;; amdgpu-corpus repo=ROCm/rocSOLVER kind=compiled arch=gfx1250 opt=O3
	.amdgcn_target "amdgcn-amd-amdhsa--gfx1250"
	.amdhsa_code_object_version 6
	.section	.text._ZN9rocsolver6v33100L18getri_kernel_smallILi1E19rocblas_complex_numIdEPS3_EEvT1_iilPiilS6_bb,"axG",@progbits,_ZN9rocsolver6v33100L18getri_kernel_smallILi1E19rocblas_complex_numIdEPS3_EEvT1_iilPiilS6_bb,comdat
	.globl	_ZN9rocsolver6v33100L18getri_kernel_smallILi1E19rocblas_complex_numIdEPS3_EEvT1_iilPiilS6_bb ; -- Begin function _ZN9rocsolver6v33100L18getri_kernel_smallILi1E19rocblas_complex_numIdEPS3_EEvT1_iilPiilS6_bb
	.p2align	8
	.type	_ZN9rocsolver6v33100L18getri_kernel_smallILi1E19rocblas_complex_numIdEPS3_EEvT1_iilPiilS6_bb,@function
_ZN9rocsolver6v33100L18getri_kernel_smallILi1E19rocblas_complex_numIdEPS3_EEvT1_iilPiilS6_bb: ; @_ZN9rocsolver6v33100L18getri_kernel_smallILi1E19rocblas_complex_numIdEPS3_EEvT1_iilPiilS6_bb
; %bb.0:
	s_mov_b32 s12, 0
	s_mov_b32 s2, exec_lo
	v_cmpx_eq_u32_e32 0, v0
	s_cbranch_execz .LBB0_13
; %bb.1:
	s_clause 0x2
	s_load_b96 s[4:6], s[0:1], 0x0
	s_load_b96 s[8:10], s[0:1], 0x30
	s_load_b64 s[2:3], s[0:1], 0x10
	s_wait_kmcnt 0x0
	s_ashr_i32 s1, s6, 31
	s_bitcmp1_b32 s10, 0
	s_getreg_b32 s10, hwreg(HW_REG_IB_STS2, 6, 4)
	s_cselect_b32 s13, -1, 0
	s_bfe_u32 s0, ttmp6, 0x4000c
	s_and_b32 s7, ttmp6, 15
	s_add_co_i32 s0, s0, 1
	s_delay_alu instid0(SALU_CYCLE_1) | instskip(NEXT) | instid1(SALU_CYCLE_1)
	s_mul_i32 s0, ttmp9, s0
	s_add_co_i32 s7, s7, s0
	s_cmp_eq_u32 s10, 0
	s_mov_b32 s0, s6
	s_cselect_b32 s10, ttmp9, s7
	s_lshl_b64 s[0:1], s[0:1], 4
	s_ashr_i32 s11, s10, 31
	s_and_b32 vcc_lo, exec_lo, s13
	s_mul_u64 s[2:3], s[2:3], s[10:11]
	s_delay_alu instid0(SALU_CYCLE_1) | instskip(NEXT) | instid1(SALU_CYCLE_1)
	s_lshl_b64 s[2:3], s[2:3], 4
	s_add_nc_u64 s[2:3], s[4:5], s[2:3]
	s_delay_alu instid0(SALU_CYCLE_1)
	s_add_nc_u64 s[2:3], s[2:3], s[0:1]
	s_mov_b32 s0, -1
	s_load_b128 s[4:7], s[2:3], 0x0
	s_cbranch_vccnz .LBB0_3
; %bb.2:
	s_lshl_b64 s[0:1], s[10:11], 2
	s_delay_alu instid0(SALU_CYCLE_1)
	s_add_nc_u64 s[0:1], s[8:9], s[0:1]
	s_load_b32 s0, s[0:1], 0x0
	s_wait_kmcnt 0x0
	s_cmp_eq_u32 s0, 0
	s_mov_b32 s0, 0
	s_cselect_b32 s12, -1, 0
.LBB0_3:
	s_and_not1_b32 vcc_lo, exec_lo, s0
	s_cbranch_vccnz .LBB0_11
; %bb.4:
	s_wait_kmcnt 0x0
	v_cmp_eq_f64_e64 s0, s[4:5], 0
	v_cmp_eq_f64_e64 s1, s[6:7], 0
	v_mov_b32_e32 v0, 0
	ds_store_b32 v0, v0
	s_wait_dscnt 0x0
	s_barrier_signal -1
	s_barrier_wait -1
	s_and_b32 s0, s0, s1
	s_delay_alu instid0(SALU_CYCLE_1)
	s_and_not1_b32 vcc_lo, exec_lo, s0
	s_cbranch_vccnz .LBB0_9
; %bb.5:
	ds_load_b32 v1, v0
	s_mov_b32 s1, 0
	s_wait_dscnt 0x0
	v_cmp_ne_u32_e32 vcc_lo, 0, v1
	v_cmp_gt_i32_e64 s0, 2, v1
	s_and_b32 s0, vcc_lo, s0
	s_delay_alu instid0(SALU_CYCLE_1)
	s_and_b32 vcc_lo, exec_lo, s0
	s_cbranch_vccnz .LBB0_9
; %bb.6:
	v_dual_mov_b32 v2, 1 :: v_dual_mov_b32 v3, 0
.LBB0_7:                                ; =>This Inner Loop Header: Depth=1
	ds_cmpstore_rtn_b32 v1, v3, v2, v1
	s_wait_dscnt 0x0
	v_cmp_ne_u32_e32 vcc_lo, 0, v1
	v_cmp_gt_i32_e64 s0, 2, v1
	s_and_b32 s0, vcc_lo, s0
	s_delay_alu instid0(SALU_CYCLE_1) | instskip(NEXT) | instid1(SALU_CYCLE_1)
	s_and_b32 s0, exec_lo, s0
	s_or_b32 s1, s0, s1
	s_delay_alu instid0(SALU_CYCLE_1)
	s_and_not1_b32 exec_lo, exec_lo, s1
	s_cbranch_execnz .LBB0_7
; %bb.8:
	s_or_b32 exec_lo, exec_lo, s1
.LBB0_9:
	s_barrier_signal -1
	s_barrier_wait -1
	ds_load_b32 v1, v0
	s_lshl_b64 s[0:1], s[10:11], 2
	s_delay_alu instid0(SALU_CYCLE_1)
	s_add_nc_u64 s[0:1], s[8:9], s[0:1]
	s_wait_dscnt 0x0
	v_cmp_ne_u32_e32 vcc_lo, 0, v1
	global_store_b32 v0, v1, s[0:1]
	s_cbranch_vccz .LBB0_14
; %bb.10:
                                        ; implicit-def: $vgpr0_vgpr1
	s_and_b32 vcc_lo, exec_lo, s12
	s_cbranch_vccnz .LBB0_12
	s_branch .LBB0_13
.LBB0_11:
	s_wait_kmcnt 0x0
	v_mov_b64_e32 v[2:3], s[6:7]
	v_mov_b64_e32 v[0:1], s[4:5]
	s_and_b32 vcc_lo, exec_lo, s12
	s_cbranch_vccz .LBB0_13
.LBB0_12:
	v_mov_b32_e32 v4, 0
	global_store_b128 v4, v[0:3], s[2:3]
.LBB0_13:
	s_endpgm
.LBB0_14:
	s_wait_xcnt 0x0
	v_cmp_ngt_f64_e64 s0, |s[4:5]|, |s[6:7]|
	s_and_b32 vcc_lo, exec_lo, s0
	s_cbranch_vccz .LBB0_16
; %bb.15:
	v_div_scale_f64 v[0:1], null, s[6:7], s[6:7], s[4:5]
	v_div_scale_f64 v[6:7], vcc_lo, s[4:5], s[6:7], s[4:5]
	s_delay_alu instid0(VALU_DEP_2) | instskip(SKIP_1) | instid1(TRANS32_DEP_1)
	v_rcp_f64_e32 v[2:3], v[0:1]
	v_nop
	v_fma_f64 v[4:5], -v[0:1], v[2:3], 1.0
	s_delay_alu instid0(VALU_DEP_1) | instskip(NEXT) | instid1(VALU_DEP_1)
	v_fmac_f64_e32 v[2:3], v[2:3], v[4:5]
	v_fma_f64 v[4:5], -v[0:1], v[2:3], 1.0
	s_delay_alu instid0(VALU_DEP_1) | instskip(NEXT) | instid1(VALU_DEP_1)
	v_fmac_f64_e32 v[2:3], v[2:3], v[4:5]
	v_mul_f64_e32 v[4:5], v[6:7], v[2:3]
	s_delay_alu instid0(VALU_DEP_1) | instskip(NEXT) | instid1(VALU_DEP_1)
	v_fma_f64 v[0:1], -v[0:1], v[4:5], v[6:7]
	v_div_fmas_f64 v[0:1], v[0:1], v[2:3], v[4:5]
	s_delay_alu instid0(VALU_DEP_1) | instskip(NEXT) | instid1(VALU_DEP_1)
	v_div_fixup_f64 v[0:1], v[0:1], s[6:7], s[4:5]
	v_fma_f64 v[2:3], s[4:5], v[0:1], s[6:7]
	s_delay_alu instid0(VALU_DEP_1) | instskip(NEXT) | instid1(VALU_DEP_1)
	v_div_scale_f64 v[4:5], null, v[2:3], v[2:3], 1.0
	v_rcp_f64_e32 v[6:7], v[4:5]
	v_nop
	s_delay_alu instid0(TRANS32_DEP_1) | instskip(NEXT) | instid1(VALU_DEP_1)
	v_fma_f64 v[8:9], -v[4:5], v[6:7], 1.0
	v_fmac_f64_e32 v[6:7], v[6:7], v[8:9]
	s_delay_alu instid0(VALU_DEP_1) | instskip(NEXT) | instid1(VALU_DEP_1)
	v_fma_f64 v[8:9], -v[4:5], v[6:7], 1.0
	v_fmac_f64_e32 v[6:7], v[6:7], v[8:9]
	v_div_scale_f64 v[8:9], vcc_lo, 1.0, v[2:3], 1.0
	s_delay_alu instid0(VALU_DEP_1) | instskip(NEXT) | instid1(VALU_DEP_1)
	v_mul_f64_e32 v[10:11], v[8:9], v[6:7]
	v_fma_f64 v[4:5], -v[4:5], v[10:11], v[8:9]
	s_delay_alu instid0(VALU_DEP_1) | instskip(NEXT) | instid1(VALU_DEP_1)
	v_div_fmas_f64 v[4:5], v[4:5], v[6:7], v[10:11]
	v_div_fixup_f64 v[2:3], v[4:5], v[2:3], 1.0
	s_delay_alu instid0(VALU_DEP_1)
	v_mul_f64_e32 v[0:1], v[0:1], v[2:3]
	v_xor_b32_e32 v3, 0x80000000, v3
	s_cbranch_execz .LBB0_17
	s_branch .LBB0_18
.LBB0_16:
                                        ; implicit-def: $vgpr0_vgpr1
.LBB0_17:
	v_div_scale_f64 v[0:1], null, s[4:5], s[4:5], s[6:7]
	v_div_scale_f64 v[6:7], vcc_lo, s[6:7], s[4:5], s[6:7]
	s_delay_alu instid0(VALU_DEP_2) | instskip(SKIP_1) | instid1(TRANS32_DEP_1)
	v_rcp_f64_e32 v[2:3], v[0:1]
	v_nop
	v_fma_f64 v[4:5], -v[0:1], v[2:3], 1.0
	s_delay_alu instid0(VALU_DEP_1) | instskip(NEXT) | instid1(VALU_DEP_1)
	v_fmac_f64_e32 v[2:3], v[2:3], v[4:5]
	v_fma_f64 v[4:5], -v[0:1], v[2:3], 1.0
	s_delay_alu instid0(VALU_DEP_1) | instskip(NEXT) | instid1(VALU_DEP_1)
	v_fmac_f64_e32 v[2:3], v[2:3], v[4:5]
	v_mul_f64_e32 v[4:5], v[6:7], v[2:3]
	s_delay_alu instid0(VALU_DEP_1) | instskip(NEXT) | instid1(VALU_DEP_1)
	v_fma_f64 v[0:1], -v[0:1], v[4:5], v[6:7]
	v_div_fmas_f64 v[0:1], v[0:1], v[2:3], v[4:5]
	s_delay_alu instid0(VALU_DEP_1) | instskip(NEXT) | instid1(VALU_DEP_1)
	v_div_fixup_f64 v[2:3], v[0:1], s[4:5], s[6:7]
	v_fma_f64 v[0:1], s[6:7], v[2:3], s[4:5]
	s_delay_alu instid0(VALU_DEP_1) | instskip(NEXT) | instid1(VALU_DEP_1)
	v_div_scale_f64 v[4:5], null, v[0:1], v[0:1], 1.0
	v_rcp_f64_e32 v[6:7], v[4:5]
	v_nop
	s_delay_alu instid0(TRANS32_DEP_1) | instskip(NEXT) | instid1(VALU_DEP_1)
	v_fma_f64 v[8:9], -v[4:5], v[6:7], 1.0
	v_fmac_f64_e32 v[6:7], v[6:7], v[8:9]
	s_delay_alu instid0(VALU_DEP_1) | instskip(NEXT) | instid1(VALU_DEP_1)
	v_fma_f64 v[8:9], -v[4:5], v[6:7], 1.0
	v_fmac_f64_e32 v[6:7], v[6:7], v[8:9]
	v_div_scale_f64 v[8:9], vcc_lo, 1.0, v[0:1], 1.0
	s_delay_alu instid0(VALU_DEP_1) | instskip(NEXT) | instid1(VALU_DEP_1)
	v_mul_f64_e32 v[10:11], v[8:9], v[6:7]
	v_fma_f64 v[4:5], -v[4:5], v[10:11], v[8:9]
	s_delay_alu instid0(VALU_DEP_1) | instskip(NEXT) | instid1(VALU_DEP_1)
	v_div_fmas_f64 v[4:5], v[4:5], v[6:7], v[10:11]
	v_div_fixup_f64 v[0:1], v[4:5], v[0:1], 1.0
	s_delay_alu instid0(VALU_DEP_1)
	v_mul_f64_e64 v[2:3], v[2:3], -v[0:1]
.LBB0_18:
	s_cbranch_execnz .LBB0_12
	s_branch .LBB0_13
	.section	.rodata,"a",@progbits
	.p2align	6, 0x0
	.amdhsa_kernel _ZN9rocsolver6v33100L18getri_kernel_smallILi1E19rocblas_complex_numIdEPS3_EEvT1_iilPiilS6_bb
		.amdhsa_group_segment_fixed_size 4
		.amdhsa_private_segment_fixed_size 0
		.amdhsa_kernarg_size 60
		.amdhsa_user_sgpr_count 2
		.amdhsa_user_sgpr_dispatch_ptr 0
		.amdhsa_user_sgpr_queue_ptr 0
		.amdhsa_user_sgpr_kernarg_segment_ptr 1
		.amdhsa_user_sgpr_dispatch_id 0
		.amdhsa_user_sgpr_kernarg_preload_length 0
		.amdhsa_user_sgpr_kernarg_preload_offset 0
		.amdhsa_user_sgpr_private_segment_size 0
		.amdhsa_wavefront_size32 1
		.amdhsa_uses_dynamic_stack 0
		.amdhsa_enable_private_segment 0
		.amdhsa_system_sgpr_workgroup_id_x 1
		.amdhsa_system_sgpr_workgroup_id_y 0
		.amdhsa_system_sgpr_workgroup_id_z 0
		.amdhsa_system_sgpr_workgroup_info 0
		.amdhsa_system_vgpr_workitem_id 0
		.amdhsa_next_free_vgpr 12
		.amdhsa_next_free_sgpr 14
		.amdhsa_named_barrier_count 0
		.amdhsa_reserve_vcc 1
		.amdhsa_float_round_mode_32 0
		.amdhsa_float_round_mode_16_64 0
		.amdhsa_float_denorm_mode_32 3
		.amdhsa_float_denorm_mode_16_64 3
		.amdhsa_fp16_overflow 0
		.amdhsa_memory_ordered 1
		.amdhsa_forward_progress 1
		.amdhsa_inst_pref_size 8
		.amdhsa_round_robin_scheduling 0
		.amdhsa_exception_fp_ieee_invalid_op 0
		.amdhsa_exception_fp_denorm_src 0
		.amdhsa_exception_fp_ieee_div_zero 0
		.amdhsa_exception_fp_ieee_overflow 0
		.amdhsa_exception_fp_ieee_underflow 0
		.amdhsa_exception_fp_ieee_inexact 0
		.amdhsa_exception_int_div_zero 0
	.end_amdhsa_kernel
	.section	.text._ZN9rocsolver6v33100L18getri_kernel_smallILi1E19rocblas_complex_numIdEPS3_EEvT1_iilPiilS6_bb,"axG",@progbits,_ZN9rocsolver6v33100L18getri_kernel_smallILi1E19rocblas_complex_numIdEPS3_EEvT1_iilPiilS6_bb,comdat
.Lfunc_end0:
	.size	_ZN9rocsolver6v33100L18getri_kernel_smallILi1E19rocblas_complex_numIdEPS3_EEvT1_iilPiilS6_bb, .Lfunc_end0-_ZN9rocsolver6v33100L18getri_kernel_smallILi1E19rocblas_complex_numIdEPS3_EEvT1_iilPiilS6_bb
                                        ; -- End function
	.set _ZN9rocsolver6v33100L18getri_kernel_smallILi1E19rocblas_complex_numIdEPS3_EEvT1_iilPiilS6_bb.num_vgpr, 12
	.set _ZN9rocsolver6v33100L18getri_kernel_smallILi1E19rocblas_complex_numIdEPS3_EEvT1_iilPiilS6_bb.num_agpr, 0
	.set _ZN9rocsolver6v33100L18getri_kernel_smallILi1E19rocblas_complex_numIdEPS3_EEvT1_iilPiilS6_bb.numbered_sgpr, 14
	.set _ZN9rocsolver6v33100L18getri_kernel_smallILi1E19rocblas_complex_numIdEPS3_EEvT1_iilPiilS6_bb.num_named_barrier, 0
	.set _ZN9rocsolver6v33100L18getri_kernel_smallILi1E19rocblas_complex_numIdEPS3_EEvT1_iilPiilS6_bb.private_seg_size, 0
	.set _ZN9rocsolver6v33100L18getri_kernel_smallILi1E19rocblas_complex_numIdEPS3_EEvT1_iilPiilS6_bb.uses_vcc, 1
	.set _ZN9rocsolver6v33100L18getri_kernel_smallILi1E19rocblas_complex_numIdEPS3_EEvT1_iilPiilS6_bb.uses_flat_scratch, 0
	.set _ZN9rocsolver6v33100L18getri_kernel_smallILi1E19rocblas_complex_numIdEPS3_EEvT1_iilPiilS6_bb.has_dyn_sized_stack, 0
	.set _ZN9rocsolver6v33100L18getri_kernel_smallILi1E19rocblas_complex_numIdEPS3_EEvT1_iilPiilS6_bb.has_recursion, 0
	.set _ZN9rocsolver6v33100L18getri_kernel_smallILi1E19rocblas_complex_numIdEPS3_EEvT1_iilPiilS6_bb.has_indirect_call, 0
	.section	.AMDGPU.csdata,"",@progbits
; Kernel info:
; codeLenInByte = 936
; TotalNumSgprs: 16
; NumVgprs: 12
; ScratchSize: 0
; MemoryBound: 0
; FloatMode: 240
; IeeeMode: 1
; LDSByteSize: 4 bytes/workgroup (compile time only)
; SGPRBlocks: 0
; VGPRBlocks: 0
; NumSGPRsForWavesPerEU: 16
; NumVGPRsForWavesPerEU: 12
; NamedBarCnt: 0
; Occupancy: 16
; WaveLimiterHint : 0
; COMPUTE_PGM_RSRC2:SCRATCH_EN: 0
; COMPUTE_PGM_RSRC2:USER_SGPR: 2
; COMPUTE_PGM_RSRC2:TRAP_HANDLER: 0
; COMPUTE_PGM_RSRC2:TGID_X_EN: 1
; COMPUTE_PGM_RSRC2:TGID_Y_EN: 0
; COMPUTE_PGM_RSRC2:TGID_Z_EN: 0
; COMPUTE_PGM_RSRC2:TIDIG_COMP_CNT: 0
	.section	.text._ZN9rocsolver6v33100L18getri_kernel_smallILi2E19rocblas_complex_numIdEPS3_EEvT1_iilPiilS6_bb,"axG",@progbits,_ZN9rocsolver6v33100L18getri_kernel_smallILi2E19rocblas_complex_numIdEPS3_EEvT1_iilPiilS6_bb,comdat
	.globl	_ZN9rocsolver6v33100L18getri_kernel_smallILi2E19rocblas_complex_numIdEPS3_EEvT1_iilPiilS6_bb ; -- Begin function _ZN9rocsolver6v33100L18getri_kernel_smallILi2E19rocblas_complex_numIdEPS3_EEvT1_iilPiilS6_bb
	.p2align	8
	.type	_ZN9rocsolver6v33100L18getri_kernel_smallILi2E19rocblas_complex_numIdEPS3_EEvT1_iilPiilS6_bb,@function
_ZN9rocsolver6v33100L18getri_kernel_smallILi2E19rocblas_complex_numIdEPS3_EEvT1_iilPiilS6_bb: ; @_ZN9rocsolver6v33100L18getri_kernel_smallILi2E19rocblas_complex_numIdEPS3_EEvT1_iilPiilS6_bb
; %bb.0:
	v_and_b32_e32 v1, 0x3ff, v0
	s_mov_b32 s4, exec_lo
	s_delay_alu instid0(VALU_DEP_1)
	v_cmpx_gt_u32_e32 2, v1
	s_cbranch_execz .LBB1_22
; %bb.1:
	s_clause 0x2
	s_load_b32 s12, s[2:3], 0x38
	s_load_b128 s[8:11], s[2:3], 0x10
	s_load_b128 s[4:7], s[2:3], 0x28
	s_getreg_b32 s15, hwreg(HW_REG_IB_STS2, 6, 4)
	s_wait_kmcnt 0x0
	s_bitcmp1_b32 s12, 8
	s_cselect_b32 s16, -1, 0
	s_bfe_u32 s13, ttmp6, 0x4000c
	s_and_b32 s14, ttmp6, 15
	s_add_co_i32 s13, s13, 1
	s_delay_alu instid0(SALU_CYCLE_1) | instskip(NEXT) | instid1(SALU_CYCLE_1)
	s_mul_i32 s13, ttmp9, s13
	s_add_co_i32 s14, s14, s13
	s_cmp_eq_u32 s15, 0
	s_cselect_b32 s14, ttmp9, s14
	s_bfe_u32 s12, s12, 0x10008
	s_ashr_i32 s15, s14, 31
	s_cmp_eq_u32 s12, 0
                                        ; implicit-def: $sgpr12_sgpr13
	s_cbranch_scc1 .LBB1_3
; %bb.2:
	s_load_b32 s12, s[2:3], 0x20
	s_mul_u64 s[4:5], s[4:5], s[14:15]
	s_delay_alu instid0(SALU_CYCLE_1) | instskip(NEXT) | instid1(SALU_CYCLE_1)
	s_lshl_b64 s[4:5], s[4:5], 2
	s_add_nc_u64 s[4:5], s[10:11], s[4:5]
	s_wait_kmcnt 0x0
	s_ashr_i32 s13, s12, 31
	s_delay_alu instid0(SALU_CYCLE_1) | instskip(NEXT) | instid1(SALU_CYCLE_1)
	s_lshl_b64 s[10:11], s[12:13], 2
	s_add_nc_u64 s[12:13], s[4:5], s[10:11]
.LBB1_3:
	s_load_b128 s[20:23], s[2:3], 0x0
	s_mul_u64 s[4:5], s[8:9], s[14:15]
	s_load_b32 s8, s[2:3], 0x38
	s_wait_xcnt 0x0
	s_lshl_b64 s[2:3], s[4:5], 4
	v_dual_mov_b32 v19, 0 :: v_dual_lshlrev_b32 v18, 4, v1
	s_wait_kmcnt 0x0
	s_ashr_i32 s5, s22, 31
	s_mov_b32 s4, s22
	s_add_nc_u64 s[2:3], s[20:21], s[2:3]
	s_lshl_b64 s[4:5], s[4:5], 4
	s_delay_alu instid0(SALU_CYCLE_1) | instskip(SKIP_4) | instid1(VALU_DEP_1)
	s_add_nc_u64 s[2:3], s[2:3], s[4:5]
	s_ashr_i32 s5, s23, 31
	v_add_nc_u64_e32 v[14:15], s[2:3], v[18:19]
	s_mov_b32 s4, s23
	s_bitcmp0_b32 s8, 0
	v_lshl_add_u64 v[16:17], s[4:5], 4, v[14:15]
	s_mov_b32 s4, 16
	s_clause 0x1
	global_load_b128 v[2:5], v1, s[2:3] scale_offset
	global_load_b128 v[6:9], v[16:17], off
	s_wait_xcnt 0x1
	s_mov_b32 s3, -1
	s_wait_loadcnt 0x1
	scratch_store_b128 off, v[2:5], off
	s_wait_loadcnt 0x0
	scratch_store_b128 off, v[6:9], off offset:16
	s_cbranch_scc1 .LBB1_20
; %bb.4:
	v_cmp_eq_u32_e64 s2, 0, v1
	s_wait_xcnt 0x0
	s_and_saveexec_b32 s3, s2
; %bb.5:
	v_mov_b32_e32 v2, 0
	ds_store_b32 v2, v2 offset:64
; %bb.6:
	s_or_b32 exec_lo, exec_lo, s3
	s_wait_storecnt_dscnt 0x0
	s_barrier_signal -1
	s_barrier_wait -1
	scratch_load_b128 v[2:5], v1, off scale_offset
	s_wait_loadcnt 0x0
	v_cmp_eq_f64_e32 vcc_lo, 0, v[2:3]
	v_cmp_eq_f64_e64 s3, 0, v[4:5]
	s_and_b32 s3, vcc_lo, s3
	s_delay_alu instid0(SALU_CYCLE_1)
	s_and_saveexec_b32 s5, s3
	s_cbranch_execz .LBB1_10
; %bb.7:
	v_mov_b32_e32 v2, 0
	s_mov_b32 s8, 0
	ds_load_b32 v3, v2 offset:64
	s_wait_dscnt 0x0
	v_readfirstlane_b32 s3, v3
	v_add_nc_u32_e32 v3, 1, v1
	s_cmp_eq_u32 s3, 0
	s_delay_alu instid0(VALU_DEP_1) | instskip(SKIP_1) | instid1(SALU_CYCLE_1)
	v_cmp_gt_i32_e32 vcc_lo, s3, v3
	s_cselect_b32 s9, -1, 0
	s_or_b32 s9, s9, vcc_lo
	s_delay_alu instid0(SALU_CYCLE_1)
	s_and_b32 exec_lo, exec_lo, s9
	s_cbranch_execz .LBB1_10
; %bb.8:
	v_mov_b32_e32 v4, s3
.LBB1_9:                                ; =>This Inner Loop Header: Depth=1
	ds_cmpstore_rtn_b32 v4, v2, v3, v4 offset:64
	s_wait_dscnt 0x0
	v_cmp_ne_u32_e32 vcc_lo, 0, v4
	v_cmp_le_i32_e64 s3, v4, v3
	s_and_b32 s3, vcc_lo, s3
	s_delay_alu instid0(SALU_CYCLE_1) | instskip(NEXT) | instid1(SALU_CYCLE_1)
	s_and_b32 s3, exec_lo, s3
	s_or_b32 s8, s3, s8
	s_delay_alu instid0(SALU_CYCLE_1)
	s_and_not1_b32 exec_lo, exec_lo, s8
	s_cbranch_execnz .LBB1_9
.LBB1_10:
	s_or_b32 exec_lo, exec_lo, s5
	v_mov_b32_e32 v2, 0
	s_barrier_signal -1
	s_barrier_wait -1
	ds_load_b32 v3, v2 offset:64
	s_and_saveexec_b32 s3, s2
	s_cbranch_execz .LBB1_12
; %bb.11:
	s_lshl_b64 s[8:9], s[14:15], 2
	s_delay_alu instid0(SALU_CYCLE_1)
	s_add_nc_u64 s[8:9], s[6:7], s[8:9]
	s_wait_dscnt 0x0
	global_store_b32 v2, v3, s[8:9]
.LBB1_12:
	s_wait_xcnt 0x0
	s_or_b32 exec_lo, exec_lo, s3
	s_wait_dscnt 0x0
	v_cmp_ne_u32_e32 vcc_lo, 0, v3
	s_mov_b32 s3, 0
	s_cbranch_vccnz .LBB1_20
; %bb.13:
	v_lshl_add_u32 v12, v1, 4, 0
                                        ; implicit-def: $vgpr6_vgpr7
                                        ; implicit-def: $vgpr10_vgpr11
	scratch_load_b128 v[2:5], v12, off
	s_wait_loadcnt 0x0
	v_cmp_ngt_f64_e64 s3, |v[2:3]|, |v[4:5]|
	s_wait_xcnt 0x0
	s_and_saveexec_b32 s5, s3
	s_delay_alu instid0(SALU_CYCLE_1)
	s_xor_b32 s3, exec_lo, s5
	s_cbranch_execz .LBB1_15
; %bb.14:
	v_div_scale_f64 v[6:7], null, v[4:5], v[4:5], v[2:3]
	v_div_scale_f64 v[20:21], vcc_lo, v[2:3], v[4:5], v[2:3]
	s_delay_alu instid0(VALU_DEP_2) | instskip(SKIP_1) | instid1(TRANS32_DEP_1)
	v_rcp_f64_e32 v[8:9], v[6:7]
	v_nop
	v_fma_f64 v[10:11], -v[6:7], v[8:9], 1.0
	s_delay_alu instid0(VALU_DEP_1) | instskip(NEXT) | instid1(VALU_DEP_1)
	v_fmac_f64_e32 v[8:9], v[8:9], v[10:11]
	v_fma_f64 v[10:11], -v[6:7], v[8:9], 1.0
	s_delay_alu instid0(VALU_DEP_1) | instskip(NEXT) | instid1(VALU_DEP_1)
	v_fmac_f64_e32 v[8:9], v[8:9], v[10:11]
	v_mul_f64_e32 v[10:11], v[20:21], v[8:9]
	s_delay_alu instid0(VALU_DEP_1) | instskip(NEXT) | instid1(VALU_DEP_1)
	v_fma_f64 v[6:7], -v[6:7], v[10:11], v[20:21]
	v_div_fmas_f64 v[6:7], v[6:7], v[8:9], v[10:11]
	s_delay_alu instid0(VALU_DEP_1) | instskip(NEXT) | instid1(VALU_DEP_1)
	v_div_fixup_f64 v[6:7], v[6:7], v[4:5], v[2:3]
	v_fmac_f64_e32 v[4:5], v[2:3], v[6:7]
	s_delay_alu instid0(VALU_DEP_1) | instskip(SKIP_1) | instid1(VALU_DEP_2)
	v_div_scale_f64 v[2:3], null, v[4:5], v[4:5], 1.0
	v_div_scale_f64 v[20:21], vcc_lo, 1.0, v[4:5], 1.0
	v_rcp_f64_e32 v[8:9], v[2:3]
	v_nop
	s_delay_alu instid0(TRANS32_DEP_1) | instskip(NEXT) | instid1(VALU_DEP_1)
	v_fma_f64 v[10:11], -v[2:3], v[8:9], 1.0
	v_fmac_f64_e32 v[8:9], v[8:9], v[10:11]
	s_delay_alu instid0(VALU_DEP_1) | instskip(NEXT) | instid1(VALU_DEP_1)
	v_fma_f64 v[10:11], -v[2:3], v[8:9], 1.0
	v_fmac_f64_e32 v[8:9], v[8:9], v[10:11]
	s_delay_alu instid0(VALU_DEP_1) | instskip(NEXT) | instid1(VALU_DEP_1)
	v_mul_f64_e32 v[10:11], v[20:21], v[8:9]
	v_fma_f64 v[2:3], -v[2:3], v[10:11], v[20:21]
	s_delay_alu instid0(VALU_DEP_1) | instskip(NEXT) | instid1(VALU_DEP_1)
	v_div_fmas_f64 v[2:3], v[2:3], v[8:9], v[10:11]
	v_div_fixup_f64 v[8:9], v[2:3], v[4:5], 1.0
                                        ; implicit-def: $vgpr2_vgpr3
	s_delay_alu instid0(VALU_DEP_1) | instskip(SKIP_1) | instid1(VALU_DEP_2)
	v_mul_f64_e32 v[6:7], v[6:7], v[8:9]
	v_xor_b32_e32 v9, 0x80000000, v9
	v_xor_b32_e32 v11, 0x80000000, v7
	s_delay_alu instid0(VALU_DEP_3)
	v_mov_b32_e32 v10, v6
.LBB1_15:
	s_and_not1_saveexec_b32 s3, s3
	s_cbranch_execz .LBB1_17
; %bb.16:
	v_div_scale_f64 v[6:7], null, v[2:3], v[2:3], v[4:5]
	v_div_scale_f64 v[20:21], vcc_lo, v[4:5], v[2:3], v[4:5]
	s_delay_alu instid0(VALU_DEP_2) | instskip(SKIP_1) | instid1(TRANS32_DEP_1)
	v_rcp_f64_e32 v[8:9], v[6:7]
	v_nop
	v_fma_f64 v[10:11], -v[6:7], v[8:9], 1.0
	s_delay_alu instid0(VALU_DEP_1) | instskip(NEXT) | instid1(VALU_DEP_1)
	v_fmac_f64_e32 v[8:9], v[8:9], v[10:11]
	v_fma_f64 v[10:11], -v[6:7], v[8:9], 1.0
	s_delay_alu instid0(VALU_DEP_1) | instskip(NEXT) | instid1(VALU_DEP_1)
	v_fmac_f64_e32 v[8:9], v[8:9], v[10:11]
	v_mul_f64_e32 v[10:11], v[20:21], v[8:9]
	s_delay_alu instid0(VALU_DEP_1) | instskip(NEXT) | instid1(VALU_DEP_1)
	v_fma_f64 v[6:7], -v[6:7], v[10:11], v[20:21]
	v_div_fmas_f64 v[6:7], v[6:7], v[8:9], v[10:11]
	s_delay_alu instid0(VALU_DEP_1) | instskip(NEXT) | instid1(VALU_DEP_1)
	v_div_fixup_f64 v[8:9], v[6:7], v[2:3], v[4:5]
	v_fmac_f64_e32 v[2:3], v[4:5], v[8:9]
	s_delay_alu instid0(VALU_DEP_1) | instskip(NEXT) | instid1(VALU_DEP_1)
	v_div_scale_f64 v[4:5], null, v[2:3], v[2:3], 1.0
	v_rcp_f64_e32 v[6:7], v[4:5]
	v_nop
	s_delay_alu instid0(TRANS32_DEP_1) | instskip(NEXT) | instid1(VALU_DEP_1)
	v_fma_f64 v[10:11], -v[4:5], v[6:7], 1.0
	v_fmac_f64_e32 v[6:7], v[6:7], v[10:11]
	s_delay_alu instid0(VALU_DEP_1) | instskip(NEXT) | instid1(VALU_DEP_1)
	v_fma_f64 v[10:11], -v[4:5], v[6:7], 1.0
	v_fmac_f64_e32 v[6:7], v[6:7], v[10:11]
	v_div_scale_f64 v[10:11], vcc_lo, 1.0, v[2:3], 1.0
	s_delay_alu instid0(VALU_DEP_1) | instskip(NEXT) | instid1(VALU_DEP_1)
	v_mul_f64_e32 v[20:21], v[10:11], v[6:7]
	v_fma_f64 v[4:5], -v[4:5], v[20:21], v[10:11]
	s_delay_alu instid0(VALU_DEP_1) | instskip(NEXT) | instid1(VALU_DEP_1)
	v_div_fmas_f64 v[4:5], v[4:5], v[6:7], v[20:21]
	v_div_fixup_f64 v[6:7], v[4:5], v[2:3], 1.0
	s_delay_alu instid0(VALU_DEP_1)
	v_mul_f64_e64 v[8:9], v[8:9], -v[6:7]
	v_xor_b32_e32 v11, 0x80000000, v7
	v_mov_b32_e32 v10, v6
.LBB1_17:
	s_or_b32 exec_lo, exec_lo, s3
	s_clause 0x1
	scratch_store_b128 v12, v[6:9], off
	scratch_load_b128 v[2:5], off, s4
	v_xor_b32_e32 v13, 0x80000000, v9
	s_wait_xcnt 0x1
	v_mov_b32_e32 v12, v8
	ds_store_b128 v18, v[10:13]
	s_wait_loadcnt 0x0
	ds_store_b128 v18, v[2:5] offset:32
	s_wait_storecnt_dscnt 0x0
	s_barrier_signal -1
	s_barrier_wait -1
	s_wait_xcnt 0x0
	s_and_saveexec_b32 s3, s2
	s_cbranch_execz .LBB1_19
; %bb.18:
	scratch_load_b128 v[2:5], off, off
	v_mov_b32_e32 v12, 0
	ds_load_b128 v[6:9], v12 offset:32
	s_wait_loadcnt_dscnt 0x0
	v_mul_f64_e32 v[10:11], v[6:7], v[4:5]
	v_mul_f64_e32 v[4:5], v[8:9], v[4:5]
	s_delay_alu instid0(VALU_DEP_2) | instskip(NEXT) | instid1(VALU_DEP_2)
	v_fmac_f64_e32 v[10:11], v[8:9], v[2:3]
	v_fma_f64 v[2:3], v[6:7], v[2:3], -v[4:5]
	s_delay_alu instid0(VALU_DEP_2) | instskip(NEXT) | instid1(VALU_DEP_2)
	v_add_f64_e32 v[8:9], 0, v[10:11]
	v_add_f64_e32 v[10:11], 0, v[2:3]
	ds_load_b128 v[2:5], v12 offset:16
	s_wait_dscnt 0x0
	v_mul_f64_e32 v[12:13], v[8:9], v[4:5]
	v_mul_f64_e32 v[6:7], v[10:11], v[4:5]
	s_delay_alu instid0(VALU_DEP_2) | instskip(NEXT) | instid1(VALU_DEP_2)
	v_fma_f64 v[4:5], v[10:11], v[2:3], -v[12:13]
	v_fmac_f64_e32 v[6:7], v[8:9], v[2:3]
	scratch_store_b128 off, v[4:7], off offset:16
.LBB1_19:
	s_wait_xcnt 0x0
	s_or_b32 exec_lo, exec_lo, s3
	s_mov_b32 s3, -1
	s_wait_storecnt 0x0
	s_barrier_signal -1
	s_barrier_wait -1
.LBB1_20:
	s_and_b32 vcc_lo, exec_lo, s3
	s_cbranch_vccz .LBB1_22
; %bb.21:
	s_wait_xcnt 0x1
	v_mov_b32_e32 v2, 0
	s_lshl_b64 s[2:3], s[14:15], 2
	s_delay_alu instid0(SALU_CYCLE_1)
	s_add_nc_u64 s[2:3], s[6:7], s[2:3]
	global_load_b32 v2, v2, s[2:3]
	s_wait_loadcnt 0x0
	v_cmp_ne_u32_e32 vcc_lo, 0, v2
	s_cbranch_vccz .LBB1_23
.LBB1_22:
	s_endpgm
.LBB1_23:
	s_wait_xcnt 0x0
	s_mov_b32 s2, exec_lo
	v_cmpx_eq_u32_e32 1, v1
	s_cbranch_execz .LBB1_25
; %bb.24:
	scratch_load_b128 v[2:5], off, off
	v_mov_b32_e32 v6, 0
	s_delay_alu instid0(VALU_DEP_1)
	v_dual_mov_b32 v7, v6 :: v_dual_mov_b32 v8, v6
	v_mov_b32_e32 v9, v6
	scratch_store_b128 off, v[6:9], off
	s_wait_loadcnt 0x0
	ds_store_b128 v6, v[2:5] offset:48
.LBB1_25:
	s_wait_xcnt 0x0
	s_or_b32 exec_lo, exec_lo, s2
	s_wait_storecnt_dscnt 0x0
	s_barrier_signal -1
	s_barrier_wait -1
	s_clause 0x1
	scratch_load_b128 v[4:7], off, off offset:16
	scratch_load_b128 v[8:11], off, off
	v_mov_b32_e32 v2, 0
	s_and_b32 vcc_lo, exec_lo, s16
	ds_load_b128 v[18:21], v2 offset:48
	s_wait_loadcnt_dscnt 0x100
	v_mul_f64_e32 v[12:13], v[20:21], v[6:7]
	v_mul_f64_e32 v[6:7], v[18:19], v[6:7]
	s_delay_alu instid0(VALU_DEP_2) | instskip(NEXT) | instid1(VALU_DEP_2)
	v_fma_f64 v[12:13], v[18:19], v[4:5], -v[12:13]
	v_fmac_f64_e32 v[6:7], v[20:21], v[4:5]
	s_delay_alu instid0(VALU_DEP_2) | instskip(NEXT) | instid1(VALU_DEP_2)
	v_add_f64_e32 v[4:5], 0, v[12:13]
	v_add_f64_e32 v[6:7], 0, v[6:7]
	s_wait_loadcnt 0x0
	s_delay_alu instid0(VALU_DEP_2) | instskip(NEXT) | instid1(VALU_DEP_2)
	v_add_f64_e64 v[4:5], v[8:9], -v[4:5]
	v_add_f64_e64 v[6:7], v[10:11], -v[6:7]
	scratch_store_b128 off, v[4:7], off
	s_cbranch_vccz .LBB1_28
; %bb.26:
	global_load_b32 v2, v2, s[12:13]
	s_wait_loadcnt 0x0
	v_cmp_ne_u32_e32 vcc_lo, 1, v2
	s_cbranch_vccz .LBB1_28
; %bb.27:
	s_wait_xcnt 0x0
	v_lshlrev_b32_e32 v2, 4, v2
	s_load_b64 s[2:3], s[0:1], 0x4
	v_bfe_u32 v11, v0, 10, 10
	v_bfe_u32 v0, v0, 20, 10
	s_delay_alu instid0(VALU_DEP_3)
	v_mov_b32_e32 v10, v2
	scratch_load_b128 v[2:5], off, off
	scratch_load_b128 v[6:9], v10, off offset:-16
	s_wait_kmcnt 0x0
	v_mul_u32_u24_e32 v11, s3, v11
	s_lshr_b32 s0, s2, 16
	s_delay_alu instid0(SALU_CYCLE_1)
	s_mul_i32 s0, s0, s3
	s_delay_alu instid0(VALU_DEP_1) | instid1(SALU_CYCLE_1)
	v_mad_u32_u24 v1, s0, v1, v11
	s_delay_alu instid0(VALU_DEP_1)
	v_add_lshl_u32 v0, v1, v0, 4
	s_wait_loadcnt 0x1
	ds_store_2addr_b64 v0, v[2:3], v[4:5] offset0:9 offset1:10
	s_wait_loadcnt 0x0
	scratch_store_b128 off, v[6:9], off
	scratch_store_b128 v10, v[2:5], off offset:-16
.LBB1_28:
	scratch_load_b128 v[0:3], off, off
	scratch_load_b128 v[4:7], off, s4
	s_wait_loadcnt 0x1
	global_store_b128 v[14:15], v[0:3], off
	s_wait_loadcnt 0x0
	global_store_b128 v[16:17], v[4:7], off
	s_endpgm
	.section	.rodata,"a",@progbits
	.p2align	6, 0x0
	.amdhsa_kernel _ZN9rocsolver6v33100L18getri_kernel_smallILi2E19rocblas_complex_numIdEPS3_EEvT1_iilPiilS6_bb
		.amdhsa_group_segment_fixed_size 1096
		.amdhsa_private_segment_fixed_size 48
		.amdhsa_kernarg_size 60
		.amdhsa_user_sgpr_count 4
		.amdhsa_user_sgpr_dispatch_ptr 1
		.amdhsa_user_sgpr_queue_ptr 0
		.amdhsa_user_sgpr_kernarg_segment_ptr 1
		.amdhsa_user_sgpr_dispatch_id 0
		.amdhsa_user_sgpr_kernarg_preload_length 0
		.amdhsa_user_sgpr_kernarg_preload_offset 0
		.amdhsa_user_sgpr_private_segment_size 0
		.amdhsa_wavefront_size32 1
		.amdhsa_uses_dynamic_stack 0
		.amdhsa_enable_private_segment 1
		.amdhsa_system_sgpr_workgroup_id_x 1
		.amdhsa_system_sgpr_workgroup_id_y 0
		.amdhsa_system_sgpr_workgroup_id_z 0
		.amdhsa_system_sgpr_workgroup_info 0
		.amdhsa_system_vgpr_workitem_id 2
		.amdhsa_next_free_vgpr 22
		.amdhsa_next_free_sgpr 24
		.amdhsa_named_barrier_count 0
		.amdhsa_reserve_vcc 1
		.amdhsa_float_round_mode_32 0
		.amdhsa_float_round_mode_16_64 0
		.amdhsa_float_denorm_mode_32 3
		.amdhsa_float_denorm_mode_16_64 3
		.amdhsa_fp16_overflow 0
		.amdhsa_memory_ordered 1
		.amdhsa_forward_progress 1
		.amdhsa_inst_pref_size 15
		.amdhsa_round_robin_scheduling 0
		.amdhsa_exception_fp_ieee_invalid_op 0
		.amdhsa_exception_fp_denorm_src 0
		.amdhsa_exception_fp_ieee_div_zero 0
		.amdhsa_exception_fp_ieee_overflow 0
		.amdhsa_exception_fp_ieee_underflow 0
		.amdhsa_exception_fp_ieee_inexact 0
		.amdhsa_exception_int_div_zero 0
	.end_amdhsa_kernel
	.section	.text._ZN9rocsolver6v33100L18getri_kernel_smallILi2E19rocblas_complex_numIdEPS3_EEvT1_iilPiilS6_bb,"axG",@progbits,_ZN9rocsolver6v33100L18getri_kernel_smallILi2E19rocblas_complex_numIdEPS3_EEvT1_iilPiilS6_bb,comdat
.Lfunc_end1:
	.size	_ZN9rocsolver6v33100L18getri_kernel_smallILi2E19rocblas_complex_numIdEPS3_EEvT1_iilPiilS6_bb, .Lfunc_end1-_ZN9rocsolver6v33100L18getri_kernel_smallILi2E19rocblas_complex_numIdEPS3_EEvT1_iilPiilS6_bb
                                        ; -- End function
	.set _ZN9rocsolver6v33100L18getri_kernel_smallILi2E19rocblas_complex_numIdEPS3_EEvT1_iilPiilS6_bb.num_vgpr, 22
	.set _ZN9rocsolver6v33100L18getri_kernel_smallILi2E19rocblas_complex_numIdEPS3_EEvT1_iilPiilS6_bb.num_agpr, 0
	.set _ZN9rocsolver6v33100L18getri_kernel_smallILi2E19rocblas_complex_numIdEPS3_EEvT1_iilPiilS6_bb.numbered_sgpr, 24
	.set _ZN9rocsolver6v33100L18getri_kernel_smallILi2E19rocblas_complex_numIdEPS3_EEvT1_iilPiilS6_bb.num_named_barrier, 0
	.set _ZN9rocsolver6v33100L18getri_kernel_smallILi2E19rocblas_complex_numIdEPS3_EEvT1_iilPiilS6_bb.private_seg_size, 48
	.set _ZN9rocsolver6v33100L18getri_kernel_smallILi2E19rocblas_complex_numIdEPS3_EEvT1_iilPiilS6_bb.uses_vcc, 1
	.set _ZN9rocsolver6v33100L18getri_kernel_smallILi2E19rocblas_complex_numIdEPS3_EEvT1_iilPiilS6_bb.uses_flat_scratch, 1
	.set _ZN9rocsolver6v33100L18getri_kernel_smallILi2E19rocblas_complex_numIdEPS3_EEvT1_iilPiilS6_bb.has_dyn_sized_stack, 0
	.set _ZN9rocsolver6v33100L18getri_kernel_smallILi2E19rocblas_complex_numIdEPS3_EEvT1_iilPiilS6_bb.has_recursion, 0
	.set _ZN9rocsolver6v33100L18getri_kernel_smallILi2E19rocblas_complex_numIdEPS3_EEvT1_iilPiilS6_bb.has_indirect_call, 0
	.section	.AMDGPU.csdata,"",@progbits
; Kernel info:
; codeLenInByte = 1860
; TotalNumSgprs: 26
; NumVgprs: 22
; ScratchSize: 48
; MemoryBound: 0
; FloatMode: 240
; IeeeMode: 1
; LDSByteSize: 1096 bytes/workgroup (compile time only)
; SGPRBlocks: 0
; VGPRBlocks: 1
; NumSGPRsForWavesPerEU: 26
; NumVGPRsForWavesPerEU: 22
; NamedBarCnt: 0
; Occupancy: 16
; WaveLimiterHint : 0
; COMPUTE_PGM_RSRC2:SCRATCH_EN: 1
; COMPUTE_PGM_RSRC2:USER_SGPR: 4
; COMPUTE_PGM_RSRC2:TRAP_HANDLER: 0
; COMPUTE_PGM_RSRC2:TGID_X_EN: 1
; COMPUTE_PGM_RSRC2:TGID_Y_EN: 0
; COMPUTE_PGM_RSRC2:TGID_Z_EN: 0
; COMPUTE_PGM_RSRC2:TIDIG_COMP_CNT: 2
	.section	.text._ZN9rocsolver6v33100L18getri_kernel_smallILi3E19rocblas_complex_numIdEPS3_EEvT1_iilPiilS6_bb,"axG",@progbits,_ZN9rocsolver6v33100L18getri_kernel_smallILi3E19rocblas_complex_numIdEPS3_EEvT1_iilPiilS6_bb,comdat
	.globl	_ZN9rocsolver6v33100L18getri_kernel_smallILi3E19rocblas_complex_numIdEPS3_EEvT1_iilPiilS6_bb ; -- Begin function _ZN9rocsolver6v33100L18getri_kernel_smallILi3E19rocblas_complex_numIdEPS3_EEvT1_iilPiilS6_bb
	.p2align	8
	.type	_ZN9rocsolver6v33100L18getri_kernel_smallILi3E19rocblas_complex_numIdEPS3_EEvT1_iilPiilS6_bb,@function
_ZN9rocsolver6v33100L18getri_kernel_smallILi3E19rocblas_complex_numIdEPS3_EEvT1_iilPiilS6_bb: ; @_ZN9rocsolver6v33100L18getri_kernel_smallILi3E19rocblas_complex_numIdEPS3_EEvT1_iilPiilS6_bb
; %bb.0:
	v_and_b32_e32 v1, 0x3ff, v0
	s_mov_b32 s4, exec_lo
	s_delay_alu instid0(VALU_DEP_1)
	v_cmpx_gt_u32_e32 3, v1
	s_cbranch_execz .LBB2_26
; %bb.1:
	s_clause 0x2
	s_load_b32 s12, s[2:3], 0x38
	s_load_b128 s[8:11], s[2:3], 0x10
	s_load_b128 s[4:7], s[2:3], 0x28
	s_getreg_b32 s15, hwreg(HW_REG_IB_STS2, 6, 4)
	s_wait_kmcnt 0x0
	s_bitcmp1_b32 s12, 8
	s_cselect_b32 s16, -1, 0
	s_bfe_u32 s13, ttmp6, 0x4000c
	s_and_b32 s14, ttmp6, 15
	s_add_co_i32 s13, s13, 1
	s_delay_alu instid0(SALU_CYCLE_1) | instskip(NEXT) | instid1(SALU_CYCLE_1)
	s_mul_i32 s13, ttmp9, s13
	s_add_co_i32 s14, s14, s13
	s_cmp_eq_u32 s15, 0
	s_cselect_b32 s14, ttmp9, s14
	s_bfe_u32 s12, s12, 0x10008
	s_ashr_i32 s15, s14, 31
	s_cmp_eq_u32 s12, 0
                                        ; implicit-def: $sgpr12_sgpr13
	s_cbranch_scc1 .LBB2_3
; %bb.2:
	s_load_b32 s12, s[2:3], 0x20
	s_mul_u64 s[4:5], s[4:5], s[14:15]
	s_delay_alu instid0(SALU_CYCLE_1) | instskip(NEXT) | instid1(SALU_CYCLE_1)
	s_lshl_b64 s[4:5], s[4:5], 2
	s_add_nc_u64 s[4:5], s[10:11], s[4:5]
	s_wait_kmcnt 0x0
	s_ashr_i32 s13, s12, 31
	s_delay_alu instid0(SALU_CYCLE_1) | instskip(NEXT) | instid1(SALU_CYCLE_1)
	s_lshl_b64 s[10:11], s[12:13], 2
	s_add_nc_u64 s[12:13], s[4:5], s[10:11]
.LBB2_3:
	s_clause 0x1
	s_load_b128 s[20:23], s[2:3], 0x0
	s_load_b32 s10, s[2:3], 0x38
	s_wait_xcnt 0x0
	s_mul_u64 s[2:3], s[8:9], s[14:15]
	v_dual_mov_b32 v21, 0 :: v_dual_lshlrev_b32 v20, 4, v1
	s_lshl_b64 s[2:3], s[2:3], 4
	s_mov_b32 s8, 16
	s_mov_b32 s9, 32
	s_wait_kmcnt 0x0
	s_ashr_i32 s5, s22, 31
	s_mov_b32 s4, s22
	s_add_nc_u64 s[2:3], s[20:21], s[2:3]
	s_lshl_b64 s[4:5], s[4:5], 4
	v_add3_u32 v18, s23, s23, v1
	s_add_nc_u64 s[4:5], s[2:3], s[4:5]
	s_ashr_i32 s3, s23, 31
	v_add_nc_u64_e32 v[14:15], s[4:5], v[20:21]
	s_mov_b32 s2, s23
	s_bitcmp0_b32 s10, 0
	s_delay_alu instid0(VALU_DEP_1)
	v_lshl_add_u64 v[16:17], s[2:3], 4, v[14:15]
	s_mov_b32 s3, -1
	s_clause 0x2
	global_load_b128 v[2:5], v1, s[4:5] scale_offset
	global_load_b128 v[6:9], v[16:17], off
	global_load_b128 v[10:13], v18, s[4:5] scale_offset
	s_wait_loadcnt 0x2
	scratch_store_b128 off, v[2:5], off
	s_wait_loadcnt 0x1
	scratch_store_b128 off, v[6:9], off offset:16
	s_wait_loadcnt 0x0
	scratch_store_b128 off, v[10:13], off offset:32
	s_cbranch_scc1 .LBB2_24
; %bb.4:
	v_cmp_eq_u32_e64 s2, 0, v1
	s_wait_xcnt 0x0
	s_and_saveexec_b32 s3, s2
; %bb.5:
	v_mov_b32_e32 v2, 0
	ds_store_b32 v2, v2 offset:96
; %bb.6:
	s_or_b32 exec_lo, exec_lo, s3
	s_wait_storecnt_dscnt 0x0
	s_barrier_signal -1
	s_barrier_wait -1
	scratch_load_b128 v[2:5], v1, off scale_offset
	s_wait_loadcnt 0x0
	v_cmp_eq_f64_e32 vcc_lo, 0, v[2:3]
	v_cmp_eq_f64_e64 s3, 0, v[4:5]
	s_and_b32 s3, vcc_lo, s3
	s_delay_alu instid0(SALU_CYCLE_1)
	s_and_saveexec_b32 s10, s3
	s_cbranch_execz .LBB2_10
; %bb.7:
	v_mov_b32_e32 v2, 0
	s_mov_b32 s11, 0
	ds_load_b32 v3, v2 offset:96
	s_wait_dscnt 0x0
	v_readfirstlane_b32 s3, v3
	v_add_nc_u32_e32 v3, 1, v1
	s_cmp_eq_u32 s3, 0
	s_delay_alu instid0(VALU_DEP_1) | instskip(SKIP_1) | instid1(SALU_CYCLE_1)
	v_cmp_gt_i32_e32 vcc_lo, s3, v3
	s_cselect_b32 s17, -1, 0
	s_or_b32 s17, s17, vcc_lo
	s_delay_alu instid0(SALU_CYCLE_1)
	s_and_b32 exec_lo, exec_lo, s17
	s_cbranch_execz .LBB2_10
; %bb.8:
	v_mov_b32_e32 v4, s3
.LBB2_9:                                ; =>This Inner Loop Header: Depth=1
	ds_cmpstore_rtn_b32 v4, v2, v3, v4 offset:96
	s_wait_dscnt 0x0
	v_cmp_ne_u32_e32 vcc_lo, 0, v4
	v_cmp_le_i32_e64 s3, v4, v3
	s_and_b32 s3, vcc_lo, s3
	s_delay_alu instid0(SALU_CYCLE_1) | instskip(NEXT) | instid1(SALU_CYCLE_1)
	s_and_b32 s3, exec_lo, s3
	s_or_b32 s11, s3, s11
	s_delay_alu instid0(SALU_CYCLE_1)
	s_and_not1_b32 exec_lo, exec_lo, s11
	s_cbranch_execnz .LBB2_9
.LBB2_10:
	s_or_b32 exec_lo, exec_lo, s10
	v_mov_b32_e32 v2, 0
	s_barrier_signal -1
	s_barrier_wait -1
	ds_load_b32 v3, v2 offset:96
	s_and_saveexec_b32 s3, s2
	s_cbranch_execz .LBB2_12
; %bb.11:
	s_lshl_b64 s[10:11], s[14:15], 2
	s_delay_alu instid0(SALU_CYCLE_1)
	s_add_nc_u64 s[10:11], s[6:7], s[10:11]
	s_wait_dscnt 0x0
	global_store_b32 v2, v3, s[10:11]
.LBB2_12:
	s_wait_xcnt 0x0
	s_or_b32 exec_lo, exec_lo, s3
	s_wait_dscnt 0x0
	v_cmp_ne_u32_e32 vcc_lo, 0, v3
	s_mov_b32 s3, 0
	s_cbranch_vccnz .LBB2_24
; %bb.13:
	v_lshl_add_u32 v19, v1, 4, 0
                                        ; implicit-def: $vgpr6_vgpr7
                                        ; implicit-def: $vgpr10_vgpr11
	scratch_load_b128 v[2:5], v19, off
	s_wait_loadcnt 0x0
	v_cmp_ngt_f64_e64 s3, |v[2:3]|, |v[4:5]|
	s_wait_xcnt 0x0
	s_and_saveexec_b32 s10, s3
	s_delay_alu instid0(SALU_CYCLE_1)
	s_xor_b32 s3, exec_lo, s10
	s_cbranch_execz .LBB2_15
; %bb.14:
	v_div_scale_f64 v[6:7], null, v[4:5], v[4:5], v[2:3]
	v_div_scale_f64 v[12:13], vcc_lo, v[2:3], v[4:5], v[2:3]
	s_delay_alu instid0(VALU_DEP_2) | instskip(SKIP_1) | instid1(TRANS32_DEP_1)
	v_rcp_f64_e32 v[8:9], v[6:7]
	v_nop
	v_fma_f64 v[10:11], -v[6:7], v[8:9], 1.0
	s_delay_alu instid0(VALU_DEP_1) | instskip(NEXT) | instid1(VALU_DEP_1)
	v_fmac_f64_e32 v[8:9], v[8:9], v[10:11]
	v_fma_f64 v[10:11], -v[6:7], v[8:9], 1.0
	s_delay_alu instid0(VALU_DEP_1) | instskip(NEXT) | instid1(VALU_DEP_1)
	v_fmac_f64_e32 v[8:9], v[8:9], v[10:11]
	v_mul_f64_e32 v[10:11], v[12:13], v[8:9]
	s_delay_alu instid0(VALU_DEP_1) | instskip(NEXT) | instid1(VALU_DEP_1)
	v_fma_f64 v[6:7], -v[6:7], v[10:11], v[12:13]
	v_div_fmas_f64 v[6:7], v[6:7], v[8:9], v[10:11]
	s_delay_alu instid0(VALU_DEP_1) | instskip(NEXT) | instid1(VALU_DEP_1)
	v_div_fixup_f64 v[6:7], v[6:7], v[4:5], v[2:3]
	v_fmac_f64_e32 v[4:5], v[2:3], v[6:7]
	s_delay_alu instid0(VALU_DEP_1) | instskip(SKIP_1) | instid1(VALU_DEP_2)
	v_div_scale_f64 v[2:3], null, v[4:5], v[4:5], 1.0
	v_div_scale_f64 v[12:13], vcc_lo, 1.0, v[4:5], 1.0
	v_rcp_f64_e32 v[8:9], v[2:3]
	v_nop
	s_delay_alu instid0(TRANS32_DEP_1) | instskip(NEXT) | instid1(VALU_DEP_1)
	v_fma_f64 v[10:11], -v[2:3], v[8:9], 1.0
	v_fmac_f64_e32 v[8:9], v[8:9], v[10:11]
	s_delay_alu instid0(VALU_DEP_1) | instskip(NEXT) | instid1(VALU_DEP_1)
	v_fma_f64 v[10:11], -v[2:3], v[8:9], 1.0
	v_fmac_f64_e32 v[8:9], v[8:9], v[10:11]
	s_delay_alu instid0(VALU_DEP_1) | instskip(NEXT) | instid1(VALU_DEP_1)
	v_mul_f64_e32 v[10:11], v[12:13], v[8:9]
	v_fma_f64 v[2:3], -v[2:3], v[10:11], v[12:13]
	s_delay_alu instid0(VALU_DEP_1) | instskip(NEXT) | instid1(VALU_DEP_1)
	v_div_fmas_f64 v[2:3], v[2:3], v[8:9], v[10:11]
	v_div_fixup_f64 v[8:9], v[2:3], v[4:5], 1.0
                                        ; implicit-def: $vgpr2_vgpr3
	s_delay_alu instid0(VALU_DEP_1) | instskip(SKIP_1) | instid1(VALU_DEP_2)
	v_mul_f64_e32 v[6:7], v[6:7], v[8:9]
	v_xor_b32_e32 v9, 0x80000000, v9
	v_xor_b32_e32 v11, 0x80000000, v7
	s_delay_alu instid0(VALU_DEP_3)
	v_mov_b32_e32 v10, v6
.LBB2_15:
	s_and_not1_saveexec_b32 s3, s3
	s_cbranch_execz .LBB2_17
; %bb.16:
	v_div_scale_f64 v[6:7], null, v[2:3], v[2:3], v[4:5]
	v_div_scale_f64 v[12:13], vcc_lo, v[4:5], v[2:3], v[4:5]
	s_delay_alu instid0(VALU_DEP_2) | instskip(SKIP_1) | instid1(TRANS32_DEP_1)
	v_rcp_f64_e32 v[8:9], v[6:7]
	v_nop
	v_fma_f64 v[10:11], -v[6:7], v[8:9], 1.0
	s_delay_alu instid0(VALU_DEP_1) | instskip(NEXT) | instid1(VALU_DEP_1)
	v_fmac_f64_e32 v[8:9], v[8:9], v[10:11]
	v_fma_f64 v[10:11], -v[6:7], v[8:9], 1.0
	s_delay_alu instid0(VALU_DEP_1) | instskip(NEXT) | instid1(VALU_DEP_1)
	v_fmac_f64_e32 v[8:9], v[8:9], v[10:11]
	v_mul_f64_e32 v[10:11], v[12:13], v[8:9]
	s_delay_alu instid0(VALU_DEP_1) | instskip(NEXT) | instid1(VALU_DEP_1)
	v_fma_f64 v[6:7], -v[6:7], v[10:11], v[12:13]
	v_div_fmas_f64 v[6:7], v[6:7], v[8:9], v[10:11]
	s_delay_alu instid0(VALU_DEP_1) | instskip(NEXT) | instid1(VALU_DEP_1)
	v_div_fixup_f64 v[8:9], v[6:7], v[2:3], v[4:5]
	v_fmac_f64_e32 v[2:3], v[4:5], v[8:9]
	s_delay_alu instid0(VALU_DEP_1) | instskip(NEXT) | instid1(VALU_DEP_1)
	v_div_scale_f64 v[4:5], null, v[2:3], v[2:3], 1.0
	v_rcp_f64_e32 v[6:7], v[4:5]
	v_nop
	s_delay_alu instid0(TRANS32_DEP_1) | instskip(NEXT) | instid1(VALU_DEP_1)
	v_fma_f64 v[10:11], -v[4:5], v[6:7], 1.0
	v_fmac_f64_e32 v[6:7], v[6:7], v[10:11]
	s_delay_alu instid0(VALU_DEP_1) | instskip(NEXT) | instid1(VALU_DEP_1)
	v_fma_f64 v[10:11], -v[4:5], v[6:7], 1.0
	v_fmac_f64_e32 v[6:7], v[6:7], v[10:11]
	v_div_scale_f64 v[10:11], vcc_lo, 1.0, v[2:3], 1.0
	s_delay_alu instid0(VALU_DEP_1) | instskip(NEXT) | instid1(VALU_DEP_1)
	v_mul_f64_e32 v[12:13], v[10:11], v[6:7]
	v_fma_f64 v[4:5], -v[4:5], v[12:13], v[10:11]
	s_delay_alu instid0(VALU_DEP_1) | instskip(NEXT) | instid1(VALU_DEP_1)
	v_div_fmas_f64 v[4:5], v[4:5], v[6:7], v[12:13]
	v_div_fixup_f64 v[6:7], v[4:5], v[2:3], 1.0
	s_delay_alu instid0(VALU_DEP_1)
	v_mul_f64_e64 v[8:9], v[8:9], -v[6:7]
	v_xor_b32_e32 v11, 0x80000000, v7
	v_mov_b32_e32 v10, v6
.LBB2_17:
	s_or_b32 exec_lo, exec_lo, s3
	s_clause 0x1
	scratch_store_b128 v19, v[6:9], off
	scratch_load_b128 v[4:7], off, s8
	v_xor_b32_e32 v13, 0x80000000, v9
	v_dual_mov_b32 v12, v8 :: v_dual_add_nc_u32 v2, 48, v20
	ds_store_b128 v20, v[10:13]
	s_wait_loadcnt 0x0
	ds_store_b128 v20, v[4:7] offset:48
	s_wait_storecnt_dscnt 0x0
	s_barrier_signal -1
	s_barrier_wait -1
	s_wait_xcnt 0x0
	s_and_saveexec_b32 s3, s2
	s_cbranch_execz .LBB2_19
; %bb.18:
	scratch_load_b128 v[4:7], v19, off
	ds_load_b128 v[8:11], v2
	v_mov_b32_e32 v3, 0
	ds_load_b128 v[20:23], v3 offset:16
	s_wait_loadcnt_dscnt 0x1
	v_mul_f64_e32 v[12:13], v[8:9], v[6:7]
	v_mul_f64_e32 v[6:7], v[10:11], v[6:7]
	s_delay_alu instid0(VALU_DEP_2) | instskip(NEXT) | instid1(VALU_DEP_2)
	v_fmac_f64_e32 v[12:13], v[10:11], v[4:5]
	v_fma_f64 v[4:5], v[8:9], v[4:5], -v[6:7]
	s_delay_alu instid0(VALU_DEP_2) | instskip(NEXT) | instid1(VALU_DEP_2)
	v_add_f64_e32 v[8:9], 0, v[12:13]
	v_add_f64_e32 v[4:5], 0, v[4:5]
	s_wait_dscnt 0x0
	s_delay_alu instid0(VALU_DEP_2) | instskip(NEXT) | instid1(VALU_DEP_2)
	v_mul_f64_e32 v[10:11], v[8:9], v[22:23]
	v_mul_f64_e32 v[6:7], v[4:5], v[22:23]
	s_delay_alu instid0(VALU_DEP_2) | instskip(NEXT) | instid1(VALU_DEP_2)
	v_fma_f64 v[4:5], v[4:5], v[20:21], -v[10:11]
	v_fmac_f64_e32 v[6:7], v[8:9], v[20:21]
	scratch_store_b128 off, v[4:7], off offset:16
.LBB2_19:
	s_wait_xcnt 0x0
	s_or_b32 exec_lo, exec_lo, s3
	s_wait_storecnt 0x0
	s_barrier_signal -1
	s_barrier_wait -1
	scratch_load_b128 v[4:7], off, s9
	s_mov_b32 s3, exec_lo
	s_wait_loadcnt 0x0
	ds_store_b128 v2, v[4:7]
	s_wait_dscnt 0x0
	s_barrier_signal -1
	s_barrier_wait -1
	v_cmpx_ne_u32_e32 2, v1
	s_cbranch_execz .LBB2_23
; %bb.20:
	scratch_load_b128 v[4:7], v19, off
	ds_load_b128 v[8:11], v2
	s_wait_loadcnt_dscnt 0x0
	v_mul_f64_e32 v[2:3], v[10:11], v[6:7]
	v_mul_f64_e32 v[6:7], v[8:9], v[6:7]
	s_delay_alu instid0(VALU_DEP_2) | instskip(NEXT) | instid1(VALU_DEP_2)
	v_fma_f64 v[2:3], v[8:9], v[4:5], -v[2:3]
	v_fmac_f64_e32 v[6:7], v[10:11], v[4:5]
	s_delay_alu instid0(VALU_DEP_2) | instskip(NEXT) | instid1(VALU_DEP_2)
	v_add_f64_e32 v[4:5], 0, v[2:3]
	v_add_f64_e32 v[2:3], 0, v[6:7]
	s_and_saveexec_b32 s10, s2
	s_cbranch_execz .LBB2_22
; %bb.21:
	scratch_load_b128 v[6:9], off, off offset:16
	v_mov_b32_e32 v10, 0
	ds_load_b128 v[10:13], v10 offset:64
	s_wait_loadcnt_dscnt 0x0
	v_mul_f64_e32 v[20:21], v[10:11], v[8:9]
	v_mul_f64_e32 v[8:9], v[12:13], v[8:9]
	s_delay_alu instid0(VALU_DEP_2) | instskip(NEXT) | instid1(VALU_DEP_2)
	v_fmac_f64_e32 v[20:21], v[12:13], v[6:7]
	v_fma_f64 v[6:7], v[10:11], v[6:7], -v[8:9]
	s_delay_alu instid0(VALU_DEP_2) | instskip(NEXT) | instid1(VALU_DEP_2)
	v_add_f64_e32 v[2:3], v[2:3], v[20:21]
	v_add_f64_e32 v[4:5], v[4:5], v[6:7]
.LBB2_22:
	s_or_b32 exec_lo, exec_lo, s10
	v_mov_b32_e32 v6, 0
	ds_load_b128 v[6:9], v6 offset:32
	s_wait_dscnt 0x0
	v_mul_f64_e32 v[12:13], v[2:3], v[8:9]
	v_mul_f64_e32 v[10:11], v[4:5], v[8:9]
	s_delay_alu instid0(VALU_DEP_2) | instskip(NEXT) | instid1(VALU_DEP_2)
	v_fma_f64 v[8:9], v[4:5], v[6:7], -v[12:13]
	v_fmac_f64_e32 v[10:11], v[2:3], v[6:7]
	scratch_store_b128 off, v[8:11], off offset:32
.LBB2_23:
	s_wait_xcnt 0x0
	s_or_b32 exec_lo, exec_lo, s3
	s_mov_b32 s3, -1
	s_wait_storecnt 0x0
	s_barrier_signal -1
	s_barrier_wait -1
.LBB2_24:
	s_and_b32 vcc_lo, exec_lo, s3
	s_cbranch_vccz .LBB2_26
; %bb.25:
	s_wait_xcnt 0x2
	v_mov_b32_e32 v2, 0
	s_lshl_b64 s[2:3], s[14:15], 2
	s_delay_alu instid0(SALU_CYCLE_1)
	s_add_nc_u64 s[2:3], s[6:7], s[2:3]
	global_load_b32 v2, v2, s[2:3]
	s_wait_loadcnt 0x0
	v_cmp_ne_u32_e32 vcc_lo, 0, v2
	s_cbranch_vccz .LBB2_27
.LBB2_26:
	s_endpgm
.LBB2_27:
	v_ashrrev_i32_e32 v19, 31, v18
	s_wait_xcnt 0x2
	v_lshl_add_u32 v6, v1, 4, 48
	s_wait_xcnt 0x0
	s_mov_b32 s2, exec_lo
	v_cmpx_eq_u32_e32 2, v1
	s_cbranch_execz .LBB2_29
; %bb.28:
	scratch_load_b128 v[2:5], off, s8
	v_mov_b32_e32 v8, 0
	s_delay_alu instid0(VALU_DEP_1)
	v_dual_mov_b32 v9, v8 :: v_dual_mov_b32 v10, v8
	v_mov_b32_e32 v11, v8
	scratch_store_b128 off, v[8:11], off offset:16
	s_wait_loadcnt 0x0
	ds_store_b128 v6, v[2:5]
.LBB2_29:
	s_wait_xcnt 0x0
	s_or_b32 exec_lo, exec_lo, s2
	s_wait_storecnt_dscnt 0x0
	s_barrier_signal -1
	s_barrier_wait -1
	s_clause 0x1
	scratch_load_b128 v[8:11], off, off offset:32
	scratch_load_b128 v[20:23], off, off offset:16
	v_mov_b32_e32 v2, 0
	s_mov_b32 s2, exec_lo
	ds_load_b128 v[24:27], v2 offset:80
	s_wait_loadcnt_dscnt 0x100
	v_mul_f64_e32 v[4:5], v[26:27], v[10:11]
	v_mul_f64_e32 v[10:11], v[24:25], v[10:11]
	s_delay_alu instid0(VALU_DEP_2) | instskip(NEXT) | instid1(VALU_DEP_2)
	v_fma_f64 v[4:5], v[24:25], v[8:9], -v[4:5]
	v_fmac_f64_e32 v[10:11], v[26:27], v[8:9]
	s_delay_alu instid0(VALU_DEP_2) | instskip(NEXT) | instid1(VALU_DEP_2)
	v_add_f64_e32 v[4:5], 0, v[4:5]
	v_add_f64_e32 v[10:11], 0, v[10:11]
	s_wait_loadcnt 0x0
	s_delay_alu instid0(VALU_DEP_2) | instskip(NEXT) | instid1(VALU_DEP_2)
	v_add_f64_e64 v[8:9], v[20:21], -v[4:5]
	v_add_f64_e64 v[10:11], v[22:23], -v[10:11]
	scratch_store_b128 off, v[8:11], off offset:16
	s_wait_xcnt 0x0
	v_cmpx_ne_u32_e32 0, v1
	s_cbranch_execz .LBB2_31
; %bb.30:
	scratch_load_b128 v[8:11], off, off
	v_dual_mov_b32 v3, v2 :: v_dual_mov_b32 v4, v2
	v_mov_b32_e32 v5, v2
	scratch_store_b128 off, v[2:5], off
	s_wait_loadcnt 0x0
	ds_store_b128 v6, v[8:11]
.LBB2_31:
	s_wait_xcnt 0x0
	s_or_b32 exec_lo, exec_lo, s2
	s_wait_storecnt_dscnt 0x0
	s_barrier_signal -1
	s_barrier_wait -1
	s_clause 0x2
	scratch_load_b128 v[4:7], off, off offset:16
	scratch_load_b128 v[8:11], off, off offset:32
	scratch_load_b128 v[20:23], off, off
	ds_load_b128 v[24:27], v2 offset:64
	ds_load_b128 v[28:31], v2 offset:80
	s_and_b32 vcc_lo, exec_lo, s16
	s_wait_loadcnt_dscnt 0x201
	v_mul_f64_e32 v[2:3], v[26:27], v[6:7]
	v_mul_f64_e32 v[6:7], v[24:25], v[6:7]
	s_wait_loadcnt_dscnt 0x100
	v_mul_f64_e32 v[12:13], v[28:29], v[10:11]
	v_mul_f64_e32 v[10:11], v[30:31], v[10:11]
	s_delay_alu instid0(VALU_DEP_4) | instskip(NEXT) | instid1(VALU_DEP_4)
	v_fma_f64 v[2:3], v[24:25], v[4:5], -v[2:3]
	v_fmac_f64_e32 v[6:7], v[26:27], v[4:5]
	s_delay_alu instid0(VALU_DEP_4) | instskip(NEXT) | instid1(VALU_DEP_4)
	v_fmac_f64_e32 v[12:13], v[30:31], v[8:9]
	v_fma_f64 v[4:5], v[28:29], v[8:9], -v[10:11]
	s_delay_alu instid0(VALU_DEP_4) | instskip(NEXT) | instid1(VALU_DEP_4)
	v_add_f64_e32 v[2:3], 0, v[2:3]
	v_add_f64_e32 v[6:7], 0, v[6:7]
	s_delay_alu instid0(VALU_DEP_2) | instskip(NEXT) | instid1(VALU_DEP_2)
	v_add_f64_e32 v[2:3], v[2:3], v[4:5]
	v_add_f64_e32 v[6:7], v[6:7], v[12:13]
	s_wait_loadcnt 0x0
	s_delay_alu instid0(VALU_DEP_2) | instskip(NEXT) | instid1(VALU_DEP_2)
	v_add_f64_e64 v[4:5], v[20:21], -v[2:3]
	v_add_f64_e64 v[6:7], v[22:23], -v[6:7]
	v_lshl_add_u64 v[2:3], v[18:19], 4, s[4:5]
	scratch_store_b128 off, v[4:7], off
	s_cbranch_vccz .LBB2_36
; %bb.32:
	s_wait_xcnt 0x0
	v_mov_b32_e32 v4, 0
	s_load_b64 s[2:3], s[0:1], 0x4
	v_bfe_u32 v6, v0, 10, 10
	v_bfe_u32 v0, v0, 20, 10
	global_load_b32 v5, v4, s[12:13] offset:4
	s_wait_kmcnt 0x0
	s_lshr_b32 s0, s2, 16
	v_mul_u32_u24_e32 v6, s3, v6
	s_mul_i32 s0, s0, s3
	s_delay_alu instid0(SALU_CYCLE_1) | instskip(NEXT) | instid1(VALU_DEP_1)
	v_mul_u32_u24_e32 v1, s0, v1
	v_add3_u32 v0, v1, v6, v0
	s_delay_alu instid0(VALU_DEP_1)
	v_lshl_add_u32 v0, v0, 4, 0x68
	s_wait_loadcnt 0x0
	v_cmp_ne_u32_e32 vcc_lo, 2, v5
	s_cbranch_vccz .LBB2_34
; %bb.33:
	v_lshlrev_b32_e32 v1, 4, v5
	s_clause 0x1
	scratch_load_b128 v[6:9], off, s8
	scratch_load_b128 v[10:13], v1, off offset:-16
	s_wait_loadcnt 0x1
	ds_store_2addr_b64 v0, v[6:7], v[8:9] offset1:1
	s_wait_loadcnt 0x0
	s_clause 0x1
	scratch_store_b128 off, v[10:13], s8
	scratch_store_b128 v1, v[6:9], off offset:-16
.LBB2_34:
	global_load_b32 v1, v4, s[12:13]
	s_wait_loadcnt 0x0
	v_cmp_eq_u32_e32 vcc_lo, 1, v1
	s_cbranch_vccnz .LBB2_36
; %bb.35:
	v_lshlrev_b32_e32 v1, 4, v1
	scratch_load_b128 v[4:7], off, off
	scratch_load_b128 v[8:11], v1, off offset:-16
	s_wait_loadcnt 0x1
	ds_store_2addr_b64 v0, v[4:5], v[6:7] offset1:1
	s_wait_loadcnt 0x0
	scratch_store_b128 off, v[8:11], off
	scratch_store_b128 v1, v[4:7], off offset:-16
.LBB2_36:
	scratch_load_b128 v[4:7], off, off
	s_clause 0x1
	scratch_load_b128 v[8:11], off, s8
	scratch_load_b128 v[18:21], off, s9
	s_wait_loadcnt 0x2
	global_store_b128 v[14:15], v[4:7], off
	s_wait_loadcnt 0x1
	global_store_b128 v[16:17], v[8:11], off
	;; [unrolled: 2-line block ×3, first 2 shown]
	s_endpgm
	.section	.rodata,"a",@progbits
	.p2align	6, 0x0
	.amdhsa_kernel _ZN9rocsolver6v33100L18getri_kernel_smallILi3E19rocblas_complex_numIdEPS3_EEvT1_iilPiilS6_bb
		.amdhsa_group_segment_fixed_size 1128
		.amdhsa_private_segment_fixed_size 64
		.amdhsa_kernarg_size 60
		.amdhsa_user_sgpr_count 4
		.amdhsa_user_sgpr_dispatch_ptr 1
		.amdhsa_user_sgpr_queue_ptr 0
		.amdhsa_user_sgpr_kernarg_segment_ptr 1
		.amdhsa_user_sgpr_dispatch_id 0
		.amdhsa_user_sgpr_kernarg_preload_length 0
		.amdhsa_user_sgpr_kernarg_preload_offset 0
		.amdhsa_user_sgpr_private_segment_size 0
		.amdhsa_wavefront_size32 1
		.amdhsa_uses_dynamic_stack 0
		.amdhsa_enable_private_segment 1
		.amdhsa_system_sgpr_workgroup_id_x 1
		.amdhsa_system_sgpr_workgroup_id_y 0
		.amdhsa_system_sgpr_workgroup_id_z 0
		.amdhsa_system_sgpr_workgroup_info 0
		.amdhsa_system_vgpr_workitem_id 2
		.amdhsa_next_free_vgpr 32
		.amdhsa_next_free_sgpr 24
		.amdhsa_named_barrier_count 0
		.amdhsa_reserve_vcc 1
		.amdhsa_float_round_mode_32 0
		.amdhsa_float_round_mode_16_64 0
		.amdhsa_float_denorm_mode_32 3
		.amdhsa_float_denorm_mode_16_64 3
		.amdhsa_fp16_overflow 0
		.amdhsa_memory_ordered 1
		.amdhsa_forward_progress 1
		.amdhsa_inst_pref_size 21
		.amdhsa_round_robin_scheduling 0
		.amdhsa_exception_fp_ieee_invalid_op 0
		.amdhsa_exception_fp_denorm_src 0
		.amdhsa_exception_fp_ieee_div_zero 0
		.amdhsa_exception_fp_ieee_overflow 0
		.amdhsa_exception_fp_ieee_underflow 0
		.amdhsa_exception_fp_ieee_inexact 0
		.amdhsa_exception_int_div_zero 0
	.end_amdhsa_kernel
	.section	.text._ZN9rocsolver6v33100L18getri_kernel_smallILi3E19rocblas_complex_numIdEPS3_EEvT1_iilPiilS6_bb,"axG",@progbits,_ZN9rocsolver6v33100L18getri_kernel_smallILi3E19rocblas_complex_numIdEPS3_EEvT1_iilPiilS6_bb,comdat
.Lfunc_end2:
	.size	_ZN9rocsolver6v33100L18getri_kernel_smallILi3E19rocblas_complex_numIdEPS3_EEvT1_iilPiilS6_bb, .Lfunc_end2-_ZN9rocsolver6v33100L18getri_kernel_smallILi3E19rocblas_complex_numIdEPS3_EEvT1_iilPiilS6_bb
                                        ; -- End function
	.set _ZN9rocsolver6v33100L18getri_kernel_smallILi3E19rocblas_complex_numIdEPS3_EEvT1_iilPiilS6_bb.num_vgpr, 32
	.set _ZN9rocsolver6v33100L18getri_kernel_smallILi3E19rocblas_complex_numIdEPS3_EEvT1_iilPiilS6_bb.num_agpr, 0
	.set _ZN9rocsolver6v33100L18getri_kernel_smallILi3E19rocblas_complex_numIdEPS3_EEvT1_iilPiilS6_bb.numbered_sgpr, 24
	.set _ZN9rocsolver6v33100L18getri_kernel_smallILi3E19rocblas_complex_numIdEPS3_EEvT1_iilPiilS6_bb.num_named_barrier, 0
	.set _ZN9rocsolver6v33100L18getri_kernel_smallILi3E19rocblas_complex_numIdEPS3_EEvT1_iilPiilS6_bb.private_seg_size, 64
	.set _ZN9rocsolver6v33100L18getri_kernel_smallILi3E19rocblas_complex_numIdEPS3_EEvT1_iilPiilS6_bb.uses_vcc, 1
	.set _ZN9rocsolver6v33100L18getri_kernel_smallILi3E19rocblas_complex_numIdEPS3_EEvT1_iilPiilS6_bb.uses_flat_scratch, 1
	.set _ZN9rocsolver6v33100L18getri_kernel_smallILi3E19rocblas_complex_numIdEPS3_EEvT1_iilPiilS6_bb.has_dyn_sized_stack, 0
	.set _ZN9rocsolver6v33100L18getri_kernel_smallILi3E19rocblas_complex_numIdEPS3_EEvT1_iilPiilS6_bb.has_recursion, 0
	.set _ZN9rocsolver6v33100L18getri_kernel_smallILi3E19rocblas_complex_numIdEPS3_EEvT1_iilPiilS6_bb.has_indirect_call, 0
	.section	.AMDGPU.csdata,"",@progbits
; Kernel info:
; codeLenInByte = 2576
; TotalNumSgprs: 26
; NumVgprs: 32
; ScratchSize: 64
; MemoryBound: 0
; FloatMode: 240
; IeeeMode: 1
; LDSByteSize: 1128 bytes/workgroup (compile time only)
; SGPRBlocks: 0
; VGPRBlocks: 1
; NumSGPRsForWavesPerEU: 26
; NumVGPRsForWavesPerEU: 32
; NamedBarCnt: 0
; Occupancy: 16
; WaveLimiterHint : 0
; COMPUTE_PGM_RSRC2:SCRATCH_EN: 1
; COMPUTE_PGM_RSRC2:USER_SGPR: 4
; COMPUTE_PGM_RSRC2:TRAP_HANDLER: 0
; COMPUTE_PGM_RSRC2:TGID_X_EN: 1
; COMPUTE_PGM_RSRC2:TGID_Y_EN: 0
; COMPUTE_PGM_RSRC2:TGID_Z_EN: 0
; COMPUTE_PGM_RSRC2:TIDIG_COMP_CNT: 2
	.section	.text._ZN9rocsolver6v33100L18getri_kernel_smallILi4E19rocblas_complex_numIdEPS3_EEvT1_iilPiilS6_bb,"axG",@progbits,_ZN9rocsolver6v33100L18getri_kernel_smallILi4E19rocblas_complex_numIdEPS3_EEvT1_iilPiilS6_bb,comdat
	.globl	_ZN9rocsolver6v33100L18getri_kernel_smallILi4E19rocblas_complex_numIdEPS3_EEvT1_iilPiilS6_bb ; -- Begin function _ZN9rocsolver6v33100L18getri_kernel_smallILi4E19rocblas_complex_numIdEPS3_EEvT1_iilPiilS6_bb
	.p2align	8
	.type	_ZN9rocsolver6v33100L18getri_kernel_smallILi4E19rocblas_complex_numIdEPS3_EEvT1_iilPiilS6_bb,@function
_ZN9rocsolver6v33100L18getri_kernel_smallILi4E19rocblas_complex_numIdEPS3_EEvT1_iilPiilS6_bb: ; @_ZN9rocsolver6v33100L18getri_kernel_smallILi4E19rocblas_complex_numIdEPS3_EEvT1_iilPiilS6_bb
; %bb.0:
	v_and_b32_e32 v1, 0x3ff, v0
	s_mov_b32 s4, exec_lo
	s_delay_alu instid0(VALU_DEP_1)
	v_cmpx_gt_u32_e32 4, v1
	s_cbranch_execz .LBB3_30
; %bb.1:
	s_clause 0x2
	s_load_b32 s12, s[2:3], 0x38
	s_load_b128 s[8:11], s[2:3], 0x10
	s_load_b128 s[4:7], s[2:3], 0x28
	s_getreg_b32 s15, hwreg(HW_REG_IB_STS2, 6, 4)
	s_wait_kmcnt 0x0
	s_bitcmp1_b32 s12, 8
	s_cselect_b32 s16, -1, 0
	s_bfe_u32 s13, ttmp6, 0x4000c
	s_and_b32 s14, ttmp6, 15
	s_add_co_i32 s13, s13, 1
	s_delay_alu instid0(SALU_CYCLE_1) | instskip(NEXT) | instid1(SALU_CYCLE_1)
	s_mul_i32 s13, ttmp9, s13
	s_add_co_i32 s14, s14, s13
	s_cmp_eq_u32 s15, 0
	s_cselect_b32 s14, ttmp9, s14
	s_bfe_u32 s12, s12, 0x10008
	s_ashr_i32 s15, s14, 31
	s_cmp_eq_u32 s12, 0
                                        ; implicit-def: $sgpr12_sgpr13
	s_cbranch_scc1 .LBB3_3
; %bb.2:
	s_load_b32 s12, s[2:3], 0x20
	s_mul_u64 s[4:5], s[4:5], s[14:15]
	s_delay_alu instid0(SALU_CYCLE_1) | instskip(NEXT) | instid1(SALU_CYCLE_1)
	s_lshl_b64 s[4:5], s[4:5], 2
	s_add_nc_u64 s[4:5], s[10:11], s[4:5]
	s_wait_kmcnt 0x0
	s_ashr_i32 s13, s12, 31
	s_delay_alu instid0(SALU_CYCLE_1) | instskip(NEXT) | instid1(SALU_CYCLE_1)
	s_lshl_b64 s[10:11], s[12:13], 2
	s_add_nc_u64 s[12:13], s[4:5], s[10:11]
.LBB3_3:
	s_clause 0x1
	s_load_b128 s[20:23], s[2:3], 0x0
	s_load_b32 s11, s[2:3], 0x38
	s_wait_xcnt 0x0
	s_mul_u64 s[2:3], s[8:9], s[14:15]
	v_dual_mov_b32 v23, 0 :: v_dual_lshlrev_b32 v22, 4, v1
	s_lshl_b64 s[2:3], s[2:3], 4
	s_mov_b32 s9, 16
	s_mov_b32 s8, 32
	;; [unrolled: 1-line block ×3, first 2 shown]
	s_wait_kmcnt 0x0
	s_ashr_i32 s5, s22, 31
	s_mov_b32 s4, s22
	s_add_nc_u64 s[2:3], s[20:21], s[2:3]
	s_lshl_b64 s[4:5], s[4:5], 4
	v_add3_u32 v18, s23, s23, v1
	s_add_nc_u64 s[4:5], s[2:3], s[4:5]
	s_ashr_i32 s3, s23, 31
	v_add_nc_u64_e32 v[14:15], s[4:5], v[22:23]
	s_mov_b32 s2, s23
	v_add_nc_u32_e32 v20, s23, v18
	s_bitcmp0_b32 s11, 0
	s_delay_alu instid0(VALU_DEP_2)
	v_lshl_add_u64 v[16:17], s[2:3], 4, v[14:15]
	s_mov_b32 s3, -1
	s_clause 0x3
	global_load_b128 v[2:5], v1, s[4:5] scale_offset
	global_load_b128 v[6:9], v[16:17], off
	global_load_b128 v[10:13], v18, s[4:5] scale_offset
	global_load_b128 v[24:27], v20, s[4:5] scale_offset
	s_wait_loadcnt 0x3
	scratch_store_b128 off, v[2:5], off
	s_wait_loadcnt 0x2
	scratch_store_b128 off, v[6:9], off offset:16
	s_wait_loadcnt 0x1
	scratch_store_b128 off, v[10:13], off offset:32
	;; [unrolled: 2-line block ×3, first 2 shown]
	s_cbranch_scc1 .LBB3_28
; %bb.4:
	v_cmp_eq_u32_e64 s2, 0, v1
	s_wait_xcnt 0x0
	s_and_saveexec_b32 s3, s2
; %bb.5:
	v_mov_b32_e32 v2, 0
	ds_store_b32 v2, v2 offset:128
; %bb.6:
	s_or_b32 exec_lo, exec_lo, s3
	s_wait_storecnt_dscnt 0x0
	s_barrier_signal -1
	s_barrier_wait -1
	scratch_load_b128 v[2:5], v1, off scale_offset
	s_wait_loadcnt 0x0
	v_cmp_eq_f64_e32 vcc_lo, 0, v[2:3]
	v_cmp_eq_f64_e64 s3, 0, v[4:5]
	s_and_b32 s3, vcc_lo, s3
	s_delay_alu instid0(SALU_CYCLE_1)
	s_and_saveexec_b32 s11, s3
	s_cbranch_execz .LBB3_10
; %bb.7:
	v_mov_b32_e32 v2, 0
	s_mov_b32 s17, 0
	ds_load_b32 v3, v2 offset:128
	s_wait_dscnt 0x0
	v_readfirstlane_b32 s3, v3
	v_add_nc_u32_e32 v3, 1, v1
	s_cmp_eq_u32 s3, 0
	s_delay_alu instid0(VALU_DEP_1) | instskip(SKIP_1) | instid1(SALU_CYCLE_1)
	v_cmp_gt_i32_e32 vcc_lo, s3, v3
	s_cselect_b32 s18, -1, 0
	s_or_b32 s18, s18, vcc_lo
	s_delay_alu instid0(SALU_CYCLE_1)
	s_and_b32 exec_lo, exec_lo, s18
	s_cbranch_execz .LBB3_10
; %bb.8:
	v_mov_b32_e32 v4, s3
.LBB3_9:                                ; =>This Inner Loop Header: Depth=1
	ds_cmpstore_rtn_b32 v4, v2, v3, v4 offset:128
	s_wait_dscnt 0x0
	v_cmp_ne_u32_e32 vcc_lo, 0, v4
	v_cmp_le_i32_e64 s3, v4, v3
	s_and_b32 s3, vcc_lo, s3
	s_delay_alu instid0(SALU_CYCLE_1) | instskip(NEXT) | instid1(SALU_CYCLE_1)
	s_and_b32 s3, exec_lo, s3
	s_or_b32 s17, s3, s17
	s_delay_alu instid0(SALU_CYCLE_1)
	s_and_not1_b32 exec_lo, exec_lo, s17
	s_cbranch_execnz .LBB3_9
.LBB3_10:
	s_or_b32 exec_lo, exec_lo, s11
	v_mov_b32_e32 v2, 0
	s_barrier_signal -1
	s_barrier_wait -1
	ds_load_b32 v3, v2 offset:128
	s_and_saveexec_b32 s3, s2
	s_cbranch_execz .LBB3_12
; %bb.11:
	s_lshl_b64 s[18:19], s[14:15], 2
	s_delay_alu instid0(SALU_CYCLE_1)
	s_add_nc_u64 s[18:19], s[6:7], s[18:19]
	s_wait_dscnt 0x0
	global_store_b32 v2, v3, s[18:19]
.LBB3_12:
	s_wait_xcnt 0x0
	s_or_b32 exec_lo, exec_lo, s3
	s_wait_dscnt 0x0
	v_cmp_ne_u32_e32 vcc_lo, 0, v3
	s_mov_b32 s3, 0
	s_cbranch_vccnz .LBB3_28
; %bb.13:
	v_lshl_add_u32 v19, v1, 4, 0
                                        ; implicit-def: $vgpr6_vgpr7
                                        ; implicit-def: $vgpr10_vgpr11
	scratch_load_b128 v[2:5], v19, off
	s_wait_loadcnt 0x0
	v_cmp_ngt_f64_e64 s3, |v[2:3]|, |v[4:5]|
	s_wait_xcnt 0x0
	s_and_saveexec_b32 s11, s3
	s_delay_alu instid0(SALU_CYCLE_1)
	s_xor_b32 s3, exec_lo, s11
	s_cbranch_execz .LBB3_15
; %bb.14:
	v_div_scale_f64 v[6:7], null, v[4:5], v[4:5], v[2:3]
	v_div_scale_f64 v[12:13], vcc_lo, v[2:3], v[4:5], v[2:3]
	s_delay_alu instid0(VALU_DEP_2) | instskip(SKIP_1) | instid1(TRANS32_DEP_1)
	v_rcp_f64_e32 v[8:9], v[6:7]
	v_nop
	v_fma_f64 v[10:11], -v[6:7], v[8:9], 1.0
	s_delay_alu instid0(VALU_DEP_1) | instskip(NEXT) | instid1(VALU_DEP_1)
	v_fmac_f64_e32 v[8:9], v[8:9], v[10:11]
	v_fma_f64 v[10:11], -v[6:7], v[8:9], 1.0
	s_delay_alu instid0(VALU_DEP_1) | instskip(NEXT) | instid1(VALU_DEP_1)
	v_fmac_f64_e32 v[8:9], v[8:9], v[10:11]
	v_mul_f64_e32 v[10:11], v[12:13], v[8:9]
	s_delay_alu instid0(VALU_DEP_1) | instskip(NEXT) | instid1(VALU_DEP_1)
	v_fma_f64 v[6:7], -v[6:7], v[10:11], v[12:13]
	v_div_fmas_f64 v[6:7], v[6:7], v[8:9], v[10:11]
	s_delay_alu instid0(VALU_DEP_1) | instskip(NEXT) | instid1(VALU_DEP_1)
	v_div_fixup_f64 v[6:7], v[6:7], v[4:5], v[2:3]
	v_fmac_f64_e32 v[4:5], v[2:3], v[6:7]
	s_delay_alu instid0(VALU_DEP_1) | instskip(SKIP_1) | instid1(VALU_DEP_2)
	v_div_scale_f64 v[2:3], null, v[4:5], v[4:5], 1.0
	v_div_scale_f64 v[12:13], vcc_lo, 1.0, v[4:5], 1.0
	v_rcp_f64_e32 v[8:9], v[2:3]
	v_nop
	s_delay_alu instid0(TRANS32_DEP_1) | instskip(NEXT) | instid1(VALU_DEP_1)
	v_fma_f64 v[10:11], -v[2:3], v[8:9], 1.0
	v_fmac_f64_e32 v[8:9], v[8:9], v[10:11]
	s_delay_alu instid0(VALU_DEP_1) | instskip(NEXT) | instid1(VALU_DEP_1)
	v_fma_f64 v[10:11], -v[2:3], v[8:9], 1.0
	v_fmac_f64_e32 v[8:9], v[8:9], v[10:11]
	s_delay_alu instid0(VALU_DEP_1) | instskip(NEXT) | instid1(VALU_DEP_1)
	v_mul_f64_e32 v[10:11], v[12:13], v[8:9]
	v_fma_f64 v[2:3], -v[2:3], v[10:11], v[12:13]
	s_delay_alu instid0(VALU_DEP_1) | instskip(NEXT) | instid1(VALU_DEP_1)
	v_div_fmas_f64 v[2:3], v[2:3], v[8:9], v[10:11]
	v_div_fixup_f64 v[8:9], v[2:3], v[4:5], 1.0
                                        ; implicit-def: $vgpr2_vgpr3
	s_delay_alu instid0(VALU_DEP_1) | instskip(SKIP_1) | instid1(VALU_DEP_2)
	v_mul_f64_e32 v[6:7], v[6:7], v[8:9]
	v_xor_b32_e32 v9, 0x80000000, v9
	v_xor_b32_e32 v11, 0x80000000, v7
	s_delay_alu instid0(VALU_DEP_3)
	v_mov_b32_e32 v10, v6
.LBB3_15:
	s_and_not1_saveexec_b32 s3, s3
	s_cbranch_execz .LBB3_17
; %bb.16:
	v_div_scale_f64 v[6:7], null, v[2:3], v[2:3], v[4:5]
	v_div_scale_f64 v[12:13], vcc_lo, v[4:5], v[2:3], v[4:5]
	s_delay_alu instid0(VALU_DEP_2) | instskip(SKIP_1) | instid1(TRANS32_DEP_1)
	v_rcp_f64_e32 v[8:9], v[6:7]
	v_nop
	v_fma_f64 v[10:11], -v[6:7], v[8:9], 1.0
	s_delay_alu instid0(VALU_DEP_1) | instskip(NEXT) | instid1(VALU_DEP_1)
	v_fmac_f64_e32 v[8:9], v[8:9], v[10:11]
	v_fma_f64 v[10:11], -v[6:7], v[8:9], 1.0
	s_delay_alu instid0(VALU_DEP_1) | instskip(NEXT) | instid1(VALU_DEP_1)
	v_fmac_f64_e32 v[8:9], v[8:9], v[10:11]
	v_mul_f64_e32 v[10:11], v[12:13], v[8:9]
	s_delay_alu instid0(VALU_DEP_1) | instskip(NEXT) | instid1(VALU_DEP_1)
	v_fma_f64 v[6:7], -v[6:7], v[10:11], v[12:13]
	v_div_fmas_f64 v[6:7], v[6:7], v[8:9], v[10:11]
	s_delay_alu instid0(VALU_DEP_1) | instskip(NEXT) | instid1(VALU_DEP_1)
	v_div_fixup_f64 v[8:9], v[6:7], v[2:3], v[4:5]
	v_fmac_f64_e32 v[2:3], v[4:5], v[8:9]
	s_delay_alu instid0(VALU_DEP_1) | instskip(NEXT) | instid1(VALU_DEP_1)
	v_div_scale_f64 v[4:5], null, v[2:3], v[2:3], 1.0
	v_rcp_f64_e32 v[6:7], v[4:5]
	v_nop
	s_delay_alu instid0(TRANS32_DEP_1) | instskip(NEXT) | instid1(VALU_DEP_1)
	v_fma_f64 v[10:11], -v[4:5], v[6:7], 1.0
	v_fmac_f64_e32 v[6:7], v[6:7], v[10:11]
	s_delay_alu instid0(VALU_DEP_1) | instskip(NEXT) | instid1(VALU_DEP_1)
	v_fma_f64 v[10:11], -v[4:5], v[6:7], 1.0
	v_fmac_f64_e32 v[6:7], v[6:7], v[10:11]
	v_div_scale_f64 v[10:11], vcc_lo, 1.0, v[2:3], 1.0
	s_delay_alu instid0(VALU_DEP_1) | instskip(NEXT) | instid1(VALU_DEP_1)
	v_mul_f64_e32 v[12:13], v[10:11], v[6:7]
	v_fma_f64 v[4:5], -v[4:5], v[12:13], v[10:11]
	s_delay_alu instid0(VALU_DEP_1) | instskip(NEXT) | instid1(VALU_DEP_1)
	v_div_fmas_f64 v[4:5], v[4:5], v[6:7], v[12:13]
	v_div_fixup_f64 v[6:7], v[4:5], v[2:3], 1.0
	s_delay_alu instid0(VALU_DEP_1)
	v_mul_f64_e64 v[8:9], v[8:9], -v[6:7]
	v_xor_b32_e32 v11, 0x80000000, v7
	v_mov_b32_e32 v10, v6
.LBB3_17:
	s_or_b32 exec_lo, exec_lo, s3
	s_clause 0x1
	scratch_store_b128 v19, v[6:9], off
	scratch_load_b128 v[2:5], off, s9
	v_xor_b32_e32 v13, 0x80000000, v9
	s_wait_xcnt 0x1
	v_dual_mov_b32 v12, v8 :: v_dual_add_nc_u32 v6, 64, v22
	ds_store_b128 v22, v[10:13]
	s_wait_loadcnt 0x0
	ds_store_b128 v22, v[2:5] offset:64
	s_wait_storecnt_dscnt 0x0
	s_barrier_signal -1
	s_barrier_wait -1
	s_wait_xcnt 0x0
	s_and_saveexec_b32 s3, s2
	s_cbranch_execz .LBB3_19
; %bb.18:
	scratch_load_b128 v[2:5], v19, off
	ds_load_b128 v[8:11], v6
	v_mov_b32_e32 v7, 0
	ds_load_b128 v[24:27], v7 offset:16
	s_wait_loadcnt_dscnt 0x1
	v_mul_f64_e32 v[12:13], v[8:9], v[4:5]
	v_mul_f64_e32 v[4:5], v[10:11], v[4:5]
	s_delay_alu instid0(VALU_DEP_2) | instskip(NEXT) | instid1(VALU_DEP_2)
	v_fmac_f64_e32 v[12:13], v[10:11], v[2:3]
	v_fma_f64 v[2:3], v[8:9], v[2:3], -v[4:5]
	s_delay_alu instid0(VALU_DEP_2) | instskip(NEXT) | instid1(VALU_DEP_2)
	v_add_f64_e32 v[8:9], 0, v[12:13]
	v_add_f64_e32 v[2:3], 0, v[2:3]
	s_wait_dscnt 0x0
	s_delay_alu instid0(VALU_DEP_2) | instskip(NEXT) | instid1(VALU_DEP_2)
	v_mul_f64_e32 v[10:11], v[8:9], v[26:27]
	v_mul_f64_e32 v[4:5], v[2:3], v[26:27]
	s_delay_alu instid0(VALU_DEP_2) | instskip(NEXT) | instid1(VALU_DEP_2)
	v_fma_f64 v[2:3], v[2:3], v[24:25], -v[10:11]
	v_fmac_f64_e32 v[4:5], v[8:9], v[24:25]
	scratch_store_b128 off, v[2:5], off offset:16
.LBB3_19:
	s_wait_xcnt 0x0
	s_or_b32 exec_lo, exec_lo, s3
	s_wait_storecnt 0x0
	s_barrier_signal -1
	s_barrier_wait -1
	scratch_load_b128 v[2:5], off, s8
	s_mov_b32 s3, exec_lo
	s_wait_loadcnt 0x0
	ds_store_b128 v6, v[2:5]
	s_wait_dscnt 0x0
	s_barrier_signal -1
	s_barrier_wait -1
	v_cmpx_gt_u32_e32 2, v1
	s_cbranch_execz .LBB3_23
; %bb.20:
	scratch_load_b128 v[2:5], v19, off
	ds_load_b128 v[8:11], v6
	s_wait_loadcnt_dscnt 0x0
	v_mul_f64_e32 v[12:13], v[10:11], v[4:5]
	v_mul_f64_e32 v[24:25], v[8:9], v[4:5]
	s_delay_alu instid0(VALU_DEP_2) | instskip(NEXT) | instid1(VALU_DEP_2)
	v_fma_f64 v[4:5], v[8:9], v[2:3], -v[12:13]
	v_fmac_f64_e32 v[24:25], v[10:11], v[2:3]
	s_delay_alu instid0(VALU_DEP_2) | instskip(NEXT) | instid1(VALU_DEP_2)
	v_add_f64_e32 v[4:5], 0, v[4:5]
	v_add_f64_e32 v[2:3], 0, v[24:25]
	s_and_saveexec_b32 s11, s2
	s_cbranch_execz .LBB3_22
; %bb.21:
	scratch_load_b128 v[8:11], off, off offset:16
	v_mov_b32_e32 v7, 0
	ds_load_b128 v[24:27], v7 offset:80
	s_wait_loadcnt_dscnt 0x0
	v_mul_f64_e32 v[12:13], v[24:25], v[10:11]
	v_mul_f64_e32 v[10:11], v[26:27], v[10:11]
	s_delay_alu instid0(VALU_DEP_2) | instskip(NEXT) | instid1(VALU_DEP_2)
	v_fmac_f64_e32 v[12:13], v[26:27], v[8:9]
	v_fma_f64 v[8:9], v[24:25], v[8:9], -v[10:11]
	s_delay_alu instid0(VALU_DEP_2) | instskip(NEXT) | instid1(VALU_DEP_2)
	v_add_f64_e32 v[2:3], v[2:3], v[12:13]
	v_add_f64_e32 v[4:5], v[4:5], v[8:9]
.LBB3_22:
	s_or_b32 exec_lo, exec_lo, s11
	v_mov_b32_e32 v7, 0
	ds_load_b128 v[8:11], v7 offset:32
	s_wait_dscnt 0x0
	v_mul_f64_e32 v[24:25], v[2:3], v[10:11]
	v_mul_f64_e32 v[12:13], v[4:5], v[10:11]
	s_delay_alu instid0(VALU_DEP_2) | instskip(NEXT) | instid1(VALU_DEP_2)
	v_fma_f64 v[10:11], v[4:5], v[8:9], -v[24:25]
	v_fmac_f64_e32 v[12:13], v[2:3], v[8:9]
	scratch_store_b128 off, v[10:13], off offset:32
.LBB3_23:
	s_wait_xcnt 0x0
	s_or_b32 exec_lo, exec_lo, s3
	s_wait_storecnt 0x0
	s_barrier_signal -1
	s_barrier_wait -1
	scratch_load_b128 v[2:5], off, s10
	s_mov_b32 s2, exec_lo
	s_wait_loadcnt 0x0
	ds_store_b128 v6, v[2:5]
	s_wait_dscnt 0x0
	s_barrier_signal -1
	s_barrier_wait -1
	v_cmpx_ne_u32_e32 3, v1
	s_cbranch_execz .LBB3_27
; %bb.24:
	v_dual_mov_b32 v8, v22 :: v_dual_add_nc_u32 v7, -1, v1
	v_mov_b64_e32 v[2:3], 0
	v_mov_b64_e32 v[4:5], 0
	s_mov_b32 s3, 0
	s_delay_alu instid0(VALU_DEP_3)
	v_or_b32_e32 v8, 8, v8
.LBB3_25:                               ; =>This Inner Loop Header: Depth=1
	scratch_load_b128 v[10:13], v8, off offset:-8
	ds_load_b128 v[22:25], v6
	v_dual_add_nc_u32 v7, 1, v7 :: v_dual_add_nc_u32 v6, 16, v6
	s_wait_xcnt 0x0
	v_add_nc_u32_e32 v8, 16, v8
	s_delay_alu instid0(VALU_DEP_2) | instskip(SKIP_4) | instid1(VALU_DEP_2)
	v_cmp_lt_u32_e32 vcc_lo, 1, v7
	s_or_b32 s3, vcc_lo, s3
	s_wait_loadcnt_dscnt 0x0
	v_mul_f64_e32 v[26:27], v[24:25], v[12:13]
	v_mul_f64_e32 v[12:13], v[22:23], v[12:13]
	v_fma_f64 v[22:23], v[22:23], v[10:11], -v[26:27]
	s_delay_alu instid0(VALU_DEP_2) | instskip(NEXT) | instid1(VALU_DEP_2)
	v_fmac_f64_e32 v[12:13], v[24:25], v[10:11]
	v_add_f64_e32 v[4:5], v[4:5], v[22:23]
	s_delay_alu instid0(VALU_DEP_2)
	v_add_f64_e32 v[2:3], v[2:3], v[12:13]
	s_and_not1_b32 exec_lo, exec_lo, s3
	s_cbranch_execnz .LBB3_25
; %bb.26:
	s_or_b32 exec_lo, exec_lo, s3
	v_mov_b32_e32 v6, 0
	ds_load_b128 v[6:9], v6 offset:48
	s_wait_dscnt 0x0
	v_mul_f64_e32 v[12:13], v[2:3], v[8:9]
	v_mul_f64_e32 v[10:11], v[4:5], v[8:9]
	s_delay_alu instid0(VALU_DEP_2) | instskip(NEXT) | instid1(VALU_DEP_2)
	v_fma_f64 v[8:9], v[4:5], v[6:7], -v[12:13]
	v_fmac_f64_e32 v[10:11], v[2:3], v[6:7]
	scratch_store_b128 off, v[8:11], off offset:48
.LBB3_27:
	s_wait_xcnt 0x0
	s_or_b32 exec_lo, exec_lo, s2
	s_mov_b32 s3, -1
	s_wait_storecnt 0x0
	s_barrier_signal -1
	s_barrier_wait -1
.LBB3_28:
	s_and_b32 vcc_lo, exec_lo, s3
	s_cbranch_vccz .LBB3_30
; %bb.29:
	s_wait_xcnt 0x3
	v_mov_b32_e32 v2, 0
	s_lshl_b64 s[2:3], s[14:15], 2
	s_delay_alu instid0(SALU_CYCLE_1)
	s_add_nc_u64 s[2:3], s[6:7], s[2:3]
	global_load_b32 v2, v2, s[2:3]
	s_wait_loadcnt 0x0
	v_cmp_ne_u32_e32 vcc_lo, 0, v2
	s_cbranch_vccz .LBB3_31
.LBB3_30:
	s_endpgm
.LBB3_31:
	s_wait_xcnt 0x3
	v_lshl_add_u32 v6, v1, 4, 64
	s_wait_xcnt 0x0
	s_mov_b32 s2, exec_lo
	v_cmpx_eq_u32_e32 3, v1
	s_cbranch_execz .LBB3_33
; %bb.32:
	scratch_load_b128 v[2:5], off, s8
	v_mov_b32_e32 v8, 0
	s_delay_alu instid0(VALU_DEP_1)
	v_dual_mov_b32 v9, v8 :: v_dual_mov_b32 v10, v8
	v_mov_b32_e32 v11, v8
	scratch_store_b128 off, v[8:11], off offset:32
	s_wait_loadcnt 0x0
	ds_store_b128 v6, v[2:5]
.LBB3_33:
	s_wait_xcnt 0x0
	s_or_b32 exec_lo, exec_lo, s2
	s_wait_storecnt_dscnt 0x0
	s_barrier_signal -1
	s_barrier_wait -1
	s_clause 0x1
	scratch_load_b128 v[8:11], off, off offset:48
	scratch_load_b128 v[22:25], off, off offset:32
	v_mov_b32_e32 v2, 0
	s_mov_b32 s2, exec_lo
	v_dual_ashrrev_i32 v21, 31, v20 :: v_dual_ashrrev_i32 v19, 31, v18
	ds_load_b128 v[26:29], v2 offset:112
	s_wait_loadcnt_dscnt 0x100
	v_mul_f64_e32 v[4:5], v[28:29], v[10:11]
	v_mul_f64_e32 v[10:11], v[26:27], v[10:11]
	s_delay_alu instid0(VALU_DEP_2) | instskip(NEXT) | instid1(VALU_DEP_2)
	v_fma_f64 v[4:5], v[26:27], v[8:9], -v[4:5]
	v_fmac_f64_e32 v[10:11], v[28:29], v[8:9]
	s_delay_alu instid0(VALU_DEP_2) | instskip(NEXT) | instid1(VALU_DEP_2)
	v_add_f64_e32 v[4:5], 0, v[4:5]
	v_add_f64_e32 v[10:11], 0, v[10:11]
	s_wait_loadcnt 0x0
	s_delay_alu instid0(VALU_DEP_2) | instskip(NEXT) | instid1(VALU_DEP_2)
	v_add_f64_e64 v[8:9], v[22:23], -v[4:5]
	v_add_f64_e64 v[10:11], v[24:25], -v[10:11]
	scratch_store_b128 off, v[8:11], off offset:32
	s_wait_xcnt 0x0
	v_cmpx_lt_u32_e32 1, v1
	s_cbranch_execz .LBB3_35
; %bb.34:
	scratch_load_b128 v[8:11], off, s9
	v_dual_mov_b32 v3, v2 :: v_dual_mov_b32 v4, v2
	v_mov_b32_e32 v5, v2
	scratch_store_b128 off, v[2:5], off offset:16
	s_wait_loadcnt 0x0
	ds_store_b128 v6, v[8:11]
.LBB3_35:
	s_wait_xcnt 0x0
	s_or_b32 exec_lo, exec_lo, s2
	s_wait_storecnt_dscnt 0x0
	s_barrier_signal -1
	s_barrier_wait -1
	s_clause 0x2
	scratch_load_b128 v[8:11], off, off offset:32
	scratch_load_b128 v[22:25], off, off offset:48
	;; [unrolled: 1-line block ×3, first 2 shown]
	ds_load_b128 v[30:33], v2 offset:96
	ds_load_b128 v[2:5], v2 offset:112
	s_mov_b32 s2, exec_lo
	s_wait_loadcnt_dscnt 0x201
	v_mul_f64_e32 v[12:13], v[32:33], v[10:11]
	v_mul_f64_e32 v[10:11], v[30:31], v[10:11]
	s_wait_loadcnt_dscnt 0x100
	v_mul_f64_e32 v[34:35], v[2:3], v[24:25]
	v_mul_f64_e32 v[24:25], v[4:5], v[24:25]
	s_delay_alu instid0(VALU_DEP_4) | instskip(NEXT) | instid1(VALU_DEP_4)
	v_fma_f64 v[12:13], v[30:31], v[8:9], -v[12:13]
	v_fmac_f64_e32 v[10:11], v[32:33], v[8:9]
	s_delay_alu instid0(VALU_DEP_4) | instskip(NEXT) | instid1(VALU_DEP_4)
	v_fmac_f64_e32 v[34:35], v[4:5], v[22:23]
	v_fma_f64 v[2:3], v[2:3], v[22:23], -v[24:25]
	s_delay_alu instid0(VALU_DEP_4) | instskip(NEXT) | instid1(VALU_DEP_4)
	v_add_f64_e32 v[4:5], 0, v[12:13]
	v_add_f64_e32 v[8:9], 0, v[10:11]
	s_delay_alu instid0(VALU_DEP_2) | instskip(NEXT) | instid1(VALU_DEP_2)
	v_add_f64_e32 v[2:3], v[4:5], v[2:3]
	v_add_f64_e32 v[4:5], v[8:9], v[34:35]
	s_wait_loadcnt 0x0
	s_delay_alu instid0(VALU_DEP_2) | instskip(NEXT) | instid1(VALU_DEP_2)
	v_add_f64_e64 v[2:3], v[26:27], -v[2:3]
	v_add_f64_e64 v[4:5], v[28:29], -v[4:5]
	scratch_store_b128 off, v[2:5], off offset:16
	s_wait_xcnt 0x0
	v_cmpx_ne_u32_e32 0, v1
	s_cbranch_execz .LBB3_37
; %bb.36:
	scratch_load_b128 v[2:5], off, off
	v_mov_b32_e32 v8, 0
	s_delay_alu instid0(VALU_DEP_1)
	v_dual_mov_b32 v9, v8 :: v_dual_mov_b32 v10, v8
	v_mov_b32_e32 v11, v8
	scratch_store_b128 off, v[8:11], off
	s_wait_loadcnt 0x0
	ds_store_b128 v6, v[2:5]
.LBB3_37:
	s_wait_xcnt 0x0
	s_or_b32 exec_lo, exec_lo, s2
	s_wait_storecnt_dscnt 0x0
	s_barrier_signal -1
	s_barrier_wait -1
	s_clause 0x3
	scratch_load_b128 v[2:5], off, off offset:16
	scratch_load_b128 v[8:11], off, off offset:32
	;; [unrolled: 1-line block ×3, first 2 shown]
	scratch_load_b128 v[26:29], off, off
	v_mov_b32_e32 v6, 0
	ds_load_b128 v[30:33], v6 offset:80
	ds_load_b128 v[34:37], v6 offset:96
	s_and_b32 vcc_lo, exec_lo, s16
	s_wait_loadcnt_dscnt 0x301
	v_mul_f64_e32 v[12:13], v[32:33], v[4:5]
	v_mul_f64_e32 v[38:39], v[30:31], v[4:5]
	s_wait_loadcnt_dscnt 0x200
	v_mul_f64_e32 v[40:41], v[34:35], v[10:11]
	v_mul_f64_e32 v[10:11], v[36:37], v[10:11]
	s_delay_alu instid0(VALU_DEP_4) | instskip(NEXT) | instid1(VALU_DEP_4)
	v_fma_f64 v[12:13], v[30:31], v[2:3], -v[12:13]
	v_fmac_f64_e32 v[38:39], v[32:33], v[2:3]
	ds_load_b128 v[2:5], v6 offset:112
	v_fmac_f64_e32 v[40:41], v[36:37], v[8:9]
	v_fma_f64 v[8:9], v[34:35], v[8:9], -v[10:11]
	s_wait_loadcnt_dscnt 0x100
	v_mul_f64_e32 v[30:31], v[2:3], v[24:25]
	v_mul_f64_e32 v[24:25], v[4:5], v[24:25]
	v_add_f64_e32 v[10:11], 0, v[12:13]
	v_add_f64_e32 v[12:13], 0, v[38:39]
	s_delay_alu instid0(VALU_DEP_4) | instskip(NEXT) | instid1(VALU_DEP_4)
	v_fmac_f64_e32 v[30:31], v[4:5], v[22:23]
	v_fma_f64 v[2:3], v[2:3], v[22:23], -v[24:25]
	s_delay_alu instid0(VALU_DEP_4) | instskip(NEXT) | instid1(VALU_DEP_4)
	v_add_f64_e32 v[4:5], v[10:11], v[8:9]
	v_add_f64_e32 v[8:9], v[12:13], v[40:41]
	s_delay_alu instid0(VALU_DEP_2) | instskip(NEXT) | instid1(VALU_DEP_2)
	v_add_f64_e32 v[2:3], v[4:5], v[2:3]
	v_add_f64_e32 v[4:5], v[8:9], v[30:31]
	s_wait_loadcnt 0x0
	s_delay_alu instid0(VALU_DEP_2) | instskip(NEXT) | instid1(VALU_DEP_2)
	v_add_f64_e64 v[8:9], v[26:27], -v[2:3]
	v_add_f64_e64 v[10:11], v[28:29], -v[4:5]
	v_lshl_add_u64 v[2:3], v[18:19], 4, s[4:5]
	v_lshl_add_u64 v[4:5], v[20:21], 4, s[4:5]
	scratch_store_b128 off, v[8:11], off
	s_cbranch_vccz .LBB3_44
; %bb.38:
	global_load_b32 v6, v6, s[12:13] offset:8
	s_load_b64 s[2:3], s[0:1], 0x4
	v_bfe_u32 v7, v0, 10, 10
	v_bfe_u32 v0, v0, 20, 10
	s_wait_kmcnt 0x0
	s_lshr_b32 s0, s2, 16
	s_delay_alu instid0(VALU_DEP_2) | instskip(SKIP_1) | instid1(SALU_CYCLE_1)
	v_mul_u32_u24_e32 v7, s3, v7
	s_mul_i32 s0, s0, s3
	v_mul_u32_u24_e32 v1, s0, v1
	s_delay_alu instid0(VALU_DEP_1) | instskip(NEXT) | instid1(VALU_DEP_1)
	v_add3_u32 v0, v1, v7, v0
	v_lshl_add_u32 v0, v0, 4, 0x88
	s_wait_loadcnt 0x0
	v_cmp_ne_u32_e32 vcc_lo, 3, v6
	s_cbranch_vccz .LBB3_40
; %bb.39:
	v_lshlrev_b32_e32 v1, 4, v6
	s_clause 0x1
	scratch_load_b128 v[6:9], off, s8
	scratch_load_b128 v[10:13], v1, off offset:-16
	s_wait_loadcnt 0x1
	ds_store_2addr_b64 v0, v[6:7], v[8:9] offset1:1
	s_wait_loadcnt 0x0
	s_clause 0x1
	scratch_store_b128 off, v[10:13], s8
	scratch_store_b128 v1, v[6:9], off offset:-16
.LBB3_40:
	s_wait_xcnt 0x0
	v_mov_b32_e32 v1, 0
	global_load_b32 v6, v1, s[12:13] offset:4
	s_wait_loadcnt 0x0
	v_cmp_eq_u32_e32 vcc_lo, 2, v6
	s_cbranch_vccnz .LBB3_42
; %bb.41:
	v_lshlrev_b32_e32 v6, 4, v6
	s_delay_alu instid0(VALU_DEP_1)
	v_mov_b32_e32 v18, v6
	s_clause 0x1
	scratch_load_b128 v[6:9], off, s9
	scratch_load_b128 v[10:13], v18, off offset:-16
	s_wait_loadcnt 0x1
	ds_store_2addr_b64 v0, v[6:7], v[8:9] offset1:1
	s_wait_loadcnt 0x0
	s_clause 0x1
	scratch_store_b128 off, v[10:13], s9
	scratch_store_b128 v18, v[6:9], off offset:-16
.LBB3_42:
	global_load_b32 v1, v1, s[12:13]
	s_wait_loadcnt 0x0
	v_cmp_eq_u32_e32 vcc_lo, 1, v1
	s_cbranch_vccnz .LBB3_44
; %bb.43:
	s_wait_xcnt 0x0
	v_lshlrev_b32_e32 v1, 4, v1
	scratch_load_b128 v[6:9], off, off
	scratch_load_b128 v[10:13], v1, off offset:-16
	s_wait_loadcnt 0x1
	ds_store_2addr_b64 v0, v[6:7], v[8:9] offset1:1
	s_wait_loadcnt 0x0
	scratch_store_b128 off, v[10:13], off
	scratch_store_b128 v1, v[6:9], off offset:-16
.LBB3_44:
	scratch_load_b128 v[6:9], off, off
	s_clause 0x2
	scratch_load_b128 v[10:13], off, s9
	scratch_load_b128 v[18:21], off, s8
	;; [unrolled: 1-line block ×3, first 2 shown]
	s_wait_loadcnt 0x3
	global_store_b128 v[14:15], v[6:9], off
	s_wait_loadcnt 0x2
	global_store_b128 v[16:17], v[10:13], off
	;; [unrolled: 2-line block ×4, first 2 shown]
	s_endpgm
	.section	.rodata,"a",@progbits
	.p2align	6, 0x0
	.amdhsa_kernel _ZN9rocsolver6v33100L18getri_kernel_smallILi4E19rocblas_complex_numIdEPS3_EEvT1_iilPiilS6_bb
		.amdhsa_group_segment_fixed_size 1160
		.amdhsa_private_segment_fixed_size 80
		.amdhsa_kernarg_size 60
		.amdhsa_user_sgpr_count 4
		.amdhsa_user_sgpr_dispatch_ptr 1
		.amdhsa_user_sgpr_queue_ptr 0
		.amdhsa_user_sgpr_kernarg_segment_ptr 1
		.amdhsa_user_sgpr_dispatch_id 0
		.amdhsa_user_sgpr_kernarg_preload_length 0
		.amdhsa_user_sgpr_kernarg_preload_offset 0
		.amdhsa_user_sgpr_private_segment_size 0
		.amdhsa_wavefront_size32 1
		.amdhsa_uses_dynamic_stack 0
		.amdhsa_enable_private_segment 1
		.amdhsa_system_sgpr_workgroup_id_x 1
		.amdhsa_system_sgpr_workgroup_id_y 0
		.amdhsa_system_sgpr_workgroup_id_z 0
		.amdhsa_system_sgpr_workgroup_info 0
		.amdhsa_system_vgpr_workitem_id 2
		.amdhsa_next_free_vgpr 42
		.amdhsa_next_free_sgpr 24
		.amdhsa_named_barrier_count 0
		.amdhsa_reserve_vcc 1
		.amdhsa_float_round_mode_32 0
		.amdhsa_float_round_mode_16_64 0
		.amdhsa_float_denorm_mode_32 3
		.amdhsa_float_denorm_mode_16_64 3
		.amdhsa_fp16_overflow 0
		.amdhsa_memory_ordered 1
		.amdhsa_forward_progress 1
		.amdhsa_inst_pref_size 27
		.amdhsa_round_robin_scheduling 0
		.amdhsa_exception_fp_ieee_invalid_op 0
		.amdhsa_exception_fp_denorm_src 0
		.amdhsa_exception_fp_ieee_div_zero 0
		.amdhsa_exception_fp_ieee_overflow 0
		.amdhsa_exception_fp_ieee_underflow 0
		.amdhsa_exception_fp_ieee_inexact 0
		.amdhsa_exception_int_div_zero 0
	.end_amdhsa_kernel
	.section	.text._ZN9rocsolver6v33100L18getri_kernel_smallILi4E19rocblas_complex_numIdEPS3_EEvT1_iilPiilS6_bb,"axG",@progbits,_ZN9rocsolver6v33100L18getri_kernel_smallILi4E19rocblas_complex_numIdEPS3_EEvT1_iilPiilS6_bb,comdat
.Lfunc_end3:
	.size	_ZN9rocsolver6v33100L18getri_kernel_smallILi4E19rocblas_complex_numIdEPS3_EEvT1_iilPiilS6_bb, .Lfunc_end3-_ZN9rocsolver6v33100L18getri_kernel_smallILi4E19rocblas_complex_numIdEPS3_EEvT1_iilPiilS6_bb
                                        ; -- End function
	.set _ZN9rocsolver6v33100L18getri_kernel_smallILi4E19rocblas_complex_numIdEPS3_EEvT1_iilPiilS6_bb.num_vgpr, 42
	.set _ZN9rocsolver6v33100L18getri_kernel_smallILi4E19rocblas_complex_numIdEPS3_EEvT1_iilPiilS6_bb.num_agpr, 0
	.set _ZN9rocsolver6v33100L18getri_kernel_smallILi4E19rocblas_complex_numIdEPS3_EEvT1_iilPiilS6_bb.numbered_sgpr, 24
	.set _ZN9rocsolver6v33100L18getri_kernel_smallILi4E19rocblas_complex_numIdEPS3_EEvT1_iilPiilS6_bb.num_named_barrier, 0
	.set _ZN9rocsolver6v33100L18getri_kernel_smallILi4E19rocblas_complex_numIdEPS3_EEvT1_iilPiilS6_bb.private_seg_size, 80
	.set _ZN9rocsolver6v33100L18getri_kernel_smallILi4E19rocblas_complex_numIdEPS3_EEvT1_iilPiilS6_bb.uses_vcc, 1
	.set _ZN9rocsolver6v33100L18getri_kernel_smallILi4E19rocblas_complex_numIdEPS3_EEvT1_iilPiilS6_bb.uses_flat_scratch, 1
	.set _ZN9rocsolver6v33100L18getri_kernel_smallILi4E19rocblas_complex_numIdEPS3_EEvT1_iilPiilS6_bb.has_dyn_sized_stack, 0
	.set _ZN9rocsolver6v33100L18getri_kernel_smallILi4E19rocblas_complex_numIdEPS3_EEvT1_iilPiilS6_bb.has_recursion, 0
	.set _ZN9rocsolver6v33100L18getri_kernel_smallILi4E19rocblas_complex_numIdEPS3_EEvT1_iilPiilS6_bb.has_indirect_call, 0
	.section	.AMDGPU.csdata,"",@progbits
; Kernel info:
; codeLenInByte = 3344
; TotalNumSgprs: 26
; NumVgprs: 42
; ScratchSize: 80
; MemoryBound: 0
; FloatMode: 240
; IeeeMode: 1
; LDSByteSize: 1160 bytes/workgroup (compile time only)
; SGPRBlocks: 0
; VGPRBlocks: 2
; NumSGPRsForWavesPerEU: 26
; NumVGPRsForWavesPerEU: 42
; NamedBarCnt: 0
; Occupancy: 16
; WaveLimiterHint : 0
; COMPUTE_PGM_RSRC2:SCRATCH_EN: 1
; COMPUTE_PGM_RSRC2:USER_SGPR: 4
; COMPUTE_PGM_RSRC2:TRAP_HANDLER: 0
; COMPUTE_PGM_RSRC2:TGID_X_EN: 1
; COMPUTE_PGM_RSRC2:TGID_Y_EN: 0
; COMPUTE_PGM_RSRC2:TGID_Z_EN: 0
; COMPUTE_PGM_RSRC2:TIDIG_COMP_CNT: 2
	.section	.text._ZN9rocsolver6v33100L18getri_kernel_smallILi5E19rocblas_complex_numIdEPS3_EEvT1_iilPiilS6_bb,"axG",@progbits,_ZN9rocsolver6v33100L18getri_kernel_smallILi5E19rocblas_complex_numIdEPS3_EEvT1_iilPiilS6_bb,comdat
	.globl	_ZN9rocsolver6v33100L18getri_kernel_smallILi5E19rocblas_complex_numIdEPS3_EEvT1_iilPiilS6_bb ; -- Begin function _ZN9rocsolver6v33100L18getri_kernel_smallILi5E19rocblas_complex_numIdEPS3_EEvT1_iilPiilS6_bb
	.p2align	8
	.type	_ZN9rocsolver6v33100L18getri_kernel_smallILi5E19rocblas_complex_numIdEPS3_EEvT1_iilPiilS6_bb,@function
_ZN9rocsolver6v33100L18getri_kernel_smallILi5E19rocblas_complex_numIdEPS3_EEvT1_iilPiilS6_bb: ; @_ZN9rocsolver6v33100L18getri_kernel_smallILi5E19rocblas_complex_numIdEPS3_EEvT1_iilPiilS6_bb
; %bb.0:
	v_and_b32_e32 v1, 0x3ff, v0
	s_mov_b32 s4, exec_lo
	s_delay_alu instid0(VALU_DEP_1)
	v_cmpx_gt_u32_e32 5, v1
	s_cbranch_execz .LBB4_34
; %bb.1:
	s_clause 0x2
	s_load_b32 s12, s[2:3], 0x38
	s_load_b128 s[8:11], s[2:3], 0x10
	s_load_b128 s[4:7], s[2:3], 0x28
	s_getreg_b32 s15, hwreg(HW_REG_IB_STS2, 6, 4)
	s_wait_kmcnt 0x0
	s_bitcmp1_b32 s12, 8
	s_cselect_b32 s16, -1, 0
	s_bfe_u32 s13, ttmp6, 0x4000c
	s_and_b32 s14, ttmp6, 15
	s_add_co_i32 s13, s13, 1
	s_delay_alu instid0(SALU_CYCLE_1) | instskip(NEXT) | instid1(SALU_CYCLE_1)
	s_mul_i32 s13, ttmp9, s13
	s_add_co_i32 s14, s14, s13
	s_cmp_eq_u32 s15, 0
	s_cselect_b32 s14, ttmp9, s14
	s_bfe_u32 s12, s12, 0x10008
	s_ashr_i32 s15, s14, 31
	s_cmp_eq_u32 s12, 0
                                        ; implicit-def: $sgpr12_sgpr13
	s_cbranch_scc1 .LBB4_3
; %bb.2:
	s_load_b32 s12, s[2:3], 0x20
	s_mul_u64 s[4:5], s[4:5], s[14:15]
	s_delay_alu instid0(SALU_CYCLE_1) | instskip(NEXT) | instid1(SALU_CYCLE_1)
	s_lshl_b64 s[4:5], s[4:5], 2
	s_add_nc_u64 s[4:5], s[10:11], s[4:5]
	s_wait_kmcnt 0x0
	s_ashr_i32 s13, s12, 31
	s_delay_alu instid0(SALU_CYCLE_1) | instskip(NEXT) | instid1(SALU_CYCLE_1)
	s_lshl_b64 s[10:11], s[12:13], 2
	s_add_nc_u64 s[12:13], s[4:5], s[10:11]
.LBB4_3:
	s_clause 0x1
	s_load_b128 s[20:23], s[2:3], 0x0
	s_load_b32 s17, s[2:3], 0x38
	s_wait_xcnt 0x0
	s_mul_u64 s[2:3], s[8:9], s[14:15]
	v_dual_mov_b32 v25, 0 :: v_dual_lshlrev_b32 v24, 4, v1
	s_lshl_b64 s[2:3], s[2:3], 4
	s_mov_b32 s9, 16
	s_mov_b32 s8, 32
	;; [unrolled: 1-line block ×4, first 2 shown]
	s_wait_kmcnt 0x0
	s_ashr_i32 s5, s22, 31
	s_mov_b32 s4, s22
	s_add_nc_u64 s[2:3], s[20:21], s[2:3]
	s_lshl_b64 s[4:5], s[4:5], 4
	v_add3_u32 v18, s23, s23, v1
	s_add_nc_u64 s[4:5], s[2:3], s[4:5]
	s_ashr_i32 s3, s23, 31
	v_add_nc_u64_e32 v[14:15], s[4:5], v[24:25]
	s_mov_b32 s2, s23
	v_add_nc_u32_e32 v20, s23, v18
	s_bitcmp0_b32 s17, 0
	s_delay_alu instid0(VALU_DEP_1) | instskip(NEXT) | instid1(VALU_DEP_3)
	v_add_nc_u32_e32 v22, s23, v20
	v_lshl_add_u64 v[16:17], s[2:3], 4, v[14:15]
	s_clause 0x4
	global_load_b128 v[2:5], v18, s[4:5] scale_offset
	global_load_b128 v[6:9], v20, s[4:5] scale_offset
	;; [unrolled: 1-line block ×3, first 2 shown]
	global_load_b128 v[26:29], v[16:17], off
	global_load_b128 v[30:33], v22, s[4:5] scale_offset
	s_mov_b32 s3, -1
	s_wait_loadcnt 0x4
	scratch_store_b128 off, v[2:5], off offset:32
	s_wait_loadcnt 0x3
	scratch_store_b128 off, v[6:9], off offset:48
	s_wait_loadcnt 0x2
	scratch_store_b128 off, v[10:13], off
	s_wait_loadcnt 0x1
	scratch_store_b128 off, v[26:29], off offset:16
	s_wait_loadcnt 0x0
	scratch_store_b128 off, v[30:33], off offset:64
	s_cbranch_scc1 .LBB4_32
; %bb.4:
	v_cmp_eq_u32_e64 s2, 0, v1
	s_wait_xcnt 0x0
	s_and_saveexec_b32 s3, s2
; %bb.5:
	v_mov_b32_e32 v2, 0
	ds_store_b32 v2, v2 offset:160
; %bb.6:
	s_or_b32 exec_lo, exec_lo, s3
	s_wait_storecnt_dscnt 0x0
	s_barrier_signal -1
	s_barrier_wait -1
	scratch_load_b128 v[2:5], v1, off scale_offset
	s_wait_loadcnt 0x0
	v_cmp_eq_f64_e32 vcc_lo, 0, v[2:3]
	v_cmp_eq_f64_e64 s3, 0, v[4:5]
	s_and_b32 s3, vcc_lo, s3
	s_delay_alu instid0(SALU_CYCLE_1)
	s_and_saveexec_b32 s17, s3
	s_cbranch_execz .LBB4_10
; %bb.7:
	v_mov_b32_e32 v2, 0
	s_mov_b32 s18, 0
	ds_load_b32 v3, v2 offset:160
	s_wait_dscnt 0x0
	v_readfirstlane_b32 s3, v3
	v_add_nc_u32_e32 v3, 1, v1
	s_cmp_eq_u32 s3, 0
	s_delay_alu instid0(VALU_DEP_1) | instskip(SKIP_1) | instid1(SALU_CYCLE_1)
	v_cmp_gt_i32_e32 vcc_lo, s3, v3
	s_cselect_b32 s19, -1, 0
	s_or_b32 s19, s19, vcc_lo
	s_delay_alu instid0(SALU_CYCLE_1)
	s_and_b32 exec_lo, exec_lo, s19
	s_cbranch_execz .LBB4_10
; %bb.8:
	v_mov_b32_e32 v4, s3
.LBB4_9:                                ; =>This Inner Loop Header: Depth=1
	ds_cmpstore_rtn_b32 v4, v2, v3, v4 offset:160
	s_wait_dscnt 0x0
	v_cmp_ne_u32_e32 vcc_lo, 0, v4
	v_cmp_le_i32_e64 s3, v4, v3
	s_and_b32 s3, vcc_lo, s3
	s_delay_alu instid0(SALU_CYCLE_1) | instskip(NEXT) | instid1(SALU_CYCLE_1)
	s_and_b32 s3, exec_lo, s3
	s_or_b32 s18, s3, s18
	s_delay_alu instid0(SALU_CYCLE_1)
	s_and_not1_b32 exec_lo, exec_lo, s18
	s_cbranch_execnz .LBB4_9
.LBB4_10:
	s_or_b32 exec_lo, exec_lo, s17
	v_mov_b32_e32 v2, 0
	s_barrier_signal -1
	s_barrier_wait -1
	ds_load_b32 v3, v2 offset:160
	s_and_saveexec_b32 s3, s2
	s_cbranch_execz .LBB4_12
; %bb.11:
	s_lshl_b64 s[18:19], s[14:15], 2
	s_delay_alu instid0(SALU_CYCLE_1)
	s_add_nc_u64 s[18:19], s[6:7], s[18:19]
	s_wait_dscnt 0x0
	global_store_b32 v2, v3, s[18:19]
.LBB4_12:
	s_wait_xcnt 0x0
	s_or_b32 exec_lo, exec_lo, s3
	s_wait_dscnt 0x0
	v_cmp_ne_u32_e32 vcc_lo, 0, v3
	s_mov_b32 s3, 0
	s_cbranch_vccnz .LBB4_32
; %bb.13:
	v_lshl_add_u32 v19, v1, 4, 0
                                        ; implicit-def: $vgpr6_vgpr7
                                        ; implicit-def: $vgpr10_vgpr11
	scratch_load_b128 v[2:5], v19, off
	s_wait_loadcnt 0x0
	v_cmp_ngt_f64_e64 s3, |v[2:3]|, |v[4:5]|
	s_wait_xcnt 0x0
	s_and_saveexec_b32 s17, s3
	s_delay_alu instid0(SALU_CYCLE_1)
	s_xor_b32 s3, exec_lo, s17
	s_cbranch_execz .LBB4_15
; %bb.14:
	v_div_scale_f64 v[6:7], null, v[4:5], v[4:5], v[2:3]
	v_div_scale_f64 v[12:13], vcc_lo, v[2:3], v[4:5], v[2:3]
	s_delay_alu instid0(VALU_DEP_2) | instskip(SKIP_1) | instid1(TRANS32_DEP_1)
	v_rcp_f64_e32 v[8:9], v[6:7]
	v_nop
	v_fma_f64 v[10:11], -v[6:7], v[8:9], 1.0
	s_delay_alu instid0(VALU_DEP_1) | instskip(NEXT) | instid1(VALU_DEP_1)
	v_fmac_f64_e32 v[8:9], v[8:9], v[10:11]
	v_fma_f64 v[10:11], -v[6:7], v[8:9], 1.0
	s_delay_alu instid0(VALU_DEP_1) | instskip(NEXT) | instid1(VALU_DEP_1)
	v_fmac_f64_e32 v[8:9], v[8:9], v[10:11]
	v_mul_f64_e32 v[10:11], v[12:13], v[8:9]
	s_delay_alu instid0(VALU_DEP_1) | instskip(NEXT) | instid1(VALU_DEP_1)
	v_fma_f64 v[6:7], -v[6:7], v[10:11], v[12:13]
	v_div_fmas_f64 v[6:7], v[6:7], v[8:9], v[10:11]
	s_delay_alu instid0(VALU_DEP_1) | instskip(NEXT) | instid1(VALU_DEP_1)
	v_div_fixup_f64 v[6:7], v[6:7], v[4:5], v[2:3]
	v_fmac_f64_e32 v[4:5], v[2:3], v[6:7]
	s_delay_alu instid0(VALU_DEP_1) | instskip(SKIP_1) | instid1(VALU_DEP_2)
	v_div_scale_f64 v[2:3], null, v[4:5], v[4:5], 1.0
	v_div_scale_f64 v[12:13], vcc_lo, 1.0, v[4:5], 1.0
	v_rcp_f64_e32 v[8:9], v[2:3]
	v_nop
	s_delay_alu instid0(TRANS32_DEP_1) | instskip(NEXT) | instid1(VALU_DEP_1)
	v_fma_f64 v[10:11], -v[2:3], v[8:9], 1.0
	v_fmac_f64_e32 v[8:9], v[8:9], v[10:11]
	s_delay_alu instid0(VALU_DEP_1) | instskip(NEXT) | instid1(VALU_DEP_1)
	v_fma_f64 v[10:11], -v[2:3], v[8:9], 1.0
	v_fmac_f64_e32 v[8:9], v[8:9], v[10:11]
	s_delay_alu instid0(VALU_DEP_1) | instskip(NEXT) | instid1(VALU_DEP_1)
	v_mul_f64_e32 v[10:11], v[12:13], v[8:9]
	v_fma_f64 v[2:3], -v[2:3], v[10:11], v[12:13]
	s_delay_alu instid0(VALU_DEP_1) | instskip(NEXT) | instid1(VALU_DEP_1)
	v_div_fmas_f64 v[2:3], v[2:3], v[8:9], v[10:11]
	v_div_fixup_f64 v[8:9], v[2:3], v[4:5], 1.0
                                        ; implicit-def: $vgpr2_vgpr3
	s_delay_alu instid0(VALU_DEP_1) | instskip(SKIP_1) | instid1(VALU_DEP_2)
	v_mul_f64_e32 v[6:7], v[6:7], v[8:9]
	v_xor_b32_e32 v9, 0x80000000, v9
	v_xor_b32_e32 v11, 0x80000000, v7
	s_delay_alu instid0(VALU_DEP_3)
	v_mov_b32_e32 v10, v6
.LBB4_15:
	s_and_not1_saveexec_b32 s3, s3
	s_cbranch_execz .LBB4_17
; %bb.16:
	v_div_scale_f64 v[6:7], null, v[2:3], v[2:3], v[4:5]
	v_div_scale_f64 v[12:13], vcc_lo, v[4:5], v[2:3], v[4:5]
	s_delay_alu instid0(VALU_DEP_2) | instskip(SKIP_1) | instid1(TRANS32_DEP_1)
	v_rcp_f64_e32 v[8:9], v[6:7]
	v_nop
	v_fma_f64 v[10:11], -v[6:7], v[8:9], 1.0
	s_delay_alu instid0(VALU_DEP_1) | instskip(NEXT) | instid1(VALU_DEP_1)
	v_fmac_f64_e32 v[8:9], v[8:9], v[10:11]
	v_fma_f64 v[10:11], -v[6:7], v[8:9], 1.0
	s_delay_alu instid0(VALU_DEP_1) | instskip(NEXT) | instid1(VALU_DEP_1)
	v_fmac_f64_e32 v[8:9], v[8:9], v[10:11]
	v_mul_f64_e32 v[10:11], v[12:13], v[8:9]
	s_delay_alu instid0(VALU_DEP_1) | instskip(NEXT) | instid1(VALU_DEP_1)
	v_fma_f64 v[6:7], -v[6:7], v[10:11], v[12:13]
	v_div_fmas_f64 v[6:7], v[6:7], v[8:9], v[10:11]
	s_delay_alu instid0(VALU_DEP_1) | instskip(NEXT) | instid1(VALU_DEP_1)
	v_div_fixup_f64 v[8:9], v[6:7], v[2:3], v[4:5]
	v_fmac_f64_e32 v[2:3], v[4:5], v[8:9]
	s_delay_alu instid0(VALU_DEP_1) | instskip(NEXT) | instid1(VALU_DEP_1)
	v_div_scale_f64 v[4:5], null, v[2:3], v[2:3], 1.0
	v_rcp_f64_e32 v[6:7], v[4:5]
	v_nop
	s_delay_alu instid0(TRANS32_DEP_1) | instskip(NEXT) | instid1(VALU_DEP_1)
	v_fma_f64 v[10:11], -v[4:5], v[6:7], 1.0
	v_fmac_f64_e32 v[6:7], v[6:7], v[10:11]
	s_delay_alu instid0(VALU_DEP_1) | instskip(NEXT) | instid1(VALU_DEP_1)
	v_fma_f64 v[10:11], -v[4:5], v[6:7], 1.0
	v_fmac_f64_e32 v[6:7], v[6:7], v[10:11]
	v_div_scale_f64 v[10:11], vcc_lo, 1.0, v[2:3], 1.0
	s_delay_alu instid0(VALU_DEP_1) | instskip(NEXT) | instid1(VALU_DEP_1)
	v_mul_f64_e32 v[12:13], v[10:11], v[6:7]
	v_fma_f64 v[4:5], -v[4:5], v[12:13], v[10:11]
	s_delay_alu instid0(VALU_DEP_1) | instskip(NEXT) | instid1(VALU_DEP_1)
	v_div_fmas_f64 v[4:5], v[4:5], v[6:7], v[12:13]
	v_div_fixup_f64 v[6:7], v[4:5], v[2:3], 1.0
	s_delay_alu instid0(VALU_DEP_1)
	v_mul_f64_e64 v[8:9], v[8:9], -v[6:7]
	v_xor_b32_e32 v11, 0x80000000, v7
	v_mov_b32_e32 v10, v6
.LBB4_17:
	s_or_b32 exec_lo, exec_lo, s3
	s_clause 0x1
	scratch_store_b128 v19, v[6:9], off
	scratch_load_b128 v[2:5], off, s9
	v_xor_b32_e32 v13, 0x80000000, v9
	v_mov_b32_e32 v12, v8
	s_wait_xcnt 0x1
	v_add_nc_u32_e32 v6, 0x50, v24
	ds_store_b128 v24, v[10:13]
	s_wait_loadcnt 0x0
	ds_store_b128 v24, v[2:5] offset:80
	s_wait_storecnt_dscnt 0x0
	s_barrier_signal -1
	s_barrier_wait -1
	s_wait_xcnt 0x0
	s_and_saveexec_b32 s3, s2
	s_cbranch_execz .LBB4_19
; %bb.18:
	scratch_load_b128 v[2:5], v19, off
	ds_load_b128 v[8:11], v6
	v_mov_b32_e32 v7, 0
	ds_load_b128 v[26:29], v7 offset:16
	s_wait_loadcnt_dscnt 0x1
	v_mul_f64_e32 v[12:13], v[8:9], v[4:5]
	v_mul_f64_e32 v[4:5], v[10:11], v[4:5]
	s_delay_alu instid0(VALU_DEP_2) | instskip(NEXT) | instid1(VALU_DEP_2)
	v_fmac_f64_e32 v[12:13], v[10:11], v[2:3]
	v_fma_f64 v[2:3], v[8:9], v[2:3], -v[4:5]
	s_delay_alu instid0(VALU_DEP_2) | instskip(NEXT) | instid1(VALU_DEP_2)
	v_add_f64_e32 v[8:9], 0, v[12:13]
	v_add_f64_e32 v[2:3], 0, v[2:3]
	s_wait_dscnt 0x0
	s_delay_alu instid0(VALU_DEP_2) | instskip(NEXT) | instid1(VALU_DEP_2)
	v_mul_f64_e32 v[10:11], v[8:9], v[28:29]
	v_mul_f64_e32 v[4:5], v[2:3], v[28:29]
	s_delay_alu instid0(VALU_DEP_2) | instskip(NEXT) | instid1(VALU_DEP_2)
	v_fma_f64 v[2:3], v[2:3], v[26:27], -v[10:11]
	v_fmac_f64_e32 v[4:5], v[8:9], v[26:27]
	scratch_store_b128 off, v[2:5], off offset:16
.LBB4_19:
	s_wait_xcnt 0x0
	s_or_b32 exec_lo, exec_lo, s3
	s_wait_storecnt 0x0
	s_barrier_signal -1
	s_barrier_wait -1
	scratch_load_b128 v[2:5], off, s8
	s_mov_b32 s3, exec_lo
	s_wait_loadcnt 0x0
	ds_store_b128 v6, v[2:5]
	s_wait_dscnt 0x0
	s_barrier_signal -1
	s_barrier_wait -1
	v_cmpx_gt_u32_e32 2, v1
	s_cbranch_execz .LBB4_23
; %bb.20:
	scratch_load_b128 v[2:5], v19, off
	ds_load_b128 v[8:11], v6
	s_wait_loadcnt_dscnt 0x0
	v_mul_f64_e32 v[12:13], v[10:11], v[4:5]
	v_mul_f64_e32 v[26:27], v[8:9], v[4:5]
	s_delay_alu instid0(VALU_DEP_2) | instskip(NEXT) | instid1(VALU_DEP_2)
	v_fma_f64 v[4:5], v[8:9], v[2:3], -v[12:13]
	v_fmac_f64_e32 v[26:27], v[10:11], v[2:3]
	s_delay_alu instid0(VALU_DEP_2) | instskip(NEXT) | instid1(VALU_DEP_2)
	v_add_f64_e32 v[4:5], 0, v[4:5]
	v_add_f64_e32 v[2:3], 0, v[26:27]
	s_and_saveexec_b32 s17, s2
	s_cbranch_execz .LBB4_22
; %bb.21:
	scratch_load_b128 v[8:11], off, off offset:16
	v_mov_b32_e32 v7, 0
	ds_load_b128 v[26:29], v7 offset:96
	s_wait_loadcnt_dscnt 0x0
	v_mul_f64_e32 v[12:13], v[26:27], v[10:11]
	v_mul_f64_e32 v[10:11], v[28:29], v[10:11]
	s_delay_alu instid0(VALU_DEP_2) | instskip(NEXT) | instid1(VALU_DEP_2)
	v_fmac_f64_e32 v[12:13], v[28:29], v[8:9]
	v_fma_f64 v[8:9], v[26:27], v[8:9], -v[10:11]
	s_delay_alu instid0(VALU_DEP_2) | instskip(NEXT) | instid1(VALU_DEP_2)
	v_add_f64_e32 v[2:3], v[2:3], v[12:13]
	v_add_f64_e32 v[4:5], v[4:5], v[8:9]
.LBB4_22:
	s_or_b32 exec_lo, exec_lo, s17
	v_mov_b32_e32 v7, 0
	ds_load_b128 v[8:11], v7 offset:32
	s_wait_dscnt 0x0
	v_mul_f64_e32 v[26:27], v[2:3], v[10:11]
	v_mul_f64_e32 v[12:13], v[4:5], v[10:11]
	s_delay_alu instid0(VALU_DEP_2) | instskip(NEXT) | instid1(VALU_DEP_2)
	v_fma_f64 v[10:11], v[4:5], v[8:9], -v[26:27]
	v_fmac_f64_e32 v[12:13], v[2:3], v[8:9]
	scratch_store_b128 off, v[10:13], off offset:32
.LBB4_23:
	s_wait_xcnt 0x0
	s_or_b32 exec_lo, exec_lo, s3
	s_wait_storecnt 0x0
	s_barrier_signal -1
	s_barrier_wait -1
	scratch_load_b128 v[2:5], off, s10
	v_add_nc_u32_e32 v7, -1, v1
	s_mov_b32 s2, exec_lo
	s_wait_loadcnt 0x0
	ds_store_b128 v6, v[2:5]
	s_wait_dscnt 0x0
	s_barrier_signal -1
	s_barrier_wait -1
	v_cmpx_gt_u32_e32 3, v1
	s_cbranch_execz .LBB4_27
; %bb.24:
	v_dual_mov_b32 v10, v24 :: v_dual_add_nc_u32 v8, -1, v1
	v_mov_b64_e32 v[2:3], 0
	v_mov_b64_e32 v[4:5], 0
	v_add_nc_u32_e32 v9, 0x50, v24
	s_delay_alu instid0(VALU_DEP_4)
	v_or_b32_e32 v10, 8, v10
	s_mov_b32 s3, 0
.LBB4_25:                               ; =>This Inner Loop Header: Depth=1
	scratch_load_b128 v[26:29], v10, off offset:-8
	ds_load_b128 v[30:33], v9
	s_wait_xcnt 0x0
	v_dual_add_nc_u32 v9, 16, v9 :: v_dual_add_nc_u32 v10, 16, v10
	v_add_nc_u32_e32 v8, 1, v8
	s_delay_alu instid0(VALU_DEP_1) | instskip(SKIP_4) | instid1(VALU_DEP_2)
	v_cmp_lt_u32_e32 vcc_lo, 1, v8
	s_or_b32 s3, vcc_lo, s3
	s_wait_loadcnt_dscnt 0x0
	v_mul_f64_e32 v[12:13], v[32:33], v[28:29]
	v_mul_f64_e32 v[28:29], v[30:31], v[28:29]
	v_fma_f64 v[12:13], v[30:31], v[26:27], -v[12:13]
	s_delay_alu instid0(VALU_DEP_2) | instskip(NEXT) | instid1(VALU_DEP_2)
	v_fmac_f64_e32 v[28:29], v[32:33], v[26:27]
	v_add_f64_e32 v[4:5], v[4:5], v[12:13]
	s_delay_alu instid0(VALU_DEP_2)
	v_add_f64_e32 v[2:3], v[2:3], v[28:29]
	s_and_not1_b32 exec_lo, exec_lo, s3
	s_cbranch_execnz .LBB4_25
; %bb.26:
	s_or_b32 exec_lo, exec_lo, s3
	v_mov_b32_e32 v8, 0
	ds_load_b128 v[8:11], v8 offset:48
	s_wait_dscnt 0x0
	v_mul_f64_e32 v[26:27], v[2:3], v[10:11]
	v_mul_f64_e32 v[12:13], v[4:5], v[10:11]
	s_delay_alu instid0(VALU_DEP_2) | instskip(NEXT) | instid1(VALU_DEP_2)
	v_fma_f64 v[10:11], v[4:5], v[8:9], -v[26:27]
	v_fmac_f64_e32 v[12:13], v[2:3], v[8:9]
	scratch_store_b128 off, v[10:13], off offset:48
.LBB4_27:
	s_wait_xcnt 0x0
	s_or_b32 exec_lo, exec_lo, s2
	s_wait_storecnt 0x0
	s_barrier_signal -1
	s_barrier_wait -1
	scratch_load_b128 v[2:5], off, s11
	s_mov_b32 s2, exec_lo
	s_wait_loadcnt 0x0
	ds_store_b128 v6, v[2:5]
	s_wait_dscnt 0x0
	s_barrier_signal -1
	s_barrier_wait -1
	v_cmpx_ne_u32_e32 4, v1
	s_cbranch_execz .LBB4_31
; %bb.28:
	v_mov_b32_e32 v8, v24
	v_mov_b64_e32 v[2:3], 0
	v_mov_b64_e32 v[4:5], 0
	s_mov_b32 s3, 0
	s_delay_alu instid0(VALU_DEP_3)
	v_or_b32_e32 v8, 8, v8
.LBB4_29:                               ; =>This Inner Loop Header: Depth=1
	scratch_load_b128 v[10:13], v8, off offset:-8
	ds_load_b128 v[24:27], v6
	v_dual_add_nc_u32 v7, 1, v7 :: v_dual_add_nc_u32 v6, 16, v6
	s_wait_xcnt 0x0
	v_add_nc_u32_e32 v8, 16, v8
	s_delay_alu instid0(VALU_DEP_2) | instskip(SKIP_4) | instid1(VALU_DEP_2)
	v_cmp_lt_u32_e32 vcc_lo, 2, v7
	s_or_b32 s3, vcc_lo, s3
	s_wait_loadcnt_dscnt 0x0
	v_mul_f64_e32 v[28:29], v[26:27], v[12:13]
	v_mul_f64_e32 v[12:13], v[24:25], v[12:13]
	v_fma_f64 v[24:25], v[24:25], v[10:11], -v[28:29]
	s_delay_alu instid0(VALU_DEP_2) | instskip(NEXT) | instid1(VALU_DEP_2)
	v_fmac_f64_e32 v[12:13], v[26:27], v[10:11]
	v_add_f64_e32 v[4:5], v[4:5], v[24:25]
	s_delay_alu instid0(VALU_DEP_2)
	v_add_f64_e32 v[2:3], v[2:3], v[12:13]
	s_and_not1_b32 exec_lo, exec_lo, s3
	s_cbranch_execnz .LBB4_29
; %bb.30:
	s_or_b32 exec_lo, exec_lo, s3
	v_mov_b32_e32 v6, 0
	ds_load_b128 v[6:9], v6 offset:64
	s_wait_dscnt 0x0
	v_mul_f64_e32 v[12:13], v[2:3], v[8:9]
	v_mul_f64_e32 v[10:11], v[4:5], v[8:9]
	s_delay_alu instid0(VALU_DEP_2) | instskip(NEXT) | instid1(VALU_DEP_2)
	v_fma_f64 v[8:9], v[4:5], v[6:7], -v[12:13]
	v_fmac_f64_e32 v[10:11], v[2:3], v[6:7]
	scratch_store_b128 off, v[8:11], off offset:64
.LBB4_31:
	s_wait_xcnt 0x0
	s_or_b32 exec_lo, exec_lo, s2
	s_mov_b32 s3, -1
	s_wait_storecnt 0x0
	s_barrier_signal -1
	s_barrier_wait -1
.LBB4_32:
	s_and_b32 vcc_lo, exec_lo, s3
	s_cbranch_vccz .LBB4_34
; %bb.33:
	s_wait_xcnt 0x4
	v_mov_b32_e32 v2, 0
	s_lshl_b64 s[2:3], s[14:15], 2
	s_delay_alu instid0(SALU_CYCLE_1)
	s_add_nc_u64 s[2:3], s[6:7], s[2:3]
	global_load_b32 v2, v2, s[2:3]
	s_wait_loadcnt 0x0
	v_cmp_ne_u32_e32 vcc_lo, 0, v2
	s_cbranch_vccz .LBB4_35
.LBB4_34:
	s_endpgm
.LBB4_35:
	s_wait_xcnt 0x4
	v_lshl_add_u32 v6, v1, 4, 0x50
	s_wait_xcnt 0x0
	s_mov_b32 s2, exec_lo
	v_cmpx_eq_u32_e32 4, v1
	s_cbranch_execz .LBB4_37
; %bb.36:
	scratch_load_b128 v[2:5], off, s10
	v_mov_b32_e32 v8, 0
	s_delay_alu instid0(VALU_DEP_1)
	v_dual_mov_b32 v9, v8 :: v_dual_mov_b32 v10, v8
	v_mov_b32_e32 v11, v8
	scratch_store_b128 off, v[8:11], off offset:48
	s_wait_loadcnt 0x0
	ds_store_b128 v6, v[2:5]
.LBB4_37:
	s_wait_xcnt 0x0
	s_or_b32 exec_lo, exec_lo, s2
	s_wait_storecnt_dscnt 0x0
	s_barrier_signal -1
	s_barrier_wait -1
	s_clause 0x1
	scratch_load_b128 v[8:11], off, off offset:64
	scratch_load_b128 v[24:27], off, off offset:48
	v_mov_b32_e32 v2, 0
	s_mov_b32 s2, exec_lo
	ds_load_b128 v[28:31], v2 offset:144
	s_wait_loadcnt_dscnt 0x100
	v_mul_f64_e32 v[4:5], v[30:31], v[10:11]
	v_mul_f64_e32 v[10:11], v[28:29], v[10:11]
	s_delay_alu instid0(VALU_DEP_2) | instskip(NEXT) | instid1(VALU_DEP_2)
	v_fma_f64 v[4:5], v[28:29], v[8:9], -v[4:5]
	v_fmac_f64_e32 v[10:11], v[30:31], v[8:9]
	s_delay_alu instid0(VALU_DEP_2) | instskip(NEXT) | instid1(VALU_DEP_2)
	v_add_f64_e32 v[4:5], 0, v[4:5]
	v_add_f64_e32 v[10:11], 0, v[10:11]
	s_wait_loadcnt 0x0
	s_delay_alu instid0(VALU_DEP_2) | instskip(NEXT) | instid1(VALU_DEP_2)
	v_add_f64_e64 v[8:9], v[24:25], -v[4:5]
	v_add_f64_e64 v[10:11], v[26:27], -v[10:11]
	scratch_store_b128 off, v[8:11], off offset:48
	s_wait_xcnt 0x0
	v_cmpx_lt_u32_e32 2, v1
	s_cbranch_execz .LBB4_39
; %bb.38:
	scratch_load_b128 v[8:11], off, s8
	v_dual_mov_b32 v3, v2 :: v_dual_mov_b32 v4, v2
	v_mov_b32_e32 v5, v2
	scratch_store_b128 off, v[2:5], off offset:32
	s_wait_loadcnt 0x0
	ds_store_b128 v6, v[8:11]
.LBB4_39:
	s_wait_xcnt 0x0
	s_or_b32 exec_lo, exec_lo, s2
	s_wait_storecnt_dscnt 0x0
	s_barrier_signal -1
	s_barrier_wait -1
	s_clause 0x2
	scratch_load_b128 v[8:11], off, off offset:48
	scratch_load_b128 v[24:27], off, off offset:64
	scratch_load_b128 v[28:31], off, off offset:32
	ds_load_b128 v[32:35], v2 offset:128
	ds_load_b128 v[2:5], v2 offset:144
	s_mov_b32 s2, exec_lo
	v_dual_ashrrev_i32 v21, 31, v20 :: v_dual_ashrrev_i32 v19, 31, v18
	v_ashrrev_i32_e32 v23, 31, v22
	s_wait_loadcnt_dscnt 0x201
	v_mul_f64_e32 v[12:13], v[34:35], v[10:11]
	v_mul_f64_e32 v[10:11], v[32:33], v[10:11]
	s_wait_loadcnt_dscnt 0x100
	v_mul_f64_e32 v[36:37], v[2:3], v[26:27]
	v_mul_f64_e32 v[26:27], v[4:5], v[26:27]
	s_delay_alu instid0(VALU_DEP_4) | instskip(NEXT) | instid1(VALU_DEP_4)
	v_fma_f64 v[12:13], v[32:33], v[8:9], -v[12:13]
	v_fmac_f64_e32 v[10:11], v[34:35], v[8:9]
	s_delay_alu instid0(VALU_DEP_4) | instskip(NEXT) | instid1(VALU_DEP_4)
	v_fmac_f64_e32 v[36:37], v[4:5], v[24:25]
	v_fma_f64 v[2:3], v[2:3], v[24:25], -v[26:27]
	s_delay_alu instid0(VALU_DEP_4) | instskip(NEXT) | instid1(VALU_DEP_4)
	v_add_f64_e32 v[4:5], 0, v[12:13]
	v_add_f64_e32 v[8:9], 0, v[10:11]
	s_delay_alu instid0(VALU_DEP_2) | instskip(NEXT) | instid1(VALU_DEP_2)
	v_add_f64_e32 v[2:3], v[4:5], v[2:3]
	v_add_f64_e32 v[4:5], v[8:9], v[36:37]
	s_wait_loadcnt 0x0
	s_delay_alu instid0(VALU_DEP_2) | instskip(NEXT) | instid1(VALU_DEP_2)
	v_add_f64_e64 v[2:3], v[28:29], -v[2:3]
	v_add_f64_e64 v[4:5], v[30:31], -v[4:5]
	scratch_store_b128 off, v[2:5], off offset:32
	s_wait_xcnt 0x0
	v_cmpx_lt_u32_e32 1, v1
	s_cbranch_execz .LBB4_41
; %bb.40:
	scratch_load_b128 v[2:5], off, s9
	v_mov_b32_e32 v8, 0
	s_delay_alu instid0(VALU_DEP_1)
	v_dual_mov_b32 v9, v8 :: v_dual_mov_b32 v10, v8
	v_mov_b32_e32 v11, v8
	scratch_store_b128 off, v[8:11], off offset:16
	s_wait_loadcnt 0x0
	ds_store_b128 v6, v[2:5]
.LBB4_41:
	s_wait_xcnt 0x0
	s_or_b32 exec_lo, exec_lo, s2
	s_wait_storecnt_dscnt 0x0
	s_barrier_signal -1
	s_barrier_wait -1
	s_clause 0x3
	scratch_load_b128 v[8:11], off, off offset:32
	scratch_load_b128 v[24:27], off, off offset:48
	;; [unrolled: 1-line block ×4, first 2 shown]
	v_mov_b32_e32 v2, 0
	ds_load_b128 v[36:39], v2 offset:112
	ds_load_b128 v[40:43], v2 offset:128
	s_mov_b32 s2, exec_lo
	s_wait_loadcnt_dscnt 0x301
	v_mul_f64_e32 v[4:5], v[38:39], v[10:11]
	v_mul_f64_e32 v[12:13], v[36:37], v[10:11]
	s_wait_loadcnt_dscnt 0x200
	v_mul_f64_e32 v[44:45], v[40:41], v[26:27]
	v_mul_f64_e32 v[26:27], v[42:43], v[26:27]
	s_delay_alu instid0(VALU_DEP_4) | instskip(NEXT) | instid1(VALU_DEP_4)
	v_fma_f64 v[4:5], v[36:37], v[8:9], -v[4:5]
	v_fmac_f64_e32 v[12:13], v[38:39], v[8:9]
	ds_load_b128 v[8:11], v2 offset:144
	v_fmac_f64_e32 v[44:45], v[42:43], v[24:25]
	v_fma_f64 v[24:25], v[40:41], v[24:25], -v[26:27]
	s_wait_loadcnt_dscnt 0x100
	v_mul_f64_e32 v[36:37], v[8:9], v[30:31]
	v_mul_f64_e32 v[30:31], v[10:11], v[30:31]
	v_add_f64_e32 v[4:5], 0, v[4:5]
	v_add_f64_e32 v[12:13], 0, v[12:13]
	s_delay_alu instid0(VALU_DEP_4) | instskip(NEXT) | instid1(VALU_DEP_4)
	v_fmac_f64_e32 v[36:37], v[10:11], v[28:29]
	v_fma_f64 v[8:9], v[8:9], v[28:29], -v[30:31]
	s_delay_alu instid0(VALU_DEP_4) | instskip(NEXT) | instid1(VALU_DEP_4)
	v_add_f64_e32 v[4:5], v[4:5], v[24:25]
	v_add_f64_e32 v[10:11], v[12:13], v[44:45]
	s_delay_alu instid0(VALU_DEP_2) | instskip(NEXT) | instid1(VALU_DEP_2)
	v_add_f64_e32 v[4:5], v[4:5], v[8:9]
	v_add_f64_e32 v[10:11], v[10:11], v[36:37]
	s_wait_loadcnt 0x0
	s_delay_alu instid0(VALU_DEP_2) | instskip(NEXT) | instid1(VALU_DEP_2)
	v_add_f64_e64 v[8:9], v[32:33], -v[4:5]
	v_add_f64_e64 v[10:11], v[34:35], -v[10:11]
	scratch_store_b128 off, v[8:11], off offset:16
	s_wait_xcnt 0x0
	v_cmpx_ne_u32_e32 0, v1
	s_cbranch_execz .LBB4_43
; %bb.42:
	scratch_load_b128 v[8:11], off, off
	v_dual_mov_b32 v3, v2 :: v_dual_mov_b32 v4, v2
	v_mov_b32_e32 v5, v2
	scratch_store_b128 off, v[2:5], off
	s_wait_loadcnt 0x0
	ds_store_b128 v6, v[8:11]
.LBB4_43:
	s_wait_xcnt 0x0
	s_or_b32 exec_lo, exec_lo, s2
	s_wait_storecnt_dscnt 0x0
	s_barrier_signal -1
	s_barrier_wait -1
	s_clause 0x4
	scratch_load_b128 v[4:7], off, off offset:16
	scratch_load_b128 v[8:11], off, off offset:32
	;; [unrolled: 1-line block ×4, first 2 shown]
	scratch_load_b128 v[32:35], off, off
	ds_load_b128 v[36:39], v2 offset:96
	ds_load_b128 v[40:43], v2 offset:112
	s_and_b32 vcc_lo, exec_lo, s16
	s_wait_loadcnt_dscnt 0x401
	v_mul_f64_e32 v[12:13], v[38:39], v[6:7]
	v_mul_f64_e32 v[44:45], v[36:37], v[6:7]
	s_wait_loadcnt_dscnt 0x300
	v_mul_f64_e32 v[46:47], v[40:41], v[10:11]
	v_mul_f64_e32 v[48:49], v[42:43], v[10:11]
	s_delay_alu instid0(VALU_DEP_4) | instskip(NEXT) | instid1(VALU_DEP_4)
	v_fma_f64 v[36:37], v[36:37], v[4:5], -v[12:13]
	v_fmac_f64_e32 v[44:45], v[38:39], v[4:5]
	ds_load_b128 v[4:7], v2 offset:128
	ds_load_b128 v[10:13], v2 offset:144
	v_fmac_f64_e32 v[46:47], v[42:43], v[8:9]
	v_fma_f64 v[8:9], v[40:41], v[8:9], -v[48:49]
	s_wait_loadcnt_dscnt 0x201
	v_mul_f64_e32 v[2:3], v[4:5], v[26:27]
	v_mul_f64_e32 v[26:27], v[6:7], v[26:27]
	s_wait_loadcnt_dscnt 0x100
	v_mul_f64_e32 v[40:41], v[10:11], v[30:31]
	v_mul_f64_e32 v[30:31], v[12:13], v[30:31]
	v_add_f64_e32 v[36:37], 0, v[36:37]
	v_add_f64_e32 v[38:39], 0, v[44:45]
	v_fmac_f64_e32 v[2:3], v[6:7], v[24:25]
	v_fma_f64 v[4:5], v[4:5], v[24:25], -v[26:27]
	v_fmac_f64_e32 v[40:41], v[12:13], v[28:29]
	v_fma_f64 v[10:11], v[10:11], v[28:29], -v[30:31]
	v_add_f64_e32 v[6:7], v[36:37], v[8:9]
	v_add_f64_e32 v[8:9], v[38:39], v[46:47]
	s_delay_alu instid0(VALU_DEP_2) | instskip(NEXT) | instid1(VALU_DEP_2)
	v_add_f64_e32 v[4:5], v[6:7], v[4:5]
	v_add_f64_e32 v[2:3], v[8:9], v[2:3]
	v_lshl_add_u64 v[6:7], v[22:23], 4, s[4:5]
	s_delay_alu instid0(VALU_DEP_3) | instskip(NEXT) | instid1(VALU_DEP_3)
	v_add_f64_e32 v[4:5], v[4:5], v[10:11]
	v_add_f64_e32 v[2:3], v[2:3], v[40:41]
	s_wait_loadcnt 0x0
	s_delay_alu instid0(VALU_DEP_2) | instskip(NEXT) | instid1(VALU_DEP_2)
	v_add_f64_e64 v[8:9], v[32:33], -v[4:5]
	v_add_f64_e64 v[10:11], v[34:35], -v[2:3]
	v_lshl_add_u64 v[2:3], v[18:19], 4, s[4:5]
	v_lshl_add_u64 v[4:5], v[20:21], 4, s[4:5]
	scratch_store_b128 off, v[8:11], off
	s_cbranch_vccz .LBB4_52
; %bb.44:
	s_wait_xcnt 0x0
	v_mov_b32_e32 v8, 0
	s_load_b64 s[2:3], s[0:1], 0x4
	v_bfe_u32 v10, v0, 10, 10
	v_bfe_u32 v0, v0, 20, 10
	global_load_b32 v9, v8, s[12:13] offset:12
	s_wait_kmcnt 0x0
	s_lshr_b32 s0, s2, 16
	v_mul_u32_u24_e32 v10, s3, v10
	s_mul_i32 s0, s0, s3
	s_delay_alu instid0(SALU_CYCLE_1) | instskip(NEXT) | instid1(VALU_DEP_1)
	v_mul_u32_u24_e32 v1, s0, v1
	v_add3_u32 v0, v1, v10, v0
	s_delay_alu instid0(VALU_DEP_1)
	v_lshl_add_u32 v0, v0, 4, 0xa8
	s_wait_loadcnt 0x0
	v_cmp_ne_u32_e32 vcc_lo, 4, v9
	s_cbranch_vccz .LBB4_46
; %bb.45:
	v_lshlrev_b32_e32 v1, 4, v9
	s_clause 0x1
	scratch_load_b128 v[10:13], off, s10
	scratch_load_b128 v[18:21], v1, off offset:-16
	s_wait_loadcnt 0x1
	ds_store_2addr_b64 v0, v[10:11], v[12:13] offset1:1
	s_wait_loadcnt 0x0
	s_clause 0x1
	scratch_store_b128 off, v[18:21], s10
	scratch_store_b128 v1, v[10:13], off offset:-16
.LBB4_46:
	global_load_b32 v1, v8, s[12:13] offset:8
	s_wait_loadcnt 0x0
	v_cmp_eq_u32_e32 vcc_lo, 3, v1
	s_cbranch_vccnz .LBB4_48
; %bb.47:
	v_lshlrev_b32_e32 v1, 4, v1
	s_clause 0x1
	scratch_load_b128 v[8:11], off, s8
	scratch_load_b128 v[18:21], v1, off offset:-16
	s_wait_loadcnt 0x1
	ds_store_2addr_b64 v0, v[8:9], v[10:11] offset1:1
	s_wait_loadcnt 0x0
	s_clause 0x1
	scratch_store_b128 off, v[18:21], s8
	scratch_store_b128 v1, v[8:11], off offset:-16
.LBB4_48:
	s_wait_xcnt 0x0
	v_mov_b32_e32 v1, 0
	global_load_b32 v8, v1, s[12:13] offset:4
	s_wait_loadcnt 0x0
	v_cmp_eq_u32_e32 vcc_lo, 2, v8
	s_cbranch_vccnz .LBB4_50
; %bb.49:
	v_lshlrev_b32_e32 v8, 4, v8
	s_delay_alu instid0(VALU_DEP_1)
	v_mov_b32_e32 v12, v8
	s_clause 0x1
	scratch_load_b128 v[8:11], off, s9
	scratch_load_b128 v[18:21], v12, off offset:-16
	s_wait_loadcnt 0x1
	ds_store_2addr_b64 v0, v[8:9], v[10:11] offset1:1
	s_wait_loadcnt 0x0
	s_clause 0x1
	scratch_store_b128 off, v[18:21], s9
	scratch_store_b128 v12, v[8:11], off offset:-16
.LBB4_50:
	global_load_b32 v1, v1, s[12:13]
	s_wait_loadcnt 0x0
	v_cmp_eq_u32_e32 vcc_lo, 1, v1
	s_cbranch_vccnz .LBB4_52
; %bb.51:
	s_wait_xcnt 0x0
	v_lshlrev_b32_e32 v1, 4, v1
	scratch_load_b128 v[8:11], off, off
	scratch_load_b128 v[18:21], v1, off offset:-16
	s_wait_loadcnt 0x1
	ds_store_2addr_b64 v0, v[8:9], v[10:11] offset1:1
	s_wait_loadcnt 0x0
	scratch_store_b128 off, v[18:21], off
	scratch_store_b128 v1, v[8:11], off offset:-16
.LBB4_52:
	scratch_load_b128 v[8:11], off, off
	s_clause 0x3
	scratch_load_b128 v[18:21], off, s9
	scratch_load_b128 v[22:25], off, s8
	;; [unrolled: 1-line block ×4, first 2 shown]
	s_wait_loadcnt 0x4
	global_store_b128 v[14:15], v[8:11], off
	s_wait_loadcnt 0x3
	global_store_b128 v[16:17], v[18:21], off
	;; [unrolled: 2-line block ×5, first 2 shown]
	s_endpgm
	.section	.rodata,"a",@progbits
	.p2align	6, 0x0
	.amdhsa_kernel _ZN9rocsolver6v33100L18getri_kernel_smallILi5E19rocblas_complex_numIdEPS3_EEvT1_iilPiilS6_bb
		.amdhsa_group_segment_fixed_size 1192
		.amdhsa_private_segment_fixed_size 96
		.amdhsa_kernarg_size 60
		.amdhsa_user_sgpr_count 4
		.amdhsa_user_sgpr_dispatch_ptr 1
		.amdhsa_user_sgpr_queue_ptr 0
		.amdhsa_user_sgpr_kernarg_segment_ptr 1
		.amdhsa_user_sgpr_dispatch_id 0
		.amdhsa_user_sgpr_kernarg_preload_length 0
		.amdhsa_user_sgpr_kernarg_preload_offset 0
		.amdhsa_user_sgpr_private_segment_size 0
		.amdhsa_wavefront_size32 1
		.amdhsa_uses_dynamic_stack 0
		.amdhsa_enable_private_segment 1
		.amdhsa_system_sgpr_workgroup_id_x 1
		.amdhsa_system_sgpr_workgroup_id_y 0
		.amdhsa_system_sgpr_workgroup_id_z 0
		.amdhsa_system_sgpr_workgroup_info 0
		.amdhsa_system_vgpr_workitem_id 2
		.amdhsa_next_free_vgpr 50
		.amdhsa_next_free_sgpr 24
		.amdhsa_named_barrier_count 0
		.amdhsa_reserve_vcc 1
		.amdhsa_float_round_mode_32 0
		.amdhsa_float_round_mode_16_64 0
		.amdhsa_float_denorm_mode_32 3
		.amdhsa_float_denorm_mode_16_64 3
		.amdhsa_fp16_overflow 0
		.amdhsa_memory_ordered 1
		.amdhsa_forward_progress 1
		.amdhsa_inst_pref_size 33
		.amdhsa_round_robin_scheduling 0
		.amdhsa_exception_fp_ieee_invalid_op 0
		.amdhsa_exception_fp_denorm_src 0
		.amdhsa_exception_fp_ieee_div_zero 0
		.amdhsa_exception_fp_ieee_overflow 0
		.amdhsa_exception_fp_ieee_underflow 0
		.amdhsa_exception_fp_ieee_inexact 0
		.amdhsa_exception_int_div_zero 0
	.end_amdhsa_kernel
	.section	.text._ZN9rocsolver6v33100L18getri_kernel_smallILi5E19rocblas_complex_numIdEPS3_EEvT1_iilPiilS6_bb,"axG",@progbits,_ZN9rocsolver6v33100L18getri_kernel_smallILi5E19rocblas_complex_numIdEPS3_EEvT1_iilPiilS6_bb,comdat
.Lfunc_end4:
	.size	_ZN9rocsolver6v33100L18getri_kernel_smallILi5E19rocblas_complex_numIdEPS3_EEvT1_iilPiilS6_bb, .Lfunc_end4-_ZN9rocsolver6v33100L18getri_kernel_smallILi5E19rocblas_complex_numIdEPS3_EEvT1_iilPiilS6_bb
                                        ; -- End function
	.set _ZN9rocsolver6v33100L18getri_kernel_smallILi5E19rocblas_complex_numIdEPS3_EEvT1_iilPiilS6_bb.num_vgpr, 50
	.set _ZN9rocsolver6v33100L18getri_kernel_smallILi5E19rocblas_complex_numIdEPS3_EEvT1_iilPiilS6_bb.num_agpr, 0
	.set _ZN9rocsolver6v33100L18getri_kernel_smallILi5E19rocblas_complex_numIdEPS3_EEvT1_iilPiilS6_bb.numbered_sgpr, 24
	.set _ZN9rocsolver6v33100L18getri_kernel_smallILi5E19rocblas_complex_numIdEPS3_EEvT1_iilPiilS6_bb.num_named_barrier, 0
	.set _ZN9rocsolver6v33100L18getri_kernel_smallILi5E19rocblas_complex_numIdEPS3_EEvT1_iilPiilS6_bb.private_seg_size, 96
	.set _ZN9rocsolver6v33100L18getri_kernel_smallILi5E19rocblas_complex_numIdEPS3_EEvT1_iilPiilS6_bb.uses_vcc, 1
	.set _ZN9rocsolver6v33100L18getri_kernel_smallILi5E19rocblas_complex_numIdEPS3_EEvT1_iilPiilS6_bb.uses_flat_scratch, 1
	.set _ZN9rocsolver6v33100L18getri_kernel_smallILi5E19rocblas_complex_numIdEPS3_EEvT1_iilPiilS6_bb.has_dyn_sized_stack, 0
	.set _ZN9rocsolver6v33100L18getri_kernel_smallILi5E19rocblas_complex_numIdEPS3_EEvT1_iilPiilS6_bb.has_recursion, 0
	.set _ZN9rocsolver6v33100L18getri_kernel_smallILi5E19rocblas_complex_numIdEPS3_EEvT1_iilPiilS6_bb.has_indirect_call, 0
	.section	.AMDGPU.csdata,"",@progbits
; Kernel info:
; codeLenInByte = 4152
; TotalNumSgprs: 26
; NumVgprs: 50
; ScratchSize: 96
; MemoryBound: 0
; FloatMode: 240
; IeeeMode: 1
; LDSByteSize: 1192 bytes/workgroup (compile time only)
; SGPRBlocks: 0
; VGPRBlocks: 3
; NumSGPRsForWavesPerEU: 26
; NumVGPRsForWavesPerEU: 50
; NamedBarCnt: 0
; Occupancy: 16
; WaveLimiterHint : 0
; COMPUTE_PGM_RSRC2:SCRATCH_EN: 1
; COMPUTE_PGM_RSRC2:USER_SGPR: 4
; COMPUTE_PGM_RSRC2:TRAP_HANDLER: 0
; COMPUTE_PGM_RSRC2:TGID_X_EN: 1
; COMPUTE_PGM_RSRC2:TGID_Y_EN: 0
; COMPUTE_PGM_RSRC2:TGID_Z_EN: 0
; COMPUTE_PGM_RSRC2:TIDIG_COMP_CNT: 2
	.section	.text._ZN9rocsolver6v33100L18getri_kernel_smallILi6E19rocblas_complex_numIdEPS3_EEvT1_iilPiilS6_bb,"axG",@progbits,_ZN9rocsolver6v33100L18getri_kernel_smallILi6E19rocblas_complex_numIdEPS3_EEvT1_iilPiilS6_bb,comdat
	.globl	_ZN9rocsolver6v33100L18getri_kernel_smallILi6E19rocblas_complex_numIdEPS3_EEvT1_iilPiilS6_bb ; -- Begin function _ZN9rocsolver6v33100L18getri_kernel_smallILi6E19rocblas_complex_numIdEPS3_EEvT1_iilPiilS6_bb
	.p2align	8
	.type	_ZN9rocsolver6v33100L18getri_kernel_smallILi6E19rocblas_complex_numIdEPS3_EEvT1_iilPiilS6_bb,@function
_ZN9rocsolver6v33100L18getri_kernel_smallILi6E19rocblas_complex_numIdEPS3_EEvT1_iilPiilS6_bb: ; @_ZN9rocsolver6v33100L18getri_kernel_smallILi6E19rocblas_complex_numIdEPS3_EEvT1_iilPiilS6_bb
; %bb.0:
	v_and_b32_e32 v1, 0x3ff, v0
	s_mov_b32 s4, exec_lo
	s_delay_alu instid0(VALU_DEP_1)
	v_cmpx_gt_u32_e32 6, v1
	s_cbranch_execz .LBB5_38
; %bb.1:
	s_clause 0x2
	s_load_b32 s8, s[2:3], 0x38
	s_load_b128 s[12:15], s[2:3], 0x10
	s_load_b128 s[4:7], s[2:3], 0x28
	s_getreg_b32 s11, hwreg(HW_REG_IB_STS2, 6, 4)
                                        ; implicit-def: $sgpr16_sgpr17
	s_wait_kmcnt 0x0
	s_bitcmp1_b32 s8, 8
	s_cselect_b32 s20, -1, 0
	s_bfe_u32 s9, ttmp6, 0x4000c
	s_and_b32 s10, ttmp6, 15
	s_add_co_i32 s9, s9, 1
	s_delay_alu instid0(SALU_CYCLE_1) | instskip(NEXT) | instid1(SALU_CYCLE_1)
	s_mul_i32 s9, ttmp9, s9
	s_add_co_i32 s10, s10, s9
	s_cmp_eq_u32 s11, 0
	s_cselect_b32 s18, ttmp9, s10
	s_bfe_u32 s8, s8, 0x10008
	s_ashr_i32 s19, s18, 31
	s_cmp_eq_u32 s8, 0
	s_cbranch_scc1 .LBB5_3
; %bb.2:
	s_load_b32 s8, s[2:3], 0x20
	s_mul_u64 s[4:5], s[4:5], s[18:19]
	s_delay_alu instid0(SALU_CYCLE_1) | instskip(NEXT) | instid1(SALU_CYCLE_1)
	s_lshl_b64 s[4:5], s[4:5], 2
	s_add_nc_u64 s[4:5], s[14:15], s[4:5]
	s_wait_kmcnt 0x0
	s_ashr_i32 s9, s8, 31
	s_delay_alu instid0(SALU_CYCLE_1) | instskip(NEXT) | instid1(SALU_CYCLE_1)
	s_lshl_b64 s[8:9], s[8:9], 2
	s_add_nc_u64 s[16:17], s[4:5], s[8:9]
.LBB5_3:
	s_clause 0x1
	s_load_b128 s[8:11], s[2:3], 0x0
	s_load_b32 s14, s[2:3], 0x38
	s_wait_xcnt 0x0
	s_mul_u64 s[2:3], s[12:13], s[18:19]
	v_dual_mov_b32 v27, 0 :: v_dual_lshlrev_b32 v26, 4, v1
	s_lshl_b64 s[2:3], s[2:3], 4
	s_movk_i32 s12, 0x50
	s_wait_kmcnt 0x0
	s_ashr_i32 s5, s10, 31
	s_mov_b32 s4, s10
	v_add3_u32 v18, s11, s11, v1
	s_add_nc_u64 s[2:3], s[8:9], s[2:3]
	s_lshl_b64 s[4:5], s[4:5], 4
	s_mov_b32 s10, 16
	s_add_nc_u64 s[4:5], s[2:3], s[4:5]
	v_add_nc_u32_e32 v20, s11, v18
	v_add_nc_u64_e32 v[14:15], s[4:5], v[26:27]
	s_ashr_i32 s3, s11, 31
	s_mov_b32 s2, s11
	s_clause 0x1
	global_load_b128 v[2:5], v18, s[4:5] scale_offset
	global_load_b128 v[6:9], v20, s[4:5] scale_offset
	v_add_nc_u32_e32 v22, s11, v20
	s_mov_b32 s8, 32
	s_mov_b32 s9, 48
	v_lshl_add_u64 v[16:17], s[2:3], 4, v[14:15]
	s_mov_b32 s3, -1
	v_add_nc_u32_e32 v24, s11, v22
	s_clause 0x3
	global_load_b128 v[10:13], v1, s[4:5] scale_offset
	global_load_b128 v[28:31], v[16:17], off
	global_load_b128 v[32:35], v22, s[4:5] scale_offset
	global_load_b128 v[36:39], v24, s[4:5] scale_offset
	s_mov_b32 s11, 64
	s_bitcmp0_b32 s14, 0
	s_wait_loadcnt 0x5
	scratch_store_b128 off, v[2:5], off offset:32
	s_wait_loadcnt 0x4
	scratch_store_b128 off, v[6:9], off offset:48
	s_wait_loadcnt 0x3
	scratch_store_b128 off, v[10:13], off
	s_wait_loadcnt 0x2
	scratch_store_b128 off, v[28:31], off offset:16
	s_wait_loadcnt 0x1
	scratch_store_b128 off, v[32:35], off offset:64
	s_wait_loadcnt 0x0
	scratch_store_b128 off, v[36:39], off offset:80
	s_cbranch_scc1 .LBB5_36
; %bb.4:
	v_cmp_eq_u32_e64 s2, 0, v1
	s_wait_xcnt 0x0
	s_and_saveexec_b32 s3, s2
; %bb.5:
	v_mov_b32_e32 v2, 0
	ds_store_b32 v2, v2 offset:192
; %bb.6:
	s_or_b32 exec_lo, exec_lo, s3
	s_wait_storecnt_dscnt 0x0
	s_barrier_signal -1
	s_barrier_wait -1
	scratch_load_b128 v[2:5], v1, off scale_offset
	s_wait_loadcnt 0x0
	v_cmp_eq_f64_e32 vcc_lo, 0, v[2:3]
	v_cmp_eq_f64_e64 s3, 0, v[4:5]
	s_and_b32 s3, vcc_lo, s3
	s_delay_alu instid0(SALU_CYCLE_1)
	s_and_saveexec_b32 s13, s3
	s_cbranch_execz .LBB5_10
; %bb.7:
	v_mov_b32_e32 v2, 0
	s_mov_b32 s14, 0
	ds_load_b32 v3, v2 offset:192
	s_wait_dscnt 0x0
	v_readfirstlane_b32 s3, v3
	v_add_nc_u32_e32 v3, 1, v1
	s_cmp_eq_u32 s3, 0
	s_delay_alu instid0(VALU_DEP_1) | instskip(SKIP_1) | instid1(SALU_CYCLE_1)
	v_cmp_gt_i32_e32 vcc_lo, s3, v3
	s_cselect_b32 s15, -1, 0
	s_or_b32 s15, s15, vcc_lo
	s_delay_alu instid0(SALU_CYCLE_1)
	s_and_b32 exec_lo, exec_lo, s15
	s_cbranch_execz .LBB5_10
; %bb.8:
	v_mov_b32_e32 v4, s3
.LBB5_9:                                ; =>This Inner Loop Header: Depth=1
	ds_cmpstore_rtn_b32 v4, v2, v3, v4 offset:192
	s_wait_dscnt 0x0
	v_cmp_ne_u32_e32 vcc_lo, 0, v4
	v_cmp_le_i32_e64 s3, v4, v3
	s_and_b32 s3, vcc_lo, s3
	s_delay_alu instid0(SALU_CYCLE_1) | instskip(NEXT) | instid1(SALU_CYCLE_1)
	s_and_b32 s3, exec_lo, s3
	s_or_b32 s14, s3, s14
	s_delay_alu instid0(SALU_CYCLE_1)
	s_and_not1_b32 exec_lo, exec_lo, s14
	s_cbranch_execnz .LBB5_9
.LBB5_10:
	s_or_b32 exec_lo, exec_lo, s13
	v_mov_b32_e32 v2, 0
	s_barrier_signal -1
	s_barrier_wait -1
	ds_load_b32 v3, v2 offset:192
	s_and_saveexec_b32 s3, s2
	s_cbranch_execz .LBB5_12
; %bb.11:
	s_lshl_b64 s[14:15], s[18:19], 2
	s_delay_alu instid0(SALU_CYCLE_1)
	s_add_nc_u64 s[14:15], s[6:7], s[14:15]
	s_wait_dscnt 0x0
	global_store_b32 v2, v3, s[14:15]
.LBB5_12:
	s_wait_xcnt 0x0
	s_or_b32 exec_lo, exec_lo, s3
	s_wait_dscnt 0x0
	v_cmp_ne_u32_e32 vcc_lo, 0, v3
	s_mov_b32 s3, 0
	s_cbranch_vccnz .LBB5_36
; %bb.13:
	v_lshl_add_u32 v19, v1, 4, 0
                                        ; implicit-def: $vgpr6_vgpr7
                                        ; implicit-def: $vgpr10_vgpr11
	scratch_load_b128 v[2:5], v19, off
	s_wait_loadcnt 0x0
	v_cmp_ngt_f64_e64 s3, |v[2:3]|, |v[4:5]|
	s_wait_xcnt 0x0
	s_and_saveexec_b32 s13, s3
	s_delay_alu instid0(SALU_CYCLE_1)
	s_xor_b32 s3, exec_lo, s13
	s_cbranch_execz .LBB5_15
; %bb.14:
	v_div_scale_f64 v[6:7], null, v[4:5], v[4:5], v[2:3]
	v_div_scale_f64 v[12:13], vcc_lo, v[2:3], v[4:5], v[2:3]
	s_delay_alu instid0(VALU_DEP_2) | instskip(SKIP_1) | instid1(TRANS32_DEP_1)
	v_rcp_f64_e32 v[8:9], v[6:7]
	v_nop
	v_fma_f64 v[10:11], -v[6:7], v[8:9], 1.0
	s_delay_alu instid0(VALU_DEP_1) | instskip(NEXT) | instid1(VALU_DEP_1)
	v_fmac_f64_e32 v[8:9], v[8:9], v[10:11]
	v_fma_f64 v[10:11], -v[6:7], v[8:9], 1.0
	s_delay_alu instid0(VALU_DEP_1) | instskip(NEXT) | instid1(VALU_DEP_1)
	v_fmac_f64_e32 v[8:9], v[8:9], v[10:11]
	v_mul_f64_e32 v[10:11], v[12:13], v[8:9]
	s_delay_alu instid0(VALU_DEP_1) | instskip(NEXT) | instid1(VALU_DEP_1)
	v_fma_f64 v[6:7], -v[6:7], v[10:11], v[12:13]
	v_div_fmas_f64 v[6:7], v[6:7], v[8:9], v[10:11]
	s_delay_alu instid0(VALU_DEP_1) | instskip(NEXT) | instid1(VALU_DEP_1)
	v_div_fixup_f64 v[6:7], v[6:7], v[4:5], v[2:3]
	v_fmac_f64_e32 v[4:5], v[2:3], v[6:7]
	s_delay_alu instid0(VALU_DEP_1) | instskip(SKIP_1) | instid1(VALU_DEP_2)
	v_div_scale_f64 v[2:3], null, v[4:5], v[4:5], 1.0
	v_div_scale_f64 v[12:13], vcc_lo, 1.0, v[4:5], 1.0
	v_rcp_f64_e32 v[8:9], v[2:3]
	v_nop
	s_delay_alu instid0(TRANS32_DEP_1) | instskip(NEXT) | instid1(VALU_DEP_1)
	v_fma_f64 v[10:11], -v[2:3], v[8:9], 1.0
	v_fmac_f64_e32 v[8:9], v[8:9], v[10:11]
	s_delay_alu instid0(VALU_DEP_1) | instskip(NEXT) | instid1(VALU_DEP_1)
	v_fma_f64 v[10:11], -v[2:3], v[8:9], 1.0
	v_fmac_f64_e32 v[8:9], v[8:9], v[10:11]
	s_delay_alu instid0(VALU_DEP_1) | instskip(NEXT) | instid1(VALU_DEP_1)
	v_mul_f64_e32 v[10:11], v[12:13], v[8:9]
	v_fma_f64 v[2:3], -v[2:3], v[10:11], v[12:13]
	s_delay_alu instid0(VALU_DEP_1) | instskip(NEXT) | instid1(VALU_DEP_1)
	v_div_fmas_f64 v[2:3], v[2:3], v[8:9], v[10:11]
	v_div_fixup_f64 v[8:9], v[2:3], v[4:5], 1.0
                                        ; implicit-def: $vgpr2_vgpr3
	s_delay_alu instid0(VALU_DEP_1) | instskip(SKIP_1) | instid1(VALU_DEP_2)
	v_mul_f64_e32 v[6:7], v[6:7], v[8:9]
	v_xor_b32_e32 v9, 0x80000000, v9
	v_xor_b32_e32 v11, 0x80000000, v7
	s_delay_alu instid0(VALU_DEP_3)
	v_mov_b32_e32 v10, v6
.LBB5_15:
	s_and_not1_saveexec_b32 s3, s3
	s_cbranch_execz .LBB5_17
; %bb.16:
	v_div_scale_f64 v[6:7], null, v[2:3], v[2:3], v[4:5]
	v_div_scale_f64 v[12:13], vcc_lo, v[4:5], v[2:3], v[4:5]
	s_delay_alu instid0(VALU_DEP_2) | instskip(SKIP_1) | instid1(TRANS32_DEP_1)
	v_rcp_f64_e32 v[8:9], v[6:7]
	v_nop
	v_fma_f64 v[10:11], -v[6:7], v[8:9], 1.0
	s_delay_alu instid0(VALU_DEP_1) | instskip(NEXT) | instid1(VALU_DEP_1)
	v_fmac_f64_e32 v[8:9], v[8:9], v[10:11]
	v_fma_f64 v[10:11], -v[6:7], v[8:9], 1.0
	s_delay_alu instid0(VALU_DEP_1) | instskip(NEXT) | instid1(VALU_DEP_1)
	v_fmac_f64_e32 v[8:9], v[8:9], v[10:11]
	v_mul_f64_e32 v[10:11], v[12:13], v[8:9]
	s_delay_alu instid0(VALU_DEP_1) | instskip(NEXT) | instid1(VALU_DEP_1)
	v_fma_f64 v[6:7], -v[6:7], v[10:11], v[12:13]
	v_div_fmas_f64 v[6:7], v[6:7], v[8:9], v[10:11]
	s_delay_alu instid0(VALU_DEP_1) | instskip(NEXT) | instid1(VALU_DEP_1)
	v_div_fixup_f64 v[8:9], v[6:7], v[2:3], v[4:5]
	v_fmac_f64_e32 v[2:3], v[4:5], v[8:9]
	s_delay_alu instid0(VALU_DEP_1) | instskip(NEXT) | instid1(VALU_DEP_1)
	v_div_scale_f64 v[4:5], null, v[2:3], v[2:3], 1.0
	v_rcp_f64_e32 v[6:7], v[4:5]
	v_nop
	s_delay_alu instid0(TRANS32_DEP_1) | instskip(NEXT) | instid1(VALU_DEP_1)
	v_fma_f64 v[10:11], -v[4:5], v[6:7], 1.0
	v_fmac_f64_e32 v[6:7], v[6:7], v[10:11]
	s_delay_alu instid0(VALU_DEP_1) | instskip(NEXT) | instid1(VALU_DEP_1)
	v_fma_f64 v[10:11], -v[4:5], v[6:7], 1.0
	v_fmac_f64_e32 v[6:7], v[6:7], v[10:11]
	v_div_scale_f64 v[10:11], vcc_lo, 1.0, v[2:3], 1.0
	s_delay_alu instid0(VALU_DEP_1) | instskip(NEXT) | instid1(VALU_DEP_1)
	v_mul_f64_e32 v[12:13], v[10:11], v[6:7]
	v_fma_f64 v[4:5], -v[4:5], v[12:13], v[10:11]
	s_delay_alu instid0(VALU_DEP_1) | instskip(NEXT) | instid1(VALU_DEP_1)
	v_div_fmas_f64 v[4:5], v[4:5], v[6:7], v[12:13]
	v_div_fixup_f64 v[6:7], v[4:5], v[2:3], 1.0
	s_delay_alu instid0(VALU_DEP_1)
	v_mul_f64_e64 v[8:9], v[8:9], -v[6:7]
	v_xor_b32_e32 v11, 0x80000000, v7
	v_mov_b32_e32 v10, v6
.LBB5_17:
	s_or_b32 exec_lo, exec_lo, s3
	s_clause 0x1
	scratch_store_b128 v19, v[6:9], off
	scratch_load_b128 v[2:5], off, s10
	v_xor_b32_e32 v13, 0x80000000, v9
	v_mov_b32_e32 v12, v8
	s_wait_xcnt 0x1
	v_add_nc_u32_e32 v6, 0x60, v26
	ds_store_b128 v26, v[10:13]
	s_wait_loadcnt 0x0
	ds_store_b128 v26, v[2:5] offset:96
	s_wait_storecnt_dscnt 0x0
	s_barrier_signal -1
	s_barrier_wait -1
	s_wait_xcnt 0x0
	s_and_saveexec_b32 s3, s2
	s_cbranch_execz .LBB5_19
; %bb.18:
	scratch_load_b128 v[2:5], v19, off
	ds_load_b128 v[8:11], v6
	v_mov_b32_e32 v7, 0
	ds_load_b128 v[28:31], v7 offset:16
	s_wait_loadcnt_dscnt 0x1
	v_mul_f64_e32 v[12:13], v[8:9], v[4:5]
	v_mul_f64_e32 v[4:5], v[10:11], v[4:5]
	s_delay_alu instid0(VALU_DEP_2) | instskip(NEXT) | instid1(VALU_DEP_2)
	v_fmac_f64_e32 v[12:13], v[10:11], v[2:3]
	v_fma_f64 v[2:3], v[8:9], v[2:3], -v[4:5]
	s_delay_alu instid0(VALU_DEP_2) | instskip(NEXT) | instid1(VALU_DEP_2)
	v_add_f64_e32 v[8:9], 0, v[12:13]
	v_add_f64_e32 v[2:3], 0, v[2:3]
	s_wait_dscnt 0x0
	s_delay_alu instid0(VALU_DEP_2) | instskip(NEXT) | instid1(VALU_DEP_2)
	v_mul_f64_e32 v[10:11], v[8:9], v[30:31]
	v_mul_f64_e32 v[4:5], v[2:3], v[30:31]
	s_delay_alu instid0(VALU_DEP_2) | instskip(NEXT) | instid1(VALU_DEP_2)
	v_fma_f64 v[2:3], v[2:3], v[28:29], -v[10:11]
	v_fmac_f64_e32 v[4:5], v[8:9], v[28:29]
	scratch_store_b128 off, v[2:5], off offset:16
.LBB5_19:
	s_wait_xcnt 0x0
	s_or_b32 exec_lo, exec_lo, s3
	s_wait_storecnt 0x0
	s_barrier_signal -1
	s_barrier_wait -1
	scratch_load_b128 v[2:5], off, s8
	s_mov_b32 s3, exec_lo
	s_wait_loadcnt 0x0
	ds_store_b128 v6, v[2:5]
	s_wait_dscnt 0x0
	s_barrier_signal -1
	s_barrier_wait -1
	v_cmpx_gt_u32_e32 2, v1
	s_cbranch_execz .LBB5_23
; %bb.20:
	scratch_load_b128 v[2:5], v19, off
	ds_load_b128 v[8:11], v6
	s_wait_loadcnt_dscnt 0x0
	v_mul_f64_e32 v[12:13], v[10:11], v[4:5]
	v_mul_f64_e32 v[28:29], v[8:9], v[4:5]
	s_delay_alu instid0(VALU_DEP_2) | instskip(NEXT) | instid1(VALU_DEP_2)
	v_fma_f64 v[4:5], v[8:9], v[2:3], -v[12:13]
	v_fmac_f64_e32 v[28:29], v[10:11], v[2:3]
	s_delay_alu instid0(VALU_DEP_2) | instskip(NEXT) | instid1(VALU_DEP_2)
	v_add_f64_e32 v[4:5], 0, v[4:5]
	v_add_f64_e32 v[2:3], 0, v[28:29]
	s_and_saveexec_b32 s13, s2
	s_cbranch_execz .LBB5_22
; %bb.21:
	scratch_load_b128 v[8:11], off, off offset:16
	v_mov_b32_e32 v7, 0
	ds_load_b128 v[28:31], v7 offset:112
	s_wait_loadcnt_dscnt 0x0
	v_mul_f64_e32 v[12:13], v[28:29], v[10:11]
	v_mul_f64_e32 v[10:11], v[30:31], v[10:11]
	s_delay_alu instid0(VALU_DEP_2) | instskip(NEXT) | instid1(VALU_DEP_2)
	v_fmac_f64_e32 v[12:13], v[30:31], v[8:9]
	v_fma_f64 v[8:9], v[28:29], v[8:9], -v[10:11]
	s_delay_alu instid0(VALU_DEP_2) | instskip(NEXT) | instid1(VALU_DEP_2)
	v_add_f64_e32 v[2:3], v[2:3], v[12:13]
	v_add_f64_e32 v[4:5], v[4:5], v[8:9]
.LBB5_22:
	s_or_b32 exec_lo, exec_lo, s13
	v_mov_b32_e32 v7, 0
	ds_load_b128 v[8:11], v7 offset:32
	s_wait_dscnt 0x0
	v_mul_f64_e32 v[28:29], v[2:3], v[10:11]
	v_mul_f64_e32 v[12:13], v[4:5], v[10:11]
	s_delay_alu instid0(VALU_DEP_2) | instskip(NEXT) | instid1(VALU_DEP_2)
	v_fma_f64 v[10:11], v[4:5], v[8:9], -v[28:29]
	v_fmac_f64_e32 v[12:13], v[2:3], v[8:9]
	scratch_store_b128 off, v[10:13], off offset:32
.LBB5_23:
	s_wait_xcnt 0x0
	s_or_b32 exec_lo, exec_lo, s3
	s_wait_storecnt 0x0
	s_barrier_signal -1
	s_barrier_wait -1
	scratch_load_b128 v[2:5], off, s9
	v_add_nc_u32_e32 v7, -1, v1
	s_mov_b32 s2, exec_lo
	s_wait_loadcnt 0x0
	ds_store_b128 v6, v[2:5]
	s_wait_dscnt 0x0
	s_barrier_signal -1
	s_barrier_wait -1
	v_cmpx_gt_u32_e32 3, v1
	s_cbranch_execz .LBB5_27
; %bb.24:
	v_dual_mov_b32 v10, v26 :: v_dual_add_nc_u32 v8, -1, v1
	v_mov_b64_e32 v[2:3], 0
	v_mov_b64_e32 v[4:5], 0
	v_add_nc_u32_e32 v9, 0x60, v26
	s_delay_alu instid0(VALU_DEP_4)
	v_or_b32_e32 v10, 8, v10
	s_mov_b32 s3, 0
.LBB5_25:                               ; =>This Inner Loop Header: Depth=1
	scratch_load_b128 v[28:31], v10, off offset:-8
	ds_load_b128 v[32:35], v9
	v_dual_add_nc_u32 v8, 1, v8 :: v_dual_add_nc_u32 v9, 16, v9
	s_wait_xcnt 0x0
	v_add_nc_u32_e32 v10, 16, v10
	s_delay_alu instid0(VALU_DEP_2) | instskip(SKIP_4) | instid1(VALU_DEP_2)
	v_cmp_lt_u32_e32 vcc_lo, 1, v8
	s_or_b32 s3, vcc_lo, s3
	s_wait_loadcnt_dscnt 0x0
	v_mul_f64_e32 v[12:13], v[34:35], v[30:31]
	v_mul_f64_e32 v[30:31], v[32:33], v[30:31]
	v_fma_f64 v[12:13], v[32:33], v[28:29], -v[12:13]
	s_delay_alu instid0(VALU_DEP_2) | instskip(NEXT) | instid1(VALU_DEP_2)
	v_fmac_f64_e32 v[30:31], v[34:35], v[28:29]
	v_add_f64_e32 v[4:5], v[4:5], v[12:13]
	s_delay_alu instid0(VALU_DEP_2)
	v_add_f64_e32 v[2:3], v[2:3], v[30:31]
	s_and_not1_b32 exec_lo, exec_lo, s3
	s_cbranch_execnz .LBB5_25
; %bb.26:
	s_or_b32 exec_lo, exec_lo, s3
	v_mov_b32_e32 v8, 0
	ds_load_b128 v[8:11], v8 offset:48
	s_wait_dscnt 0x0
	v_mul_f64_e32 v[28:29], v[2:3], v[10:11]
	v_mul_f64_e32 v[12:13], v[4:5], v[10:11]
	s_delay_alu instid0(VALU_DEP_2) | instskip(NEXT) | instid1(VALU_DEP_2)
	v_fma_f64 v[10:11], v[4:5], v[8:9], -v[28:29]
	v_fmac_f64_e32 v[12:13], v[2:3], v[8:9]
	scratch_store_b128 off, v[10:13], off offset:48
.LBB5_27:
	s_wait_xcnt 0x0
	s_or_b32 exec_lo, exec_lo, s2
	s_wait_storecnt 0x0
	s_barrier_signal -1
	s_barrier_wait -1
	scratch_load_b128 v[2:5], off, s11
	s_mov_b32 s2, exec_lo
	s_wait_loadcnt 0x0
	ds_store_b128 v6, v[2:5]
	s_wait_dscnt 0x0
	s_barrier_signal -1
	s_barrier_wait -1
	v_cmpx_gt_u32_e32 4, v1
	s_cbranch_execz .LBB5_31
; %bb.28:
	v_dual_mov_b32 v10, v26 :: v_dual_add_nc_u32 v8, -1, v1
	v_mov_b64_e32 v[2:3], 0
	v_mov_b64_e32 v[4:5], 0
	v_add_nc_u32_e32 v9, 0x60, v26
	s_delay_alu instid0(VALU_DEP_4)
	v_or_b32_e32 v10, 8, v10
	s_mov_b32 s3, 0
.LBB5_29:                               ; =>This Inner Loop Header: Depth=1
	scratch_load_b128 v[28:31], v10, off offset:-8
	ds_load_b128 v[32:35], v9
	v_dual_add_nc_u32 v8, 1, v8 :: v_dual_add_nc_u32 v9, 16, v9
	s_wait_xcnt 0x0
	v_add_nc_u32_e32 v10, 16, v10
	s_delay_alu instid0(VALU_DEP_2) | instskip(SKIP_4) | instid1(VALU_DEP_2)
	v_cmp_lt_u32_e32 vcc_lo, 2, v8
	s_or_b32 s3, vcc_lo, s3
	s_wait_loadcnt_dscnt 0x0
	v_mul_f64_e32 v[12:13], v[34:35], v[30:31]
	v_mul_f64_e32 v[30:31], v[32:33], v[30:31]
	v_fma_f64 v[12:13], v[32:33], v[28:29], -v[12:13]
	s_delay_alu instid0(VALU_DEP_2) | instskip(NEXT) | instid1(VALU_DEP_2)
	v_fmac_f64_e32 v[30:31], v[34:35], v[28:29]
	v_add_f64_e32 v[4:5], v[4:5], v[12:13]
	s_delay_alu instid0(VALU_DEP_2)
	v_add_f64_e32 v[2:3], v[2:3], v[30:31]
	s_and_not1_b32 exec_lo, exec_lo, s3
	s_cbranch_execnz .LBB5_29
; %bb.30:
	s_or_b32 exec_lo, exec_lo, s3
	v_mov_b32_e32 v8, 0
	ds_load_b128 v[8:11], v8 offset:64
	s_wait_dscnt 0x0
	v_mul_f64_e32 v[28:29], v[2:3], v[10:11]
	v_mul_f64_e32 v[12:13], v[4:5], v[10:11]
	s_delay_alu instid0(VALU_DEP_2) | instskip(NEXT) | instid1(VALU_DEP_2)
	v_fma_f64 v[10:11], v[4:5], v[8:9], -v[28:29]
	v_fmac_f64_e32 v[12:13], v[2:3], v[8:9]
	scratch_store_b128 off, v[10:13], off offset:64
.LBB5_31:
	s_wait_xcnt 0x0
	s_or_b32 exec_lo, exec_lo, s2
	s_wait_storecnt 0x0
	s_barrier_signal -1
	s_barrier_wait -1
	scratch_load_b128 v[2:5], off, s12
	s_mov_b32 s2, exec_lo
	s_wait_loadcnt 0x0
	ds_store_b128 v6, v[2:5]
	s_wait_dscnt 0x0
	s_barrier_signal -1
	s_barrier_wait -1
	v_cmpx_ne_u32_e32 5, v1
	s_cbranch_execz .LBB5_35
; %bb.32:
	v_mov_b32_e32 v8, v26
	v_mov_b64_e32 v[2:3], 0
	v_mov_b64_e32 v[4:5], 0
	s_mov_b32 s3, 0
	s_delay_alu instid0(VALU_DEP_3)
	v_or_b32_e32 v8, 8, v8
.LBB5_33:                               ; =>This Inner Loop Header: Depth=1
	scratch_load_b128 v[10:13], v8, off offset:-8
	ds_load_b128 v[26:29], v6
	v_dual_add_nc_u32 v7, 1, v7 :: v_dual_add_nc_u32 v6, 16, v6
	s_wait_xcnt 0x0
	v_add_nc_u32_e32 v8, 16, v8
	s_delay_alu instid0(VALU_DEP_2) | instskip(SKIP_4) | instid1(VALU_DEP_2)
	v_cmp_lt_u32_e32 vcc_lo, 3, v7
	s_or_b32 s3, vcc_lo, s3
	s_wait_loadcnt_dscnt 0x0
	v_mul_f64_e32 v[30:31], v[28:29], v[12:13]
	v_mul_f64_e32 v[12:13], v[26:27], v[12:13]
	v_fma_f64 v[26:27], v[26:27], v[10:11], -v[30:31]
	s_delay_alu instid0(VALU_DEP_2) | instskip(NEXT) | instid1(VALU_DEP_2)
	v_fmac_f64_e32 v[12:13], v[28:29], v[10:11]
	v_add_f64_e32 v[4:5], v[4:5], v[26:27]
	s_delay_alu instid0(VALU_DEP_2)
	v_add_f64_e32 v[2:3], v[2:3], v[12:13]
	s_and_not1_b32 exec_lo, exec_lo, s3
	s_cbranch_execnz .LBB5_33
; %bb.34:
	s_or_b32 exec_lo, exec_lo, s3
	v_mov_b32_e32 v6, 0
	ds_load_b128 v[6:9], v6 offset:80
	s_wait_dscnt 0x0
	v_mul_f64_e32 v[12:13], v[2:3], v[8:9]
	v_mul_f64_e32 v[10:11], v[4:5], v[8:9]
	s_delay_alu instid0(VALU_DEP_2) | instskip(NEXT) | instid1(VALU_DEP_2)
	v_fma_f64 v[8:9], v[4:5], v[6:7], -v[12:13]
	v_fmac_f64_e32 v[10:11], v[2:3], v[6:7]
	scratch_store_b128 off, v[8:11], off offset:80
.LBB5_35:
	s_wait_xcnt 0x0
	s_or_b32 exec_lo, exec_lo, s2
	s_mov_b32 s3, -1
	s_wait_storecnt 0x0
	s_barrier_signal -1
	s_barrier_wait -1
.LBB5_36:
	s_and_b32 vcc_lo, exec_lo, s3
	s_cbranch_vccz .LBB5_38
; %bb.37:
	s_wait_xcnt 0x5
	v_mov_b32_e32 v2, 0
	s_lshl_b64 s[2:3], s[18:19], 2
	s_delay_alu instid0(SALU_CYCLE_1)
	s_add_nc_u64 s[2:3], s[6:7], s[2:3]
	global_load_b32 v2, v2, s[2:3]
	s_wait_loadcnt 0x0
	v_cmp_ne_u32_e32 vcc_lo, 0, v2
	s_cbranch_vccz .LBB5_39
.LBB5_38:
	s_endpgm
.LBB5_39:
	s_wait_xcnt 0x5
	v_lshl_add_u32 v6, v1, 4, 0x60
	s_wait_xcnt 0x0
	s_mov_b32 s2, exec_lo
	v_cmpx_eq_u32_e32 5, v1
	s_cbranch_execz .LBB5_41
; %bb.40:
	scratch_load_b128 v[2:5], off, s11
	v_mov_b32_e32 v8, 0
	s_delay_alu instid0(VALU_DEP_1)
	v_dual_mov_b32 v9, v8 :: v_dual_mov_b32 v10, v8
	v_mov_b32_e32 v11, v8
	scratch_store_b128 off, v[8:11], off offset:64
	s_wait_loadcnt 0x0
	ds_store_b128 v6, v[2:5]
.LBB5_41:
	s_wait_xcnt 0x0
	s_or_b32 exec_lo, exec_lo, s2
	s_wait_storecnt_dscnt 0x0
	s_barrier_signal -1
	s_barrier_wait -1
	s_clause 0x1
	scratch_load_b128 v[8:11], off, off offset:80
	scratch_load_b128 v[26:29], off, off offset:64
	v_mov_b32_e32 v2, 0
	s_mov_b32 s2, exec_lo
	ds_load_b128 v[30:33], v2 offset:176
	s_wait_loadcnt_dscnt 0x100
	v_mul_f64_e32 v[4:5], v[32:33], v[10:11]
	v_mul_f64_e32 v[10:11], v[30:31], v[10:11]
	s_delay_alu instid0(VALU_DEP_2) | instskip(NEXT) | instid1(VALU_DEP_2)
	v_fma_f64 v[4:5], v[30:31], v[8:9], -v[4:5]
	v_fmac_f64_e32 v[10:11], v[32:33], v[8:9]
	s_delay_alu instid0(VALU_DEP_2) | instskip(NEXT) | instid1(VALU_DEP_2)
	v_add_f64_e32 v[4:5], 0, v[4:5]
	v_add_f64_e32 v[10:11], 0, v[10:11]
	s_wait_loadcnt 0x0
	s_delay_alu instid0(VALU_DEP_2) | instskip(NEXT) | instid1(VALU_DEP_2)
	v_add_f64_e64 v[8:9], v[26:27], -v[4:5]
	v_add_f64_e64 v[10:11], v[28:29], -v[10:11]
	scratch_store_b128 off, v[8:11], off offset:64
	s_wait_xcnt 0x0
	v_cmpx_lt_u32_e32 3, v1
	s_cbranch_execz .LBB5_43
; %bb.42:
	scratch_load_b128 v[8:11], off, s9
	v_dual_mov_b32 v3, v2 :: v_dual_mov_b32 v4, v2
	v_mov_b32_e32 v5, v2
	scratch_store_b128 off, v[2:5], off offset:48
	s_wait_loadcnt 0x0
	ds_store_b128 v6, v[8:11]
.LBB5_43:
	s_wait_xcnt 0x0
	s_or_b32 exec_lo, exec_lo, s2
	s_wait_storecnt_dscnt 0x0
	s_barrier_signal -1
	s_barrier_wait -1
	s_clause 0x2
	scratch_load_b128 v[8:11], off, off offset:64
	scratch_load_b128 v[26:29], off, off offset:80
	;; [unrolled: 1-line block ×3, first 2 shown]
	ds_load_b128 v[34:37], v2 offset:160
	ds_load_b128 v[2:5], v2 offset:176
	s_mov_b32 s2, exec_lo
	s_wait_loadcnt_dscnt 0x201
	v_mul_f64_e32 v[12:13], v[36:37], v[10:11]
	v_mul_f64_e32 v[10:11], v[34:35], v[10:11]
	s_wait_loadcnt_dscnt 0x100
	v_mul_f64_e32 v[38:39], v[2:3], v[28:29]
	v_mul_f64_e32 v[28:29], v[4:5], v[28:29]
	s_delay_alu instid0(VALU_DEP_4) | instskip(NEXT) | instid1(VALU_DEP_4)
	v_fma_f64 v[12:13], v[34:35], v[8:9], -v[12:13]
	v_fmac_f64_e32 v[10:11], v[36:37], v[8:9]
	s_delay_alu instid0(VALU_DEP_4) | instskip(NEXT) | instid1(VALU_DEP_4)
	v_fmac_f64_e32 v[38:39], v[4:5], v[26:27]
	v_fma_f64 v[2:3], v[2:3], v[26:27], -v[28:29]
	s_delay_alu instid0(VALU_DEP_4) | instskip(NEXT) | instid1(VALU_DEP_4)
	v_add_f64_e32 v[4:5], 0, v[12:13]
	v_add_f64_e32 v[8:9], 0, v[10:11]
	s_delay_alu instid0(VALU_DEP_2) | instskip(NEXT) | instid1(VALU_DEP_2)
	v_add_f64_e32 v[2:3], v[4:5], v[2:3]
	v_add_f64_e32 v[4:5], v[8:9], v[38:39]
	s_wait_loadcnt 0x0
	s_delay_alu instid0(VALU_DEP_2) | instskip(NEXT) | instid1(VALU_DEP_2)
	v_add_f64_e64 v[2:3], v[30:31], -v[2:3]
	v_add_f64_e64 v[4:5], v[32:33], -v[4:5]
	scratch_store_b128 off, v[2:5], off offset:48
	s_wait_xcnt 0x0
	v_cmpx_lt_u32_e32 2, v1
	s_cbranch_execz .LBB5_45
; %bb.44:
	scratch_load_b128 v[2:5], off, s8
	v_mov_b32_e32 v8, 0
	s_delay_alu instid0(VALU_DEP_1)
	v_dual_mov_b32 v9, v8 :: v_dual_mov_b32 v10, v8
	v_mov_b32_e32 v11, v8
	scratch_store_b128 off, v[8:11], off offset:32
	s_wait_loadcnt 0x0
	ds_store_b128 v6, v[2:5]
.LBB5_45:
	s_wait_xcnt 0x0
	s_or_b32 exec_lo, exec_lo, s2
	s_wait_storecnt_dscnt 0x0
	s_barrier_signal -1
	s_barrier_wait -1
	s_clause 0x3
	scratch_load_b128 v[8:11], off, off offset:48
	scratch_load_b128 v[26:29], off, off offset:64
	;; [unrolled: 1-line block ×4, first 2 shown]
	v_mov_b32_e32 v2, 0
	ds_load_b128 v[38:41], v2 offset:144
	ds_load_b128 v[42:45], v2 offset:160
	s_mov_b32 s2, exec_lo
	v_dual_ashrrev_i32 v21, 31, v20 :: v_dual_ashrrev_i32 v19, 31, v18
	v_dual_ashrrev_i32 v23, 31, v22 :: v_dual_ashrrev_i32 v25, 31, v24
	s_wait_loadcnt_dscnt 0x301
	v_mul_f64_e32 v[4:5], v[40:41], v[10:11]
	v_mul_f64_e32 v[12:13], v[38:39], v[10:11]
	s_wait_loadcnt_dscnt 0x200
	v_mul_f64_e32 v[46:47], v[42:43], v[28:29]
	v_mul_f64_e32 v[28:29], v[44:45], v[28:29]
	s_delay_alu instid0(VALU_DEP_4) | instskip(NEXT) | instid1(VALU_DEP_4)
	v_fma_f64 v[4:5], v[38:39], v[8:9], -v[4:5]
	v_fmac_f64_e32 v[12:13], v[40:41], v[8:9]
	ds_load_b128 v[8:11], v2 offset:176
	v_fmac_f64_e32 v[46:47], v[44:45], v[26:27]
	v_fma_f64 v[26:27], v[42:43], v[26:27], -v[28:29]
	s_wait_loadcnt_dscnt 0x100
	v_mul_f64_e32 v[38:39], v[8:9], v[32:33]
	v_mul_f64_e32 v[32:33], v[10:11], v[32:33]
	v_add_f64_e32 v[4:5], 0, v[4:5]
	v_add_f64_e32 v[12:13], 0, v[12:13]
	s_delay_alu instid0(VALU_DEP_4) | instskip(NEXT) | instid1(VALU_DEP_4)
	v_fmac_f64_e32 v[38:39], v[10:11], v[30:31]
	v_fma_f64 v[8:9], v[8:9], v[30:31], -v[32:33]
	s_delay_alu instid0(VALU_DEP_4) | instskip(NEXT) | instid1(VALU_DEP_4)
	v_add_f64_e32 v[4:5], v[4:5], v[26:27]
	v_add_f64_e32 v[10:11], v[12:13], v[46:47]
	s_delay_alu instid0(VALU_DEP_2) | instskip(NEXT) | instid1(VALU_DEP_2)
	v_add_f64_e32 v[4:5], v[4:5], v[8:9]
	v_add_f64_e32 v[10:11], v[10:11], v[38:39]
	s_wait_loadcnt 0x0
	s_delay_alu instid0(VALU_DEP_2) | instskip(NEXT) | instid1(VALU_DEP_2)
	v_add_f64_e64 v[8:9], v[34:35], -v[4:5]
	v_add_f64_e64 v[10:11], v[36:37], -v[10:11]
	scratch_store_b128 off, v[8:11], off offset:32
	s_wait_xcnt 0x0
	v_cmpx_lt_u32_e32 1, v1
	s_cbranch_execz .LBB5_47
; %bb.46:
	scratch_load_b128 v[8:11], off, s10
	v_dual_mov_b32 v3, v2 :: v_dual_mov_b32 v4, v2
	v_mov_b32_e32 v5, v2
	scratch_store_b128 off, v[2:5], off offset:16
	s_wait_loadcnt 0x0
	ds_store_b128 v6, v[8:11]
.LBB5_47:
	s_wait_xcnt 0x0
	s_or_b32 exec_lo, exec_lo, s2
	s_wait_storecnt_dscnt 0x0
	s_barrier_signal -1
	s_barrier_wait -1
	s_clause 0x4
	scratch_load_b128 v[8:11], off, off offset:32
	scratch_load_b128 v[26:29], off, off offset:48
	;; [unrolled: 1-line block ×5, first 2 shown]
	ds_load_b128 v[42:45], v2 offset:128
	ds_load_b128 v[46:49], v2 offset:144
	s_mov_b32 s2, exec_lo
	s_wait_loadcnt_dscnt 0x401
	v_mul_f64_e32 v[4:5], v[44:45], v[10:11]
	v_mul_f64_e32 v[12:13], v[42:43], v[10:11]
	s_wait_loadcnt_dscnt 0x300
	v_mul_f64_e32 v[50:51], v[46:47], v[28:29]
	v_mul_f64_e32 v[28:29], v[48:49], v[28:29]
	s_delay_alu instid0(VALU_DEP_4) | instskip(NEXT) | instid1(VALU_DEP_4)
	v_fma_f64 v[42:43], v[42:43], v[8:9], -v[4:5]
	v_fmac_f64_e32 v[12:13], v[44:45], v[8:9]
	ds_load_b128 v[8:11], v2 offset:160
	ds_load_b128 v[2:5], v2 offset:176
	v_fmac_f64_e32 v[50:51], v[48:49], v[26:27]
	v_fma_f64 v[26:27], v[46:47], v[26:27], -v[28:29]
	s_wait_loadcnt_dscnt 0x201
	v_mul_f64_e32 v[44:45], v[8:9], v[32:33]
	v_mul_f64_e32 v[32:33], v[10:11], v[32:33]
	v_add_f64_e32 v[28:29], 0, v[42:43]
	v_add_f64_e32 v[12:13], 0, v[12:13]
	s_wait_loadcnt_dscnt 0x100
	v_mul_f64_e32 v[42:43], v[2:3], v[36:37]
	v_mul_f64_e32 v[36:37], v[4:5], v[36:37]
	v_fmac_f64_e32 v[44:45], v[10:11], v[30:31]
	v_fma_f64 v[8:9], v[8:9], v[30:31], -v[32:33]
	v_add_f64_e32 v[10:11], v[28:29], v[26:27]
	v_add_f64_e32 v[12:13], v[12:13], v[50:51]
	v_fmac_f64_e32 v[42:43], v[4:5], v[34:35]
	v_fma_f64 v[2:3], v[2:3], v[34:35], -v[36:37]
	s_delay_alu instid0(VALU_DEP_4) | instskip(NEXT) | instid1(VALU_DEP_4)
	v_add_f64_e32 v[4:5], v[10:11], v[8:9]
	v_add_f64_e32 v[8:9], v[12:13], v[44:45]
	s_delay_alu instid0(VALU_DEP_2) | instskip(NEXT) | instid1(VALU_DEP_2)
	v_add_f64_e32 v[2:3], v[4:5], v[2:3]
	v_add_f64_e32 v[4:5], v[8:9], v[42:43]
	s_wait_loadcnt 0x0
	s_delay_alu instid0(VALU_DEP_2) | instskip(NEXT) | instid1(VALU_DEP_2)
	v_add_f64_e64 v[2:3], v[38:39], -v[2:3]
	v_add_f64_e64 v[4:5], v[40:41], -v[4:5]
	scratch_store_b128 off, v[2:5], off offset:16
	s_wait_xcnt 0x0
	v_cmpx_ne_u32_e32 0, v1
	s_cbranch_execz .LBB5_49
; %bb.48:
	scratch_load_b128 v[2:5], off, off
	v_mov_b32_e32 v8, 0
	s_delay_alu instid0(VALU_DEP_1)
	v_dual_mov_b32 v9, v8 :: v_dual_mov_b32 v10, v8
	v_mov_b32_e32 v11, v8
	scratch_store_b128 off, v[8:11], off
	s_wait_loadcnt 0x0
	ds_store_b128 v6, v[2:5]
.LBB5_49:
	s_wait_xcnt 0x0
	s_or_b32 exec_lo, exec_lo, s2
	s_wait_storecnt_dscnt 0x0
	s_barrier_signal -1
	s_barrier_wait -1
	s_clause 0x5
	scratch_load_b128 v[2:5], off, off offset:16
	scratch_load_b128 v[6:9], off, off offset:32
	;; [unrolled: 1-line block ×5, first 2 shown]
	scratch_load_b128 v[38:41], off, off
	v_mov_b32_e32 v10, 0
	ds_load_b128 v[42:45], v10 offset:112
	ds_load_b128 v[46:49], v10 offset:128
	s_and_b32 vcc_lo, exec_lo, s20
	s_wait_loadcnt_dscnt 0x501
	v_mul_f64_e32 v[12:13], v[44:45], v[4:5]
	v_mul_f64_e32 v[50:51], v[42:43], v[4:5]
	s_wait_loadcnt_dscnt 0x400
	v_mul_f64_e32 v[52:53], v[46:47], v[8:9]
	v_mul_f64_e32 v[8:9], v[48:49], v[8:9]
	s_delay_alu instid0(VALU_DEP_4) | instskip(NEXT) | instid1(VALU_DEP_4)
	v_fma_f64 v[12:13], v[42:43], v[2:3], -v[12:13]
	v_fmac_f64_e32 v[50:51], v[44:45], v[2:3]
	ds_load_b128 v[2:5], v10 offset:144
	ds_load_b128 v[42:45], v10 offset:160
	v_fmac_f64_e32 v[52:53], v[48:49], v[6:7]
	v_fma_f64 v[6:7], v[46:47], v[6:7], -v[8:9]
	s_wait_loadcnt_dscnt 0x301
	v_mul_f64_e32 v[54:55], v[2:3], v[28:29]
	v_mul_f64_e32 v[28:29], v[4:5], v[28:29]
	s_wait_loadcnt_dscnt 0x200
	v_mul_f64_e32 v[46:47], v[42:43], v[32:33]
	v_mul_f64_e32 v[32:33], v[44:45], v[32:33]
	v_add_f64_e32 v[8:9], 0, v[12:13]
	v_add_f64_e32 v[12:13], 0, v[50:51]
	v_fmac_f64_e32 v[54:55], v[4:5], v[26:27]
	v_fma_f64 v[26:27], v[2:3], v[26:27], -v[28:29]
	ds_load_b128 v[2:5], v10 offset:176
	v_fmac_f64_e32 v[46:47], v[44:45], v[30:31]
	v_fma_f64 v[30:31], v[42:43], v[30:31], -v[32:33]
	v_add_f64_e32 v[6:7], v[8:9], v[6:7]
	v_add_f64_e32 v[8:9], v[12:13], v[52:53]
	s_wait_loadcnt_dscnt 0x100
	v_mul_f64_e32 v[12:13], v[2:3], v[36:37]
	v_mul_f64_e32 v[28:29], v[4:5], v[36:37]
	s_delay_alu instid0(VALU_DEP_4) | instskip(NEXT) | instid1(VALU_DEP_4)
	v_add_f64_e32 v[6:7], v[6:7], v[26:27]
	v_add_f64_e32 v[8:9], v[8:9], v[54:55]
	s_delay_alu instid0(VALU_DEP_4) | instskip(NEXT) | instid1(VALU_DEP_4)
	v_fmac_f64_e32 v[12:13], v[4:5], v[34:35]
	v_fma_f64 v[2:3], v[2:3], v[34:35], -v[28:29]
	s_delay_alu instid0(VALU_DEP_4) | instskip(NEXT) | instid1(VALU_DEP_4)
	v_add_f64_e32 v[4:5], v[6:7], v[30:31]
	v_add_f64_e32 v[6:7], v[8:9], v[46:47]
	v_lshl_add_u64 v[8:9], v[24:25], 4, s[4:5]
	s_delay_alu instid0(VALU_DEP_3) | instskip(NEXT) | instid1(VALU_DEP_3)
	v_add_f64_e32 v[2:3], v[4:5], v[2:3]
	v_add_f64_e32 v[4:5], v[6:7], v[12:13]
	v_lshl_add_u64 v[6:7], v[22:23], 4, s[4:5]
	s_wait_loadcnt 0x0
	s_delay_alu instid0(VALU_DEP_3) | instskip(NEXT) | instid1(VALU_DEP_3)
	v_add_f64_e64 v[26:27], v[38:39], -v[2:3]
	v_add_f64_e64 v[28:29], v[40:41], -v[4:5]
	v_lshl_add_u64 v[2:3], v[18:19], 4, s[4:5]
	v_lshl_add_u64 v[4:5], v[20:21], 4, s[4:5]
	scratch_store_b128 off, v[26:29], off
	s_cbranch_vccz .LBB5_60
; %bb.50:
	global_load_b32 v10, v10, s[16:17] offset:16
	s_load_b64 s[2:3], s[0:1], 0x4
	v_bfe_u32 v11, v0, 10, 10
	v_bfe_u32 v0, v0, 20, 10
	s_wait_kmcnt 0x0
	s_lshr_b32 s0, s2, 16
	s_delay_alu instid0(VALU_DEP_2) | instskip(SKIP_1) | instid1(SALU_CYCLE_1)
	v_mul_u32_u24_e32 v11, s3, v11
	s_mul_i32 s0, s0, s3
	v_mul_u32_u24_e32 v1, s0, v1
	s_delay_alu instid0(VALU_DEP_1) | instskip(NEXT) | instid1(VALU_DEP_1)
	v_add3_u32 v0, v1, v11, v0
	v_lshl_add_u32 v0, v0, 4, 0xc8
	s_wait_loadcnt 0x0
	v_cmp_ne_u32_e32 vcc_lo, 5, v10
	s_cbranch_vccz .LBB5_52
; %bb.51:
	v_lshlrev_b32_e32 v1, 4, v10
	s_clause 0x1
	scratch_load_b128 v[10:13], off, s11
	scratch_load_b128 v[18:21], v1, off offset:-16
	s_wait_loadcnt 0x1
	ds_store_2addr_b64 v0, v[10:11], v[12:13] offset1:1
	s_wait_loadcnt 0x0
	s_clause 0x1
	scratch_store_b128 off, v[18:21], s11
	scratch_store_b128 v1, v[10:13], off offset:-16
.LBB5_52:
	s_wait_xcnt 0x0
	v_mov_b32_e32 v1, 0
	global_load_b32 v10, v1, s[16:17] offset:12
	s_wait_loadcnt 0x0
	v_cmp_eq_u32_e32 vcc_lo, 4, v10
	s_cbranch_vccnz .LBB5_54
; %bb.53:
	v_lshlrev_b32_e32 v10, 4, v10
	s_delay_alu instid0(VALU_DEP_1)
	v_mov_b32_e32 v22, v10
	s_clause 0x1
	scratch_load_b128 v[10:13], off, s9
	scratch_load_b128 v[18:21], v22, off offset:-16
	s_wait_loadcnt 0x1
	ds_store_2addr_b64 v0, v[10:11], v[12:13] offset1:1
	s_wait_loadcnt 0x0
	s_clause 0x1
	scratch_store_b128 off, v[18:21], s9
	scratch_store_b128 v22, v[10:13], off offset:-16
.LBB5_54:
	global_load_b32 v1, v1, s[16:17] offset:8
	s_wait_loadcnt 0x0
	v_cmp_eq_u32_e32 vcc_lo, 3, v1
	s_cbranch_vccnz .LBB5_56
; %bb.55:
	s_wait_xcnt 0x0
	v_lshlrev_b32_e32 v1, 4, v1
	s_clause 0x1
	scratch_load_b128 v[10:13], off, s8
	scratch_load_b128 v[18:21], v1, off offset:-16
	s_wait_loadcnt 0x1
	ds_store_2addr_b64 v0, v[10:11], v[12:13] offset1:1
	s_wait_loadcnt 0x0
	s_clause 0x1
	scratch_store_b128 off, v[18:21], s8
	scratch_store_b128 v1, v[10:13], off offset:-16
.LBB5_56:
	s_wait_xcnt 0x0
	v_mov_b32_e32 v1, 0
	global_load_b32 v10, v1, s[16:17] offset:4
	s_wait_loadcnt 0x0
	v_cmp_eq_u32_e32 vcc_lo, 2, v10
	s_cbranch_vccnz .LBB5_58
; %bb.57:
	v_lshlrev_b32_e32 v10, 4, v10
	s_delay_alu instid0(VALU_DEP_1)
	v_mov_b32_e32 v22, v10
	s_clause 0x1
	scratch_load_b128 v[10:13], off, s10
	scratch_load_b128 v[18:21], v22, off offset:-16
	s_wait_loadcnt 0x1
	ds_store_2addr_b64 v0, v[10:11], v[12:13] offset1:1
	s_wait_loadcnt 0x0
	s_clause 0x1
	scratch_store_b128 off, v[18:21], s10
	scratch_store_b128 v22, v[10:13], off offset:-16
.LBB5_58:
	global_load_b32 v1, v1, s[16:17]
	s_wait_loadcnt 0x0
	v_cmp_eq_u32_e32 vcc_lo, 1, v1
	s_cbranch_vccnz .LBB5_60
; %bb.59:
	s_wait_xcnt 0x0
	v_lshlrev_b32_e32 v1, 4, v1
	scratch_load_b128 v[10:13], off, off
	scratch_load_b128 v[18:21], v1, off offset:-16
	s_wait_loadcnt 0x1
	ds_store_2addr_b64 v0, v[10:11], v[12:13] offset1:1
	s_wait_loadcnt 0x0
	scratch_store_b128 off, v[18:21], off
	scratch_store_b128 v1, v[10:13], off offset:-16
.LBB5_60:
	scratch_load_b128 v[10:13], off, off
	s_clause 0x4
	scratch_load_b128 v[18:21], off, s10
	scratch_load_b128 v[22:25], off, s8
	;; [unrolled: 1-line block ×5, first 2 shown]
	s_wait_loadcnt 0x5
	global_store_b128 v[14:15], v[10:13], off
	s_wait_loadcnt 0x4
	global_store_b128 v[16:17], v[18:21], off
	;; [unrolled: 2-line block ×6, first 2 shown]
	s_endpgm
	.section	.rodata,"a",@progbits
	.p2align	6, 0x0
	.amdhsa_kernel _ZN9rocsolver6v33100L18getri_kernel_smallILi6E19rocblas_complex_numIdEPS3_EEvT1_iilPiilS6_bb
		.amdhsa_group_segment_fixed_size 1224
		.amdhsa_private_segment_fixed_size 112
		.amdhsa_kernarg_size 60
		.amdhsa_user_sgpr_count 4
		.amdhsa_user_sgpr_dispatch_ptr 1
		.amdhsa_user_sgpr_queue_ptr 0
		.amdhsa_user_sgpr_kernarg_segment_ptr 1
		.amdhsa_user_sgpr_dispatch_id 0
		.amdhsa_user_sgpr_kernarg_preload_length 0
		.amdhsa_user_sgpr_kernarg_preload_offset 0
		.amdhsa_user_sgpr_private_segment_size 0
		.amdhsa_wavefront_size32 1
		.amdhsa_uses_dynamic_stack 0
		.amdhsa_enable_private_segment 1
		.amdhsa_system_sgpr_workgroup_id_x 1
		.amdhsa_system_sgpr_workgroup_id_y 0
		.amdhsa_system_sgpr_workgroup_id_z 0
		.amdhsa_system_sgpr_workgroup_info 0
		.amdhsa_system_vgpr_workitem_id 2
		.amdhsa_next_free_vgpr 56
		.amdhsa_next_free_sgpr 21
		.amdhsa_named_barrier_count 0
		.amdhsa_reserve_vcc 1
		.amdhsa_float_round_mode_32 0
		.amdhsa_float_round_mode_16_64 0
		.amdhsa_float_denorm_mode_32 3
		.amdhsa_float_denorm_mode_16_64 3
		.amdhsa_fp16_overflow 0
		.amdhsa_memory_ordered 1
		.amdhsa_forward_progress 1
		.amdhsa_inst_pref_size 40
		.amdhsa_round_robin_scheduling 0
		.amdhsa_exception_fp_ieee_invalid_op 0
		.amdhsa_exception_fp_denorm_src 0
		.amdhsa_exception_fp_ieee_div_zero 0
		.amdhsa_exception_fp_ieee_overflow 0
		.amdhsa_exception_fp_ieee_underflow 0
		.amdhsa_exception_fp_ieee_inexact 0
		.amdhsa_exception_int_div_zero 0
	.end_amdhsa_kernel
	.section	.text._ZN9rocsolver6v33100L18getri_kernel_smallILi6E19rocblas_complex_numIdEPS3_EEvT1_iilPiilS6_bb,"axG",@progbits,_ZN9rocsolver6v33100L18getri_kernel_smallILi6E19rocblas_complex_numIdEPS3_EEvT1_iilPiilS6_bb,comdat
.Lfunc_end5:
	.size	_ZN9rocsolver6v33100L18getri_kernel_smallILi6E19rocblas_complex_numIdEPS3_EEvT1_iilPiilS6_bb, .Lfunc_end5-_ZN9rocsolver6v33100L18getri_kernel_smallILi6E19rocblas_complex_numIdEPS3_EEvT1_iilPiilS6_bb
                                        ; -- End function
	.set _ZN9rocsolver6v33100L18getri_kernel_smallILi6E19rocblas_complex_numIdEPS3_EEvT1_iilPiilS6_bb.num_vgpr, 56
	.set _ZN9rocsolver6v33100L18getri_kernel_smallILi6E19rocblas_complex_numIdEPS3_EEvT1_iilPiilS6_bb.num_agpr, 0
	.set _ZN9rocsolver6v33100L18getri_kernel_smallILi6E19rocblas_complex_numIdEPS3_EEvT1_iilPiilS6_bb.numbered_sgpr, 21
	.set _ZN9rocsolver6v33100L18getri_kernel_smallILi6E19rocblas_complex_numIdEPS3_EEvT1_iilPiilS6_bb.num_named_barrier, 0
	.set _ZN9rocsolver6v33100L18getri_kernel_smallILi6E19rocblas_complex_numIdEPS3_EEvT1_iilPiilS6_bb.private_seg_size, 112
	.set _ZN9rocsolver6v33100L18getri_kernel_smallILi6E19rocblas_complex_numIdEPS3_EEvT1_iilPiilS6_bb.uses_vcc, 1
	.set _ZN9rocsolver6v33100L18getri_kernel_smallILi6E19rocblas_complex_numIdEPS3_EEvT1_iilPiilS6_bb.uses_flat_scratch, 1
	.set _ZN9rocsolver6v33100L18getri_kernel_smallILi6E19rocblas_complex_numIdEPS3_EEvT1_iilPiilS6_bb.has_dyn_sized_stack, 0
	.set _ZN9rocsolver6v33100L18getri_kernel_smallILi6E19rocblas_complex_numIdEPS3_EEvT1_iilPiilS6_bb.has_recursion, 0
	.set _ZN9rocsolver6v33100L18getri_kernel_smallILi6E19rocblas_complex_numIdEPS3_EEvT1_iilPiilS6_bb.has_indirect_call, 0
	.section	.AMDGPU.csdata,"",@progbits
; Kernel info:
; codeLenInByte = 5036
; TotalNumSgprs: 23
; NumVgprs: 56
; ScratchSize: 112
; MemoryBound: 0
; FloatMode: 240
; IeeeMode: 1
; LDSByteSize: 1224 bytes/workgroup (compile time only)
; SGPRBlocks: 0
; VGPRBlocks: 3
; NumSGPRsForWavesPerEU: 23
; NumVGPRsForWavesPerEU: 56
; NamedBarCnt: 0
; Occupancy: 16
; WaveLimiterHint : 1
; COMPUTE_PGM_RSRC2:SCRATCH_EN: 1
; COMPUTE_PGM_RSRC2:USER_SGPR: 4
; COMPUTE_PGM_RSRC2:TRAP_HANDLER: 0
; COMPUTE_PGM_RSRC2:TGID_X_EN: 1
; COMPUTE_PGM_RSRC2:TGID_Y_EN: 0
; COMPUTE_PGM_RSRC2:TGID_Z_EN: 0
; COMPUTE_PGM_RSRC2:TIDIG_COMP_CNT: 2
	.section	.text._ZN9rocsolver6v33100L18getri_kernel_smallILi7E19rocblas_complex_numIdEPS3_EEvT1_iilPiilS6_bb,"axG",@progbits,_ZN9rocsolver6v33100L18getri_kernel_smallILi7E19rocblas_complex_numIdEPS3_EEvT1_iilPiilS6_bb,comdat
	.globl	_ZN9rocsolver6v33100L18getri_kernel_smallILi7E19rocblas_complex_numIdEPS3_EEvT1_iilPiilS6_bb ; -- Begin function _ZN9rocsolver6v33100L18getri_kernel_smallILi7E19rocblas_complex_numIdEPS3_EEvT1_iilPiilS6_bb
	.p2align	8
	.type	_ZN9rocsolver6v33100L18getri_kernel_smallILi7E19rocblas_complex_numIdEPS3_EEvT1_iilPiilS6_bb,@function
_ZN9rocsolver6v33100L18getri_kernel_smallILi7E19rocblas_complex_numIdEPS3_EEvT1_iilPiilS6_bb: ; @_ZN9rocsolver6v33100L18getri_kernel_smallILi7E19rocblas_complex_numIdEPS3_EEvT1_iilPiilS6_bb
; %bb.0:
	v_and_b32_e32 v1, 0x3ff, v0
	s_mov_b32 s4, exec_lo
	s_delay_alu instid0(VALU_DEP_1)
	v_cmpx_gt_u32_e32 7, v1
	s_cbranch_execz .LBB6_42
; %bb.1:
	s_clause 0x2
	s_load_b32 s8, s[2:3], 0x38
	s_load_b128 s[12:15], s[2:3], 0x10
	s_load_b128 s[4:7], s[2:3], 0x28
	s_getreg_b32 s11, hwreg(HW_REG_IB_STS2, 6, 4)
                                        ; implicit-def: $sgpr16_sgpr17
	s_wait_kmcnt 0x0
	s_bitcmp1_b32 s8, 8
	s_cselect_b32 s20, -1, 0
	s_bfe_u32 s9, ttmp6, 0x4000c
	s_and_b32 s10, ttmp6, 15
	s_add_co_i32 s9, s9, 1
	s_delay_alu instid0(SALU_CYCLE_1) | instskip(NEXT) | instid1(SALU_CYCLE_1)
	s_mul_i32 s9, ttmp9, s9
	s_add_co_i32 s10, s10, s9
	s_cmp_eq_u32 s11, 0
	s_cselect_b32 s18, ttmp9, s10
	s_bfe_u32 s8, s8, 0x10008
	s_ashr_i32 s19, s18, 31
	s_cmp_eq_u32 s8, 0
	s_cbranch_scc1 .LBB6_3
; %bb.2:
	s_load_b32 s8, s[2:3], 0x20
	s_mul_u64 s[4:5], s[4:5], s[18:19]
	s_delay_alu instid0(SALU_CYCLE_1) | instskip(NEXT) | instid1(SALU_CYCLE_1)
	s_lshl_b64 s[4:5], s[4:5], 2
	s_add_nc_u64 s[4:5], s[14:15], s[4:5]
	s_wait_kmcnt 0x0
	s_ashr_i32 s9, s8, 31
	s_delay_alu instid0(SALU_CYCLE_1) | instskip(NEXT) | instid1(SALU_CYCLE_1)
	s_lshl_b64 s[8:9], s[8:9], 2
	s_add_nc_u64 s[16:17], s[4:5], s[8:9]
.LBB6_3:
	s_clause 0x1
	s_load_b128 s[8:11], s[2:3], 0x0
	s_load_b32 s14, s[2:3], 0x38
	s_wait_xcnt 0x0
	s_mul_u64 s[2:3], s[12:13], s[18:19]
	v_dual_mov_b32 v29, 0 :: v_dual_lshlrev_b32 v28, 4, v1
	s_lshl_b64 s[2:3], s[2:3], 4
	s_movk_i32 s12, 0x50
	s_movk_i32 s13, 0x60
	s_wait_kmcnt 0x0
	v_add3_u32 v18, s11, s11, v1
	s_ashr_i32 s5, s10, 31
	s_mov_b32 s4, s10
	s_add_nc_u64 s[2:3], s[8:9], s[2:3]
	s_lshl_b64 s[4:5], s[4:5], 4
	v_add_nc_u32_e32 v20, s11, v18
	s_add_nc_u64 s[4:5], s[2:3], s[4:5]
	s_ashr_i32 s3, s11, 31
	v_add_nc_u64_e32 v[14:15], s[4:5], v[28:29]
	s_mov_b32 s2, s11
	v_add_nc_u32_e32 v22, s11, v20
	s_mov_b32 s10, 16
	s_mov_b32 s8, 32
	;; [unrolled: 1-line block ×3, first 2 shown]
	s_bitcmp0_b32 s14, 0
	v_add_nc_u32_e32 v24, s11, v22
	v_lshl_add_u64 v[16:17], s[2:3], 4, v[14:15]
	s_mov_b32 s3, -1
	s_delay_alu instid0(VALU_DEP_2)
	v_add_nc_u32_e32 v26, s11, v24
	s_clause 0x3
	global_load_b128 v[2:5], v18, s[4:5] scale_offset
	global_load_b128 v[6:9], v20, s[4:5] scale_offset
	global_load_b128 v[10:13], v1, s[4:5] scale_offset
	global_load_b128 v[30:33], v[16:17], off
	s_mov_b32 s11, 64
	s_clause 0x2
	global_load_b128 v[34:37], v22, s[4:5] scale_offset
	global_load_b128 v[38:41], v24, s[4:5] scale_offset
	;; [unrolled: 1-line block ×3, first 2 shown]
	s_wait_loadcnt 0x6
	scratch_store_b128 off, v[2:5], off offset:32
	s_wait_loadcnt 0x5
	scratch_store_b128 off, v[6:9], off offset:48
	s_wait_loadcnt 0x4
	scratch_store_b128 off, v[10:13], off
	s_wait_loadcnt 0x3
	scratch_store_b128 off, v[30:33], off offset:16
	s_wait_loadcnt 0x2
	scratch_store_b128 off, v[34:37], off offset:64
	;; [unrolled: 2-line block ×4, first 2 shown]
	s_cbranch_scc1 .LBB6_40
; %bb.4:
	v_cmp_eq_u32_e64 s2, 0, v1
	s_wait_xcnt 0x0
	s_and_saveexec_b32 s3, s2
; %bb.5:
	v_mov_b32_e32 v2, 0
	ds_store_b32 v2, v2 offset:224
; %bb.6:
	s_or_b32 exec_lo, exec_lo, s3
	s_wait_storecnt_dscnt 0x0
	s_barrier_signal -1
	s_barrier_wait -1
	scratch_load_b128 v[2:5], v1, off scale_offset
	s_wait_loadcnt 0x0
	v_cmp_eq_f64_e32 vcc_lo, 0, v[2:3]
	v_cmp_eq_f64_e64 s3, 0, v[4:5]
	s_and_b32 s3, vcc_lo, s3
	s_delay_alu instid0(SALU_CYCLE_1)
	s_and_saveexec_b32 s14, s3
	s_cbranch_execz .LBB6_10
; %bb.7:
	v_mov_b32_e32 v2, 0
	s_mov_b32 s15, 0
	ds_load_b32 v3, v2 offset:224
	s_wait_dscnt 0x0
	v_readfirstlane_b32 s3, v3
	v_add_nc_u32_e32 v3, 1, v1
	s_cmp_eq_u32 s3, 0
	s_delay_alu instid0(VALU_DEP_1) | instskip(SKIP_1) | instid1(SALU_CYCLE_1)
	v_cmp_gt_i32_e32 vcc_lo, s3, v3
	s_cselect_b32 s21, -1, 0
	s_or_b32 s21, s21, vcc_lo
	s_delay_alu instid0(SALU_CYCLE_1)
	s_and_b32 exec_lo, exec_lo, s21
	s_cbranch_execz .LBB6_10
; %bb.8:
	v_mov_b32_e32 v4, s3
.LBB6_9:                                ; =>This Inner Loop Header: Depth=1
	ds_cmpstore_rtn_b32 v4, v2, v3, v4 offset:224
	s_wait_dscnt 0x0
	v_cmp_ne_u32_e32 vcc_lo, 0, v4
	v_cmp_le_i32_e64 s3, v4, v3
	s_and_b32 s3, vcc_lo, s3
	s_delay_alu instid0(SALU_CYCLE_1) | instskip(NEXT) | instid1(SALU_CYCLE_1)
	s_and_b32 s3, exec_lo, s3
	s_or_b32 s15, s3, s15
	s_delay_alu instid0(SALU_CYCLE_1)
	s_and_not1_b32 exec_lo, exec_lo, s15
	s_cbranch_execnz .LBB6_9
.LBB6_10:
	s_or_b32 exec_lo, exec_lo, s14
	v_mov_b32_e32 v2, 0
	s_barrier_signal -1
	s_barrier_wait -1
	ds_load_b32 v3, v2 offset:224
	s_and_saveexec_b32 s3, s2
	s_cbranch_execz .LBB6_12
; %bb.11:
	s_lshl_b64 s[14:15], s[18:19], 2
	s_delay_alu instid0(SALU_CYCLE_1)
	s_add_nc_u64 s[14:15], s[6:7], s[14:15]
	s_wait_dscnt 0x0
	global_store_b32 v2, v3, s[14:15]
.LBB6_12:
	s_wait_xcnt 0x0
	s_or_b32 exec_lo, exec_lo, s3
	s_wait_dscnt 0x0
	v_cmp_ne_u32_e32 vcc_lo, 0, v3
	s_mov_b32 s3, 0
	s_cbranch_vccnz .LBB6_40
; %bb.13:
	v_lshl_add_u32 v19, v1, 4, 0
                                        ; implicit-def: $vgpr6_vgpr7
                                        ; implicit-def: $vgpr10_vgpr11
	scratch_load_b128 v[2:5], v19, off
	s_wait_loadcnt 0x0
	v_cmp_ngt_f64_e64 s3, |v[2:3]|, |v[4:5]|
	s_wait_xcnt 0x0
	s_and_saveexec_b32 s14, s3
	s_delay_alu instid0(SALU_CYCLE_1)
	s_xor_b32 s3, exec_lo, s14
	s_cbranch_execz .LBB6_15
; %bb.14:
	v_div_scale_f64 v[6:7], null, v[4:5], v[4:5], v[2:3]
	v_div_scale_f64 v[12:13], vcc_lo, v[2:3], v[4:5], v[2:3]
	s_delay_alu instid0(VALU_DEP_2) | instskip(SKIP_1) | instid1(TRANS32_DEP_1)
	v_rcp_f64_e32 v[8:9], v[6:7]
	v_nop
	v_fma_f64 v[10:11], -v[6:7], v[8:9], 1.0
	s_delay_alu instid0(VALU_DEP_1) | instskip(NEXT) | instid1(VALU_DEP_1)
	v_fmac_f64_e32 v[8:9], v[8:9], v[10:11]
	v_fma_f64 v[10:11], -v[6:7], v[8:9], 1.0
	s_delay_alu instid0(VALU_DEP_1) | instskip(NEXT) | instid1(VALU_DEP_1)
	v_fmac_f64_e32 v[8:9], v[8:9], v[10:11]
	v_mul_f64_e32 v[10:11], v[12:13], v[8:9]
	s_delay_alu instid0(VALU_DEP_1) | instskip(NEXT) | instid1(VALU_DEP_1)
	v_fma_f64 v[6:7], -v[6:7], v[10:11], v[12:13]
	v_div_fmas_f64 v[6:7], v[6:7], v[8:9], v[10:11]
	s_delay_alu instid0(VALU_DEP_1) | instskip(NEXT) | instid1(VALU_DEP_1)
	v_div_fixup_f64 v[6:7], v[6:7], v[4:5], v[2:3]
	v_fmac_f64_e32 v[4:5], v[2:3], v[6:7]
	s_delay_alu instid0(VALU_DEP_1) | instskip(SKIP_1) | instid1(VALU_DEP_2)
	v_div_scale_f64 v[2:3], null, v[4:5], v[4:5], 1.0
	v_div_scale_f64 v[12:13], vcc_lo, 1.0, v[4:5], 1.0
	v_rcp_f64_e32 v[8:9], v[2:3]
	v_nop
	s_delay_alu instid0(TRANS32_DEP_1) | instskip(NEXT) | instid1(VALU_DEP_1)
	v_fma_f64 v[10:11], -v[2:3], v[8:9], 1.0
	v_fmac_f64_e32 v[8:9], v[8:9], v[10:11]
	s_delay_alu instid0(VALU_DEP_1) | instskip(NEXT) | instid1(VALU_DEP_1)
	v_fma_f64 v[10:11], -v[2:3], v[8:9], 1.0
	v_fmac_f64_e32 v[8:9], v[8:9], v[10:11]
	s_delay_alu instid0(VALU_DEP_1) | instskip(NEXT) | instid1(VALU_DEP_1)
	v_mul_f64_e32 v[10:11], v[12:13], v[8:9]
	v_fma_f64 v[2:3], -v[2:3], v[10:11], v[12:13]
	s_delay_alu instid0(VALU_DEP_1) | instskip(NEXT) | instid1(VALU_DEP_1)
	v_div_fmas_f64 v[2:3], v[2:3], v[8:9], v[10:11]
	v_div_fixup_f64 v[8:9], v[2:3], v[4:5], 1.0
                                        ; implicit-def: $vgpr2_vgpr3
	s_delay_alu instid0(VALU_DEP_1) | instskip(SKIP_1) | instid1(VALU_DEP_2)
	v_mul_f64_e32 v[6:7], v[6:7], v[8:9]
	v_xor_b32_e32 v9, 0x80000000, v9
	v_xor_b32_e32 v11, 0x80000000, v7
	s_delay_alu instid0(VALU_DEP_3)
	v_mov_b32_e32 v10, v6
.LBB6_15:
	s_and_not1_saveexec_b32 s3, s3
	s_cbranch_execz .LBB6_17
; %bb.16:
	v_div_scale_f64 v[6:7], null, v[2:3], v[2:3], v[4:5]
	v_div_scale_f64 v[12:13], vcc_lo, v[4:5], v[2:3], v[4:5]
	s_delay_alu instid0(VALU_DEP_2) | instskip(SKIP_1) | instid1(TRANS32_DEP_1)
	v_rcp_f64_e32 v[8:9], v[6:7]
	v_nop
	v_fma_f64 v[10:11], -v[6:7], v[8:9], 1.0
	s_delay_alu instid0(VALU_DEP_1) | instskip(NEXT) | instid1(VALU_DEP_1)
	v_fmac_f64_e32 v[8:9], v[8:9], v[10:11]
	v_fma_f64 v[10:11], -v[6:7], v[8:9], 1.0
	s_delay_alu instid0(VALU_DEP_1) | instskip(NEXT) | instid1(VALU_DEP_1)
	v_fmac_f64_e32 v[8:9], v[8:9], v[10:11]
	v_mul_f64_e32 v[10:11], v[12:13], v[8:9]
	s_delay_alu instid0(VALU_DEP_1) | instskip(NEXT) | instid1(VALU_DEP_1)
	v_fma_f64 v[6:7], -v[6:7], v[10:11], v[12:13]
	v_div_fmas_f64 v[6:7], v[6:7], v[8:9], v[10:11]
	s_delay_alu instid0(VALU_DEP_1) | instskip(NEXT) | instid1(VALU_DEP_1)
	v_div_fixup_f64 v[8:9], v[6:7], v[2:3], v[4:5]
	v_fmac_f64_e32 v[2:3], v[4:5], v[8:9]
	s_delay_alu instid0(VALU_DEP_1) | instskip(NEXT) | instid1(VALU_DEP_1)
	v_div_scale_f64 v[4:5], null, v[2:3], v[2:3], 1.0
	v_rcp_f64_e32 v[6:7], v[4:5]
	v_nop
	s_delay_alu instid0(TRANS32_DEP_1) | instskip(NEXT) | instid1(VALU_DEP_1)
	v_fma_f64 v[10:11], -v[4:5], v[6:7], 1.0
	v_fmac_f64_e32 v[6:7], v[6:7], v[10:11]
	s_delay_alu instid0(VALU_DEP_1) | instskip(NEXT) | instid1(VALU_DEP_1)
	v_fma_f64 v[10:11], -v[4:5], v[6:7], 1.0
	v_fmac_f64_e32 v[6:7], v[6:7], v[10:11]
	v_div_scale_f64 v[10:11], vcc_lo, 1.0, v[2:3], 1.0
	s_delay_alu instid0(VALU_DEP_1) | instskip(NEXT) | instid1(VALU_DEP_1)
	v_mul_f64_e32 v[12:13], v[10:11], v[6:7]
	v_fma_f64 v[4:5], -v[4:5], v[12:13], v[10:11]
	s_delay_alu instid0(VALU_DEP_1) | instskip(NEXT) | instid1(VALU_DEP_1)
	v_div_fmas_f64 v[4:5], v[4:5], v[6:7], v[12:13]
	v_div_fixup_f64 v[6:7], v[4:5], v[2:3], 1.0
	s_delay_alu instid0(VALU_DEP_1)
	v_mul_f64_e64 v[8:9], v[8:9], -v[6:7]
	v_xor_b32_e32 v11, 0x80000000, v7
	v_mov_b32_e32 v10, v6
.LBB6_17:
	s_or_b32 exec_lo, exec_lo, s3
	s_clause 0x1
	scratch_store_b128 v19, v[6:9], off
	scratch_load_b128 v[2:5], off, s10
	v_xor_b32_e32 v13, 0x80000000, v9
	v_mov_b32_e32 v12, v8
	s_wait_xcnt 0x1
	v_add_nc_u32_e32 v6, 0x70, v28
	ds_store_b128 v28, v[10:13]
	s_wait_loadcnt 0x0
	ds_store_b128 v28, v[2:5] offset:112
	s_wait_storecnt_dscnt 0x0
	s_barrier_signal -1
	s_barrier_wait -1
	s_wait_xcnt 0x0
	s_and_saveexec_b32 s3, s2
	s_cbranch_execz .LBB6_19
; %bb.18:
	scratch_load_b128 v[2:5], v19, off
	ds_load_b128 v[8:11], v6
	v_mov_b32_e32 v7, 0
	ds_load_b128 v[30:33], v7 offset:16
	s_wait_loadcnt_dscnt 0x1
	v_mul_f64_e32 v[12:13], v[8:9], v[4:5]
	v_mul_f64_e32 v[4:5], v[10:11], v[4:5]
	s_delay_alu instid0(VALU_DEP_2) | instskip(NEXT) | instid1(VALU_DEP_2)
	v_fmac_f64_e32 v[12:13], v[10:11], v[2:3]
	v_fma_f64 v[2:3], v[8:9], v[2:3], -v[4:5]
	s_delay_alu instid0(VALU_DEP_2) | instskip(NEXT) | instid1(VALU_DEP_2)
	v_add_f64_e32 v[8:9], 0, v[12:13]
	v_add_f64_e32 v[2:3], 0, v[2:3]
	s_wait_dscnt 0x0
	s_delay_alu instid0(VALU_DEP_2) | instskip(NEXT) | instid1(VALU_DEP_2)
	v_mul_f64_e32 v[10:11], v[8:9], v[32:33]
	v_mul_f64_e32 v[4:5], v[2:3], v[32:33]
	s_delay_alu instid0(VALU_DEP_2) | instskip(NEXT) | instid1(VALU_DEP_2)
	v_fma_f64 v[2:3], v[2:3], v[30:31], -v[10:11]
	v_fmac_f64_e32 v[4:5], v[8:9], v[30:31]
	scratch_store_b128 off, v[2:5], off offset:16
.LBB6_19:
	s_wait_xcnt 0x0
	s_or_b32 exec_lo, exec_lo, s3
	s_wait_storecnt 0x0
	s_barrier_signal -1
	s_barrier_wait -1
	scratch_load_b128 v[2:5], off, s8
	s_mov_b32 s3, exec_lo
	s_wait_loadcnt 0x0
	ds_store_b128 v6, v[2:5]
	s_wait_dscnt 0x0
	s_barrier_signal -1
	s_barrier_wait -1
	v_cmpx_gt_u32_e32 2, v1
	s_cbranch_execz .LBB6_23
; %bb.20:
	scratch_load_b128 v[2:5], v19, off
	ds_load_b128 v[8:11], v6
	s_wait_loadcnt_dscnt 0x0
	v_mul_f64_e32 v[12:13], v[10:11], v[4:5]
	v_mul_f64_e32 v[30:31], v[8:9], v[4:5]
	s_delay_alu instid0(VALU_DEP_2) | instskip(NEXT) | instid1(VALU_DEP_2)
	v_fma_f64 v[4:5], v[8:9], v[2:3], -v[12:13]
	v_fmac_f64_e32 v[30:31], v[10:11], v[2:3]
	s_delay_alu instid0(VALU_DEP_2) | instskip(NEXT) | instid1(VALU_DEP_2)
	v_add_f64_e32 v[4:5], 0, v[4:5]
	v_add_f64_e32 v[2:3], 0, v[30:31]
	s_and_saveexec_b32 s14, s2
	s_cbranch_execz .LBB6_22
; %bb.21:
	scratch_load_b128 v[8:11], off, off offset:16
	v_mov_b32_e32 v7, 0
	ds_load_b128 v[30:33], v7 offset:128
	s_wait_loadcnt_dscnt 0x0
	v_mul_f64_e32 v[12:13], v[30:31], v[10:11]
	v_mul_f64_e32 v[10:11], v[32:33], v[10:11]
	s_delay_alu instid0(VALU_DEP_2) | instskip(NEXT) | instid1(VALU_DEP_2)
	v_fmac_f64_e32 v[12:13], v[32:33], v[8:9]
	v_fma_f64 v[8:9], v[30:31], v[8:9], -v[10:11]
	s_delay_alu instid0(VALU_DEP_2) | instskip(NEXT) | instid1(VALU_DEP_2)
	v_add_f64_e32 v[2:3], v[2:3], v[12:13]
	v_add_f64_e32 v[4:5], v[4:5], v[8:9]
.LBB6_22:
	s_or_b32 exec_lo, exec_lo, s14
	v_mov_b32_e32 v7, 0
	ds_load_b128 v[8:11], v7 offset:32
	s_wait_dscnt 0x0
	v_mul_f64_e32 v[30:31], v[2:3], v[10:11]
	v_mul_f64_e32 v[12:13], v[4:5], v[10:11]
	s_delay_alu instid0(VALU_DEP_2) | instskip(NEXT) | instid1(VALU_DEP_2)
	v_fma_f64 v[10:11], v[4:5], v[8:9], -v[30:31]
	v_fmac_f64_e32 v[12:13], v[2:3], v[8:9]
	scratch_store_b128 off, v[10:13], off offset:32
.LBB6_23:
	s_wait_xcnt 0x0
	s_or_b32 exec_lo, exec_lo, s3
	s_wait_storecnt 0x0
	s_barrier_signal -1
	s_barrier_wait -1
	scratch_load_b128 v[2:5], off, s9
	v_add_nc_u32_e32 v7, -1, v1
	s_mov_b32 s2, exec_lo
	s_wait_loadcnt 0x0
	ds_store_b128 v6, v[2:5]
	s_wait_dscnt 0x0
	s_barrier_signal -1
	s_barrier_wait -1
	v_cmpx_gt_u32_e32 3, v1
	s_cbranch_execz .LBB6_27
; %bb.24:
	v_dual_mov_b32 v10, v28 :: v_dual_add_nc_u32 v8, -1, v1
	v_mov_b64_e32 v[2:3], 0
	v_mov_b64_e32 v[4:5], 0
	v_add_nc_u32_e32 v9, 0x70, v28
	s_delay_alu instid0(VALU_DEP_4)
	v_or_b32_e32 v10, 8, v10
	s_mov_b32 s3, 0
.LBB6_25:                               ; =>This Inner Loop Header: Depth=1
	scratch_load_b128 v[30:33], v10, off offset:-8
	ds_load_b128 v[34:37], v9
	s_wait_xcnt 0x0
	v_dual_add_nc_u32 v9, 16, v9 :: v_dual_add_nc_u32 v10, 16, v10
	v_add_nc_u32_e32 v8, 1, v8
	s_delay_alu instid0(VALU_DEP_1) | instskip(SKIP_4) | instid1(VALU_DEP_2)
	v_cmp_lt_u32_e32 vcc_lo, 1, v8
	s_or_b32 s3, vcc_lo, s3
	s_wait_loadcnt_dscnt 0x0
	v_mul_f64_e32 v[12:13], v[36:37], v[32:33]
	v_mul_f64_e32 v[32:33], v[34:35], v[32:33]
	v_fma_f64 v[12:13], v[34:35], v[30:31], -v[12:13]
	s_delay_alu instid0(VALU_DEP_2) | instskip(NEXT) | instid1(VALU_DEP_2)
	v_fmac_f64_e32 v[32:33], v[36:37], v[30:31]
	v_add_f64_e32 v[4:5], v[4:5], v[12:13]
	s_delay_alu instid0(VALU_DEP_2)
	v_add_f64_e32 v[2:3], v[2:3], v[32:33]
	s_and_not1_b32 exec_lo, exec_lo, s3
	s_cbranch_execnz .LBB6_25
; %bb.26:
	s_or_b32 exec_lo, exec_lo, s3
	v_mov_b32_e32 v8, 0
	ds_load_b128 v[8:11], v8 offset:48
	s_wait_dscnt 0x0
	v_mul_f64_e32 v[30:31], v[2:3], v[10:11]
	v_mul_f64_e32 v[12:13], v[4:5], v[10:11]
	s_delay_alu instid0(VALU_DEP_2) | instskip(NEXT) | instid1(VALU_DEP_2)
	v_fma_f64 v[10:11], v[4:5], v[8:9], -v[30:31]
	v_fmac_f64_e32 v[12:13], v[2:3], v[8:9]
	scratch_store_b128 off, v[10:13], off offset:48
.LBB6_27:
	s_wait_xcnt 0x0
	s_or_b32 exec_lo, exec_lo, s2
	s_wait_storecnt 0x0
	s_barrier_signal -1
	s_barrier_wait -1
	scratch_load_b128 v[2:5], off, s11
	s_mov_b32 s2, exec_lo
	s_wait_loadcnt 0x0
	ds_store_b128 v6, v[2:5]
	s_wait_dscnt 0x0
	s_barrier_signal -1
	s_barrier_wait -1
	v_cmpx_gt_u32_e32 4, v1
	s_cbranch_execz .LBB6_31
; %bb.28:
	v_dual_mov_b32 v10, v28 :: v_dual_add_nc_u32 v8, -1, v1
	v_mov_b64_e32 v[2:3], 0
	v_mov_b64_e32 v[4:5], 0
	v_add_nc_u32_e32 v9, 0x70, v28
	s_delay_alu instid0(VALU_DEP_4)
	v_or_b32_e32 v10, 8, v10
	s_mov_b32 s3, 0
.LBB6_29:                               ; =>This Inner Loop Header: Depth=1
	scratch_load_b128 v[30:33], v10, off offset:-8
	ds_load_b128 v[34:37], v9
	s_wait_xcnt 0x0
	v_dual_add_nc_u32 v9, 16, v9 :: v_dual_add_nc_u32 v10, 16, v10
	v_add_nc_u32_e32 v8, 1, v8
	s_delay_alu instid0(VALU_DEP_1) | instskip(SKIP_4) | instid1(VALU_DEP_2)
	v_cmp_lt_u32_e32 vcc_lo, 2, v8
	s_or_b32 s3, vcc_lo, s3
	s_wait_loadcnt_dscnt 0x0
	v_mul_f64_e32 v[12:13], v[36:37], v[32:33]
	v_mul_f64_e32 v[32:33], v[34:35], v[32:33]
	v_fma_f64 v[12:13], v[34:35], v[30:31], -v[12:13]
	s_delay_alu instid0(VALU_DEP_2) | instskip(NEXT) | instid1(VALU_DEP_2)
	v_fmac_f64_e32 v[32:33], v[36:37], v[30:31]
	v_add_f64_e32 v[4:5], v[4:5], v[12:13]
	s_delay_alu instid0(VALU_DEP_2)
	v_add_f64_e32 v[2:3], v[2:3], v[32:33]
	s_and_not1_b32 exec_lo, exec_lo, s3
	s_cbranch_execnz .LBB6_29
; %bb.30:
	s_or_b32 exec_lo, exec_lo, s3
	v_mov_b32_e32 v8, 0
	ds_load_b128 v[8:11], v8 offset:64
	s_wait_dscnt 0x0
	v_mul_f64_e32 v[30:31], v[2:3], v[10:11]
	v_mul_f64_e32 v[12:13], v[4:5], v[10:11]
	s_delay_alu instid0(VALU_DEP_2) | instskip(NEXT) | instid1(VALU_DEP_2)
	v_fma_f64 v[10:11], v[4:5], v[8:9], -v[30:31]
	v_fmac_f64_e32 v[12:13], v[2:3], v[8:9]
	scratch_store_b128 off, v[10:13], off offset:64
.LBB6_31:
	s_wait_xcnt 0x0
	s_or_b32 exec_lo, exec_lo, s2
	s_wait_storecnt 0x0
	s_barrier_signal -1
	s_barrier_wait -1
	scratch_load_b128 v[2:5], off, s12
	;; [unrolled: 54-line block ×3, first 2 shown]
	s_mov_b32 s2, exec_lo
	s_wait_loadcnt 0x0
	ds_store_b128 v6, v[2:5]
	s_wait_dscnt 0x0
	s_barrier_signal -1
	s_barrier_wait -1
	v_cmpx_ne_u32_e32 6, v1
	s_cbranch_execz .LBB6_39
; %bb.36:
	v_mov_b32_e32 v8, v28
	v_mov_b64_e32 v[2:3], 0
	v_mov_b64_e32 v[4:5], 0
	s_mov_b32 s3, 0
	s_delay_alu instid0(VALU_DEP_3)
	v_or_b32_e32 v8, 8, v8
.LBB6_37:                               ; =>This Inner Loop Header: Depth=1
	scratch_load_b128 v[10:13], v8, off offset:-8
	ds_load_b128 v[28:31], v6
	v_dual_add_nc_u32 v7, 1, v7 :: v_dual_add_nc_u32 v6, 16, v6
	s_wait_xcnt 0x0
	v_add_nc_u32_e32 v8, 16, v8
	s_delay_alu instid0(VALU_DEP_2) | instskip(SKIP_4) | instid1(VALU_DEP_2)
	v_cmp_lt_u32_e32 vcc_lo, 4, v7
	s_or_b32 s3, vcc_lo, s3
	s_wait_loadcnt_dscnt 0x0
	v_mul_f64_e32 v[32:33], v[30:31], v[12:13]
	v_mul_f64_e32 v[12:13], v[28:29], v[12:13]
	v_fma_f64 v[28:29], v[28:29], v[10:11], -v[32:33]
	s_delay_alu instid0(VALU_DEP_2) | instskip(NEXT) | instid1(VALU_DEP_2)
	v_fmac_f64_e32 v[12:13], v[30:31], v[10:11]
	v_add_f64_e32 v[4:5], v[4:5], v[28:29]
	s_delay_alu instid0(VALU_DEP_2)
	v_add_f64_e32 v[2:3], v[2:3], v[12:13]
	s_and_not1_b32 exec_lo, exec_lo, s3
	s_cbranch_execnz .LBB6_37
; %bb.38:
	s_or_b32 exec_lo, exec_lo, s3
	v_mov_b32_e32 v6, 0
	ds_load_b128 v[6:9], v6 offset:96
	s_wait_dscnt 0x0
	v_mul_f64_e32 v[12:13], v[2:3], v[8:9]
	v_mul_f64_e32 v[10:11], v[4:5], v[8:9]
	s_delay_alu instid0(VALU_DEP_2) | instskip(NEXT) | instid1(VALU_DEP_2)
	v_fma_f64 v[8:9], v[4:5], v[6:7], -v[12:13]
	v_fmac_f64_e32 v[10:11], v[2:3], v[6:7]
	scratch_store_b128 off, v[8:11], off offset:96
.LBB6_39:
	s_wait_xcnt 0x0
	s_or_b32 exec_lo, exec_lo, s2
	s_mov_b32 s3, -1
	s_wait_storecnt 0x0
	s_barrier_signal -1
	s_barrier_wait -1
.LBB6_40:
	s_and_b32 vcc_lo, exec_lo, s3
	s_cbranch_vccz .LBB6_42
; %bb.41:
	s_wait_xcnt 0x6
	v_mov_b32_e32 v2, 0
	s_lshl_b64 s[2:3], s[18:19], 2
	s_delay_alu instid0(SALU_CYCLE_1)
	s_add_nc_u64 s[2:3], s[6:7], s[2:3]
	global_load_b32 v2, v2, s[2:3]
	s_wait_loadcnt 0x0
	v_cmp_ne_u32_e32 vcc_lo, 0, v2
	s_cbranch_vccz .LBB6_43
.LBB6_42:
	s_endpgm
.LBB6_43:
	s_wait_xcnt 0x6
	v_lshl_add_u32 v6, v1, 4, 0x70
	s_wait_xcnt 0x0
	s_mov_b32 s2, exec_lo
	v_cmpx_eq_u32_e32 6, v1
	s_cbranch_execz .LBB6_45
; %bb.44:
	scratch_load_b128 v[2:5], off, s12
	v_mov_b32_e32 v8, 0
	s_delay_alu instid0(VALU_DEP_1)
	v_dual_mov_b32 v9, v8 :: v_dual_mov_b32 v10, v8
	v_mov_b32_e32 v11, v8
	scratch_store_b128 off, v[8:11], off offset:80
	s_wait_loadcnt 0x0
	ds_store_b128 v6, v[2:5]
.LBB6_45:
	s_wait_xcnt 0x0
	s_or_b32 exec_lo, exec_lo, s2
	s_wait_storecnt_dscnt 0x0
	s_barrier_signal -1
	s_barrier_wait -1
	s_clause 0x1
	scratch_load_b128 v[8:11], off, off offset:96
	scratch_load_b128 v[28:31], off, off offset:80
	v_mov_b32_e32 v2, 0
	s_mov_b32 s2, exec_lo
	ds_load_b128 v[32:35], v2 offset:208
	s_wait_loadcnt_dscnt 0x100
	v_mul_f64_e32 v[4:5], v[34:35], v[10:11]
	v_mul_f64_e32 v[10:11], v[32:33], v[10:11]
	s_delay_alu instid0(VALU_DEP_2) | instskip(NEXT) | instid1(VALU_DEP_2)
	v_fma_f64 v[4:5], v[32:33], v[8:9], -v[4:5]
	v_fmac_f64_e32 v[10:11], v[34:35], v[8:9]
	s_delay_alu instid0(VALU_DEP_2) | instskip(NEXT) | instid1(VALU_DEP_2)
	v_add_f64_e32 v[4:5], 0, v[4:5]
	v_add_f64_e32 v[10:11], 0, v[10:11]
	s_wait_loadcnt 0x0
	s_delay_alu instid0(VALU_DEP_2) | instskip(NEXT) | instid1(VALU_DEP_2)
	v_add_f64_e64 v[8:9], v[28:29], -v[4:5]
	v_add_f64_e64 v[10:11], v[30:31], -v[10:11]
	scratch_store_b128 off, v[8:11], off offset:80
	s_wait_xcnt 0x0
	v_cmpx_lt_u32_e32 4, v1
	s_cbranch_execz .LBB6_47
; %bb.46:
	scratch_load_b128 v[8:11], off, s11
	v_dual_mov_b32 v3, v2 :: v_dual_mov_b32 v4, v2
	v_mov_b32_e32 v5, v2
	scratch_store_b128 off, v[2:5], off offset:64
	s_wait_loadcnt 0x0
	ds_store_b128 v6, v[8:11]
.LBB6_47:
	s_wait_xcnt 0x0
	s_or_b32 exec_lo, exec_lo, s2
	s_wait_storecnt_dscnt 0x0
	s_barrier_signal -1
	s_barrier_wait -1
	s_clause 0x2
	scratch_load_b128 v[8:11], off, off offset:80
	scratch_load_b128 v[28:31], off, off offset:96
	;; [unrolled: 1-line block ×3, first 2 shown]
	ds_load_b128 v[36:39], v2 offset:192
	ds_load_b128 v[2:5], v2 offset:208
	s_mov_b32 s2, exec_lo
	s_wait_loadcnt_dscnt 0x201
	v_mul_f64_e32 v[12:13], v[38:39], v[10:11]
	v_mul_f64_e32 v[10:11], v[36:37], v[10:11]
	s_wait_loadcnt_dscnt 0x100
	v_mul_f64_e32 v[40:41], v[2:3], v[30:31]
	v_mul_f64_e32 v[30:31], v[4:5], v[30:31]
	s_delay_alu instid0(VALU_DEP_4) | instskip(NEXT) | instid1(VALU_DEP_4)
	v_fma_f64 v[12:13], v[36:37], v[8:9], -v[12:13]
	v_fmac_f64_e32 v[10:11], v[38:39], v[8:9]
	s_delay_alu instid0(VALU_DEP_4) | instskip(NEXT) | instid1(VALU_DEP_4)
	v_fmac_f64_e32 v[40:41], v[4:5], v[28:29]
	v_fma_f64 v[2:3], v[2:3], v[28:29], -v[30:31]
	s_delay_alu instid0(VALU_DEP_4) | instskip(NEXT) | instid1(VALU_DEP_4)
	v_add_f64_e32 v[4:5], 0, v[12:13]
	v_add_f64_e32 v[8:9], 0, v[10:11]
	s_delay_alu instid0(VALU_DEP_2) | instskip(NEXT) | instid1(VALU_DEP_2)
	v_add_f64_e32 v[2:3], v[4:5], v[2:3]
	v_add_f64_e32 v[4:5], v[8:9], v[40:41]
	s_wait_loadcnt 0x0
	s_delay_alu instid0(VALU_DEP_2) | instskip(NEXT) | instid1(VALU_DEP_2)
	v_add_f64_e64 v[2:3], v[32:33], -v[2:3]
	v_add_f64_e64 v[4:5], v[34:35], -v[4:5]
	scratch_store_b128 off, v[2:5], off offset:64
	s_wait_xcnt 0x0
	v_cmpx_lt_u32_e32 3, v1
	s_cbranch_execz .LBB6_49
; %bb.48:
	scratch_load_b128 v[2:5], off, s9
	v_mov_b32_e32 v8, 0
	s_delay_alu instid0(VALU_DEP_1)
	v_dual_mov_b32 v9, v8 :: v_dual_mov_b32 v10, v8
	v_mov_b32_e32 v11, v8
	scratch_store_b128 off, v[8:11], off offset:48
	s_wait_loadcnt 0x0
	ds_store_b128 v6, v[2:5]
.LBB6_49:
	s_wait_xcnt 0x0
	s_or_b32 exec_lo, exec_lo, s2
	s_wait_storecnt_dscnt 0x0
	s_barrier_signal -1
	s_barrier_wait -1
	s_clause 0x3
	scratch_load_b128 v[8:11], off, off offset:64
	scratch_load_b128 v[28:31], off, off offset:80
	;; [unrolled: 1-line block ×4, first 2 shown]
	v_mov_b32_e32 v2, 0
	ds_load_b128 v[40:43], v2 offset:176
	ds_load_b128 v[44:47], v2 offset:192
	s_mov_b32 s2, exec_lo
	s_wait_loadcnt_dscnt 0x301
	v_mul_f64_e32 v[4:5], v[42:43], v[10:11]
	v_mul_f64_e32 v[12:13], v[40:41], v[10:11]
	s_wait_loadcnt_dscnt 0x200
	v_mul_f64_e32 v[48:49], v[44:45], v[30:31]
	v_mul_f64_e32 v[30:31], v[46:47], v[30:31]
	s_delay_alu instid0(VALU_DEP_4) | instskip(NEXT) | instid1(VALU_DEP_4)
	v_fma_f64 v[4:5], v[40:41], v[8:9], -v[4:5]
	v_fmac_f64_e32 v[12:13], v[42:43], v[8:9]
	ds_load_b128 v[8:11], v2 offset:208
	v_fmac_f64_e32 v[48:49], v[46:47], v[28:29]
	v_fma_f64 v[28:29], v[44:45], v[28:29], -v[30:31]
	s_wait_loadcnt_dscnt 0x100
	v_mul_f64_e32 v[40:41], v[8:9], v[34:35]
	v_mul_f64_e32 v[34:35], v[10:11], v[34:35]
	v_add_f64_e32 v[4:5], 0, v[4:5]
	v_add_f64_e32 v[12:13], 0, v[12:13]
	s_delay_alu instid0(VALU_DEP_4) | instskip(NEXT) | instid1(VALU_DEP_4)
	v_fmac_f64_e32 v[40:41], v[10:11], v[32:33]
	v_fma_f64 v[8:9], v[8:9], v[32:33], -v[34:35]
	s_delay_alu instid0(VALU_DEP_4) | instskip(NEXT) | instid1(VALU_DEP_4)
	v_add_f64_e32 v[4:5], v[4:5], v[28:29]
	v_add_f64_e32 v[10:11], v[12:13], v[48:49]
	s_delay_alu instid0(VALU_DEP_2) | instskip(NEXT) | instid1(VALU_DEP_2)
	v_add_f64_e32 v[4:5], v[4:5], v[8:9]
	v_add_f64_e32 v[10:11], v[10:11], v[40:41]
	s_wait_loadcnt 0x0
	s_delay_alu instid0(VALU_DEP_2) | instskip(NEXT) | instid1(VALU_DEP_2)
	v_add_f64_e64 v[8:9], v[36:37], -v[4:5]
	v_add_f64_e64 v[10:11], v[38:39], -v[10:11]
	scratch_store_b128 off, v[8:11], off offset:48
	s_wait_xcnt 0x0
	v_cmpx_lt_u32_e32 2, v1
	s_cbranch_execz .LBB6_51
; %bb.50:
	scratch_load_b128 v[8:11], off, s8
	v_dual_mov_b32 v3, v2 :: v_dual_mov_b32 v4, v2
	v_mov_b32_e32 v5, v2
	scratch_store_b128 off, v[2:5], off offset:32
	s_wait_loadcnt 0x0
	ds_store_b128 v6, v[8:11]
.LBB6_51:
	s_wait_xcnt 0x0
	s_or_b32 exec_lo, exec_lo, s2
	s_wait_storecnt_dscnt 0x0
	s_barrier_signal -1
	s_barrier_wait -1
	s_clause 0x4
	scratch_load_b128 v[8:11], off, off offset:48
	scratch_load_b128 v[28:31], off, off offset:64
	scratch_load_b128 v[32:35], off, off offset:80
	scratch_load_b128 v[36:39], off, off offset:96
	scratch_load_b128 v[40:43], off, off offset:32
	ds_load_b128 v[44:47], v2 offset:160
	ds_load_b128 v[48:51], v2 offset:176
	s_mov_b32 s2, exec_lo
	v_ashrrev_i32_e32 v21, 31, v20
	v_dual_ashrrev_i32 v25, 31, v24 :: v_dual_ashrrev_i32 v19, 31, v18
	v_ashrrev_i32_e32 v23, 31, v22
	v_ashrrev_i32_e32 v27, 31, v26
	s_wait_loadcnt_dscnt 0x401
	v_mul_f64_e32 v[4:5], v[46:47], v[10:11]
	v_mul_f64_e32 v[12:13], v[44:45], v[10:11]
	s_wait_loadcnt_dscnt 0x300
	v_mul_f64_e32 v[52:53], v[48:49], v[30:31]
	v_mul_f64_e32 v[30:31], v[50:51], v[30:31]
	s_delay_alu instid0(VALU_DEP_4) | instskip(NEXT) | instid1(VALU_DEP_4)
	v_fma_f64 v[44:45], v[44:45], v[8:9], -v[4:5]
	v_fmac_f64_e32 v[12:13], v[46:47], v[8:9]
	ds_load_b128 v[8:11], v2 offset:192
	ds_load_b128 v[2:5], v2 offset:208
	v_fmac_f64_e32 v[52:53], v[50:51], v[28:29]
	v_fma_f64 v[28:29], v[48:49], v[28:29], -v[30:31]
	s_wait_loadcnt_dscnt 0x201
	v_mul_f64_e32 v[46:47], v[8:9], v[34:35]
	v_mul_f64_e32 v[34:35], v[10:11], v[34:35]
	v_add_f64_e32 v[30:31], 0, v[44:45]
	v_add_f64_e32 v[12:13], 0, v[12:13]
	s_wait_loadcnt_dscnt 0x100
	v_mul_f64_e32 v[44:45], v[2:3], v[38:39]
	v_mul_f64_e32 v[38:39], v[4:5], v[38:39]
	v_fmac_f64_e32 v[46:47], v[10:11], v[32:33]
	v_fma_f64 v[8:9], v[8:9], v[32:33], -v[34:35]
	v_add_f64_e32 v[10:11], v[30:31], v[28:29]
	v_add_f64_e32 v[12:13], v[12:13], v[52:53]
	v_fmac_f64_e32 v[44:45], v[4:5], v[36:37]
	v_fma_f64 v[2:3], v[2:3], v[36:37], -v[38:39]
	s_delay_alu instid0(VALU_DEP_4) | instskip(NEXT) | instid1(VALU_DEP_4)
	v_add_f64_e32 v[4:5], v[10:11], v[8:9]
	v_add_f64_e32 v[8:9], v[12:13], v[46:47]
	s_delay_alu instid0(VALU_DEP_2) | instskip(NEXT) | instid1(VALU_DEP_2)
	v_add_f64_e32 v[2:3], v[4:5], v[2:3]
	v_add_f64_e32 v[4:5], v[8:9], v[44:45]
	s_wait_loadcnt 0x0
	s_delay_alu instid0(VALU_DEP_2) | instskip(NEXT) | instid1(VALU_DEP_2)
	v_add_f64_e64 v[2:3], v[40:41], -v[2:3]
	v_add_f64_e64 v[4:5], v[42:43], -v[4:5]
	scratch_store_b128 off, v[2:5], off offset:32
	s_wait_xcnt 0x0
	v_cmpx_lt_u32_e32 1, v1
	s_cbranch_execz .LBB6_53
; %bb.52:
	scratch_load_b128 v[2:5], off, s10
	v_mov_b32_e32 v8, 0
	s_delay_alu instid0(VALU_DEP_1)
	v_dual_mov_b32 v9, v8 :: v_dual_mov_b32 v10, v8
	v_mov_b32_e32 v11, v8
	scratch_store_b128 off, v[8:11], off offset:16
	s_wait_loadcnt 0x0
	ds_store_b128 v6, v[2:5]
.LBB6_53:
	s_wait_xcnt 0x0
	s_or_b32 exec_lo, exec_lo, s2
	s_wait_storecnt_dscnt 0x0
	s_barrier_signal -1
	s_barrier_wait -1
	s_clause 0x5
	scratch_load_b128 v[8:11], off, off offset:32
	scratch_load_b128 v[28:31], off, off offset:48
	;; [unrolled: 1-line block ×6, first 2 shown]
	v_mov_b32_e32 v2, 0
	ds_load_b128 v[48:51], v2 offset:144
	ds_load_b128 v[52:55], v2 offset:160
	s_mov_b32 s2, exec_lo
	s_wait_loadcnt_dscnt 0x501
	v_mul_f64_e32 v[4:5], v[50:51], v[10:11]
	v_mul_f64_e32 v[12:13], v[48:49], v[10:11]
	s_wait_loadcnt_dscnt 0x400
	v_mul_f64_e32 v[56:57], v[52:53], v[30:31]
	v_mul_f64_e32 v[30:31], v[54:55], v[30:31]
	s_delay_alu instid0(VALU_DEP_4) | instskip(NEXT) | instid1(VALU_DEP_4)
	v_fma_f64 v[4:5], v[48:49], v[8:9], -v[4:5]
	v_fmac_f64_e32 v[12:13], v[50:51], v[8:9]
	ds_load_b128 v[8:11], v2 offset:176
	ds_load_b128 v[48:51], v2 offset:192
	v_fmac_f64_e32 v[56:57], v[54:55], v[28:29]
	v_fma_f64 v[28:29], v[52:53], v[28:29], -v[30:31]
	s_wait_loadcnt_dscnt 0x301
	v_mul_f64_e32 v[58:59], v[8:9], v[34:35]
	v_mul_f64_e32 v[34:35], v[10:11], v[34:35]
	s_wait_loadcnt_dscnt 0x200
	v_mul_f64_e32 v[30:31], v[48:49], v[38:39]
	v_mul_f64_e32 v[38:39], v[50:51], v[38:39]
	v_add_f64_e32 v[4:5], 0, v[4:5]
	v_add_f64_e32 v[12:13], 0, v[12:13]
	v_fmac_f64_e32 v[58:59], v[10:11], v[32:33]
	v_fma_f64 v[32:33], v[8:9], v[32:33], -v[34:35]
	ds_load_b128 v[8:11], v2 offset:208
	v_fmac_f64_e32 v[30:31], v[50:51], v[36:37]
	v_fma_f64 v[36:37], v[48:49], v[36:37], -v[38:39]
	v_add_f64_e32 v[4:5], v[4:5], v[28:29]
	v_add_f64_e32 v[12:13], v[12:13], v[56:57]
	s_wait_loadcnt_dscnt 0x100
	v_mul_f64_e32 v[28:29], v[8:9], v[42:43]
	v_mul_f64_e32 v[34:35], v[10:11], v[42:43]
	s_delay_alu instid0(VALU_DEP_4) | instskip(NEXT) | instid1(VALU_DEP_4)
	v_add_f64_e32 v[4:5], v[4:5], v[32:33]
	v_add_f64_e32 v[12:13], v[12:13], v[58:59]
	s_delay_alu instid0(VALU_DEP_4) | instskip(NEXT) | instid1(VALU_DEP_4)
	v_fmac_f64_e32 v[28:29], v[10:11], v[40:41]
	v_fma_f64 v[8:9], v[8:9], v[40:41], -v[34:35]
	s_delay_alu instid0(VALU_DEP_4) | instskip(NEXT) | instid1(VALU_DEP_4)
	v_add_f64_e32 v[4:5], v[4:5], v[36:37]
	v_add_f64_e32 v[10:11], v[12:13], v[30:31]
	s_delay_alu instid0(VALU_DEP_2) | instskip(NEXT) | instid1(VALU_DEP_2)
	v_add_f64_e32 v[4:5], v[4:5], v[8:9]
	v_add_f64_e32 v[10:11], v[10:11], v[28:29]
	s_wait_loadcnt 0x0
	s_delay_alu instid0(VALU_DEP_2) | instskip(NEXT) | instid1(VALU_DEP_2)
	v_add_f64_e64 v[8:9], v[44:45], -v[4:5]
	v_add_f64_e64 v[10:11], v[46:47], -v[10:11]
	scratch_store_b128 off, v[8:11], off offset:16
	s_wait_xcnt 0x0
	v_cmpx_ne_u32_e32 0, v1
	s_cbranch_execz .LBB6_55
; %bb.54:
	scratch_load_b128 v[8:11], off, off
	v_dual_mov_b32 v3, v2 :: v_dual_mov_b32 v4, v2
	v_mov_b32_e32 v5, v2
	scratch_store_b128 off, v[2:5], off
	s_wait_loadcnt 0x0
	ds_store_b128 v6, v[8:11]
.LBB6_55:
	s_wait_xcnt 0x0
	s_or_b32 exec_lo, exec_lo, s2
	s_wait_storecnt_dscnt 0x0
	s_barrier_signal -1
	s_barrier_wait -1
	s_clause 0x6
	scratch_load_b128 v[4:7], off, off offset:16
	scratch_load_b128 v[8:11], off, off offset:32
	;; [unrolled: 1-line block ×6, first 2 shown]
	scratch_load_b128 v[44:47], off, off
	ds_load_b128 v[48:51], v2 offset:128
	ds_load_b128 v[52:55], v2 offset:144
	s_and_b32 vcc_lo, exec_lo, s20
	s_wait_loadcnt_dscnt 0x601
	v_mul_f64_e32 v[12:13], v[50:51], v[6:7]
	v_mul_f64_e32 v[56:57], v[48:49], v[6:7]
	s_wait_loadcnt_dscnt 0x500
	v_mul_f64_e32 v[58:59], v[52:53], v[10:11]
	v_mul_f64_e32 v[60:61], v[54:55], v[10:11]
	s_delay_alu instid0(VALU_DEP_4) | instskip(NEXT) | instid1(VALU_DEP_4)
	v_fma_f64 v[48:49], v[48:49], v[4:5], -v[12:13]
	v_fmac_f64_e32 v[56:57], v[50:51], v[4:5]
	ds_load_b128 v[4:7], v2 offset:160
	ds_load_b128 v[10:13], v2 offset:176
	v_fmac_f64_e32 v[58:59], v[54:55], v[8:9]
	v_fma_f64 v[8:9], v[52:53], v[8:9], -v[60:61]
	s_wait_loadcnt_dscnt 0x401
	v_mul_f64_e32 v[50:51], v[4:5], v[30:31]
	v_mul_f64_e32 v[30:31], v[6:7], v[30:31]
	s_wait_loadcnt_dscnt 0x300
	v_mul_f64_e32 v[54:55], v[10:11], v[34:35]
	v_mul_f64_e32 v[34:35], v[12:13], v[34:35]
	v_add_f64_e32 v[48:49], 0, v[48:49]
	v_add_f64_e32 v[52:53], 0, v[56:57]
	v_fmac_f64_e32 v[50:51], v[6:7], v[28:29]
	v_fma_f64 v[56:57], v[4:5], v[28:29], -v[30:31]
	ds_load_b128 v[4:7], v2 offset:192
	ds_load_b128 v[28:31], v2 offset:208
	v_fmac_f64_e32 v[54:55], v[12:13], v[32:33]
	v_fma_f64 v[10:11], v[10:11], v[32:33], -v[34:35]
	v_add_f64_e32 v[8:9], v[48:49], v[8:9]
	v_add_f64_e32 v[48:49], v[52:53], v[58:59]
	s_wait_loadcnt_dscnt 0x201
	v_mul_f64_e32 v[2:3], v[4:5], v[38:39]
	v_mul_f64_e32 v[38:39], v[6:7], v[38:39]
	s_wait_loadcnt_dscnt 0x100
	v_mul_f64_e32 v[32:33], v[28:29], v[42:43]
	v_mul_f64_e32 v[34:35], v[30:31], v[42:43]
	v_add_f64_e32 v[8:9], v[8:9], v[56:57]
	v_add_f64_e32 v[12:13], v[48:49], v[50:51]
	v_fmac_f64_e32 v[2:3], v[6:7], v[36:37]
	v_fma_f64 v[4:5], v[4:5], v[36:37], -v[38:39]
	v_fmac_f64_e32 v[32:33], v[30:31], v[40:41]
	v_add_f64_e32 v[6:7], v[8:9], v[10:11]
	v_add_f64_e32 v[8:9], v[12:13], v[54:55]
	v_fma_f64 v[10:11], v[28:29], v[40:41], -v[34:35]
	s_delay_alu instid0(VALU_DEP_3) | instskip(NEXT) | instid1(VALU_DEP_3)
	v_add_f64_e32 v[4:5], v[6:7], v[4:5]
	v_add_f64_e32 v[2:3], v[8:9], v[2:3]
	v_lshl_add_u64 v[6:7], v[22:23], 4, s[4:5]
	v_lshl_add_u64 v[8:9], v[24:25], 4, s[4:5]
	s_delay_alu instid0(VALU_DEP_4) | instskip(NEXT) | instid1(VALU_DEP_4)
	v_add_f64_e32 v[4:5], v[4:5], v[10:11]
	v_add_f64_e32 v[2:3], v[2:3], v[32:33]
	v_lshl_add_u64 v[10:11], v[26:27], 4, s[4:5]
	s_wait_loadcnt 0x0
	s_delay_alu instid0(VALU_DEP_3) | instskip(NEXT) | instid1(VALU_DEP_3)
	v_add_f64_e64 v[28:29], v[44:45], -v[4:5]
	v_add_f64_e64 v[30:31], v[46:47], -v[2:3]
	v_lshl_add_u64 v[2:3], v[18:19], 4, s[4:5]
	v_lshl_add_u64 v[4:5], v[20:21], 4, s[4:5]
	scratch_store_b128 off, v[28:31], off
	s_cbranch_vccz .LBB6_68
; %bb.56:
	v_mov_b32_e32 v12, 0
	s_load_b64 s[2:3], s[0:1], 0x4
	v_bfe_u32 v18, v0, 10, 10
	v_bfe_u32 v0, v0, 20, 10
	global_load_b32 v13, v12, s[16:17] offset:20
	s_wait_kmcnt 0x0
	s_lshr_b32 s0, s2, 16
	v_mul_u32_u24_e32 v18, s3, v18
	s_mul_i32 s0, s0, s3
	s_delay_alu instid0(SALU_CYCLE_1) | instskip(NEXT) | instid1(VALU_DEP_1)
	v_mul_u32_u24_e32 v1, s0, v1
	v_add3_u32 v0, v1, v18, v0
	s_delay_alu instid0(VALU_DEP_1)
	v_lshl_add_u32 v0, v0, 4, 0xe8
	s_wait_loadcnt 0x0
	v_cmp_ne_u32_e32 vcc_lo, 6, v13
	s_cbranch_vccz .LBB6_58
; %bb.57:
	v_lshlrev_b32_e32 v1, 4, v13
	s_clause 0x1
	scratch_load_b128 v[18:21], off, s12
	scratch_load_b128 v[22:25], v1, off offset:-16
	s_wait_loadcnt 0x1
	ds_store_2addr_b64 v0, v[18:19], v[20:21] offset1:1
	s_wait_loadcnt 0x0
	s_clause 0x1
	scratch_store_b128 off, v[22:25], s12
	scratch_store_b128 v1, v[18:21], off offset:-16
.LBB6_58:
	global_load_b32 v1, v12, s[16:17] offset:16
	s_wait_loadcnt 0x0
	v_cmp_eq_u32_e32 vcc_lo, 5, v1
	s_cbranch_vccnz .LBB6_60
; %bb.59:
	v_lshlrev_b32_e32 v1, 4, v1
	s_clause 0x1
	scratch_load_b128 v[18:21], off, s11
	scratch_load_b128 v[22:25], v1, off offset:-16
	s_wait_loadcnt 0x1
	ds_store_2addr_b64 v0, v[18:19], v[20:21] offset1:1
	s_wait_loadcnt 0x0
	s_clause 0x1
	scratch_store_b128 off, v[22:25], s11
	scratch_store_b128 v1, v[18:21], off offset:-16
.LBB6_60:
	s_wait_xcnt 0x0
	v_mov_b32_e32 v1, 0
	global_load_b32 v12, v1, s[16:17] offset:12
	s_wait_loadcnt 0x0
	v_cmp_eq_u32_e32 vcc_lo, 4, v12
	s_cbranch_vccnz .LBB6_62
; %bb.61:
	v_lshlrev_b32_e32 v12, 4, v12
	s_clause 0x1
	scratch_load_b128 v[18:21], off, s9
	scratch_load_b128 v[22:25], v12, off offset:-16
	s_wait_loadcnt 0x1
	ds_store_2addr_b64 v0, v[18:19], v[20:21] offset1:1
	s_wait_loadcnt 0x0
	s_clause 0x1
	scratch_store_b128 off, v[22:25], s9
	scratch_store_b128 v12, v[18:21], off offset:-16
.LBB6_62:
	global_load_b32 v1, v1, s[16:17] offset:8
	s_wait_loadcnt 0x0
	v_cmp_eq_u32_e32 vcc_lo, 3, v1
	s_cbranch_vccnz .LBB6_64
; %bb.63:
	s_wait_xcnt 0x0
	v_lshlrev_b32_e32 v1, 4, v1
	s_clause 0x1
	scratch_load_b128 v[18:21], off, s8
	scratch_load_b128 v[22:25], v1, off offset:-16
	s_wait_loadcnt 0x1
	ds_store_2addr_b64 v0, v[18:19], v[20:21] offset1:1
	s_wait_loadcnt 0x0
	s_clause 0x1
	scratch_store_b128 off, v[22:25], s8
	scratch_store_b128 v1, v[18:21], off offset:-16
.LBB6_64:
	s_wait_xcnt 0x0
	v_mov_b32_e32 v1, 0
	global_load_b32 v12, v1, s[16:17] offset:4
	s_wait_loadcnt 0x0
	v_cmp_eq_u32_e32 vcc_lo, 2, v12
	s_cbranch_vccnz .LBB6_66
; %bb.65:
	v_lshlrev_b32_e32 v12, 4, v12
	s_clause 0x1
	scratch_load_b128 v[18:21], off, s10
	scratch_load_b128 v[22:25], v12, off offset:-16
	s_wait_loadcnt 0x1
	ds_store_2addr_b64 v0, v[18:19], v[20:21] offset1:1
	s_wait_loadcnt 0x0
	s_clause 0x1
	scratch_store_b128 off, v[22:25], s10
	scratch_store_b128 v12, v[18:21], off offset:-16
.LBB6_66:
	global_load_b32 v1, v1, s[16:17]
	s_wait_loadcnt 0x0
	v_cmp_eq_u32_e32 vcc_lo, 1, v1
	s_cbranch_vccnz .LBB6_68
; %bb.67:
	s_wait_xcnt 0x0
	v_lshlrev_b32_e32 v1, 4, v1
	scratch_load_b128 v[18:21], off, off
	scratch_load_b128 v[22:25], v1, off offset:-16
	s_wait_loadcnt 0x1
	ds_store_2addr_b64 v0, v[18:19], v[20:21] offset1:1
	s_wait_loadcnt 0x0
	scratch_store_b128 off, v[22:25], off
	scratch_store_b128 v1, v[18:21], off offset:-16
.LBB6_68:
	scratch_load_b128 v[18:21], off, off
	s_clause 0x5
	scratch_load_b128 v[22:25], off, s10
	scratch_load_b128 v[26:29], off, s8
	;; [unrolled: 1-line block ×6, first 2 shown]
	s_wait_loadcnt 0x6
	global_store_b128 v[14:15], v[18:21], off
	s_wait_loadcnt 0x5
	global_store_b128 v[16:17], v[22:25], off
	;; [unrolled: 2-line block ×7, first 2 shown]
	s_endpgm
	.section	.rodata,"a",@progbits
	.p2align	6, 0x0
	.amdhsa_kernel _ZN9rocsolver6v33100L18getri_kernel_smallILi7E19rocblas_complex_numIdEPS3_EEvT1_iilPiilS6_bb
		.amdhsa_group_segment_fixed_size 1256
		.amdhsa_private_segment_fixed_size 128
		.amdhsa_kernarg_size 60
		.amdhsa_user_sgpr_count 4
		.amdhsa_user_sgpr_dispatch_ptr 1
		.amdhsa_user_sgpr_queue_ptr 0
		.amdhsa_user_sgpr_kernarg_segment_ptr 1
		.amdhsa_user_sgpr_dispatch_id 0
		.amdhsa_user_sgpr_kernarg_preload_length 0
		.amdhsa_user_sgpr_kernarg_preload_offset 0
		.amdhsa_user_sgpr_private_segment_size 0
		.amdhsa_wavefront_size32 1
		.amdhsa_uses_dynamic_stack 0
		.amdhsa_enable_private_segment 1
		.amdhsa_system_sgpr_workgroup_id_x 1
		.amdhsa_system_sgpr_workgroup_id_y 0
		.amdhsa_system_sgpr_workgroup_id_z 0
		.amdhsa_system_sgpr_workgroup_info 0
		.amdhsa_system_vgpr_workitem_id 2
		.amdhsa_next_free_vgpr 62
		.amdhsa_next_free_sgpr 22
		.amdhsa_named_barrier_count 0
		.amdhsa_reserve_vcc 1
		.amdhsa_float_round_mode_32 0
		.amdhsa_float_round_mode_16_64 0
		.amdhsa_float_denorm_mode_32 3
		.amdhsa_float_denorm_mode_16_64 3
		.amdhsa_fp16_overflow 0
		.amdhsa_memory_ordered 1
		.amdhsa_forward_progress 1
		.amdhsa_inst_pref_size 47
		.amdhsa_round_robin_scheduling 0
		.amdhsa_exception_fp_ieee_invalid_op 0
		.amdhsa_exception_fp_denorm_src 0
		.amdhsa_exception_fp_ieee_div_zero 0
		.amdhsa_exception_fp_ieee_overflow 0
		.amdhsa_exception_fp_ieee_underflow 0
		.amdhsa_exception_fp_ieee_inexact 0
		.amdhsa_exception_int_div_zero 0
	.end_amdhsa_kernel
	.section	.text._ZN9rocsolver6v33100L18getri_kernel_smallILi7E19rocblas_complex_numIdEPS3_EEvT1_iilPiilS6_bb,"axG",@progbits,_ZN9rocsolver6v33100L18getri_kernel_smallILi7E19rocblas_complex_numIdEPS3_EEvT1_iilPiilS6_bb,comdat
.Lfunc_end6:
	.size	_ZN9rocsolver6v33100L18getri_kernel_smallILi7E19rocblas_complex_numIdEPS3_EEvT1_iilPiilS6_bb, .Lfunc_end6-_ZN9rocsolver6v33100L18getri_kernel_smallILi7E19rocblas_complex_numIdEPS3_EEvT1_iilPiilS6_bb
                                        ; -- End function
	.set _ZN9rocsolver6v33100L18getri_kernel_smallILi7E19rocblas_complex_numIdEPS3_EEvT1_iilPiilS6_bb.num_vgpr, 62
	.set _ZN9rocsolver6v33100L18getri_kernel_smallILi7E19rocblas_complex_numIdEPS3_EEvT1_iilPiilS6_bb.num_agpr, 0
	.set _ZN9rocsolver6v33100L18getri_kernel_smallILi7E19rocblas_complex_numIdEPS3_EEvT1_iilPiilS6_bb.numbered_sgpr, 22
	.set _ZN9rocsolver6v33100L18getri_kernel_smallILi7E19rocblas_complex_numIdEPS3_EEvT1_iilPiilS6_bb.num_named_barrier, 0
	.set _ZN9rocsolver6v33100L18getri_kernel_smallILi7E19rocblas_complex_numIdEPS3_EEvT1_iilPiilS6_bb.private_seg_size, 128
	.set _ZN9rocsolver6v33100L18getri_kernel_smallILi7E19rocblas_complex_numIdEPS3_EEvT1_iilPiilS6_bb.uses_vcc, 1
	.set _ZN9rocsolver6v33100L18getri_kernel_smallILi7E19rocblas_complex_numIdEPS3_EEvT1_iilPiilS6_bb.uses_flat_scratch, 1
	.set _ZN9rocsolver6v33100L18getri_kernel_smallILi7E19rocblas_complex_numIdEPS3_EEvT1_iilPiilS6_bb.has_dyn_sized_stack, 0
	.set _ZN9rocsolver6v33100L18getri_kernel_smallILi7E19rocblas_complex_numIdEPS3_EEvT1_iilPiilS6_bb.has_recursion, 0
	.set _ZN9rocsolver6v33100L18getri_kernel_smallILi7E19rocblas_complex_numIdEPS3_EEvT1_iilPiilS6_bb.has_indirect_call, 0
	.section	.AMDGPU.csdata,"",@progbits
; Kernel info:
; codeLenInByte = 5924
; TotalNumSgprs: 24
; NumVgprs: 62
; ScratchSize: 128
; MemoryBound: 0
; FloatMode: 240
; IeeeMode: 1
; LDSByteSize: 1256 bytes/workgroup (compile time only)
; SGPRBlocks: 0
; VGPRBlocks: 3
; NumSGPRsForWavesPerEU: 24
; NumVGPRsForWavesPerEU: 62
; NamedBarCnt: 0
; Occupancy: 16
; WaveLimiterHint : 1
; COMPUTE_PGM_RSRC2:SCRATCH_EN: 1
; COMPUTE_PGM_RSRC2:USER_SGPR: 4
; COMPUTE_PGM_RSRC2:TRAP_HANDLER: 0
; COMPUTE_PGM_RSRC2:TGID_X_EN: 1
; COMPUTE_PGM_RSRC2:TGID_Y_EN: 0
; COMPUTE_PGM_RSRC2:TGID_Z_EN: 0
; COMPUTE_PGM_RSRC2:TIDIG_COMP_CNT: 2
	.section	.text._ZN9rocsolver6v33100L18getri_kernel_smallILi8E19rocblas_complex_numIdEPS3_EEvT1_iilPiilS6_bb,"axG",@progbits,_ZN9rocsolver6v33100L18getri_kernel_smallILi8E19rocblas_complex_numIdEPS3_EEvT1_iilPiilS6_bb,comdat
	.globl	_ZN9rocsolver6v33100L18getri_kernel_smallILi8E19rocblas_complex_numIdEPS3_EEvT1_iilPiilS6_bb ; -- Begin function _ZN9rocsolver6v33100L18getri_kernel_smallILi8E19rocblas_complex_numIdEPS3_EEvT1_iilPiilS6_bb
	.p2align	8
	.type	_ZN9rocsolver6v33100L18getri_kernel_smallILi8E19rocblas_complex_numIdEPS3_EEvT1_iilPiilS6_bb,@function
_ZN9rocsolver6v33100L18getri_kernel_smallILi8E19rocblas_complex_numIdEPS3_EEvT1_iilPiilS6_bb: ; @_ZN9rocsolver6v33100L18getri_kernel_smallILi8E19rocblas_complex_numIdEPS3_EEvT1_iilPiilS6_bb
; %bb.0:
	v_and_b32_e32 v1, 0x3ff, v0
	s_mov_b32 s4, exec_lo
	s_delay_alu instid0(VALU_DEP_1)
	v_cmpx_gt_u32_e32 8, v1
	s_cbranch_execz .LBB7_46
; %bb.1:
	s_clause 0x2
	s_load_b32 s8, s[2:3], 0x38
	s_load_b128 s[12:15], s[2:3], 0x10
	s_load_b128 s[4:7], s[2:3], 0x28
	s_getreg_b32 s11, hwreg(HW_REG_IB_STS2, 6, 4)
                                        ; implicit-def: $sgpr16_sgpr17
	s_wait_kmcnt 0x0
	s_bitcmp1_b32 s8, 8
	s_cselect_b32 s20, -1, 0
	s_bfe_u32 s9, ttmp6, 0x4000c
	s_and_b32 s10, ttmp6, 15
	s_add_co_i32 s9, s9, 1
	s_delay_alu instid0(SALU_CYCLE_1) | instskip(NEXT) | instid1(SALU_CYCLE_1)
	s_mul_i32 s9, ttmp9, s9
	s_add_co_i32 s10, s10, s9
	s_cmp_eq_u32 s11, 0
	s_cselect_b32 s18, ttmp9, s10
	s_bfe_u32 s8, s8, 0x10008
	s_ashr_i32 s19, s18, 31
	s_cmp_eq_u32 s8, 0
	s_cbranch_scc1 .LBB7_3
; %bb.2:
	s_load_b32 s8, s[2:3], 0x20
	s_mul_u64 s[4:5], s[4:5], s[18:19]
	s_delay_alu instid0(SALU_CYCLE_1) | instskip(NEXT) | instid1(SALU_CYCLE_1)
	s_lshl_b64 s[4:5], s[4:5], 2
	s_add_nc_u64 s[4:5], s[14:15], s[4:5]
	s_wait_kmcnt 0x0
	s_ashr_i32 s9, s8, 31
	s_delay_alu instid0(SALU_CYCLE_1) | instskip(NEXT) | instid1(SALU_CYCLE_1)
	s_lshl_b64 s[8:9], s[8:9], 2
	s_add_nc_u64 s[16:17], s[4:5], s[8:9]
.LBB7_3:
	s_clause 0x1
	s_load_b128 s[8:11], s[2:3], 0x0
	s_load_b32 s15, s[2:3], 0x38
	s_wait_xcnt 0x0
	s_mul_u64 s[2:3], s[12:13], s[18:19]
	v_dual_mov_b32 v31, 0 :: v_dual_lshlrev_b32 v30, 4, v1
	s_lshl_b64 s[2:3], s[2:3], 4
	s_movk_i32 s12, 0x50
	s_movk_i32 s13, 0x60
	;; [unrolled: 1-line block ×3, first 2 shown]
	s_wait_kmcnt 0x0
	v_add3_u32 v18, s11, s11, v1
	s_ashr_i32 s5, s10, 31
	s_mov_b32 s4, s10
	s_add_nc_u64 s[2:3], s[8:9], s[2:3]
	s_lshl_b64 s[4:5], s[4:5], 4
	v_add_nc_u32_e32 v20, s11, v18
	s_add_nc_u64 s[4:5], s[2:3], s[4:5]
	s_ashr_i32 s3, s11, 31
	v_add_nc_u64_e32 v[14:15], s[4:5], v[30:31]
	s_mov_b32 s2, s11
	v_add_nc_u32_e32 v22, s11, v20
	s_mov_b32 s10, 16
	s_mov_b32 s8, 32
	;; [unrolled: 1-line block ×3, first 2 shown]
	s_bitcmp0_b32 s15, 0
	v_add_nc_u32_e32 v24, s11, v22
	v_lshl_add_u64 v[16:17], s[2:3], 4, v[14:15]
	s_mov_b32 s3, -1
	s_delay_alu instid0(VALU_DEP_2)
	v_add_nc_u32_e32 v26, s11, v24
	s_clause 0x3
	global_load_b128 v[2:5], v18, s[4:5] scale_offset
	global_load_b128 v[6:9], v20, s[4:5] scale_offset
	;; [unrolled: 1-line block ×3, first 2 shown]
	global_load_b128 v[32:35], v[16:17], off
	v_add_nc_u32_e32 v28, s11, v26
	s_clause 0x1
	global_load_b128 v[36:39], v22, s[4:5] scale_offset
	global_load_b128 v[40:43], v24, s[4:5] scale_offset
	s_mov_b32 s11, 64
	s_clause 0x1
	global_load_b128 v[44:47], v26, s[4:5] scale_offset
	global_load_b128 v[48:51], v28, s[4:5] scale_offset
	s_wait_loadcnt 0x7
	scratch_store_b128 off, v[2:5], off offset:32
	s_wait_loadcnt 0x6
	scratch_store_b128 off, v[6:9], off offset:48
	s_wait_loadcnt 0x5
	scratch_store_b128 off, v[10:13], off
	s_wait_loadcnt 0x4
	scratch_store_b128 off, v[32:35], off offset:16
	s_wait_loadcnt 0x3
	scratch_store_b128 off, v[36:39], off offset:64
	s_wait_loadcnt 0x2
	scratch_store_b128 off, v[40:43], off offset:80
	s_wait_loadcnt 0x1
	scratch_store_b128 off, v[44:47], off offset:96
	s_wait_loadcnt 0x0
	scratch_store_b128 off, v[48:51], off offset:112
	s_cbranch_scc1 .LBB7_44
; %bb.4:
	v_cmp_eq_u32_e64 s2, 0, v1
	s_wait_xcnt 0x0
	s_and_saveexec_b32 s3, s2
; %bb.5:
	v_mov_b32_e32 v2, 0
	ds_store_b32 v2, v2 offset:256
; %bb.6:
	s_or_b32 exec_lo, exec_lo, s3
	s_wait_storecnt_dscnt 0x0
	s_barrier_signal -1
	s_barrier_wait -1
	scratch_load_b128 v[2:5], v1, off scale_offset
	s_wait_loadcnt 0x0
	v_cmp_eq_f64_e32 vcc_lo, 0, v[2:3]
	v_cmp_eq_f64_e64 s3, 0, v[4:5]
	s_and_b32 s3, vcc_lo, s3
	s_delay_alu instid0(SALU_CYCLE_1)
	s_and_saveexec_b32 s15, s3
	s_cbranch_execz .LBB7_10
; %bb.7:
	v_mov_b32_e32 v2, 0
	s_mov_b32 s21, 0
	ds_load_b32 v3, v2 offset:256
	s_wait_dscnt 0x0
	v_readfirstlane_b32 s3, v3
	v_add_nc_u32_e32 v3, 1, v1
	s_cmp_eq_u32 s3, 0
	s_delay_alu instid0(VALU_DEP_1) | instskip(SKIP_1) | instid1(SALU_CYCLE_1)
	v_cmp_gt_i32_e32 vcc_lo, s3, v3
	s_cselect_b32 s22, -1, 0
	s_or_b32 s22, s22, vcc_lo
	s_delay_alu instid0(SALU_CYCLE_1)
	s_and_b32 exec_lo, exec_lo, s22
	s_cbranch_execz .LBB7_10
; %bb.8:
	v_mov_b32_e32 v4, s3
.LBB7_9:                                ; =>This Inner Loop Header: Depth=1
	ds_cmpstore_rtn_b32 v4, v2, v3, v4 offset:256
	s_wait_dscnt 0x0
	v_cmp_ne_u32_e32 vcc_lo, 0, v4
	v_cmp_le_i32_e64 s3, v4, v3
	s_and_b32 s3, vcc_lo, s3
	s_delay_alu instid0(SALU_CYCLE_1) | instskip(NEXT) | instid1(SALU_CYCLE_1)
	s_and_b32 s3, exec_lo, s3
	s_or_b32 s21, s3, s21
	s_delay_alu instid0(SALU_CYCLE_1)
	s_and_not1_b32 exec_lo, exec_lo, s21
	s_cbranch_execnz .LBB7_9
.LBB7_10:
	s_or_b32 exec_lo, exec_lo, s15
	v_mov_b32_e32 v2, 0
	s_barrier_signal -1
	s_barrier_wait -1
	ds_load_b32 v3, v2 offset:256
	s_and_saveexec_b32 s3, s2
	s_cbranch_execz .LBB7_12
; %bb.11:
	s_lshl_b64 s[22:23], s[18:19], 2
	s_delay_alu instid0(SALU_CYCLE_1)
	s_add_nc_u64 s[22:23], s[6:7], s[22:23]
	s_wait_dscnt 0x0
	global_store_b32 v2, v3, s[22:23]
.LBB7_12:
	s_wait_xcnt 0x0
	s_or_b32 exec_lo, exec_lo, s3
	s_wait_dscnt 0x0
	v_cmp_ne_u32_e32 vcc_lo, 0, v3
	s_mov_b32 s3, 0
	s_cbranch_vccnz .LBB7_44
; %bb.13:
	v_lshl_add_u32 v19, v1, 4, 0
                                        ; implicit-def: $vgpr6_vgpr7
                                        ; implicit-def: $vgpr10_vgpr11
	scratch_load_b128 v[2:5], v19, off
	s_wait_loadcnt 0x0
	v_cmp_ngt_f64_e64 s3, |v[2:3]|, |v[4:5]|
	s_wait_xcnt 0x0
	s_and_saveexec_b32 s15, s3
	s_delay_alu instid0(SALU_CYCLE_1)
	s_xor_b32 s3, exec_lo, s15
	s_cbranch_execz .LBB7_15
; %bb.14:
	v_div_scale_f64 v[6:7], null, v[4:5], v[4:5], v[2:3]
	v_div_scale_f64 v[12:13], vcc_lo, v[2:3], v[4:5], v[2:3]
	s_delay_alu instid0(VALU_DEP_2) | instskip(SKIP_1) | instid1(TRANS32_DEP_1)
	v_rcp_f64_e32 v[8:9], v[6:7]
	v_nop
	v_fma_f64 v[10:11], -v[6:7], v[8:9], 1.0
	s_delay_alu instid0(VALU_DEP_1) | instskip(NEXT) | instid1(VALU_DEP_1)
	v_fmac_f64_e32 v[8:9], v[8:9], v[10:11]
	v_fma_f64 v[10:11], -v[6:7], v[8:9], 1.0
	s_delay_alu instid0(VALU_DEP_1) | instskip(NEXT) | instid1(VALU_DEP_1)
	v_fmac_f64_e32 v[8:9], v[8:9], v[10:11]
	v_mul_f64_e32 v[10:11], v[12:13], v[8:9]
	s_delay_alu instid0(VALU_DEP_1) | instskip(NEXT) | instid1(VALU_DEP_1)
	v_fma_f64 v[6:7], -v[6:7], v[10:11], v[12:13]
	v_div_fmas_f64 v[6:7], v[6:7], v[8:9], v[10:11]
	s_delay_alu instid0(VALU_DEP_1) | instskip(NEXT) | instid1(VALU_DEP_1)
	v_div_fixup_f64 v[6:7], v[6:7], v[4:5], v[2:3]
	v_fmac_f64_e32 v[4:5], v[2:3], v[6:7]
	s_delay_alu instid0(VALU_DEP_1) | instskip(SKIP_1) | instid1(VALU_DEP_2)
	v_div_scale_f64 v[2:3], null, v[4:5], v[4:5], 1.0
	v_div_scale_f64 v[12:13], vcc_lo, 1.0, v[4:5], 1.0
	v_rcp_f64_e32 v[8:9], v[2:3]
	v_nop
	s_delay_alu instid0(TRANS32_DEP_1) | instskip(NEXT) | instid1(VALU_DEP_1)
	v_fma_f64 v[10:11], -v[2:3], v[8:9], 1.0
	v_fmac_f64_e32 v[8:9], v[8:9], v[10:11]
	s_delay_alu instid0(VALU_DEP_1) | instskip(NEXT) | instid1(VALU_DEP_1)
	v_fma_f64 v[10:11], -v[2:3], v[8:9], 1.0
	v_fmac_f64_e32 v[8:9], v[8:9], v[10:11]
	s_delay_alu instid0(VALU_DEP_1) | instskip(NEXT) | instid1(VALU_DEP_1)
	v_mul_f64_e32 v[10:11], v[12:13], v[8:9]
	v_fma_f64 v[2:3], -v[2:3], v[10:11], v[12:13]
	s_delay_alu instid0(VALU_DEP_1) | instskip(NEXT) | instid1(VALU_DEP_1)
	v_div_fmas_f64 v[2:3], v[2:3], v[8:9], v[10:11]
	v_div_fixup_f64 v[8:9], v[2:3], v[4:5], 1.0
                                        ; implicit-def: $vgpr2_vgpr3
	s_delay_alu instid0(VALU_DEP_1) | instskip(SKIP_1) | instid1(VALU_DEP_2)
	v_mul_f64_e32 v[6:7], v[6:7], v[8:9]
	v_xor_b32_e32 v9, 0x80000000, v9
	v_xor_b32_e32 v11, 0x80000000, v7
	s_delay_alu instid0(VALU_DEP_3)
	v_mov_b32_e32 v10, v6
.LBB7_15:
	s_and_not1_saveexec_b32 s3, s3
	s_cbranch_execz .LBB7_17
; %bb.16:
	v_div_scale_f64 v[6:7], null, v[2:3], v[2:3], v[4:5]
	v_div_scale_f64 v[12:13], vcc_lo, v[4:5], v[2:3], v[4:5]
	s_delay_alu instid0(VALU_DEP_2) | instskip(SKIP_1) | instid1(TRANS32_DEP_1)
	v_rcp_f64_e32 v[8:9], v[6:7]
	v_nop
	v_fma_f64 v[10:11], -v[6:7], v[8:9], 1.0
	s_delay_alu instid0(VALU_DEP_1) | instskip(NEXT) | instid1(VALU_DEP_1)
	v_fmac_f64_e32 v[8:9], v[8:9], v[10:11]
	v_fma_f64 v[10:11], -v[6:7], v[8:9], 1.0
	s_delay_alu instid0(VALU_DEP_1) | instskip(NEXT) | instid1(VALU_DEP_1)
	v_fmac_f64_e32 v[8:9], v[8:9], v[10:11]
	v_mul_f64_e32 v[10:11], v[12:13], v[8:9]
	s_delay_alu instid0(VALU_DEP_1) | instskip(NEXT) | instid1(VALU_DEP_1)
	v_fma_f64 v[6:7], -v[6:7], v[10:11], v[12:13]
	v_div_fmas_f64 v[6:7], v[6:7], v[8:9], v[10:11]
	s_delay_alu instid0(VALU_DEP_1) | instskip(NEXT) | instid1(VALU_DEP_1)
	v_div_fixup_f64 v[8:9], v[6:7], v[2:3], v[4:5]
	v_fmac_f64_e32 v[2:3], v[4:5], v[8:9]
	s_delay_alu instid0(VALU_DEP_1) | instskip(NEXT) | instid1(VALU_DEP_1)
	v_div_scale_f64 v[4:5], null, v[2:3], v[2:3], 1.0
	v_rcp_f64_e32 v[6:7], v[4:5]
	v_nop
	s_delay_alu instid0(TRANS32_DEP_1) | instskip(NEXT) | instid1(VALU_DEP_1)
	v_fma_f64 v[10:11], -v[4:5], v[6:7], 1.0
	v_fmac_f64_e32 v[6:7], v[6:7], v[10:11]
	s_delay_alu instid0(VALU_DEP_1) | instskip(NEXT) | instid1(VALU_DEP_1)
	v_fma_f64 v[10:11], -v[4:5], v[6:7], 1.0
	v_fmac_f64_e32 v[6:7], v[6:7], v[10:11]
	v_div_scale_f64 v[10:11], vcc_lo, 1.0, v[2:3], 1.0
	s_delay_alu instid0(VALU_DEP_1) | instskip(NEXT) | instid1(VALU_DEP_1)
	v_mul_f64_e32 v[12:13], v[10:11], v[6:7]
	v_fma_f64 v[4:5], -v[4:5], v[12:13], v[10:11]
	s_delay_alu instid0(VALU_DEP_1) | instskip(NEXT) | instid1(VALU_DEP_1)
	v_div_fmas_f64 v[4:5], v[4:5], v[6:7], v[12:13]
	v_div_fixup_f64 v[6:7], v[4:5], v[2:3], 1.0
	s_delay_alu instid0(VALU_DEP_1)
	v_mul_f64_e64 v[8:9], v[8:9], -v[6:7]
	v_xor_b32_e32 v11, 0x80000000, v7
	v_mov_b32_e32 v10, v6
.LBB7_17:
	s_or_b32 exec_lo, exec_lo, s3
	s_clause 0x1
	scratch_store_b128 v19, v[6:9], off
	scratch_load_b128 v[2:5], off, s10
	v_xor_b32_e32 v13, 0x80000000, v9
	v_mov_b32_e32 v12, v8
	s_wait_xcnt 0x1
	v_add_nc_u32_e32 v6, 0x80, v30
	ds_store_b128 v30, v[10:13]
	s_wait_loadcnt 0x0
	ds_store_b128 v30, v[2:5] offset:128
	s_wait_storecnt_dscnt 0x0
	s_barrier_signal -1
	s_barrier_wait -1
	s_wait_xcnt 0x0
	s_and_saveexec_b32 s3, s2
	s_cbranch_execz .LBB7_19
; %bb.18:
	scratch_load_b128 v[2:5], v19, off
	ds_load_b128 v[8:11], v6
	v_mov_b32_e32 v7, 0
	ds_load_b128 v[32:35], v7 offset:16
	s_wait_loadcnt_dscnt 0x1
	v_mul_f64_e32 v[12:13], v[8:9], v[4:5]
	v_mul_f64_e32 v[4:5], v[10:11], v[4:5]
	s_delay_alu instid0(VALU_DEP_2) | instskip(NEXT) | instid1(VALU_DEP_2)
	v_fmac_f64_e32 v[12:13], v[10:11], v[2:3]
	v_fma_f64 v[2:3], v[8:9], v[2:3], -v[4:5]
	s_delay_alu instid0(VALU_DEP_2) | instskip(NEXT) | instid1(VALU_DEP_2)
	v_add_f64_e32 v[8:9], 0, v[12:13]
	v_add_f64_e32 v[2:3], 0, v[2:3]
	s_wait_dscnt 0x0
	s_delay_alu instid0(VALU_DEP_2) | instskip(NEXT) | instid1(VALU_DEP_2)
	v_mul_f64_e32 v[10:11], v[8:9], v[34:35]
	v_mul_f64_e32 v[4:5], v[2:3], v[34:35]
	s_delay_alu instid0(VALU_DEP_2) | instskip(NEXT) | instid1(VALU_DEP_2)
	v_fma_f64 v[2:3], v[2:3], v[32:33], -v[10:11]
	v_fmac_f64_e32 v[4:5], v[8:9], v[32:33]
	scratch_store_b128 off, v[2:5], off offset:16
.LBB7_19:
	s_wait_xcnt 0x0
	s_or_b32 exec_lo, exec_lo, s3
	s_wait_storecnt 0x0
	s_barrier_signal -1
	s_barrier_wait -1
	scratch_load_b128 v[2:5], off, s8
	s_mov_b32 s3, exec_lo
	s_wait_loadcnt 0x0
	ds_store_b128 v6, v[2:5]
	s_wait_dscnt 0x0
	s_barrier_signal -1
	s_barrier_wait -1
	v_cmpx_gt_u32_e32 2, v1
	s_cbranch_execz .LBB7_23
; %bb.20:
	scratch_load_b128 v[2:5], v19, off
	ds_load_b128 v[8:11], v6
	s_wait_loadcnt_dscnt 0x0
	v_mul_f64_e32 v[12:13], v[10:11], v[4:5]
	v_mul_f64_e32 v[32:33], v[8:9], v[4:5]
	s_delay_alu instid0(VALU_DEP_2) | instskip(NEXT) | instid1(VALU_DEP_2)
	v_fma_f64 v[4:5], v[8:9], v[2:3], -v[12:13]
	v_fmac_f64_e32 v[32:33], v[10:11], v[2:3]
	s_delay_alu instid0(VALU_DEP_2) | instskip(NEXT) | instid1(VALU_DEP_2)
	v_add_f64_e32 v[4:5], 0, v[4:5]
	v_add_f64_e32 v[2:3], 0, v[32:33]
	s_and_saveexec_b32 s15, s2
	s_cbranch_execz .LBB7_22
; %bb.21:
	scratch_load_b128 v[8:11], off, off offset:16
	v_mov_b32_e32 v7, 0
	ds_load_b128 v[32:35], v7 offset:144
	s_wait_loadcnt_dscnt 0x0
	v_mul_f64_e32 v[12:13], v[32:33], v[10:11]
	v_mul_f64_e32 v[10:11], v[34:35], v[10:11]
	s_delay_alu instid0(VALU_DEP_2) | instskip(NEXT) | instid1(VALU_DEP_2)
	v_fmac_f64_e32 v[12:13], v[34:35], v[8:9]
	v_fma_f64 v[8:9], v[32:33], v[8:9], -v[10:11]
	s_delay_alu instid0(VALU_DEP_2) | instskip(NEXT) | instid1(VALU_DEP_2)
	v_add_f64_e32 v[2:3], v[2:3], v[12:13]
	v_add_f64_e32 v[4:5], v[4:5], v[8:9]
.LBB7_22:
	s_or_b32 exec_lo, exec_lo, s15
	v_mov_b32_e32 v7, 0
	ds_load_b128 v[8:11], v7 offset:32
	s_wait_dscnt 0x0
	v_mul_f64_e32 v[32:33], v[2:3], v[10:11]
	v_mul_f64_e32 v[12:13], v[4:5], v[10:11]
	s_delay_alu instid0(VALU_DEP_2) | instskip(NEXT) | instid1(VALU_DEP_2)
	v_fma_f64 v[10:11], v[4:5], v[8:9], -v[32:33]
	v_fmac_f64_e32 v[12:13], v[2:3], v[8:9]
	scratch_store_b128 off, v[10:13], off offset:32
.LBB7_23:
	s_wait_xcnt 0x0
	s_or_b32 exec_lo, exec_lo, s3
	s_wait_storecnt 0x0
	s_barrier_signal -1
	s_barrier_wait -1
	scratch_load_b128 v[2:5], off, s9
	v_add_nc_u32_e32 v7, -1, v1
	s_mov_b32 s2, exec_lo
	s_wait_loadcnt 0x0
	ds_store_b128 v6, v[2:5]
	s_wait_dscnt 0x0
	s_barrier_signal -1
	s_barrier_wait -1
	v_cmpx_gt_u32_e32 3, v1
	s_cbranch_execz .LBB7_27
; %bb.24:
	v_dual_mov_b32 v10, v30 :: v_dual_add_nc_u32 v8, -1, v1
	v_mov_b64_e32 v[2:3], 0
	v_mov_b64_e32 v[4:5], 0
	v_add_nc_u32_e32 v9, 0x80, v30
	s_delay_alu instid0(VALU_DEP_4)
	v_or_b32_e32 v10, 8, v10
	s_mov_b32 s3, 0
.LBB7_25:                               ; =>This Inner Loop Header: Depth=1
	scratch_load_b128 v[32:35], v10, off offset:-8
	ds_load_b128 v[36:39], v9
	v_dual_add_nc_u32 v8, 1, v8 :: v_dual_add_nc_u32 v9, 16, v9
	s_wait_xcnt 0x0
	v_add_nc_u32_e32 v10, 16, v10
	s_delay_alu instid0(VALU_DEP_2) | instskip(SKIP_4) | instid1(VALU_DEP_2)
	v_cmp_lt_u32_e32 vcc_lo, 1, v8
	s_or_b32 s3, vcc_lo, s3
	s_wait_loadcnt_dscnt 0x0
	v_mul_f64_e32 v[12:13], v[38:39], v[34:35]
	v_mul_f64_e32 v[34:35], v[36:37], v[34:35]
	v_fma_f64 v[12:13], v[36:37], v[32:33], -v[12:13]
	s_delay_alu instid0(VALU_DEP_2) | instskip(NEXT) | instid1(VALU_DEP_2)
	v_fmac_f64_e32 v[34:35], v[38:39], v[32:33]
	v_add_f64_e32 v[4:5], v[4:5], v[12:13]
	s_delay_alu instid0(VALU_DEP_2)
	v_add_f64_e32 v[2:3], v[2:3], v[34:35]
	s_and_not1_b32 exec_lo, exec_lo, s3
	s_cbranch_execnz .LBB7_25
; %bb.26:
	s_or_b32 exec_lo, exec_lo, s3
	v_mov_b32_e32 v8, 0
	ds_load_b128 v[8:11], v8 offset:48
	s_wait_dscnt 0x0
	v_mul_f64_e32 v[32:33], v[2:3], v[10:11]
	v_mul_f64_e32 v[12:13], v[4:5], v[10:11]
	s_delay_alu instid0(VALU_DEP_2) | instskip(NEXT) | instid1(VALU_DEP_2)
	v_fma_f64 v[10:11], v[4:5], v[8:9], -v[32:33]
	v_fmac_f64_e32 v[12:13], v[2:3], v[8:9]
	scratch_store_b128 off, v[10:13], off offset:48
.LBB7_27:
	s_wait_xcnt 0x0
	s_or_b32 exec_lo, exec_lo, s2
	s_wait_storecnt 0x0
	s_barrier_signal -1
	s_barrier_wait -1
	scratch_load_b128 v[2:5], off, s11
	s_mov_b32 s2, exec_lo
	s_wait_loadcnt 0x0
	ds_store_b128 v6, v[2:5]
	s_wait_dscnt 0x0
	s_barrier_signal -1
	s_barrier_wait -1
	v_cmpx_gt_u32_e32 4, v1
	s_cbranch_execz .LBB7_31
; %bb.28:
	v_dual_mov_b32 v10, v30 :: v_dual_add_nc_u32 v8, -1, v1
	v_mov_b64_e32 v[2:3], 0
	v_mov_b64_e32 v[4:5], 0
	v_add_nc_u32_e32 v9, 0x80, v30
	s_delay_alu instid0(VALU_DEP_4)
	v_or_b32_e32 v10, 8, v10
	s_mov_b32 s3, 0
.LBB7_29:                               ; =>This Inner Loop Header: Depth=1
	scratch_load_b128 v[32:35], v10, off offset:-8
	ds_load_b128 v[36:39], v9
	v_dual_add_nc_u32 v8, 1, v8 :: v_dual_add_nc_u32 v9, 16, v9
	s_wait_xcnt 0x0
	v_add_nc_u32_e32 v10, 16, v10
	s_delay_alu instid0(VALU_DEP_2) | instskip(SKIP_4) | instid1(VALU_DEP_2)
	v_cmp_lt_u32_e32 vcc_lo, 2, v8
	s_or_b32 s3, vcc_lo, s3
	s_wait_loadcnt_dscnt 0x0
	v_mul_f64_e32 v[12:13], v[38:39], v[34:35]
	v_mul_f64_e32 v[34:35], v[36:37], v[34:35]
	v_fma_f64 v[12:13], v[36:37], v[32:33], -v[12:13]
	s_delay_alu instid0(VALU_DEP_2) | instskip(NEXT) | instid1(VALU_DEP_2)
	v_fmac_f64_e32 v[34:35], v[38:39], v[32:33]
	v_add_f64_e32 v[4:5], v[4:5], v[12:13]
	s_delay_alu instid0(VALU_DEP_2)
	v_add_f64_e32 v[2:3], v[2:3], v[34:35]
	s_and_not1_b32 exec_lo, exec_lo, s3
	s_cbranch_execnz .LBB7_29
; %bb.30:
	s_or_b32 exec_lo, exec_lo, s3
	v_mov_b32_e32 v8, 0
	ds_load_b128 v[8:11], v8 offset:64
	s_wait_dscnt 0x0
	v_mul_f64_e32 v[32:33], v[2:3], v[10:11]
	v_mul_f64_e32 v[12:13], v[4:5], v[10:11]
	s_delay_alu instid0(VALU_DEP_2) | instskip(NEXT) | instid1(VALU_DEP_2)
	v_fma_f64 v[10:11], v[4:5], v[8:9], -v[32:33]
	v_fmac_f64_e32 v[12:13], v[2:3], v[8:9]
	scratch_store_b128 off, v[10:13], off offset:64
.LBB7_31:
	s_wait_xcnt 0x0
	s_or_b32 exec_lo, exec_lo, s2
	s_wait_storecnt 0x0
	s_barrier_signal -1
	s_barrier_wait -1
	scratch_load_b128 v[2:5], off, s12
	;; [unrolled: 54-line block ×4, first 2 shown]
	s_mov_b32 s2, exec_lo
	s_wait_loadcnt 0x0
	ds_store_b128 v6, v[2:5]
	s_wait_dscnt 0x0
	s_barrier_signal -1
	s_barrier_wait -1
	v_cmpx_ne_u32_e32 7, v1
	s_cbranch_execz .LBB7_43
; %bb.40:
	v_mov_b32_e32 v8, v30
	v_mov_b64_e32 v[2:3], 0
	v_mov_b64_e32 v[4:5], 0
	s_mov_b32 s3, 0
	s_delay_alu instid0(VALU_DEP_3)
	v_or_b32_e32 v8, 8, v8
.LBB7_41:                               ; =>This Inner Loop Header: Depth=1
	scratch_load_b128 v[10:13], v8, off offset:-8
	ds_load_b128 v[30:33], v6
	v_dual_add_nc_u32 v7, 1, v7 :: v_dual_add_nc_u32 v6, 16, v6
	s_wait_xcnt 0x0
	v_add_nc_u32_e32 v8, 16, v8
	s_delay_alu instid0(VALU_DEP_2) | instskip(SKIP_4) | instid1(VALU_DEP_2)
	v_cmp_lt_u32_e32 vcc_lo, 5, v7
	s_or_b32 s3, vcc_lo, s3
	s_wait_loadcnt_dscnt 0x0
	v_mul_f64_e32 v[34:35], v[32:33], v[12:13]
	v_mul_f64_e32 v[12:13], v[30:31], v[12:13]
	v_fma_f64 v[30:31], v[30:31], v[10:11], -v[34:35]
	s_delay_alu instid0(VALU_DEP_2) | instskip(NEXT) | instid1(VALU_DEP_2)
	v_fmac_f64_e32 v[12:13], v[32:33], v[10:11]
	v_add_f64_e32 v[4:5], v[4:5], v[30:31]
	s_delay_alu instid0(VALU_DEP_2)
	v_add_f64_e32 v[2:3], v[2:3], v[12:13]
	s_and_not1_b32 exec_lo, exec_lo, s3
	s_cbranch_execnz .LBB7_41
; %bb.42:
	s_or_b32 exec_lo, exec_lo, s3
	v_mov_b32_e32 v6, 0
	ds_load_b128 v[6:9], v6 offset:112
	s_wait_dscnt 0x0
	v_mul_f64_e32 v[12:13], v[2:3], v[8:9]
	v_mul_f64_e32 v[10:11], v[4:5], v[8:9]
	s_delay_alu instid0(VALU_DEP_2) | instskip(NEXT) | instid1(VALU_DEP_2)
	v_fma_f64 v[8:9], v[4:5], v[6:7], -v[12:13]
	v_fmac_f64_e32 v[10:11], v[2:3], v[6:7]
	scratch_store_b128 off, v[8:11], off offset:112
.LBB7_43:
	s_wait_xcnt 0x0
	s_or_b32 exec_lo, exec_lo, s2
	s_mov_b32 s3, -1
	s_wait_storecnt 0x0
	s_barrier_signal -1
	s_barrier_wait -1
.LBB7_44:
	s_and_b32 vcc_lo, exec_lo, s3
	s_cbranch_vccz .LBB7_46
; %bb.45:
	s_wait_xcnt 0x7
	v_mov_b32_e32 v2, 0
	s_lshl_b64 s[2:3], s[18:19], 2
	s_delay_alu instid0(SALU_CYCLE_1)
	s_add_nc_u64 s[2:3], s[6:7], s[2:3]
	global_load_b32 v2, v2, s[2:3]
	s_wait_loadcnt 0x0
	v_cmp_ne_u32_e32 vcc_lo, 0, v2
	s_cbranch_vccz .LBB7_47
.LBB7_46:
	s_sendmsg sendmsg(MSG_DEALLOC_VGPRS)
	s_endpgm
.LBB7_47:
	s_wait_xcnt 0x7
	v_lshl_add_u32 v6, v1, 4, 0x80
	s_wait_xcnt 0x0
	s_mov_b32 s2, exec_lo
	v_cmpx_eq_u32_e32 7, v1
	s_cbranch_execz .LBB7_49
; %bb.48:
	scratch_load_b128 v[2:5], off, s13
	v_mov_b32_e32 v8, 0
	s_delay_alu instid0(VALU_DEP_1)
	v_dual_mov_b32 v9, v8 :: v_dual_mov_b32 v10, v8
	v_mov_b32_e32 v11, v8
	scratch_store_b128 off, v[8:11], off offset:96
	s_wait_loadcnt 0x0
	ds_store_b128 v6, v[2:5]
.LBB7_49:
	s_wait_xcnt 0x0
	s_or_b32 exec_lo, exec_lo, s2
	s_wait_storecnt_dscnt 0x0
	s_barrier_signal -1
	s_barrier_wait -1
	s_clause 0x1
	scratch_load_b128 v[8:11], off, off offset:112
	scratch_load_b128 v[30:33], off, off offset:96
	v_mov_b32_e32 v2, 0
	s_mov_b32 s2, exec_lo
	ds_load_b128 v[34:37], v2 offset:240
	s_wait_loadcnt_dscnt 0x100
	v_mul_f64_e32 v[4:5], v[36:37], v[10:11]
	v_mul_f64_e32 v[10:11], v[34:35], v[10:11]
	s_delay_alu instid0(VALU_DEP_2) | instskip(NEXT) | instid1(VALU_DEP_2)
	v_fma_f64 v[4:5], v[34:35], v[8:9], -v[4:5]
	v_fmac_f64_e32 v[10:11], v[36:37], v[8:9]
	s_delay_alu instid0(VALU_DEP_2) | instskip(NEXT) | instid1(VALU_DEP_2)
	v_add_f64_e32 v[4:5], 0, v[4:5]
	v_add_f64_e32 v[10:11], 0, v[10:11]
	s_wait_loadcnt 0x0
	s_delay_alu instid0(VALU_DEP_2) | instskip(NEXT) | instid1(VALU_DEP_2)
	v_add_f64_e64 v[8:9], v[30:31], -v[4:5]
	v_add_f64_e64 v[10:11], v[32:33], -v[10:11]
	scratch_store_b128 off, v[8:11], off offset:96
	s_wait_xcnt 0x0
	v_cmpx_lt_u32_e32 5, v1
	s_cbranch_execz .LBB7_51
; %bb.50:
	scratch_load_b128 v[8:11], off, s12
	v_dual_mov_b32 v3, v2 :: v_dual_mov_b32 v4, v2
	v_mov_b32_e32 v5, v2
	scratch_store_b128 off, v[2:5], off offset:80
	s_wait_loadcnt 0x0
	ds_store_b128 v6, v[8:11]
.LBB7_51:
	s_wait_xcnt 0x0
	s_or_b32 exec_lo, exec_lo, s2
	s_wait_storecnt_dscnt 0x0
	s_barrier_signal -1
	s_barrier_wait -1
	s_clause 0x2
	scratch_load_b128 v[8:11], off, off offset:96
	scratch_load_b128 v[30:33], off, off offset:112
	scratch_load_b128 v[34:37], off, off offset:80
	ds_load_b128 v[38:41], v2 offset:224
	ds_load_b128 v[2:5], v2 offset:240
	s_mov_b32 s2, exec_lo
	s_wait_loadcnt_dscnt 0x201
	v_mul_f64_e32 v[12:13], v[40:41], v[10:11]
	v_mul_f64_e32 v[10:11], v[38:39], v[10:11]
	s_wait_loadcnt_dscnt 0x100
	v_mul_f64_e32 v[42:43], v[2:3], v[32:33]
	v_mul_f64_e32 v[32:33], v[4:5], v[32:33]
	s_delay_alu instid0(VALU_DEP_4) | instskip(NEXT) | instid1(VALU_DEP_4)
	v_fma_f64 v[12:13], v[38:39], v[8:9], -v[12:13]
	v_fmac_f64_e32 v[10:11], v[40:41], v[8:9]
	s_delay_alu instid0(VALU_DEP_4) | instskip(NEXT) | instid1(VALU_DEP_4)
	v_fmac_f64_e32 v[42:43], v[4:5], v[30:31]
	v_fma_f64 v[2:3], v[2:3], v[30:31], -v[32:33]
	s_delay_alu instid0(VALU_DEP_4) | instskip(NEXT) | instid1(VALU_DEP_4)
	v_add_f64_e32 v[4:5], 0, v[12:13]
	v_add_f64_e32 v[8:9], 0, v[10:11]
	s_delay_alu instid0(VALU_DEP_2) | instskip(NEXT) | instid1(VALU_DEP_2)
	v_add_f64_e32 v[2:3], v[4:5], v[2:3]
	v_add_f64_e32 v[4:5], v[8:9], v[42:43]
	s_wait_loadcnt 0x0
	s_delay_alu instid0(VALU_DEP_2) | instskip(NEXT) | instid1(VALU_DEP_2)
	v_add_f64_e64 v[2:3], v[34:35], -v[2:3]
	v_add_f64_e64 v[4:5], v[36:37], -v[4:5]
	scratch_store_b128 off, v[2:5], off offset:80
	s_wait_xcnt 0x0
	v_cmpx_lt_u32_e32 4, v1
	s_cbranch_execz .LBB7_53
; %bb.52:
	scratch_load_b128 v[2:5], off, s11
	v_mov_b32_e32 v8, 0
	s_delay_alu instid0(VALU_DEP_1)
	v_dual_mov_b32 v9, v8 :: v_dual_mov_b32 v10, v8
	v_mov_b32_e32 v11, v8
	scratch_store_b128 off, v[8:11], off offset:64
	s_wait_loadcnt 0x0
	ds_store_b128 v6, v[2:5]
.LBB7_53:
	s_wait_xcnt 0x0
	s_or_b32 exec_lo, exec_lo, s2
	s_wait_storecnt_dscnt 0x0
	s_barrier_signal -1
	s_barrier_wait -1
	s_clause 0x3
	scratch_load_b128 v[8:11], off, off offset:80
	scratch_load_b128 v[30:33], off, off offset:96
	scratch_load_b128 v[34:37], off, off offset:112
	scratch_load_b128 v[38:41], off, off offset:64
	v_mov_b32_e32 v2, 0
	ds_load_b128 v[42:45], v2 offset:208
	ds_load_b128 v[46:49], v2 offset:224
	s_mov_b32 s2, exec_lo
	s_wait_loadcnt_dscnt 0x301
	v_mul_f64_e32 v[4:5], v[44:45], v[10:11]
	v_mul_f64_e32 v[12:13], v[42:43], v[10:11]
	s_wait_loadcnt_dscnt 0x200
	v_mul_f64_e32 v[50:51], v[46:47], v[32:33]
	v_mul_f64_e32 v[32:33], v[48:49], v[32:33]
	s_delay_alu instid0(VALU_DEP_4) | instskip(NEXT) | instid1(VALU_DEP_4)
	v_fma_f64 v[4:5], v[42:43], v[8:9], -v[4:5]
	v_fmac_f64_e32 v[12:13], v[44:45], v[8:9]
	ds_load_b128 v[8:11], v2 offset:240
	v_fmac_f64_e32 v[50:51], v[48:49], v[30:31]
	v_fma_f64 v[30:31], v[46:47], v[30:31], -v[32:33]
	s_wait_loadcnt_dscnt 0x100
	v_mul_f64_e32 v[42:43], v[8:9], v[36:37]
	v_mul_f64_e32 v[36:37], v[10:11], v[36:37]
	v_add_f64_e32 v[4:5], 0, v[4:5]
	v_add_f64_e32 v[12:13], 0, v[12:13]
	s_delay_alu instid0(VALU_DEP_4) | instskip(NEXT) | instid1(VALU_DEP_4)
	v_fmac_f64_e32 v[42:43], v[10:11], v[34:35]
	v_fma_f64 v[8:9], v[8:9], v[34:35], -v[36:37]
	s_delay_alu instid0(VALU_DEP_4) | instskip(NEXT) | instid1(VALU_DEP_4)
	v_add_f64_e32 v[4:5], v[4:5], v[30:31]
	v_add_f64_e32 v[10:11], v[12:13], v[50:51]
	s_delay_alu instid0(VALU_DEP_2) | instskip(NEXT) | instid1(VALU_DEP_2)
	v_add_f64_e32 v[4:5], v[4:5], v[8:9]
	v_add_f64_e32 v[10:11], v[10:11], v[42:43]
	s_wait_loadcnt 0x0
	s_delay_alu instid0(VALU_DEP_2) | instskip(NEXT) | instid1(VALU_DEP_2)
	v_add_f64_e64 v[8:9], v[38:39], -v[4:5]
	v_add_f64_e64 v[10:11], v[40:41], -v[10:11]
	scratch_store_b128 off, v[8:11], off offset:64
	s_wait_xcnt 0x0
	v_cmpx_lt_u32_e32 3, v1
	s_cbranch_execz .LBB7_55
; %bb.54:
	scratch_load_b128 v[8:11], off, s9
	v_dual_mov_b32 v3, v2 :: v_dual_mov_b32 v4, v2
	v_mov_b32_e32 v5, v2
	scratch_store_b128 off, v[2:5], off offset:48
	s_wait_loadcnt 0x0
	ds_store_b128 v6, v[8:11]
.LBB7_55:
	s_wait_xcnt 0x0
	s_or_b32 exec_lo, exec_lo, s2
	s_wait_storecnt_dscnt 0x0
	s_barrier_signal -1
	s_barrier_wait -1
	s_clause 0x4
	scratch_load_b128 v[8:11], off, off offset:64
	scratch_load_b128 v[30:33], off, off offset:80
	;; [unrolled: 1-line block ×5, first 2 shown]
	ds_load_b128 v[46:49], v2 offset:192
	ds_load_b128 v[50:53], v2 offset:208
	s_mov_b32 s2, exec_lo
	s_wait_loadcnt_dscnt 0x401
	v_mul_f64_e32 v[4:5], v[48:49], v[10:11]
	v_mul_f64_e32 v[12:13], v[46:47], v[10:11]
	s_wait_loadcnt_dscnt 0x300
	v_mul_f64_e32 v[54:55], v[50:51], v[32:33]
	v_mul_f64_e32 v[32:33], v[52:53], v[32:33]
	s_delay_alu instid0(VALU_DEP_4) | instskip(NEXT) | instid1(VALU_DEP_4)
	v_fma_f64 v[46:47], v[46:47], v[8:9], -v[4:5]
	v_fmac_f64_e32 v[12:13], v[48:49], v[8:9]
	ds_load_b128 v[8:11], v2 offset:224
	ds_load_b128 v[2:5], v2 offset:240
	v_fmac_f64_e32 v[54:55], v[52:53], v[30:31]
	v_fma_f64 v[30:31], v[50:51], v[30:31], -v[32:33]
	s_wait_loadcnt_dscnt 0x201
	v_mul_f64_e32 v[48:49], v[8:9], v[36:37]
	v_mul_f64_e32 v[36:37], v[10:11], v[36:37]
	v_add_f64_e32 v[32:33], 0, v[46:47]
	v_add_f64_e32 v[12:13], 0, v[12:13]
	s_wait_loadcnt_dscnt 0x100
	v_mul_f64_e32 v[46:47], v[2:3], v[40:41]
	v_mul_f64_e32 v[40:41], v[4:5], v[40:41]
	v_fmac_f64_e32 v[48:49], v[10:11], v[34:35]
	v_fma_f64 v[8:9], v[8:9], v[34:35], -v[36:37]
	v_add_f64_e32 v[10:11], v[32:33], v[30:31]
	v_add_f64_e32 v[12:13], v[12:13], v[54:55]
	v_fmac_f64_e32 v[46:47], v[4:5], v[38:39]
	v_fma_f64 v[2:3], v[2:3], v[38:39], -v[40:41]
	s_delay_alu instid0(VALU_DEP_4) | instskip(NEXT) | instid1(VALU_DEP_4)
	v_add_f64_e32 v[4:5], v[10:11], v[8:9]
	v_add_f64_e32 v[8:9], v[12:13], v[48:49]
	s_delay_alu instid0(VALU_DEP_2) | instskip(NEXT) | instid1(VALU_DEP_2)
	v_add_f64_e32 v[2:3], v[4:5], v[2:3]
	v_add_f64_e32 v[4:5], v[8:9], v[46:47]
	s_wait_loadcnt 0x0
	s_delay_alu instid0(VALU_DEP_2) | instskip(NEXT) | instid1(VALU_DEP_2)
	v_add_f64_e64 v[2:3], v[42:43], -v[2:3]
	v_add_f64_e64 v[4:5], v[44:45], -v[4:5]
	scratch_store_b128 off, v[2:5], off offset:48
	s_wait_xcnt 0x0
	v_cmpx_lt_u32_e32 2, v1
	s_cbranch_execz .LBB7_57
; %bb.56:
	scratch_load_b128 v[2:5], off, s8
	v_mov_b32_e32 v8, 0
	s_delay_alu instid0(VALU_DEP_1)
	v_dual_mov_b32 v9, v8 :: v_dual_mov_b32 v10, v8
	v_mov_b32_e32 v11, v8
	scratch_store_b128 off, v[8:11], off offset:32
	s_wait_loadcnt 0x0
	ds_store_b128 v6, v[2:5]
.LBB7_57:
	s_wait_xcnt 0x0
	s_or_b32 exec_lo, exec_lo, s2
	s_wait_storecnt_dscnt 0x0
	s_barrier_signal -1
	s_barrier_wait -1
	s_clause 0x5
	scratch_load_b128 v[8:11], off, off offset:48
	scratch_load_b128 v[30:33], off, off offset:64
	scratch_load_b128 v[34:37], off, off offset:80
	scratch_load_b128 v[38:41], off, off offset:96
	scratch_load_b128 v[42:45], off, off offset:112
	scratch_load_b128 v[46:49], off, off offset:32
	v_mov_b32_e32 v2, 0
	ds_load_b128 v[50:53], v2 offset:176
	ds_load_b128 v[54:57], v2 offset:192
	s_mov_b32 s2, exec_lo
	v_dual_ashrrev_i32 v21, 31, v20 :: v_dual_ashrrev_i32 v19, 31, v18
	v_ashrrev_i32_e32 v23, 31, v22
	v_dual_ashrrev_i32 v27, 31, v26 :: v_dual_ashrrev_i32 v25, 31, v24
	s_wait_loadcnt_dscnt 0x501
	v_dual_mul_f64 v[4:5], v[52:53], v[10:11] :: v_dual_ashrrev_i32 v29, 31, v28
	v_mul_f64_e32 v[12:13], v[50:51], v[10:11]
	s_wait_loadcnt_dscnt 0x400
	v_mul_f64_e32 v[58:59], v[54:55], v[32:33]
	v_mul_f64_e32 v[32:33], v[56:57], v[32:33]
	s_delay_alu instid0(VALU_DEP_4) | instskip(NEXT) | instid1(VALU_DEP_4)
	v_fma_f64 v[4:5], v[50:51], v[8:9], -v[4:5]
	v_fmac_f64_e32 v[12:13], v[52:53], v[8:9]
	ds_load_b128 v[8:11], v2 offset:208
	ds_load_b128 v[50:53], v2 offset:224
	v_fmac_f64_e32 v[58:59], v[56:57], v[30:31]
	v_fma_f64 v[30:31], v[54:55], v[30:31], -v[32:33]
	s_wait_loadcnt_dscnt 0x301
	v_mul_f64_e32 v[60:61], v[8:9], v[36:37]
	v_mul_f64_e32 v[32:33], v[10:11], v[36:37]
	s_wait_loadcnt_dscnt 0x200
	v_mul_f64_e32 v[36:37], v[50:51], v[40:41]
	v_mul_f64_e32 v[40:41], v[52:53], v[40:41]
	v_add_f64_e32 v[4:5], 0, v[4:5]
	v_add_f64_e32 v[12:13], 0, v[12:13]
	v_fmac_f64_e32 v[60:61], v[10:11], v[34:35]
	v_fma_f64 v[32:33], v[8:9], v[34:35], -v[32:33]
	ds_load_b128 v[8:11], v2 offset:240
	v_fmac_f64_e32 v[36:37], v[52:53], v[38:39]
	v_fma_f64 v[38:39], v[50:51], v[38:39], -v[40:41]
	v_add_f64_e32 v[4:5], v[4:5], v[30:31]
	v_add_f64_e32 v[12:13], v[12:13], v[58:59]
	s_wait_loadcnt_dscnt 0x100
	v_mul_f64_e32 v[30:31], v[8:9], v[44:45]
	v_mul_f64_e32 v[34:35], v[10:11], v[44:45]
	s_delay_alu instid0(VALU_DEP_4) | instskip(NEXT) | instid1(VALU_DEP_4)
	v_add_f64_e32 v[4:5], v[4:5], v[32:33]
	v_add_f64_e32 v[12:13], v[12:13], v[60:61]
	s_delay_alu instid0(VALU_DEP_4) | instskip(NEXT) | instid1(VALU_DEP_4)
	v_fmac_f64_e32 v[30:31], v[10:11], v[42:43]
	v_fma_f64 v[8:9], v[8:9], v[42:43], -v[34:35]
	s_delay_alu instid0(VALU_DEP_4) | instskip(NEXT) | instid1(VALU_DEP_4)
	v_add_f64_e32 v[4:5], v[4:5], v[38:39]
	v_add_f64_e32 v[10:11], v[12:13], v[36:37]
	s_delay_alu instid0(VALU_DEP_2) | instskip(NEXT) | instid1(VALU_DEP_2)
	v_add_f64_e32 v[4:5], v[4:5], v[8:9]
	v_add_f64_e32 v[10:11], v[10:11], v[30:31]
	s_wait_loadcnt 0x0
	s_delay_alu instid0(VALU_DEP_2) | instskip(NEXT) | instid1(VALU_DEP_2)
	v_add_f64_e64 v[8:9], v[46:47], -v[4:5]
	v_add_f64_e64 v[10:11], v[48:49], -v[10:11]
	scratch_store_b128 off, v[8:11], off offset:32
	s_wait_xcnt 0x0
	v_cmpx_lt_u32_e32 1, v1
	s_cbranch_execz .LBB7_59
; %bb.58:
	scratch_load_b128 v[8:11], off, s10
	v_dual_mov_b32 v3, v2 :: v_dual_mov_b32 v4, v2
	v_mov_b32_e32 v5, v2
	scratch_store_b128 off, v[2:5], off offset:16
	s_wait_loadcnt 0x0
	ds_store_b128 v6, v[8:11]
.LBB7_59:
	s_wait_xcnt 0x0
	s_or_b32 exec_lo, exec_lo, s2
	s_wait_storecnt_dscnt 0x0
	s_barrier_signal -1
	s_barrier_wait -1
	s_clause 0x6
	scratch_load_b128 v[8:11], off, off offset:32
	scratch_load_b128 v[30:33], off, off offset:48
	scratch_load_b128 v[34:37], off, off offset:64
	scratch_load_b128 v[38:41], off, off offset:80
	scratch_load_b128 v[42:45], off, off offset:96
	scratch_load_b128 v[46:49], off, off offset:112
	scratch_load_b128 v[50:53], off, off offset:16
	ds_load_b128 v[54:57], v2 offset:160
	ds_load_b128 v[58:61], v2 offset:176
	s_mov_b32 s2, exec_lo
	s_wait_loadcnt_dscnt 0x601
	v_mul_f64_e32 v[4:5], v[56:57], v[10:11]
	v_mul_f64_e32 v[12:13], v[54:55], v[10:11]
	s_wait_loadcnt_dscnt 0x500
	v_mul_f64_e32 v[62:63], v[58:59], v[32:33]
	v_mul_f64_e32 v[32:33], v[60:61], v[32:33]
	s_delay_alu instid0(VALU_DEP_4) | instskip(NEXT) | instid1(VALU_DEP_4)
	v_fma_f64 v[4:5], v[54:55], v[8:9], -v[4:5]
	v_fmac_f64_e32 v[12:13], v[56:57], v[8:9]
	ds_load_b128 v[8:11], v2 offset:192
	ds_load_b128 v[54:57], v2 offset:208
	v_fmac_f64_e32 v[62:63], v[60:61], v[30:31]
	v_fma_f64 v[30:31], v[58:59], v[30:31], -v[32:33]
	s_wait_loadcnt_dscnt 0x401
	v_mul_f64_e32 v[64:65], v[8:9], v[36:37]
	v_mul_f64_e32 v[36:37], v[10:11], v[36:37]
	s_wait_loadcnt_dscnt 0x300
	v_mul_f64_e32 v[32:33], v[54:55], v[40:41]
	v_mul_f64_e32 v[40:41], v[56:57], v[40:41]
	v_add_f64_e32 v[4:5], 0, v[4:5]
	v_add_f64_e32 v[12:13], 0, v[12:13]
	v_fmac_f64_e32 v[64:65], v[10:11], v[34:35]
	v_fma_f64 v[34:35], v[8:9], v[34:35], -v[36:37]
	v_fmac_f64_e32 v[32:33], v[56:57], v[38:39]
	v_fma_f64 v[38:39], v[54:55], v[38:39], -v[40:41]
	v_add_f64_e32 v[30:31], v[4:5], v[30:31]
	v_add_f64_e32 v[12:13], v[12:13], v[62:63]
	ds_load_b128 v[8:11], v2 offset:224
	ds_load_b128 v[2:5], v2 offset:240
	s_wait_loadcnt_dscnt 0x201
	v_mul_f64_e32 v[36:37], v[8:9], v[44:45]
	v_mul_f64_e32 v[44:45], v[10:11], v[44:45]
	s_wait_loadcnt_dscnt 0x100
	v_mul_f64_e32 v[40:41], v[4:5], v[48:49]
	v_add_f64_e32 v[30:31], v[30:31], v[34:35]
	v_add_f64_e32 v[12:13], v[12:13], v[64:65]
	v_mul_f64_e32 v[34:35], v[2:3], v[48:49]
	v_fmac_f64_e32 v[36:37], v[10:11], v[42:43]
	v_fma_f64 v[8:9], v[8:9], v[42:43], -v[44:45]
	v_fma_f64 v[2:3], v[2:3], v[46:47], -v[40:41]
	v_add_f64_e32 v[10:11], v[30:31], v[38:39]
	v_add_f64_e32 v[12:13], v[12:13], v[32:33]
	v_fmac_f64_e32 v[34:35], v[4:5], v[46:47]
	s_delay_alu instid0(VALU_DEP_3) | instskip(NEXT) | instid1(VALU_DEP_3)
	v_add_f64_e32 v[4:5], v[10:11], v[8:9]
	v_add_f64_e32 v[8:9], v[12:13], v[36:37]
	s_delay_alu instid0(VALU_DEP_2) | instskip(NEXT) | instid1(VALU_DEP_2)
	v_add_f64_e32 v[2:3], v[4:5], v[2:3]
	v_add_f64_e32 v[4:5], v[8:9], v[34:35]
	s_wait_loadcnt 0x0
	s_delay_alu instid0(VALU_DEP_2) | instskip(NEXT) | instid1(VALU_DEP_2)
	v_add_f64_e64 v[2:3], v[50:51], -v[2:3]
	v_add_f64_e64 v[4:5], v[52:53], -v[4:5]
	scratch_store_b128 off, v[2:5], off offset:16
	s_wait_xcnt 0x0
	v_cmpx_ne_u32_e32 0, v1
	s_cbranch_execz .LBB7_61
; %bb.60:
	scratch_load_b128 v[2:5], off, off
	v_mov_b32_e32 v8, 0
	s_delay_alu instid0(VALU_DEP_1)
	v_dual_mov_b32 v9, v8 :: v_dual_mov_b32 v10, v8
	v_mov_b32_e32 v11, v8
	scratch_store_b128 off, v[8:11], off
	s_wait_loadcnt 0x0
	ds_store_b128 v6, v[2:5]
.LBB7_61:
	s_wait_xcnt 0x0
	s_or_b32 exec_lo, exec_lo, s2
	s_wait_storecnt_dscnt 0x0
	s_barrier_signal -1
	s_barrier_wait -1
	s_clause 0x7
	scratch_load_b128 v[2:5], off, off offset:16
	scratch_load_b128 v[6:9], off, off offset:32
	;; [unrolled: 1-line block ×7, first 2 shown]
	scratch_load_b128 v[48:51], off, off
	v_mov_b32_e32 v30, 0
	ds_load_b128 v[52:55], v30 offset:144
	ds_load_b128 v[56:59], v30 offset:160
	s_and_b32 vcc_lo, exec_lo, s20
	s_wait_loadcnt_dscnt 0x701
	v_mul_f64_e32 v[60:61], v[54:55], v[4:5]
	v_mul_f64_e32 v[62:63], v[52:53], v[4:5]
	s_wait_loadcnt_dscnt 0x600
	v_mul_f64_e32 v[64:65], v[56:57], v[8:9]
	v_mul_f64_e32 v[8:9], v[58:59], v[8:9]
	s_delay_alu instid0(VALU_DEP_4) | instskip(NEXT) | instid1(VALU_DEP_4)
	v_fma_f64 v[60:61], v[52:53], v[2:3], -v[60:61]
	v_fmac_f64_e32 v[62:63], v[54:55], v[2:3]
	ds_load_b128 v[2:5], v30 offset:176
	ds_load_b128 v[52:55], v30 offset:192
	v_fmac_f64_e32 v[64:65], v[58:59], v[6:7]
	v_fma_f64 v[6:7], v[56:57], v[6:7], -v[8:9]
	s_wait_loadcnt_dscnt 0x501
	v_mul_f64_e32 v[66:67], v[2:3], v[12:13]
	v_mul_f64_e32 v[12:13], v[4:5], v[12:13]
	s_wait_loadcnt_dscnt 0x400
	v_mul_f64_e32 v[58:59], v[52:53], v[34:35]
	v_mul_f64_e32 v[34:35], v[54:55], v[34:35]
	v_add_f64_e32 v[8:9], 0, v[60:61]
	v_add_f64_e32 v[56:57], 0, v[62:63]
	v_fmac_f64_e32 v[66:67], v[4:5], v[10:11]
	v_fma_f64 v[10:11], v[2:3], v[10:11], -v[12:13]
	v_fmac_f64_e32 v[58:59], v[54:55], v[32:33]
	v_fma_f64 v[32:33], v[52:53], v[32:33], -v[34:35]
	v_add_f64_e32 v[12:13], v[8:9], v[6:7]
	v_add_f64_e32 v[56:57], v[56:57], v[64:65]
	ds_load_b128 v[2:5], v30 offset:208
	ds_load_b128 v[6:9], v30 offset:224
	s_wait_loadcnt_dscnt 0x301
	v_mul_f64_e32 v[60:61], v[2:3], v[38:39]
	v_mul_f64_e32 v[38:39], v[4:5], v[38:39]
	s_wait_loadcnt_dscnt 0x200
	v_mul_f64_e32 v[34:35], v[6:7], v[42:43]
	v_mul_f64_e32 v[42:43], v[8:9], v[42:43]
	v_add_f64_e32 v[10:11], v[12:13], v[10:11]
	v_add_f64_e32 v[12:13], v[56:57], v[66:67]
	v_fmac_f64_e32 v[60:61], v[4:5], v[36:37]
	v_fma_f64 v[36:37], v[2:3], v[36:37], -v[38:39]
	ds_load_b128 v[2:5], v30 offset:240
	v_fmac_f64_e32 v[34:35], v[8:9], v[40:41]
	v_fma_f64 v[6:7], v[6:7], v[40:41], -v[42:43]
	v_add_f64_e32 v[10:11], v[10:11], v[32:33]
	v_add_f64_e32 v[12:13], v[12:13], v[58:59]
	s_wait_loadcnt_dscnt 0x100
	v_mul_f64_e32 v[32:33], v[2:3], v[46:47]
	v_mul_f64_e32 v[38:39], v[4:5], v[46:47]
	s_delay_alu instid0(VALU_DEP_4) | instskip(NEXT) | instid1(VALU_DEP_4)
	v_add_f64_e32 v[8:9], v[10:11], v[36:37]
	v_add_f64_e32 v[10:11], v[12:13], v[60:61]
	v_lshl_add_u64 v[12:13], v[28:29], 4, s[4:5]
	v_fmac_f64_e32 v[32:33], v[4:5], v[44:45]
	v_fma_f64 v[2:3], v[2:3], v[44:45], -v[38:39]
	v_add_f64_e32 v[4:5], v[8:9], v[6:7]
	v_add_f64_e32 v[6:7], v[10:11], v[34:35]
	v_lshl_add_u64 v[8:9], v[24:25], 4, s[4:5]
	v_lshl_add_u64 v[10:11], v[26:27], 4, s[4:5]
	s_delay_alu instid0(VALU_DEP_4) | instskip(NEXT) | instid1(VALU_DEP_4)
	v_add_f64_e32 v[2:3], v[4:5], v[2:3]
	v_add_f64_e32 v[4:5], v[6:7], v[32:33]
	v_lshl_add_u64 v[6:7], v[22:23], 4, s[4:5]
	s_wait_loadcnt 0x0
	s_delay_alu instid0(VALU_DEP_3) | instskip(NEXT) | instid1(VALU_DEP_3)
	v_add_f64_e64 v[32:33], v[48:49], -v[2:3]
	v_add_f64_e64 v[34:35], v[50:51], -v[4:5]
	v_lshl_add_u64 v[2:3], v[18:19], 4, s[4:5]
	v_lshl_add_u64 v[4:5], v[20:21], 4, s[4:5]
	scratch_store_b128 off, v[32:35], off
	s_cbranch_vccz .LBB7_76
; %bb.62:
	global_load_b32 v18, v30, s[16:17] offset:24
	s_load_b64 s[2:3], s[0:1], 0x4
	v_bfe_u32 v19, v0, 10, 10
	v_bfe_u32 v0, v0, 20, 10
	s_wait_kmcnt 0x0
	s_lshr_b32 s0, s2, 16
	s_delay_alu instid0(VALU_DEP_2) | instskip(SKIP_1) | instid1(SALU_CYCLE_1)
	v_mul_u32_u24_e32 v19, s3, v19
	s_mul_i32 s0, s0, s3
	v_mul_u32_u24_e32 v1, s0, v1
	s_delay_alu instid0(VALU_DEP_1) | instskip(NEXT) | instid1(VALU_DEP_1)
	v_add3_u32 v0, v1, v19, v0
	v_lshl_add_u32 v0, v0, 4, 0x108
	s_wait_loadcnt 0x0
	v_cmp_ne_u32_e32 vcc_lo, 7, v18
	s_cbranch_vccz .LBB7_64
; %bb.63:
	v_lshlrev_b32_e32 v1, 4, v18
	s_clause 0x1
	scratch_load_b128 v[18:21], off, s13
	scratch_load_b128 v[22:25], v1, off offset:-16
	s_wait_loadcnt 0x1
	ds_store_2addr_b64 v0, v[18:19], v[20:21] offset1:1
	s_wait_loadcnt 0x0
	s_clause 0x1
	scratch_store_b128 off, v[22:25], s13
	scratch_store_b128 v1, v[18:21], off offset:-16
.LBB7_64:
	s_wait_xcnt 0x0
	v_mov_b32_e32 v1, 0
	global_load_b32 v18, v1, s[16:17] offset:20
	s_wait_loadcnt 0x0
	v_cmp_eq_u32_e32 vcc_lo, 6, v18
	s_cbranch_vccnz .LBB7_66
; %bb.65:
	v_lshlrev_b32_e32 v18, 4, v18
	s_delay_alu instid0(VALU_DEP_1)
	v_mov_b32_e32 v26, v18
	s_clause 0x1
	scratch_load_b128 v[18:21], off, s12
	scratch_load_b128 v[22:25], v26, off offset:-16
	s_wait_loadcnt 0x1
	ds_store_2addr_b64 v0, v[18:19], v[20:21] offset1:1
	s_wait_loadcnt 0x0
	s_clause 0x1
	scratch_store_b128 off, v[22:25], s12
	scratch_store_b128 v26, v[18:21], off offset:-16
.LBB7_66:
	global_load_b32 v1, v1, s[16:17] offset:16
	s_wait_loadcnt 0x0
	v_cmp_eq_u32_e32 vcc_lo, 5, v1
	s_cbranch_vccnz .LBB7_68
; %bb.67:
	s_wait_xcnt 0x0
	v_lshlrev_b32_e32 v1, 4, v1
	s_clause 0x1
	scratch_load_b128 v[18:21], off, s11
	scratch_load_b128 v[22:25], v1, off offset:-16
	s_wait_loadcnt 0x1
	ds_store_2addr_b64 v0, v[18:19], v[20:21] offset1:1
	s_wait_loadcnt 0x0
	s_clause 0x1
	scratch_store_b128 off, v[22:25], s11
	scratch_store_b128 v1, v[18:21], off offset:-16
.LBB7_68:
	s_wait_xcnt 0x0
	v_mov_b32_e32 v1, 0
	global_load_b32 v18, v1, s[16:17] offset:12
	s_wait_loadcnt 0x0
	v_cmp_eq_u32_e32 vcc_lo, 4, v18
	s_cbranch_vccnz .LBB7_70
; %bb.69:
	v_lshlrev_b32_e32 v18, 4, v18
	s_delay_alu instid0(VALU_DEP_1)
	v_mov_b32_e32 v26, v18
	s_clause 0x1
	scratch_load_b128 v[18:21], off, s9
	scratch_load_b128 v[22:25], v26, off offset:-16
	s_wait_loadcnt 0x1
	ds_store_2addr_b64 v0, v[18:19], v[20:21] offset1:1
	s_wait_loadcnt 0x0
	s_clause 0x1
	scratch_store_b128 off, v[22:25], s9
	scratch_store_b128 v26, v[18:21], off offset:-16
.LBB7_70:
	global_load_b32 v1, v1, s[16:17] offset:8
	s_wait_loadcnt 0x0
	v_cmp_eq_u32_e32 vcc_lo, 3, v1
	s_cbranch_vccnz .LBB7_72
; %bb.71:
	s_wait_xcnt 0x0
	v_lshlrev_b32_e32 v1, 4, v1
	s_clause 0x1
	scratch_load_b128 v[18:21], off, s8
	scratch_load_b128 v[22:25], v1, off offset:-16
	s_wait_loadcnt 0x1
	ds_store_2addr_b64 v0, v[18:19], v[20:21] offset1:1
	s_wait_loadcnt 0x0
	s_clause 0x1
	scratch_store_b128 off, v[22:25], s8
	scratch_store_b128 v1, v[18:21], off offset:-16
.LBB7_72:
	s_wait_xcnt 0x0
	v_mov_b32_e32 v1, 0
	global_load_b32 v18, v1, s[16:17] offset:4
	s_wait_loadcnt 0x0
	v_cmp_eq_u32_e32 vcc_lo, 2, v18
	s_cbranch_vccnz .LBB7_74
; %bb.73:
	v_lshlrev_b32_e32 v18, 4, v18
	s_delay_alu instid0(VALU_DEP_1)
	v_mov_b32_e32 v26, v18
	s_clause 0x1
	scratch_load_b128 v[18:21], off, s10
	scratch_load_b128 v[22:25], v26, off offset:-16
	s_wait_loadcnt 0x1
	ds_store_2addr_b64 v0, v[18:19], v[20:21] offset1:1
	s_wait_loadcnt 0x0
	s_clause 0x1
	scratch_store_b128 off, v[22:25], s10
	scratch_store_b128 v26, v[18:21], off offset:-16
.LBB7_74:
	global_load_b32 v1, v1, s[16:17]
	s_wait_loadcnt 0x0
	v_cmp_eq_u32_e32 vcc_lo, 1, v1
	s_cbranch_vccnz .LBB7_76
; %bb.75:
	s_wait_xcnt 0x0
	v_lshlrev_b32_e32 v1, 4, v1
	scratch_load_b128 v[18:21], off, off
	scratch_load_b128 v[22:25], v1, off offset:-16
	s_wait_loadcnt 0x1
	ds_store_2addr_b64 v0, v[18:19], v[20:21] offset1:1
	s_wait_loadcnt 0x0
	scratch_store_b128 off, v[22:25], off
	scratch_store_b128 v1, v[18:21], off offset:-16
.LBB7_76:
	scratch_load_b128 v[18:21], off, off
	s_clause 0x6
	scratch_load_b128 v[22:25], off, s10
	scratch_load_b128 v[26:29], off, s8
	scratch_load_b128 v[30:33], off, s9
	scratch_load_b128 v[34:37], off, s11
	scratch_load_b128 v[38:41], off, s12
	scratch_load_b128 v[42:45], off, s13
	scratch_load_b128 v[46:49], off, s14
	s_wait_loadcnt 0x7
	global_store_b128 v[14:15], v[18:21], off
	s_wait_loadcnt 0x6
	global_store_b128 v[16:17], v[22:25], off
	;; [unrolled: 2-line block ×8, first 2 shown]
	s_sendmsg sendmsg(MSG_DEALLOC_VGPRS)
	s_endpgm
	.section	.rodata,"a",@progbits
	.p2align	6, 0x0
	.amdhsa_kernel _ZN9rocsolver6v33100L18getri_kernel_smallILi8E19rocblas_complex_numIdEPS3_EEvT1_iilPiilS6_bb
		.amdhsa_group_segment_fixed_size 1288
		.amdhsa_private_segment_fixed_size 144
		.amdhsa_kernarg_size 60
		.amdhsa_user_sgpr_count 4
		.amdhsa_user_sgpr_dispatch_ptr 1
		.amdhsa_user_sgpr_queue_ptr 0
		.amdhsa_user_sgpr_kernarg_segment_ptr 1
		.amdhsa_user_sgpr_dispatch_id 0
		.amdhsa_user_sgpr_kernarg_preload_length 0
		.amdhsa_user_sgpr_kernarg_preload_offset 0
		.amdhsa_user_sgpr_private_segment_size 0
		.amdhsa_wavefront_size32 1
		.amdhsa_uses_dynamic_stack 0
		.amdhsa_enable_private_segment 1
		.amdhsa_system_sgpr_workgroup_id_x 1
		.amdhsa_system_sgpr_workgroup_id_y 0
		.amdhsa_system_sgpr_workgroup_id_z 0
		.amdhsa_system_sgpr_workgroup_info 0
		.amdhsa_system_vgpr_workitem_id 2
		.amdhsa_next_free_vgpr 68
		.amdhsa_next_free_sgpr 24
		.amdhsa_named_barrier_count 0
		.amdhsa_reserve_vcc 1
		.amdhsa_float_round_mode_32 0
		.amdhsa_float_round_mode_16_64 0
		.amdhsa_float_denorm_mode_32 3
		.amdhsa_float_denorm_mode_16_64 3
		.amdhsa_fp16_overflow 0
		.amdhsa_memory_ordered 1
		.amdhsa_forward_progress 1
		.amdhsa_inst_pref_size 55
		.amdhsa_round_robin_scheduling 0
		.amdhsa_exception_fp_ieee_invalid_op 0
		.amdhsa_exception_fp_denorm_src 0
		.amdhsa_exception_fp_ieee_div_zero 0
		.amdhsa_exception_fp_ieee_overflow 0
		.amdhsa_exception_fp_ieee_underflow 0
		.amdhsa_exception_fp_ieee_inexact 0
		.amdhsa_exception_int_div_zero 0
	.end_amdhsa_kernel
	.section	.text._ZN9rocsolver6v33100L18getri_kernel_smallILi8E19rocblas_complex_numIdEPS3_EEvT1_iilPiilS6_bb,"axG",@progbits,_ZN9rocsolver6v33100L18getri_kernel_smallILi8E19rocblas_complex_numIdEPS3_EEvT1_iilPiilS6_bb,comdat
.Lfunc_end7:
	.size	_ZN9rocsolver6v33100L18getri_kernel_smallILi8E19rocblas_complex_numIdEPS3_EEvT1_iilPiilS6_bb, .Lfunc_end7-_ZN9rocsolver6v33100L18getri_kernel_smallILi8E19rocblas_complex_numIdEPS3_EEvT1_iilPiilS6_bb
                                        ; -- End function
	.set _ZN9rocsolver6v33100L18getri_kernel_smallILi8E19rocblas_complex_numIdEPS3_EEvT1_iilPiilS6_bb.num_vgpr, 68
	.set _ZN9rocsolver6v33100L18getri_kernel_smallILi8E19rocblas_complex_numIdEPS3_EEvT1_iilPiilS6_bb.num_agpr, 0
	.set _ZN9rocsolver6v33100L18getri_kernel_smallILi8E19rocblas_complex_numIdEPS3_EEvT1_iilPiilS6_bb.numbered_sgpr, 24
	.set _ZN9rocsolver6v33100L18getri_kernel_smallILi8E19rocblas_complex_numIdEPS3_EEvT1_iilPiilS6_bb.num_named_barrier, 0
	.set _ZN9rocsolver6v33100L18getri_kernel_smallILi8E19rocblas_complex_numIdEPS3_EEvT1_iilPiilS6_bb.private_seg_size, 144
	.set _ZN9rocsolver6v33100L18getri_kernel_smallILi8E19rocblas_complex_numIdEPS3_EEvT1_iilPiilS6_bb.uses_vcc, 1
	.set _ZN9rocsolver6v33100L18getri_kernel_smallILi8E19rocblas_complex_numIdEPS3_EEvT1_iilPiilS6_bb.uses_flat_scratch, 1
	.set _ZN9rocsolver6v33100L18getri_kernel_smallILi8E19rocblas_complex_numIdEPS3_EEvT1_iilPiilS6_bb.has_dyn_sized_stack, 0
	.set _ZN9rocsolver6v33100L18getri_kernel_smallILi8E19rocblas_complex_numIdEPS3_EEvT1_iilPiilS6_bb.has_recursion, 0
	.set _ZN9rocsolver6v33100L18getri_kernel_smallILi8E19rocblas_complex_numIdEPS3_EEvT1_iilPiilS6_bb.has_indirect_call, 0
	.section	.AMDGPU.csdata,"",@progbits
; Kernel info:
; codeLenInByte = 6940
; TotalNumSgprs: 26
; NumVgprs: 68
; ScratchSize: 144
; MemoryBound: 0
; FloatMode: 240
; IeeeMode: 1
; LDSByteSize: 1288 bytes/workgroup (compile time only)
; SGPRBlocks: 0
; VGPRBlocks: 4
; NumSGPRsForWavesPerEU: 26
; NumVGPRsForWavesPerEU: 68
; NamedBarCnt: 0
; Occupancy: 12
; WaveLimiterHint : 1
; COMPUTE_PGM_RSRC2:SCRATCH_EN: 1
; COMPUTE_PGM_RSRC2:USER_SGPR: 4
; COMPUTE_PGM_RSRC2:TRAP_HANDLER: 0
; COMPUTE_PGM_RSRC2:TGID_X_EN: 1
; COMPUTE_PGM_RSRC2:TGID_Y_EN: 0
; COMPUTE_PGM_RSRC2:TGID_Z_EN: 0
; COMPUTE_PGM_RSRC2:TIDIG_COMP_CNT: 2
	.section	.text._ZN9rocsolver6v33100L18getri_kernel_smallILi9E19rocblas_complex_numIdEPS3_EEvT1_iilPiilS6_bb,"axG",@progbits,_ZN9rocsolver6v33100L18getri_kernel_smallILi9E19rocblas_complex_numIdEPS3_EEvT1_iilPiilS6_bb,comdat
	.globl	_ZN9rocsolver6v33100L18getri_kernel_smallILi9E19rocblas_complex_numIdEPS3_EEvT1_iilPiilS6_bb ; -- Begin function _ZN9rocsolver6v33100L18getri_kernel_smallILi9E19rocblas_complex_numIdEPS3_EEvT1_iilPiilS6_bb
	.p2align	8
	.type	_ZN9rocsolver6v33100L18getri_kernel_smallILi9E19rocblas_complex_numIdEPS3_EEvT1_iilPiilS6_bb,@function
_ZN9rocsolver6v33100L18getri_kernel_smallILi9E19rocblas_complex_numIdEPS3_EEvT1_iilPiilS6_bb: ; @_ZN9rocsolver6v33100L18getri_kernel_smallILi9E19rocblas_complex_numIdEPS3_EEvT1_iilPiilS6_bb
; %bb.0:
	s_mov_b32 s2, exec_lo
	v_cmpx_gt_u32_e32 9, v0
	s_cbranch_execz .LBB8_50
; %bb.1:
	s_clause 0x2
	s_load_b32 s2, s[0:1], 0x38
	s_load_b128 s[12:15], s[0:1], 0x10
	s_load_b128 s[4:7], s[0:1], 0x28
	s_getreg_b32 s9, hwreg(HW_REG_IB_STS2, 6, 4)
	s_wait_kmcnt 0x0
	s_bitcmp1_b32 s2, 8
	s_cselect_b32 s18, -1, 0
	s_bfe_u32 s3, ttmp6, 0x4000c
	s_and_b32 s8, ttmp6, 15
	s_add_co_i32 s3, s3, 1
	s_delay_alu instid0(SALU_CYCLE_1) | instskip(NEXT) | instid1(SALU_CYCLE_1)
	s_mul_i32 s3, ttmp9, s3
	s_add_co_i32 s8, s8, s3
	s_cmp_eq_u32 s9, 0
	s_cselect_b32 s16, ttmp9, s8
	s_bfe_u32 s2, s2, 0x10008
	s_ashr_i32 s17, s16, 31
	s_cmp_eq_u32 s2, 0
                                        ; implicit-def: $sgpr2_sgpr3
	s_cbranch_scc1 .LBB8_3
; %bb.2:
	s_load_b32 s2, s[0:1], 0x20
	s_mul_u64 s[4:5], s[4:5], s[16:17]
	s_delay_alu instid0(SALU_CYCLE_1) | instskip(NEXT) | instid1(SALU_CYCLE_1)
	s_lshl_b64 s[4:5], s[4:5], 2
	s_add_nc_u64 s[4:5], s[14:15], s[4:5]
	s_wait_kmcnt 0x0
	s_ashr_i32 s3, s2, 31
	s_delay_alu instid0(SALU_CYCLE_1) | instskip(NEXT) | instid1(SALU_CYCLE_1)
	s_lshl_b64 s[2:3], s[2:3], 2
	s_add_nc_u64 s[2:3], s[4:5], s[2:3]
.LBB8_3:
	s_clause 0x1
	s_load_b128 s[8:11], s[0:1], 0x0
	s_load_b32 s19, s[0:1], 0x38
	s_wait_xcnt 0x0
	s_mul_u64 s[0:1], s[12:13], s[16:17]
	v_dual_mov_b32 v33, 0 :: v_dual_lshlrev_b32 v32, 4, v0
	s_lshl_b64 s[0:1], s[0:1], 4
	s_wait_kmcnt 0x0
	v_add3_u32 v18, s11, s11, v0
	s_ashr_i32 s5, s10, 31
	s_mov_b32 s4, s10
	s_add_nc_u64 s[0:1], s[8:9], s[0:1]
	s_lshl_b64 s[4:5], s[4:5], 4
	v_add_nc_u32_e32 v20, s11, v18
	s_add_nc_u64 s[4:5], s[0:1], s[4:5]
	s_ashr_i32 s1, s11, 31
	v_add_nc_u64_e32 v[14:15], s[4:5], v[32:33]
	s_mov_b32 s0, s11
	v_add_nc_u32_e32 v22, s11, v20
	s_mov_b32 s10, 32
	s_mov_b32 s8, 48
	s_mov_b32 s9, 64
	s_delay_alu instid0(VALU_DEP_2)
	v_lshl_add_u64 v[16:17], s[0:1], 4, v[14:15]
	v_add_nc_u32_e32 v24, s11, v22
	s_clause 0x1
	global_load_b128 v[2:5], v0, s[4:5] scale_offset
	global_load_b128 v[6:9], v[16:17], off
	s_movk_i32 s0, 0x50
	v_add_nc_u32_e32 v26, s11, v24
	s_clause 0x1
	global_load_b128 v[10:13], v18, s[4:5] scale_offset
	global_load_b128 v[34:37], v20, s[4:5] scale_offset
	s_add_co_i32 s12, s0, 16
	s_movk_i32 s0, 0x60
	s_movk_i32 s1, 0x70
	v_add_nc_u32_e32 v28, s11, v26
	s_add_co_i32 s13, s0, 16
	s_movk_i32 s0, 0x80
	s_add_co_i32 s15, s1, 16
	s_add_co_i32 s14, s0, 16
	v_add_nc_u32_e32 v30, s11, v28
	s_clause 0x4
	global_load_b128 v[38:41], v22, s[4:5] scale_offset
	global_load_b128 v[42:45], v24, s[4:5] scale_offset
	;; [unrolled: 1-line block ×5, first 2 shown]
	s_movk_i32 s11, 0x50
	s_bitcmp0_b32 s19, 0
	s_mov_b32 s1, -1
	s_wait_loadcnt 0x8
	scratch_store_b128 off, v[2:5], off offset:16
	s_wait_loadcnt 0x7
	scratch_store_b128 off, v[6:9], off offset:32
	;; [unrolled: 2-line block ×9, first 2 shown]
	s_cbranch_scc1 .LBB8_48
; %bb.4:
	v_cmp_eq_u32_e64 s0, 0, v0
	s_wait_xcnt 0x0
	s_and_saveexec_b32 s1, s0
; %bb.5:
	v_mov_b32_e32 v1, 0
	ds_store_b32 v1, v1 offset:288
; %bb.6:
	s_or_b32 exec_lo, exec_lo, s1
	s_wait_storecnt_dscnt 0x0
	s_barrier_signal -1
	s_barrier_wait -1
	scratch_load_b128 v[2:5], v0, off offset:16 scale_offset
	s_wait_loadcnt 0x0
	v_cmp_eq_f64_e32 vcc_lo, 0, v[2:3]
	v_cmp_eq_f64_e64 s1, 0, v[4:5]
	s_and_b32 s1, vcc_lo, s1
	s_delay_alu instid0(SALU_CYCLE_1)
	s_and_saveexec_b32 s19, s1
	s_cbranch_execz .LBB8_10
; %bb.7:
	v_mov_b32_e32 v1, 0
	s_mov_b32 s20, 0
	ds_load_b32 v2, v1 offset:288
	s_wait_dscnt 0x0
	v_readfirstlane_b32 s1, v2
	v_add_nc_u32_e32 v2, 1, v0
	s_cmp_eq_u32 s1, 0
	s_delay_alu instid0(VALU_DEP_1) | instskip(SKIP_1) | instid1(SALU_CYCLE_1)
	v_cmp_gt_i32_e32 vcc_lo, s1, v2
	s_cselect_b32 s21, -1, 0
	s_or_b32 s21, s21, vcc_lo
	s_delay_alu instid0(SALU_CYCLE_1)
	s_and_b32 exec_lo, exec_lo, s21
	s_cbranch_execz .LBB8_10
; %bb.8:
	v_mov_b32_e32 v3, s1
.LBB8_9:                                ; =>This Inner Loop Header: Depth=1
	ds_cmpstore_rtn_b32 v3, v1, v2, v3 offset:288
	s_wait_dscnt 0x0
	v_cmp_ne_u32_e32 vcc_lo, 0, v3
	v_cmp_le_i32_e64 s1, v3, v2
	s_and_b32 s1, vcc_lo, s1
	s_delay_alu instid0(SALU_CYCLE_1) | instskip(NEXT) | instid1(SALU_CYCLE_1)
	s_and_b32 s1, exec_lo, s1
	s_or_b32 s20, s1, s20
	s_delay_alu instid0(SALU_CYCLE_1)
	s_and_not1_b32 exec_lo, exec_lo, s20
	s_cbranch_execnz .LBB8_9
.LBB8_10:
	s_or_b32 exec_lo, exec_lo, s19
	v_mov_b32_e32 v1, 0
	s_barrier_signal -1
	s_barrier_wait -1
	ds_load_b32 v2, v1 offset:288
	s_and_saveexec_b32 s1, s0
	s_cbranch_execz .LBB8_12
; %bb.11:
	s_lshl_b64 s[20:21], s[16:17], 2
	s_delay_alu instid0(SALU_CYCLE_1)
	s_add_nc_u64 s[20:21], s[6:7], s[20:21]
	s_wait_dscnt 0x0
	global_store_b32 v1, v2, s[20:21]
.LBB8_12:
	s_wait_xcnt 0x0
	s_or_b32 exec_lo, exec_lo, s1
	s_wait_dscnt 0x0
	v_cmp_ne_u32_e32 vcc_lo, 0, v2
	s_mov_b32 s1, 0
	s_cbranch_vccnz .LBB8_48
; %bb.13:
	v_lshl_add_u32 v19, v0, 4, 16
                                        ; implicit-def: $vgpr6_vgpr7
                                        ; implicit-def: $vgpr10_vgpr11
	scratch_load_b128 v[2:5], v19, off
	s_wait_loadcnt 0x0
	v_cmp_ngt_f64_e64 s1, |v[2:3]|, |v[4:5]|
	s_wait_xcnt 0x0
	s_and_saveexec_b32 s19, s1
	s_delay_alu instid0(SALU_CYCLE_1)
	s_xor_b32 s1, exec_lo, s19
	s_cbranch_execz .LBB8_15
; %bb.14:
	v_div_scale_f64 v[6:7], null, v[4:5], v[4:5], v[2:3]
	v_div_scale_f64 v[12:13], vcc_lo, v[2:3], v[4:5], v[2:3]
	s_delay_alu instid0(VALU_DEP_2) | instskip(SKIP_1) | instid1(TRANS32_DEP_1)
	v_rcp_f64_e32 v[8:9], v[6:7]
	v_nop
	v_fma_f64 v[10:11], -v[6:7], v[8:9], 1.0
	s_delay_alu instid0(VALU_DEP_1) | instskip(NEXT) | instid1(VALU_DEP_1)
	v_fmac_f64_e32 v[8:9], v[8:9], v[10:11]
	v_fma_f64 v[10:11], -v[6:7], v[8:9], 1.0
	s_delay_alu instid0(VALU_DEP_1) | instskip(NEXT) | instid1(VALU_DEP_1)
	v_fmac_f64_e32 v[8:9], v[8:9], v[10:11]
	v_mul_f64_e32 v[10:11], v[12:13], v[8:9]
	s_delay_alu instid0(VALU_DEP_1) | instskip(NEXT) | instid1(VALU_DEP_1)
	v_fma_f64 v[6:7], -v[6:7], v[10:11], v[12:13]
	v_div_fmas_f64 v[6:7], v[6:7], v[8:9], v[10:11]
	s_delay_alu instid0(VALU_DEP_1) | instskip(NEXT) | instid1(VALU_DEP_1)
	v_div_fixup_f64 v[6:7], v[6:7], v[4:5], v[2:3]
	v_fmac_f64_e32 v[4:5], v[2:3], v[6:7]
	s_delay_alu instid0(VALU_DEP_1) | instskip(SKIP_1) | instid1(VALU_DEP_2)
	v_div_scale_f64 v[2:3], null, v[4:5], v[4:5], 1.0
	v_div_scale_f64 v[12:13], vcc_lo, 1.0, v[4:5], 1.0
	v_rcp_f64_e32 v[8:9], v[2:3]
	v_nop
	s_delay_alu instid0(TRANS32_DEP_1) | instskip(NEXT) | instid1(VALU_DEP_1)
	v_fma_f64 v[10:11], -v[2:3], v[8:9], 1.0
	v_fmac_f64_e32 v[8:9], v[8:9], v[10:11]
	s_delay_alu instid0(VALU_DEP_1) | instskip(NEXT) | instid1(VALU_DEP_1)
	v_fma_f64 v[10:11], -v[2:3], v[8:9], 1.0
	v_fmac_f64_e32 v[8:9], v[8:9], v[10:11]
	s_delay_alu instid0(VALU_DEP_1) | instskip(NEXT) | instid1(VALU_DEP_1)
	v_mul_f64_e32 v[10:11], v[12:13], v[8:9]
	v_fma_f64 v[2:3], -v[2:3], v[10:11], v[12:13]
	s_delay_alu instid0(VALU_DEP_1) | instskip(NEXT) | instid1(VALU_DEP_1)
	v_div_fmas_f64 v[2:3], v[2:3], v[8:9], v[10:11]
	v_div_fixup_f64 v[8:9], v[2:3], v[4:5], 1.0
                                        ; implicit-def: $vgpr2_vgpr3
	s_delay_alu instid0(VALU_DEP_1) | instskip(SKIP_1) | instid1(VALU_DEP_2)
	v_mul_f64_e32 v[6:7], v[6:7], v[8:9]
	v_xor_b32_e32 v9, 0x80000000, v9
	v_xor_b32_e32 v11, 0x80000000, v7
	s_delay_alu instid0(VALU_DEP_3)
	v_mov_b32_e32 v10, v6
.LBB8_15:
	s_and_not1_saveexec_b32 s1, s1
	s_cbranch_execz .LBB8_17
; %bb.16:
	v_div_scale_f64 v[6:7], null, v[2:3], v[2:3], v[4:5]
	v_div_scale_f64 v[12:13], vcc_lo, v[4:5], v[2:3], v[4:5]
	s_delay_alu instid0(VALU_DEP_2) | instskip(SKIP_1) | instid1(TRANS32_DEP_1)
	v_rcp_f64_e32 v[8:9], v[6:7]
	v_nop
	v_fma_f64 v[10:11], -v[6:7], v[8:9], 1.0
	s_delay_alu instid0(VALU_DEP_1) | instskip(NEXT) | instid1(VALU_DEP_1)
	v_fmac_f64_e32 v[8:9], v[8:9], v[10:11]
	v_fma_f64 v[10:11], -v[6:7], v[8:9], 1.0
	s_delay_alu instid0(VALU_DEP_1) | instskip(NEXT) | instid1(VALU_DEP_1)
	v_fmac_f64_e32 v[8:9], v[8:9], v[10:11]
	v_mul_f64_e32 v[10:11], v[12:13], v[8:9]
	s_delay_alu instid0(VALU_DEP_1) | instskip(NEXT) | instid1(VALU_DEP_1)
	v_fma_f64 v[6:7], -v[6:7], v[10:11], v[12:13]
	v_div_fmas_f64 v[6:7], v[6:7], v[8:9], v[10:11]
	s_delay_alu instid0(VALU_DEP_1) | instskip(NEXT) | instid1(VALU_DEP_1)
	v_div_fixup_f64 v[8:9], v[6:7], v[2:3], v[4:5]
	v_fmac_f64_e32 v[2:3], v[4:5], v[8:9]
	s_delay_alu instid0(VALU_DEP_1) | instskip(NEXT) | instid1(VALU_DEP_1)
	v_div_scale_f64 v[4:5], null, v[2:3], v[2:3], 1.0
	v_rcp_f64_e32 v[6:7], v[4:5]
	v_nop
	s_delay_alu instid0(TRANS32_DEP_1) | instskip(NEXT) | instid1(VALU_DEP_1)
	v_fma_f64 v[10:11], -v[4:5], v[6:7], 1.0
	v_fmac_f64_e32 v[6:7], v[6:7], v[10:11]
	s_delay_alu instid0(VALU_DEP_1) | instskip(NEXT) | instid1(VALU_DEP_1)
	v_fma_f64 v[10:11], -v[4:5], v[6:7], 1.0
	v_fmac_f64_e32 v[6:7], v[6:7], v[10:11]
	v_div_scale_f64 v[10:11], vcc_lo, 1.0, v[2:3], 1.0
	s_delay_alu instid0(VALU_DEP_1) | instskip(NEXT) | instid1(VALU_DEP_1)
	v_mul_f64_e32 v[12:13], v[10:11], v[6:7]
	v_fma_f64 v[4:5], -v[4:5], v[12:13], v[10:11]
	s_delay_alu instid0(VALU_DEP_1) | instskip(NEXT) | instid1(VALU_DEP_1)
	v_div_fmas_f64 v[4:5], v[4:5], v[6:7], v[12:13]
	v_div_fixup_f64 v[6:7], v[4:5], v[2:3], 1.0
	s_delay_alu instid0(VALU_DEP_1)
	v_mul_f64_e64 v[8:9], v[8:9], -v[6:7]
	v_xor_b32_e32 v11, 0x80000000, v7
	v_mov_b32_e32 v10, v6
.LBB8_17:
	s_or_b32 exec_lo, exec_lo, s1
	s_clause 0x1
	scratch_store_b128 v19, v[6:9], off
	scratch_load_b128 v[2:5], off, s10
	v_xor_b32_e32 v13, 0x80000000, v9
	v_dual_mov_b32 v12, v8 :: v_dual_add_nc_u32 v1, 0x90, v32
	ds_store_b128 v32, v[10:13]
	s_wait_loadcnt 0x0
	ds_store_b128 v32, v[2:5] offset:144
	s_wait_storecnt_dscnt 0x0
	s_barrier_signal -1
	s_barrier_wait -1
	s_wait_xcnt 0x0
	s_and_saveexec_b32 s1, s0
	s_cbranch_execz .LBB8_19
; %bb.18:
	scratch_load_b128 v[2:5], v19, off
	ds_load_b128 v[6:9], v1
	v_mov_b32_e32 v10, 0
	ds_load_b128 v[10:13], v10 offset:16
	s_wait_loadcnt_dscnt 0x1
	v_mul_f64_e32 v[34:35], v[6:7], v[4:5]
	v_mul_f64_e32 v[4:5], v[8:9], v[4:5]
	s_delay_alu instid0(VALU_DEP_2) | instskip(NEXT) | instid1(VALU_DEP_2)
	v_fmac_f64_e32 v[34:35], v[8:9], v[2:3]
	v_fma_f64 v[2:3], v[6:7], v[2:3], -v[4:5]
	s_delay_alu instid0(VALU_DEP_2) | instskip(NEXT) | instid1(VALU_DEP_2)
	v_add_f64_e32 v[6:7], 0, v[34:35]
	v_add_f64_e32 v[2:3], 0, v[2:3]
	s_wait_dscnt 0x0
	s_delay_alu instid0(VALU_DEP_2) | instskip(NEXT) | instid1(VALU_DEP_2)
	v_mul_f64_e32 v[8:9], v[6:7], v[12:13]
	v_mul_f64_e32 v[4:5], v[2:3], v[12:13]
	s_delay_alu instid0(VALU_DEP_2) | instskip(NEXT) | instid1(VALU_DEP_2)
	v_fma_f64 v[2:3], v[2:3], v[10:11], -v[8:9]
	v_fmac_f64_e32 v[4:5], v[6:7], v[10:11]
	scratch_store_b128 off, v[2:5], off offset:32
.LBB8_19:
	s_wait_xcnt 0x0
	s_or_b32 exec_lo, exec_lo, s1
	s_wait_storecnt 0x0
	s_barrier_signal -1
	s_barrier_wait -1
	scratch_load_b128 v[2:5], off, s8
	s_mov_b32 s1, exec_lo
	s_wait_loadcnt 0x0
	ds_store_b128 v1, v[2:5]
	s_wait_dscnt 0x0
	s_barrier_signal -1
	s_barrier_wait -1
	v_cmpx_gt_u32_e32 2, v0
	s_cbranch_execz .LBB8_23
; %bb.20:
	scratch_load_b128 v[2:5], v19, off
	ds_load_b128 v[6:9], v1
	s_wait_loadcnt_dscnt 0x0
	v_mul_f64_e32 v[10:11], v[8:9], v[4:5]
	v_mul_f64_e32 v[12:13], v[6:7], v[4:5]
	s_delay_alu instid0(VALU_DEP_2) | instskip(NEXT) | instid1(VALU_DEP_2)
	v_fma_f64 v[4:5], v[6:7], v[2:3], -v[10:11]
	v_fmac_f64_e32 v[12:13], v[8:9], v[2:3]
	s_delay_alu instid0(VALU_DEP_2) | instskip(NEXT) | instid1(VALU_DEP_2)
	v_add_f64_e32 v[4:5], 0, v[4:5]
	v_add_f64_e32 v[2:3], 0, v[12:13]
	s_and_saveexec_b32 s19, s0
	s_cbranch_execz .LBB8_22
; %bb.21:
	scratch_load_b128 v[6:9], off, off offset:32
	v_mov_b32_e32 v10, 0
	ds_load_b128 v[10:13], v10 offset:160
	s_wait_loadcnt_dscnt 0x0
	v_mul_f64_e32 v[34:35], v[10:11], v[8:9]
	v_mul_f64_e32 v[8:9], v[12:13], v[8:9]
	s_delay_alu instid0(VALU_DEP_2) | instskip(NEXT) | instid1(VALU_DEP_2)
	v_fmac_f64_e32 v[34:35], v[12:13], v[6:7]
	v_fma_f64 v[6:7], v[10:11], v[6:7], -v[8:9]
	s_delay_alu instid0(VALU_DEP_2) | instskip(NEXT) | instid1(VALU_DEP_2)
	v_add_f64_e32 v[2:3], v[2:3], v[34:35]
	v_add_f64_e32 v[4:5], v[4:5], v[6:7]
.LBB8_22:
	s_or_b32 exec_lo, exec_lo, s19
	v_mov_b32_e32 v6, 0
	ds_load_b128 v[6:9], v6 offset:32
	s_wait_dscnt 0x0
	v_mul_f64_e32 v[12:13], v[2:3], v[8:9]
	v_mul_f64_e32 v[10:11], v[4:5], v[8:9]
	s_delay_alu instid0(VALU_DEP_2) | instskip(NEXT) | instid1(VALU_DEP_2)
	v_fma_f64 v[8:9], v[4:5], v[6:7], -v[12:13]
	v_fmac_f64_e32 v[10:11], v[2:3], v[6:7]
	scratch_store_b128 off, v[8:11], off offset:48
.LBB8_23:
	s_wait_xcnt 0x0
	s_or_b32 exec_lo, exec_lo, s1
	s_wait_storecnt 0x0
	s_barrier_signal -1
	s_barrier_wait -1
	scratch_load_b128 v[2:5], off, s9
	v_add_nc_u32_e32 v6, -1, v0
	s_mov_b32 s0, exec_lo
	s_wait_loadcnt 0x0
	ds_store_b128 v1, v[2:5]
	s_wait_dscnt 0x0
	s_barrier_signal -1
	s_barrier_wait -1
	v_cmpx_gt_u32_e32 3, v0
	s_cbranch_execz .LBB8_27
; %bb.24:
	v_add_nc_u32_e32 v9, 16, v32
	v_mov_b64_e32 v[2:3], 0
	v_mov_b64_e32 v[4:5], 0
	v_add_nc_u32_e32 v7, -1, v0
	v_add_nc_u32_e32 v8, 0x90, v32
	v_or_b32_e32 v9, 8, v9
	s_mov_b32 s1, 0
.LBB8_25:                               ; =>This Inner Loop Header: Depth=1
	scratch_load_b128 v[10:13], v9, off offset:-8
	ds_load_b128 v[34:37], v8
	v_dual_add_nc_u32 v7, 1, v7 :: v_dual_add_nc_u32 v8, 16, v8
	s_wait_xcnt 0x0
	v_add_nc_u32_e32 v9, 16, v9
	s_delay_alu instid0(VALU_DEP_2) | instskip(SKIP_4) | instid1(VALU_DEP_2)
	v_cmp_lt_u32_e32 vcc_lo, 1, v7
	s_or_b32 s1, vcc_lo, s1
	s_wait_loadcnt_dscnt 0x0
	v_mul_f64_e32 v[38:39], v[36:37], v[12:13]
	v_mul_f64_e32 v[12:13], v[34:35], v[12:13]
	v_fma_f64 v[34:35], v[34:35], v[10:11], -v[38:39]
	s_delay_alu instid0(VALU_DEP_2) | instskip(NEXT) | instid1(VALU_DEP_2)
	v_fmac_f64_e32 v[12:13], v[36:37], v[10:11]
	v_add_f64_e32 v[4:5], v[4:5], v[34:35]
	s_delay_alu instid0(VALU_DEP_2)
	v_add_f64_e32 v[2:3], v[2:3], v[12:13]
	s_and_not1_b32 exec_lo, exec_lo, s1
	s_cbranch_execnz .LBB8_25
; %bb.26:
	s_or_b32 exec_lo, exec_lo, s1
	v_mov_b32_e32 v7, 0
	ds_load_b128 v[8:11], v7 offset:48
	s_wait_dscnt 0x0
	v_mul_f64_e32 v[34:35], v[2:3], v[10:11]
	v_mul_f64_e32 v[12:13], v[4:5], v[10:11]
	s_delay_alu instid0(VALU_DEP_2) | instskip(NEXT) | instid1(VALU_DEP_2)
	v_fma_f64 v[10:11], v[4:5], v[8:9], -v[34:35]
	v_fmac_f64_e32 v[12:13], v[2:3], v[8:9]
	scratch_store_b128 off, v[10:13], off offset:64
.LBB8_27:
	s_wait_xcnt 0x0
	s_or_b32 exec_lo, exec_lo, s0
	s_wait_storecnt 0x0
	s_barrier_signal -1
	s_barrier_wait -1
	scratch_load_b128 v[2:5], off, s11
	s_mov_b32 s0, exec_lo
	s_wait_loadcnt 0x0
	ds_store_b128 v1, v[2:5]
	s_wait_dscnt 0x0
	s_barrier_signal -1
	s_barrier_wait -1
	v_cmpx_gt_u32_e32 4, v0
	s_cbranch_execz .LBB8_31
; %bb.28:
	v_add_nc_u32_e32 v9, 16, v32
	v_mov_b64_e32 v[2:3], 0
	v_mov_b64_e32 v[4:5], 0
	v_add_nc_u32_e32 v7, -1, v0
	v_add_nc_u32_e32 v8, 0x90, v32
	v_or_b32_e32 v9, 8, v9
	s_mov_b32 s1, 0
.LBB8_29:                               ; =>This Inner Loop Header: Depth=1
	scratch_load_b128 v[10:13], v9, off offset:-8
	ds_load_b128 v[34:37], v8
	v_dual_add_nc_u32 v7, 1, v7 :: v_dual_add_nc_u32 v8, 16, v8
	s_wait_xcnt 0x0
	v_add_nc_u32_e32 v9, 16, v9
	s_delay_alu instid0(VALU_DEP_2) | instskip(SKIP_4) | instid1(VALU_DEP_2)
	v_cmp_lt_u32_e32 vcc_lo, 2, v7
	s_or_b32 s1, vcc_lo, s1
	s_wait_loadcnt_dscnt 0x0
	v_mul_f64_e32 v[38:39], v[36:37], v[12:13]
	v_mul_f64_e32 v[12:13], v[34:35], v[12:13]
	v_fma_f64 v[34:35], v[34:35], v[10:11], -v[38:39]
	s_delay_alu instid0(VALU_DEP_2) | instskip(NEXT) | instid1(VALU_DEP_2)
	v_fmac_f64_e32 v[12:13], v[36:37], v[10:11]
	v_add_f64_e32 v[4:5], v[4:5], v[34:35]
	s_delay_alu instid0(VALU_DEP_2)
	v_add_f64_e32 v[2:3], v[2:3], v[12:13]
	s_and_not1_b32 exec_lo, exec_lo, s1
	s_cbranch_execnz .LBB8_29
; %bb.30:
	s_or_b32 exec_lo, exec_lo, s1
	v_mov_b32_e32 v7, 0
	ds_load_b128 v[8:11], v7 offset:64
	s_wait_dscnt 0x0
	v_mul_f64_e32 v[34:35], v[2:3], v[10:11]
	v_mul_f64_e32 v[12:13], v[4:5], v[10:11]
	s_delay_alu instid0(VALU_DEP_2) | instskip(NEXT) | instid1(VALU_DEP_2)
	v_fma_f64 v[10:11], v[4:5], v[8:9], -v[34:35]
	v_fmac_f64_e32 v[12:13], v[2:3], v[8:9]
	scratch_store_b128 off, v[10:13], off offset:80
.LBB8_31:
	s_wait_xcnt 0x0
	s_or_b32 exec_lo, exec_lo, s0
	s_wait_storecnt 0x0
	s_barrier_signal -1
	s_barrier_wait -1
	scratch_load_b128 v[2:5], off, s12
	;; [unrolled: 54-line block ×5, first 2 shown]
	s_mov_b32 s0, exec_lo
	s_wait_loadcnt 0x0
	ds_store_b128 v1, v[2:5]
	s_wait_dscnt 0x0
	s_barrier_signal -1
	s_barrier_wait -1
	v_cmpx_ne_u32_e32 8, v0
	s_cbranch_execz .LBB8_47
; %bb.44:
	v_add_nc_u32_e32 v7, 16, v32
	v_mov_b64_e32 v[2:3], 0
	v_mov_b64_e32 v[4:5], 0
	s_mov_b32 s1, 0
	s_delay_alu instid0(VALU_DEP_3)
	v_or_b32_e32 v7, 8, v7
.LBB8_45:                               ; =>This Inner Loop Header: Depth=1
	scratch_load_b128 v[8:11], v7, off offset:-8
	ds_load_b128 v[32:35], v1
	v_dual_add_nc_u32 v1, 16, v1 :: v_dual_add_nc_u32 v6, 1, v6
	s_wait_xcnt 0x0
	v_add_nc_u32_e32 v7, 16, v7
	s_delay_alu instid0(VALU_DEP_2) | instskip(SKIP_4) | instid1(VALU_DEP_2)
	v_cmp_lt_u32_e32 vcc_lo, 6, v6
	s_or_b32 s1, vcc_lo, s1
	s_wait_loadcnt_dscnt 0x0
	v_mul_f64_e32 v[12:13], v[34:35], v[10:11]
	v_mul_f64_e32 v[10:11], v[32:33], v[10:11]
	v_fma_f64 v[12:13], v[32:33], v[8:9], -v[12:13]
	s_delay_alu instid0(VALU_DEP_2) | instskip(NEXT) | instid1(VALU_DEP_2)
	v_fmac_f64_e32 v[10:11], v[34:35], v[8:9]
	v_add_f64_e32 v[4:5], v[4:5], v[12:13]
	s_delay_alu instid0(VALU_DEP_2)
	v_add_f64_e32 v[2:3], v[2:3], v[10:11]
	s_and_not1_b32 exec_lo, exec_lo, s1
	s_cbranch_execnz .LBB8_45
; %bb.46:
	s_or_b32 exec_lo, exec_lo, s1
	v_mov_b32_e32 v1, 0
	ds_load_b128 v[6:9], v1 offset:128
	s_wait_dscnt 0x0
	v_mul_f64_e32 v[12:13], v[2:3], v[8:9]
	v_mul_f64_e32 v[10:11], v[4:5], v[8:9]
	s_delay_alu instid0(VALU_DEP_2) | instskip(NEXT) | instid1(VALU_DEP_2)
	v_fma_f64 v[8:9], v[4:5], v[6:7], -v[12:13]
	v_fmac_f64_e32 v[10:11], v[2:3], v[6:7]
	scratch_store_b128 off, v[8:11], off offset:144
.LBB8_47:
	s_wait_xcnt 0x0
	s_or_b32 exec_lo, exec_lo, s0
	s_mov_b32 s1, -1
	s_wait_storecnt 0x0
	s_barrier_signal -1
	s_barrier_wait -1
.LBB8_48:
	s_and_b32 vcc_lo, exec_lo, s1
	s_cbranch_vccz .LBB8_50
; %bb.49:
	v_mov_b32_e32 v1, 0
	s_lshl_b64 s[0:1], s[16:17], 2
	s_delay_alu instid0(SALU_CYCLE_1)
	s_add_nc_u64 s[0:1], s[6:7], s[0:1]
	global_load_b32 v1, v1, s[0:1]
	s_wait_loadcnt 0x0
	v_cmp_ne_u32_e32 vcc_lo, 0, v1
	s_cbranch_vccz .LBB8_51
.LBB8_50:
	s_sendmsg sendmsg(MSG_DEALLOC_VGPRS)
	s_endpgm
.LBB8_51:
	s_wait_xcnt 0x0
	v_lshl_add_u32 v1, v0, 4, 0x90
	s_mov_b32 s0, exec_lo
	v_cmpx_eq_u32_e32 8, v0
	s_cbranch_execz .LBB8_53
; %bb.52:
	scratch_load_b128 v[2:5], off, s15
	v_mov_b32_e32 v6, 0
	s_delay_alu instid0(VALU_DEP_1)
	v_dual_mov_b32 v7, v6 :: v_dual_mov_b32 v8, v6
	v_mov_b32_e32 v9, v6
	scratch_store_b128 off, v[6:9], off offset:128
	s_wait_loadcnt 0x0
	ds_store_b128 v1, v[2:5]
.LBB8_53:
	s_wait_xcnt 0x0
	s_or_b32 exec_lo, exec_lo, s0
	s_wait_storecnt_dscnt 0x0
	s_barrier_signal -1
	s_barrier_wait -1
	s_clause 0x1
	scratch_load_b128 v[4:7], off, off offset:144
	scratch_load_b128 v[8:11], off, off offset:128
	v_mov_b32_e32 v2, 0
	s_mov_b32 s0, exec_lo
	ds_load_b128 v[32:35], v2 offset:272
	s_wait_loadcnt_dscnt 0x100
	v_mul_f64_e32 v[12:13], v[34:35], v[6:7]
	v_mul_f64_e32 v[6:7], v[32:33], v[6:7]
	s_delay_alu instid0(VALU_DEP_2) | instskip(NEXT) | instid1(VALU_DEP_2)
	v_fma_f64 v[12:13], v[32:33], v[4:5], -v[12:13]
	v_fmac_f64_e32 v[6:7], v[34:35], v[4:5]
	s_delay_alu instid0(VALU_DEP_2) | instskip(NEXT) | instid1(VALU_DEP_2)
	v_add_f64_e32 v[4:5], 0, v[12:13]
	v_add_f64_e32 v[6:7], 0, v[6:7]
	s_wait_loadcnt 0x0
	s_delay_alu instid0(VALU_DEP_2) | instskip(NEXT) | instid1(VALU_DEP_2)
	v_add_f64_e64 v[4:5], v[8:9], -v[4:5]
	v_add_f64_e64 v[6:7], v[10:11], -v[6:7]
	scratch_store_b128 off, v[4:7], off offset:128
	s_wait_xcnt 0x0
	v_cmpx_lt_u32_e32 6, v0
	s_cbranch_execz .LBB8_55
; %bb.54:
	scratch_load_b128 v[6:9], off, s13
	v_dual_mov_b32 v3, v2 :: v_dual_mov_b32 v4, v2
	v_mov_b32_e32 v5, v2
	scratch_store_b128 off, v[2:5], off offset:112
	s_wait_loadcnt 0x0
	ds_store_b128 v1, v[6:9]
.LBB8_55:
	s_wait_xcnt 0x0
	s_or_b32 exec_lo, exec_lo, s0
	s_wait_storecnt_dscnt 0x0
	s_barrier_signal -1
	s_barrier_wait -1
	s_clause 0x2
	scratch_load_b128 v[4:7], off, off offset:128
	scratch_load_b128 v[8:11], off, off offset:144
	;; [unrolled: 1-line block ×3, first 2 shown]
	ds_load_b128 v[36:39], v2 offset:256
	ds_load_b128 v[40:43], v2 offset:272
	s_mov_b32 s0, exec_lo
	s_wait_loadcnt_dscnt 0x201
	v_mul_f64_e32 v[2:3], v[38:39], v[6:7]
	v_mul_f64_e32 v[6:7], v[36:37], v[6:7]
	s_wait_loadcnt_dscnt 0x100
	v_mul_f64_e32 v[12:13], v[40:41], v[10:11]
	v_mul_f64_e32 v[10:11], v[42:43], v[10:11]
	s_delay_alu instid0(VALU_DEP_4) | instskip(NEXT) | instid1(VALU_DEP_4)
	v_fma_f64 v[2:3], v[36:37], v[4:5], -v[2:3]
	v_fmac_f64_e32 v[6:7], v[38:39], v[4:5]
	s_delay_alu instid0(VALU_DEP_4) | instskip(NEXT) | instid1(VALU_DEP_4)
	v_fmac_f64_e32 v[12:13], v[42:43], v[8:9]
	v_fma_f64 v[4:5], v[40:41], v[8:9], -v[10:11]
	s_delay_alu instid0(VALU_DEP_4) | instskip(NEXT) | instid1(VALU_DEP_4)
	v_add_f64_e32 v[2:3], 0, v[2:3]
	v_add_f64_e32 v[6:7], 0, v[6:7]
	s_delay_alu instid0(VALU_DEP_2) | instskip(NEXT) | instid1(VALU_DEP_2)
	v_add_f64_e32 v[2:3], v[2:3], v[4:5]
	v_add_f64_e32 v[4:5], v[6:7], v[12:13]
	s_wait_loadcnt 0x0
	s_delay_alu instid0(VALU_DEP_2) | instskip(NEXT) | instid1(VALU_DEP_2)
	v_add_f64_e64 v[2:3], v[32:33], -v[2:3]
	v_add_f64_e64 v[4:5], v[34:35], -v[4:5]
	scratch_store_b128 off, v[2:5], off offset:112
	s_wait_xcnt 0x0
	v_cmpx_lt_u32_e32 5, v0
	s_cbranch_execz .LBB8_57
; %bb.56:
	scratch_load_b128 v[2:5], off, s12
	v_mov_b32_e32 v6, 0
	s_delay_alu instid0(VALU_DEP_1)
	v_dual_mov_b32 v7, v6 :: v_dual_mov_b32 v8, v6
	v_mov_b32_e32 v9, v6
	scratch_store_b128 off, v[6:9], off offset:96
	s_wait_loadcnt 0x0
	ds_store_b128 v1, v[2:5]
.LBB8_57:
	s_wait_xcnt 0x0
	s_or_b32 exec_lo, exec_lo, s0
	s_wait_storecnt_dscnt 0x0
	s_barrier_signal -1
	s_barrier_wait -1
	s_clause 0x3
	scratch_load_b128 v[4:7], off, off offset:112
	scratch_load_b128 v[8:11], off, off offset:128
	;; [unrolled: 1-line block ×4, first 2 shown]
	v_mov_b32_e32 v2, 0
	ds_load_b128 v[40:43], v2 offset:240
	ds_load_b128 v[44:47], v2 offset:256
	s_mov_b32 s0, exec_lo
	s_wait_loadcnt_dscnt 0x301
	v_mul_f64_e32 v[12:13], v[42:43], v[6:7]
	v_mul_f64_e32 v[48:49], v[40:41], v[6:7]
	s_wait_loadcnt_dscnt 0x200
	v_mul_f64_e32 v[50:51], v[44:45], v[10:11]
	v_mul_f64_e32 v[10:11], v[46:47], v[10:11]
	s_delay_alu instid0(VALU_DEP_4) | instskip(NEXT) | instid1(VALU_DEP_4)
	v_fma_f64 v[12:13], v[40:41], v[4:5], -v[12:13]
	v_fmac_f64_e32 v[48:49], v[42:43], v[4:5]
	ds_load_b128 v[4:7], v2 offset:272
	v_fmac_f64_e32 v[50:51], v[46:47], v[8:9]
	v_fma_f64 v[8:9], v[44:45], v[8:9], -v[10:11]
	s_wait_loadcnt_dscnt 0x100
	v_mul_f64_e32 v[40:41], v[4:5], v[34:35]
	v_mul_f64_e32 v[34:35], v[6:7], v[34:35]
	v_add_f64_e32 v[10:11], 0, v[12:13]
	v_add_f64_e32 v[12:13], 0, v[48:49]
	s_delay_alu instid0(VALU_DEP_4) | instskip(NEXT) | instid1(VALU_DEP_4)
	v_fmac_f64_e32 v[40:41], v[6:7], v[32:33]
	v_fma_f64 v[4:5], v[4:5], v[32:33], -v[34:35]
	s_delay_alu instid0(VALU_DEP_4) | instskip(NEXT) | instid1(VALU_DEP_4)
	v_add_f64_e32 v[6:7], v[10:11], v[8:9]
	v_add_f64_e32 v[8:9], v[12:13], v[50:51]
	s_delay_alu instid0(VALU_DEP_2) | instskip(NEXT) | instid1(VALU_DEP_2)
	v_add_f64_e32 v[4:5], v[6:7], v[4:5]
	v_add_f64_e32 v[6:7], v[8:9], v[40:41]
	s_wait_loadcnt 0x0
	s_delay_alu instid0(VALU_DEP_2) | instskip(NEXT) | instid1(VALU_DEP_2)
	v_add_f64_e64 v[4:5], v[36:37], -v[4:5]
	v_add_f64_e64 v[6:7], v[38:39], -v[6:7]
	scratch_store_b128 off, v[4:7], off offset:96
	s_wait_xcnt 0x0
	v_cmpx_lt_u32_e32 4, v0
	s_cbranch_execz .LBB8_59
; %bb.58:
	scratch_load_b128 v[6:9], off, s11
	v_dual_mov_b32 v3, v2 :: v_dual_mov_b32 v4, v2
	v_mov_b32_e32 v5, v2
	scratch_store_b128 off, v[2:5], off offset:80
	s_wait_loadcnt 0x0
	ds_store_b128 v1, v[6:9]
.LBB8_59:
	s_wait_xcnt 0x0
	s_or_b32 exec_lo, exec_lo, s0
	s_wait_storecnt_dscnt 0x0
	s_barrier_signal -1
	s_barrier_wait -1
	s_clause 0x4
	scratch_load_b128 v[4:7], off, off offset:96
	scratch_load_b128 v[8:11], off, off offset:112
	;; [unrolled: 1-line block ×5, first 2 shown]
	ds_load_b128 v[44:47], v2 offset:224
	ds_load_b128 v[48:51], v2 offset:240
	s_mov_b32 s0, exec_lo
	s_wait_loadcnt_dscnt 0x401
	v_mul_f64_e32 v[12:13], v[46:47], v[6:7]
	v_mul_f64_e32 v[52:53], v[44:45], v[6:7]
	s_wait_loadcnt_dscnt 0x300
	v_mul_f64_e32 v[54:55], v[48:49], v[10:11]
	v_mul_f64_e32 v[56:57], v[50:51], v[10:11]
	s_delay_alu instid0(VALU_DEP_4) | instskip(NEXT) | instid1(VALU_DEP_4)
	v_fma_f64 v[44:45], v[44:45], v[4:5], -v[12:13]
	v_fmac_f64_e32 v[52:53], v[46:47], v[4:5]
	ds_load_b128 v[4:7], v2 offset:256
	ds_load_b128 v[10:13], v2 offset:272
	v_fmac_f64_e32 v[54:55], v[50:51], v[8:9]
	v_fma_f64 v[8:9], v[48:49], v[8:9], -v[56:57]
	s_wait_loadcnt_dscnt 0x201
	v_mul_f64_e32 v[2:3], v[4:5], v[34:35]
	v_mul_f64_e32 v[34:35], v[6:7], v[34:35]
	s_wait_loadcnt_dscnt 0x100
	v_mul_f64_e32 v[48:49], v[10:11], v[38:39]
	v_mul_f64_e32 v[38:39], v[12:13], v[38:39]
	v_add_f64_e32 v[44:45], 0, v[44:45]
	v_add_f64_e32 v[46:47], 0, v[52:53]
	v_fmac_f64_e32 v[2:3], v[6:7], v[32:33]
	v_fma_f64 v[4:5], v[4:5], v[32:33], -v[34:35]
	v_fmac_f64_e32 v[48:49], v[12:13], v[36:37]
	v_fma_f64 v[10:11], v[10:11], v[36:37], -v[38:39]
	v_add_f64_e32 v[6:7], v[44:45], v[8:9]
	v_add_f64_e32 v[8:9], v[46:47], v[54:55]
	s_delay_alu instid0(VALU_DEP_2) | instskip(NEXT) | instid1(VALU_DEP_2)
	v_add_f64_e32 v[4:5], v[6:7], v[4:5]
	v_add_f64_e32 v[2:3], v[8:9], v[2:3]
	s_delay_alu instid0(VALU_DEP_2) | instskip(NEXT) | instid1(VALU_DEP_2)
	v_add_f64_e32 v[4:5], v[4:5], v[10:11]
	v_add_f64_e32 v[6:7], v[2:3], v[48:49]
	s_wait_loadcnt 0x0
	s_delay_alu instid0(VALU_DEP_2) | instskip(NEXT) | instid1(VALU_DEP_2)
	v_add_f64_e64 v[2:3], v[40:41], -v[4:5]
	v_add_f64_e64 v[4:5], v[42:43], -v[6:7]
	scratch_store_b128 off, v[2:5], off offset:80
	s_wait_xcnt 0x0
	v_cmpx_lt_u32_e32 3, v0
	s_cbranch_execz .LBB8_61
; %bb.60:
	scratch_load_b128 v[2:5], off, s9
	v_mov_b32_e32 v6, 0
	s_delay_alu instid0(VALU_DEP_1)
	v_dual_mov_b32 v7, v6 :: v_dual_mov_b32 v8, v6
	v_mov_b32_e32 v9, v6
	scratch_store_b128 off, v[6:9], off offset:64
	s_wait_loadcnt 0x0
	ds_store_b128 v1, v[2:5]
.LBB8_61:
	s_wait_xcnt 0x0
	s_or_b32 exec_lo, exec_lo, s0
	s_wait_storecnt_dscnt 0x0
	s_barrier_signal -1
	s_barrier_wait -1
	s_clause 0x5
	scratch_load_b128 v[4:7], off, off offset:80
	scratch_load_b128 v[8:11], off, off offset:96
	;; [unrolled: 1-line block ×6, first 2 shown]
	v_mov_b32_e32 v2, 0
	ds_load_b128 v[48:51], v2 offset:208
	ds_load_b128 v[52:55], v2 offset:224
	s_mov_b32 s0, exec_lo
	s_wait_loadcnt_dscnt 0x501
	v_mul_f64_e32 v[12:13], v[50:51], v[6:7]
	v_mul_f64_e32 v[56:57], v[48:49], v[6:7]
	s_wait_loadcnt_dscnt 0x400
	v_mul_f64_e32 v[58:59], v[52:53], v[10:11]
	v_mul_f64_e32 v[60:61], v[54:55], v[10:11]
	s_delay_alu instid0(VALU_DEP_4) | instskip(NEXT) | instid1(VALU_DEP_4)
	v_fma_f64 v[48:49], v[48:49], v[4:5], -v[12:13]
	v_fmac_f64_e32 v[56:57], v[50:51], v[4:5]
	ds_load_b128 v[4:7], v2 offset:240
	ds_load_b128 v[10:13], v2 offset:256
	v_fmac_f64_e32 v[58:59], v[54:55], v[8:9]
	v_fma_f64 v[8:9], v[52:53], v[8:9], -v[60:61]
	s_wait_loadcnt_dscnt 0x301
	v_mul_f64_e32 v[50:51], v[4:5], v[34:35]
	v_mul_f64_e32 v[34:35], v[6:7], v[34:35]
	s_wait_loadcnt_dscnt 0x200
	v_mul_f64_e32 v[54:55], v[10:11], v[38:39]
	v_mul_f64_e32 v[38:39], v[12:13], v[38:39]
	v_add_f64_e32 v[48:49], 0, v[48:49]
	v_add_f64_e32 v[52:53], 0, v[56:57]
	v_fmac_f64_e32 v[50:51], v[6:7], v[32:33]
	v_fma_f64 v[32:33], v[4:5], v[32:33], -v[34:35]
	ds_load_b128 v[4:7], v2 offset:272
	v_fmac_f64_e32 v[54:55], v[12:13], v[36:37]
	v_fma_f64 v[10:11], v[10:11], v[36:37], -v[38:39]
	v_add_f64_e32 v[8:9], v[48:49], v[8:9]
	v_add_f64_e32 v[34:35], v[52:53], v[58:59]
	s_wait_loadcnt_dscnt 0x100
	v_mul_f64_e32 v[48:49], v[4:5], v[42:43]
	v_mul_f64_e32 v[42:43], v[6:7], v[42:43]
	s_delay_alu instid0(VALU_DEP_4) | instskip(NEXT) | instid1(VALU_DEP_4)
	v_add_f64_e32 v[8:9], v[8:9], v[32:33]
	v_add_f64_e32 v[12:13], v[34:35], v[50:51]
	s_delay_alu instid0(VALU_DEP_4) | instskip(NEXT) | instid1(VALU_DEP_4)
	v_fmac_f64_e32 v[48:49], v[6:7], v[40:41]
	v_fma_f64 v[4:5], v[4:5], v[40:41], -v[42:43]
	s_delay_alu instid0(VALU_DEP_4) | instskip(NEXT) | instid1(VALU_DEP_4)
	v_add_f64_e32 v[6:7], v[8:9], v[10:11]
	v_add_f64_e32 v[8:9], v[12:13], v[54:55]
	s_delay_alu instid0(VALU_DEP_2) | instskip(NEXT) | instid1(VALU_DEP_2)
	v_add_f64_e32 v[4:5], v[6:7], v[4:5]
	v_add_f64_e32 v[6:7], v[8:9], v[48:49]
	s_wait_loadcnt 0x0
	s_delay_alu instid0(VALU_DEP_2) | instskip(NEXT) | instid1(VALU_DEP_2)
	v_add_f64_e64 v[4:5], v[44:45], -v[4:5]
	v_add_f64_e64 v[6:7], v[46:47], -v[6:7]
	scratch_store_b128 off, v[4:7], off offset:64
	s_wait_xcnt 0x0
	v_cmpx_lt_u32_e32 2, v0
	s_cbranch_execz .LBB8_63
; %bb.62:
	scratch_load_b128 v[6:9], off, s8
	v_dual_mov_b32 v3, v2 :: v_dual_mov_b32 v4, v2
	v_mov_b32_e32 v5, v2
	scratch_store_b128 off, v[2:5], off offset:48
	s_wait_loadcnt 0x0
	ds_store_b128 v1, v[6:9]
.LBB8_63:
	s_wait_xcnt 0x0
	s_or_b32 exec_lo, exec_lo, s0
	s_wait_storecnt_dscnt 0x0
	s_barrier_signal -1
	s_barrier_wait -1
	s_clause 0x6
	scratch_load_b128 v[4:7], off, off offset:64
	scratch_load_b128 v[8:11], off, off offset:80
	;; [unrolled: 1-line block ×7, first 2 shown]
	ds_load_b128 v[52:55], v2 offset:192
	ds_load_b128 v[56:59], v2 offset:208
	s_mov_b32 s0, exec_lo
	v_ashrrev_i32_e32 v21, 31, v20
	v_ashrrev_i32_e32 v25, 31, v24
	v_dual_ashrrev_i32 v29, 31, v28 :: v_dual_ashrrev_i32 v19, 31, v18
	v_ashrrev_i32_e32 v23, 31, v22
	v_ashrrev_i32_e32 v27, 31, v26
	v_ashrrev_i32_e32 v31, 31, v30
	s_wait_loadcnt_dscnt 0x601
	v_mul_f64_e32 v[12:13], v[54:55], v[6:7]
	v_mul_f64_e32 v[60:61], v[52:53], v[6:7]
	s_wait_loadcnt_dscnt 0x500
	v_mul_f64_e32 v[62:63], v[56:57], v[10:11]
	v_mul_f64_e32 v[64:65], v[58:59], v[10:11]
	s_delay_alu instid0(VALU_DEP_4) | instskip(NEXT) | instid1(VALU_DEP_4)
	v_fma_f64 v[52:53], v[52:53], v[4:5], -v[12:13]
	v_fmac_f64_e32 v[60:61], v[54:55], v[4:5]
	ds_load_b128 v[4:7], v2 offset:224
	ds_load_b128 v[10:13], v2 offset:240
	v_fmac_f64_e32 v[62:63], v[58:59], v[8:9]
	v_fma_f64 v[8:9], v[56:57], v[8:9], -v[64:65]
	s_wait_loadcnt_dscnt 0x401
	v_mul_f64_e32 v[54:55], v[4:5], v[34:35]
	v_mul_f64_e32 v[34:35], v[6:7], v[34:35]
	s_wait_loadcnt_dscnt 0x300
	v_mul_f64_e32 v[58:59], v[10:11], v[38:39]
	v_mul_f64_e32 v[38:39], v[12:13], v[38:39]
	v_add_f64_e32 v[52:53], 0, v[52:53]
	v_add_f64_e32 v[56:57], 0, v[60:61]
	v_fmac_f64_e32 v[54:55], v[6:7], v[32:33]
	v_fma_f64 v[60:61], v[4:5], v[32:33], -v[34:35]
	ds_load_b128 v[4:7], v2 offset:256
	ds_load_b128 v[32:35], v2 offset:272
	v_fmac_f64_e32 v[58:59], v[12:13], v[36:37]
	v_fma_f64 v[10:11], v[10:11], v[36:37], -v[38:39]
	v_add_f64_e32 v[8:9], v[52:53], v[8:9]
	v_add_f64_e32 v[52:53], v[56:57], v[62:63]
	s_wait_loadcnt_dscnt 0x201
	v_mul_f64_e32 v[2:3], v[4:5], v[42:43]
	v_mul_f64_e32 v[42:43], v[6:7], v[42:43]
	s_wait_loadcnt_dscnt 0x100
	v_mul_f64_e32 v[36:37], v[32:33], v[46:47]
	v_mul_f64_e32 v[38:39], v[34:35], v[46:47]
	v_add_f64_e32 v[8:9], v[8:9], v[60:61]
	v_add_f64_e32 v[12:13], v[52:53], v[54:55]
	v_fmac_f64_e32 v[2:3], v[6:7], v[40:41]
	v_fma_f64 v[4:5], v[4:5], v[40:41], -v[42:43]
	v_fmac_f64_e32 v[36:37], v[34:35], v[44:45]
	v_add_f64_e32 v[6:7], v[8:9], v[10:11]
	v_add_f64_e32 v[8:9], v[12:13], v[58:59]
	v_fma_f64 v[10:11], v[32:33], v[44:45], -v[38:39]
	s_delay_alu instid0(VALU_DEP_3) | instskip(NEXT) | instid1(VALU_DEP_3)
	v_add_f64_e32 v[4:5], v[6:7], v[4:5]
	v_add_f64_e32 v[2:3], v[8:9], v[2:3]
	s_delay_alu instid0(VALU_DEP_2) | instskip(NEXT) | instid1(VALU_DEP_2)
	v_add_f64_e32 v[4:5], v[4:5], v[10:11]
	v_add_f64_e32 v[6:7], v[2:3], v[36:37]
	s_wait_loadcnt 0x0
	s_delay_alu instid0(VALU_DEP_2) | instskip(NEXT) | instid1(VALU_DEP_2)
	v_add_f64_e64 v[2:3], v[48:49], -v[4:5]
	v_add_f64_e64 v[4:5], v[50:51], -v[6:7]
	scratch_store_b128 off, v[2:5], off offset:48
	s_wait_xcnt 0x0
	v_cmpx_lt_u32_e32 1, v0
	s_cbranch_execz .LBB8_65
; %bb.64:
	scratch_load_b128 v[2:5], off, s10
	v_mov_b32_e32 v6, 0
	s_delay_alu instid0(VALU_DEP_1)
	v_dual_mov_b32 v7, v6 :: v_dual_mov_b32 v8, v6
	v_mov_b32_e32 v9, v6
	scratch_store_b128 off, v[6:9], off offset:32
	s_wait_loadcnt 0x0
	ds_store_b128 v1, v[2:5]
.LBB8_65:
	s_wait_xcnt 0x0
	s_or_b32 exec_lo, exec_lo, s0
	s_wait_storecnt_dscnt 0x0
	s_barrier_signal -1
	s_barrier_wait -1
	s_clause 0x7
	scratch_load_b128 v[4:7], off, off offset:48
	scratch_load_b128 v[8:11], off, off offset:64
	;; [unrolled: 1-line block ×8, first 2 shown]
	v_mov_b32_e32 v2, 0
	ds_load_b128 v[56:59], v2 offset:176
	ds_load_b128 v[60:63], v2 offset:192
	s_mov_b32 s0, exec_lo
	s_wait_loadcnt_dscnt 0x701
	v_mul_f64_e32 v[12:13], v[58:59], v[6:7]
	v_mul_f64_e32 v[64:65], v[56:57], v[6:7]
	s_wait_loadcnt_dscnt 0x600
	v_mul_f64_e32 v[66:67], v[60:61], v[10:11]
	v_mul_f64_e32 v[68:69], v[62:63], v[10:11]
	s_delay_alu instid0(VALU_DEP_4) | instskip(NEXT) | instid1(VALU_DEP_4)
	v_fma_f64 v[56:57], v[56:57], v[4:5], -v[12:13]
	v_fmac_f64_e32 v[64:65], v[58:59], v[4:5]
	ds_load_b128 v[4:7], v2 offset:208
	ds_load_b128 v[10:13], v2 offset:224
	v_fmac_f64_e32 v[66:67], v[62:63], v[8:9]
	v_fma_f64 v[8:9], v[60:61], v[8:9], -v[68:69]
	s_wait_loadcnt_dscnt 0x501
	v_mul_f64_e32 v[58:59], v[4:5], v[34:35]
	v_mul_f64_e32 v[34:35], v[6:7], v[34:35]
	s_wait_loadcnt_dscnt 0x400
	v_mul_f64_e32 v[62:63], v[10:11], v[38:39]
	v_mul_f64_e32 v[38:39], v[12:13], v[38:39]
	v_add_f64_e32 v[56:57], 0, v[56:57]
	v_add_f64_e32 v[60:61], 0, v[64:65]
	v_fmac_f64_e32 v[58:59], v[6:7], v[32:33]
	v_fma_f64 v[64:65], v[4:5], v[32:33], -v[34:35]
	ds_load_b128 v[4:7], v2 offset:240
	ds_load_b128 v[32:35], v2 offset:256
	v_fmac_f64_e32 v[62:63], v[12:13], v[36:37]
	v_fma_f64 v[10:11], v[10:11], v[36:37], -v[38:39]
	v_add_f64_e32 v[8:9], v[56:57], v[8:9]
	v_add_f64_e32 v[56:57], v[60:61], v[66:67]
	s_wait_loadcnt_dscnt 0x301
	v_mul_f64_e32 v[60:61], v[4:5], v[42:43]
	v_mul_f64_e32 v[42:43], v[6:7], v[42:43]
	s_wait_loadcnt_dscnt 0x200
	v_mul_f64_e32 v[36:37], v[32:33], v[46:47]
	v_mul_f64_e32 v[38:39], v[34:35], v[46:47]
	v_add_f64_e32 v[8:9], v[8:9], v[64:65]
	v_add_f64_e32 v[12:13], v[56:57], v[58:59]
	v_fmac_f64_e32 v[60:61], v[6:7], v[40:41]
	v_fma_f64 v[40:41], v[4:5], v[40:41], -v[42:43]
	ds_load_b128 v[4:7], v2 offset:272
	v_fmac_f64_e32 v[36:37], v[34:35], v[44:45]
	v_fma_f64 v[32:33], v[32:33], v[44:45], -v[38:39]
	s_wait_loadcnt_dscnt 0x100
	v_mul_f64_e32 v[42:43], v[6:7], v[50:51]
	v_add_f64_e32 v[8:9], v[8:9], v[10:11]
	v_add_f64_e32 v[10:11], v[12:13], v[62:63]
	v_mul_f64_e32 v[12:13], v[4:5], v[50:51]
	s_delay_alu instid0(VALU_DEP_4) | instskip(NEXT) | instid1(VALU_DEP_4)
	v_fma_f64 v[4:5], v[4:5], v[48:49], -v[42:43]
	v_add_f64_e32 v[8:9], v[8:9], v[40:41]
	s_delay_alu instid0(VALU_DEP_4) | instskip(NEXT) | instid1(VALU_DEP_4)
	v_add_f64_e32 v[10:11], v[10:11], v[60:61]
	v_fmac_f64_e32 v[12:13], v[6:7], v[48:49]
	s_delay_alu instid0(VALU_DEP_3) | instskip(NEXT) | instid1(VALU_DEP_3)
	v_add_f64_e32 v[6:7], v[8:9], v[32:33]
	v_add_f64_e32 v[8:9], v[10:11], v[36:37]
	s_delay_alu instid0(VALU_DEP_2) | instskip(NEXT) | instid1(VALU_DEP_2)
	v_add_f64_e32 v[4:5], v[6:7], v[4:5]
	v_add_f64_e32 v[6:7], v[8:9], v[12:13]
	s_wait_loadcnt 0x0
	s_delay_alu instid0(VALU_DEP_2) | instskip(NEXT) | instid1(VALU_DEP_2)
	v_add_f64_e64 v[4:5], v[52:53], -v[4:5]
	v_add_f64_e64 v[6:7], v[54:55], -v[6:7]
	scratch_store_b128 off, v[4:7], off offset:32
	s_wait_xcnt 0x0
	v_cmpx_ne_u32_e32 0, v0
	s_cbranch_execz .LBB8_67
; %bb.66:
	scratch_load_b128 v[6:9], off, off offset:16
	v_dual_mov_b32 v3, v2 :: v_dual_mov_b32 v4, v2
	v_mov_b32_e32 v5, v2
	scratch_store_b128 off, v[2:5], off offset:16
	s_wait_loadcnt 0x0
	ds_store_b128 v1, v[6:9]
.LBB8_67:
	s_wait_xcnt 0x0
	s_or_b32 exec_lo, exec_lo, s0
	s_wait_storecnt_dscnt 0x0
	s_barrier_signal -1
	s_barrier_wait -1
	s_clause 0x7
	scratch_load_b128 v[4:7], off, off offset:32
	scratch_load_b128 v[8:11], off, off offset:48
	scratch_load_b128 v[32:35], off, off offset:64
	scratch_load_b128 v[36:39], off, off offset:80
	scratch_load_b128 v[40:43], off, off offset:96
	scratch_load_b128 v[44:47], off, off offset:112
	scratch_load_b128 v[48:51], off, off offset:128
	scratch_load_b128 v[52:55], off, off offset:144
	ds_load_b128 v[56:59], v2 offset:160
	ds_load_b128 v[60:63], v2 offset:176
	scratch_load_b128 v[64:67], off, off offset:16
	s_and_b32 vcc_lo, exec_lo, s18
	s_wait_loadcnt_dscnt 0x801
	v_mul_f64_e32 v[0:1], v[58:59], v[6:7]
	v_mul_f64_e32 v[68:69], v[56:57], v[6:7]
	s_wait_loadcnt_dscnt 0x700
	v_mul_f64_e32 v[70:71], v[60:61], v[10:11]
	v_mul_f64_e32 v[72:73], v[62:63], v[10:11]
	s_delay_alu instid0(VALU_DEP_4) | instskip(NEXT) | instid1(VALU_DEP_4)
	v_fma_f64 v[0:1], v[56:57], v[4:5], -v[0:1]
	v_fmac_f64_e32 v[68:69], v[58:59], v[4:5]
	ds_load_b128 v[4:7], v2 offset:192
	ds_load_b128 v[10:13], v2 offset:208
	v_fmac_f64_e32 v[70:71], v[62:63], v[8:9]
	v_fma_f64 v[8:9], v[60:61], v[8:9], -v[72:73]
	s_wait_loadcnt_dscnt 0x601
	v_mul_f64_e32 v[56:57], v[4:5], v[34:35]
	v_mul_f64_e32 v[34:35], v[6:7], v[34:35]
	s_wait_loadcnt_dscnt 0x500
	v_mul_f64_e32 v[60:61], v[10:11], v[38:39]
	v_mul_f64_e32 v[38:39], v[12:13], v[38:39]
	v_add_f64_e32 v[0:1], 0, v[0:1]
	v_add_f64_e32 v[58:59], 0, v[68:69]
	v_fmac_f64_e32 v[56:57], v[6:7], v[32:33]
	v_fma_f64 v[62:63], v[4:5], v[32:33], -v[34:35]
	ds_load_b128 v[4:7], v2 offset:224
	ds_load_b128 v[32:35], v2 offset:240
	v_fmac_f64_e32 v[60:61], v[12:13], v[36:37]
	v_fma_f64 v[10:11], v[10:11], v[36:37], -v[38:39]
	v_add_f64_e32 v[0:1], v[0:1], v[8:9]
	v_add_f64_e32 v[8:9], v[58:59], v[70:71]
	s_wait_loadcnt_dscnt 0x401
	v_mul_f64_e32 v[58:59], v[4:5], v[42:43]
	v_mul_f64_e32 v[42:43], v[6:7], v[42:43]
	s_wait_loadcnt_dscnt 0x300
	v_mul_f64_e32 v[12:13], v[32:33], v[46:47]
	v_mul_f64_e32 v[36:37], v[34:35], v[46:47]
	v_add_f64_e32 v[0:1], v[0:1], v[62:63]
	v_add_f64_e32 v[8:9], v[8:9], v[56:57]
	v_fmac_f64_e32 v[58:59], v[6:7], v[40:41]
	v_fma_f64 v[38:39], v[4:5], v[40:41], -v[42:43]
	v_fmac_f64_e32 v[12:13], v[34:35], v[44:45]
	v_fma_f64 v[32:33], v[32:33], v[44:45], -v[36:37]
	v_add_f64_e32 v[10:11], v[0:1], v[10:11]
	v_add_f64_e32 v[8:9], v[8:9], v[60:61]
	ds_load_b128 v[4:7], v2 offset:256
	ds_load_b128 v[0:3], v2 offset:272
	s_wait_loadcnt_dscnt 0x201
	v_mul_f64_e32 v[40:41], v[4:5], v[50:51]
	v_mul_f64_e32 v[42:43], v[6:7], v[50:51]
	s_wait_loadcnt_dscnt 0x100
	v_mul_f64_e32 v[34:35], v[0:1], v[54:55]
	v_mul_f64_e32 v[36:37], v[2:3], v[54:55]
	v_add_f64_e32 v[10:11], v[10:11], v[38:39]
	v_add_f64_e32 v[8:9], v[8:9], v[58:59]
	v_fmac_f64_e32 v[40:41], v[6:7], v[48:49]
	v_fma_f64 v[4:5], v[4:5], v[48:49], -v[42:43]
	v_fmac_f64_e32 v[34:35], v[2:3], v[52:53]
	v_fma_f64 v[0:1], v[0:1], v[52:53], -v[36:37]
	v_add_f64_e32 v[6:7], v[10:11], v[32:33]
	v_add_f64_e32 v[8:9], v[8:9], v[12:13]
	v_lshl_add_u64 v[10:11], v[28:29], 4, s[4:5]
	v_lshl_add_u64 v[12:13], v[30:31], 4, s[4:5]
	s_delay_alu instid0(VALU_DEP_4) | instskip(NEXT) | instid1(VALU_DEP_4)
	v_add_f64_e32 v[2:3], v[6:7], v[4:5]
	v_add_f64_e32 v[4:5], v[8:9], v[40:41]
	v_lshl_add_u64 v[6:7], v[24:25], 4, s[4:5]
	v_lshl_add_u64 v[8:9], v[26:27], 4, s[4:5]
	s_delay_alu instid0(VALU_DEP_4) | instskip(NEXT) | instid1(VALU_DEP_4)
	v_add_f64_e32 v[0:1], v[2:3], v[0:1]
	v_add_f64_e32 v[2:3], v[4:5], v[34:35]
	v_lshl_add_u64 v[4:5], v[22:23], 4, s[4:5]
	s_wait_loadcnt 0x0
	s_delay_alu instid0(VALU_DEP_3) | instskip(NEXT) | instid1(VALU_DEP_3)
	v_add_f64_e64 v[32:33], v[64:65], -v[0:1]
	v_add_f64_e64 v[34:35], v[66:67], -v[2:3]
	v_lshl_add_u64 v[0:1], v[18:19], 4, s[4:5]
	v_lshl_add_u64 v[2:3], v[20:21], 4, s[4:5]
	scratch_store_b128 off, v[32:35], off offset:16
	s_cbranch_vccz .LBB8_84
; %bb.68:
	v_mov_b32_e32 v18, 0
	global_load_b32 v19, v18, s[2:3] offset:28
	s_wait_loadcnt 0x0
	v_cmp_ne_u32_e32 vcc_lo, 8, v19
	s_cbranch_vccz .LBB8_70
; %bb.69:
	v_lshlrev_b32_e32 v19, 4, v19
	s_delay_alu instid0(VALU_DEP_1)
	v_add_nc_u32_e32 v19, 16, v19
	s_clause 0x1
	scratch_load_b128 v[20:23], v19, off offset:-16
	scratch_load_b128 v[24:27], off, s15
	s_wait_loadcnt 0x1
	scratch_store_b128 off, v[20:23], s15
	s_wait_loadcnt 0x0
	scratch_store_b128 v19, v[24:27], off offset:-16
.LBB8_70:
	global_load_b32 v18, v18, s[2:3] offset:24
	s_wait_loadcnt 0x0
	v_cmp_eq_u32_e32 vcc_lo, 7, v18
	s_cbranch_vccnz .LBB8_72
; %bb.71:
	s_wait_xcnt 0x0
	v_lshlrev_b32_e32 v18, 4, v18
	s_delay_alu instid0(VALU_DEP_1)
	v_add_nc_u32_e32 v26, 16, v18
	s_clause 0x1
	scratch_load_b128 v[18:21], v26, off offset:-16
	scratch_load_b128 v[22:25], off, s13
	s_wait_loadcnt 0x1
	scratch_store_b128 off, v[18:21], s13
	s_wait_loadcnt 0x0
	scratch_store_b128 v26, v[22:25], off offset:-16
.LBB8_72:
	s_wait_xcnt 0x0
	v_mov_b32_e32 v18, 0
	global_load_b32 v19, v18, s[2:3] offset:20
	s_wait_loadcnt 0x0
	v_cmp_eq_u32_e32 vcc_lo, 6, v19
	s_cbranch_vccnz .LBB8_74
; %bb.73:
	v_lshlrev_b32_e32 v19, 4, v19
	s_delay_alu instid0(VALU_DEP_1)
	v_add_nc_u32_e32 v19, 16, v19
	s_clause 0x1
	scratch_load_b128 v[20:23], v19, off offset:-16
	scratch_load_b128 v[24:27], off, s12
	s_wait_loadcnt 0x1
	scratch_store_b128 off, v[20:23], s12
	s_wait_loadcnt 0x0
	scratch_store_b128 v19, v[24:27], off offset:-16
.LBB8_74:
	global_load_b32 v18, v18, s[2:3] offset:16
	s_wait_loadcnt 0x0
	v_cmp_eq_u32_e32 vcc_lo, 5, v18
	s_cbranch_vccnz .LBB8_76
; %bb.75:
	s_wait_xcnt 0x0
	v_lshlrev_b32_e32 v18, 4, v18
	s_delay_alu instid0(VALU_DEP_1)
	v_add_nc_u32_e32 v26, 16, v18
	s_clause 0x1
	scratch_load_b128 v[18:21], v26, off offset:-16
	scratch_load_b128 v[22:25], off, s11
	s_wait_loadcnt 0x1
	scratch_store_b128 off, v[18:21], s11
	s_wait_loadcnt 0x0
	scratch_store_b128 v26, v[22:25], off offset:-16
.LBB8_76:
	s_wait_xcnt 0x0
	v_mov_b32_e32 v18, 0
	global_load_b32 v19, v18, s[2:3] offset:12
	s_wait_loadcnt 0x0
	v_cmp_eq_u32_e32 vcc_lo, 4, v19
	s_cbranch_vccnz .LBB8_78
; %bb.77:
	v_lshlrev_b32_e32 v19, 4, v19
	s_delay_alu instid0(VALU_DEP_1)
	v_add_nc_u32_e32 v19, 16, v19
	s_clause 0x1
	scratch_load_b128 v[20:23], v19, off offset:-16
	scratch_load_b128 v[24:27], off, s9
	s_wait_loadcnt 0x1
	scratch_store_b128 off, v[20:23], s9
	s_wait_loadcnt 0x0
	scratch_store_b128 v19, v[24:27], off offset:-16
.LBB8_78:
	;; [unrolled: 35-line block ×3, first 2 shown]
	global_load_b32 v18, v18, s[2:3]
	s_wait_loadcnt 0x0
	v_cmp_eq_u32_e32 vcc_lo, 1, v18
	s_cbranch_vccnz .LBB8_84
; %bb.83:
	s_wait_xcnt 0x0
	v_lshlrev_b32_e32 v18, 4, v18
	s_delay_alu instid0(VALU_DEP_1)
	v_add_nc_u32_e32 v26, 16, v18
	scratch_load_b128 v[18:21], v26, off offset:-16
	scratch_load_b128 v[22:25], off, off offset:16
	s_wait_loadcnt 0x1
	scratch_store_b128 off, v[18:21], off offset:16
	s_wait_loadcnt 0x0
	scratch_store_b128 v26, v[22:25], off offset:-16
.LBB8_84:
	scratch_load_b128 v[18:21], off, off offset:16
	s_clause 0x7
	scratch_load_b128 v[22:25], off, s10
	scratch_load_b128 v[26:29], off, s8
	;; [unrolled: 1-line block ×8, first 2 shown]
	s_wait_loadcnt 0x8
	global_store_b128 v[14:15], v[18:21], off
	s_wait_loadcnt 0x7
	global_store_b128 v[16:17], v[22:25], off
	;; [unrolled: 2-line block ×9, first 2 shown]
	s_sendmsg sendmsg(MSG_DEALLOC_VGPRS)
	s_endpgm
	.section	.rodata,"a",@progbits
	.p2align	6, 0x0
	.amdhsa_kernel _ZN9rocsolver6v33100L18getri_kernel_smallILi9E19rocblas_complex_numIdEPS3_EEvT1_iilPiilS6_bb
		.amdhsa_group_segment_fixed_size 296
		.amdhsa_private_segment_fixed_size 176
		.amdhsa_kernarg_size 60
		.amdhsa_user_sgpr_count 2
		.amdhsa_user_sgpr_dispatch_ptr 0
		.amdhsa_user_sgpr_queue_ptr 0
		.amdhsa_user_sgpr_kernarg_segment_ptr 1
		.amdhsa_user_sgpr_dispatch_id 0
		.amdhsa_user_sgpr_kernarg_preload_length 0
		.amdhsa_user_sgpr_kernarg_preload_offset 0
		.amdhsa_user_sgpr_private_segment_size 0
		.amdhsa_wavefront_size32 1
		.amdhsa_uses_dynamic_stack 0
		.amdhsa_enable_private_segment 1
		.amdhsa_system_sgpr_workgroup_id_x 1
		.amdhsa_system_sgpr_workgroup_id_y 0
		.amdhsa_system_sgpr_workgroup_id_z 0
		.amdhsa_system_sgpr_workgroup_info 0
		.amdhsa_system_vgpr_workitem_id 0
		.amdhsa_next_free_vgpr 74
		.amdhsa_next_free_sgpr 22
		.amdhsa_named_barrier_count 0
		.amdhsa_reserve_vcc 1
		.amdhsa_float_round_mode_32 0
		.amdhsa_float_round_mode_16_64 0
		.amdhsa_float_denorm_mode_32 3
		.amdhsa_float_denorm_mode_16_64 3
		.amdhsa_fp16_overflow 0
		.amdhsa_memory_ordered 1
		.amdhsa_forward_progress 1
		.amdhsa_inst_pref_size 61
		.amdhsa_round_robin_scheduling 0
		.amdhsa_exception_fp_ieee_invalid_op 0
		.amdhsa_exception_fp_denorm_src 0
		.amdhsa_exception_fp_ieee_div_zero 0
		.amdhsa_exception_fp_ieee_overflow 0
		.amdhsa_exception_fp_ieee_underflow 0
		.amdhsa_exception_fp_ieee_inexact 0
		.amdhsa_exception_int_div_zero 0
	.end_amdhsa_kernel
	.section	.text._ZN9rocsolver6v33100L18getri_kernel_smallILi9E19rocblas_complex_numIdEPS3_EEvT1_iilPiilS6_bb,"axG",@progbits,_ZN9rocsolver6v33100L18getri_kernel_smallILi9E19rocblas_complex_numIdEPS3_EEvT1_iilPiilS6_bb,comdat
.Lfunc_end8:
	.size	_ZN9rocsolver6v33100L18getri_kernel_smallILi9E19rocblas_complex_numIdEPS3_EEvT1_iilPiilS6_bb, .Lfunc_end8-_ZN9rocsolver6v33100L18getri_kernel_smallILi9E19rocblas_complex_numIdEPS3_EEvT1_iilPiilS6_bb
                                        ; -- End function
	.set _ZN9rocsolver6v33100L18getri_kernel_smallILi9E19rocblas_complex_numIdEPS3_EEvT1_iilPiilS6_bb.num_vgpr, 74
	.set _ZN9rocsolver6v33100L18getri_kernel_smallILi9E19rocblas_complex_numIdEPS3_EEvT1_iilPiilS6_bb.num_agpr, 0
	.set _ZN9rocsolver6v33100L18getri_kernel_smallILi9E19rocblas_complex_numIdEPS3_EEvT1_iilPiilS6_bb.numbered_sgpr, 22
	.set _ZN9rocsolver6v33100L18getri_kernel_smallILi9E19rocblas_complex_numIdEPS3_EEvT1_iilPiilS6_bb.num_named_barrier, 0
	.set _ZN9rocsolver6v33100L18getri_kernel_smallILi9E19rocblas_complex_numIdEPS3_EEvT1_iilPiilS6_bb.private_seg_size, 176
	.set _ZN9rocsolver6v33100L18getri_kernel_smallILi9E19rocblas_complex_numIdEPS3_EEvT1_iilPiilS6_bb.uses_vcc, 1
	.set _ZN9rocsolver6v33100L18getri_kernel_smallILi9E19rocblas_complex_numIdEPS3_EEvT1_iilPiilS6_bb.uses_flat_scratch, 1
	.set _ZN9rocsolver6v33100L18getri_kernel_smallILi9E19rocblas_complex_numIdEPS3_EEvT1_iilPiilS6_bb.has_dyn_sized_stack, 0
	.set _ZN9rocsolver6v33100L18getri_kernel_smallILi9E19rocblas_complex_numIdEPS3_EEvT1_iilPiilS6_bb.has_recursion, 0
	.set _ZN9rocsolver6v33100L18getri_kernel_smallILi9E19rocblas_complex_numIdEPS3_EEvT1_iilPiilS6_bb.has_indirect_call, 0
	.section	.AMDGPU.csdata,"",@progbits
; Kernel info:
; codeLenInByte = 7780
; TotalNumSgprs: 24
; NumVgprs: 74
; ScratchSize: 176
; MemoryBound: 0
; FloatMode: 240
; IeeeMode: 1
; LDSByteSize: 296 bytes/workgroup (compile time only)
; SGPRBlocks: 0
; VGPRBlocks: 4
; NumSGPRsForWavesPerEU: 24
; NumVGPRsForWavesPerEU: 74
; NamedBarCnt: 0
; Occupancy: 12
; WaveLimiterHint : 1
; COMPUTE_PGM_RSRC2:SCRATCH_EN: 1
; COMPUTE_PGM_RSRC2:USER_SGPR: 2
; COMPUTE_PGM_RSRC2:TRAP_HANDLER: 0
; COMPUTE_PGM_RSRC2:TGID_X_EN: 1
; COMPUTE_PGM_RSRC2:TGID_Y_EN: 0
; COMPUTE_PGM_RSRC2:TGID_Z_EN: 0
; COMPUTE_PGM_RSRC2:TIDIG_COMP_CNT: 0
	.section	.text._ZN9rocsolver6v33100L18getri_kernel_smallILi10E19rocblas_complex_numIdEPS3_EEvT1_iilPiilS6_bb,"axG",@progbits,_ZN9rocsolver6v33100L18getri_kernel_smallILi10E19rocblas_complex_numIdEPS3_EEvT1_iilPiilS6_bb,comdat
	.globl	_ZN9rocsolver6v33100L18getri_kernel_smallILi10E19rocblas_complex_numIdEPS3_EEvT1_iilPiilS6_bb ; -- Begin function _ZN9rocsolver6v33100L18getri_kernel_smallILi10E19rocblas_complex_numIdEPS3_EEvT1_iilPiilS6_bb
	.p2align	8
	.type	_ZN9rocsolver6v33100L18getri_kernel_smallILi10E19rocblas_complex_numIdEPS3_EEvT1_iilPiilS6_bb,@function
_ZN9rocsolver6v33100L18getri_kernel_smallILi10E19rocblas_complex_numIdEPS3_EEvT1_iilPiilS6_bb: ; @_ZN9rocsolver6v33100L18getri_kernel_smallILi10E19rocblas_complex_numIdEPS3_EEvT1_iilPiilS6_bb
; %bb.0:
	v_and_b32_e32 v1, 0x3ff, v0
	s_mov_b32 s4, exec_lo
	s_delay_alu instid0(VALU_DEP_1)
	v_cmpx_gt_u32_e32 10, v1
	s_cbranch_execz .LBB9_54
; %bb.1:
	s_clause 0x2
	s_load_b32 s8, s[2:3], 0x38
	s_load_b128 s[12:15], s[2:3], 0x10
	s_load_b128 s[4:7], s[2:3], 0x28
	s_getreg_b32 s11, hwreg(HW_REG_IB_STS2, 6, 4)
                                        ; implicit-def: $sgpr16_sgpr17
	s_wait_kmcnt 0x0
	s_bitcmp1_b32 s8, 8
	s_cselect_b32 s21, -1, 0
	s_bfe_u32 s9, ttmp6, 0x4000c
	s_and_b32 s10, ttmp6, 15
	s_add_co_i32 s9, s9, 1
	s_delay_alu instid0(SALU_CYCLE_1) | instskip(NEXT) | instid1(SALU_CYCLE_1)
	s_mul_i32 s9, ttmp9, s9
	s_add_co_i32 s10, s10, s9
	s_cmp_eq_u32 s11, 0
	s_cselect_b32 s18, ttmp9, s10
	s_bfe_u32 s8, s8, 0x10008
	s_ashr_i32 s19, s18, 31
	s_cmp_eq_u32 s8, 0
	s_cbranch_scc1 .LBB9_3
; %bb.2:
	s_load_b32 s8, s[2:3], 0x20
	s_mul_u64 s[4:5], s[4:5], s[18:19]
	s_delay_alu instid0(SALU_CYCLE_1) | instskip(NEXT) | instid1(SALU_CYCLE_1)
	s_lshl_b64 s[4:5], s[4:5], 2
	s_add_nc_u64 s[4:5], s[14:15], s[4:5]
	s_wait_kmcnt 0x0
	s_ashr_i32 s9, s8, 31
	s_delay_alu instid0(SALU_CYCLE_1) | instskip(NEXT) | instid1(SALU_CYCLE_1)
	s_lshl_b64 s[8:9], s[8:9], 2
	s_add_nc_u64 s[16:17], s[4:5], s[8:9]
.LBB9_3:
	s_clause 0x1
	s_load_b128 s[8:11], s[2:3], 0x0
	s_load_b32 s22, s[2:3], 0x38
	s_mul_u64 s[4:5], s[12:13], s[18:19]
	v_dual_mov_b32 v35, 0 :: v_dual_lshlrev_b32 v34, 4, v1
	s_wait_xcnt 0x0
	s_lshl_b64 s[2:3], s[4:5], 4
	s_movk_i32 s12, 0x50
	s_movk_i32 s13, 0x60
	;; [unrolled: 1-line block ×5, first 2 shown]
	s_wait_kmcnt 0x0
	v_add3_u32 v18, s11, s11, v1
	s_ashr_i32 s5, s10, 31
	s_mov_b32 s4, s10
	s_add_nc_u64 s[2:3], s[8:9], s[2:3]
	s_lshl_b64 s[4:5], s[4:5], 4
	v_add_nc_u32_e32 v20, s11, v18
	s_add_nc_u64 s[4:5], s[2:3], s[4:5]
	s_ashr_i32 s3, s11, 31
	v_add_nc_u64_e32 v[14:15], s[4:5], v[34:35]
	s_mov_b32 s2, s11
	v_add_nc_u32_e32 v22, s11, v20
	s_mov_b32 s10, 16
	s_mov_b32 s8, 32
	;; [unrolled: 1-line block ×3, first 2 shown]
	s_bitcmp0_b32 s22, 0
	v_add_nc_u32_e32 v24, s11, v22
	v_lshl_add_u64 v[16:17], s[2:3], 4, v[14:15]
	s_clause 0x1
	global_load_b128 v[2:5], v1, s[4:5] scale_offset
	global_load_b128 v[6:9], v[16:17], off
	v_add_nc_u32_e32 v26, s11, v24
	s_clause 0x1
	global_load_b128 v[10:13], v18, s[4:5] scale_offset
	global_load_b128 v[36:39], v20, s[4:5] scale_offset
	s_mov_b32 s3, -1
	v_add_nc_u32_e32 v28, s11, v26
	s_delay_alu instid0(VALU_DEP_1)
	v_add_nc_u32_e32 v30, s11, v28
	s_clause 0x3
	global_load_b128 v[40:43], v22, s[4:5] scale_offset
	global_load_b128 v[44:47], v24, s[4:5] scale_offset
	;; [unrolled: 1-line block ×4, first 2 shown]
	v_add_nc_u32_e32 v32, s11, v30
	s_mov_b32 s11, 64
	s_clause 0x1
	global_load_b128 v[56:59], v30, s[4:5] scale_offset
	global_load_b128 v[60:63], v32, s[4:5] scale_offset
	s_wait_loadcnt 0x9
	scratch_store_b128 off, v[2:5], off
	s_wait_loadcnt 0x8
	scratch_store_b128 off, v[6:9], off offset:16
	s_wait_loadcnt 0x7
	scratch_store_b128 off, v[10:13], off offset:32
	s_wait_loadcnt 0x6
	scratch_store_b128 off, v[36:39], off offset:48
	s_wait_loadcnt 0x5
	scratch_store_b128 off, v[40:43], off offset:64
	s_wait_loadcnt 0x4
	scratch_store_b128 off, v[44:47], off offset:80
	s_wait_loadcnt 0x3
	scratch_store_b128 off, v[48:51], off offset:96
	s_wait_loadcnt 0x2
	scratch_store_b128 off, v[52:55], off offset:112
	s_wait_loadcnt 0x1
	scratch_store_b128 off, v[56:59], off offset:128
	s_wait_loadcnt 0x0
	scratch_store_b128 off, v[60:63], off offset:144
	s_cbranch_scc1 .LBB9_52
; %bb.4:
	v_cmp_eq_u32_e64 s2, 0, v1
	s_wait_xcnt 0x0
	s_and_saveexec_b32 s3, s2
; %bb.5:
	v_mov_b32_e32 v2, 0
	ds_store_b32 v2, v2 offset:320
; %bb.6:
	s_or_b32 exec_lo, exec_lo, s3
	s_wait_storecnt_dscnt 0x0
	s_barrier_signal -1
	s_barrier_wait -1
	scratch_load_b128 v[2:5], v1, off scale_offset
	s_wait_loadcnt 0x0
	v_cmp_eq_f64_e32 vcc_lo, 0, v[2:3]
	v_cmp_eq_f64_e64 s3, 0, v[4:5]
	s_and_b32 s3, vcc_lo, s3
	s_delay_alu instid0(SALU_CYCLE_1)
	s_and_saveexec_b32 s22, s3
	s_cbranch_execz .LBB9_10
; %bb.7:
	v_mov_b32_e32 v2, 0
	s_mov_b32 s23, 0
	ds_load_b32 v3, v2 offset:320
	s_wait_dscnt 0x0
	v_readfirstlane_b32 s3, v3
	v_add_nc_u32_e32 v3, 1, v1
	s_cmp_eq_u32 s3, 0
	s_delay_alu instid0(VALU_DEP_1) | instskip(SKIP_1) | instid1(SALU_CYCLE_1)
	v_cmp_gt_i32_e32 vcc_lo, s3, v3
	s_cselect_b32 s24, -1, 0
	s_or_b32 s24, s24, vcc_lo
	s_delay_alu instid0(SALU_CYCLE_1)
	s_and_b32 exec_lo, exec_lo, s24
	s_cbranch_execz .LBB9_10
; %bb.8:
	v_mov_b32_e32 v4, s3
.LBB9_9:                                ; =>This Inner Loop Header: Depth=1
	ds_cmpstore_rtn_b32 v4, v2, v3, v4 offset:320
	s_wait_dscnt 0x0
	v_cmp_ne_u32_e32 vcc_lo, 0, v4
	v_cmp_le_i32_e64 s3, v4, v3
	s_and_b32 s3, vcc_lo, s3
	s_delay_alu instid0(SALU_CYCLE_1) | instskip(NEXT) | instid1(SALU_CYCLE_1)
	s_and_b32 s3, exec_lo, s3
	s_or_b32 s23, s3, s23
	s_delay_alu instid0(SALU_CYCLE_1)
	s_and_not1_b32 exec_lo, exec_lo, s23
	s_cbranch_execnz .LBB9_9
.LBB9_10:
	s_or_b32 exec_lo, exec_lo, s22
	v_mov_b32_e32 v2, 0
	s_barrier_signal -1
	s_barrier_wait -1
	ds_load_b32 v3, v2 offset:320
	s_and_saveexec_b32 s3, s2
	s_cbranch_execz .LBB9_12
; %bb.11:
	s_lshl_b64 s[22:23], s[18:19], 2
	s_delay_alu instid0(SALU_CYCLE_1)
	s_add_nc_u64 s[22:23], s[6:7], s[22:23]
	s_wait_dscnt 0x0
	global_store_b32 v2, v3, s[22:23]
.LBB9_12:
	s_wait_xcnt 0x0
	s_or_b32 exec_lo, exec_lo, s3
	s_wait_dscnt 0x0
	v_cmp_ne_u32_e32 vcc_lo, 0, v3
	s_mov_b32 s3, 0
	s_cbranch_vccnz .LBB9_52
; %bb.13:
	v_lshl_add_u32 v19, v1, 4, 0
                                        ; implicit-def: $vgpr6_vgpr7
                                        ; implicit-def: $vgpr10_vgpr11
	scratch_load_b128 v[2:5], v19, off
	s_wait_loadcnt 0x0
	v_cmp_ngt_f64_e64 s3, |v[2:3]|, |v[4:5]|
	s_wait_xcnt 0x0
	s_and_saveexec_b32 s22, s3
	s_delay_alu instid0(SALU_CYCLE_1)
	s_xor_b32 s3, exec_lo, s22
	s_cbranch_execz .LBB9_15
; %bb.14:
	v_div_scale_f64 v[6:7], null, v[4:5], v[4:5], v[2:3]
	v_div_scale_f64 v[12:13], vcc_lo, v[2:3], v[4:5], v[2:3]
	s_delay_alu instid0(VALU_DEP_2) | instskip(SKIP_1) | instid1(TRANS32_DEP_1)
	v_rcp_f64_e32 v[8:9], v[6:7]
	v_nop
	v_fma_f64 v[10:11], -v[6:7], v[8:9], 1.0
	s_delay_alu instid0(VALU_DEP_1) | instskip(NEXT) | instid1(VALU_DEP_1)
	v_fmac_f64_e32 v[8:9], v[8:9], v[10:11]
	v_fma_f64 v[10:11], -v[6:7], v[8:9], 1.0
	s_delay_alu instid0(VALU_DEP_1) | instskip(NEXT) | instid1(VALU_DEP_1)
	v_fmac_f64_e32 v[8:9], v[8:9], v[10:11]
	v_mul_f64_e32 v[10:11], v[12:13], v[8:9]
	s_delay_alu instid0(VALU_DEP_1) | instskip(NEXT) | instid1(VALU_DEP_1)
	v_fma_f64 v[6:7], -v[6:7], v[10:11], v[12:13]
	v_div_fmas_f64 v[6:7], v[6:7], v[8:9], v[10:11]
	s_delay_alu instid0(VALU_DEP_1) | instskip(NEXT) | instid1(VALU_DEP_1)
	v_div_fixup_f64 v[6:7], v[6:7], v[4:5], v[2:3]
	v_fmac_f64_e32 v[4:5], v[2:3], v[6:7]
	s_delay_alu instid0(VALU_DEP_1) | instskip(SKIP_1) | instid1(VALU_DEP_2)
	v_div_scale_f64 v[2:3], null, v[4:5], v[4:5], 1.0
	v_div_scale_f64 v[12:13], vcc_lo, 1.0, v[4:5], 1.0
	v_rcp_f64_e32 v[8:9], v[2:3]
	v_nop
	s_delay_alu instid0(TRANS32_DEP_1) | instskip(NEXT) | instid1(VALU_DEP_1)
	v_fma_f64 v[10:11], -v[2:3], v[8:9], 1.0
	v_fmac_f64_e32 v[8:9], v[8:9], v[10:11]
	s_delay_alu instid0(VALU_DEP_1) | instskip(NEXT) | instid1(VALU_DEP_1)
	v_fma_f64 v[10:11], -v[2:3], v[8:9], 1.0
	v_fmac_f64_e32 v[8:9], v[8:9], v[10:11]
	s_delay_alu instid0(VALU_DEP_1) | instskip(NEXT) | instid1(VALU_DEP_1)
	v_mul_f64_e32 v[10:11], v[12:13], v[8:9]
	v_fma_f64 v[2:3], -v[2:3], v[10:11], v[12:13]
	s_delay_alu instid0(VALU_DEP_1) | instskip(NEXT) | instid1(VALU_DEP_1)
	v_div_fmas_f64 v[2:3], v[2:3], v[8:9], v[10:11]
	v_div_fixup_f64 v[8:9], v[2:3], v[4:5], 1.0
                                        ; implicit-def: $vgpr2_vgpr3
	s_delay_alu instid0(VALU_DEP_1) | instskip(SKIP_1) | instid1(VALU_DEP_2)
	v_mul_f64_e32 v[6:7], v[6:7], v[8:9]
	v_xor_b32_e32 v9, 0x80000000, v9
	v_xor_b32_e32 v11, 0x80000000, v7
	s_delay_alu instid0(VALU_DEP_3)
	v_mov_b32_e32 v10, v6
.LBB9_15:
	s_and_not1_saveexec_b32 s3, s3
	s_cbranch_execz .LBB9_17
; %bb.16:
	v_div_scale_f64 v[6:7], null, v[2:3], v[2:3], v[4:5]
	v_div_scale_f64 v[12:13], vcc_lo, v[4:5], v[2:3], v[4:5]
	s_delay_alu instid0(VALU_DEP_2) | instskip(SKIP_1) | instid1(TRANS32_DEP_1)
	v_rcp_f64_e32 v[8:9], v[6:7]
	v_nop
	v_fma_f64 v[10:11], -v[6:7], v[8:9], 1.0
	s_delay_alu instid0(VALU_DEP_1) | instskip(NEXT) | instid1(VALU_DEP_1)
	v_fmac_f64_e32 v[8:9], v[8:9], v[10:11]
	v_fma_f64 v[10:11], -v[6:7], v[8:9], 1.0
	s_delay_alu instid0(VALU_DEP_1) | instskip(NEXT) | instid1(VALU_DEP_1)
	v_fmac_f64_e32 v[8:9], v[8:9], v[10:11]
	v_mul_f64_e32 v[10:11], v[12:13], v[8:9]
	s_delay_alu instid0(VALU_DEP_1) | instskip(NEXT) | instid1(VALU_DEP_1)
	v_fma_f64 v[6:7], -v[6:7], v[10:11], v[12:13]
	v_div_fmas_f64 v[6:7], v[6:7], v[8:9], v[10:11]
	s_delay_alu instid0(VALU_DEP_1) | instskip(NEXT) | instid1(VALU_DEP_1)
	v_div_fixup_f64 v[8:9], v[6:7], v[2:3], v[4:5]
	v_fmac_f64_e32 v[2:3], v[4:5], v[8:9]
	s_delay_alu instid0(VALU_DEP_1) | instskip(NEXT) | instid1(VALU_DEP_1)
	v_div_scale_f64 v[4:5], null, v[2:3], v[2:3], 1.0
	v_rcp_f64_e32 v[6:7], v[4:5]
	v_nop
	s_delay_alu instid0(TRANS32_DEP_1) | instskip(NEXT) | instid1(VALU_DEP_1)
	v_fma_f64 v[10:11], -v[4:5], v[6:7], 1.0
	v_fmac_f64_e32 v[6:7], v[6:7], v[10:11]
	s_delay_alu instid0(VALU_DEP_1) | instskip(NEXT) | instid1(VALU_DEP_1)
	v_fma_f64 v[10:11], -v[4:5], v[6:7], 1.0
	v_fmac_f64_e32 v[6:7], v[6:7], v[10:11]
	v_div_scale_f64 v[10:11], vcc_lo, 1.0, v[2:3], 1.0
	s_delay_alu instid0(VALU_DEP_1) | instskip(NEXT) | instid1(VALU_DEP_1)
	v_mul_f64_e32 v[12:13], v[10:11], v[6:7]
	v_fma_f64 v[4:5], -v[4:5], v[12:13], v[10:11]
	s_delay_alu instid0(VALU_DEP_1) | instskip(NEXT) | instid1(VALU_DEP_1)
	v_div_fmas_f64 v[4:5], v[4:5], v[6:7], v[12:13]
	v_div_fixup_f64 v[6:7], v[4:5], v[2:3], 1.0
	s_delay_alu instid0(VALU_DEP_1)
	v_mul_f64_e64 v[8:9], v[8:9], -v[6:7]
	v_xor_b32_e32 v11, 0x80000000, v7
	v_mov_b32_e32 v10, v6
.LBB9_17:
	s_or_b32 exec_lo, exec_lo, s3
	s_clause 0x1
	scratch_store_b128 v19, v[6:9], off
	scratch_load_b128 v[2:5], off, s10
	v_xor_b32_e32 v13, 0x80000000, v9
	v_mov_b32_e32 v12, v8
	s_wait_xcnt 0x1
	v_add_nc_u32_e32 v6, 0xa0, v34
	ds_store_b128 v34, v[10:13]
	s_wait_loadcnt 0x0
	ds_store_b128 v34, v[2:5] offset:160
	s_wait_storecnt_dscnt 0x0
	s_barrier_signal -1
	s_barrier_wait -1
	s_wait_xcnt 0x0
	s_and_saveexec_b32 s3, s2
	s_cbranch_execz .LBB9_19
; %bb.18:
	scratch_load_b128 v[2:5], v19, off
	ds_load_b128 v[8:11], v6
	v_mov_b32_e32 v7, 0
	ds_load_b128 v[36:39], v7 offset:16
	s_wait_loadcnt_dscnt 0x1
	v_mul_f64_e32 v[12:13], v[8:9], v[4:5]
	v_mul_f64_e32 v[4:5], v[10:11], v[4:5]
	s_delay_alu instid0(VALU_DEP_2) | instskip(NEXT) | instid1(VALU_DEP_2)
	v_fmac_f64_e32 v[12:13], v[10:11], v[2:3]
	v_fma_f64 v[2:3], v[8:9], v[2:3], -v[4:5]
	s_delay_alu instid0(VALU_DEP_2) | instskip(NEXT) | instid1(VALU_DEP_2)
	v_add_f64_e32 v[8:9], 0, v[12:13]
	v_add_f64_e32 v[2:3], 0, v[2:3]
	s_wait_dscnt 0x0
	s_delay_alu instid0(VALU_DEP_2) | instskip(NEXT) | instid1(VALU_DEP_2)
	v_mul_f64_e32 v[10:11], v[8:9], v[38:39]
	v_mul_f64_e32 v[4:5], v[2:3], v[38:39]
	s_delay_alu instid0(VALU_DEP_2) | instskip(NEXT) | instid1(VALU_DEP_2)
	v_fma_f64 v[2:3], v[2:3], v[36:37], -v[10:11]
	v_fmac_f64_e32 v[4:5], v[8:9], v[36:37]
	scratch_store_b128 off, v[2:5], off offset:16
.LBB9_19:
	s_wait_xcnt 0x0
	s_or_b32 exec_lo, exec_lo, s3
	s_wait_storecnt 0x0
	s_barrier_signal -1
	s_barrier_wait -1
	scratch_load_b128 v[2:5], off, s8
	s_mov_b32 s3, exec_lo
	s_wait_loadcnt 0x0
	ds_store_b128 v6, v[2:5]
	s_wait_dscnt 0x0
	s_barrier_signal -1
	s_barrier_wait -1
	v_cmpx_gt_u32_e32 2, v1
	s_cbranch_execz .LBB9_23
; %bb.20:
	scratch_load_b128 v[2:5], v19, off
	ds_load_b128 v[8:11], v6
	s_wait_loadcnt_dscnt 0x0
	v_mul_f64_e32 v[12:13], v[10:11], v[4:5]
	v_mul_f64_e32 v[36:37], v[8:9], v[4:5]
	s_delay_alu instid0(VALU_DEP_2) | instskip(NEXT) | instid1(VALU_DEP_2)
	v_fma_f64 v[4:5], v[8:9], v[2:3], -v[12:13]
	v_fmac_f64_e32 v[36:37], v[10:11], v[2:3]
	s_delay_alu instid0(VALU_DEP_2) | instskip(NEXT) | instid1(VALU_DEP_2)
	v_add_f64_e32 v[4:5], 0, v[4:5]
	v_add_f64_e32 v[2:3], 0, v[36:37]
	s_and_saveexec_b32 s22, s2
	s_cbranch_execz .LBB9_22
; %bb.21:
	scratch_load_b128 v[8:11], off, off offset:16
	v_mov_b32_e32 v7, 0
	ds_load_b128 v[36:39], v7 offset:176
	s_wait_loadcnt_dscnt 0x0
	v_mul_f64_e32 v[12:13], v[36:37], v[10:11]
	v_mul_f64_e32 v[10:11], v[38:39], v[10:11]
	s_delay_alu instid0(VALU_DEP_2) | instskip(NEXT) | instid1(VALU_DEP_2)
	v_fmac_f64_e32 v[12:13], v[38:39], v[8:9]
	v_fma_f64 v[8:9], v[36:37], v[8:9], -v[10:11]
	s_delay_alu instid0(VALU_DEP_2) | instskip(NEXT) | instid1(VALU_DEP_2)
	v_add_f64_e32 v[2:3], v[2:3], v[12:13]
	v_add_f64_e32 v[4:5], v[4:5], v[8:9]
.LBB9_22:
	s_or_b32 exec_lo, exec_lo, s22
	v_mov_b32_e32 v7, 0
	ds_load_b128 v[8:11], v7 offset:32
	s_wait_dscnt 0x0
	v_mul_f64_e32 v[36:37], v[2:3], v[10:11]
	v_mul_f64_e32 v[12:13], v[4:5], v[10:11]
	s_delay_alu instid0(VALU_DEP_2) | instskip(NEXT) | instid1(VALU_DEP_2)
	v_fma_f64 v[10:11], v[4:5], v[8:9], -v[36:37]
	v_fmac_f64_e32 v[12:13], v[2:3], v[8:9]
	scratch_store_b128 off, v[10:13], off offset:32
.LBB9_23:
	s_wait_xcnt 0x0
	s_or_b32 exec_lo, exec_lo, s3
	s_wait_storecnt 0x0
	s_barrier_signal -1
	s_barrier_wait -1
	scratch_load_b128 v[2:5], off, s9
	v_add_nc_u32_e32 v7, -1, v1
	s_mov_b32 s2, exec_lo
	s_wait_loadcnt 0x0
	ds_store_b128 v6, v[2:5]
	s_wait_dscnt 0x0
	s_barrier_signal -1
	s_barrier_wait -1
	v_cmpx_gt_u32_e32 3, v1
	s_cbranch_execz .LBB9_27
; %bb.24:
	v_dual_mov_b32 v10, v34 :: v_dual_add_nc_u32 v8, -1, v1
	v_mov_b64_e32 v[2:3], 0
	v_mov_b64_e32 v[4:5], 0
	v_add_nc_u32_e32 v9, 0xa0, v34
	s_delay_alu instid0(VALU_DEP_4)
	v_or_b32_e32 v10, 8, v10
	s_mov_b32 s3, 0
.LBB9_25:                               ; =>This Inner Loop Header: Depth=1
	scratch_load_b128 v[36:39], v10, off offset:-8
	ds_load_b128 v[40:43], v9
	v_dual_add_nc_u32 v8, 1, v8 :: v_dual_add_nc_u32 v9, 16, v9
	s_wait_xcnt 0x0
	v_add_nc_u32_e32 v10, 16, v10
	s_delay_alu instid0(VALU_DEP_2) | instskip(SKIP_4) | instid1(VALU_DEP_2)
	v_cmp_lt_u32_e32 vcc_lo, 1, v8
	s_or_b32 s3, vcc_lo, s3
	s_wait_loadcnt_dscnt 0x0
	v_mul_f64_e32 v[12:13], v[42:43], v[38:39]
	v_mul_f64_e32 v[38:39], v[40:41], v[38:39]
	v_fma_f64 v[12:13], v[40:41], v[36:37], -v[12:13]
	s_delay_alu instid0(VALU_DEP_2) | instskip(NEXT) | instid1(VALU_DEP_2)
	v_fmac_f64_e32 v[38:39], v[42:43], v[36:37]
	v_add_f64_e32 v[4:5], v[4:5], v[12:13]
	s_delay_alu instid0(VALU_DEP_2)
	v_add_f64_e32 v[2:3], v[2:3], v[38:39]
	s_and_not1_b32 exec_lo, exec_lo, s3
	s_cbranch_execnz .LBB9_25
; %bb.26:
	s_or_b32 exec_lo, exec_lo, s3
	v_mov_b32_e32 v8, 0
	ds_load_b128 v[8:11], v8 offset:48
	s_wait_dscnt 0x0
	v_mul_f64_e32 v[36:37], v[2:3], v[10:11]
	v_mul_f64_e32 v[12:13], v[4:5], v[10:11]
	s_delay_alu instid0(VALU_DEP_2) | instskip(NEXT) | instid1(VALU_DEP_2)
	v_fma_f64 v[10:11], v[4:5], v[8:9], -v[36:37]
	v_fmac_f64_e32 v[12:13], v[2:3], v[8:9]
	scratch_store_b128 off, v[10:13], off offset:48
.LBB9_27:
	s_wait_xcnt 0x0
	s_or_b32 exec_lo, exec_lo, s2
	s_wait_storecnt 0x0
	s_barrier_signal -1
	s_barrier_wait -1
	scratch_load_b128 v[2:5], off, s11
	s_mov_b32 s2, exec_lo
	s_wait_loadcnt 0x0
	ds_store_b128 v6, v[2:5]
	s_wait_dscnt 0x0
	s_barrier_signal -1
	s_barrier_wait -1
	v_cmpx_gt_u32_e32 4, v1
	s_cbranch_execz .LBB9_31
; %bb.28:
	v_dual_mov_b32 v10, v34 :: v_dual_add_nc_u32 v8, -1, v1
	v_mov_b64_e32 v[2:3], 0
	v_mov_b64_e32 v[4:5], 0
	v_add_nc_u32_e32 v9, 0xa0, v34
	s_delay_alu instid0(VALU_DEP_4)
	v_or_b32_e32 v10, 8, v10
	s_mov_b32 s3, 0
.LBB9_29:                               ; =>This Inner Loop Header: Depth=1
	scratch_load_b128 v[36:39], v10, off offset:-8
	ds_load_b128 v[40:43], v9
	v_dual_add_nc_u32 v8, 1, v8 :: v_dual_add_nc_u32 v9, 16, v9
	s_wait_xcnt 0x0
	v_add_nc_u32_e32 v10, 16, v10
	s_delay_alu instid0(VALU_DEP_2) | instskip(SKIP_4) | instid1(VALU_DEP_2)
	v_cmp_lt_u32_e32 vcc_lo, 2, v8
	s_or_b32 s3, vcc_lo, s3
	s_wait_loadcnt_dscnt 0x0
	v_mul_f64_e32 v[12:13], v[42:43], v[38:39]
	v_mul_f64_e32 v[38:39], v[40:41], v[38:39]
	v_fma_f64 v[12:13], v[40:41], v[36:37], -v[12:13]
	s_delay_alu instid0(VALU_DEP_2) | instskip(NEXT) | instid1(VALU_DEP_2)
	v_fmac_f64_e32 v[38:39], v[42:43], v[36:37]
	v_add_f64_e32 v[4:5], v[4:5], v[12:13]
	s_delay_alu instid0(VALU_DEP_2)
	v_add_f64_e32 v[2:3], v[2:3], v[38:39]
	s_and_not1_b32 exec_lo, exec_lo, s3
	s_cbranch_execnz .LBB9_29
; %bb.30:
	s_or_b32 exec_lo, exec_lo, s3
	v_mov_b32_e32 v8, 0
	ds_load_b128 v[8:11], v8 offset:64
	s_wait_dscnt 0x0
	v_mul_f64_e32 v[36:37], v[2:3], v[10:11]
	v_mul_f64_e32 v[12:13], v[4:5], v[10:11]
	s_delay_alu instid0(VALU_DEP_2) | instskip(NEXT) | instid1(VALU_DEP_2)
	v_fma_f64 v[10:11], v[4:5], v[8:9], -v[36:37]
	v_fmac_f64_e32 v[12:13], v[2:3], v[8:9]
	scratch_store_b128 off, v[10:13], off offset:64
.LBB9_31:
	s_wait_xcnt 0x0
	s_or_b32 exec_lo, exec_lo, s2
	s_wait_storecnt 0x0
	s_barrier_signal -1
	s_barrier_wait -1
	scratch_load_b128 v[2:5], off, s12
	s_mov_b32 s2, exec_lo
	s_wait_loadcnt 0x0
	ds_store_b128 v6, v[2:5]
	s_wait_dscnt 0x0
	s_barrier_signal -1
	s_barrier_wait -1
	v_cmpx_gt_u32_e32 5, v1
	s_cbranch_execz .LBB9_35
; %bb.32:
	v_dual_mov_b32 v10, v34 :: v_dual_add_nc_u32 v8, -1, v1
	v_mov_b64_e32 v[2:3], 0
	v_mov_b64_e32 v[4:5], 0
	v_add_nc_u32_e32 v9, 0xa0, v34
	s_delay_alu instid0(VALU_DEP_4)
	v_or_b32_e32 v10, 8, v10
	s_mov_b32 s3, 0
.LBB9_33:                               ; =>This Inner Loop Header: Depth=1
	scratch_load_b128 v[36:39], v10, off offset:-8
	ds_load_b128 v[40:43], v9
	v_dual_add_nc_u32 v8, 1, v8 :: v_dual_add_nc_u32 v9, 16, v9
	s_wait_xcnt 0x0
	v_add_nc_u32_e32 v10, 16, v10
	s_delay_alu instid0(VALU_DEP_2) | instskip(SKIP_4) | instid1(VALU_DEP_2)
	v_cmp_lt_u32_e32 vcc_lo, 3, v8
	s_or_b32 s3, vcc_lo, s3
	s_wait_loadcnt_dscnt 0x0
	v_mul_f64_e32 v[12:13], v[42:43], v[38:39]
	v_mul_f64_e32 v[38:39], v[40:41], v[38:39]
	v_fma_f64 v[12:13], v[40:41], v[36:37], -v[12:13]
	s_delay_alu instid0(VALU_DEP_2) | instskip(NEXT) | instid1(VALU_DEP_2)
	v_fmac_f64_e32 v[38:39], v[42:43], v[36:37]
	v_add_f64_e32 v[4:5], v[4:5], v[12:13]
	s_delay_alu instid0(VALU_DEP_2)
	v_add_f64_e32 v[2:3], v[2:3], v[38:39]
	s_and_not1_b32 exec_lo, exec_lo, s3
	s_cbranch_execnz .LBB9_33
; %bb.34:
	s_or_b32 exec_lo, exec_lo, s3
	v_mov_b32_e32 v8, 0
	ds_load_b128 v[8:11], v8 offset:80
	s_wait_dscnt 0x0
	v_mul_f64_e32 v[36:37], v[2:3], v[10:11]
	v_mul_f64_e32 v[12:13], v[4:5], v[10:11]
	s_delay_alu instid0(VALU_DEP_2) | instskip(NEXT) | instid1(VALU_DEP_2)
	v_fma_f64 v[10:11], v[4:5], v[8:9], -v[36:37]
	v_fmac_f64_e32 v[12:13], v[2:3], v[8:9]
	scratch_store_b128 off, v[10:13], off offset:80
.LBB9_35:
	s_wait_xcnt 0x0
	s_or_b32 exec_lo, exec_lo, s2
	s_wait_storecnt 0x0
	s_barrier_signal -1
	s_barrier_wait -1
	scratch_load_b128 v[2:5], off, s13
	s_mov_b32 s2, exec_lo
	s_wait_loadcnt 0x0
	ds_store_b128 v6, v[2:5]
	s_wait_dscnt 0x0
	s_barrier_signal -1
	s_barrier_wait -1
	v_cmpx_gt_u32_e32 6, v1
	s_cbranch_execz .LBB9_39
; %bb.36:
	v_dual_mov_b32 v10, v34 :: v_dual_add_nc_u32 v8, -1, v1
	v_mov_b64_e32 v[2:3], 0
	v_mov_b64_e32 v[4:5], 0
	v_add_nc_u32_e32 v9, 0xa0, v34
	s_delay_alu instid0(VALU_DEP_4)
	v_or_b32_e32 v10, 8, v10
	s_mov_b32 s3, 0
.LBB9_37:                               ; =>This Inner Loop Header: Depth=1
	scratch_load_b128 v[36:39], v10, off offset:-8
	ds_load_b128 v[40:43], v9
	v_dual_add_nc_u32 v8, 1, v8 :: v_dual_add_nc_u32 v9, 16, v9
	s_wait_xcnt 0x0
	v_add_nc_u32_e32 v10, 16, v10
	s_delay_alu instid0(VALU_DEP_2) | instskip(SKIP_4) | instid1(VALU_DEP_2)
	v_cmp_lt_u32_e32 vcc_lo, 4, v8
	s_or_b32 s3, vcc_lo, s3
	s_wait_loadcnt_dscnt 0x0
	v_mul_f64_e32 v[12:13], v[42:43], v[38:39]
	v_mul_f64_e32 v[38:39], v[40:41], v[38:39]
	v_fma_f64 v[12:13], v[40:41], v[36:37], -v[12:13]
	s_delay_alu instid0(VALU_DEP_2) | instskip(NEXT) | instid1(VALU_DEP_2)
	v_fmac_f64_e32 v[38:39], v[42:43], v[36:37]
	v_add_f64_e32 v[4:5], v[4:5], v[12:13]
	s_delay_alu instid0(VALU_DEP_2)
	v_add_f64_e32 v[2:3], v[2:3], v[38:39]
	s_and_not1_b32 exec_lo, exec_lo, s3
	s_cbranch_execnz .LBB9_37
; %bb.38:
	s_or_b32 exec_lo, exec_lo, s3
	v_mov_b32_e32 v8, 0
	ds_load_b128 v[8:11], v8 offset:96
	s_wait_dscnt 0x0
	v_mul_f64_e32 v[36:37], v[2:3], v[10:11]
	v_mul_f64_e32 v[12:13], v[4:5], v[10:11]
	s_delay_alu instid0(VALU_DEP_2) | instskip(NEXT) | instid1(VALU_DEP_2)
	v_fma_f64 v[10:11], v[4:5], v[8:9], -v[36:37]
	v_fmac_f64_e32 v[12:13], v[2:3], v[8:9]
	scratch_store_b128 off, v[10:13], off offset:96
.LBB9_39:
	s_wait_xcnt 0x0
	s_or_b32 exec_lo, exec_lo, s2
	s_wait_storecnt 0x0
	s_barrier_signal -1
	s_barrier_wait -1
	scratch_load_b128 v[2:5], off, s15
	s_mov_b32 s2, exec_lo
	s_wait_loadcnt 0x0
	ds_store_b128 v6, v[2:5]
	s_wait_dscnt 0x0
	s_barrier_signal -1
	s_barrier_wait -1
	v_cmpx_gt_u32_e32 7, v1
	s_cbranch_execz .LBB9_43
; %bb.40:
	v_dual_mov_b32 v10, v34 :: v_dual_add_nc_u32 v8, -1, v1
	v_mov_b64_e32 v[2:3], 0
	v_mov_b64_e32 v[4:5], 0
	v_add_nc_u32_e32 v9, 0xa0, v34
	s_delay_alu instid0(VALU_DEP_4)
	v_or_b32_e32 v10, 8, v10
	s_mov_b32 s3, 0
.LBB9_41:                               ; =>This Inner Loop Header: Depth=1
	scratch_load_b128 v[36:39], v10, off offset:-8
	ds_load_b128 v[40:43], v9
	v_dual_add_nc_u32 v8, 1, v8 :: v_dual_add_nc_u32 v9, 16, v9
	s_wait_xcnt 0x0
	v_add_nc_u32_e32 v10, 16, v10
	s_delay_alu instid0(VALU_DEP_2) | instskip(SKIP_4) | instid1(VALU_DEP_2)
	v_cmp_lt_u32_e32 vcc_lo, 5, v8
	s_or_b32 s3, vcc_lo, s3
	s_wait_loadcnt_dscnt 0x0
	v_mul_f64_e32 v[12:13], v[42:43], v[38:39]
	v_mul_f64_e32 v[38:39], v[40:41], v[38:39]
	v_fma_f64 v[12:13], v[40:41], v[36:37], -v[12:13]
	s_delay_alu instid0(VALU_DEP_2) | instskip(NEXT) | instid1(VALU_DEP_2)
	v_fmac_f64_e32 v[38:39], v[42:43], v[36:37]
	v_add_f64_e32 v[4:5], v[4:5], v[12:13]
	s_delay_alu instid0(VALU_DEP_2)
	v_add_f64_e32 v[2:3], v[2:3], v[38:39]
	s_and_not1_b32 exec_lo, exec_lo, s3
	s_cbranch_execnz .LBB9_41
; %bb.42:
	s_or_b32 exec_lo, exec_lo, s3
	v_mov_b32_e32 v8, 0
	ds_load_b128 v[8:11], v8 offset:112
	s_wait_dscnt 0x0
	v_mul_f64_e32 v[36:37], v[2:3], v[10:11]
	v_mul_f64_e32 v[12:13], v[4:5], v[10:11]
	s_delay_alu instid0(VALU_DEP_2) | instskip(NEXT) | instid1(VALU_DEP_2)
	v_fma_f64 v[10:11], v[4:5], v[8:9], -v[36:37]
	v_fmac_f64_e32 v[12:13], v[2:3], v[8:9]
	scratch_store_b128 off, v[10:13], off offset:112
.LBB9_43:
	s_wait_xcnt 0x0
	s_or_b32 exec_lo, exec_lo, s2
	s_wait_storecnt 0x0
	s_barrier_signal -1
	s_barrier_wait -1
	scratch_load_b128 v[2:5], off, s14
	s_mov_b32 s2, exec_lo
	s_wait_loadcnt 0x0
	ds_store_b128 v6, v[2:5]
	s_wait_dscnt 0x0
	s_barrier_signal -1
	s_barrier_wait -1
	v_cmpx_gt_u32_e32 8, v1
	s_cbranch_execz .LBB9_47
; %bb.44:
	v_dual_mov_b32 v10, v34 :: v_dual_add_nc_u32 v8, -1, v1
	v_mov_b64_e32 v[2:3], 0
	v_mov_b64_e32 v[4:5], 0
	v_add_nc_u32_e32 v9, 0xa0, v34
	s_delay_alu instid0(VALU_DEP_4)
	v_or_b32_e32 v10, 8, v10
	s_mov_b32 s3, 0
.LBB9_45:                               ; =>This Inner Loop Header: Depth=1
	scratch_load_b128 v[36:39], v10, off offset:-8
	ds_load_b128 v[40:43], v9
	v_dual_add_nc_u32 v8, 1, v8 :: v_dual_add_nc_u32 v9, 16, v9
	s_wait_xcnt 0x0
	v_add_nc_u32_e32 v10, 16, v10
	s_delay_alu instid0(VALU_DEP_2) | instskip(SKIP_4) | instid1(VALU_DEP_2)
	v_cmp_lt_u32_e32 vcc_lo, 6, v8
	s_or_b32 s3, vcc_lo, s3
	s_wait_loadcnt_dscnt 0x0
	v_mul_f64_e32 v[12:13], v[42:43], v[38:39]
	v_mul_f64_e32 v[38:39], v[40:41], v[38:39]
	v_fma_f64 v[12:13], v[40:41], v[36:37], -v[12:13]
	s_delay_alu instid0(VALU_DEP_2) | instskip(NEXT) | instid1(VALU_DEP_2)
	v_fmac_f64_e32 v[38:39], v[42:43], v[36:37]
	v_add_f64_e32 v[4:5], v[4:5], v[12:13]
	s_delay_alu instid0(VALU_DEP_2)
	v_add_f64_e32 v[2:3], v[2:3], v[38:39]
	s_and_not1_b32 exec_lo, exec_lo, s3
	s_cbranch_execnz .LBB9_45
; %bb.46:
	s_or_b32 exec_lo, exec_lo, s3
	v_mov_b32_e32 v8, 0
	ds_load_b128 v[8:11], v8 offset:128
	s_wait_dscnt 0x0
	v_mul_f64_e32 v[36:37], v[2:3], v[10:11]
	v_mul_f64_e32 v[12:13], v[4:5], v[10:11]
	s_delay_alu instid0(VALU_DEP_2) | instskip(NEXT) | instid1(VALU_DEP_2)
	v_fma_f64 v[10:11], v[4:5], v[8:9], -v[36:37]
	v_fmac_f64_e32 v[12:13], v[2:3], v[8:9]
	scratch_store_b128 off, v[10:13], off offset:128
.LBB9_47:
	s_wait_xcnt 0x0
	s_or_b32 exec_lo, exec_lo, s2
	s_wait_storecnt 0x0
	s_barrier_signal -1
	s_barrier_wait -1
	scratch_load_b128 v[2:5], off, s20
	s_mov_b32 s2, exec_lo
	s_wait_loadcnt 0x0
	ds_store_b128 v6, v[2:5]
	s_wait_dscnt 0x0
	s_barrier_signal -1
	s_barrier_wait -1
	v_cmpx_ne_u32_e32 9, v1
	s_cbranch_execz .LBB9_51
; %bb.48:
	v_mov_b32_e32 v8, v34
	v_mov_b64_e32 v[2:3], 0
	v_mov_b64_e32 v[4:5], 0
	s_mov_b32 s3, 0
	s_delay_alu instid0(VALU_DEP_3)
	v_or_b32_e32 v8, 8, v8
.LBB9_49:                               ; =>This Inner Loop Header: Depth=1
	scratch_load_b128 v[10:13], v8, off offset:-8
	ds_load_b128 v[34:37], v6
	v_dual_add_nc_u32 v7, 1, v7 :: v_dual_add_nc_u32 v6, 16, v6
	s_wait_xcnt 0x0
	v_add_nc_u32_e32 v8, 16, v8
	s_delay_alu instid0(VALU_DEP_2) | instskip(SKIP_4) | instid1(VALU_DEP_2)
	v_cmp_lt_u32_e32 vcc_lo, 7, v7
	s_or_b32 s3, vcc_lo, s3
	s_wait_loadcnt_dscnt 0x0
	v_mul_f64_e32 v[38:39], v[36:37], v[12:13]
	v_mul_f64_e32 v[12:13], v[34:35], v[12:13]
	v_fma_f64 v[34:35], v[34:35], v[10:11], -v[38:39]
	s_delay_alu instid0(VALU_DEP_2) | instskip(NEXT) | instid1(VALU_DEP_2)
	v_fmac_f64_e32 v[12:13], v[36:37], v[10:11]
	v_add_f64_e32 v[4:5], v[4:5], v[34:35]
	s_delay_alu instid0(VALU_DEP_2)
	v_add_f64_e32 v[2:3], v[2:3], v[12:13]
	s_and_not1_b32 exec_lo, exec_lo, s3
	s_cbranch_execnz .LBB9_49
; %bb.50:
	s_or_b32 exec_lo, exec_lo, s3
	v_mov_b32_e32 v6, 0
	ds_load_b128 v[6:9], v6 offset:144
	s_wait_dscnt 0x0
	v_mul_f64_e32 v[12:13], v[2:3], v[8:9]
	v_mul_f64_e32 v[10:11], v[4:5], v[8:9]
	s_delay_alu instid0(VALU_DEP_2) | instskip(NEXT) | instid1(VALU_DEP_2)
	v_fma_f64 v[8:9], v[4:5], v[6:7], -v[12:13]
	v_fmac_f64_e32 v[10:11], v[2:3], v[6:7]
	scratch_store_b128 off, v[8:11], off offset:144
.LBB9_51:
	s_wait_xcnt 0x0
	s_or_b32 exec_lo, exec_lo, s2
	s_mov_b32 s3, -1
	s_wait_storecnt 0x0
	s_barrier_signal -1
	s_barrier_wait -1
.LBB9_52:
	s_and_b32 vcc_lo, exec_lo, s3
	s_cbranch_vccz .LBB9_54
; %bb.53:
	s_wait_xcnt 0x9
	v_mov_b32_e32 v2, 0
	s_lshl_b64 s[2:3], s[18:19], 2
	s_delay_alu instid0(SALU_CYCLE_1)
	s_add_nc_u64 s[2:3], s[6:7], s[2:3]
	global_load_b32 v2, v2, s[2:3]
	s_wait_loadcnt 0x0
	v_cmp_ne_u32_e32 vcc_lo, 0, v2
	s_cbranch_vccz .LBB9_55
.LBB9_54:
	s_sendmsg sendmsg(MSG_DEALLOC_VGPRS)
	s_endpgm
.LBB9_55:
	s_wait_xcnt 0x9
	v_lshl_add_u32 v6, v1, 4, 0xa0
	s_wait_xcnt 0x0
	s_mov_b32 s2, exec_lo
	v_cmpx_eq_u32_e32 9, v1
	s_cbranch_execz .LBB9_57
; %bb.56:
	scratch_load_b128 v[2:5], off, s14
	v_mov_b32_e32 v8, 0
	s_delay_alu instid0(VALU_DEP_1)
	v_dual_mov_b32 v9, v8 :: v_dual_mov_b32 v10, v8
	v_mov_b32_e32 v11, v8
	scratch_store_b128 off, v[8:11], off offset:128
	s_wait_loadcnt 0x0
	ds_store_b128 v6, v[2:5]
.LBB9_57:
	s_wait_xcnt 0x0
	s_or_b32 exec_lo, exec_lo, s2
	s_wait_storecnt_dscnt 0x0
	s_barrier_signal -1
	s_barrier_wait -1
	s_clause 0x1
	scratch_load_b128 v[8:11], off, off offset:144
	scratch_load_b128 v[34:37], off, off offset:128
	v_mov_b32_e32 v2, 0
	s_mov_b32 s2, exec_lo
	ds_load_b128 v[38:41], v2 offset:304
	s_wait_loadcnt_dscnt 0x100
	v_mul_f64_e32 v[4:5], v[40:41], v[10:11]
	v_mul_f64_e32 v[10:11], v[38:39], v[10:11]
	s_delay_alu instid0(VALU_DEP_2) | instskip(NEXT) | instid1(VALU_DEP_2)
	v_fma_f64 v[4:5], v[38:39], v[8:9], -v[4:5]
	v_fmac_f64_e32 v[10:11], v[40:41], v[8:9]
	s_delay_alu instid0(VALU_DEP_2) | instskip(NEXT) | instid1(VALU_DEP_2)
	v_add_f64_e32 v[4:5], 0, v[4:5]
	v_add_f64_e32 v[10:11], 0, v[10:11]
	s_wait_loadcnt 0x0
	s_delay_alu instid0(VALU_DEP_2) | instskip(NEXT) | instid1(VALU_DEP_2)
	v_add_f64_e64 v[8:9], v[34:35], -v[4:5]
	v_add_f64_e64 v[10:11], v[36:37], -v[10:11]
	scratch_store_b128 off, v[8:11], off offset:128
	s_wait_xcnt 0x0
	v_cmpx_lt_u32_e32 7, v1
	s_cbranch_execz .LBB9_59
; %bb.58:
	scratch_load_b128 v[8:11], off, s15
	v_dual_mov_b32 v3, v2 :: v_dual_mov_b32 v4, v2
	v_mov_b32_e32 v5, v2
	scratch_store_b128 off, v[2:5], off offset:112
	s_wait_loadcnt 0x0
	ds_store_b128 v6, v[8:11]
.LBB9_59:
	s_wait_xcnt 0x0
	s_or_b32 exec_lo, exec_lo, s2
	s_wait_storecnt_dscnt 0x0
	s_barrier_signal -1
	s_barrier_wait -1
	s_clause 0x2
	scratch_load_b128 v[8:11], off, off offset:128
	scratch_load_b128 v[34:37], off, off offset:144
	;; [unrolled: 1-line block ×3, first 2 shown]
	ds_load_b128 v[42:45], v2 offset:288
	ds_load_b128 v[2:5], v2 offset:304
	s_mov_b32 s2, exec_lo
	s_wait_loadcnt_dscnt 0x201
	v_mul_f64_e32 v[12:13], v[44:45], v[10:11]
	v_mul_f64_e32 v[10:11], v[42:43], v[10:11]
	s_wait_loadcnt_dscnt 0x100
	v_mul_f64_e32 v[46:47], v[2:3], v[36:37]
	v_mul_f64_e32 v[36:37], v[4:5], v[36:37]
	s_delay_alu instid0(VALU_DEP_4) | instskip(NEXT) | instid1(VALU_DEP_4)
	v_fma_f64 v[12:13], v[42:43], v[8:9], -v[12:13]
	v_fmac_f64_e32 v[10:11], v[44:45], v[8:9]
	s_delay_alu instid0(VALU_DEP_4) | instskip(NEXT) | instid1(VALU_DEP_4)
	v_fmac_f64_e32 v[46:47], v[4:5], v[34:35]
	v_fma_f64 v[2:3], v[2:3], v[34:35], -v[36:37]
	s_delay_alu instid0(VALU_DEP_4) | instskip(NEXT) | instid1(VALU_DEP_4)
	v_add_f64_e32 v[4:5], 0, v[12:13]
	v_add_f64_e32 v[8:9], 0, v[10:11]
	s_delay_alu instid0(VALU_DEP_2) | instskip(NEXT) | instid1(VALU_DEP_2)
	v_add_f64_e32 v[2:3], v[4:5], v[2:3]
	v_add_f64_e32 v[4:5], v[8:9], v[46:47]
	s_wait_loadcnt 0x0
	s_delay_alu instid0(VALU_DEP_2) | instskip(NEXT) | instid1(VALU_DEP_2)
	v_add_f64_e64 v[2:3], v[38:39], -v[2:3]
	v_add_f64_e64 v[4:5], v[40:41], -v[4:5]
	scratch_store_b128 off, v[2:5], off offset:112
	s_wait_xcnt 0x0
	v_cmpx_lt_u32_e32 6, v1
	s_cbranch_execz .LBB9_61
; %bb.60:
	scratch_load_b128 v[2:5], off, s13
	v_mov_b32_e32 v8, 0
	s_delay_alu instid0(VALU_DEP_1)
	v_dual_mov_b32 v9, v8 :: v_dual_mov_b32 v10, v8
	v_mov_b32_e32 v11, v8
	scratch_store_b128 off, v[8:11], off offset:96
	s_wait_loadcnt 0x0
	ds_store_b128 v6, v[2:5]
.LBB9_61:
	s_wait_xcnt 0x0
	s_or_b32 exec_lo, exec_lo, s2
	s_wait_storecnt_dscnt 0x0
	s_barrier_signal -1
	s_barrier_wait -1
	s_clause 0x3
	scratch_load_b128 v[8:11], off, off offset:112
	scratch_load_b128 v[34:37], off, off offset:128
	;; [unrolled: 1-line block ×4, first 2 shown]
	v_mov_b32_e32 v2, 0
	ds_load_b128 v[46:49], v2 offset:272
	ds_load_b128 v[50:53], v2 offset:288
	s_mov_b32 s2, exec_lo
	s_wait_loadcnt_dscnt 0x301
	v_mul_f64_e32 v[4:5], v[48:49], v[10:11]
	v_mul_f64_e32 v[12:13], v[46:47], v[10:11]
	s_wait_loadcnt_dscnt 0x200
	v_mul_f64_e32 v[54:55], v[50:51], v[36:37]
	v_mul_f64_e32 v[36:37], v[52:53], v[36:37]
	s_delay_alu instid0(VALU_DEP_4) | instskip(NEXT) | instid1(VALU_DEP_4)
	v_fma_f64 v[4:5], v[46:47], v[8:9], -v[4:5]
	v_fmac_f64_e32 v[12:13], v[48:49], v[8:9]
	ds_load_b128 v[8:11], v2 offset:304
	v_fmac_f64_e32 v[54:55], v[52:53], v[34:35]
	v_fma_f64 v[34:35], v[50:51], v[34:35], -v[36:37]
	s_wait_loadcnt_dscnt 0x100
	v_mul_f64_e32 v[46:47], v[8:9], v[40:41]
	v_mul_f64_e32 v[40:41], v[10:11], v[40:41]
	v_add_f64_e32 v[4:5], 0, v[4:5]
	v_add_f64_e32 v[12:13], 0, v[12:13]
	s_delay_alu instid0(VALU_DEP_4) | instskip(NEXT) | instid1(VALU_DEP_4)
	v_fmac_f64_e32 v[46:47], v[10:11], v[38:39]
	v_fma_f64 v[8:9], v[8:9], v[38:39], -v[40:41]
	s_delay_alu instid0(VALU_DEP_4) | instskip(NEXT) | instid1(VALU_DEP_4)
	v_add_f64_e32 v[4:5], v[4:5], v[34:35]
	v_add_f64_e32 v[10:11], v[12:13], v[54:55]
	s_delay_alu instid0(VALU_DEP_2) | instskip(NEXT) | instid1(VALU_DEP_2)
	v_add_f64_e32 v[4:5], v[4:5], v[8:9]
	v_add_f64_e32 v[10:11], v[10:11], v[46:47]
	s_wait_loadcnt 0x0
	s_delay_alu instid0(VALU_DEP_2) | instskip(NEXT) | instid1(VALU_DEP_2)
	v_add_f64_e64 v[8:9], v[42:43], -v[4:5]
	v_add_f64_e64 v[10:11], v[44:45], -v[10:11]
	scratch_store_b128 off, v[8:11], off offset:96
	s_wait_xcnt 0x0
	v_cmpx_lt_u32_e32 5, v1
	s_cbranch_execz .LBB9_63
; %bb.62:
	scratch_load_b128 v[8:11], off, s12
	v_dual_mov_b32 v3, v2 :: v_dual_mov_b32 v4, v2
	v_mov_b32_e32 v5, v2
	scratch_store_b128 off, v[2:5], off offset:80
	s_wait_loadcnt 0x0
	ds_store_b128 v6, v[8:11]
.LBB9_63:
	s_wait_xcnt 0x0
	s_or_b32 exec_lo, exec_lo, s2
	s_wait_storecnt_dscnt 0x0
	s_barrier_signal -1
	s_barrier_wait -1
	s_clause 0x4
	scratch_load_b128 v[8:11], off, off offset:96
	scratch_load_b128 v[34:37], off, off offset:112
	;; [unrolled: 1-line block ×5, first 2 shown]
	ds_load_b128 v[50:53], v2 offset:256
	ds_load_b128 v[54:57], v2 offset:272
	s_mov_b32 s2, exec_lo
	s_wait_loadcnt_dscnt 0x401
	v_mul_f64_e32 v[4:5], v[52:53], v[10:11]
	v_mul_f64_e32 v[12:13], v[50:51], v[10:11]
	s_wait_loadcnt_dscnt 0x300
	v_mul_f64_e32 v[58:59], v[54:55], v[36:37]
	v_mul_f64_e32 v[36:37], v[56:57], v[36:37]
	s_delay_alu instid0(VALU_DEP_4) | instskip(NEXT) | instid1(VALU_DEP_4)
	v_fma_f64 v[50:51], v[50:51], v[8:9], -v[4:5]
	v_fmac_f64_e32 v[12:13], v[52:53], v[8:9]
	ds_load_b128 v[8:11], v2 offset:288
	ds_load_b128 v[2:5], v2 offset:304
	v_fmac_f64_e32 v[58:59], v[56:57], v[34:35]
	v_fma_f64 v[34:35], v[54:55], v[34:35], -v[36:37]
	s_wait_loadcnt_dscnt 0x201
	v_mul_f64_e32 v[52:53], v[8:9], v[40:41]
	v_mul_f64_e32 v[40:41], v[10:11], v[40:41]
	v_add_f64_e32 v[36:37], 0, v[50:51]
	v_add_f64_e32 v[12:13], 0, v[12:13]
	s_wait_loadcnt_dscnt 0x100
	v_mul_f64_e32 v[50:51], v[2:3], v[44:45]
	v_mul_f64_e32 v[44:45], v[4:5], v[44:45]
	v_fmac_f64_e32 v[52:53], v[10:11], v[38:39]
	v_fma_f64 v[8:9], v[8:9], v[38:39], -v[40:41]
	v_add_f64_e32 v[10:11], v[36:37], v[34:35]
	v_add_f64_e32 v[12:13], v[12:13], v[58:59]
	v_fmac_f64_e32 v[50:51], v[4:5], v[42:43]
	v_fma_f64 v[2:3], v[2:3], v[42:43], -v[44:45]
	s_delay_alu instid0(VALU_DEP_4) | instskip(NEXT) | instid1(VALU_DEP_4)
	v_add_f64_e32 v[4:5], v[10:11], v[8:9]
	v_add_f64_e32 v[8:9], v[12:13], v[52:53]
	s_delay_alu instid0(VALU_DEP_2) | instskip(NEXT) | instid1(VALU_DEP_2)
	v_add_f64_e32 v[2:3], v[4:5], v[2:3]
	v_add_f64_e32 v[4:5], v[8:9], v[50:51]
	s_wait_loadcnt 0x0
	s_delay_alu instid0(VALU_DEP_2) | instskip(NEXT) | instid1(VALU_DEP_2)
	v_add_f64_e64 v[2:3], v[46:47], -v[2:3]
	v_add_f64_e64 v[4:5], v[48:49], -v[4:5]
	scratch_store_b128 off, v[2:5], off offset:80
	s_wait_xcnt 0x0
	v_cmpx_lt_u32_e32 4, v1
	s_cbranch_execz .LBB9_65
; %bb.64:
	scratch_load_b128 v[2:5], off, s11
	v_mov_b32_e32 v8, 0
	s_delay_alu instid0(VALU_DEP_1)
	v_dual_mov_b32 v9, v8 :: v_dual_mov_b32 v10, v8
	v_mov_b32_e32 v11, v8
	scratch_store_b128 off, v[8:11], off offset:64
	s_wait_loadcnt 0x0
	ds_store_b128 v6, v[2:5]
.LBB9_65:
	s_wait_xcnt 0x0
	s_or_b32 exec_lo, exec_lo, s2
	s_wait_storecnt_dscnt 0x0
	s_barrier_signal -1
	s_barrier_wait -1
	s_clause 0x5
	scratch_load_b128 v[8:11], off, off offset:80
	scratch_load_b128 v[34:37], off, off offset:96
	;; [unrolled: 1-line block ×6, first 2 shown]
	v_mov_b32_e32 v2, 0
	ds_load_b128 v[54:57], v2 offset:240
	ds_load_b128 v[58:61], v2 offset:256
	s_mov_b32 s2, exec_lo
	s_wait_loadcnt_dscnt 0x501
	v_mul_f64_e32 v[4:5], v[56:57], v[10:11]
	v_mul_f64_e32 v[12:13], v[54:55], v[10:11]
	s_wait_loadcnt_dscnt 0x400
	v_mul_f64_e32 v[62:63], v[58:59], v[36:37]
	v_mul_f64_e32 v[36:37], v[60:61], v[36:37]
	s_delay_alu instid0(VALU_DEP_4) | instskip(NEXT) | instid1(VALU_DEP_4)
	v_fma_f64 v[4:5], v[54:55], v[8:9], -v[4:5]
	v_fmac_f64_e32 v[12:13], v[56:57], v[8:9]
	ds_load_b128 v[8:11], v2 offset:272
	ds_load_b128 v[54:57], v2 offset:288
	v_fmac_f64_e32 v[62:63], v[60:61], v[34:35]
	v_fma_f64 v[34:35], v[58:59], v[34:35], -v[36:37]
	s_wait_loadcnt_dscnt 0x301
	v_mul_f64_e32 v[64:65], v[8:9], v[40:41]
	v_mul_f64_e32 v[40:41], v[10:11], v[40:41]
	s_wait_loadcnt_dscnt 0x200
	v_mul_f64_e32 v[36:37], v[54:55], v[44:45]
	v_mul_f64_e32 v[44:45], v[56:57], v[44:45]
	v_add_f64_e32 v[4:5], 0, v[4:5]
	v_add_f64_e32 v[12:13], 0, v[12:13]
	v_fmac_f64_e32 v[64:65], v[10:11], v[38:39]
	v_fma_f64 v[38:39], v[8:9], v[38:39], -v[40:41]
	ds_load_b128 v[8:11], v2 offset:304
	v_fmac_f64_e32 v[36:37], v[56:57], v[42:43]
	v_fma_f64 v[42:43], v[54:55], v[42:43], -v[44:45]
	v_add_f64_e32 v[4:5], v[4:5], v[34:35]
	v_add_f64_e32 v[12:13], v[12:13], v[62:63]
	s_wait_loadcnt_dscnt 0x100
	v_mul_f64_e32 v[34:35], v[8:9], v[48:49]
	v_mul_f64_e32 v[40:41], v[10:11], v[48:49]
	s_delay_alu instid0(VALU_DEP_4) | instskip(NEXT) | instid1(VALU_DEP_4)
	v_add_f64_e32 v[4:5], v[4:5], v[38:39]
	v_add_f64_e32 v[12:13], v[12:13], v[64:65]
	s_delay_alu instid0(VALU_DEP_4) | instskip(NEXT) | instid1(VALU_DEP_4)
	v_fmac_f64_e32 v[34:35], v[10:11], v[46:47]
	v_fma_f64 v[8:9], v[8:9], v[46:47], -v[40:41]
	s_delay_alu instid0(VALU_DEP_4) | instskip(NEXT) | instid1(VALU_DEP_4)
	v_add_f64_e32 v[4:5], v[4:5], v[42:43]
	v_add_f64_e32 v[10:11], v[12:13], v[36:37]
	s_delay_alu instid0(VALU_DEP_2) | instskip(NEXT) | instid1(VALU_DEP_2)
	v_add_f64_e32 v[4:5], v[4:5], v[8:9]
	v_add_f64_e32 v[10:11], v[10:11], v[34:35]
	s_wait_loadcnt 0x0
	s_delay_alu instid0(VALU_DEP_2) | instskip(NEXT) | instid1(VALU_DEP_2)
	v_add_f64_e64 v[8:9], v[50:51], -v[4:5]
	v_add_f64_e64 v[10:11], v[52:53], -v[10:11]
	scratch_store_b128 off, v[8:11], off offset:64
	s_wait_xcnt 0x0
	v_cmpx_lt_u32_e32 3, v1
	s_cbranch_execz .LBB9_67
; %bb.66:
	scratch_load_b128 v[8:11], off, s9
	v_dual_mov_b32 v3, v2 :: v_dual_mov_b32 v4, v2
	v_mov_b32_e32 v5, v2
	scratch_store_b128 off, v[2:5], off offset:48
	s_wait_loadcnt 0x0
	ds_store_b128 v6, v[8:11]
.LBB9_67:
	s_wait_xcnt 0x0
	s_or_b32 exec_lo, exec_lo, s2
	s_wait_storecnt_dscnt 0x0
	s_barrier_signal -1
	s_barrier_wait -1
	s_clause 0x6
	scratch_load_b128 v[8:11], off, off offset:64
	scratch_load_b128 v[34:37], off, off offset:80
	scratch_load_b128 v[38:41], off, off offset:96
	scratch_load_b128 v[42:45], off, off offset:112
	scratch_load_b128 v[46:49], off, off offset:128
	scratch_load_b128 v[50:53], off, off offset:144
	scratch_load_b128 v[54:57], off, off offset:48
	ds_load_b128 v[58:61], v2 offset:224
	ds_load_b128 v[62:65], v2 offset:240
	s_mov_b32 s2, exec_lo
	s_wait_loadcnt_dscnt 0x601
	v_mul_f64_e32 v[4:5], v[60:61], v[10:11]
	v_mul_f64_e32 v[12:13], v[58:59], v[10:11]
	s_wait_loadcnt_dscnt 0x500
	v_mul_f64_e32 v[66:67], v[62:63], v[36:37]
	v_mul_f64_e32 v[36:37], v[64:65], v[36:37]
	s_delay_alu instid0(VALU_DEP_4) | instskip(NEXT) | instid1(VALU_DEP_4)
	v_fma_f64 v[4:5], v[58:59], v[8:9], -v[4:5]
	v_fmac_f64_e32 v[12:13], v[60:61], v[8:9]
	ds_load_b128 v[8:11], v2 offset:256
	ds_load_b128 v[58:61], v2 offset:272
	v_fmac_f64_e32 v[66:67], v[64:65], v[34:35]
	v_fma_f64 v[34:35], v[62:63], v[34:35], -v[36:37]
	s_wait_loadcnt_dscnt 0x401
	v_mul_f64_e32 v[68:69], v[8:9], v[40:41]
	v_mul_f64_e32 v[40:41], v[10:11], v[40:41]
	s_wait_loadcnt_dscnt 0x300
	v_mul_f64_e32 v[36:37], v[58:59], v[44:45]
	v_mul_f64_e32 v[44:45], v[60:61], v[44:45]
	v_add_f64_e32 v[4:5], 0, v[4:5]
	v_add_f64_e32 v[12:13], 0, v[12:13]
	v_fmac_f64_e32 v[68:69], v[10:11], v[38:39]
	v_fma_f64 v[38:39], v[8:9], v[38:39], -v[40:41]
	v_fmac_f64_e32 v[36:37], v[60:61], v[42:43]
	v_fma_f64 v[42:43], v[58:59], v[42:43], -v[44:45]
	v_add_f64_e32 v[34:35], v[4:5], v[34:35]
	v_add_f64_e32 v[12:13], v[12:13], v[66:67]
	ds_load_b128 v[8:11], v2 offset:288
	ds_load_b128 v[2:5], v2 offset:304
	s_wait_loadcnt_dscnt 0x201
	v_mul_f64_e32 v[40:41], v[8:9], v[48:49]
	v_mul_f64_e32 v[48:49], v[10:11], v[48:49]
	s_wait_loadcnt_dscnt 0x100
	v_mul_f64_e32 v[44:45], v[4:5], v[52:53]
	v_add_f64_e32 v[34:35], v[34:35], v[38:39]
	v_add_f64_e32 v[12:13], v[12:13], v[68:69]
	v_mul_f64_e32 v[38:39], v[2:3], v[52:53]
	v_fmac_f64_e32 v[40:41], v[10:11], v[46:47]
	v_fma_f64 v[8:9], v[8:9], v[46:47], -v[48:49]
	v_fma_f64 v[2:3], v[2:3], v[50:51], -v[44:45]
	v_add_f64_e32 v[10:11], v[34:35], v[42:43]
	v_add_f64_e32 v[12:13], v[12:13], v[36:37]
	v_fmac_f64_e32 v[38:39], v[4:5], v[50:51]
	s_delay_alu instid0(VALU_DEP_3) | instskip(NEXT) | instid1(VALU_DEP_3)
	v_add_f64_e32 v[4:5], v[10:11], v[8:9]
	v_add_f64_e32 v[8:9], v[12:13], v[40:41]
	s_delay_alu instid0(VALU_DEP_2) | instskip(NEXT) | instid1(VALU_DEP_2)
	v_add_f64_e32 v[2:3], v[4:5], v[2:3]
	v_add_f64_e32 v[4:5], v[8:9], v[38:39]
	s_wait_loadcnt 0x0
	s_delay_alu instid0(VALU_DEP_2) | instskip(NEXT) | instid1(VALU_DEP_2)
	v_add_f64_e64 v[2:3], v[54:55], -v[2:3]
	v_add_f64_e64 v[4:5], v[56:57], -v[4:5]
	scratch_store_b128 off, v[2:5], off offset:48
	s_wait_xcnt 0x0
	v_cmpx_lt_u32_e32 2, v1
	s_cbranch_execz .LBB9_69
; %bb.68:
	scratch_load_b128 v[2:5], off, s8
	v_mov_b32_e32 v8, 0
	s_delay_alu instid0(VALU_DEP_1)
	v_dual_mov_b32 v9, v8 :: v_dual_mov_b32 v10, v8
	v_mov_b32_e32 v11, v8
	scratch_store_b128 off, v[8:11], off offset:32
	s_wait_loadcnt 0x0
	ds_store_b128 v6, v[2:5]
.LBB9_69:
	s_wait_xcnt 0x0
	s_or_b32 exec_lo, exec_lo, s2
	s_wait_storecnt_dscnt 0x0
	s_barrier_signal -1
	s_barrier_wait -1
	s_clause 0x7
	scratch_load_b128 v[8:11], off, off offset:48
	scratch_load_b128 v[34:37], off, off offset:64
	;; [unrolled: 1-line block ×8, first 2 shown]
	v_mov_b32_e32 v2, 0
	ds_load_b128 v[62:65], v2 offset:208
	ds_load_b128 v[66:69], v2 offset:224
	s_mov_b32 s2, exec_lo
	v_dual_ashrrev_i32 v21, 31, v20 :: v_dual_ashrrev_i32 v19, 31, v18
	v_ashrrev_i32_e32 v23, 31, v22
	v_dual_ashrrev_i32 v27, 31, v26 :: v_dual_ashrrev_i32 v25, 31, v24
	v_dual_ashrrev_i32 v31, 31, v30 :: v_dual_ashrrev_i32 v29, 31, v28
	s_wait_loadcnt_dscnt 0x701
	v_dual_mul_f64 v[4:5], v[64:65], v[10:11] :: v_dual_ashrrev_i32 v33, 31, v32
	v_mul_f64_e32 v[12:13], v[62:63], v[10:11]
	s_wait_loadcnt_dscnt 0x600
	v_mul_f64_e32 v[70:71], v[66:67], v[36:37]
	v_mul_f64_e32 v[36:37], v[68:69], v[36:37]
	s_delay_alu instid0(VALU_DEP_4) | instskip(NEXT) | instid1(VALU_DEP_4)
	v_fma_f64 v[4:5], v[62:63], v[8:9], -v[4:5]
	v_fmac_f64_e32 v[12:13], v[64:65], v[8:9]
	ds_load_b128 v[8:11], v2 offset:240
	ds_load_b128 v[62:65], v2 offset:256
	v_fmac_f64_e32 v[70:71], v[68:69], v[34:35]
	v_fma_f64 v[34:35], v[66:67], v[34:35], -v[36:37]
	s_wait_loadcnt_dscnt 0x501
	v_mul_f64_e32 v[72:73], v[8:9], v[40:41]
	v_mul_f64_e32 v[40:41], v[10:11], v[40:41]
	s_wait_loadcnt_dscnt 0x400
	v_mul_f64_e32 v[66:67], v[62:63], v[44:45]
	v_mul_f64_e32 v[44:45], v[64:65], v[44:45]
	v_add_f64_e32 v[4:5], 0, v[4:5]
	v_add_f64_e32 v[12:13], 0, v[12:13]
	v_fmac_f64_e32 v[72:73], v[10:11], v[38:39]
	v_fma_f64 v[38:39], v[8:9], v[38:39], -v[40:41]
	v_fmac_f64_e32 v[66:67], v[64:65], v[42:43]
	v_fma_f64 v[42:43], v[62:63], v[42:43], -v[44:45]
	v_add_f64_e32 v[4:5], v[4:5], v[34:35]
	v_add_f64_e32 v[12:13], v[12:13], v[70:71]
	ds_load_b128 v[8:11], v2 offset:272
	ds_load_b128 v[34:37], v2 offset:288
	s_wait_loadcnt_dscnt 0x301
	v_mul_f64_e32 v[40:41], v[8:9], v[48:49]
	v_mul_f64_e32 v[48:49], v[10:11], v[48:49]
	s_wait_loadcnt_dscnt 0x200
	v_mul_f64_e32 v[44:45], v[36:37], v[52:53]
	v_add_f64_e32 v[4:5], v[4:5], v[38:39]
	v_add_f64_e32 v[12:13], v[12:13], v[72:73]
	v_mul_f64_e32 v[38:39], v[34:35], v[52:53]
	v_fmac_f64_e32 v[40:41], v[10:11], v[46:47]
	v_fma_f64 v[46:47], v[8:9], v[46:47], -v[48:49]
	ds_load_b128 v[8:11], v2 offset:304
	v_fma_f64 v[34:35], v[34:35], v[50:51], -v[44:45]
	v_add_f64_e32 v[4:5], v[4:5], v[42:43]
	v_add_f64_e32 v[12:13], v[12:13], v[66:67]
	v_fmac_f64_e32 v[38:39], v[36:37], v[50:51]
	s_wait_loadcnt_dscnt 0x100
	v_mul_f64_e32 v[42:43], v[8:9], v[56:57]
	v_mul_f64_e32 v[48:49], v[10:11], v[56:57]
	v_add_f64_e32 v[4:5], v[4:5], v[46:47]
	v_add_f64_e32 v[12:13], v[12:13], v[40:41]
	s_delay_alu instid0(VALU_DEP_4) | instskip(NEXT) | instid1(VALU_DEP_4)
	v_fmac_f64_e32 v[42:43], v[10:11], v[54:55]
	v_fma_f64 v[8:9], v[8:9], v[54:55], -v[48:49]
	s_delay_alu instid0(VALU_DEP_4) | instskip(NEXT) | instid1(VALU_DEP_4)
	v_add_f64_e32 v[4:5], v[4:5], v[34:35]
	v_add_f64_e32 v[10:11], v[12:13], v[38:39]
	s_delay_alu instid0(VALU_DEP_2) | instskip(NEXT) | instid1(VALU_DEP_2)
	v_add_f64_e32 v[4:5], v[4:5], v[8:9]
	v_add_f64_e32 v[10:11], v[10:11], v[42:43]
	s_wait_loadcnt 0x0
	s_delay_alu instid0(VALU_DEP_2) | instskip(NEXT) | instid1(VALU_DEP_2)
	v_add_f64_e64 v[8:9], v[58:59], -v[4:5]
	v_add_f64_e64 v[10:11], v[60:61], -v[10:11]
	scratch_store_b128 off, v[8:11], off offset:32
	s_wait_xcnt 0x0
	v_cmpx_lt_u32_e32 1, v1
	s_cbranch_execz .LBB9_71
; %bb.70:
	scratch_load_b128 v[8:11], off, s10
	v_dual_mov_b32 v3, v2 :: v_dual_mov_b32 v4, v2
	v_mov_b32_e32 v5, v2
	scratch_store_b128 off, v[2:5], off offset:16
	s_wait_loadcnt 0x0
	ds_store_b128 v6, v[8:11]
.LBB9_71:
	s_wait_xcnt 0x0
	s_or_b32 exec_lo, exec_lo, s2
	s_wait_storecnt_dscnt 0x0
	s_barrier_signal -1
	s_barrier_wait -1
	s_clause 0x7
	scratch_load_b128 v[8:11], off, off offset:32
	scratch_load_b128 v[34:37], off, off offset:48
	scratch_load_b128 v[38:41], off, off offset:64
	scratch_load_b128 v[42:45], off, off offset:80
	scratch_load_b128 v[46:49], off, off offset:96
	scratch_load_b128 v[50:53], off, off offset:112
	scratch_load_b128 v[54:57], off, off offset:128
	scratch_load_b128 v[58:61], off, off offset:144
	ds_load_b128 v[62:65], v2 offset:192
	ds_load_b128 v[70:73], v2 offset:208
	scratch_load_b128 v[66:69], off, off offset:16
	s_mov_b32 s2, exec_lo
	s_wait_loadcnt_dscnt 0x801
	v_mul_f64_e32 v[4:5], v[64:65], v[10:11]
	v_mul_f64_e32 v[12:13], v[62:63], v[10:11]
	s_wait_loadcnt_dscnt 0x700
	v_mul_f64_e32 v[74:75], v[70:71], v[36:37]
	v_mul_f64_e32 v[36:37], v[72:73], v[36:37]
	s_delay_alu instid0(VALU_DEP_4) | instskip(NEXT) | instid1(VALU_DEP_4)
	v_fma_f64 v[4:5], v[62:63], v[8:9], -v[4:5]
	v_fmac_f64_e32 v[12:13], v[64:65], v[8:9]
	ds_load_b128 v[8:11], v2 offset:224
	ds_load_b128 v[62:65], v2 offset:240
	v_fmac_f64_e32 v[74:75], v[72:73], v[34:35]
	v_fma_f64 v[34:35], v[70:71], v[34:35], -v[36:37]
	s_wait_loadcnt_dscnt 0x601
	v_mul_f64_e32 v[76:77], v[8:9], v[40:41]
	v_mul_f64_e32 v[40:41], v[10:11], v[40:41]
	s_wait_loadcnt_dscnt 0x500
	v_mul_f64_e32 v[70:71], v[62:63], v[44:45]
	v_mul_f64_e32 v[44:45], v[64:65], v[44:45]
	v_add_f64_e32 v[4:5], 0, v[4:5]
	v_add_f64_e32 v[12:13], 0, v[12:13]
	v_fmac_f64_e32 v[76:77], v[10:11], v[38:39]
	v_fma_f64 v[38:39], v[8:9], v[38:39], -v[40:41]
	v_fmac_f64_e32 v[70:71], v[64:65], v[42:43]
	v_fma_f64 v[42:43], v[62:63], v[42:43], -v[44:45]
	v_add_f64_e32 v[4:5], v[4:5], v[34:35]
	v_add_f64_e32 v[12:13], v[12:13], v[74:75]
	ds_load_b128 v[8:11], v2 offset:256
	ds_load_b128 v[34:37], v2 offset:272
	s_wait_loadcnt_dscnt 0x401
	v_mul_f64_e32 v[40:41], v[8:9], v[48:49]
	v_mul_f64_e32 v[48:49], v[10:11], v[48:49]
	s_wait_loadcnt_dscnt 0x300
	v_mul_f64_e32 v[44:45], v[36:37], v[52:53]
	v_add_f64_e32 v[4:5], v[4:5], v[38:39]
	v_add_f64_e32 v[12:13], v[12:13], v[76:77]
	v_mul_f64_e32 v[38:39], v[34:35], v[52:53]
	v_fmac_f64_e32 v[40:41], v[10:11], v[46:47]
	v_fma_f64 v[46:47], v[8:9], v[46:47], -v[48:49]
	v_fma_f64 v[34:35], v[34:35], v[50:51], -v[44:45]
	v_add_f64_e32 v[42:43], v[4:5], v[42:43]
	v_add_f64_e32 v[12:13], v[12:13], v[70:71]
	ds_load_b128 v[8:11], v2 offset:288
	ds_load_b128 v[2:5], v2 offset:304
	v_fmac_f64_e32 v[38:39], v[36:37], v[50:51]
	s_wait_loadcnt_dscnt 0x201
	v_mul_f64_e32 v[48:49], v[8:9], v[56:57]
	v_mul_f64_e32 v[52:53], v[10:11], v[56:57]
	v_add_f64_e32 v[36:37], v[42:43], v[46:47]
	v_add_f64_e32 v[12:13], v[12:13], v[40:41]
	s_wait_loadcnt_dscnt 0x100
	v_mul_f64_e32 v[40:41], v[2:3], v[60:61]
	v_mul_f64_e32 v[42:43], v[4:5], v[60:61]
	v_fmac_f64_e32 v[48:49], v[10:11], v[54:55]
	v_fma_f64 v[8:9], v[8:9], v[54:55], -v[52:53]
	v_add_f64_e32 v[10:11], v[36:37], v[34:35]
	v_add_f64_e32 v[12:13], v[12:13], v[38:39]
	v_fmac_f64_e32 v[40:41], v[4:5], v[58:59]
	v_fma_f64 v[2:3], v[2:3], v[58:59], -v[42:43]
	s_delay_alu instid0(VALU_DEP_4) | instskip(NEXT) | instid1(VALU_DEP_4)
	v_add_f64_e32 v[4:5], v[10:11], v[8:9]
	v_add_f64_e32 v[8:9], v[12:13], v[48:49]
	s_delay_alu instid0(VALU_DEP_2) | instskip(NEXT) | instid1(VALU_DEP_2)
	v_add_f64_e32 v[2:3], v[4:5], v[2:3]
	v_add_f64_e32 v[4:5], v[8:9], v[40:41]
	s_wait_loadcnt 0x0
	s_delay_alu instid0(VALU_DEP_2) | instskip(NEXT) | instid1(VALU_DEP_2)
	v_add_f64_e64 v[2:3], v[66:67], -v[2:3]
	v_add_f64_e64 v[4:5], v[68:69], -v[4:5]
	scratch_store_b128 off, v[2:5], off offset:16
	s_wait_xcnt 0x0
	v_cmpx_ne_u32_e32 0, v1
	s_cbranch_execz .LBB9_73
; %bb.72:
	scratch_load_b128 v[2:5], off, off
	v_mov_b32_e32 v8, 0
	s_delay_alu instid0(VALU_DEP_1)
	v_dual_mov_b32 v9, v8 :: v_dual_mov_b32 v10, v8
	v_mov_b32_e32 v11, v8
	scratch_store_b128 off, v[8:11], off
	s_wait_loadcnt 0x0
	ds_store_b128 v6, v[2:5]
.LBB9_73:
	s_wait_xcnt 0x0
	s_or_b32 exec_lo, exec_lo, s2
	s_wait_storecnt_dscnt 0x0
	s_barrier_signal -1
	s_barrier_wait -1
	s_clause 0x8
	scratch_load_b128 v[2:5], off, off offset:16
	scratch_load_b128 v[6:9], off, off offset:32
	;; [unrolled: 1-line block ×9, first 2 shown]
	v_mov_b32_e32 v34, 0
	scratch_load_b128 v[64:67], off, off
	s_and_b32 vcc_lo, exec_lo, s21
	ds_load_b128 v[60:63], v34 offset:176
	ds_load_b128 v[68:71], v34 offset:192
	s_wait_loadcnt_dscnt 0x901
	v_mul_f64_e32 v[72:73], v[62:63], v[4:5]
	v_mul_f64_e32 v[74:75], v[60:61], v[4:5]
	s_wait_loadcnt_dscnt 0x800
	v_mul_f64_e32 v[76:77], v[68:69], v[8:9]
	v_mul_f64_e32 v[8:9], v[70:71], v[8:9]
	s_delay_alu instid0(VALU_DEP_4) | instskip(NEXT) | instid1(VALU_DEP_4)
	v_fma_f64 v[72:73], v[60:61], v[2:3], -v[72:73]
	v_fmac_f64_e32 v[74:75], v[62:63], v[2:3]
	ds_load_b128 v[2:5], v34 offset:208
	ds_load_b128 v[60:63], v34 offset:224
	v_fmac_f64_e32 v[76:77], v[70:71], v[6:7]
	v_fma_f64 v[6:7], v[68:69], v[6:7], -v[8:9]
	s_wait_loadcnt_dscnt 0x701
	v_mul_f64_e32 v[78:79], v[2:3], v[12:13]
	v_mul_f64_e32 v[8:9], v[4:5], v[12:13]
	s_wait_loadcnt_dscnt 0x600
	v_mul_f64_e32 v[70:71], v[60:61], v[38:39]
	v_mul_f64_e32 v[38:39], v[62:63], v[38:39]
	v_add_f64_e32 v[12:13], 0, v[72:73]
	v_add_f64_e32 v[68:69], 0, v[74:75]
	v_fmac_f64_e32 v[78:79], v[4:5], v[10:11]
	v_fma_f64 v[10:11], v[2:3], v[10:11], -v[8:9]
	v_fmac_f64_e32 v[70:71], v[62:63], v[36:37]
	v_fma_f64 v[36:37], v[60:61], v[36:37], -v[38:39]
	v_add_f64_e32 v[12:13], v[12:13], v[6:7]
	v_add_f64_e32 v[68:69], v[68:69], v[76:77]
	ds_load_b128 v[2:5], v34 offset:240
	ds_load_b128 v[6:9], v34 offset:256
	s_wait_loadcnt_dscnt 0x501
	v_mul_f64_e32 v[72:73], v[2:3], v[42:43]
	v_mul_f64_e32 v[42:43], v[4:5], v[42:43]
	s_wait_loadcnt_dscnt 0x400
	v_mul_f64_e32 v[38:39], v[6:7], v[46:47]
	v_mul_f64_e32 v[46:47], v[8:9], v[46:47]
	v_add_f64_e32 v[10:11], v[12:13], v[10:11]
	v_add_f64_e32 v[12:13], v[68:69], v[78:79]
	v_fmac_f64_e32 v[72:73], v[4:5], v[40:41]
	v_fma_f64 v[40:41], v[2:3], v[40:41], -v[42:43]
	v_fmac_f64_e32 v[38:39], v[8:9], v[44:45]
	v_fma_f64 v[6:7], v[6:7], v[44:45], -v[46:47]
	v_add_f64_e32 v[36:37], v[10:11], v[36:37]
	v_add_f64_e32 v[42:43], v[12:13], v[70:71]
	ds_load_b128 v[2:5], v34 offset:272
	ds_load_b128 v[10:13], v34 offset:288
	s_wait_loadcnt_dscnt 0x301
	v_mul_f64_e32 v[60:61], v[2:3], v[50:51]
	v_mul_f64_e32 v[50:51], v[4:5], v[50:51]
	v_add_f64_e32 v[8:9], v[36:37], v[40:41]
	v_add_f64_e32 v[36:37], v[42:43], v[72:73]
	s_wait_loadcnt_dscnt 0x200
	v_mul_f64_e32 v[40:41], v[10:11], v[54:55]
	v_mul_f64_e32 v[42:43], v[12:13], v[54:55]
	v_fmac_f64_e32 v[60:61], v[4:5], v[48:49]
	v_fma_f64 v[44:45], v[2:3], v[48:49], -v[50:51]
	ds_load_b128 v[2:5], v34 offset:304
	v_add_f64_e32 v[6:7], v[8:9], v[6:7]
	v_add_f64_e32 v[8:9], v[36:37], v[38:39]
	v_fmac_f64_e32 v[40:41], v[12:13], v[52:53]
	v_fma_f64 v[10:11], v[10:11], v[52:53], -v[42:43]
	v_lshl_add_u64 v[12:13], v[28:29], 4, s[4:5]
	s_wait_loadcnt_dscnt 0x100
	v_mul_f64_e32 v[36:37], v[2:3], v[58:59]
	v_mul_f64_e32 v[38:39], v[4:5], v[58:59]
	v_add_f64_e32 v[6:7], v[6:7], v[44:45]
	v_add_f64_e32 v[8:9], v[8:9], v[60:61]
	s_delay_alu instid0(VALU_DEP_4) | instskip(NEXT) | instid1(VALU_DEP_4)
	v_fmac_f64_e32 v[36:37], v[4:5], v[56:57]
	v_fma_f64 v[2:3], v[2:3], v[56:57], -v[38:39]
	s_delay_alu instid0(VALU_DEP_4) | instskip(NEXT) | instid1(VALU_DEP_4)
	v_add_f64_e32 v[4:5], v[6:7], v[10:11]
	v_add_f64_e32 v[6:7], v[8:9], v[40:41]
	v_lshl_add_u64 v[8:9], v[24:25], 4, s[4:5]
	v_lshl_add_u64 v[10:11], v[26:27], 4, s[4:5]
	s_delay_alu instid0(VALU_DEP_4) | instskip(NEXT) | instid1(VALU_DEP_4)
	v_add_f64_e32 v[2:3], v[4:5], v[2:3]
	v_add_f64_e32 v[4:5], v[6:7], v[36:37]
	v_lshl_add_u64 v[6:7], v[22:23], 4, s[4:5]
	s_wait_loadcnt 0x0
	s_delay_alu instid0(VALU_DEP_3) | instskip(NEXT) | instid1(VALU_DEP_3)
	v_add_f64_e64 v[36:37], v[64:65], -v[2:3]
	v_add_f64_e64 v[38:39], v[66:67], -v[4:5]
	v_lshl_add_u64 v[2:3], v[18:19], 4, s[4:5]
	v_lshl_add_u64 v[4:5], v[20:21], 4, s[4:5]
	;; [unrolled: 1-line block ×4, first 2 shown]
	scratch_store_b128 off, v[36:39], off
	s_cbranch_vccz .LBB9_92
; %bb.74:
	global_load_b32 v22, v34, s[16:17] offset:32
	s_load_b64 s[2:3], s[0:1], 0x4
	v_bfe_u32 v23, v0, 10, 10
	v_bfe_u32 v0, v0, 20, 10
	s_wait_kmcnt 0x0
	s_lshr_b32 s0, s2, 16
	s_delay_alu instid0(VALU_DEP_2) | instskip(SKIP_1) | instid1(SALU_CYCLE_1)
	v_mul_u32_u24_e32 v23, s3, v23
	s_mul_i32 s0, s0, s3
	v_mul_u32_u24_e32 v1, s0, v1
	s_delay_alu instid0(VALU_DEP_1) | instskip(NEXT) | instid1(VALU_DEP_1)
	v_add3_u32 v0, v1, v23, v0
	v_lshl_add_u32 v0, v0, 4, 0x148
	s_wait_loadcnt 0x0
	v_cmp_ne_u32_e32 vcc_lo, 9, v22
	s_cbranch_vccz .LBB9_76
; %bb.75:
	v_lshlrev_b32_e32 v1, 4, v22
	s_clause 0x1
	scratch_load_b128 v[22:25], off, s14
	scratch_load_b128 v[26:29], v1, off offset:-16
	s_wait_loadcnt 0x1
	ds_store_2addr_b64 v0, v[22:23], v[24:25] offset1:1
	s_wait_loadcnt 0x0
	s_clause 0x1
	scratch_store_b128 off, v[26:29], s14
	scratch_store_b128 v1, v[22:25], off offset:-16
.LBB9_76:
	s_wait_xcnt 0x0
	v_mov_b32_e32 v1, 0
	global_load_b32 v22, v1, s[16:17] offset:28
	s_wait_loadcnt 0x0
	v_cmp_eq_u32_e32 vcc_lo, 8, v22
	s_cbranch_vccnz .LBB9_78
; %bb.77:
	v_lshlrev_b32_e32 v22, 4, v22
	s_delay_alu instid0(VALU_DEP_1)
	v_mov_b32_e32 v30, v22
	s_clause 0x1
	scratch_load_b128 v[22:25], off, s15
	scratch_load_b128 v[26:29], v30, off offset:-16
	s_wait_loadcnt 0x1
	ds_store_2addr_b64 v0, v[22:23], v[24:25] offset1:1
	s_wait_loadcnt 0x0
	s_clause 0x1
	scratch_store_b128 off, v[26:29], s15
	scratch_store_b128 v30, v[22:25], off offset:-16
.LBB9_78:
	global_load_b32 v1, v1, s[16:17] offset:24
	s_wait_loadcnt 0x0
	v_cmp_eq_u32_e32 vcc_lo, 7, v1
	s_cbranch_vccnz .LBB9_80
; %bb.79:
	s_wait_xcnt 0x0
	v_lshlrev_b32_e32 v1, 4, v1
	s_clause 0x1
	scratch_load_b128 v[22:25], off, s13
	scratch_load_b128 v[26:29], v1, off offset:-16
	s_wait_loadcnt 0x1
	ds_store_2addr_b64 v0, v[22:23], v[24:25] offset1:1
	s_wait_loadcnt 0x0
	s_clause 0x1
	scratch_store_b128 off, v[26:29], s13
	scratch_store_b128 v1, v[22:25], off offset:-16
.LBB9_80:
	s_wait_xcnt 0x0
	v_mov_b32_e32 v1, 0
	global_load_b32 v22, v1, s[16:17] offset:20
	s_wait_loadcnt 0x0
	v_cmp_eq_u32_e32 vcc_lo, 6, v22
	s_cbranch_vccnz .LBB9_82
; %bb.81:
	v_lshlrev_b32_e32 v22, 4, v22
	s_delay_alu instid0(VALU_DEP_1)
	v_mov_b32_e32 v30, v22
	s_clause 0x1
	scratch_load_b128 v[22:25], off, s12
	scratch_load_b128 v[26:29], v30, off offset:-16
	s_wait_loadcnt 0x1
	ds_store_2addr_b64 v0, v[22:23], v[24:25] offset1:1
	s_wait_loadcnt 0x0
	s_clause 0x1
	scratch_store_b128 off, v[26:29], s12
	scratch_store_b128 v30, v[22:25], off offset:-16
.LBB9_82:
	global_load_b32 v1, v1, s[16:17] offset:16
	s_wait_loadcnt 0x0
	v_cmp_eq_u32_e32 vcc_lo, 5, v1
	s_cbranch_vccnz .LBB9_84
; %bb.83:
	s_wait_xcnt 0x0
	v_lshlrev_b32_e32 v1, 4, v1
	s_clause 0x1
	scratch_load_b128 v[22:25], off, s11
	scratch_load_b128 v[26:29], v1, off offset:-16
	s_wait_loadcnt 0x1
	ds_store_2addr_b64 v0, v[22:23], v[24:25] offset1:1
	s_wait_loadcnt 0x0
	s_clause 0x1
	scratch_store_b128 off, v[26:29], s11
	scratch_store_b128 v1, v[22:25], off offset:-16
.LBB9_84:
	;; [unrolled: 37-line block ×3, first 2 shown]
	s_wait_xcnt 0x0
	v_mov_b32_e32 v1, 0
	global_load_b32 v22, v1, s[16:17] offset:4
	s_wait_loadcnt 0x0
	v_cmp_eq_u32_e32 vcc_lo, 2, v22
	s_cbranch_vccnz .LBB9_90
; %bb.89:
	v_lshlrev_b32_e32 v22, 4, v22
	s_delay_alu instid0(VALU_DEP_1)
	v_mov_b32_e32 v30, v22
	s_clause 0x1
	scratch_load_b128 v[22:25], off, s10
	scratch_load_b128 v[26:29], v30, off offset:-16
	s_wait_loadcnt 0x1
	ds_store_2addr_b64 v0, v[22:23], v[24:25] offset1:1
	s_wait_loadcnt 0x0
	s_clause 0x1
	scratch_store_b128 off, v[26:29], s10
	scratch_store_b128 v30, v[22:25], off offset:-16
.LBB9_90:
	global_load_b32 v1, v1, s[16:17]
	s_wait_loadcnt 0x0
	v_cmp_eq_u32_e32 vcc_lo, 1, v1
	s_cbranch_vccnz .LBB9_92
; %bb.91:
	s_wait_xcnt 0x0
	v_lshlrev_b32_e32 v1, 4, v1
	scratch_load_b128 v[22:25], off, off
	scratch_load_b128 v[26:29], v1, off offset:-16
	s_wait_loadcnt 0x1
	ds_store_2addr_b64 v0, v[22:23], v[24:25] offset1:1
	s_wait_loadcnt 0x0
	scratch_store_b128 off, v[26:29], off
	scratch_store_b128 v1, v[22:25], off offset:-16
.LBB9_92:
	scratch_load_b128 v[22:25], off, off
	s_clause 0x8
	scratch_load_b128 v[26:29], off, s10
	scratch_load_b128 v[30:33], off, s8
	;; [unrolled: 1-line block ×9, first 2 shown]
	s_wait_loadcnt 0x9
	global_store_b128 v[14:15], v[22:25], off
	s_wait_loadcnt 0x8
	global_store_b128 v[16:17], v[26:29], off
	;; [unrolled: 2-line block ×10, first 2 shown]
	s_sendmsg sendmsg(MSG_DEALLOC_VGPRS)
	s_endpgm
	.section	.rodata,"a",@progbits
	.p2align	6, 0x0
	.amdhsa_kernel _ZN9rocsolver6v33100L18getri_kernel_smallILi10E19rocblas_complex_numIdEPS3_EEvT1_iilPiilS6_bb
		.amdhsa_group_segment_fixed_size 1352
		.amdhsa_private_segment_fixed_size 176
		.amdhsa_kernarg_size 60
		.amdhsa_user_sgpr_count 4
		.amdhsa_user_sgpr_dispatch_ptr 1
		.amdhsa_user_sgpr_queue_ptr 0
		.amdhsa_user_sgpr_kernarg_segment_ptr 1
		.amdhsa_user_sgpr_dispatch_id 0
		.amdhsa_user_sgpr_kernarg_preload_length 0
		.amdhsa_user_sgpr_kernarg_preload_offset 0
		.amdhsa_user_sgpr_private_segment_size 0
		.amdhsa_wavefront_size32 1
		.amdhsa_uses_dynamic_stack 0
		.amdhsa_enable_private_segment 1
		.amdhsa_system_sgpr_workgroup_id_x 1
		.amdhsa_system_sgpr_workgroup_id_y 0
		.amdhsa_system_sgpr_workgroup_id_z 0
		.amdhsa_system_sgpr_workgroup_info 0
		.amdhsa_system_vgpr_workitem_id 2
		.amdhsa_next_free_vgpr 80
		.amdhsa_next_free_sgpr 25
		.amdhsa_named_barrier_count 0
		.amdhsa_reserve_vcc 1
		.amdhsa_float_round_mode_32 0
		.amdhsa_float_round_mode_16_64 0
		.amdhsa_float_denorm_mode_32 3
		.amdhsa_float_denorm_mode_16_64 3
		.amdhsa_fp16_overflow 0
		.amdhsa_memory_ordered 1
		.amdhsa_forward_progress 1
		.amdhsa_inst_pref_size 71
		.amdhsa_round_robin_scheduling 0
		.amdhsa_exception_fp_ieee_invalid_op 0
		.amdhsa_exception_fp_denorm_src 0
		.amdhsa_exception_fp_ieee_div_zero 0
		.amdhsa_exception_fp_ieee_overflow 0
		.amdhsa_exception_fp_ieee_underflow 0
		.amdhsa_exception_fp_ieee_inexact 0
		.amdhsa_exception_int_div_zero 0
	.end_amdhsa_kernel
	.section	.text._ZN9rocsolver6v33100L18getri_kernel_smallILi10E19rocblas_complex_numIdEPS3_EEvT1_iilPiilS6_bb,"axG",@progbits,_ZN9rocsolver6v33100L18getri_kernel_smallILi10E19rocblas_complex_numIdEPS3_EEvT1_iilPiilS6_bb,comdat
.Lfunc_end9:
	.size	_ZN9rocsolver6v33100L18getri_kernel_smallILi10E19rocblas_complex_numIdEPS3_EEvT1_iilPiilS6_bb, .Lfunc_end9-_ZN9rocsolver6v33100L18getri_kernel_smallILi10E19rocblas_complex_numIdEPS3_EEvT1_iilPiilS6_bb
                                        ; -- End function
	.set _ZN9rocsolver6v33100L18getri_kernel_smallILi10E19rocblas_complex_numIdEPS3_EEvT1_iilPiilS6_bb.num_vgpr, 80
	.set _ZN9rocsolver6v33100L18getri_kernel_smallILi10E19rocblas_complex_numIdEPS3_EEvT1_iilPiilS6_bb.num_agpr, 0
	.set _ZN9rocsolver6v33100L18getri_kernel_smallILi10E19rocblas_complex_numIdEPS3_EEvT1_iilPiilS6_bb.numbered_sgpr, 25
	.set _ZN9rocsolver6v33100L18getri_kernel_smallILi10E19rocblas_complex_numIdEPS3_EEvT1_iilPiilS6_bb.num_named_barrier, 0
	.set _ZN9rocsolver6v33100L18getri_kernel_smallILi10E19rocblas_complex_numIdEPS3_EEvT1_iilPiilS6_bb.private_seg_size, 176
	.set _ZN9rocsolver6v33100L18getri_kernel_smallILi10E19rocblas_complex_numIdEPS3_EEvT1_iilPiilS6_bb.uses_vcc, 1
	.set _ZN9rocsolver6v33100L18getri_kernel_smallILi10E19rocblas_complex_numIdEPS3_EEvT1_iilPiilS6_bb.uses_flat_scratch, 1
	.set _ZN9rocsolver6v33100L18getri_kernel_smallILi10E19rocblas_complex_numIdEPS3_EEvT1_iilPiilS6_bb.has_dyn_sized_stack, 0
	.set _ZN9rocsolver6v33100L18getri_kernel_smallILi10E19rocblas_complex_numIdEPS3_EEvT1_iilPiilS6_bb.has_recursion, 0
	.set _ZN9rocsolver6v33100L18getri_kernel_smallILi10E19rocblas_complex_numIdEPS3_EEvT1_iilPiilS6_bb.has_indirect_call, 0
	.section	.AMDGPU.csdata,"",@progbits
; Kernel info:
; codeLenInByte = 9048
; TotalNumSgprs: 27
; NumVgprs: 80
; ScratchSize: 176
; MemoryBound: 0
; FloatMode: 240
; IeeeMode: 1
; LDSByteSize: 1352 bytes/workgroup (compile time only)
; SGPRBlocks: 0
; VGPRBlocks: 4
; NumSGPRsForWavesPerEU: 27
; NumVGPRsForWavesPerEU: 80
; NamedBarCnt: 0
; Occupancy: 12
; WaveLimiterHint : 1
; COMPUTE_PGM_RSRC2:SCRATCH_EN: 1
; COMPUTE_PGM_RSRC2:USER_SGPR: 4
; COMPUTE_PGM_RSRC2:TRAP_HANDLER: 0
; COMPUTE_PGM_RSRC2:TGID_X_EN: 1
; COMPUTE_PGM_RSRC2:TGID_Y_EN: 0
; COMPUTE_PGM_RSRC2:TGID_Z_EN: 0
; COMPUTE_PGM_RSRC2:TIDIG_COMP_CNT: 2
	.section	.text._ZN9rocsolver6v33100L18getri_kernel_smallILi11E19rocblas_complex_numIdEPS3_EEvT1_iilPiilS6_bb,"axG",@progbits,_ZN9rocsolver6v33100L18getri_kernel_smallILi11E19rocblas_complex_numIdEPS3_EEvT1_iilPiilS6_bb,comdat
	.globl	_ZN9rocsolver6v33100L18getri_kernel_smallILi11E19rocblas_complex_numIdEPS3_EEvT1_iilPiilS6_bb ; -- Begin function _ZN9rocsolver6v33100L18getri_kernel_smallILi11E19rocblas_complex_numIdEPS3_EEvT1_iilPiilS6_bb
	.p2align	8
	.type	_ZN9rocsolver6v33100L18getri_kernel_smallILi11E19rocblas_complex_numIdEPS3_EEvT1_iilPiilS6_bb,@function
_ZN9rocsolver6v33100L18getri_kernel_smallILi11E19rocblas_complex_numIdEPS3_EEvT1_iilPiilS6_bb: ; @_ZN9rocsolver6v33100L18getri_kernel_smallILi11E19rocblas_complex_numIdEPS3_EEvT1_iilPiilS6_bb
; %bb.0:
	v_and_b32_e32 v1, 0x3ff, v0
	s_mov_b32 s4, exec_lo
	s_delay_alu instid0(VALU_DEP_1)
	v_cmpx_gt_u32_e32 11, v1
	s_cbranch_execz .LBB10_58
; %bb.1:
	s_clause 0x2
	s_load_b32 s8, s[2:3], 0x38
	s_load_b128 s[12:15], s[2:3], 0x10
	s_load_b128 s[4:7], s[2:3], 0x28
	s_getreg_b32 s11, hwreg(HW_REG_IB_STS2, 6, 4)
                                        ; implicit-def: $sgpr16_sgpr17
	s_wait_kmcnt 0x0
	s_bitcmp1_b32 s8, 8
	s_cselect_b32 s22, -1, 0
	s_bfe_u32 s9, ttmp6, 0x4000c
	s_and_b32 s10, ttmp6, 15
	s_add_co_i32 s9, s9, 1
	s_delay_alu instid0(SALU_CYCLE_1) | instskip(NEXT) | instid1(SALU_CYCLE_1)
	s_mul_i32 s9, ttmp9, s9
	s_add_co_i32 s10, s10, s9
	s_cmp_eq_u32 s11, 0
	s_cselect_b32 s18, ttmp9, s10
	s_bfe_u32 s8, s8, 0x10008
	s_ashr_i32 s19, s18, 31
	s_cmp_eq_u32 s8, 0
	s_cbranch_scc1 .LBB10_3
; %bb.2:
	s_load_b32 s8, s[2:3], 0x20
	s_mul_u64 s[4:5], s[4:5], s[18:19]
	s_delay_alu instid0(SALU_CYCLE_1) | instskip(NEXT) | instid1(SALU_CYCLE_1)
	s_lshl_b64 s[4:5], s[4:5], 2
	s_add_nc_u64 s[4:5], s[14:15], s[4:5]
	s_wait_kmcnt 0x0
	s_ashr_i32 s9, s8, 31
	s_delay_alu instid0(SALU_CYCLE_1) | instskip(NEXT) | instid1(SALU_CYCLE_1)
	s_lshl_b64 s[8:9], s[8:9], 2
	s_add_nc_u64 s[16:17], s[4:5], s[8:9]
.LBB10_3:
	s_clause 0x1
	s_load_b128 s[8:11], s[2:3], 0x0
	s_load_b32 s23, s[2:3], 0x38
	s_wait_xcnt 0x0
	s_mul_u64 s[2:3], s[12:13], s[18:19]
	v_dual_mov_b32 v37, 0 :: v_dual_lshlrev_b32 v36, 4, v1
	s_lshl_b64 s[2:3], s[2:3], 4
	s_movk_i32 s12, 0x50
	s_movk_i32 s14, 0x60
	;; [unrolled: 1-line block ×6, first 2 shown]
	s_wait_kmcnt 0x0
	v_add3_u32 v18, s11, s11, v1
	s_ashr_i32 s5, s10, 31
	s_mov_b32 s4, s10
	s_add_nc_u64 s[2:3], s[8:9], s[2:3]
	s_lshl_b64 s[4:5], s[4:5], 4
	v_add_nc_u32_e32 v20, s11, v18
	s_add_nc_u64 s[4:5], s[2:3], s[4:5]
	s_ashr_i32 s3, s11, 31
	v_add_nc_u64_e32 v[14:15], s[4:5], v[36:37]
	s_mov_b32 s2, s11
	v_add_nc_u32_e32 v22, s11, v20
	s_mov_b32 s10, 16
	s_mov_b32 s8, 32
	;; [unrolled: 1-line block ×3, first 2 shown]
	s_bitcmp0_b32 s23, 0
	v_add_nc_u32_e32 v24, s11, v22
	v_lshl_add_u64 v[16:17], s[2:3], 4, v[14:15]
	s_clause 0x1
	global_load_b128 v[2:5], v1, s[4:5] scale_offset
	global_load_b128 v[6:9], v[16:17], off
	v_add_nc_u32_e32 v26, s11, v24
	s_clause 0x1
	global_load_b128 v[10:13], v18, s[4:5] scale_offset
	global_load_b128 v[38:41], v20, s[4:5] scale_offset
	s_mov_b32 s3, -1
	v_add_nc_u32_e32 v28, s11, v26
	s_delay_alu instid0(VALU_DEP_1)
	v_add_nc_u32_e32 v30, s11, v28
	s_clause 0x3
	global_load_b128 v[42:45], v22, s[4:5] scale_offset
	global_load_b128 v[46:49], v24, s[4:5] scale_offset
	;; [unrolled: 1-line block ×4, first 2 shown]
	v_add_nc_u32_e32 v32, s11, v30
	s_delay_alu instid0(VALU_DEP_1)
	v_add_nc_u32_e32 v34, s11, v32
	s_mov_b32 s11, 64
	s_clause 0x2
	global_load_b128 v[58:61], v30, s[4:5] scale_offset
	global_load_b128 v[62:65], v32, s[4:5] scale_offset
	;; [unrolled: 1-line block ×3, first 2 shown]
	s_wait_loadcnt 0xa
	scratch_store_b128 off, v[2:5], off
	s_wait_loadcnt 0x9
	scratch_store_b128 off, v[6:9], off offset:16
	s_wait_loadcnt 0x8
	scratch_store_b128 off, v[10:13], off offset:32
	;; [unrolled: 2-line block ×10, first 2 shown]
	s_cbranch_scc1 .LBB10_56
; %bb.4:
	v_cmp_eq_u32_e64 s2, 0, v1
	s_wait_xcnt 0x0
	s_and_saveexec_b32 s3, s2
; %bb.5:
	v_mov_b32_e32 v2, 0
	ds_store_b32 v2, v2 offset:352
; %bb.6:
	s_or_b32 exec_lo, exec_lo, s3
	s_wait_storecnt_dscnt 0x0
	s_barrier_signal -1
	s_barrier_wait -1
	scratch_load_b128 v[2:5], v1, off scale_offset
	s_wait_loadcnt 0x0
	v_cmp_eq_f64_e32 vcc_lo, 0, v[2:3]
	v_cmp_eq_f64_e64 s3, 0, v[4:5]
	s_and_b32 s3, vcc_lo, s3
	s_delay_alu instid0(SALU_CYCLE_1)
	s_and_saveexec_b32 s23, s3
	s_cbranch_execz .LBB10_10
; %bb.7:
	v_mov_b32_e32 v2, 0
	s_mov_b32 s24, 0
	ds_load_b32 v3, v2 offset:352
	s_wait_dscnt 0x0
	v_readfirstlane_b32 s3, v3
	v_add_nc_u32_e32 v3, 1, v1
	s_cmp_eq_u32 s3, 0
	s_delay_alu instid0(VALU_DEP_1) | instskip(SKIP_1) | instid1(SALU_CYCLE_1)
	v_cmp_gt_i32_e32 vcc_lo, s3, v3
	s_cselect_b32 s25, -1, 0
	s_or_b32 s25, s25, vcc_lo
	s_delay_alu instid0(SALU_CYCLE_1)
	s_and_b32 exec_lo, exec_lo, s25
	s_cbranch_execz .LBB10_10
; %bb.8:
	v_mov_b32_e32 v4, s3
.LBB10_9:                               ; =>This Inner Loop Header: Depth=1
	ds_cmpstore_rtn_b32 v4, v2, v3, v4 offset:352
	s_wait_dscnt 0x0
	v_cmp_ne_u32_e32 vcc_lo, 0, v4
	v_cmp_le_i32_e64 s3, v4, v3
	s_and_b32 s3, vcc_lo, s3
	s_delay_alu instid0(SALU_CYCLE_1) | instskip(NEXT) | instid1(SALU_CYCLE_1)
	s_and_b32 s3, exec_lo, s3
	s_or_b32 s24, s3, s24
	s_delay_alu instid0(SALU_CYCLE_1)
	s_and_not1_b32 exec_lo, exec_lo, s24
	s_cbranch_execnz .LBB10_9
.LBB10_10:
	s_or_b32 exec_lo, exec_lo, s23
	v_mov_b32_e32 v2, 0
	s_barrier_signal -1
	s_barrier_wait -1
	ds_load_b32 v3, v2 offset:352
	s_and_saveexec_b32 s3, s2
	s_cbranch_execz .LBB10_12
; %bb.11:
	s_lshl_b64 s[24:25], s[18:19], 2
	s_delay_alu instid0(SALU_CYCLE_1)
	s_add_nc_u64 s[24:25], s[6:7], s[24:25]
	s_wait_dscnt 0x0
	global_store_b32 v2, v3, s[24:25]
.LBB10_12:
	s_wait_xcnt 0x0
	s_or_b32 exec_lo, exec_lo, s3
	s_wait_dscnt 0x0
	v_cmp_ne_u32_e32 vcc_lo, 0, v3
	s_mov_b32 s3, 0
	s_cbranch_vccnz .LBB10_56
; %bb.13:
	v_lshl_add_u32 v19, v1, 4, 0
                                        ; implicit-def: $vgpr6_vgpr7
                                        ; implicit-def: $vgpr10_vgpr11
	scratch_load_b128 v[2:5], v19, off
	s_wait_loadcnt 0x0
	v_cmp_ngt_f64_e64 s3, |v[2:3]|, |v[4:5]|
	s_wait_xcnt 0x0
	s_and_saveexec_b32 s23, s3
	s_delay_alu instid0(SALU_CYCLE_1)
	s_xor_b32 s3, exec_lo, s23
	s_cbranch_execz .LBB10_15
; %bb.14:
	v_div_scale_f64 v[6:7], null, v[4:5], v[4:5], v[2:3]
	v_div_scale_f64 v[12:13], vcc_lo, v[2:3], v[4:5], v[2:3]
	s_delay_alu instid0(VALU_DEP_2) | instskip(SKIP_1) | instid1(TRANS32_DEP_1)
	v_rcp_f64_e32 v[8:9], v[6:7]
	v_nop
	v_fma_f64 v[10:11], -v[6:7], v[8:9], 1.0
	s_delay_alu instid0(VALU_DEP_1) | instskip(NEXT) | instid1(VALU_DEP_1)
	v_fmac_f64_e32 v[8:9], v[8:9], v[10:11]
	v_fma_f64 v[10:11], -v[6:7], v[8:9], 1.0
	s_delay_alu instid0(VALU_DEP_1) | instskip(NEXT) | instid1(VALU_DEP_1)
	v_fmac_f64_e32 v[8:9], v[8:9], v[10:11]
	v_mul_f64_e32 v[10:11], v[12:13], v[8:9]
	s_delay_alu instid0(VALU_DEP_1) | instskip(NEXT) | instid1(VALU_DEP_1)
	v_fma_f64 v[6:7], -v[6:7], v[10:11], v[12:13]
	v_div_fmas_f64 v[6:7], v[6:7], v[8:9], v[10:11]
	s_delay_alu instid0(VALU_DEP_1) | instskip(NEXT) | instid1(VALU_DEP_1)
	v_div_fixup_f64 v[6:7], v[6:7], v[4:5], v[2:3]
	v_fmac_f64_e32 v[4:5], v[2:3], v[6:7]
	s_delay_alu instid0(VALU_DEP_1) | instskip(SKIP_1) | instid1(VALU_DEP_2)
	v_div_scale_f64 v[2:3], null, v[4:5], v[4:5], 1.0
	v_div_scale_f64 v[12:13], vcc_lo, 1.0, v[4:5], 1.0
	v_rcp_f64_e32 v[8:9], v[2:3]
	v_nop
	s_delay_alu instid0(TRANS32_DEP_1) | instskip(NEXT) | instid1(VALU_DEP_1)
	v_fma_f64 v[10:11], -v[2:3], v[8:9], 1.0
	v_fmac_f64_e32 v[8:9], v[8:9], v[10:11]
	s_delay_alu instid0(VALU_DEP_1) | instskip(NEXT) | instid1(VALU_DEP_1)
	v_fma_f64 v[10:11], -v[2:3], v[8:9], 1.0
	v_fmac_f64_e32 v[8:9], v[8:9], v[10:11]
	s_delay_alu instid0(VALU_DEP_1) | instskip(NEXT) | instid1(VALU_DEP_1)
	v_mul_f64_e32 v[10:11], v[12:13], v[8:9]
	v_fma_f64 v[2:3], -v[2:3], v[10:11], v[12:13]
	s_delay_alu instid0(VALU_DEP_1) | instskip(NEXT) | instid1(VALU_DEP_1)
	v_div_fmas_f64 v[2:3], v[2:3], v[8:9], v[10:11]
	v_div_fixup_f64 v[8:9], v[2:3], v[4:5], 1.0
                                        ; implicit-def: $vgpr2_vgpr3
	s_delay_alu instid0(VALU_DEP_1) | instskip(SKIP_1) | instid1(VALU_DEP_2)
	v_mul_f64_e32 v[6:7], v[6:7], v[8:9]
	v_xor_b32_e32 v9, 0x80000000, v9
	v_xor_b32_e32 v11, 0x80000000, v7
	s_delay_alu instid0(VALU_DEP_3)
	v_mov_b32_e32 v10, v6
.LBB10_15:
	s_and_not1_saveexec_b32 s3, s3
	s_cbranch_execz .LBB10_17
; %bb.16:
	v_div_scale_f64 v[6:7], null, v[2:3], v[2:3], v[4:5]
	v_div_scale_f64 v[12:13], vcc_lo, v[4:5], v[2:3], v[4:5]
	s_delay_alu instid0(VALU_DEP_2) | instskip(SKIP_1) | instid1(TRANS32_DEP_1)
	v_rcp_f64_e32 v[8:9], v[6:7]
	v_nop
	v_fma_f64 v[10:11], -v[6:7], v[8:9], 1.0
	s_delay_alu instid0(VALU_DEP_1) | instskip(NEXT) | instid1(VALU_DEP_1)
	v_fmac_f64_e32 v[8:9], v[8:9], v[10:11]
	v_fma_f64 v[10:11], -v[6:7], v[8:9], 1.0
	s_delay_alu instid0(VALU_DEP_1) | instskip(NEXT) | instid1(VALU_DEP_1)
	v_fmac_f64_e32 v[8:9], v[8:9], v[10:11]
	v_mul_f64_e32 v[10:11], v[12:13], v[8:9]
	s_delay_alu instid0(VALU_DEP_1) | instskip(NEXT) | instid1(VALU_DEP_1)
	v_fma_f64 v[6:7], -v[6:7], v[10:11], v[12:13]
	v_div_fmas_f64 v[6:7], v[6:7], v[8:9], v[10:11]
	s_delay_alu instid0(VALU_DEP_1) | instskip(NEXT) | instid1(VALU_DEP_1)
	v_div_fixup_f64 v[8:9], v[6:7], v[2:3], v[4:5]
	v_fmac_f64_e32 v[2:3], v[4:5], v[8:9]
	s_delay_alu instid0(VALU_DEP_1) | instskip(NEXT) | instid1(VALU_DEP_1)
	v_div_scale_f64 v[4:5], null, v[2:3], v[2:3], 1.0
	v_rcp_f64_e32 v[6:7], v[4:5]
	v_nop
	s_delay_alu instid0(TRANS32_DEP_1) | instskip(NEXT) | instid1(VALU_DEP_1)
	v_fma_f64 v[10:11], -v[4:5], v[6:7], 1.0
	v_fmac_f64_e32 v[6:7], v[6:7], v[10:11]
	s_delay_alu instid0(VALU_DEP_1) | instskip(NEXT) | instid1(VALU_DEP_1)
	v_fma_f64 v[10:11], -v[4:5], v[6:7], 1.0
	v_fmac_f64_e32 v[6:7], v[6:7], v[10:11]
	v_div_scale_f64 v[10:11], vcc_lo, 1.0, v[2:3], 1.0
	s_delay_alu instid0(VALU_DEP_1) | instskip(NEXT) | instid1(VALU_DEP_1)
	v_mul_f64_e32 v[12:13], v[10:11], v[6:7]
	v_fma_f64 v[4:5], -v[4:5], v[12:13], v[10:11]
	s_delay_alu instid0(VALU_DEP_1) | instskip(NEXT) | instid1(VALU_DEP_1)
	v_div_fmas_f64 v[4:5], v[4:5], v[6:7], v[12:13]
	v_div_fixup_f64 v[6:7], v[4:5], v[2:3], 1.0
	s_delay_alu instid0(VALU_DEP_1)
	v_mul_f64_e64 v[8:9], v[8:9], -v[6:7]
	v_xor_b32_e32 v11, 0x80000000, v7
	v_mov_b32_e32 v10, v6
.LBB10_17:
	s_or_b32 exec_lo, exec_lo, s3
	s_clause 0x1
	scratch_store_b128 v19, v[6:9], off
	scratch_load_b128 v[2:5], off, s10
	v_xor_b32_e32 v13, 0x80000000, v9
	v_mov_b32_e32 v12, v8
	s_wait_xcnt 0x1
	v_add_nc_u32_e32 v6, 0xb0, v36
	ds_store_b128 v36, v[10:13]
	s_wait_loadcnt 0x0
	ds_store_b128 v36, v[2:5] offset:176
	s_wait_storecnt_dscnt 0x0
	s_barrier_signal -1
	s_barrier_wait -1
	s_wait_xcnt 0x0
	s_and_saveexec_b32 s3, s2
	s_cbranch_execz .LBB10_19
; %bb.18:
	scratch_load_b128 v[2:5], v19, off
	ds_load_b128 v[8:11], v6
	v_mov_b32_e32 v7, 0
	ds_load_b128 v[38:41], v7 offset:16
	s_wait_loadcnt_dscnt 0x1
	v_mul_f64_e32 v[12:13], v[8:9], v[4:5]
	v_mul_f64_e32 v[4:5], v[10:11], v[4:5]
	s_delay_alu instid0(VALU_DEP_2) | instskip(NEXT) | instid1(VALU_DEP_2)
	v_fmac_f64_e32 v[12:13], v[10:11], v[2:3]
	v_fma_f64 v[2:3], v[8:9], v[2:3], -v[4:5]
	s_delay_alu instid0(VALU_DEP_2) | instskip(NEXT) | instid1(VALU_DEP_2)
	v_add_f64_e32 v[8:9], 0, v[12:13]
	v_add_f64_e32 v[2:3], 0, v[2:3]
	s_wait_dscnt 0x0
	s_delay_alu instid0(VALU_DEP_2) | instskip(NEXT) | instid1(VALU_DEP_2)
	v_mul_f64_e32 v[10:11], v[8:9], v[40:41]
	v_mul_f64_e32 v[4:5], v[2:3], v[40:41]
	s_delay_alu instid0(VALU_DEP_2) | instskip(NEXT) | instid1(VALU_DEP_2)
	v_fma_f64 v[2:3], v[2:3], v[38:39], -v[10:11]
	v_fmac_f64_e32 v[4:5], v[8:9], v[38:39]
	scratch_store_b128 off, v[2:5], off offset:16
.LBB10_19:
	s_wait_xcnt 0x0
	s_or_b32 exec_lo, exec_lo, s3
	s_wait_storecnt 0x0
	s_barrier_signal -1
	s_barrier_wait -1
	scratch_load_b128 v[2:5], off, s8
	s_mov_b32 s3, exec_lo
	s_wait_loadcnt 0x0
	ds_store_b128 v6, v[2:5]
	s_wait_dscnt 0x0
	s_barrier_signal -1
	s_barrier_wait -1
	v_cmpx_gt_u32_e32 2, v1
	s_cbranch_execz .LBB10_23
; %bb.20:
	scratch_load_b128 v[2:5], v19, off
	ds_load_b128 v[8:11], v6
	s_wait_loadcnt_dscnt 0x0
	v_mul_f64_e32 v[12:13], v[10:11], v[4:5]
	v_mul_f64_e32 v[38:39], v[8:9], v[4:5]
	s_delay_alu instid0(VALU_DEP_2) | instskip(NEXT) | instid1(VALU_DEP_2)
	v_fma_f64 v[4:5], v[8:9], v[2:3], -v[12:13]
	v_fmac_f64_e32 v[38:39], v[10:11], v[2:3]
	s_delay_alu instid0(VALU_DEP_2) | instskip(NEXT) | instid1(VALU_DEP_2)
	v_add_f64_e32 v[4:5], 0, v[4:5]
	v_add_f64_e32 v[2:3], 0, v[38:39]
	s_and_saveexec_b32 s23, s2
	s_cbranch_execz .LBB10_22
; %bb.21:
	scratch_load_b128 v[8:11], off, off offset:16
	v_mov_b32_e32 v7, 0
	ds_load_b128 v[38:41], v7 offset:192
	s_wait_loadcnt_dscnt 0x0
	v_mul_f64_e32 v[12:13], v[38:39], v[10:11]
	v_mul_f64_e32 v[10:11], v[40:41], v[10:11]
	s_delay_alu instid0(VALU_DEP_2) | instskip(NEXT) | instid1(VALU_DEP_2)
	v_fmac_f64_e32 v[12:13], v[40:41], v[8:9]
	v_fma_f64 v[8:9], v[38:39], v[8:9], -v[10:11]
	s_delay_alu instid0(VALU_DEP_2) | instskip(NEXT) | instid1(VALU_DEP_2)
	v_add_f64_e32 v[2:3], v[2:3], v[12:13]
	v_add_f64_e32 v[4:5], v[4:5], v[8:9]
.LBB10_22:
	s_or_b32 exec_lo, exec_lo, s23
	v_mov_b32_e32 v7, 0
	ds_load_b128 v[8:11], v7 offset:32
	s_wait_dscnt 0x0
	v_mul_f64_e32 v[38:39], v[2:3], v[10:11]
	v_mul_f64_e32 v[12:13], v[4:5], v[10:11]
	s_delay_alu instid0(VALU_DEP_2) | instskip(NEXT) | instid1(VALU_DEP_2)
	v_fma_f64 v[10:11], v[4:5], v[8:9], -v[38:39]
	v_fmac_f64_e32 v[12:13], v[2:3], v[8:9]
	scratch_store_b128 off, v[10:13], off offset:32
.LBB10_23:
	s_wait_xcnt 0x0
	s_or_b32 exec_lo, exec_lo, s3
	s_wait_storecnt 0x0
	s_barrier_signal -1
	s_barrier_wait -1
	scratch_load_b128 v[2:5], off, s9
	v_add_nc_u32_e32 v7, -1, v1
	s_mov_b32 s2, exec_lo
	s_wait_loadcnt 0x0
	ds_store_b128 v6, v[2:5]
	s_wait_dscnt 0x0
	s_barrier_signal -1
	s_barrier_wait -1
	v_cmpx_gt_u32_e32 3, v1
	s_cbranch_execz .LBB10_27
; %bb.24:
	v_dual_mov_b32 v10, v36 :: v_dual_add_nc_u32 v8, -1, v1
	v_mov_b64_e32 v[2:3], 0
	v_mov_b64_e32 v[4:5], 0
	v_add_nc_u32_e32 v9, 0xb0, v36
	s_delay_alu instid0(VALU_DEP_4)
	v_or_b32_e32 v10, 8, v10
	s_mov_b32 s3, 0
.LBB10_25:                              ; =>This Inner Loop Header: Depth=1
	scratch_load_b128 v[38:41], v10, off offset:-8
	ds_load_b128 v[42:45], v9
	s_wait_xcnt 0x0
	v_dual_add_nc_u32 v9, 16, v9 :: v_dual_add_nc_u32 v10, 16, v10
	v_add_nc_u32_e32 v8, 1, v8
	s_delay_alu instid0(VALU_DEP_1) | instskip(SKIP_4) | instid1(VALU_DEP_2)
	v_cmp_lt_u32_e32 vcc_lo, 1, v8
	s_or_b32 s3, vcc_lo, s3
	s_wait_loadcnt_dscnt 0x0
	v_mul_f64_e32 v[12:13], v[44:45], v[40:41]
	v_mul_f64_e32 v[40:41], v[42:43], v[40:41]
	v_fma_f64 v[12:13], v[42:43], v[38:39], -v[12:13]
	s_delay_alu instid0(VALU_DEP_2) | instskip(NEXT) | instid1(VALU_DEP_2)
	v_fmac_f64_e32 v[40:41], v[44:45], v[38:39]
	v_add_f64_e32 v[4:5], v[4:5], v[12:13]
	s_delay_alu instid0(VALU_DEP_2)
	v_add_f64_e32 v[2:3], v[2:3], v[40:41]
	s_and_not1_b32 exec_lo, exec_lo, s3
	s_cbranch_execnz .LBB10_25
; %bb.26:
	s_or_b32 exec_lo, exec_lo, s3
	v_mov_b32_e32 v8, 0
	ds_load_b128 v[8:11], v8 offset:48
	s_wait_dscnt 0x0
	v_mul_f64_e32 v[38:39], v[2:3], v[10:11]
	v_mul_f64_e32 v[12:13], v[4:5], v[10:11]
	s_delay_alu instid0(VALU_DEP_2) | instskip(NEXT) | instid1(VALU_DEP_2)
	v_fma_f64 v[10:11], v[4:5], v[8:9], -v[38:39]
	v_fmac_f64_e32 v[12:13], v[2:3], v[8:9]
	scratch_store_b128 off, v[10:13], off offset:48
.LBB10_27:
	s_wait_xcnt 0x0
	s_or_b32 exec_lo, exec_lo, s2
	s_wait_storecnt 0x0
	s_barrier_signal -1
	s_barrier_wait -1
	scratch_load_b128 v[2:5], off, s11
	s_mov_b32 s2, exec_lo
	s_wait_loadcnt 0x0
	ds_store_b128 v6, v[2:5]
	s_wait_dscnt 0x0
	s_barrier_signal -1
	s_barrier_wait -1
	v_cmpx_gt_u32_e32 4, v1
	s_cbranch_execz .LBB10_31
; %bb.28:
	v_dual_mov_b32 v10, v36 :: v_dual_add_nc_u32 v8, -1, v1
	v_mov_b64_e32 v[2:3], 0
	v_mov_b64_e32 v[4:5], 0
	v_add_nc_u32_e32 v9, 0xb0, v36
	s_delay_alu instid0(VALU_DEP_4)
	v_or_b32_e32 v10, 8, v10
	s_mov_b32 s3, 0
.LBB10_29:                              ; =>This Inner Loop Header: Depth=1
	scratch_load_b128 v[38:41], v10, off offset:-8
	ds_load_b128 v[42:45], v9
	s_wait_xcnt 0x0
	v_dual_add_nc_u32 v9, 16, v9 :: v_dual_add_nc_u32 v10, 16, v10
	v_add_nc_u32_e32 v8, 1, v8
	s_delay_alu instid0(VALU_DEP_1) | instskip(SKIP_4) | instid1(VALU_DEP_2)
	v_cmp_lt_u32_e32 vcc_lo, 2, v8
	s_or_b32 s3, vcc_lo, s3
	s_wait_loadcnt_dscnt 0x0
	v_mul_f64_e32 v[12:13], v[44:45], v[40:41]
	v_mul_f64_e32 v[40:41], v[42:43], v[40:41]
	v_fma_f64 v[12:13], v[42:43], v[38:39], -v[12:13]
	s_delay_alu instid0(VALU_DEP_2) | instskip(NEXT) | instid1(VALU_DEP_2)
	v_fmac_f64_e32 v[40:41], v[44:45], v[38:39]
	v_add_f64_e32 v[4:5], v[4:5], v[12:13]
	s_delay_alu instid0(VALU_DEP_2)
	v_add_f64_e32 v[2:3], v[2:3], v[40:41]
	s_and_not1_b32 exec_lo, exec_lo, s3
	s_cbranch_execnz .LBB10_29
; %bb.30:
	s_or_b32 exec_lo, exec_lo, s3
	v_mov_b32_e32 v8, 0
	ds_load_b128 v[8:11], v8 offset:64
	s_wait_dscnt 0x0
	v_mul_f64_e32 v[38:39], v[2:3], v[10:11]
	v_mul_f64_e32 v[12:13], v[4:5], v[10:11]
	s_delay_alu instid0(VALU_DEP_2) | instskip(NEXT) | instid1(VALU_DEP_2)
	v_fma_f64 v[10:11], v[4:5], v[8:9], -v[38:39]
	v_fmac_f64_e32 v[12:13], v[2:3], v[8:9]
	scratch_store_b128 off, v[10:13], off offset:64
.LBB10_31:
	s_wait_xcnt 0x0
	s_or_b32 exec_lo, exec_lo, s2
	s_wait_storecnt 0x0
	s_barrier_signal -1
	s_barrier_wait -1
	scratch_load_b128 v[2:5], off, s12
	;; [unrolled: 54-line block ×7, first 2 shown]
	s_mov_b32 s2, exec_lo
	s_wait_loadcnt 0x0
	ds_store_b128 v6, v[2:5]
	s_wait_dscnt 0x0
	s_barrier_signal -1
	s_barrier_wait -1
	v_cmpx_ne_u32_e32 10, v1
	s_cbranch_execz .LBB10_55
; %bb.52:
	v_mov_b32_e32 v8, v36
	v_mov_b64_e32 v[2:3], 0
	v_mov_b64_e32 v[4:5], 0
	s_mov_b32 s3, 0
	s_delay_alu instid0(VALU_DEP_3)
	v_or_b32_e32 v8, 8, v8
.LBB10_53:                              ; =>This Inner Loop Header: Depth=1
	scratch_load_b128 v[10:13], v8, off offset:-8
	ds_load_b128 v[36:39], v6
	v_dual_add_nc_u32 v7, 1, v7 :: v_dual_add_nc_u32 v6, 16, v6
	s_wait_xcnt 0x0
	v_add_nc_u32_e32 v8, 16, v8
	s_delay_alu instid0(VALU_DEP_2) | instskip(SKIP_4) | instid1(VALU_DEP_2)
	v_cmp_lt_u32_e32 vcc_lo, 8, v7
	s_or_b32 s3, vcc_lo, s3
	s_wait_loadcnt_dscnt 0x0
	v_mul_f64_e32 v[40:41], v[38:39], v[12:13]
	v_mul_f64_e32 v[12:13], v[36:37], v[12:13]
	v_fma_f64 v[36:37], v[36:37], v[10:11], -v[40:41]
	s_delay_alu instid0(VALU_DEP_2) | instskip(NEXT) | instid1(VALU_DEP_2)
	v_fmac_f64_e32 v[12:13], v[38:39], v[10:11]
	v_add_f64_e32 v[4:5], v[4:5], v[36:37]
	s_delay_alu instid0(VALU_DEP_2)
	v_add_f64_e32 v[2:3], v[2:3], v[12:13]
	s_and_not1_b32 exec_lo, exec_lo, s3
	s_cbranch_execnz .LBB10_53
; %bb.54:
	s_or_b32 exec_lo, exec_lo, s3
	v_mov_b32_e32 v6, 0
	ds_load_b128 v[6:9], v6 offset:160
	s_wait_dscnt 0x0
	v_mul_f64_e32 v[12:13], v[2:3], v[8:9]
	v_mul_f64_e32 v[10:11], v[4:5], v[8:9]
	s_delay_alu instid0(VALU_DEP_2) | instskip(NEXT) | instid1(VALU_DEP_2)
	v_fma_f64 v[8:9], v[4:5], v[6:7], -v[12:13]
	v_fmac_f64_e32 v[10:11], v[2:3], v[6:7]
	scratch_store_b128 off, v[8:11], off offset:160
.LBB10_55:
	s_wait_xcnt 0x0
	s_or_b32 exec_lo, exec_lo, s2
	s_mov_b32 s3, -1
	s_wait_storecnt 0x0
	s_barrier_signal -1
	s_barrier_wait -1
.LBB10_56:
	s_and_b32 vcc_lo, exec_lo, s3
	s_cbranch_vccz .LBB10_58
; %bb.57:
	s_wait_xcnt 0xa
	v_mov_b32_e32 v2, 0
	s_lshl_b64 s[2:3], s[18:19], 2
	s_delay_alu instid0(SALU_CYCLE_1)
	s_add_nc_u64 s[2:3], s[6:7], s[2:3]
	global_load_b32 v2, v2, s[2:3]
	s_wait_loadcnt 0x0
	v_cmp_ne_u32_e32 vcc_lo, 0, v2
	s_cbranch_vccz .LBB10_59
.LBB10_58:
	s_sendmsg sendmsg(MSG_DEALLOC_VGPRS)
	s_endpgm
.LBB10_59:
	s_wait_xcnt 0xa
	v_lshl_add_u32 v6, v1, 4, 0xb0
	s_wait_xcnt 0x0
	s_mov_b32 s2, exec_lo
	v_cmpx_eq_u32_e32 10, v1
	s_cbranch_execz .LBB10_61
; %bb.60:
	scratch_load_b128 v[2:5], off, s20
	v_mov_b32_e32 v8, 0
	s_delay_alu instid0(VALU_DEP_1)
	v_dual_mov_b32 v9, v8 :: v_dual_mov_b32 v10, v8
	v_mov_b32_e32 v11, v8
	scratch_store_b128 off, v[8:11], off offset:144
	s_wait_loadcnt 0x0
	ds_store_b128 v6, v[2:5]
.LBB10_61:
	s_wait_xcnt 0x0
	s_or_b32 exec_lo, exec_lo, s2
	s_wait_storecnt_dscnt 0x0
	s_barrier_signal -1
	s_barrier_wait -1
	s_clause 0x1
	scratch_load_b128 v[8:11], off, off offset:160
	scratch_load_b128 v[36:39], off, off offset:144
	v_mov_b32_e32 v2, 0
	s_mov_b32 s2, exec_lo
	ds_load_b128 v[40:43], v2 offset:336
	s_wait_loadcnt_dscnt 0x100
	v_mul_f64_e32 v[4:5], v[42:43], v[10:11]
	v_mul_f64_e32 v[10:11], v[40:41], v[10:11]
	s_delay_alu instid0(VALU_DEP_2) | instskip(NEXT) | instid1(VALU_DEP_2)
	v_fma_f64 v[4:5], v[40:41], v[8:9], -v[4:5]
	v_fmac_f64_e32 v[10:11], v[42:43], v[8:9]
	s_delay_alu instid0(VALU_DEP_2) | instskip(NEXT) | instid1(VALU_DEP_2)
	v_add_f64_e32 v[4:5], 0, v[4:5]
	v_add_f64_e32 v[10:11], 0, v[10:11]
	s_wait_loadcnt 0x0
	s_delay_alu instid0(VALU_DEP_2) | instskip(NEXT) | instid1(VALU_DEP_2)
	v_add_f64_e64 v[8:9], v[36:37], -v[4:5]
	v_add_f64_e64 v[10:11], v[38:39], -v[10:11]
	scratch_store_b128 off, v[8:11], off offset:144
	s_wait_xcnt 0x0
	v_cmpx_lt_u32_e32 8, v1
	s_cbranch_execz .LBB10_63
; %bb.62:
	scratch_load_b128 v[8:11], off, s13
	v_dual_mov_b32 v3, v2 :: v_dual_mov_b32 v4, v2
	v_mov_b32_e32 v5, v2
	scratch_store_b128 off, v[2:5], off offset:128
	s_wait_loadcnt 0x0
	ds_store_b128 v6, v[8:11]
.LBB10_63:
	s_wait_xcnt 0x0
	s_or_b32 exec_lo, exec_lo, s2
	s_wait_storecnt_dscnt 0x0
	s_barrier_signal -1
	s_barrier_wait -1
	s_clause 0x2
	scratch_load_b128 v[8:11], off, off offset:144
	scratch_load_b128 v[36:39], off, off offset:160
	;; [unrolled: 1-line block ×3, first 2 shown]
	ds_load_b128 v[44:47], v2 offset:320
	ds_load_b128 v[2:5], v2 offset:336
	s_mov_b32 s2, exec_lo
	s_wait_loadcnt_dscnt 0x201
	v_mul_f64_e32 v[12:13], v[46:47], v[10:11]
	v_mul_f64_e32 v[10:11], v[44:45], v[10:11]
	s_wait_loadcnt_dscnt 0x100
	v_mul_f64_e32 v[48:49], v[2:3], v[38:39]
	v_mul_f64_e32 v[38:39], v[4:5], v[38:39]
	s_delay_alu instid0(VALU_DEP_4) | instskip(NEXT) | instid1(VALU_DEP_4)
	v_fma_f64 v[12:13], v[44:45], v[8:9], -v[12:13]
	v_fmac_f64_e32 v[10:11], v[46:47], v[8:9]
	s_delay_alu instid0(VALU_DEP_4) | instskip(NEXT) | instid1(VALU_DEP_4)
	v_fmac_f64_e32 v[48:49], v[4:5], v[36:37]
	v_fma_f64 v[2:3], v[2:3], v[36:37], -v[38:39]
	s_delay_alu instid0(VALU_DEP_4) | instskip(NEXT) | instid1(VALU_DEP_4)
	v_add_f64_e32 v[4:5], 0, v[12:13]
	v_add_f64_e32 v[8:9], 0, v[10:11]
	s_delay_alu instid0(VALU_DEP_2) | instskip(NEXT) | instid1(VALU_DEP_2)
	v_add_f64_e32 v[2:3], v[4:5], v[2:3]
	v_add_f64_e32 v[4:5], v[8:9], v[48:49]
	s_wait_loadcnt 0x0
	s_delay_alu instid0(VALU_DEP_2) | instskip(NEXT) | instid1(VALU_DEP_2)
	v_add_f64_e64 v[2:3], v[40:41], -v[2:3]
	v_add_f64_e64 v[4:5], v[42:43], -v[4:5]
	scratch_store_b128 off, v[2:5], off offset:128
	s_wait_xcnt 0x0
	v_cmpx_lt_u32_e32 7, v1
	s_cbranch_execz .LBB10_65
; %bb.64:
	scratch_load_b128 v[2:5], off, s15
	v_mov_b32_e32 v8, 0
	s_delay_alu instid0(VALU_DEP_1)
	v_dual_mov_b32 v9, v8 :: v_dual_mov_b32 v10, v8
	v_mov_b32_e32 v11, v8
	scratch_store_b128 off, v[8:11], off offset:112
	s_wait_loadcnt 0x0
	ds_store_b128 v6, v[2:5]
.LBB10_65:
	s_wait_xcnt 0x0
	s_or_b32 exec_lo, exec_lo, s2
	s_wait_storecnt_dscnt 0x0
	s_barrier_signal -1
	s_barrier_wait -1
	s_clause 0x3
	scratch_load_b128 v[8:11], off, off offset:128
	scratch_load_b128 v[36:39], off, off offset:144
	;; [unrolled: 1-line block ×4, first 2 shown]
	v_mov_b32_e32 v2, 0
	ds_load_b128 v[48:51], v2 offset:304
	ds_load_b128 v[52:55], v2 offset:320
	s_mov_b32 s2, exec_lo
	s_wait_loadcnt_dscnt 0x301
	v_mul_f64_e32 v[4:5], v[50:51], v[10:11]
	v_mul_f64_e32 v[12:13], v[48:49], v[10:11]
	s_wait_loadcnt_dscnt 0x200
	v_mul_f64_e32 v[56:57], v[52:53], v[38:39]
	v_mul_f64_e32 v[38:39], v[54:55], v[38:39]
	s_delay_alu instid0(VALU_DEP_4) | instskip(NEXT) | instid1(VALU_DEP_4)
	v_fma_f64 v[4:5], v[48:49], v[8:9], -v[4:5]
	v_fmac_f64_e32 v[12:13], v[50:51], v[8:9]
	ds_load_b128 v[8:11], v2 offset:336
	v_fmac_f64_e32 v[56:57], v[54:55], v[36:37]
	v_fma_f64 v[36:37], v[52:53], v[36:37], -v[38:39]
	s_wait_loadcnt_dscnt 0x100
	v_mul_f64_e32 v[48:49], v[8:9], v[42:43]
	v_mul_f64_e32 v[42:43], v[10:11], v[42:43]
	v_add_f64_e32 v[4:5], 0, v[4:5]
	v_add_f64_e32 v[12:13], 0, v[12:13]
	s_delay_alu instid0(VALU_DEP_4) | instskip(NEXT) | instid1(VALU_DEP_4)
	v_fmac_f64_e32 v[48:49], v[10:11], v[40:41]
	v_fma_f64 v[8:9], v[8:9], v[40:41], -v[42:43]
	s_delay_alu instid0(VALU_DEP_4) | instskip(NEXT) | instid1(VALU_DEP_4)
	v_add_f64_e32 v[4:5], v[4:5], v[36:37]
	v_add_f64_e32 v[10:11], v[12:13], v[56:57]
	s_delay_alu instid0(VALU_DEP_2) | instskip(NEXT) | instid1(VALU_DEP_2)
	v_add_f64_e32 v[4:5], v[4:5], v[8:9]
	v_add_f64_e32 v[10:11], v[10:11], v[48:49]
	s_wait_loadcnt 0x0
	s_delay_alu instid0(VALU_DEP_2) | instskip(NEXT) | instid1(VALU_DEP_2)
	v_add_f64_e64 v[8:9], v[44:45], -v[4:5]
	v_add_f64_e64 v[10:11], v[46:47], -v[10:11]
	scratch_store_b128 off, v[8:11], off offset:112
	s_wait_xcnt 0x0
	v_cmpx_lt_u32_e32 6, v1
	s_cbranch_execz .LBB10_67
; %bb.66:
	scratch_load_b128 v[8:11], off, s14
	v_dual_mov_b32 v3, v2 :: v_dual_mov_b32 v4, v2
	v_mov_b32_e32 v5, v2
	scratch_store_b128 off, v[2:5], off offset:96
	s_wait_loadcnt 0x0
	ds_store_b128 v6, v[8:11]
.LBB10_67:
	s_wait_xcnt 0x0
	s_or_b32 exec_lo, exec_lo, s2
	s_wait_storecnt_dscnt 0x0
	s_barrier_signal -1
	s_barrier_wait -1
	s_clause 0x4
	scratch_load_b128 v[8:11], off, off offset:112
	scratch_load_b128 v[36:39], off, off offset:128
	;; [unrolled: 1-line block ×5, first 2 shown]
	ds_load_b128 v[52:55], v2 offset:288
	ds_load_b128 v[56:59], v2 offset:304
	s_mov_b32 s2, exec_lo
	s_wait_loadcnt_dscnt 0x401
	v_mul_f64_e32 v[4:5], v[54:55], v[10:11]
	v_mul_f64_e32 v[12:13], v[52:53], v[10:11]
	s_wait_loadcnt_dscnt 0x300
	v_mul_f64_e32 v[60:61], v[56:57], v[38:39]
	v_mul_f64_e32 v[38:39], v[58:59], v[38:39]
	s_delay_alu instid0(VALU_DEP_4) | instskip(NEXT) | instid1(VALU_DEP_4)
	v_fma_f64 v[52:53], v[52:53], v[8:9], -v[4:5]
	v_fmac_f64_e32 v[12:13], v[54:55], v[8:9]
	ds_load_b128 v[8:11], v2 offset:320
	ds_load_b128 v[2:5], v2 offset:336
	v_fmac_f64_e32 v[60:61], v[58:59], v[36:37]
	v_fma_f64 v[36:37], v[56:57], v[36:37], -v[38:39]
	s_wait_loadcnt_dscnt 0x201
	v_mul_f64_e32 v[54:55], v[8:9], v[42:43]
	v_mul_f64_e32 v[42:43], v[10:11], v[42:43]
	v_add_f64_e32 v[38:39], 0, v[52:53]
	v_add_f64_e32 v[12:13], 0, v[12:13]
	s_wait_loadcnt_dscnt 0x100
	v_mul_f64_e32 v[52:53], v[2:3], v[46:47]
	v_mul_f64_e32 v[46:47], v[4:5], v[46:47]
	v_fmac_f64_e32 v[54:55], v[10:11], v[40:41]
	v_fma_f64 v[8:9], v[8:9], v[40:41], -v[42:43]
	v_add_f64_e32 v[10:11], v[38:39], v[36:37]
	v_add_f64_e32 v[12:13], v[12:13], v[60:61]
	v_fmac_f64_e32 v[52:53], v[4:5], v[44:45]
	v_fma_f64 v[2:3], v[2:3], v[44:45], -v[46:47]
	s_delay_alu instid0(VALU_DEP_4) | instskip(NEXT) | instid1(VALU_DEP_4)
	v_add_f64_e32 v[4:5], v[10:11], v[8:9]
	v_add_f64_e32 v[8:9], v[12:13], v[54:55]
	s_delay_alu instid0(VALU_DEP_2) | instskip(NEXT) | instid1(VALU_DEP_2)
	v_add_f64_e32 v[2:3], v[4:5], v[2:3]
	v_add_f64_e32 v[4:5], v[8:9], v[52:53]
	s_wait_loadcnt 0x0
	s_delay_alu instid0(VALU_DEP_2) | instskip(NEXT) | instid1(VALU_DEP_2)
	v_add_f64_e64 v[2:3], v[48:49], -v[2:3]
	v_add_f64_e64 v[4:5], v[50:51], -v[4:5]
	scratch_store_b128 off, v[2:5], off offset:96
	s_wait_xcnt 0x0
	v_cmpx_lt_u32_e32 5, v1
	s_cbranch_execz .LBB10_69
; %bb.68:
	scratch_load_b128 v[2:5], off, s12
	v_mov_b32_e32 v8, 0
	s_delay_alu instid0(VALU_DEP_1)
	v_dual_mov_b32 v9, v8 :: v_dual_mov_b32 v10, v8
	v_mov_b32_e32 v11, v8
	scratch_store_b128 off, v[8:11], off offset:80
	s_wait_loadcnt 0x0
	ds_store_b128 v6, v[2:5]
.LBB10_69:
	s_wait_xcnt 0x0
	s_or_b32 exec_lo, exec_lo, s2
	s_wait_storecnt_dscnt 0x0
	s_barrier_signal -1
	s_barrier_wait -1
	s_clause 0x5
	scratch_load_b128 v[8:11], off, off offset:96
	scratch_load_b128 v[36:39], off, off offset:112
	;; [unrolled: 1-line block ×6, first 2 shown]
	v_mov_b32_e32 v2, 0
	ds_load_b128 v[56:59], v2 offset:272
	ds_load_b128 v[60:63], v2 offset:288
	s_mov_b32 s2, exec_lo
	s_wait_loadcnt_dscnt 0x501
	v_mul_f64_e32 v[4:5], v[58:59], v[10:11]
	v_mul_f64_e32 v[12:13], v[56:57], v[10:11]
	s_wait_loadcnt_dscnt 0x400
	v_mul_f64_e32 v[64:65], v[60:61], v[38:39]
	v_mul_f64_e32 v[38:39], v[62:63], v[38:39]
	s_delay_alu instid0(VALU_DEP_4) | instskip(NEXT) | instid1(VALU_DEP_4)
	v_fma_f64 v[4:5], v[56:57], v[8:9], -v[4:5]
	v_fmac_f64_e32 v[12:13], v[58:59], v[8:9]
	ds_load_b128 v[8:11], v2 offset:304
	ds_load_b128 v[56:59], v2 offset:320
	v_fmac_f64_e32 v[64:65], v[62:63], v[36:37]
	v_fma_f64 v[36:37], v[60:61], v[36:37], -v[38:39]
	s_wait_loadcnt_dscnt 0x301
	v_mul_f64_e32 v[66:67], v[8:9], v[42:43]
	v_mul_f64_e32 v[42:43], v[10:11], v[42:43]
	s_wait_loadcnt_dscnt 0x200
	v_mul_f64_e32 v[38:39], v[56:57], v[46:47]
	v_mul_f64_e32 v[46:47], v[58:59], v[46:47]
	v_add_f64_e32 v[4:5], 0, v[4:5]
	v_add_f64_e32 v[12:13], 0, v[12:13]
	v_fmac_f64_e32 v[66:67], v[10:11], v[40:41]
	v_fma_f64 v[40:41], v[8:9], v[40:41], -v[42:43]
	ds_load_b128 v[8:11], v2 offset:336
	v_fmac_f64_e32 v[38:39], v[58:59], v[44:45]
	v_fma_f64 v[44:45], v[56:57], v[44:45], -v[46:47]
	v_add_f64_e32 v[4:5], v[4:5], v[36:37]
	v_add_f64_e32 v[12:13], v[12:13], v[64:65]
	s_wait_loadcnt_dscnt 0x100
	v_mul_f64_e32 v[36:37], v[8:9], v[50:51]
	v_mul_f64_e32 v[42:43], v[10:11], v[50:51]
	s_delay_alu instid0(VALU_DEP_4) | instskip(NEXT) | instid1(VALU_DEP_4)
	v_add_f64_e32 v[4:5], v[4:5], v[40:41]
	v_add_f64_e32 v[12:13], v[12:13], v[66:67]
	s_delay_alu instid0(VALU_DEP_4) | instskip(NEXT) | instid1(VALU_DEP_4)
	v_fmac_f64_e32 v[36:37], v[10:11], v[48:49]
	v_fma_f64 v[8:9], v[8:9], v[48:49], -v[42:43]
	s_delay_alu instid0(VALU_DEP_4) | instskip(NEXT) | instid1(VALU_DEP_4)
	v_add_f64_e32 v[4:5], v[4:5], v[44:45]
	v_add_f64_e32 v[10:11], v[12:13], v[38:39]
	s_delay_alu instid0(VALU_DEP_2) | instskip(NEXT) | instid1(VALU_DEP_2)
	v_add_f64_e32 v[4:5], v[4:5], v[8:9]
	v_add_f64_e32 v[10:11], v[10:11], v[36:37]
	s_wait_loadcnt 0x0
	s_delay_alu instid0(VALU_DEP_2) | instskip(NEXT) | instid1(VALU_DEP_2)
	v_add_f64_e64 v[8:9], v[52:53], -v[4:5]
	v_add_f64_e64 v[10:11], v[54:55], -v[10:11]
	scratch_store_b128 off, v[8:11], off offset:80
	s_wait_xcnt 0x0
	v_cmpx_lt_u32_e32 4, v1
	s_cbranch_execz .LBB10_71
; %bb.70:
	scratch_load_b128 v[8:11], off, s11
	v_dual_mov_b32 v3, v2 :: v_dual_mov_b32 v4, v2
	v_mov_b32_e32 v5, v2
	scratch_store_b128 off, v[2:5], off offset:64
	s_wait_loadcnt 0x0
	ds_store_b128 v6, v[8:11]
.LBB10_71:
	s_wait_xcnt 0x0
	s_or_b32 exec_lo, exec_lo, s2
	s_wait_storecnt_dscnt 0x0
	s_barrier_signal -1
	s_barrier_wait -1
	s_clause 0x6
	scratch_load_b128 v[8:11], off, off offset:80
	scratch_load_b128 v[36:39], off, off offset:96
	;; [unrolled: 1-line block ×7, first 2 shown]
	ds_load_b128 v[60:63], v2 offset:256
	ds_load_b128 v[64:67], v2 offset:272
	s_mov_b32 s2, exec_lo
	s_wait_loadcnt_dscnt 0x601
	v_mul_f64_e32 v[4:5], v[62:63], v[10:11]
	v_mul_f64_e32 v[12:13], v[60:61], v[10:11]
	s_wait_loadcnt_dscnt 0x500
	v_mul_f64_e32 v[68:69], v[64:65], v[38:39]
	v_mul_f64_e32 v[38:39], v[66:67], v[38:39]
	s_delay_alu instid0(VALU_DEP_4) | instskip(NEXT) | instid1(VALU_DEP_4)
	v_fma_f64 v[4:5], v[60:61], v[8:9], -v[4:5]
	v_fmac_f64_e32 v[12:13], v[62:63], v[8:9]
	ds_load_b128 v[8:11], v2 offset:288
	ds_load_b128 v[60:63], v2 offset:304
	v_fmac_f64_e32 v[68:69], v[66:67], v[36:37]
	v_fma_f64 v[36:37], v[64:65], v[36:37], -v[38:39]
	s_wait_loadcnt_dscnt 0x401
	v_mul_f64_e32 v[70:71], v[8:9], v[42:43]
	v_mul_f64_e32 v[42:43], v[10:11], v[42:43]
	s_wait_loadcnt_dscnt 0x300
	v_mul_f64_e32 v[38:39], v[60:61], v[46:47]
	v_mul_f64_e32 v[46:47], v[62:63], v[46:47]
	v_add_f64_e32 v[4:5], 0, v[4:5]
	v_add_f64_e32 v[12:13], 0, v[12:13]
	v_fmac_f64_e32 v[70:71], v[10:11], v[40:41]
	v_fma_f64 v[40:41], v[8:9], v[40:41], -v[42:43]
	v_fmac_f64_e32 v[38:39], v[62:63], v[44:45]
	v_fma_f64 v[44:45], v[60:61], v[44:45], -v[46:47]
	v_add_f64_e32 v[36:37], v[4:5], v[36:37]
	v_add_f64_e32 v[12:13], v[12:13], v[68:69]
	ds_load_b128 v[8:11], v2 offset:320
	ds_load_b128 v[2:5], v2 offset:336
	s_wait_loadcnt_dscnt 0x201
	v_mul_f64_e32 v[42:43], v[8:9], v[50:51]
	v_mul_f64_e32 v[50:51], v[10:11], v[50:51]
	s_wait_loadcnt_dscnt 0x100
	v_mul_f64_e32 v[46:47], v[4:5], v[54:55]
	v_add_f64_e32 v[36:37], v[36:37], v[40:41]
	v_add_f64_e32 v[12:13], v[12:13], v[70:71]
	v_mul_f64_e32 v[40:41], v[2:3], v[54:55]
	v_fmac_f64_e32 v[42:43], v[10:11], v[48:49]
	v_fma_f64 v[8:9], v[8:9], v[48:49], -v[50:51]
	v_fma_f64 v[2:3], v[2:3], v[52:53], -v[46:47]
	v_add_f64_e32 v[10:11], v[36:37], v[44:45]
	v_add_f64_e32 v[12:13], v[12:13], v[38:39]
	v_fmac_f64_e32 v[40:41], v[4:5], v[52:53]
	s_delay_alu instid0(VALU_DEP_3) | instskip(NEXT) | instid1(VALU_DEP_3)
	v_add_f64_e32 v[4:5], v[10:11], v[8:9]
	v_add_f64_e32 v[8:9], v[12:13], v[42:43]
	s_delay_alu instid0(VALU_DEP_2) | instskip(NEXT) | instid1(VALU_DEP_2)
	v_add_f64_e32 v[2:3], v[4:5], v[2:3]
	v_add_f64_e32 v[4:5], v[8:9], v[40:41]
	s_wait_loadcnt 0x0
	s_delay_alu instid0(VALU_DEP_2) | instskip(NEXT) | instid1(VALU_DEP_2)
	v_add_f64_e64 v[2:3], v[56:57], -v[2:3]
	v_add_f64_e64 v[4:5], v[58:59], -v[4:5]
	scratch_store_b128 off, v[2:5], off offset:64
	s_wait_xcnt 0x0
	v_cmpx_lt_u32_e32 3, v1
	s_cbranch_execz .LBB10_73
; %bb.72:
	scratch_load_b128 v[2:5], off, s9
	v_mov_b32_e32 v8, 0
	s_delay_alu instid0(VALU_DEP_1)
	v_dual_mov_b32 v9, v8 :: v_dual_mov_b32 v10, v8
	v_mov_b32_e32 v11, v8
	scratch_store_b128 off, v[8:11], off offset:48
	s_wait_loadcnt 0x0
	ds_store_b128 v6, v[2:5]
.LBB10_73:
	s_wait_xcnt 0x0
	s_or_b32 exec_lo, exec_lo, s2
	s_wait_storecnt_dscnt 0x0
	s_barrier_signal -1
	s_barrier_wait -1
	s_clause 0x7
	scratch_load_b128 v[8:11], off, off offset:64
	scratch_load_b128 v[36:39], off, off offset:80
	;; [unrolled: 1-line block ×8, first 2 shown]
	v_mov_b32_e32 v2, 0
	ds_load_b128 v[64:67], v2 offset:240
	ds_load_b128 v[68:71], v2 offset:256
	s_mov_b32 s2, exec_lo
	s_wait_loadcnt_dscnt 0x701
	v_mul_f64_e32 v[4:5], v[66:67], v[10:11]
	v_mul_f64_e32 v[12:13], v[64:65], v[10:11]
	s_wait_loadcnt_dscnt 0x600
	v_mul_f64_e32 v[72:73], v[68:69], v[38:39]
	v_mul_f64_e32 v[38:39], v[70:71], v[38:39]
	s_delay_alu instid0(VALU_DEP_4) | instskip(NEXT) | instid1(VALU_DEP_4)
	v_fma_f64 v[4:5], v[64:65], v[8:9], -v[4:5]
	v_fmac_f64_e32 v[12:13], v[66:67], v[8:9]
	ds_load_b128 v[8:11], v2 offset:272
	ds_load_b128 v[64:67], v2 offset:288
	v_fmac_f64_e32 v[72:73], v[70:71], v[36:37]
	v_fma_f64 v[36:37], v[68:69], v[36:37], -v[38:39]
	s_wait_loadcnt_dscnt 0x501
	v_mul_f64_e32 v[74:75], v[8:9], v[42:43]
	v_mul_f64_e32 v[42:43], v[10:11], v[42:43]
	s_wait_loadcnt_dscnt 0x400
	v_mul_f64_e32 v[68:69], v[64:65], v[46:47]
	v_mul_f64_e32 v[46:47], v[66:67], v[46:47]
	v_add_f64_e32 v[4:5], 0, v[4:5]
	v_add_f64_e32 v[12:13], 0, v[12:13]
	v_fmac_f64_e32 v[74:75], v[10:11], v[40:41]
	v_fma_f64 v[40:41], v[8:9], v[40:41], -v[42:43]
	v_fmac_f64_e32 v[68:69], v[66:67], v[44:45]
	v_fma_f64 v[44:45], v[64:65], v[44:45], -v[46:47]
	v_add_f64_e32 v[4:5], v[4:5], v[36:37]
	v_add_f64_e32 v[12:13], v[12:13], v[72:73]
	ds_load_b128 v[8:11], v2 offset:304
	ds_load_b128 v[36:39], v2 offset:320
	s_wait_loadcnt_dscnt 0x301
	v_mul_f64_e32 v[42:43], v[8:9], v[50:51]
	v_mul_f64_e32 v[50:51], v[10:11], v[50:51]
	s_wait_loadcnt_dscnt 0x200
	v_mul_f64_e32 v[46:47], v[38:39], v[54:55]
	v_add_f64_e32 v[4:5], v[4:5], v[40:41]
	v_add_f64_e32 v[12:13], v[12:13], v[74:75]
	v_mul_f64_e32 v[40:41], v[36:37], v[54:55]
	v_fmac_f64_e32 v[42:43], v[10:11], v[48:49]
	v_fma_f64 v[48:49], v[8:9], v[48:49], -v[50:51]
	ds_load_b128 v[8:11], v2 offset:336
	v_fma_f64 v[36:37], v[36:37], v[52:53], -v[46:47]
	v_add_f64_e32 v[4:5], v[4:5], v[44:45]
	v_add_f64_e32 v[12:13], v[12:13], v[68:69]
	v_fmac_f64_e32 v[40:41], v[38:39], v[52:53]
	s_wait_loadcnt_dscnt 0x100
	v_mul_f64_e32 v[44:45], v[8:9], v[58:59]
	v_mul_f64_e32 v[50:51], v[10:11], v[58:59]
	v_add_f64_e32 v[4:5], v[4:5], v[48:49]
	v_add_f64_e32 v[12:13], v[12:13], v[42:43]
	s_delay_alu instid0(VALU_DEP_4) | instskip(NEXT) | instid1(VALU_DEP_4)
	v_fmac_f64_e32 v[44:45], v[10:11], v[56:57]
	v_fma_f64 v[8:9], v[8:9], v[56:57], -v[50:51]
	s_delay_alu instid0(VALU_DEP_4) | instskip(NEXT) | instid1(VALU_DEP_4)
	v_add_f64_e32 v[4:5], v[4:5], v[36:37]
	v_add_f64_e32 v[10:11], v[12:13], v[40:41]
	s_delay_alu instid0(VALU_DEP_2) | instskip(NEXT) | instid1(VALU_DEP_2)
	v_add_f64_e32 v[4:5], v[4:5], v[8:9]
	v_add_f64_e32 v[10:11], v[10:11], v[44:45]
	s_wait_loadcnt 0x0
	s_delay_alu instid0(VALU_DEP_2) | instskip(NEXT) | instid1(VALU_DEP_2)
	v_add_f64_e64 v[8:9], v[60:61], -v[4:5]
	v_add_f64_e64 v[10:11], v[62:63], -v[10:11]
	scratch_store_b128 off, v[8:11], off offset:48
	s_wait_xcnt 0x0
	v_cmpx_lt_u32_e32 2, v1
	s_cbranch_execz .LBB10_75
; %bb.74:
	scratch_load_b128 v[8:11], off, s8
	v_dual_mov_b32 v3, v2 :: v_dual_mov_b32 v4, v2
	v_mov_b32_e32 v5, v2
	scratch_store_b128 off, v[2:5], off offset:32
	s_wait_loadcnt 0x0
	ds_store_b128 v6, v[8:11]
.LBB10_75:
	s_wait_xcnt 0x0
	s_or_b32 exec_lo, exec_lo, s2
	s_wait_storecnt_dscnt 0x0
	s_barrier_signal -1
	s_barrier_wait -1
	s_clause 0x7
	scratch_load_b128 v[8:11], off, off offset:48
	scratch_load_b128 v[36:39], off, off offset:64
	;; [unrolled: 1-line block ×8, first 2 shown]
	ds_load_b128 v[64:67], v2 offset:224
	ds_load_b128 v[68:71], v2 offset:240
	scratch_load_b128 v[72:75], off, off offset:32
	s_mov_b32 s2, exec_lo
	v_ashrrev_i32_e32 v21, 31, v20
	v_ashrrev_i32_e32 v25, 31, v24
	;; [unrolled: 1-line block ×3, first 2 shown]
	v_dual_ashrrev_i32 v33, 31, v32 :: v_dual_ashrrev_i32 v19, 31, v18
	v_ashrrev_i32_e32 v23, 31, v22
	v_ashrrev_i32_e32 v27, 31, v26
	;; [unrolled: 1-line block ×4, first 2 shown]
	s_wait_loadcnt_dscnt 0x801
	v_mul_f64_e32 v[4:5], v[66:67], v[10:11]
	v_mul_f64_e32 v[12:13], v[64:65], v[10:11]
	s_wait_loadcnt_dscnt 0x700
	v_mul_f64_e32 v[76:77], v[68:69], v[38:39]
	v_mul_f64_e32 v[38:39], v[70:71], v[38:39]
	s_delay_alu instid0(VALU_DEP_4) | instskip(NEXT) | instid1(VALU_DEP_4)
	v_fma_f64 v[4:5], v[64:65], v[8:9], -v[4:5]
	v_fmac_f64_e32 v[12:13], v[66:67], v[8:9]
	ds_load_b128 v[8:11], v2 offset:256
	ds_load_b128 v[64:67], v2 offset:272
	v_fmac_f64_e32 v[76:77], v[70:71], v[36:37]
	v_fma_f64 v[36:37], v[68:69], v[36:37], -v[38:39]
	s_wait_loadcnt_dscnt 0x601
	v_mul_f64_e32 v[68:69], v[8:9], v[42:43]
	v_mul_f64_e32 v[38:39], v[10:11], v[42:43]
	s_wait_loadcnt_dscnt 0x500
	v_mul_f64_e32 v[42:43], v[64:65], v[46:47]
	v_mul_f64_e32 v[46:47], v[66:67], v[46:47]
	v_add_f64_e32 v[4:5], 0, v[4:5]
	v_add_f64_e32 v[12:13], 0, v[12:13]
	v_fmac_f64_e32 v[68:69], v[10:11], v[40:41]
	v_fma_f64 v[40:41], v[8:9], v[40:41], -v[38:39]
	v_fmac_f64_e32 v[42:43], v[66:67], v[44:45]
	v_fma_f64 v[44:45], v[64:65], v[44:45], -v[46:47]
	v_add_f64_e32 v[4:5], v[4:5], v[36:37]
	v_add_f64_e32 v[12:13], v[12:13], v[76:77]
	ds_load_b128 v[8:11], v2 offset:288
	ds_load_b128 v[36:39], v2 offset:304
	s_wait_loadcnt_dscnt 0x401
	v_mul_f64_e32 v[70:71], v[8:9], v[50:51]
	v_mul_f64_e32 v[50:51], v[10:11], v[50:51]
	s_wait_loadcnt_dscnt 0x300
	v_mul_f64_e32 v[46:47], v[38:39], v[54:55]
	v_add_f64_e32 v[4:5], v[4:5], v[40:41]
	v_add_f64_e32 v[12:13], v[12:13], v[68:69]
	v_mul_f64_e32 v[40:41], v[36:37], v[54:55]
	v_fmac_f64_e32 v[70:71], v[10:11], v[48:49]
	v_fma_f64 v[48:49], v[8:9], v[48:49], -v[50:51]
	v_fma_f64 v[36:37], v[36:37], v[52:53], -v[46:47]
	v_add_f64_e32 v[44:45], v[4:5], v[44:45]
	v_add_f64_e32 v[12:13], v[12:13], v[42:43]
	ds_load_b128 v[8:11], v2 offset:320
	ds_load_b128 v[2:5], v2 offset:336
	v_fmac_f64_e32 v[40:41], v[38:39], v[52:53]
	s_wait_loadcnt_dscnt 0x201
	v_mul_f64_e32 v[42:43], v[8:9], v[58:59]
	v_mul_f64_e32 v[50:51], v[10:11], v[58:59]
	s_wait_loadcnt_dscnt 0x100
	v_mul_f64_e32 v[46:47], v[4:5], v[62:63]
	v_add_f64_e32 v[38:39], v[44:45], v[48:49]
	v_add_f64_e32 v[12:13], v[12:13], v[70:71]
	v_mul_f64_e32 v[44:45], v[2:3], v[62:63]
	v_fmac_f64_e32 v[42:43], v[10:11], v[56:57]
	v_fma_f64 v[8:9], v[8:9], v[56:57], -v[50:51]
	v_fma_f64 v[2:3], v[2:3], v[60:61], -v[46:47]
	v_add_f64_e32 v[10:11], v[38:39], v[36:37]
	v_add_f64_e32 v[12:13], v[12:13], v[40:41]
	v_fmac_f64_e32 v[44:45], v[4:5], v[60:61]
	s_delay_alu instid0(VALU_DEP_3) | instskip(NEXT) | instid1(VALU_DEP_3)
	v_add_f64_e32 v[4:5], v[10:11], v[8:9]
	v_add_f64_e32 v[8:9], v[12:13], v[42:43]
	s_delay_alu instid0(VALU_DEP_2) | instskip(NEXT) | instid1(VALU_DEP_2)
	v_add_f64_e32 v[2:3], v[4:5], v[2:3]
	v_add_f64_e32 v[4:5], v[8:9], v[44:45]
	s_wait_loadcnt 0x0
	s_delay_alu instid0(VALU_DEP_2) | instskip(NEXT) | instid1(VALU_DEP_2)
	v_add_f64_e64 v[2:3], v[72:73], -v[2:3]
	v_add_f64_e64 v[4:5], v[74:75], -v[4:5]
	scratch_store_b128 off, v[2:5], off offset:32
	s_wait_xcnt 0x0
	v_cmpx_lt_u32_e32 1, v1
	s_cbranch_execz .LBB10_77
; %bb.76:
	scratch_load_b128 v[2:5], off, s10
	v_mov_b32_e32 v8, 0
	s_delay_alu instid0(VALU_DEP_1)
	v_dual_mov_b32 v9, v8 :: v_dual_mov_b32 v10, v8
	v_mov_b32_e32 v11, v8
	scratch_store_b128 off, v[8:11], off offset:16
	s_wait_loadcnt 0x0
	ds_store_b128 v6, v[2:5]
.LBB10_77:
	s_wait_xcnt 0x0
	s_or_b32 exec_lo, exec_lo, s2
	s_wait_storecnt_dscnt 0x0
	s_barrier_signal -1
	s_barrier_wait -1
	s_clause 0x8
	scratch_load_b128 v[8:11], off, off offset:32
	scratch_load_b128 v[36:39], off, off offset:48
	;; [unrolled: 1-line block ×9, first 2 shown]
	v_mov_b32_e32 v2, 0
	scratch_load_b128 v[72:75], off, off offset:16
	s_mov_b32 s2, exec_lo
	ds_load_b128 v[68:71], v2 offset:208
	s_wait_loadcnt_dscnt 0x900
	v_mul_f64_e32 v[4:5], v[70:71], v[10:11]
	v_mul_f64_e32 v[76:77], v[68:69], v[10:11]
	ds_load_b128 v[10:13], v2 offset:224
	v_fma_f64 v[4:5], v[68:69], v[8:9], -v[4:5]
	v_fmac_f64_e32 v[76:77], v[70:71], v[8:9]
	ds_load_b128 v[68:71], v2 offset:240
	s_wait_loadcnt_dscnt 0x801
	v_mul_f64_e32 v[78:79], v[10:11], v[38:39]
	v_mul_f64_e32 v[38:39], v[12:13], v[38:39]
	s_wait_loadcnt_dscnt 0x700
	v_mul_f64_e32 v[80:81], v[68:69], v[42:43]
	v_mul_f64_e32 v[42:43], v[70:71], v[42:43]
	v_add_f64_e32 v[4:5], 0, v[4:5]
	v_fmac_f64_e32 v[78:79], v[12:13], v[36:37]
	v_fma_f64 v[12:13], v[10:11], v[36:37], -v[38:39]
	v_add_f64_e32 v[36:37], 0, v[76:77]
	ds_load_b128 v[8:11], v2 offset:256
	v_fmac_f64_e32 v[80:81], v[70:71], v[40:41]
	v_fma_f64 v[40:41], v[68:69], v[40:41], -v[42:43]
	v_add_f64_e32 v[4:5], v[4:5], v[12:13]
	v_add_f64_e32 v[12:13], v[36:37], v[78:79]
	ds_load_b128 v[36:39], v2 offset:272
	s_wait_loadcnt_dscnt 0x601
	v_mul_f64_e32 v[76:77], v[8:9], v[46:47]
	v_mul_f64_e32 v[46:47], v[10:11], v[46:47]
	s_wait_loadcnt_dscnt 0x500
	v_mul_f64_e32 v[42:43], v[36:37], v[50:51]
	v_mul_f64_e32 v[50:51], v[38:39], v[50:51]
	v_add_f64_e32 v[4:5], v[4:5], v[40:41]
	v_add_f64_e32 v[12:13], v[12:13], v[80:81]
	v_fmac_f64_e32 v[76:77], v[10:11], v[44:45]
	v_fma_f64 v[44:45], v[8:9], v[44:45], -v[46:47]
	ds_load_b128 v[8:11], v2 offset:288
	v_fmac_f64_e32 v[42:43], v[38:39], v[48:49]
	v_fma_f64 v[48:49], v[36:37], v[48:49], -v[50:51]
	ds_load_b128 v[36:39], v2 offset:304
	s_wait_loadcnt_dscnt 0x401
	v_mul_f64_e32 v[40:41], v[8:9], v[54:55]
	v_mul_f64_e32 v[46:47], v[10:11], v[54:55]
	v_add_f64_e32 v[12:13], v[12:13], v[76:77]
	v_add_f64_e32 v[4:5], v[4:5], v[44:45]
	s_wait_loadcnt_dscnt 0x300
	v_mul_f64_e32 v[44:45], v[36:37], v[58:59]
	v_mul_f64_e32 v[50:51], v[38:39], v[58:59]
	v_fmac_f64_e32 v[40:41], v[10:11], v[52:53]
	v_fma_f64 v[46:47], v[8:9], v[52:53], -v[46:47]
	ds_load_b128 v[8:11], v2 offset:320
	v_add_f64_e32 v[12:13], v[12:13], v[42:43]
	v_add_f64_e32 v[4:5], v[4:5], v[48:49]
	v_fmac_f64_e32 v[44:45], v[38:39], v[56:57]
	v_fma_f64 v[50:51], v[36:37], v[56:57], -v[50:51]
	ds_load_b128 v[36:39], v2 offset:336
	s_wait_loadcnt_dscnt 0x201
	v_mul_f64_e32 v[42:43], v[8:9], v[62:63]
	v_mul_f64_e32 v[48:49], v[10:11], v[62:63]
	v_add_f64_e32 v[12:13], v[12:13], v[40:41]
	v_add_f64_e32 v[4:5], v[4:5], v[46:47]
	s_wait_loadcnt_dscnt 0x100
	v_mul_f64_e32 v[40:41], v[36:37], v[66:67]
	v_mul_f64_e32 v[46:47], v[38:39], v[66:67]
	v_fmac_f64_e32 v[42:43], v[10:11], v[60:61]
	v_fma_f64 v[8:9], v[8:9], v[60:61], -v[48:49]
	v_add_f64_e32 v[10:11], v[12:13], v[44:45]
	v_add_f64_e32 v[4:5], v[4:5], v[50:51]
	v_fmac_f64_e32 v[40:41], v[38:39], v[64:65]
	v_fma_f64 v[12:13], v[36:37], v[64:65], -v[46:47]
	s_delay_alu instid0(VALU_DEP_3) | instskip(SKIP_1) | instid1(VALU_DEP_2)
	v_add_f64_e32 v[4:5], v[4:5], v[8:9]
	v_add_f64_e32 v[8:9], v[10:11], v[42:43]
	;; [unrolled: 1-line block ×3, first 2 shown]
	s_delay_alu instid0(VALU_DEP_2) | instskip(SKIP_1) | instid1(VALU_DEP_2)
	v_add_f64_e32 v[10:11], v[8:9], v[40:41]
	s_wait_loadcnt 0x0
	v_add_f64_e64 v[8:9], v[72:73], -v[4:5]
	s_delay_alu instid0(VALU_DEP_2)
	v_add_f64_e64 v[10:11], v[74:75], -v[10:11]
	scratch_store_b128 off, v[8:11], off offset:16
	s_wait_xcnt 0x0
	v_cmpx_ne_u32_e32 0, v1
	s_cbranch_execz .LBB10_79
; %bb.78:
	scratch_load_b128 v[8:11], off, off
	v_dual_mov_b32 v3, v2 :: v_dual_mov_b32 v4, v2
	v_mov_b32_e32 v5, v2
	scratch_store_b128 off, v[2:5], off
	s_wait_loadcnt 0x0
	ds_store_b128 v6, v[8:11]
.LBB10_79:
	s_wait_xcnt 0x0
	s_or_b32 exec_lo, exec_lo, s2
	s_wait_storecnt_dscnt 0x0
	s_barrier_signal -1
	s_barrier_wait -1
	s_clause 0x5
	scratch_load_b128 v[4:7], off, off offset:16
	scratch_load_b128 v[8:11], off, off offset:32
	;; [unrolled: 1-line block ×6, first 2 shown]
	ds_load_b128 v[52:55], v2 offset:192
	ds_load_b128 v[60:63], v2 offset:208
	s_clause 0x1
	scratch_load_b128 v[56:59], off, off offset:112
	scratch_load_b128 v[64:67], off, off
	s_and_b32 vcc_lo, exec_lo, s22
	s_wait_loadcnt_dscnt 0x701
	v_mul_f64_e32 v[68:69], v[54:55], v[6:7]
	v_mul_f64_e32 v[70:71], v[52:53], v[6:7]
	s_wait_loadcnt_dscnt 0x600
	v_mul_f64_e32 v[72:73], v[60:61], v[10:11]
	v_mul_f64_e32 v[74:75], v[62:63], v[10:11]
	scratch_load_b128 v[10:13], off, off offset:128
	v_fma_f64 v[68:69], v[52:53], v[4:5], -v[68:69]
	v_fmac_f64_e32 v[70:71], v[54:55], v[4:5]
	ds_load_b128 v[4:7], v2 offset:224
	ds_load_b128 v[52:55], v2 offset:240
	v_fmac_f64_e32 v[72:73], v[62:63], v[8:9]
	v_fma_f64 v[8:9], v[60:61], v[8:9], -v[74:75]
	scratch_load_b128 v[60:63], off, off offset:144
	s_wait_loadcnt_dscnt 0x701
	v_mul_f64_e32 v[76:77], v[4:5], v[38:39]
	v_mul_f64_e32 v[38:39], v[6:7], v[38:39]
	s_delay_alu instid0(VALU_DEP_2) | instskip(NEXT) | instid1(VALU_DEP_2)
	v_fmac_f64_e32 v[76:77], v[6:7], v[36:37]
	v_fma_f64 v[74:75], v[4:5], v[36:37], -v[38:39]
	scratch_load_b128 v[4:7], off, off offset:160
	v_add_f64_e32 v[36:37], 0, v[68:69]
	v_add_f64_e32 v[38:39], 0, v[70:71]
	s_wait_loadcnt_dscnt 0x700
	v_mul_f64_e32 v[68:69], v[52:53], v[42:43]
	v_mul_f64_e32 v[42:43], v[54:55], v[42:43]
	s_delay_alu instid0(VALU_DEP_4) | instskip(NEXT) | instid1(VALU_DEP_4)
	v_add_f64_e32 v[8:9], v[36:37], v[8:9]
	v_add_f64_e32 v[70:71], v[38:39], v[72:73]
	ds_load_b128 v[36:39], v2 offset:256
	v_fmac_f64_e32 v[68:69], v[54:55], v[40:41]
	v_fma_f64 v[52:53], v[52:53], v[40:41], -v[42:43]
	ds_load_b128 v[40:43], v2 offset:272
	s_wait_loadcnt_dscnt 0x601
	v_mul_f64_e32 v[54:55], v[36:37], v[46:47]
	v_mul_f64_e32 v[46:47], v[38:39], v[46:47]
	s_wait_loadcnt_dscnt 0x500
	v_mul_f64_e32 v[72:73], v[40:41], v[50:51]
	v_mul_f64_e32 v[50:51], v[42:43], v[50:51]
	v_add_f64_e32 v[8:9], v[8:9], v[74:75]
	v_add_f64_e32 v[70:71], v[70:71], v[76:77]
	v_fmac_f64_e32 v[54:55], v[38:39], v[44:45]
	v_fma_f64 v[74:75], v[36:37], v[44:45], -v[46:47]
	ds_load_b128 v[36:39], v2 offset:288
	ds_load_b128 v[44:47], v2 offset:304
	v_fmac_f64_e32 v[72:73], v[42:43], v[48:49]
	v_fma_f64 v[40:41], v[40:41], v[48:49], -v[50:51]
	v_add_f64_e32 v[8:9], v[8:9], v[52:53]
	v_add_f64_e32 v[52:53], v[70:71], v[68:69]
	s_wait_loadcnt_dscnt 0x401
	v_mul_f64_e32 v[68:69], v[36:37], v[58:59]
	v_mul_f64_e32 v[58:59], v[38:39], v[58:59]
	s_delay_alu instid0(VALU_DEP_4) | instskip(NEXT) | instid1(VALU_DEP_4)
	v_add_f64_e32 v[8:9], v[8:9], v[74:75]
	v_add_f64_e32 v[42:43], v[52:53], v[54:55]
	s_delay_alu instid0(VALU_DEP_4) | instskip(NEXT) | instid1(VALU_DEP_4)
	v_fmac_f64_e32 v[68:69], v[38:39], v[56:57]
	v_fma_f64 v[50:51], v[36:37], v[56:57], -v[58:59]
	s_delay_alu instid0(VALU_DEP_4) | instskip(NEXT) | instid1(VALU_DEP_4)
	v_add_f64_e32 v[8:9], v[8:9], v[40:41]
	v_add_f64_e32 v[52:53], v[42:43], v[72:73]
	ds_load_b128 v[36:39], v2 offset:320
	ds_load_b128 v[40:43], v2 offset:336
	v_add_f64_e32 v[8:9], v[8:9], v[50:51]
	s_wait_loadcnt_dscnt 0x202
	v_mul_f64_e32 v[48:49], v[44:45], v[12:13]
	v_mul_f64_e32 v[12:13], v[46:47], v[12:13]
	s_delay_alu instid0(VALU_DEP_2) | instskip(SKIP_3) | instid1(VALU_DEP_4)
	v_fmac_f64_e32 v[48:49], v[46:47], v[10:11]
	s_wait_loadcnt_dscnt 0x101
	v_mul_f64_e32 v[2:3], v[36:37], v[62:63]
	v_mul_f64_e32 v[54:55], v[38:39], v[62:63]
	v_fma_f64 v[10:11], v[44:45], v[10:11], -v[12:13]
	v_add_f64_e32 v[12:13], v[52:53], v[68:69]
	s_delay_alu instid0(VALU_DEP_4) | instskip(NEXT) | instid1(VALU_DEP_4)
	v_fmac_f64_e32 v[2:3], v[38:39], v[60:61]
	v_fma_f64 v[36:37], v[36:37], v[60:61], -v[54:55]
	s_delay_alu instid0(VALU_DEP_4) | instskip(NEXT) | instid1(VALU_DEP_4)
	v_add_f64_e32 v[8:9], v[8:9], v[10:11]
	v_add_f64_e32 v[10:11], v[12:13], v[48:49]
	v_lshl_add_u64 v[12:13], v[28:29], 4, s[4:5]
	s_wait_loadcnt_dscnt 0x0
	v_mul_f64_e32 v[44:45], v[40:41], v[6:7]
	v_mul_f64_e32 v[6:7], v[42:43], v[6:7]
	s_delay_alu instid0(VALU_DEP_4) | instskip(SKIP_1) | instid1(VALU_DEP_4)
	v_add_f64_e32 v[2:3], v[10:11], v[2:3]
	v_lshl_add_u64 v[10:11], v[26:27], 4, s[4:5]
	v_fmac_f64_e32 v[44:45], v[42:43], v[4:5]
	s_delay_alu instid0(VALU_DEP_4) | instskip(SKIP_2) | instid1(VALU_DEP_4)
	v_fma_f64 v[4:5], v[40:41], v[4:5], -v[6:7]
	v_add_f64_e32 v[6:7], v[8:9], v[36:37]
	v_lshl_add_u64 v[8:9], v[24:25], 4, s[4:5]
	v_add_f64_e32 v[2:3], v[2:3], v[44:45]
	s_delay_alu instid0(VALU_DEP_3) | instskip(SKIP_2) | instid1(VALU_DEP_4)
	v_add_f64_e32 v[4:5], v[6:7], v[4:5]
	v_lshl_add_u64 v[6:7], v[22:23], 4, s[4:5]
	v_lshl_add_u64 v[22:23], v[34:35], 4, s[4:5]
	v_add_f64_e64 v[38:39], v[66:67], -v[2:3]
	v_lshl_add_u64 v[2:3], v[18:19], 4, s[4:5]
	v_add_f64_e64 v[36:37], v[64:65], -v[4:5]
	v_lshl_add_u64 v[4:5], v[20:21], 4, s[4:5]
	v_lshl_add_u64 v[18:19], v[30:31], 4, s[4:5]
	;; [unrolled: 1-line block ×3, first 2 shown]
	scratch_store_b128 off, v[36:39], off
	s_cbranch_vccz .LBB10_100
; %bb.80:
	v_mov_b32_e32 v24, 0
	s_load_b64 s[2:3], s[0:1], 0x4
	v_bfe_u32 v26, v0, 10, 10
	v_bfe_u32 v0, v0, 20, 10
	global_load_b32 v25, v24, s[16:17] offset:36
	s_wait_kmcnt 0x0
	s_lshr_b32 s0, s2, 16
	v_mul_u32_u24_e32 v26, s3, v26
	s_mul_i32 s0, s0, s3
	s_delay_alu instid0(SALU_CYCLE_1) | instskip(NEXT) | instid1(VALU_DEP_1)
	v_mul_u32_u24_e32 v1, s0, v1
	v_add3_u32 v0, v1, v26, v0
	s_delay_alu instid0(VALU_DEP_1)
	v_lshl_add_u32 v0, v0, 4, 0x168
	s_wait_loadcnt 0x0
	v_cmp_ne_u32_e32 vcc_lo, 10, v25
	s_cbranch_vccz .LBB10_82
; %bb.81:
	v_lshlrev_b32_e32 v1, 4, v25
	s_clause 0x1
	scratch_load_b128 v[26:29], off, s20
	scratch_load_b128 v[30:33], v1, off offset:-16
	s_wait_loadcnt 0x1
	ds_store_2addr_b64 v0, v[26:27], v[28:29] offset1:1
	s_wait_loadcnt 0x0
	s_clause 0x1
	scratch_store_b128 off, v[30:33], s20
	scratch_store_b128 v1, v[26:29], off offset:-16
.LBB10_82:
	global_load_b32 v1, v24, s[16:17] offset:32
	s_wait_loadcnt 0x0
	v_cmp_eq_u32_e32 vcc_lo, 9, v1
	s_cbranch_vccnz .LBB10_84
; %bb.83:
	v_lshlrev_b32_e32 v1, 4, v1
	s_clause 0x1
	scratch_load_b128 v[24:27], off, s13
	scratch_load_b128 v[28:31], v1, off offset:-16
	s_wait_loadcnt 0x1
	ds_store_2addr_b64 v0, v[24:25], v[26:27] offset1:1
	s_wait_loadcnt 0x0
	s_clause 0x1
	scratch_store_b128 off, v[28:31], s13
	scratch_store_b128 v1, v[24:27], off offset:-16
.LBB10_84:
	s_wait_xcnt 0x0
	v_mov_b32_e32 v1, 0
	global_load_b32 v24, v1, s[16:17] offset:28
	s_wait_loadcnt 0x0
	v_cmp_eq_u32_e32 vcc_lo, 8, v24
	s_cbranch_vccnz .LBB10_86
; %bb.85:
	v_lshlrev_b32_e32 v24, 4, v24
	s_delay_alu instid0(VALU_DEP_1)
	v_mov_b32_e32 v32, v24
	s_clause 0x1
	scratch_load_b128 v[24:27], off, s15
	scratch_load_b128 v[28:31], v32, off offset:-16
	s_wait_loadcnt 0x1
	ds_store_2addr_b64 v0, v[24:25], v[26:27] offset1:1
	s_wait_loadcnt 0x0
	s_clause 0x1
	scratch_store_b128 off, v[28:31], s15
	scratch_store_b128 v32, v[24:27], off offset:-16
.LBB10_86:
	global_load_b32 v1, v1, s[16:17] offset:24
	s_wait_loadcnt 0x0
	v_cmp_eq_u32_e32 vcc_lo, 7, v1
	s_cbranch_vccnz .LBB10_88
; %bb.87:
	s_wait_xcnt 0x0
	v_lshlrev_b32_e32 v1, 4, v1
	s_clause 0x1
	scratch_load_b128 v[24:27], off, s14
	scratch_load_b128 v[28:31], v1, off offset:-16
	s_wait_loadcnt 0x1
	ds_store_2addr_b64 v0, v[24:25], v[26:27] offset1:1
	s_wait_loadcnt 0x0
	s_clause 0x1
	scratch_store_b128 off, v[28:31], s14
	scratch_store_b128 v1, v[24:27], off offset:-16
.LBB10_88:
	s_wait_xcnt 0x0
	v_mov_b32_e32 v1, 0
	global_load_b32 v24, v1, s[16:17] offset:20
	s_wait_loadcnt 0x0
	v_cmp_eq_u32_e32 vcc_lo, 6, v24
	s_cbranch_vccnz .LBB10_90
; %bb.89:
	v_lshlrev_b32_e32 v24, 4, v24
	s_delay_alu instid0(VALU_DEP_1)
	v_mov_b32_e32 v32, v24
	s_clause 0x1
	scratch_load_b128 v[24:27], off, s12
	scratch_load_b128 v[28:31], v32, off offset:-16
	s_wait_loadcnt 0x1
	ds_store_2addr_b64 v0, v[24:25], v[26:27] offset1:1
	s_wait_loadcnt 0x0
	s_clause 0x1
	scratch_store_b128 off, v[28:31], s12
	scratch_store_b128 v32, v[24:27], off offset:-16
.LBB10_90:
	global_load_b32 v1, v1, s[16:17] offset:16
	s_wait_loadcnt 0x0
	v_cmp_eq_u32_e32 vcc_lo, 5, v1
	s_cbranch_vccnz .LBB10_92
; %bb.91:
	s_wait_xcnt 0x0
	v_lshlrev_b32_e32 v1, 4, v1
	s_clause 0x1
	scratch_load_b128 v[24:27], off, s11
	scratch_load_b128 v[28:31], v1, off offset:-16
	s_wait_loadcnt 0x1
	ds_store_2addr_b64 v0, v[24:25], v[26:27] offset1:1
	s_wait_loadcnt 0x0
	s_clause 0x1
	scratch_store_b128 off, v[28:31], s11
	scratch_store_b128 v1, v[24:27], off offset:-16
.LBB10_92:
	;; [unrolled: 37-line block ×3, first 2 shown]
	s_wait_xcnt 0x0
	v_mov_b32_e32 v1, 0
	global_load_b32 v24, v1, s[16:17] offset:4
	s_wait_loadcnt 0x0
	v_cmp_eq_u32_e32 vcc_lo, 2, v24
	s_cbranch_vccnz .LBB10_98
; %bb.97:
	v_lshlrev_b32_e32 v24, 4, v24
	s_delay_alu instid0(VALU_DEP_1)
	v_mov_b32_e32 v32, v24
	s_clause 0x1
	scratch_load_b128 v[24:27], off, s10
	scratch_load_b128 v[28:31], v32, off offset:-16
	s_wait_loadcnt 0x1
	ds_store_2addr_b64 v0, v[24:25], v[26:27] offset1:1
	s_wait_loadcnt 0x0
	s_clause 0x1
	scratch_store_b128 off, v[28:31], s10
	scratch_store_b128 v32, v[24:27], off offset:-16
.LBB10_98:
	global_load_b32 v1, v1, s[16:17]
	s_wait_loadcnt 0x0
	v_cmp_eq_u32_e32 vcc_lo, 1, v1
	s_cbranch_vccnz .LBB10_100
; %bb.99:
	s_wait_xcnt 0x0
	v_lshlrev_b32_e32 v1, 4, v1
	scratch_load_b128 v[24:27], off, off
	scratch_load_b128 v[28:31], v1, off offset:-16
	s_wait_loadcnt 0x1
	ds_store_2addr_b64 v0, v[24:25], v[26:27] offset1:1
	s_wait_loadcnt 0x0
	scratch_store_b128 off, v[28:31], off
	scratch_store_b128 v1, v[24:27], off offset:-16
.LBB10_100:
	scratch_load_b128 v[24:27], off, off
	s_clause 0x9
	scratch_load_b128 v[28:31], off, s10
	scratch_load_b128 v[32:35], off, s8
	;; [unrolled: 1-line block ×10, first 2 shown]
	s_wait_loadcnt 0xa
	global_store_b128 v[14:15], v[24:27], off
	s_wait_loadcnt 0x9
	global_store_b128 v[16:17], v[28:31], off
	;; [unrolled: 2-line block ×11, first 2 shown]
	s_sendmsg sendmsg(MSG_DEALLOC_VGPRS)
	s_endpgm
	.section	.rodata,"a",@progbits
	.p2align	6, 0x0
	.amdhsa_kernel _ZN9rocsolver6v33100L18getri_kernel_smallILi11E19rocblas_complex_numIdEPS3_EEvT1_iilPiilS6_bb
		.amdhsa_group_segment_fixed_size 1384
		.amdhsa_private_segment_fixed_size 192
		.amdhsa_kernarg_size 60
		.amdhsa_user_sgpr_count 4
		.amdhsa_user_sgpr_dispatch_ptr 1
		.amdhsa_user_sgpr_queue_ptr 0
		.amdhsa_user_sgpr_kernarg_segment_ptr 1
		.amdhsa_user_sgpr_dispatch_id 0
		.amdhsa_user_sgpr_kernarg_preload_length 0
		.amdhsa_user_sgpr_kernarg_preload_offset 0
		.amdhsa_user_sgpr_private_segment_size 0
		.amdhsa_wavefront_size32 1
		.amdhsa_uses_dynamic_stack 0
		.amdhsa_enable_private_segment 1
		.amdhsa_system_sgpr_workgroup_id_x 1
		.amdhsa_system_sgpr_workgroup_id_y 0
		.amdhsa_system_sgpr_workgroup_id_z 0
		.amdhsa_system_sgpr_workgroup_info 0
		.amdhsa_system_vgpr_workitem_id 2
		.amdhsa_next_free_vgpr 82
		.amdhsa_next_free_sgpr 26
		.amdhsa_named_barrier_count 0
		.amdhsa_reserve_vcc 1
		.amdhsa_float_round_mode_32 0
		.amdhsa_float_round_mode_16_64 0
		.amdhsa_float_denorm_mode_32 3
		.amdhsa_float_denorm_mode_16_64 3
		.amdhsa_fp16_overflow 0
		.amdhsa_memory_ordered 1
		.amdhsa_forward_progress 1
		.amdhsa_inst_pref_size 80
		.amdhsa_round_robin_scheduling 0
		.amdhsa_exception_fp_ieee_invalid_op 0
		.amdhsa_exception_fp_denorm_src 0
		.amdhsa_exception_fp_ieee_div_zero 0
		.amdhsa_exception_fp_ieee_overflow 0
		.amdhsa_exception_fp_ieee_underflow 0
		.amdhsa_exception_fp_ieee_inexact 0
		.amdhsa_exception_int_div_zero 0
	.end_amdhsa_kernel
	.section	.text._ZN9rocsolver6v33100L18getri_kernel_smallILi11E19rocblas_complex_numIdEPS3_EEvT1_iilPiilS6_bb,"axG",@progbits,_ZN9rocsolver6v33100L18getri_kernel_smallILi11E19rocblas_complex_numIdEPS3_EEvT1_iilPiilS6_bb,comdat
.Lfunc_end10:
	.size	_ZN9rocsolver6v33100L18getri_kernel_smallILi11E19rocblas_complex_numIdEPS3_EEvT1_iilPiilS6_bb, .Lfunc_end10-_ZN9rocsolver6v33100L18getri_kernel_smallILi11E19rocblas_complex_numIdEPS3_EEvT1_iilPiilS6_bb
                                        ; -- End function
	.set _ZN9rocsolver6v33100L18getri_kernel_smallILi11E19rocblas_complex_numIdEPS3_EEvT1_iilPiilS6_bb.num_vgpr, 82
	.set _ZN9rocsolver6v33100L18getri_kernel_smallILi11E19rocblas_complex_numIdEPS3_EEvT1_iilPiilS6_bb.num_agpr, 0
	.set _ZN9rocsolver6v33100L18getri_kernel_smallILi11E19rocblas_complex_numIdEPS3_EEvT1_iilPiilS6_bb.numbered_sgpr, 26
	.set _ZN9rocsolver6v33100L18getri_kernel_smallILi11E19rocblas_complex_numIdEPS3_EEvT1_iilPiilS6_bb.num_named_barrier, 0
	.set _ZN9rocsolver6v33100L18getri_kernel_smallILi11E19rocblas_complex_numIdEPS3_EEvT1_iilPiilS6_bb.private_seg_size, 192
	.set _ZN9rocsolver6v33100L18getri_kernel_smallILi11E19rocblas_complex_numIdEPS3_EEvT1_iilPiilS6_bb.uses_vcc, 1
	.set _ZN9rocsolver6v33100L18getri_kernel_smallILi11E19rocblas_complex_numIdEPS3_EEvT1_iilPiilS6_bb.uses_flat_scratch, 1
	.set _ZN9rocsolver6v33100L18getri_kernel_smallILi11E19rocblas_complex_numIdEPS3_EEvT1_iilPiilS6_bb.has_dyn_sized_stack, 0
	.set _ZN9rocsolver6v33100L18getri_kernel_smallILi11E19rocblas_complex_numIdEPS3_EEvT1_iilPiilS6_bb.has_recursion, 0
	.set _ZN9rocsolver6v33100L18getri_kernel_smallILi11E19rocblas_complex_numIdEPS3_EEvT1_iilPiilS6_bb.has_indirect_call, 0
	.section	.AMDGPU.csdata,"",@progbits
; Kernel info:
; codeLenInByte = 10172
; TotalNumSgprs: 28
; NumVgprs: 82
; ScratchSize: 192
; MemoryBound: 0
; FloatMode: 240
; IeeeMode: 1
; LDSByteSize: 1384 bytes/workgroup (compile time only)
; SGPRBlocks: 0
; VGPRBlocks: 5
; NumSGPRsForWavesPerEU: 28
; NumVGPRsForWavesPerEU: 82
; NamedBarCnt: 0
; Occupancy: 10
; WaveLimiterHint : 1
; COMPUTE_PGM_RSRC2:SCRATCH_EN: 1
; COMPUTE_PGM_RSRC2:USER_SGPR: 4
; COMPUTE_PGM_RSRC2:TRAP_HANDLER: 0
; COMPUTE_PGM_RSRC2:TGID_X_EN: 1
; COMPUTE_PGM_RSRC2:TGID_Y_EN: 0
; COMPUTE_PGM_RSRC2:TGID_Z_EN: 0
; COMPUTE_PGM_RSRC2:TIDIG_COMP_CNT: 2
	.section	.text._ZN9rocsolver6v33100L18getri_kernel_smallILi12E19rocblas_complex_numIdEPS3_EEvT1_iilPiilS6_bb,"axG",@progbits,_ZN9rocsolver6v33100L18getri_kernel_smallILi12E19rocblas_complex_numIdEPS3_EEvT1_iilPiilS6_bb,comdat
	.globl	_ZN9rocsolver6v33100L18getri_kernel_smallILi12E19rocblas_complex_numIdEPS3_EEvT1_iilPiilS6_bb ; -- Begin function _ZN9rocsolver6v33100L18getri_kernel_smallILi12E19rocblas_complex_numIdEPS3_EEvT1_iilPiilS6_bb
	.p2align	8
	.type	_ZN9rocsolver6v33100L18getri_kernel_smallILi12E19rocblas_complex_numIdEPS3_EEvT1_iilPiilS6_bb,@function
_ZN9rocsolver6v33100L18getri_kernel_smallILi12E19rocblas_complex_numIdEPS3_EEvT1_iilPiilS6_bb: ; @_ZN9rocsolver6v33100L18getri_kernel_smallILi12E19rocblas_complex_numIdEPS3_EEvT1_iilPiilS6_bb
; %bb.0:
	v_and_b32_e32 v1, 0x3ff, v0
	s_mov_b32 s4, exec_lo
	s_delay_alu instid0(VALU_DEP_1)
	v_cmpx_gt_u32_e32 12, v1
	s_cbranch_execz .LBB11_62
; %bb.1:
	s_clause 0x2
	s_load_b32 s8, s[2:3], 0x38
	s_load_b128 s[12:15], s[2:3], 0x10
	s_load_b128 s[4:7], s[2:3], 0x28
	s_getreg_b32 s11, hwreg(HW_REG_IB_STS2, 6, 4)
                                        ; implicit-def: $sgpr16_sgpr17
	s_wait_kmcnt 0x0
	s_bitcmp1_b32 s8, 8
	s_cselect_b32 s23, -1, 0
	s_bfe_u32 s9, ttmp6, 0x4000c
	s_and_b32 s10, ttmp6, 15
	s_add_co_i32 s9, s9, 1
	s_delay_alu instid0(SALU_CYCLE_1) | instskip(NEXT) | instid1(SALU_CYCLE_1)
	s_mul_i32 s9, ttmp9, s9
	s_add_co_i32 s10, s10, s9
	s_cmp_eq_u32 s11, 0
	s_cselect_b32 s18, ttmp9, s10
	s_bfe_u32 s8, s8, 0x10008
	s_ashr_i32 s19, s18, 31
	s_cmp_eq_u32 s8, 0
	s_cbranch_scc1 .LBB11_3
; %bb.2:
	s_load_b32 s8, s[2:3], 0x20
	s_mul_u64 s[4:5], s[4:5], s[18:19]
	s_delay_alu instid0(SALU_CYCLE_1) | instskip(NEXT) | instid1(SALU_CYCLE_1)
	s_lshl_b64 s[4:5], s[4:5], 2
	s_add_nc_u64 s[4:5], s[14:15], s[4:5]
	s_wait_kmcnt 0x0
	s_ashr_i32 s9, s8, 31
	s_delay_alu instid0(SALU_CYCLE_1) | instskip(NEXT) | instid1(SALU_CYCLE_1)
	s_lshl_b64 s[8:9], s[8:9], 2
	s_add_nc_u64 s[16:17], s[4:5], s[8:9]
.LBB11_3:
	s_clause 0x1
	s_load_b128 s[8:11], s[2:3], 0x0
	s_load_b32 s24, s[2:3], 0x38
	s_wait_xcnt 0x0
	s_mul_u64 s[2:3], s[12:13], s[18:19]
	v_dual_mov_b32 v39, 0 :: v_dual_lshlrev_b32 v38, 4, v1
	s_lshl_b64 s[2:3], s[2:3], 4
	s_movk_i32 s12, 0x50
	s_movk_i32 s14, 0x60
	;; [unrolled: 1-line block ×7, first 2 shown]
	s_wait_kmcnt 0x0
	v_add3_u32 v18, s11, s11, v1
	s_ashr_i32 s5, s10, 31
	s_mov_b32 s4, s10
	s_add_nc_u64 s[2:3], s[8:9], s[2:3]
	s_lshl_b64 s[4:5], s[4:5], 4
	v_add_nc_u32_e32 v20, s11, v18
	s_add_nc_u64 s[4:5], s[2:3], s[4:5]
	s_ashr_i32 s3, s11, 31
	v_add_nc_u64_e32 v[14:15], s[4:5], v[38:39]
	s_mov_b32 s2, s11
	v_add_nc_u32_e32 v22, s11, v20
	s_mov_b32 s8, 32
	s_mov_b32 s9, 48
	;; [unrolled: 1-line block ×3, first 2 shown]
	s_bitcmp0_b32 s24, 0
	v_add_nc_u32_e32 v24, s11, v22
	v_lshl_add_u64 v[16:17], s[2:3], 4, v[14:15]
	s_mov_b32 s3, -1
	s_delay_alu instid0(VALU_DEP_2)
	v_add_nc_u32_e32 v26, s11, v24
	s_clause 0x3
	global_load_b128 v[2:5], v18, s[4:5] scale_offset
	global_load_b128 v[6:9], v20, s[4:5] scale_offset
	;; [unrolled: 1-line block ×3, first 2 shown]
	global_load_b128 v[40:43], v[16:17], off
	v_add_nc_u32_e32 v28, s11, v26
	s_delay_alu instid0(VALU_DEP_1)
	v_add_nc_u32_e32 v30, s11, v28
	s_clause 0x3
	global_load_b128 v[44:47], v22, s[4:5] scale_offset
	global_load_b128 v[48:51], v24, s[4:5] scale_offset
	;; [unrolled: 1-line block ×4, first 2 shown]
	v_add_nc_u32_e32 v32, s11, v30
	s_clause 0x1
	global_load_b128 v[60:63], v30, s[4:5] scale_offset
	global_load_b128 v[64:67], v32, s[4:5] scale_offset
	v_add_nc_u32_e32 v34, s11, v32
	s_delay_alu instid0(VALU_DEP_1)
	v_add_nc_u32_e32 v36, s11, v34
	s_mov_b32 s11, 16
	s_clause 0x1
	global_load_b128 v[68:71], v34, s[4:5] scale_offset
	global_load_b128 v[72:75], v36, s[4:5] scale_offset
	s_wait_loadcnt 0xb
	scratch_store_b128 off, v[2:5], off offset:32
	s_wait_loadcnt 0xa
	scratch_store_b128 off, v[6:9], off offset:48
	s_wait_loadcnt 0x9
	scratch_store_b128 off, v[10:13], off
	s_wait_loadcnt 0x8
	scratch_store_b128 off, v[40:43], off offset:16
	s_wait_loadcnt 0x7
	scratch_store_b128 off, v[44:47], off offset:64
	;; [unrolled: 2-line block ×9, first 2 shown]
	s_cbranch_scc1 .LBB11_60
; %bb.4:
	v_cmp_eq_u32_e64 s2, 0, v1
	s_wait_xcnt 0x0
	s_and_saveexec_b32 s3, s2
; %bb.5:
	v_mov_b32_e32 v2, 0
	ds_store_b32 v2, v2 offset:384
; %bb.6:
	s_or_b32 exec_lo, exec_lo, s3
	s_wait_storecnt_dscnt 0x0
	s_barrier_signal -1
	s_barrier_wait -1
	scratch_load_b128 v[2:5], v1, off scale_offset
	s_wait_loadcnt 0x0
	v_cmp_eq_f64_e32 vcc_lo, 0, v[2:3]
	v_cmp_eq_f64_e64 s3, 0, v[4:5]
	s_and_b32 s3, vcc_lo, s3
	s_delay_alu instid0(SALU_CYCLE_1)
	s_and_saveexec_b32 s24, s3
	s_cbranch_execz .LBB11_10
; %bb.7:
	v_mov_b32_e32 v2, 0
	s_mov_b32 s25, 0
	ds_load_b32 v3, v2 offset:384
	s_wait_dscnt 0x0
	v_readfirstlane_b32 s3, v3
	v_add_nc_u32_e32 v3, 1, v1
	s_cmp_eq_u32 s3, 0
	s_delay_alu instid0(VALU_DEP_1) | instskip(SKIP_1) | instid1(SALU_CYCLE_1)
	v_cmp_gt_i32_e32 vcc_lo, s3, v3
	s_cselect_b32 s26, -1, 0
	s_or_b32 s26, s26, vcc_lo
	s_delay_alu instid0(SALU_CYCLE_1)
	s_and_b32 exec_lo, exec_lo, s26
	s_cbranch_execz .LBB11_10
; %bb.8:
	v_mov_b32_e32 v4, s3
.LBB11_9:                               ; =>This Inner Loop Header: Depth=1
	ds_cmpstore_rtn_b32 v4, v2, v3, v4 offset:384
	s_wait_dscnt 0x0
	v_cmp_ne_u32_e32 vcc_lo, 0, v4
	v_cmp_le_i32_e64 s3, v4, v3
	s_and_b32 s3, vcc_lo, s3
	s_delay_alu instid0(SALU_CYCLE_1) | instskip(NEXT) | instid1(SALU_CYCLE_1)
	s_and_b32 s3, exec_lo, s3
	s_or_b32 s25, s3, s25
	s_delay_alu instid0(SALU_CYCLE_1)
	s_and_not1_b32 exec_lo, exec_lo, s25
	s_cbranch_execnz .LBB11_9
.LBB11_10:
	s_or_b32 exec_lo, exec_lo, s24
	v_mov_b32_e32 v2, 0
	s_barrier_signal -1
	s_barrier_wait -1
	ds_load_b32 v3, v2 offset:384
	s_and_saveexec_b32 s3, s2
	s_cbranch_execz .LBB11_12
; %bb.11:
	s_lshl_b64 s[24:25], s[18:19], 2
	s_delay_alu instid0(SALU_CYCLE_1)
	s_add_nc_u64 s[24:25], s[6:7], s[24:25]
	s_wait_dscnt 0x0
	global_store_b32 v2, v3, s[24:25]
.LBB11_12:
	s_wait_xcnt 0x0
	s_or_b32 exec_lo, exec_lo, s3
	s_wait_dscnt 0x0
	v_cmp_ne_u32_e32 vcc_lo, 0, v3
	s_mov_b32 s3, 0
	s_cbranch_vccnz .LBB11_60
; %bb.13:
	v_lshl_add_u32 v19, v1, 4, 0
                                        ; implicit-def: $vgpr6_vgpr7
                                        ; implicit-def: $vgpr10_vgpr11
	scratch_load_b128 v[2:5], v19, off
	s_wait_loadcnt 0x0
	v_cmp_ngt_f64_e64 s3, |v[2:3]|, |v[4:5]|
	s_wait_xcnt 0x0
	s_and_saveexec_b32 s24, s3
	s_delay_alu instid0(SALU_CYCLE_1)
	s_xor_b32 s3, exec_lo, s24
	s_cbranch_execz .LBB11_15
; %bb.14:
	v_div_scale_f64 v[6:7], null, v[4:5], v[4:5], v[2:3]
	v_div_scale_f64 v[12:13], vcc_lo, v[2:3], v[4:5], v[2:3]
	s_delay_alu instid0(VALU_DEP_2) | instskip(SKIP_1) | instid1(TRANS32_DEP_1)
	v_rcp_f64_e32 v[8:9], v[6:7]
	v_nop
	v_fma_f64 v[10:11], -v[6:7], v[8:9], 1.0
	s_delay_alu instid0(VALU_DEP_1) | instskip(NEXT) | instid1(VALU_DEP_1)
	v_fmac_f64_e32 v[8:9], v[8:9], v[10:11]
	v_fma_f64 v[10:11], -v[6:7], v[8:9], 1.0
	s_delay_alu instid0(VALU_DEP_1) | instskip(NEXT) | instid1(VALU_DEP_1)
	v_fmac_f64_e32 v[8:9], v[8:9], v[10:11]
	v_mul_f64_e32 v[10:11], v[12:13], v[8:9]
	s_delay_alu instid0(VALU_DEP_1) | instskip(NEXT) | instid1(VALU_DEP_1)
	v_fma_f64 v[6:7], -v[6:7], v[10:11], v[12:13]
	v_div_fmas_f64 v[6:7], v[6:7], v[8:9], v[10:11]
	s_delay_alu instid0(VALU_DEP_1) | instskip(NEXT) | instid1(VALU_DEP_1)
	v_div_fixup_f64 v[6:7], v[6:7], v[4:5], v[2:3]
	v_fmac_f64_e32 v[4:5], v[2:3], v[6:7]
	s_delay_alu instid0(VALU_DEP_1) | instskip(SKIP_1) | instid1(VALU_DEP_2)
	v_div_scale_f64 v[2:3], null, v[4:5], v[4:5], 1.0
	v_div_scale_f64 v[12:13], vcc_lo, 1.0, v[4:5], 1.0
	v_rcp_f64_e32 v[8:9], v[2:3]
	v_nop
	s_delay_alu instid0(TRANS32_DEP_1) | instskip(NEXT) | instid1(VALU_DEP_1)
	v_fma_f64 v[10:11], -v[2:3], v[8:9], 1.0
	v_fmac_f64_e32 v[8:9], v[8:9], v[10:11]
	s_delay_alu instid0(VALU_DEP_1) | instskip(NEXT) | instid1(VALU_DEP_1)
	v_fma_f64 v[10:11], -v[2:3], v[8:9], 1.0
	v_fmac_f64_e32 v[8:9], v[8:9], v[10:11]
	s_delay_alu instid0(VALU_DEP_1) | instskip(NEXT) | instid1(VALU_DEP_1)
	v_mul_f64_e32 v[10:11], v[12:13], v[8:9]
	v_fma_f64 v[2:3], -v[2:3], v[10:11], v[12:13]
	s_delay_alu instid0(VALU_DEP_1) | instskip(NEXT) | instid1(VALU_DEP_1)
	v_div_fmas_f64 v[2:3], v[2:3], v[8:9], v[10:11]
	v_div_fixup_f64 v[8:9], v[2:3], v[4:5], 1.0
                                        ; implicit-def: $vgpr2_vgpr3
	s_delay_alu instid0(VALU_DEP_1) | instskip(SKIP_1) | instid1(VALU_DEP_2)
	v_mul_f64_e32 v[6:7], v[6:7], v[8:9]
	v_xor_b32_e32 v9, 0x80000000, v9
	v_xor_b32_e32 v11, 0x80000000, v7
	s_delay_alu instid0(VALU_DEP_3)
	v_mov_b32_e32 v10, v6
.LBB11_15:
	s_and_not1_saveexec_b32 s3, s3
	s_cbranch_execz .LBB11_17
; %bb.16:
	v_div_scale_f64 v[6:7], null, v[2:3], v[2:3], v[4:5]
	v_div_scale_f64 v[12:13], vcc_lo, v[4:5], v[2:3], v[4:5]
	s_delay_alu instid0(VALU_DEP_2) | instskip(SKIP_1) | instid1(TRANS32_DEP_1)
	v_rcp_f64_e32 v[8:9], v[6:7]
	v_nop
	v_fma_f64 v[10:11], -v[6:7], v[8:9], 1.0
	s_delay_alu instid0(VALU_DEP_1) | instskip(NEXT) | instid1(VALU_DEP_1)
	v_fmac_f64_e32 v[8:9], v[8:9], v[10:11]
	v_fma_f64 v[10:11], -v[6:7], v[8:9], 1.0
	s_delay_alu instid0(VALU_DEP_1) | instskip(NEXT) | instid1(VALU_DEP_1)
	v_fmac_f64_e32 v[8:9], v[8:9], v[10:11]
	v_mul_f64_e32 v[10:11], v[12:13], v[8:9]
	s_delay_alu instid0(VALU_DEP_1) | instskip(NEXT) | instid1(VALU_DEP_1)
	v_fma_f64 v[6:7], -v[6:7], v[10:11], v[12:13]
	v_div_fmas_f64 v[6:7], v[6:7], v[8:9], v[10:11]
	s_delay_alu instid0(VALU_DEP_1) | instskip(NEXT) | instid1(VALU_DEP_1)
	v_div_fixup_f64 v[8:9], v[6:7], v[2:3], v[4:5]
	v_fmac_f64_e32 v[2:3], v[4:5], v[8:9]
	s_delay_alu instid0(VALU_DEP_1) | instskip(NEXT) | instid1(VALU_DEP_1)
	v_div_scale_f64 v[4:5], null, v[2:3], v[2:3], 1.0
	v_rcp_f64_e32 v[6:7], v[4:5]
	v_nop
	s_delay_alu instid0(TRANS32_DEP_1) | instskip(NEXT) | instid1(VALU_DEP_1)
	v_fma_f64 v[10:11], -v[4:5], v[6:7], 1.0
	v_fmac_f64_e32 v[6:7], v[6:7], v[10:11]
	s_delay_alu instid0(VALU_DEP_1) | instskip(NEXT) | instid1(VALU_DEP_1)
	v_fma_f64 v[10:11], -v[4:5], v[6:7], 1.0
	v_fmac_f64_e32 v[6:7], v[6:7], v[10:11]
	v_div_scale_f64 v[10:11], vcc_lo, 1.0, v[2:3], 1.0
	s_delay_alu instid0(VALU_DEP_1) | instskip(NEXT) | instid1(VALU_DEP_1)
	v_mul_f64_e32 v[12:13], v[10:11], v[6:7]
	v_fma_f64 v[4:5], -v[4:5], v[12:13], v[10:11]
	s_delay_alu instid0(VALU_DEP_1) | instskip(NEXT) | instid1(VALU_DEP_1)
	v_div_fmas_f64 v[4:5], v[4:5], v[6:7], v[12:13]
	v_div_fixup_f64 v[6:7], v[4:5], v[2:3], 1.0
	s_delay_alu instid0(VALU_DEP_1)
	v_mul_f64_e64 v[8:9], v[8:9], -v[6:7]
	v_xor_b32_e32 v11, 0x80000000, v7
	v_mov_b32_e32 v10, v6
.LBB11_17:
	s_or_b32 exec_lo, exec_lo, s3
	s_clause 0x1
	scratch_store_b128 v19, v[6:9], off
	scratch_load_b128 v[2:5], off, s11
	v_xor_b32_e32 v13, 0x80000000, v9
	v_mov_b32_e32 v12, v8
	s_wait_xcnt 0x1
	v_add_nc_u32_e32 v6, 0xc0, v38
	ds_store_b128 v38, v[10:13]
	s_wait_loadcnt 0x0
	ds_store_b128 v38, v[2:5] offset:192
	s_wait_storecnt_dscnt 0x0
	s_barrier_signal -1
	s_barrier_wait -1
	s_wait_xcnt 0x0
	s_and_saveexec_b32 s3, s2
	s_cbranch_execz .LBB11_19
; %bb.18:
	scratch_load_b128 v[2:5], v19, off
	ds_load_b128 v[8:11], v6
	v_mov_b32_e32 v7, 0
	ds_load_b128 v[40:43], v7 offset:16
	s_wait_loadcnt_dscnt 0x1
	v_mul_f64_e32 v[12:13], v[8:9], v[4:5]
	v_mul_f64_e32 v[4:5], v[10:11], v[4:5]
	s_delay_alu instid0(VALU_DEP_2) | instskip(NEXT) | instid1(VALU_DEP_2)
	v_fmac_f64_e32 v[12:13], v[10:11], v[2:3]
	v_fma_f64 v[2:3], v[8:9], v[2:3], -v[4:5]
	s_delay_alu instid0(VALU_DEP_2) | instskip(NEXT) | instid1(VALU_DEP_2)
	v_add_f64_e32 v[8:9], 0, v[12:13]
	v_add_f64_e32 v[2:3], 0, v[2:3]
	s_wait_dscnt 0x0
	s_delay_alu instid0(VALU_DEP_2) | instskip(NEXT) | instid1(VALU_DEP_2)
	v_mul_f64_e32 v[10:11], v[8:9], v[42:43]
	v_mul_f64_e32 v[4:5], v[2:3], v[42:43]
	s_delay_alu instid0(VALU_DEP_2) | instskip(NEXT) | instid1(VALU_DEP_2)
	v_fma_f64 v[2:3], v[2:3], v[40:41], -v[10:11]
	v_fmac_f64_e32 v[4:5], v[8:9], v[40:41]
	scratch_store_b128 off, v[2:5], off offset:16
.LBB11_19:
	s_wait_xcnt 0x0
	s_or_b32 exec_lo, exec_lo, s3
	s_wait_storecnt 0x0
	s_barrier_signal -1
	s_barrier_wait -1
	scratch_load_b128 v[2:5], off, s8
	s_mov_b32 s3, exec_lo
	s_wait_loadcnt 0x0
	ds_store_b128 v6, v[2:5]
	s_wait_dscnt 0x0
	s_barrier_signal -1
	s_barrier_wait -1
	v_cmpx_gt_u32_e32 2, v1
	s_cbranch_execz .LBB11_23
; %bb.20:
	scratch_load_b128 v[2:5], v19, off
	ds_load_b128 v[8:11], v6
	s_wait_loadcnt_dscnt 0x0
	v_mul_f64_e32 v[12:13], v[10:11], v[4:5]
	v_mul_f64_e32 v[40:41], v[8:9], v[4:5]
	s_delay_alu instid0(VALU_DEP_2) | instskip(NEXT) | instid1(VALU_DEP_2)
	v_fma_f64 v[4:5], v[8:9], v[2:3], -v[12:13]
	v_fmac_f64_e32 v[40:41], v[10:11], v[2:3]
	s_delay_alu instid0(VALU_DEP_2) | instskip(NEXT) | instid1(VALU_DEP_2)
	v_add_f64_e32 v[4:5], 0, v[4:5]
	v_add_f64_e32 v[2:3], 0, v[40:41]
	s_and_saveexec_b32 s24, s2
	s_cbranch_execz .LBB11_22
; %bb.21:
	scratch_load_b128 v[8:11], off, off offset:16
	v_mov_b32_e32 v7, 0
	ds_load_b128 v[40:43], v7 offset:208
	s_wait_loadcnt_dscnt 0x0
	v_mul_f64_e32 v[12:13], v[40:41], v[10:11]
	v_mul_f64_e32 v[10:11], v[42:43], v[10:11]
	s_delay_alu instid0(VALU_DEP_2) | instskip(NEXT) | instid1(VALU_DEP_2)
	v_fmac_f64_e32 v[12:13], v[42:43], v[8:9]
	v_fma_f64 v[8:9], v[40:41], v[8:9], -v[10:11]
	s_delay_alu instid0(VALU_DEP_2) | instskip(NEXT) | instid1(VALU_DEP_2)
	v_add_f64_e32 v[2:3], v[2:3], v[12:13]
	v_add_f64_e32 v[4:5], v[4:5], v[8:9]
.LBB11_22:
	s_or_b32 exec_lo, exec_lo, s24
	v_mov_b32_e32 v7, 0
	ds_load_b128 v[8:11], v7 offset:32
	s_wait_dscnt 0x0
	v_mul_f64_e32 v[40:41], v[2:3], v[10:11]
	v_mul_f64_e32 v[12:13], v[4:5], v[10:11]
	s_delay_alu instid0(VALU_DEP_2) | instskip(NEXT) | instid1(VALU_DEP_2)
	v_fma_f64 v[10:11], v[4:5], v[8:9], -v[40:41]
	v_fmac_f64_e32 v[12:13], v[2:3], v[8:9]
	scratch_store_b128 off, v[10:13], off offset:32
.LBB11_23:
	s_wait_xcnt 0x0
	s_or_b32 exec_lo, exec_lo, s3
	s_wait_storecnt 0x0
	s_barrier_signal -1
	s_barrier_wait -1
	scratch_load_b128 v[2:5], off, s9
	v_add_nc_u32_e32 v7, -1, v1
	s_mov_b32 s2, exec_lo
	s_wait_loadcnt 0x0
	ds_store_b128 v6, v[2:5]
	s_wait_dscnt 0x0
	s_barrier_signal -1
	s_barrier_wait -1
	v_cmpx_gt_u32_e32 3, v1
	s_cbranch_execz .LBB11_27
; %bb.24:
	v_dual_mov_b32 v10, v38 :: v_dual_add_nc_u32 v8, -1, v1
	v_mov_b64_e32 v[2:3], 0
	v_mov_b64_e32 v[4:5], 0
	v_add_nc_u32_e32 v9, 0xc0, v38
	s_delay_alu instid0(VALU_DEP_4)
	v_or_b32_e32 v10, 8, v10
	s_mov_b32 s3, 0
.LBB11_25:                              ; =>This Inner Loop Header: Depth=1
	scratch_load_b128 v[40:43], v10, off offset:-8
	ds_load_b128 v[44:47], v9
	v_dual_add_nc_u32 v8, 1, v8 :: v_dual_add_nc_u32 v9, 16, v9
	s_wait_xcnt 0x0
	v_add_nc_u32_e32 v10, 16, v10
	s_delay_alu instid0(VALU_DEP_2) | instskip(SKIP_4) | instid1(VALU_DEP_2)
	v_cmp_lt_u32_e32 vcc_lo, 1, v8
	s_or_b32 s3, vcc_lo, s3
	s_wait_loadcnt_dscnt 0x0
	v_mul_f64_e32 v[12:13], v[46:47], v[42:43]
	v_mul_f64_e32 v[42:43], v[44:45], v[42:43]
	v_fma_f64 v[12:13], v[44:45], v[40:41], -v[12:13]
	s_delay_alu instid0(VALU_DEP_2) | instskip(NEXT) | instid1(VALU_DEP_2)
	v_fmac_f64_e32 v[42:43], v[46:47], v[40:41]
	v_add_f64_e32 v[4:5], v[4:5], v[12:13]
	s_delay_alu instid0(VALU_DEP_2)
	v_add_f64_e32 v[2:3], v[2:3], v[42:43]
	s_and_not1_b32 exec_lo, exec_lo, s3
	s_cbranch_execnz .LBB11_25
; %bb.26:
	s_or_b32 exec_lo, exec_lo, s3
	v_mov_b32_e32 v8, 0
	ds_load_b128 v[8:11], v8 offset:48
	s_wait_dscnt 0x0
	v_mul_f64_e32 v[40:41], v[2:3], v[10:11]
	v_mul_f64_e32 v[12:13], v[4:5], v[10:11]
	s_delay_alu instid0(VALU_DEP_2) | instskip(NEXT) | instid1(VALU_DEP_2)
	v_fma_f64 v[10:11], v[4:5], v[8:9], -v[40:41]
	v_fmac_f64_e32 v[12:13], v[2:3], v[8:9]
	scratch_store_b128 off, v[10:13], off offset:48
.LBB11_27:
	s_wait_xcnt 0x0
	s_or_b32 exec_lo, exec_lo, s2
	s_wait_storecnt 0x0
	s_barrier_signal -1
	s_barrier_wait -1
	scratch_load_b128 v[2:5], off, s10
	s_mov_b32 s2, exec_lo
	s_wait_loadcnt 0x0
	ds_store_b128 v6, v[2:5]
	s_wait_dscnt 0x0
	s_barrier_signal -1
	s_barrier_wait -1
	v_cmpx_gt_u32_e32 4, v1
	s_cbranch_execz .LBB11_31
; %bb.28:
	v_dual_mov_b32 v10, v38 :: v_dual_add_nc_u32 v8, -1, v1
	v_mov_b64_e32 v[2:3], 0
	v_mov_b64_e32 v[4:5], 0
	v_add_nc_u32_e32 v9, 0xc0, v38
	s_delay_alu instid0(VALU_DEP_4)
	v_or_b32_e32 v10, 8, v10
	s_mov_b32 s3, 0
.LBB11_29:                              ; =>This Inner Loop Header: Depth=1
	scratch_load_b128 v[40:43], v10, off offset:-8
	ds_load_b128 v[44:47], v9
	v_dual_add_nc_u32 v8, 1, v8 :: v_dual_add_nc_u32 v9, 16, v9
	s_wait_xcnt 0x0
	v_add_nc_u32_e32 v10, 16, v10
	s_delay_alu instid0(VALU_DEP_2) | instskip(SKIP_4) | instid1(VALU_DEP_2)
	v_cmp_lt_u32_e32 vcc_lo, 2, v8
	s_or_b32 s3, vcc_lo, s3
	s_wait_loadcnt_dscnt 0x0
	v_mul_f64_e32 v[12:13], v[46:47], v[42:43]
	v_mul_f64_e32 v[42:43], v[44:45], v[42:43]
	v_fma_f64 v[12:13], v[44:45], v[40:41], -v[12:13]
	s_delay_alu instid0(VALU_DEP_2) | instskip(NEXT) | instid1(VALU_DEP_2)
	v_fmac_f64_e32 v[42:43], v[46:47], v[40:41]
	v_add_f64_e32 v[4:5], v[4:5], v[12:13]
	s_delay_alu instid0(VALU_DEP_2)
	v_add_f64_e32 v[2:3], v[2:3], v[42:43]
	s_and_not1_b32 exec_lo, exec_lo, s3
	s_cbranch_execnz .LBB11_29
; %bb.30:
	s_or_b32 exec_lo, exec_lo, s3
	v_mov_b32_e32 v8, 0
	ds_load_b128 v[8:11], v8 offset:64
	s_wait_dscnt 0x0
	v_mul_f64_e32 v[40:41], v[2:3], v[10:11]
	v_mul_f64_e32 v[12:13], v[4:5], v[10:11]
	s_delay_alu instid0(VALU_DEP_2) | instskip(NEXT) | instid1(VALU_DEP_2)
	v_fma_f64 v[10:11], v[4:5], v[8:9], -v[40:41]
	v_fmac_f64_e32 v[12:13], v[2:3], v[8:9]
	scratch_store_b128 off, v[10:13], off offset:64
.LBB11_31:
	s_wait_xcnt 0x0
	s_or_b32 exec_lo, exec_lo, s2
	s_wait_storecnt 0x0
	s_barrier_signal -1
	s_barrier_wait -1
	scratch_load_b128 v[2:5], off, s12
	;; [unrolled: 54-line block ×8, first 2 shown]
	s_mov_b32 s2, exec_lo
	s_wait_loadcnt 0x0
	ds_store_b128 v6, v[2:5]
	s_wait_dscnt 0x0
	s_barrier_signal -1
	s_barrier_wait -1
	v_cmpx_ne_u32_e32 11, v1
	s_cbranch_execz .LBB11_59
; %bb.56:
	v_mov_b32_e32 v8, v38
	v_mov_b64_e32 v[2:3], 0
	v_mov_b64_e32 v[4:5], 0
	s_mov_b32 s3, 0
	s_delay_alu instid0(VALU_DEP_3)
	v_or_b32_e32 v8, 8, v8
.LBB11_57:                              ; =>This Inner Loop Header: Depth=1
	scratch_load_b128 v[10:13], v8, off offset:-8
	ds_load_b128 v[38:41], v6
	v_dual_add_nc_u32 v7, 1, v7 :: v_dual_add_nc_u32 v6, 16, v6
	s_wait_xcnt 0x0
	v_add_nc_u32_e32 v8, 16, v8
	s_delay_alu instid0(VALU_DEP_2) | instskip(SKIP_4) | instid1(VALU_DEP_2)
	v_cmp_lt_u32_e32 vcc_lo, 9, v7
	s_or_b32 s3, vcc_lo, s3
	s_wait_loadcnt_dscnt 0x0
	v_mul_f64_e32 v[42:43], v[40:41], v[12:13]
	v_mul_f64_e32 v[12:13], v[38:39], v[12:13]
	v_fma_f64 v[38:39], v[38:39], v[10:11], -v[42:43]
	s_delay_alu instid0(VALU_DEP_2) | instskip(NEXT) | instid1(VALU_DEP_2)
	v_fmac_f64_e32 v[12:13], v[40:41], v[10:11]
	v_add_f64_e32 v[4:5], v[4:5], v[38:39]
	s_delay_alu instid0(VALU_DEP_2)
	v_add_f64_e32 v[2:3], v[2:3], v[12:13]
	s_and_not1_b32 exec_lo, exec_lo, s3
	s_cbranch_execnz .LBB11_57
; %bb.58:
	s_or_b32 exec_lo, exec_lo, s3
	v_mov_b32_e32 v6, 0
	ds_load_b128 v[6:9], v6 offset:176
	s_wait_dscnt 0x0
	v_mul_f64_e32 v[12:13], v[2:3], v[8:9]
	v_mul_f64_e32 v[10:11], v[4:5], v[8:9]
	s_delay_alu instid0(VALU_DEP_2) | instskip(NEXT) | instid1(VALU_DEP_2)
	v_fma_f64 v[8:9], v[4:5], v[6:7], -v[12:13]
	v_fmac_f64_e32 v[10:11], v[2:3], v[6:7]
	scratch_store_b128 off, v[8:11], off offset:176
.LBB11_59:
	s_wait_xcnt 0x0
	s_or_b32 exec_lo, exec_lo, s2
	s_mov_b32 s3, -1
	s_wait_storecnt 0x0
	s_barrier_signal -1
	s_barrier_wait -1
.LBB11_60:
	s_and_b32 vcc_lo, exec_lo, s3
	s_cbranch_vccz .LBB11_62
; %bb.61:
	s_wait_xcnt 0xb
	v_mov_b32_e32 v2, 0
	s_lshl_b64 s[2:3], s[18:19], 2
	s_delay_alu instid0(SALU_CYCLE_1)
	s_add_nc_u64 s[2:3], s[6:7], s[2:3]
	global_load_b32 v2, v2, s[2:3]
	s_wait_loadcnt 0x0
	v_cmp_ne_u32_e32 vcc_lo, 0, v2
	s_cbranch_vccz .LBB11_63
.LBB11_62:
	s_sendmsg sendmsg(MSG_DEALLOC_VGPRS)
	s_endpgm
.LBB11_63:
	s_wait_xcnt 0xb
	v_lshl_add_u32 v6, v1, 4, 0xc0
	s_wait_xcnt 0x0
	s_mov_b32 s2, exec_lo
	v_cmpx_eq_u32_e32 11, v1
	s_cbranch_execz .LBB11_65
; %bb.64:
	scratch_load_b128 v[2:5], off, s21
	v_mov_b32_e32 v8, 0
	s_delay_alu instid0(VALU_DEP_1)
	v_dual_mov_b32 v9, v8 :: v_dual_mov_b32 v10, v8
	v_mov_b32_e32 v11, v8
	scratch_store_b128 off, v[8:11], off offset:160
	s_wait_loadcnt 0x0
	ds_store_b128 v6, v[2:5]
.LBB11_65:
	s_wait_xcnt 0x0
	s_or_b32 exec_lo, exec_lo, s2
	s_wait_storecnt_dscnt 0x0
	s_barrier_signal -1
	s_barrier_wait -1
	s_clause 0x1
	scratch_load_b128 v[8:11], off, off offset:176
	scratch_load_b128 v[38:41], off, off offset:160
	v_mov_b32_e32 v2, 0
	s_mov_b32 s2, exec_lo
	ds_load_b128 v[42:45], v2 offset:368
	s_wait_loadcnt_dscnt 0x100
	v_mul_f64_e32 v[4:5], v[44:45], v[10:11]
	v_mul_f64_e32 v[10:11], v[42:43], v[10:11]
	s_delay_alu instid0(VALU_DEP_2) | instskip(NEXT) | instid1(VALU_DEP_2)
	v_fma_f64 v[4:5], v[42:43], v[8:9], -v[4:5]
	v_fmac_f64_e32 v[10:11], v[44:45], v[8:9]
	s_delay_alu instid0(VALU_DEP_2) | instskip(NEXT) | instid1(VALU_DEP_2)
	v_add_f64_e32 v[4:5], 0, v[4:5]
	v_add_f64_e32 v[10:11], 0, v[10:11]
	s_wait_loadcnt 0x0
	s_delay_alu instid0(VALU_DEP_2) | instskip(NEXT) | instid1(VALU_DEP_2)
	v_add_f64_e64 v[8:9], v[38:39], -v[4:5]
	v_add_f64_e64 v[10:11], v[40:41], -v[10:11]
	scratch_store_b128 off, v[8:11], off offset:160
	s_wait_xcnt 0x0
	v_cmpx_lt_u32_e32 9, v1
	s_cbranch_execz .LBB11_67
; %bb.66:
	scratch_load_b128 v[8:11], off, s15
	v_dual_mov_b32 v3, v2 :: v_dual_mov_b32 v4, v2
	v_mov_b32_e32 v5, v2
	scratch_store_b128 off, v[2:5], off offset:144
	s_wait_loadcnt 0x0
	ds_store_b128 v6, v[8:11]
.LBB11_67:
	s_wait_xcnt 0x0
	s_or_b32 exec_lo, exec_lo, s2
	s_wait_storecnt_dscnt 0x0
	s_barrier_signal -1
	s_barrier_wait -1
	s_clause 0x2
	scratch_load_b128 v[8:11], off, off offset:160
	scratch_load_b128 v[38:41], off, off offset:176
	;; [unrolled: 1-line block ×3, first 2 shown]
	ds_load_b128 v[46:49], v2 offset:352
	ds_load_b128 v[2:5], v2 offset:368
	s_mov_b32 s2, exec_lo
	s_wait_loadcnt_dscnt 0x201
	v_mul_f64_e32 v[12:13], v[48:49], v[10:11]
	v_mul_f64_e32 v[10:11], v[46:47], v[10:11]
	s_wait_loadcnt_dscnt 0x100
	v_mul_f64_e32 v[50:51], v[2:3], v[40:41]
	v_mul_f64_e32 v[40:41], v[4:5], v[40:41]
	s_delay_alu instid0(VALU_DEP_4) | instskip(NEXT) | instid1(VALU_DEP_4)
	v_fma_f64 v[12:13], v[46:47], v[8:9], -v[12:13]
	v_fmac_f64_e32 v[10:11], v[48:49], v[8:9]
	s_delay_alu instid0(VALU_DEP_4) | instskip(NEXT) | instid1(VALU_DEP_4)
	v_fmac_f64_e32 v[50:51], v[4:5], v[38:39]
	v_fma_f64 v[2:3], v[2:3], v[38:39], -v[40:41]
	s_delay_alu instid0(VALU_DEP_4) | instskip(NEXT) | instid1(VALU_DEP_4)
	v_add_f64_e32 v[4:5], 0, v[12:13]
	v_add_f64_e32 v[8:9], 0, v[10:11]
	s_delay_alu instid0(VALU_DEP_2) | instskip(NEXT) | instid1(VALU_DEP_2)
	v_add_f64_e32 v[2:3], v[4:5], v[2:3]
	v_add_f64_e32 v[4:5], v[8:9], v[50:51]
	s_wait_loadcnt 0x0
	s_delay_alu instid0(VALU_DEP_2) | instskip(NEXT) | instid1(VALU_DEP_2)
	v_add_f64_e64 v[2:3], v[42:43], -v[2:3]
	v_add_f64_e64 v[4:5], v[44:45], -v[4:5]
	scratch_store_b128 off, v[2:5], off offset:144
	s_wait_xcnt 0x0
	v_cmpx_lt_u32_e32 8, v1
	s_cbranch_execz .LBB11_69
; %bb.68:
	scratch_load_b128 v[2:5], off, s13
	v_mov_b32_e32 v8, 0
	s_delay_alu instid0(VALU_DEP_1)
	v_dual_mov_b32 v9, v8 :: v_dual_mov_b32 v10, v8
	v_mov_b32_e32 v11, v8
	scratch_store_b128 off, v[8:11], off offset:128
	s_wait_loadcnt 0x0
	ds_store_b128 v6, v[2:5]
.LBB11_69:
	s_wait_xcnt 0x0
	s_or_b32 exec_lo, exec_lo, s2
	s_wait_storecnt_dscnt 0x0
	s_barrier_signal -1
	s_barrier_wait -1
	s_clause 0x3
	scratch_load_b128 v[8:11], off, off offset:144
	scratch_load_b128 v[38:41], off, off offset:160
	;; [unrolled: 1-line block ×4, first 2 shown]
	v_mov_b32_e32 v2, 0
	ds_load_b128 v[50:53], v2 offset:336
	ds_load_b128 v[54:57], v2 offset:352
	s_mov_b32 s2, exec_lo
	s_wait_loadcnt_dscnt 0x301
	v_mul_f64_e32 v[4:5], v[52:53], v[10:11]
	v_mul_f64_e32 v[12:13], v[50:51], v[10:11]
	s_wait_loadcnt_dscnt 0x200
	v_mul_f64_e32 v[58:59], v[54:55], v[40:41]
	v_mul_f64_e32 v[40:41], v[56:57], v[40:41]
	s_delay_alu instid0(VALU_DEP_4) | instskip(NEXT) | instid1(VALU_DEP_4)
	v_fma_f64 v[4:5], v[50:51], v[8:9], -v[4:5]
	v_fmac_f64_e32 v[12:13], v[52:53], v[8:9]
	ds_load_b128 v[8:11], v2 offset:368
	v_fmac_f64_e32 v[58:59], v[56:57], v[38:39]
	v_fma_f64 v[38:39], v[54:55], v[38:39], -v[40:41]
	s_wait_loadcnt_dscnt 0x100
	v_mul_f64_e32 v[50:51], v[8:9], v[44:45]
	v_mul_f64_e32 v[44:45], v[10:11], v[44:45]
	v_add_f64_e32 v[4:5], 0, v[4:5]
	v_add_f64_e32 v[12:13], 0, v[12:13]
	s_delay_alu instid0(VALU_DEP_4) | instskip(NEXT) | instid1(VALU_DEP_4)
	v_fmac_f64_e32 v[50:51], v[10:11], v[42:43]
	v_fma_f64 v[8:9], v[8:9], v[42:43], -v[44:45]
	s_delay_alu instid0(VALU_DEP_4) | instskip(NEXT) | instid1(VALU_DEP_4)
	v_add_f64_e32 v[4:5], v[4:5], v[38:39]
	v_add_f64_e32 v[10:11], v[12:13], v[58:59]
	s_delay_alu instid0(VALU_DEP_2) | instskip(NEXT) | instid1(VALU_DEP_2)
	v_add_f64_e32 v[4:5], v[4:5], v[8:9]
	v_add_f64_e32 v[10:11], v[10:11], v[50:51]
	s_wait_loadcnt 0x0
	s_delay_alu instid0(VALU_DEP_2) | instskip(NEXT) | instid1(VALU_DEP_2)
	v_add_f64_e64 v[8:9], v[46:47], -v[4:5]
	v_add_f64_e64 v[10:11], v[48:49], -v[10:11]
	scratch_store_b128 off, v[8:11], off offset:128
	s_wait_xcnt 0x0
	v_cmpx_lt_u32_e32 7, v1
	s_cbranch_execz .LBB11_71
; %bb.70:
	scratch_load_b128 v[8:11], off, s20
	v_dual_mov_b32 v3, v2 :: v_dual_mov_b32 v4, v2
	v_mov_b32_e32 v5, v2
	scratch_store_b128 off, v[2:5], off offset:112
	s_wait_loadcnt 0x0
	ds_store_b128 v6, v[8:11]
.LBB11_71:
	s_wait_xcnt 0x0
	s_or_b32 exec_lo, exec_lo, s2
	s_wait_storecnt_dscnt 0x0
	s_barrier_signal -1
	s_barrier_wait -1
	s_clause 0x4
	scratch_load_b128 v[8:11], off, off offset:128
	scratch_load_b128 v[38:41], off, off offset:144
	;; [unrolled: 1-line block ×5, first 2 shown]
	ds_load_b128 v[54:57], v2 offset:320
	ds_load_b128 v[58:61], v2 offset:336
	s_mov_b32 s2, exec_lo
	s_wait_loadcnt_dscnt 0x401
	v_mul_f64_e32 v[4:5], v[56:57], v[10:11]
	v_mul_f64_e32 v[12:13], v[54:55], v[10:11]
	s_wait_loadcnt_dscnt 0x300
	v_mul_f64_e32 v[62:63], v[58:59], v[40:41]
	v_mul_f64_e32 v[40:41], v[60:61], v[40:41]
	s_delay_alu instid0(VALU_DEP_4) | instskip(NEXT) | instid1(VALU_DEP_4)
	v_fma_f64 v[54:55], v[54:55], v[8:9], -v[4:5]
	v_fmac_f64_e32 v[12:13], v[56:57], v[8:9]
	ds_load_b128 v[8:11], v2 offset:352
	ds_load_b128 v[2:5], v2 offset:368
	v_fmac_f64_e32 v[62:63], v[60:61], v[38:39]
	v_fma_f64 v[38:39], v[58:59], v[38:39], -v[40:41]
	s_wait_loadcnt_dscnt 0x201
	v_mul_f64_e32 v[56:57], v[8:9], v[44:45]
	v_mul_f64_e32 v[44:45], v[10:11], v[44:45]
	v_add_f64_e32 v[40:41], 0, v[54:55]
	v_add_f64_e32 v[12:13], 0, v[12:13]
	s_wait_loadcnt_dscnt 0x100
	v_mul_f64_e32 v[54:55], v[2:3], v[48:49]
	v_mul_f64_e32 v[48:49], v[4:5], v[48:49]
	v_fmac_f64_e32 v[56:57], v[10:11], v[42:43]
	v_fma_f64 v[8:9], v[8:9], v[42:43], -v[44:45]
	v_add_f64_e32 v[10:11], v[40:41], v[38:39]
	v_add_f64_e32 v[12:13], v[12:13], v[62:63]
	v_fmac_f64_e32 v[54:55], v[4:5], v[46:47]
	v_fma_f64 v[2:3], v[2:3], v[46:47], -v[48:49]
	s_delay_alu instid0(VALU_DEP_4) | instskip(NEXT) | instid1(VALU_DEP_4)
	v_add_f64_e32 v[4:5], v[10:11], v[8:9]
	v_add_f64_e32 v[8:9], v[12:13], v[56:57]
	s_delay_alu instid0(VALU_DEP_2) | instskip(NEXT) | instid1(VALU_DEP_2)
	v_add_f64_e32 v[2:3], v[4:5], v[2:3]
	v_add_f64_e32 v[4:5], v[8:9], v[54:55]
	s_wait_loadcnt 0x0
	s_delay_alu instid0(VALU_DEP_2) | instskip(NEXT) | instid1(VALU_DEP_2)
	v_add_f64_e64 v[2:3], v[50:51], -v[2:3]
	v_add_f64_e64 v[4:5], v[52:53], -v[4:5]
	scratch_store_b128 off, v[2:5], off offset:112
	s_wait_xcnt 0x0
	v_cmpx_lt_u32_e32 6, v1
	s_cbranch_execz .LBB11_73
; %bb.72:
	scratch_load_b128 v[2:5], off, s14
	v_mov_b32_e32 v8, 0
	s_delay_alu instid0(VALU_DEP_1)
	v_dual_mov_b32 v9, v8 :: v_dual_mov_b32 v10, v8
	v_mov_b32_e32 v11, v8
	scratch_store_b128 off, v[8:11], off offset:96
	s_wait_loadcnt 0x0
	ds_store_b128 v6, v[2:5]
.LBB11_73:
	s_wait_xcnt 0x0
	s_or_b32 exec_lo, exec_lo, s2
	s_wait_storecnt_dscnt 0x0
	s_barrier_signal -1
	s_barrier_wait -1
	s_clause 0x5
	scratch_load_b128 v[8:11], off, off offset:112
	scratch_load_b128 v[38:41], off, off offset:128
	;; [unrolled: 1-line block ×6, first 2 shown]
	v_mov_b32_e32 v2, 0
	ds_load_b128 v[58:61], v2 offset:304
	ds_load_b128 v[62:65], v2 offset:320
	s_mov_b32 s2, exec_lo
	s_wait_loadcnt_dscnt 0x501
	v_mul_f64_e32 v[4:5], v[60:61], v[10:11]
	v_mul_f64_e32 v[12:13], v[58:59], v[10:11]
	s_wait_loadcnt_dscnt 0x400
	v_mul_f64_e32 v[66:67], v[62:63], v[40:41]
	v_mul_f64_e32 v[40:41], v[64:65], v[40:41]
	s_delay_alu instid0(VALU_DEP_4) | instskip(NEXT) | instid1(VALU_DEP_4)
	v_fma_f64 v[4:5], v[58:59], v[8:9], -v[4:5]
	v_fmac_f64_e32 v[12:13], v[60:61], v[8:9]
	ds_load_b128 v[8:11], v2 offset:336
	ds_load_b128 v[58:61], v2 offset:352
	v_fmac_f64_e32 v[66:67], v[64:65], v[38:39]
	v_fma_f64 v[38:39], v[62:63], v[38:39], -v[40:41]
	s_wait_loadcnt_dscnt 0x301
	v_mul_f64_e32 v[68:69], v[8:9], v[44:45]
	v_mul_f64_e32 v[44:45], v[10:11], v[44:45]
	s_wait_loadcnt_dscnt 0x200
	v_mul_f64_e32 v[40:41], v[58:59], v[48:49]
	v_mul_f64_e32 v[48:49], v[60:61], v[48:49]
	v_add_f64_e32 v[4:5], 0, v[4:5]
	v_add_f64_e32 v[12:13], 0, v[12:13]
	v_fmac_f64_e32 v[68:69], v[10:11], v[42:43]
	v_fma_f64 v[42:43], v[8:9], v[42:43], -v[44:45]
	ds_load_b128 v[8:11], v2 offset:368
	v_fmac_f64_e32 v[40:41], v[60:61], v[46:47]
	v_fma_f64 v[46:47], v[58:59], v[46:47], -v[48:49]
	v_add_f64_e32 v[4:5], v[4:5], v[38:39]
	v_add_f64_e32 v[12:13], v[12:13], v[66:67]
	s_wait_loadcnt_dscnt 0x100
	v_mul_f64_e32 v[38:39], v[8:9], v[52:53]
	v_mul_f64_e32 v[44:45], v[10:11], v[52:53]
	s_delay_alu instid0(VALU_DEP_4) | instskip(NEXT) | instid1(VALU_DEP_4)
	v_add_f64_e32 v[4:5], v[4:5], v[42:43]
	v_add_f64_e32 v[12:13], v[12:13], v[68:69]
	s_delay_alu instid0(VALU_DEP_4) | instskip(NEXT) | instid1(VALU_DEP_4)
	v_fmac_f64_e32 v[38:39], v[10:11], v[50:51]
	v_fma_f64 v[8:9], v[8:9], v[50:51], -v[44:45]
	s_delay_alu instid0(VALU_DEP_4) | instskip(NEXT) | instid1(VALU_DEP_4)
	v_add_f64_e32 v[4:5], v[4:5], v[46:47]
	v_add_f64_e32 v[10:11], v[12:13], v[40:41]
	s_delay_alu instid0(VALU_DEP_2) | instskip(NEXT) | instid1(VALU_DEP_2)
	v_add_f64_e32 v[4:5], v[4:5], v[8:9]
	v_add_f64_e32 v[10:11], v[10:11], v[38:39]
	s_wait_loadcnt 0x0
	s_delay_alu instid0(VALU_DEP_2) | instskip(NEXT) | instid1(VALU_DEP_2)
	v_add_f64_e64 v[8:9], v[54:55], -v[4:5]
	v_add_f64_e64 v[10:11], v[56:57], -v[10:11]
	scratch_store_b128 off, v[8:11], off offset:96
	s_wait_xcnt 0x0
	v_cmpx_lt_u32_e32 5, v1
	s_cbranch_execz .LBB11_75
; %bb.74:
	scratch_load_b128 v[8:11], off, s12
	v_dual_mov_b32 v3, v2 :: v_dual_mov_b32 v4, v2
	v_mov_b32_e32 v5, v2
	scratch_store_b128 off, v[2:5], off offset:80
	s_wait_loadcnt 0x0
	ds_store_b128 v6, v[8:11]
.LBB11_75:
	s_wait_xcnt 0x0
	s_or_b32 exec_lo, exec_lo, s2
	s_wait_storecnt_dscnt 0x0
	s_barrier_signal -1
	s_barrier_wait -1
	s_clause 0x6
	scratch_load_b128 v[8:11], off, off offset:96
	scratch_load_b128 v[38:41], off, off offset:112
	;; [unrolled: 1-line block ×7, first 2 shown]
	ds_load_b128 v[62:65], v2 offset:288
	ds_load_b128 v[66:69], v2 offset:304
	s_mov_b32 s2, exec_lo
	s_wait_loadcnt_dscnt 0x601
	v_mul_f64_e32 v[4:5], v[64:65], v[10:11]
	v_mul_f64_e32 v[12:13], v[62:63], v[10:11]
	s_wait_loadcnt_dscnt 0x500
	v_mul_f64_e32 v[70:71], v[66:67], v[40:41]
	v_mul_f64_e32 v[40:41], v[68:69], v[40:41]
	s_delay_alu instid0(VALU_DEP_4) | instskip(NEXT) | instid1(VALU_DEP_4)
	v_fma_f64 v[4:5], v[62:63], v[8:9], -v[4:5]
	v_fmac_f64_e32 v[12:13], v[64:65], v[8:9]
	ds_load_b128 v[8:11], v2 offset:320
	ds_load_b128 v[62:65], v2 offset:336
	v_fmac_f64_e32 v[70:71], v[68:69], v[38:39]
	v_fma_f64 v[38:39], v[66:67], v[38:39], -v[40:41]
	s_wait_loadcnt_dscnt 0x401
	v_mul_f64_e32 v[72:73], v[8:9], v[44:45]
	v_mul_f64_e32 v[44:45], v[10:11], v[44:45]
	s_wait_loadcnt_dscnt 0x300
	v_mul_f64_e32 v[40:41], v[62:63], v[48:49]
	v_mul_f64_e32 v[48:49], v[64:65], v[48:49]
	v_add_f64_e32 v[4:5], 0, v[4:5]
	v_add_f64_e32 v[12:13], 0, v[12:13]
	v_fmac_f64_e32 v[72:73], v[10:11], v[42:43]
	v_fma_f64 v[42:43], v[8:9], v[42:43], -v[44:45]
	v_fmac_f64_e32 v[40:41], v[64:65], v[46:47]
	v_fma_f64 v[46:47], v[62:63], v[46:47], -v[48:49]
	v_add_f64_e32 v[38:39], v[4:5], v[38:39]
	v_add_f64_e32 v[12:13], v[12:13], v[70:71]
	ds_load_b128 v[8:11], v2 offset:352
	ds_load_b128 v[2:5], v2 offset:368
	s_wait_loadcnt_dscnt 0x201
	v_mul_f64_e32 v[44:45], v[8:9], v[52:53]
	v_mul_f64_e32 v[52:53], v[10:11], v[52:53]
	s_wait_loadcnt_dscnt 0x100
	v_mul_f64_e32 v[48:49], v[4:5], v[56:57]
	v_add_f64_e32 v[38:39], v[38:39], v[42:43]
	v_add_f64_e32 v[12:13], v[12:13], v[72:73]
	v_mul_f64_e32 v[42:43], v[2:3], v[56:57]
	v_fmac_f64_e32 v[44:45], v[10:11], v[50:51]
	v_fma_f64 v[8:9], v[8:9], v[50:51], -v[52:53]
	v_fma_f64 v[2:3], v[2:3], v[54:55], -v[48:49]
	v_add_f64_e32 v[10:11], v[38:39], v[46:47]
	v_add_f64_e32 v[12:13], v[12:13], v[40:41]
	v_fmac_f64_e32 v[42:43], v[4:5], v[54:55]
	s_delay_alu instid0(VALU_DEP_3) | instskip(NEXT) | instid1(VALU_DEP_3)
	v_add_f64_e32 v[4:5], v[10:11], v[8:9]
	v_add_f64_e32 v[8:9], v[12:13], v[44:45]
	s_delay_alu instid0(VALU_DEP_2) | instskip(NEXT) | instid1(VALU_DEP_2)
	v_add_f64_e32 v[2:3], v[4:5], v[2:3]
	v_add_f64_e32 v[4:5], v[8:9], v[42:43]
	s_wait_loadcnt 0x0
	s_delay_alu instid0(VALU_DEP_2) | instskip(NEXT) | instid1(VALU_DEP_2)
	v_add_f64_e64 v[2:3], v[58:59], -v[2:3]
	v_add_f64_e64 v[4:5], v[60:61], -v[4:5]
	scratch_store_b128 off, v[2:5], off offset:80
	s_wait_xcnt 0x0
	v_cmpx_lt_u32_e32 4, v1
	s_cbranch_execz .LBB11_77
; %bb.76:
	scratch_load_b128 v[2:5], off, s10
	v_mov_b32_e32 v8, 0
	s_delay_alu instid0(VALU_DEP_1)
	v_dual_mov_b32 v9, v8 :: v_dual_mov_b32 v10, v8
	v_mov_b32_e32 v11, v8
	scratch_store_b128 off, v[8:11], off offset:64
	s_wait_loadcnt 0x0
	ds_store_b128 v6, v[2:5]
.LBB11_77:
	s_wait_xcnt 0x0
	s_or_b32 exec_lo, exec_lo, s2
	s_wait_storecnt_dscnt 0x0
	s_barrier_signal -1
	s_barrier_wait -1
	s_clause 0x7
	scratch_load_b128 v[8:11], off, off offset:80
	scratch_load_b128 v[38:41], off, off offset:96
	;; [unrolled: 1-line block ×8, first 2 shown]
	v_mov_b32_e32 v2, 0
	ds_load_b128 v[66:69], v2 offset:272
	ds_load_b128 v[70:73], v2 offset:288
	s_mov_b32 s2, exec_lo
	s_wait_loadcnt_dscnt 0x701
	v_mul_f64_e32 v[4:5], v[68:69], v[10:11]
	v_mul_f64_e32 v[12:13], v[66:67], v[10:11]
	s_wait_loadcnt_dscnt 0x600
	v_mul_f64_e32 v[74:75], v[70:71], v[40:41]
	v_mul_f64_e32 v[40:41], v[72:73], v[40:41]
	s_delay_alu instid0(VALU_DEP_4) | instskip(NEXT) | instid1(VALU_DEP_4)
	v_fma_f64 v[4:5], v[66:67], v[8:9], -v[4:5]
	v_fmac_f64_e32 v[12:13], v[68:69], v[8:9]
	ds_load_b128 v[8:11], v2 offset:304
	ds_load_b128 v[66:69], v2 offset:320
	v_fmac_f64_e32 v[74:75], v[72:73], v[38:39]
	v_fma_f64 v[38:39], v[70:71], v[38:39], -v[40:41]
	s_wait_loadcnt_dscnt 0x501
	v_mul_f64_e32 v[76:77], v[8:9], v[44:45]
	v_mul_f64_e32 v[44:45], v[10:11], v[44:45]
	s_wait_loadcnt_dscnt 0x400
	v_mul_f64_e32 v[70:71], v[66:67], v[48:49]
	v_mul_f64_e32 v[48:49], v[68:69], v[48:49]
	v_add_f64_e32 v[4:5], 0, v[4:5]
	v_add_f64_e32 v[12:13], 0, v[12:13]
	v_fmac_f64_e32 v[76:77], v[10:11], v[42:43]
	v_fma_f64 v[42:43], v[8:9], v[42:43], -v[44:45]
	v_fmac_f64_e32 v[70:71], v[68:69], v[46:47]
	v_fma_f64 v[46:47], v[66:67], v[46:47], -v[48:49]
	v_add_f64_e32 v[4:5], v[4:5], v[38:39]
	v_add_f64_e32 v[12:13], v[12:13], v[74:75]
	ds_load_b128 v[8:11], v2 offset:336
	ds_load_b128 v[38:41], v2 offset:352
	s_wait_loadcnt_dscnt 0x301
	v_mul_f64_e32 v[44:45], v[8:9], v[52:53]
	v_mul_f64_e32 v[52:53], v[10:11], v[52:53]
	s_wait_loadcnt_dscnt 0x200
	v_mul_f64_e32 v[48:49], v[40:41], v[56:57]
	v_add_f64_e32 v[4:5], v[4:5], v[42:43]
	v_add_f64_e32 v[12:13], v[12:13], v[76:77]
	v_mul_f64_e32 v[42:43], v[38:39], v[56:57]
	v_fmac_f64_e32 v[44:45], v[10:11], v[50:51]
	v_fma_f64 v[50:51], v[8:9], v[50:51], -v[52:53]
	ds_load_b128 v[8:11], v2 offset:368
	v_fma_f64 v[38:39], v[38:39], v[54:55], -v[48:49]
	v_add_f64_e32 v[4:5], v[4:5], v[46:47]
	v_add_f64_e32 v[12:13], v[12:13], v[70:71]
	v_fmac_f64_e32 v[42:43], v[40:41], v[54:55]
	s_wait_loadcnt_dscnt 0x100
	v_mul_f64_e32 v[46:47], v[8:9], v[60:61]
	v_mul_f64_e32 v[52:53], v[10:11], v[60:61]
	v_add_f64_e32 v[4:5], v[4:5], v[50:51]
	v_add_f64_e32 v[12:13], v[12:13], v[44:45]
	s_delay_alu instid0(VALU_DEP_4) | instskip(NEXT) | instid1(VALU_DEP_4)
	v_fmac_f64_e32 v[46:47], v[10:11], v[58:59]
	v_fma_f64 v[8:9], v[8:9], v[58:59], -v[52:53]
	s_delay_alu instid0(VALU_DEP_4) | instskip(NEXT) | instid1(VALU_DEP_4)
	v_add_f64_e32 v[4:5], v[4:5], v[38:39]
	v_add_f64_e32 v[10:11], v[12:13], v[42:43]
	s_delay_alu instid0(VALU_DEP_2) | instskip(NEXT) | instid1(VALU_DEP_2)
	v_add_f64_e32 v[4:5], v[4:5], v[8:9]
	v_add_f64_e32 v[10:11], v[10:11], v[46:47]
	s_wait_loadcnt 0x0
	s_delay_alu instid0(VALU_DEP_2) | instskip(NEXT) | instid1(VALU_DEP_2)
	v_add_f64_e64 v[8:9], v[62:63], -v[4:5]
	v_add_f64_e64 v[10:11], v[64:65], -v[10:11]
	scratch_store_b128 off, v[8:11], off offset:64
	s_wait_xcnt 0x0
	v_cmpx_lt_u32_e32 3, v1
	s_cbranch_execz .LBB11_79
; %bb.78:
	scratch_load_b128 v[8:11], off, s9
	v_dual_mov_b32 v3, v2 :: v_dual_mov_b32 v4, v2
	v_mov_b32_e32 v5, v2
	scratch_store_b128 off, v[2:5], off offset:48
	s_wait_loadcnt 0x0
	ds_store_b128 v6, v[8:11]
.LBB11_79:
	s_wait_xcnt 0x0
	s_or_b32 exec_lo, exec_lo, s2
	s_wait_storecnt_dscnt 0x0
	s_barrier_signal -1
	s_barrier_wait -1
	s_clause 0x7
	scratch_load_b128 v[8:11], off, off offset:64
	scratch_load_b128 v[38:41], off, off offset:80
	;; [unrolled: 1-line block ×8, first 2 shown]
	ds_load_b128 v[66:69], v2 offset:256
	ds_load_b128 v[70:73], v2 offset:272
	scratch_load_b128 v[74:77], off, off offset:48
	s_mov_b32 s2, exec_lo
	s_wait_loadcnt_dscnt 0x801
	v_mul_f64_e32 v[4:5], v[68:69], v[10:11]
	v_mul_f64_e32 v[12:13], v[66:67], v[10:11]
	s_wait_loadcnt_dscnt 0x700
	v_mul_f64_e32 v[78:79], v[70:71], v[40:41]
	v_mul_f64_e32 v[40:41], v[72:73], v[40:41]
	s_delay_alu instid0(VALU_DEP_4) | instskip(NEXT) | instid1(VALU_DEP_4)
	v_fma_f64 v[4:5], v[66:67], v[8:9], -v[4:5]
	v_fmac_f64_e32 v[12:13], v[68:69], v[8:9]
	ds_load_b128 v[8:11], v2 offset:288
	ds_load_b128 v[66:69], v2 offset:304
	v_fmac_f64_e32 v[78:79], v[72:73], v[38:39]
	v_fma_f64 v[38:39], v[70:71], v[38:39], -v[40:41]
	s_wait_loadcnt_dscnt 0x601
	v_mul_f64_e32 v[80:81], v[8:9], v[44:45]
	v_mul_f64_e32 v[44:45], v[10:11], v[44:45]
	s_wait_loadcnt_dscnt 0x500
	v_mul_f64_e32 v[70:71], v[66:67], v[48:49]
	v_mul_f64_e32 v[48:49], v[68:69], v[48:49]
	v_add_f64_e32 v[4:5], 0, v[4:5]
	v_add_f64_e32 v[12:13], 0, v[12:13]
	v_fmac_f64_e32 v[80:81], v[10:11], v[42:43]
	v_fma_f64 v[42:43], v[8:9], v[42:43], -v[44:45]
	v_fmac_f64_e32 v[70:71], v[68:69], v[46:47]
	v_fma_f64 v[46:47], v[66:67], v[46:47], -v[48:49]
	v_add_f64_e32 v[4:5], v[4:5], v[38:39]
	v_add_f64_e32 v[12:13], v[12:13], v[78:79]
	ds_load_b128 v[8:11], v2 offset:320
	ds_load_b128 v[38:41], v2 offset:336
	s_wait_loadcnt_dscnt 0x401
	v_mul_f64_e32 v[44:45], v[8:9], v[52:53]
	v_mul_f64_e32 v[52:53], v[10:11], v[52:53]
	s_wait_loadcnt_dscnt 0x300
	v_mul_f64_e32 v[48:49], v[40:41], v[56:57]
	v_add_f64_e32 v[4:5], v[4:5], v[42:43]
	v_add_f64_e32 v[12:13], v[12:13], v[80:81]
	v_mul_f64_e32 v[42:43], v[38:39], v[56:57]
	v_fmac_f64_e32 v[44:45], v[10:11], v[50:51]
	v_fma_f64 v[50:51], v[8:9], v[50:51], -v[52:53]
	v_fma_f64 v[38:39], v[38:39], v[54:55], -v[48:49]
	v_add_f64_e32 v[46:47], v[4:5], v[46:47]
	v_add_f64_e32 v[12:13], v[12:13], v[70:71]
	ds_load_b128 v[8:11], v2 offset:352
	ds_load_b128 v[2:5], v2 offset:368
	v_fmac_f64_e32 v[42:43], v[40:41], v[54:55]
	s_wait_loadcnt_dscnt 0x201
	v_mul_f64_e32 v[52:53], v[8:9], v[60:61]
	v_mul_f64_e32 v[56:57], v[10:11], v[60:61]
	v_add_f64_e32 v[40:41], v[46:47], v[50:51]
	v_add_f64_e32 v[12:13], v[12:13], v[44:45]
	s_wait_loadcnt_dscnt 0x100
	v_mul_f64_e32 v[44:45], v[2:3], v[64:65]
	v_mul_f64_e32 v[46:47], v[4:5], v[64:65]
	v_fmac_f64_e32 v[52:53], v[10:11], v[58:59]
	v_fma_f64 v[8:9], v[8:9], v[58:59], -v[56:57]
	v_add_f64_e32 v[10:11], v[40:41], v[38:39]
	v_add_f64_e32 v[12:13], v[12:13], v[42:43]
	v_fmac_f64_e32 v[44:45], v[4:5], v[62:63]
	v_fma_f64 v[2:3], v[2:3], v[62:63], -v[46:47]
	s_delay_alu instid0(VALU_DEP_4) | instskip(NEXT) | instid1(VALU_DEP_4)
	v_add_f64_e32 v[4:5], v[10:11], v[8:9]
	v_add_f64_e32 v[8:9], v[12:13], v[52:53]
	s_delay_alu instid0(VALU_DEP_2) | instskip(NEXT) | instid1(VALU_DEP_2)
	v_add_f64_e32 v[2:3], v[4:5], v[2:3]
	v_add_f64_e32 v[4:5], v[8:9], v[44:45]
	s_wait_loadcnt 0x0
	s_delay_alu instid0(VALU_DEP_2) | instskip(NEXT) | instid1(VALU_DEP_2)
	v_add_f64_e64 v[2:3], v[74:75], -v[2:3]
	v_add_f64_e64 v[4:5], v[76:77], -v[4:5]
	scratch_store_b128 off, v[2:5], off offset:48
	s_wait_xcnt 0x0
	v_cmpx_lt_u32_e32 2, v1
	s_cbranch_execz .LBB11_81
; %bb.80:
	scratch_load_b128 v[2:5], off, s8
	v_mov_b32_e32 v8, 0
	s_delay_alu instid0(VALU_DEP_1)
	v_dual_mov_b32 v9, v8 :: v_dual_mov_b32 v10, v8
	v_mov_b32_e32 v11, v8
	scratch_store_b128 off, v[8:11], off offset:32
	s_wait_loadcnt 0x0
	ds_store_b128 v6, v[2:5]
.LBB11_81:
	s_wait_xcnt 0x0
	s_or_b32 exec_lo, exec_lo, s2
	s_wait_storecnt_dscnt 0x0
	s_barrier_signal -1
	s_barrier_wait -1
	s_clause 0x8
	scratch_load_b128 v[8:11], off, off offset:48
	scratch_load_b128 v[38:41], off, off offset:64
	;; [unrolled: 1-line block ×9, first 2 shown]
	v_mov_b32_e32 v2, 0
	scratch_load_b128 v[74:77], off, off offset:32
	s_mov_b32 s2, exec_lo
	v_dual_ashrrev_i32 v21, 31, v20 :: v_dual_ashrrev_i32 v19, 31, v18
	ds_load_b128 v[70:73], v2 offset:240
	ds_load_b128 v[78:81], v2 offset:256
	v_ashrrev_i32_e32 v23, 31, v22
	v_dual_ashrrev_i32 v27, 31, v26 :: v_dual_ashrrev_i32 v25, 31, v24
	v_ashrrev_i32_e32 v31, 31, v30
	v_dual_ashrrev_i32 v35, 31, v34 :: v_dual_ashrrev_i32 v29, 31, v28
	v_ashrrev_i32_e32 v33, 31, v32
	s_wait_loadcnt_dscnt 0x901
	v_dual_mul_f64 v[4:5], v[72:73], v[10:11] :: v_dual_ashrrev_i32 v37, 31, v36
	v_mul_f64_e32 v[12:13], v[70:71], v[10:11]
	s_wait_loadcnt_dscnt 0x800
	v_mul_f64_e32 v[82:83], v[78:79], v[40:41]
	v_mul_f64_e32 v[40:41], v[80:81], v[40:41]
	s_delay_alu instid0(VALU_DEP_4) | instskip(NEXT) | instid1(VALU_DEP_4)
	v_fma_f64 v[4:5], v[70:71], v[8:9], -v[4:5]
	v_fmac_f64_e32 v[12:13], v[72:73], v[8:9]
	ds_load_b128 v[8:11], v2 offset:272
	ds_load_b128 v[70:73], v2 offset:288
	v_fmac_f64_e32 v[82:83], v[80:81], v[38:39]
	v_fma_f64 v[38:39], v[78:79], v[38:39], -v[40:41]
	s_wait_loadcnt_dscnt 0x701
	v_mul_f64_e32 v[84:85], v[8:9], v[44:45]
	v_mul_f64_e32 v[44:45], v[10:11], v[44:45]
	s_wait_loadcnt_dscnt 0x600
	v_mul_f64_e32 v[78:79], v[70:71], v[48:49]
	v_mul_f64_e32 v[48:49], v[72:73], v[48:49]
	v_add_f64_e32 v[4:5], 0, v[4:5]
	v_add_f64_e32 v[12:13], 0, v[12:13]
	v_fmac_f64_e32 v[84:85], v[10:11], v[42:43]
	v_fma_f64 v[42:43], v[8:9], v[42:43], -v[44:45]
	v_fmac_f64_e32 v[78:79], v[72:73], v[46:47]
	v_fma_f64 v[46:47], v[70:71], v[46:47], -v[48:49]
	v_add_f64_e32 v[4:5], v[4:5], v[38:39]
	v_add_f64_e32 v[12:13], v[12:13], v[82:83]
	ds_load_b128 v[8:11], v2 offset:304
	ds_load_b128 v[38:41], v2 offset:320
	s_wait_loadcnt_dscnt 0x501
	v_mul_f64_e32 v[80:81], v[8:9], v[52:53]
	v_mul_f64_e32 v[44:45], v[10:11], v[52:53]
	s_wait_loadcnt_dscnt 0x400
	v_mul_f64_e32 v[48:49], v[38:39], v[56:57]
	v_mul_f64_e32 v[52:53], v[40:41], v[56:57]
	v_add_f64_e32 v[4:5], v[4:5], v[42:43]
	v_add_f64_e32 v[12:13], v[12:13], v[84:85]
	v_fmac_f64_e32 v[80:81], v[10:11], v[50:51]
	v_fma_f64 v[50:51], v[8:9], v[50:51], -v[44:45]
	ds_load_b128 v[8:11], v2 offset:336
	ds_load_b128 v[42:45], v2 offset:352
	v_fmac_f64_e32 v[48:49], v[40:41], v[54:55]
	v_fma_f64 v[38:39], v[38:39], v[54:55], -v[52:53]
	v_add_f64_e32 v[4:5], v[4:5], v[46:47]
	v_add_f64_e32 v[12:13], v[12:13], v[78:79]
	s_wait_loadcnt_dscnt 0x301
	v_mul_f64_e32 v[46:47], v[8:9], v[60:61]
	v_mul_f64_e32 v[56:57], v[10:11], v[60:61]
	s_wait_loadcnt_dscnt 0x200
	v_mul_f64_e32 v[40:41], v[42:43], v[64:65]
	v_add_f64_e32 v[4:5], v[4:5], v[50:51]
	v_add_f64_e32 v[12:13], v[12:13], v[80:81]
	v_mul_f64_e32 v[50:51], v[44:45], v[64:65]
	v_fmac_f64_e32 v[46:47], v[10:11], v[58:59]
	v_fma_f64 v[52:53], v[8:9], v[58:59], -v[56:57]
	ds_load_b128 v[8:11], v2 offset:368
	v_fmac_f64_e32 v[40:41], v[44:45], v[62:63]
	v_add_f64_e32 v[4:5], v[4:5], v[38:39]
	v_add_f64_e32 v[12:13], v[12:13], v[48:49]
	s_wait_loadcnt_dscnt 0x100
	v_mul_f64_e32 v[38:39], v[8:9], v[68:69]
	v_mul_f64_e32 v[48:49], v[10:11], v[68:69]
	v_fma_f64 v[42:43], v[42:43], v[62:63], -v[50:51]
	v_add_f64_e32 v[4:5], v[4:5], v[52:53]
	v_add_f64_e32 v[12:13], v[12:13], v[46:47]
	v_fmac_f64_e32 v[38:39], v[10:11], v[66:67]
	v_fma_f64 v[8:9], v[8:9], v[66:67], -v[48:49]
	s_delay_alu instid0(VALU_DEP_4) | instskip(NEXT) | instid1(VALU_DEP_4)
	v_add_f64_e32 v[4:5], v[4:5], v[42:43]
	v_add_f64_e32 v[10:11], v[12:13], v[40:41]
	s_delay_alu instid0(VALU_DEP_2) | instskip(NEXT) | instid1(VALU_DEP_2)
	v_add_f64_e32 v[4:5], v[4:5], v[8:9]
	v_add_f64_e32 v[10:11], v[10:11], v[38:39]
	s_wait_loadcnt 0x0
	s_delay_alu instid0(VALU_DEP_2) | instskip(NEXT) | instid1(VALU_DEP_2)
	v_add_f64_e64 v[8:9], v[74:75], -v[4:5]
	v_add_f64_e64 v[10:11], v[76:77], -v[10:11]
	scratch_store_b128 off, v[8:11], off offset:32
	s_wait_xcnt 0x0
	v_cmpx_lt_u32_e32 1, v1
	s_cbranch_execz .LBB11_83
; %bb.82:
	scratch_load_b128 v[8:11], off, s11
	v_dual_mov_b32 v3, v2 :: v_dual_mov_b32 v4, v2
	v_mov_b32_e32 v5, v2
	scratch_store_b128 off, v[2:5], off offset:16
	s_wait_loadcnt 0x0
	ds_store_b128 v6, v[8:11]
.LBB11_83:
	s_wait_xcnt 0x0
	s_or_b32 exec_lo, exec_lo, s2
	s_wait_storecnt_dscnt 0x0
	s_barrier_signal -1
	s_barrier_wait -1
	s_clause 0x9
	scratch_load_b128 v[8:11], off, off offset:32
	scratch_load_b128 v[38:41], off, off offset:48
	;; [unrolled: 1-line block ×10, first 2 shown]
	ds_load_b128 v[74:77], v2 offset:224
	ds_load_b128 v[78:81], v2 offset:240
	scratch_load_b128 v[82:85], off, off offset:16
	s_mov_b32 s2, exec_lo
	s_wait_loadcnt_dscnt 0xa01
	v_mul_f64_e32 v[4:5], v[76:77], v[10:11]
	v_mul_f64_e32 v[12:13], v[74:75], v[10:11]
	s_wait_loadcnt_dscnt 0x900
	v_mul_f64_e32 v[86:87], v[78:79], v[40:41]
	v_mul_f64_e32 v[40:41], v[80:81], v[40:41]
	s_delay_alu instid0(VALU_DEP_4) | instskip(NEXT) | instid1(VALU_DEP_4)
	v_fma_f64 v[4:5], v[74:75], v[8:9], -v[4:5]
	v_fmac_f64_e32 v[12:13], v[76:77], v[8:9]
	ds_load_b128 v[8:11], v2 offset:256
	ds_load_b128 v[74:77], v2 offset:272
	v_fmac_f64_e32 v[86:87], v[80:81], v[38:39]
	v_fma_f64 v[38:39], v[78:79], v[38:39], -v[40:41]
	s_wait_loadcnt_dscnt 0x801
	v_mul_f64_e32 v[88:89], v[8:9], v[44:45]
	v_mul_f64_e32 v[44:45], v[10:11], v[44:45]
	s_wait_loadcnt_dscnt 0x700
	v_mul_f64_e32 v[78:79], v[74:75], v[48:49]
	v_mul_f64_e32 v[48:49], v[76:77], v[48:49]
	v_add_f64_e32 v[4:5], 0, v[4:5]
	v_add_f64_e32 v[12:13], 0, v[12:13]
	v_fmac_f64_e32 v[88:89], v[10:11], v[42:43]
	v_fma_f64 v[42:43], v[8:9], v[42:43], -v[44:45]
	v_fmac_f64_e32 v[78:79], v[76:77], v[46:47]
	v_fma_f64 v[46:47], v[74:75], v[46:47], -v[48:49]
	v_add_f64_e32 v[4:5], v[4:5], v[38:39]
	v_add_f64_e32 v[12:13], v[12:13], v[86:87]
	ds_load_b128 v[8:11], v2 offset:288
	ds_load_b128 v[38:41], v2 offset:304
	s_wait_loadcnt_dscnt 0x601
	v_mul_f64_e32 v[80:81], v[8:9], v[52:53]
	v_mul_f64_e32 v[44:45], v[10:11], v[52:53]
	s_wait_loadcnt_dscnt 0x500
	v_mul_f64_e32 v[48:49], v[38:39], v[56:57]
	v_mul_f64_e32 v[52:53], v[40:41], v[56:57]
	v_add_f64_e32 v[4:5], v[4:5], v[42:43]
	v_add_f64_e32 v[12:13], v[12:13], v[88:89]
	v_fmac_f64_e32 v[80:81], v[10:11], v[50:51]
	v_fma_f64 v[50:51], v[8:9], v[50:51], -v[44:45]
	ds_load_b128 v[8:11], v2 offset:320
	ds_load_b128 v[42:45], v2 offset:336
	v_fmac_f64_e32 v[48:49], v[40:41], v[54:55]
	v_fma_f64 v[38:39], v[38:39], v[54:55], -v[52:53]
	v_add_f64_e32 v[4:5], v[4:5], v[46:47]
	v_add_f64_e32 v[12:13], v[12:13], v[78:79]
	s_wait_loadcnt_dscnt 0x401
	v_mul_f64_e32 v[46:47], v[8:9], v[60:61]
	v_mul_f64_e32 v[56:57], v[10:11], v[60:61]
	s_wait_loadcnt_dscnt 0x300
	v_mul_f64_e32 v[40:41], v[42:43], v[64:65]
	v_add_f64_e32 v[4:5], v[4:5], v[50:51]
	v_add_f64_e32 v[12:13], v[12:13], v[80:81]
	v_mul_f64_e32 v[50:51], v[44:45], v[64:65]
	v_fmac_f64_e32 v[46:47], v[10:11], v[58:59]
	v_fma_f64 v[52:53], v[8:9], v[58:59], -v[56:57]
	v_fmac_f64_e32 v[40:41], v[44:45], v[62:63]
	v_add_f64_e32 v[38:39], v[4:5], v[38:39]
	v_add_f64_e32 v[12:13], v[12:13], v[48:49]
	ds_load_b128 v[8:11], v2 offset:352
	ds_load_b128 v[2:5], v2 offset:368
	v_fma_f64 v[42:43], v[42:43], v[62:63], -v[50:51]
	s_wait_loadcnt_dscnt 0x201
	v_mul_f64_e32 v[48:49], v[8:9], v[68:69]
	v_mul_f64_e32 v[54:55], v[10:11], v[68:69]
	s_wait_loadcnt_dscnt 0x100
	v_mul_f64_e32 v[44:45], v[2:3], v[72:73]
	v_add_f64_e32 v[38:39], v[38:39], v[52:53]
	v_add_f64_e32 v[12:13], v[12:13], v[46:47]
	v_mul_f64_e32 v[46:47], v[4:5], v[72:73]
	v_fmac_f64_e32 v[48:49], v[10:11], v[66:67]
	v_fma_f64 v[8:9], v[8:9], v[66:67], -v[54:55]
	v_fmac_f64_e32 v[44:45], v[4:5], v[70:71]
	v_add_f64_e32 v[10:11], v[38:39], v[42:43]
	v_add_f64_e32 v[12:13], v[12:13], v[40:41]
	v_fma_f64 v[2:3], v[2:3], v[70:71], -v[46:47]
	s_delay_alu instid0(VALU_DEP_3) | instskip(NEXT) | instid1(VALU_DEP_3)
	v_add_f64_e32 v[4:5], v[10:11], v[8:9]
	v_add_f64_e32 v[8:9], v[12:13], v[48:49]
	s_delay_alu instid0(VALU_DEP_2) | instskip(NEXT) | instid1(VALU_DEP_2)
	v_add_f64_e32 v[2:3], v[4:5], v[2:3]
	v_add_f64_e32 v[4:5], v[8:9], v[44:45]
	s_wait_loadcnt 0x0
	s_delay_alu instid0(VALU_DEP_2) | instskip(NEXT) | instid1(VALU_DEP_2)
	v_add_f64_e64 v[2:3], v[82:83], -v[2:3]
	v_add_f64_e64 v[4:5], v[84:85], -v[4:5]
	scratch_store_b128 off, v[2:5], off offset:16
	s_wait_xcnt 0x0
	v_cmpx_ne_u32_e32 0, v1
	s_cbranch_execz .LBB11_85
; %bb.84:
	scratch_load_b128 v[2:5], off, off
	v_mov_b32_e32 v8, 0
	s_delay_alu instid0(VALU_DEP_1)
	v_dual_mov_b32 v9, v8 :: v_dual_mov_b32 v10, v8
	v_mov_b32_e32 v11, v8
	scratch_store_b128 off, v[8:11], off
	s_wait_loadcnt 0x0
	ds_store_b128 v6, v[2:5]
.LBB11_85:
	s_wait_xcnt 0x0
	s_or_b32 exec_lo, exec_lo, s2
	s_wait_storecnt_dscnt 0x0
	s_barrier_signal -1
	s_barrier_wait -1
	s_clause 0x9
	scratch_load_b128 v[2:5], off, off offset:16
	scratch_load_b128 v[6:9], off, off offset:32
	;; [unrolled: 1-line block ×10, first 2 shown]
	v_mov_b32_e32 v38, 0
	s_and_b32 vcc_lo, exec_lo, s23
	ds_load_b128 v[68:71], v38 offset:208
	s_clause 0x1
	scratch_load_b128 v[72:75], off, off offset:176
	scratch_load_b128 v[76:79], off, off
	s_wait_loadcnt_dscnt 0xb00
	v_mul_f64_e32 v[84:85], v[70:71], v[4:5]
	v_mul_f64_e32 v[86:87], v[68:69], v[4:5]
	ds_load_b128 v[80:83], v38 offset:224
	s_wait_loadcnt_dscnt 0xa00
	v_mul_f64_e32 v[88:89], v[80:81], v[8:9]
	v_mul_f64_e32 v[8:9], v[82:83], v[8:9]
	v_fma_f64 v[84:85], v[68:69], v[2:3], -v[84:85]
	v_fmac_f64_e32 v[86:87], v[70:71], v[2:3]
	ds_load_b128 v[2:5], v38 offset:240
	ds_load_b128 v[68:71], v38 offset:256
	s_wait_loadcnt_dscnt 0x901
	v_mul_f64_e32 v[90:91], v[2:3], v[12:13]
	v_mul_f64_e32 v[12:13], v[4:5], v[12:13]
	v_fmac_f64_e32 v[88:89], v[82:83], v[6:7]
	v_fma_f64 v[6:7], v[80:81], v[6:7], -v[8:9]
	s_wait_loadcnt_dscnt 0x800
	v_mul_f64_e32 v[82:83], v[68:69], v[42:43]
	v_mul_f64_e32 v[42:43], v[70:71], v[42:43]
	v_add_f64_e32 v[8:9], 0, v[84:85]
	v_add_f64_e32 v[80:81], 0, v[86:87]
	v_fmac_f64_e32 v[90:91], v[4:5], v[10:11]
	v_fma_f64 v[10:11], v[2:3], v[10:11], -v[12:13]
	v_fmac_f64_e32 v[82:83], v[70:71], v[40:41]
	v_fma_f64 v[40:41], v[68:69], v[40:41], -v[42:43]
	v_add_f64_e32 v[12:13], v[8:9], v[6:7]
	v_add_f64_e32 v[80:81], v[80:81], v[88:89]
	ds_load_b128 v[2:5], v38 offset:272
	ds_load_b128 v[6:9], v38 offset:288
	s_wait_loadcnt_dscnt 0x701
	v_mul_f64_e32 v[84:85], v[2:3], v[46:47]
	v_mul_f64_e32 v[46:47], v[4:5], v[46:47]
	s_wait_loadcnt_dscnt 0x600
	v_mul_f64_e32 v[42:43], v[6:7], v[50:51]
	v_mul_f64_e32 v[50:51], v[8:9], v[50:51]
	v_add_f64_e32 v[10:11], v[12:13], v[10:11]
	v_add_f64_e32 v[12:13], v[80:81], v[90:91]
	v_fmac_f64_e32 v[84:85], v[4:5], v[44:45]
	v_fma_f64 v[44:45], v[2:3], v[44:45], -v[46:47]
	v_fmac_f64_e32 v[42:43], v[8:9], v[48:49]
	v_fma_f64 v[6:7], v[6:7], v[48:49], -v[50:51]
	v_add_f64_e32 v[40:41], v[10:11], v[40:41]
	v_add_f64_e32 v[46:47], v[12:13], v[82:83]
	ds_load_b128 v[2:5], v38 offset:304
	ds_load_b128 v[10:13], v38 offset:320
	s_wait_loadcnt_dscnt 0x501
	v_mul_f64_e32 v[68:69], v[2:3], v[54:55]
	v_mul_f64_e32 v[54:55], v[4:5], v[54:55]
	v_add_f64_e32 v[8:9], v[40:41], v[44:45]
	v_add_f64_e32 v[40:41], v[46:47], v[84:85]
	s_wait_loadcnt_dscnt 0x400
	v_mul_f64_e32 v[44:45], v[10:11], v[58:59]
	v_mul_f64_e32 v[46:47], v[12:13], v[58:59]
	v_fmac_f64_e32 v[68:69], v[4:5], v[52:53]
	v_fma_f64 v[48:49], v[2:3], v[52:53], -v[54:55]
	v_add_f64_e32 v[50:51], v[8:9], v[6:7]
	v_add_f64_e32 v[40:41], v[40:41], v[42:43]
	ds_load_b128 v[2:5], v38 offset:336
	ds_load_b128 v[6:9], v38 offset:352
	v_fmac_f64_e32 v[44:45], v[12:13], v[56:57]
	v_fma_f64 v[10:11], v[10:11], v[56:57], -v[46:47]
	s_wait_loadcnt_dscnt 0x301
	v_mul_f64_e32 v[42:43], v[2:3], v[62:63]
	v_mul_f64_e32 v[52:53], v[4:5], v[62:63]
	s_wait_loadcnt_dscnt 0x200
	v_mul_f64_e32 v[46:47], v[6:7], v[66:67]
	v_add_f64_e32 v[12:13], v[50:51], v[48:49]
	v_add_f64_e32 v[40:41], v[40:41], v[68:69]
	v_mul_f64_e32 v[48:49], v[8:9], v[66:67]
	v_fmac_f64_e32 v[42:43], v[4:5], v[60:61]
	v_fma_f64 v[50:51], v[2:3], v[60:61], -v[52:53]
	ds_load_b128 v[2:5], v38 offset:368
	v_fmac_f64_e32 v[46:47], v[8:9], v[64:65]
	v_add_f64_e32 v[10:11], v[12:13], v[10:11]
	v_add_f64_e32 v[12:13], v[40:41], v[44:45]
	v_fma_f64 v[6:7], v[6:7], v[64:65], -v[48:49]
	s_wait_loadcnt_dscnt 0x100
	v_mul_f64_e32 v[40:41], v[2:3], v[74:75]
	v_mul_f64_e32 v[44:45], v[4:5], v[74:75]
	v_add_f64_e32 v[8:9], v[10:11], v[50:51]
	v_add_f64_e32 v[10:11], v[12:13], v[42:43]
	v_lshl_add_u64 v[12:13], v[28:29], 4, s[4:5]
	v_fmac_f64_e32 v[40:41], v[4:5], v[72:73]
	v_fma_f64 v[2:3], v[2:3], v[72:73], -v[44:45]
	v_add_f64_e32 v[4:5], v[8:9], v[6:7]
	v_add_f64_e32 v[6:7], v[10:11], v[46:47]
	v_lshl_add_u64 v[8:9], v[24:25], 4, s[4:5]
	v_lshl_add_u64 v[10:11], v[26:27], 4, s[4:5]
	;; [unrolled: 1-line block ×3, first 2 shown]
	v_add_f64_e32 v[2:3], v[4:5], v[2:3]
	v_add_f64_e32 v[4:5], v[6:7], v[40:41]
	v_lshl_add_u64 v[6:7], v[22:23], 4, s[4:5]
	v_lshl_add_u64 v[22:23], v[34:35], 4, s[4:5]
	s_wait_loadcnt 0x0
	s_delay_alu instid0(VALU_DEP_4) | instskip(NEXT) | instid1(VALU_DEP_4)
	v_add_f64_e64 v[40:41], v[76:77], -v[2:3]
	v_add_f64_e64 v[42:43], v[78:79], -v[4:5]
	v_lshl_add_u64 v[2:3], v[18:19], 4, s[4:5]
	v_lshl_add_u64 v[4:5], v[20:21], 4, s[4:5]
	;; [unrolled: 1-line block ×4, first 2 shown]
	scratch_store_b128 off, v[40:43], off
	s_cbranch_vccz .LBB11_108
; %bb.86:
	global_load_b32 v26, v38, s[16:17] offset:40
	s_load_b64 s[2:3], s[0:1], 0x4
	v_bfe_u32 v27, v0, 10, 10
	v_bfe_u32 v0, v0, 20, 10
	s_wait_kmcnt 0x0
	s_lshr_b32 s0, s2, 16
	s_delay_alu instid0(VALU_DEP_2) | instskip(SKIP_1) | instid1(SALU_CYCLE_1)
	v_mul_u32_u24_e32 v27, s3, v27
	s_mul_i32 s0, s0, s3
	v_mul_u32_u24_e32 v1, s0, v1
	s_delay_alu instid0(VALU_DEP_1) | instskip(NEXT) | instid1(VALU_DEP_1)
	v_add3_u32 v0, v1, v27, v0
	v_lshl_add_u32 v0, v0, 4, 0x188
	s_wait_loadcnt 0x0
	v_cmp_ne_u32_e32 vcc_lo, 11, v26
	s_cbranch_vccz .LBB11_88
; %bb.87:
	v_lshlrev_b32_e32 v1, 4, v26
	s_clause 0x1
	scratch_load_b128 v[26:29], off, s21
	scratch_load_b128 v[30:33], v1, off offset:-16
	s_wait_loadcnt 0x1
	ds_store_2addr_b64 v0, v[26:27], v[28:29] offset1:1
	s_wait_loadcnt 0x0
	s_clause 0x1
	scratch_store_b128 off, v[30:33], s21
	scratch_store_b128 v1, v[26:29], off offset:-16
.LBB11_88:
	s_wait_xcnt 0x0
	v_mov_b32_e32 v1, 0
	global_load_b32 v26, v1, s[16:17] offset:36
	s_wait_loadcnt 0x0
	v_cmp_eq_u32_e32 vcc_lo, 10, v26
	s_cbranch_vccnz .LBB11_90
; %bb.89:
	v_lshlrev_b32_e32 v26, 4, v26
	s_delay_alu instid0(VALU_DEP_1)
	v_mov_b32_e32 v34, v26
	s_clause 0x1
	scratch_load_b128 v[26:29], off, s15
	scratch_load_b128 v[30:33], v34, off offset:-16
	s_wait_loadcnt 0x1
	ds_store_2addr_b64 v0, v[26:27], v[28:29] offset1:1
	s_wait_loadcnt 0x0
	s_clause 0x1
	scratch_store_b128 off, v[30:33], s15
	scratch_store_b128 v34, v[26:29], off offset:-16
.LBB11_90:
	global_load_b32 v1, v1, s[16:17] offset:32
	s_wait_loadcnt 0x0
	v_cmp_eq_u32_e32 vcc_lo, 9, v1
	s_cbranch_vccnz .LBB11_92
; %bb.91:
	s_wait_xcnt 0x0
	v_lshlrev_b32_e32 v1, 4, v1
	s_clause 0x1
	scratch_load_b128 v[26:29], off, s13
	scratch_load_b128 v[30:33], v1, off offset:-16
	s_wait_loadcnt 0x1
	ds_store_2addr_b64 v0, v[26:27], v[28:29] offset1:1
	s_wait_loadcnt 0x0
	s_clause 0x1
	scratch_store_b128 off, v[30:33], s13
	scratch_store_b128 v1, v[26:29], off offset:-16
.LBB11_92:
	s_wait_xcnt 0x0
	v_mov_b32_e32 v1, 0
	global_load_b32 v26, v1, s[16:17] offset:28
	s_wait_loadcnt 0x0
	v_cmp_eq_u32_e32 vcc_lo, 8, v26
	s_cbranch_vccnz .LBB11_94
; %bb.93:
	v_lshlrev_b32_e32 v26, 4, v26
	s_delay_alu instid0(VALU_DEP_1)
	v_mov_b32_e32 v34, v26
	s_clause 0x1
	scratch_load_b128 v[26:29], off, s20
	scratch_load_b128 v[30:33], v34, off offset:-16
	s_wait_loadcnt 0x1
	ds_store_2addr_b64 v0, v[26:27], v[28:29] offset1:1
	s_wait_loadcnt 0x0
	s_clause 0x1
	scratch_store_b128 off, v[30:33], s20
	scratch_store_b128 v34, v[26:29], off offset:-16
.LBB11_94:
	global_load_b32 v1, v1, s[16:17] offset:24
	s_wait_loadcnt 0x0
	v_cmp_eq_u32_e32 vcc_lo, 7, v1
	s_cbranch_vccnz .LBB11_96
; %bb.95:
	s_wait_xcnt 0x0
	v_lshlrev_b32_e32 v1, 4, v1
	s_clause 0x1
	scratch_load_b128 v[26:29], off, s14
	scratch_load_b128 v[30:33], v1, off offset:-16
	s_wait_loadcnt 0x1
	ds_store_2addr_b64 v0, v[26:27], v[28:29] offset1:1
	s_wait_loadcnt 0x0
	s_clause 0x1
	scratch_store_b128 off, v[30:33], s14
	scratch_store_b128 v1, v[26:29], off offset:-16
.LBB11_96:
	;; [unrolled: 37-line block ×4, first 2 shown]
	s_wait_xcnt 0x0
	v_mov_b32_e32 v1, 0
	global_load_b32 v26, v1, s[16:17] offset:4
	s_wait_loadcnt 0x0
	v_cmp_eq_u32_e32 vcc_lo, 2, v26
	s_cbranch_vccnz .LBB11_106
; %bb.105:
	v_lshlrev_b32_e32 v26, 4, v26
	s_delay_alu instid0(VALU_DEP_1)
	v_mov_b32_e32 v34, v26
	s_clause 0x1
	scratch_load_b128 v[26:29], off, s11
	scratch_load_b128 v[30:33], v34, off offset:-16
	s_wait_loadcnt 0x1
	ds_store_2addr_b64 v0, v[26:27], v[28:29] offset1:1
	s_wait_loadcnt 0x0
	s_clause 0x1
	scratch_store_b128 off, v[30:33], s11
	scratch_store_b128 v34, v[26:29], off offset:-16
.LBB11_106:
	global_load_b32 v1, v1, s[16:17]
	s_wait_loadcnt 0x0
	v_cmp_eq_u32_e32 vcc_lo, 1, v1
	s_cbranch_vccnz .LBB11_108
; %bb.107:
	s_wait_xcnt 0x0
	v_lshlrev_b32_e32 v1, 4, v1
	scratch_load_b128 v[26:29], off, off
	scratch_load_b128 v[30:33], v1, off offset:-16
	s_wait_loadcnt 0x1
	ds_store_2addr_b64 v0, v[26:27], v[28:29] offset1:1
	s_wait_loadcnt 0x0
	scratch_store_b128 off, v[30:33], off
	scratch_store_b128 v1, v[26:29], off offset:-16
.LBB11_108:
	scratch_load_b128 v[26:29], off, off
	s_clause 0xa
	scratch_load_b128 v[30:33], off, s11
	scratch_load_b128 v[34:37], off, s8
	;; [unrolled: 1-line block ×11, first 2 shown]
	s_wait_loadcnt 0xb
	global_store_b128 v[14:15], v[26:29], off
	s_wait_loadcnt 0xa
	global_store_b128 v[16:17], v[30:33], off
	;; [unrolled: 2-line block ×12, first 2 shown]
	s_sendmsg sendmsg(MSG_DEALLOC_VGPRS)
	s_endpgm
	.section	.rodata,"a",@progbits
	.p2align	6, 0x0
	.amdhsa_kernel _ZN9rocsolver6v33100L18getri_kernel_smallILi12E19rocblas_complex_numIdEPS3_EEvT1_iilPiilS6_bb
		.amdhsa_group_segment_fixed_size 1416
		.amdhsa_private_segment_fixed_size 208
		.amdhsa_kernarg_size 60
		.amdhsa_user_sgpr_count 4
		.amdhsa_user_sgpr_dispatch_ptr 1
		.amdhsa_user_sgpr_queue_ptr 0
		.amdhsa_user_sgpr_kernarg_segment_ptr 1
		.amdhsa_user_sgpr_dispatch_id 0
		.amdhsa_user_sgpr_kernarg_preload_length 0
		.amdhsa_user_sgpr_kernarg_preload_offset 0
		.amdhsa_user_sgpr_private_segment_size 0
		.amdhsa_wavefront_size32 1
		.amdhsa_uses_dynamic_stack 0
		.amdhsa_enable_private_segment 1
		.amdhsa_system_sgpr_workgroup_id_x 1
		.amdhsa_system_sgpr_workgroup_id_y 0
		.amdhsa_system_sgpr_workgroup_id_z 0
		.amdhsa_system_sgpr_workgroup_info 0
		.amdhsa_system_vgpr_workitem_id 2
		.amdhsa_next_free_vgpr 92
		.amdhsa_next_free_sgpr 27
		.amdhsa_named_barrier_count 0
		.amdhsa_reserve_vcc 1
		.amdhsa_float_round_mode_32 0
		.amdhsa_float_round_mode_16_64 0
		.amdhsa_float_denorm_mode_32 3
		.amdhsa_float_denorm_mode_16_64 3
		.amdhsa_fp16_overflow 0
		.amdhsa_memory_ordered 1
		.amdhsa_forward_progress 1
		.amdhsa_inst_pref_size 89
		.amdhsa_round_robin_scheduling 0
		.amdhsa_exception_fp_ieee_invalid_op 0
		.amdhsa_exception_fp_denorm_src 0
		.amdhsa_exception_fp_ieee_div_zero 0
		.amdhsa_exception_fp_ieee_overflow 0
		.amdhsa_exception_fp_ieee_underflow 0
		.amdhsa_exception_fp_ieee_inexact 0
		.amdhsa_exception_int_div_zero 0
	.end_amdhsa_kernel
	.section	.text._ZN9rocsolver6v33100L18getri_kernel_smallILi12E19rocblas_complex_numIdEPS3_EEvT1_iilPiilS6_bb,"axG",@progbits,_ZN9rocsolver6v33100L18getri_kernel_smallILi12E19rocblas_complex_numIdEPS3_EEvT1_iilPiilS6_bb,comdat
.Lfunc_end11:
	.size	_ZN9rocsolver6v33100L18getri_kernel_smallILi12E19rocblas_complex_numIdEPS3_EEvT1_iilPiilS6_bb, .Lfunc_end11-_ZN9rocsolver6v33100L18getri_kernel_smallILi12E19rocblas_complex_numIdEPS3_EEvT1_iilPiilS6_bb
                                        ; -- End function
	.set _ZN9rocsolver6v33100L18getri_kernel_smallILi12E19rocblas_complex_numIdEPS3_EEvT1_iilPiilS6_bb.num_vgpr, 92
	.set _ZN9rocsolver6v33100L18getri_kernel_smallILi12E19rocblas_complex_numIdEPS3_EEvT1_iilPiilS6_bb.num_agpr, 0
	.set _ZN9rocsolver6v33100L18getri_kernel_smallILi12E19rocblas_complex_numIdEPS3_EEvT1_iilPiilS6_bb.numbered_sgpr, 27
	.set _ZN9rocsolver6v33100L18getri_kernel_smallILi12E19rocblas_complex_numIdEPS3_EEvT1_iilPiilS6_bb.num_named_barrier, 0
	.set _ZN9rocsolver6v33100L18getri_kernel_smallILi12E19rocblas_complex_numIdEPS3_EEvT1_iilPiilS6_bb.private_seg_size, 208
	.set _ZN9rocsolver6v33100L18getri_kernel_smallILi12E19rocblas_complex_numIdEPS3_EEvT1_iilPiilS6_bb.uses_vcc, 1
	.set _ZN9rocsolver6v33100L18getri_kernel_smallILi12E19rocblas_complex_numIdEPS3_EEvT1_iilPiilS6_bb.uses_flat_scratch, 1
	.set _ZN9rocsolver6v33100L18getri_kernel_smallILi12E19rocblas_complex_numIdEPS3_EEvT1_iilPiilS6_bb.has_dyn_sized_stack, 0
	.set _ZN9rocsolver6v33100L18getri_kernel_smallILi12E19rocblas_complex_numIdEPS3_EEvT1_iilPiilS6_bb.has_recursion, 0
	.set _ZN9rocsolver6v33100L18getri_kernel_smallILi12E19rocblas_complex_numIdEPS3_EEvT1_iilPiilS6_bb.has_indirect_call, 0
	.section	.AMDGPU.csdata,"",@progbits
; Kernel info:
; codeLenInByte = 11344
; TotalNumSgprs: 29
; NumVgprs: 92
; ScratchSize: 208
; MemoryBound: 0
; FloatMode: 240
; IeeeMode: 1
; LDSByteSize: 1416 bytes/workgroup (compile time only)
; SGPRBlocks: 0
; VGPRBlocks: 5
; NumSGPRsForWavesPerEU: 29
; NumVGPRsForWavesPerEU: 92
; NamedBarCnt: 0
; Occupancy: 10
; WaveLimiterHint : 1
; COMPUTE_PGM_RSRC2:SCRATCH_EN: 1
; COMPUTE_PGM_RSRC2:USER_SGPR: 4
; COMPUTE_PGM_RSRC2:TRAP_HANDLER: 0
; COMPUTE_PGM_RSRC2:TGID_X_EN: 1
; COMPUTE_PGM_RSRC2:TGID_Y_EN: 0
; COMPUTE_PGM_RSRC2:TGID_Z_EN: 0
; COMPUTE_PGM_RSRC2:TIDIG_COMP_CNT: 2
	.section	.text._ZN9rocsolver6v33100L18getri_kernel_smallILi13E19rocblas_complex_numIdEPS3_EEvT1_iilPiilS6_bb,"axG",@progbits,_ZN9rocsolver6v33100L18getri_kernel_smallILi13E19rocblas_complex_numIdEPS3_EEvT1_iilPiilS6_bb,comdat
	.globl	_ZN9rocsolver6v33100L18getri_kernel_smallILi13E19rocblas_complex_numIdEPS3_EEvT1_iilPiilS6_bb ; -- Begin function _ZN9rocsolver6v33100L18getri_kernel_smallILi13E19rocblas_complex_numIdEPS3_EEvT1_iilPiilS6_bb
	.p2align	8
	.type	_ZN9rocsolver6v33100L18getri_kernel_smallILi13E19rocblas_complex_numIdEPS3_EEvT1_iilPiilS6_bb,@function
_ZN9rocsolver6v33100L18getri_kernel_smallILi13E19rocblas_complex_numIdEPS3_EEvT1_iilPiilS6_bb: ; @_ZN9rocsolver6v33100L18getri_kernel_smallILi13E19rocblas_complex_numIdEPS3_EEvT1_iilPiilS6_bb
; %bb.0:
	v_and_b32_e32 v1, 0x3ff, v0
	s_mov_b32 s4, exec_lo
	s_delay_alu instid0(VALU_DEP_1)
	v_cmpx_gt_u32_e32 13, v1
	s_cbranch_execz .LBB12_66
; %bb.1:
	s_clause 0x2
	s_load_b32 s8, s[2:3], 0x38
	s_load_b128 s[12:15], s[2:3], 0x10
	s_load_b128 s[4:7], s[2:3], 0x28
	s_getreg_b32 s11, hwreg(HW_REG_IB_STS2, 6, 4)
                                        ; implicit-def: $sgpr16_sgpr17
	s_wait_kmcnt 0x0
	s_bitcmp1_b32 s8, 8
	s_cselect_b32 s24, -1, 0
	s_bfe_u32 s9, ttmp6, 0x4000c
	s_and_b32 s10, ttmp6, 15
	s_add_co_i32 s9, s9, 1
	s_delay_alu instid0(SALU_CYCLE_1) | instskip(NEXT) | instid1(SALU_CYCLE_1)
	s_mul_i32 s9, ttmp9, s9
	s_add_co_i32 s10, s10, s9
	s_cmp_eq_u32 s11, 0
	s_cselect_b32 s18, ttmp9, s10
	s_bfe_u32 s8, s8, 0x10008
	s_ashr_i32 s19, s18, 31
	s_cmp_eq_u32 s8, 0
	s_cbranch_scc1 .LBB12_3
; %bb.2:
	s_load_b32 s8, s[2:3], 0x20
	s_mul_u64 s[4:5], s[4:5], s[18:19]
	s_delay_alu instid0(SALU_CYCLE_1) | instskip(NEXT) | instid1(SALU_CYCLE_1)
	s_lshl_b64 s[4:5], s[4:5], 2
	s_add_nc_u64 s[4:5], s[14:15], s[4:5]
	s_wait_kmcnt 0x0
	s_ashr_i32 s9, s8, 31
	s_delay_alu instid0(SALU_CYCLE_1) | instskip(NEXT) | instid1(SALU_CYCLE_1)
	s_lshl_b64 s[8:9], s[8:9], 2
	s_add_nc_u64 s[16:17], s[4:5], s[8:9]
.LBB12_3:
	s_clause 0x1
	s_load_b128 s[8:11], s[2:3], 0x0
	s_load_b32 s25, s[2:3], 0x38
	s_wait_xcnt 0x0
	s_mul_u64 s[2:3], s[12:13], s[18:19]
	v_dual_mov_b32 v41, 0 :: v_dual_lshlrev_b32 v40, 4, v1
	s_lshl_b64 s[2:3], s[2:3], 4
	s_movk_i32 s12, 0x50
	s_movk_i32 s14, 0x60
	;; [unrolled: 1-line block ×8, first 2 shown]
	s_wait_kmcnt 0x0
	v_add3_u32 v18, s11, s11, v1
	s_ashr_i32 s5, s10, 31
	s_mov_b32 s4, s10
	s_add_nc_u64 s[2:3], s[8:9], s[2:3]
	s_lshl_b64 s[4:5], s[4:5], 4
	v_add_nc_u32_e32 v20, s11, v18
	s_add_nc_u64 s[4:5], s[2:3], s[4:5]
	s_ashr_i32 s3, s11, 31
	v_add_nc_u64_e32 v[14:15], s[4:5], v[40:41]
	s_mov_b32 s2, s11
	v_add_nc_u32_e32 v22, s11, v20
	s_mov_b32 s8, 32
	s_mov_b32 s9, 48
	s_mov_b32 s10, 64
	s_bitcmp0_b32 s25, 0
	v_add_nc_u32_e32 v24, s11, v22
	v_lshl_add_u64 v[16:17], s[2:3], 4, v[14:15]
	s_mov_b32 s3, -1
	s_delay_alu instid0(VALU_DEP_2) | instskip(SKIP_4) | instid1(VALU_DEP_1)
	v_add_nc_u32_e32 v26, s11, v24
	s_clause 0x1
	global_load_b128 v[2:5], v18, s[4:5] scale_offset
	global_load_b128 v[6:9], v20, s[4:5] scale_offset
	v_add_nc_u32_e32 v28, s11, v26
	v_add_nc_u32_e32 v30, s11, v28
	s_clause 0x5
	global_load_b128 v[10:13], v1, s[4:5] scale_offset
	global_load_b128 v[42:45], v[16:17], off
	global_load_b128 v[46:49], v22, s[4:5] scale_offset
	global_load_b128 v[50:53], v24, s[4:5] scale_offset
	;; [unrolled: 1-line block ×4, first 2 shown]
	v_add_nc_u32_e32 v32, s11, v30
	s_delay_alu instid0(VALU_DEP_1) | instskip(NEXT) | instid1(VALU_DEP_1)
	v_add_nc_u32_e32 v34, s11, v32
	v_add_nc_u32_e32 v36, s11, v34
	s_delay_alu instid0(VALU_DEP_1)
	v_add_nc_u32_e32 v38, s11, v36
	s_clause 0x1
	global_load_b128 v[62:65], v30, s[4:5] scale_offset
	global_load_b128 v[66:69], v32, s[4:5] scale_offset
	s_mov_b32 s11, 16
	s_clause 0x2
	global_load_b128 v[70:73], v34, s[4:5] scale_offset
	global_load_b128 v[74:77], v36, s[4:5] scale_offset
	;; [unrolled: 1-line block ×3, first 2 shown]
	s_wait_loadcnt 0xc
	scratch_store_b128 off, v[2:5], off offset:32
	s_wait_loadcnt 0xb
	scratch_store_b128 off, v[6:9], off offset:48
	s_wait_loadcnt 0xa
	scratch_store_b128 off, v[10:13], off
	s_wait_loadcnt 0x9
	scratch_store_b128 off, v[42:45], off offset:16
	s_wait_loadcnt 0x8
	scratch_store_b128 off, v[46:49], off offset:64
	;; [unrolled: 2-line block ×10, first 2 shown]
	s_cbranch_scc1 .LBB12_64
; %bb.4:
	v_cmp_eq_u32_e64 s2, 0, v1
	s_wait_xcnt 0x0
	s_and_saveexec_b32 s3, s2
; %bb.5:
	v_mov_b32_e32 v2, 0
	ds_store_b32 v2, v2 offset:416
; %bb.6:
	s_or_b32 exec_lo, exec_lo, s3
	s_wait_storecnt_dscnt 0x0
	s_barrier_signal -1
	s_barrier_wait -1
	scratch_load_b128 v[2:5], v1, off scale_offset
	s_wait_loadcnt 0x0
	v_cmp_eq_f64_e32 vcc_lo, 0, v[2:3]
	v_cmp_eq_f64_e64 s3, 0, v[4:5]
	s_and_b32 s3, vcc_lo, s3
	s_delay_alu instid0(SALU_CYCLE_1)
	s_and_saveexec_b32 s25, s3
	s_cbranch_execz .LBB12_10
; %bb.7:
	v_mov_b32_e32 v2, 0
	s_mov_b32 s26, 0
	ds_load_b32 v3, v2 offset:416
	s_wait_dscnt 0x0
	v_readfirstlane_b32 s3, v3
	v_add_nc_u32_e32 v3, 1, v1
	s_cmp_eq_u32 s3, 0
	s_delay_alu instid0(VALU_DEP_1) | instskip(SKIP_1) | instid1(SALU_CYCLE_1)
	v_cmp_gt_i32_e32 vcc_lo, s3, v3
	s_cselect_b32 s27, -1, 0
	s_or_b32 s27, s27, vcc_lo
	s_delay_alu instid0(SALU_CYCLE_1)
	s_and_b32 exec_lo, exec_lo, s27
	s_cbranch_execz .LBB12_10
; %bb.8:
	v_mov_b32_e32 v4, s3
.LBB12_9:                               ; =>This Inner Loop Header: Depth=1
	ds_cmpstore_rtn_b32 v4, v2, v3, v4 offset:416
	s_wait_dscnt 0x0
	v_cmp_ne_u32_e32 vcc_lo, 0, v4
	v_cmp_le_i32_e64 s3, v4, v3
	s_and_b32 s3, vcc_lo, s3
	s_delay_alu instid0(SALU_CYCLE_1) | instskip(NEXT) | instid1(SALU_CYCLE_1)
	s_and_b32 s3, exec_lo, s3
	s_or_b32 s26, s3, s26
	s_delay_alu instid0(SALU_CYCLE_1)
	s_and_not1_b32 exec_lo, exec_lo, s26
	s_cbranch_execnz .LBB12_9
.LBB12_10:
	s_or_b32 exec_lo, exec_lo, s25
	v_mov_b32_e32 v2, 0
	s_barrier_signal -1
	s_barrier_wait -1
	ds_load_b32 v3, v2 offset:416
	s_and_saveexec_b32 s3, s2
	s_cbranch_execz .LBB12_12
; %bb.11:
	s_lshl_b64 s[26:27], s[18:19], 2
	s_delay_alu instid0(SALU_CYCLE_1)
	s_add_nc_u64 s[26:27], s[6:7], s[26:27]
	s_wait_dscnt 0x0
	global_store_b32 v2, v3, s[26:27]
.LBB12_12:
	s_wait_xcnt 0x0
	s_or_b32 exec_lo, exec_lo, s3
	s_wait_dscnt 0x0
	v_cmp_ne_u32_e32 vcc_lo, 0, v3
	s_mov_b32 s3, 0
	s_cbranch_vccnz .LBB12_64
; %bb.13:
	v_lshl_add_u32 v19, v1, 4, 0
                                        ; implicit-def: $vgpr6_vgpr7
                                        ; implicit-def: $vgpr10_vgpr11
	scratch_load_b128 v[2:5], v19, off
	s_wait_loadcnt 0x0
	v_cmp_ngt_f64_e64 s3, |v[2:3]|, |v[4:5]|
	s_wait_xcnt 0x0
	s_and_saveexec_b32 s25, s3
	s_delay_alu instid0(SALU_CYCLE_1)
	s_xor_b32 s3, exec_lo, s25
	s_cbranch_execz .LBB12_15
; %bb.14:
	v_div_scale_f64 v[6:7], null, v[4:5], v[4:5], v[2:3]
	v_div_scale_f64 v[12:13], vcc_lo, v[2:3], v[4:5], v[2:3]
	s_delay_alu instid0(VALU_DEP_2) | instskip(SKIP_1) | instid1(TRANS32_DEP_1)
	v_rcp_f64_e32 v[8:9], v[6:7]
	v_nop
	v_fma_f64 v[10:11], -v[6:7], v[8:9], 1.0
	s_delay_alu instid0(VALU_DEP_1) | instskip(NEXT) | instid1(VALU_DEP_1)
	v_fmac_f64_e32 v[8:9], v[8:9], v[10:11]
	v_fma_f64 v[10:11], -v[6:7], v[8:9], 1.0
	s_delay_alu instid0(VALU_DEP_1) | instskip(NEXT) | instid1(VALU_DEP_1)
	v_fmac_f64_e32 v[8:9], v[8:9], v[10:11]
	v_mul_f64_e32 v[10:11], v[12:13], v[8:9]
	s_delay_alu instid0(VALU_DEP_1) | instskip(NEXT) | instid1(VALU_DEP_1)
	v_fma_f64 v[6:7], -v[6:7], v[10:11], v[12:13]
	v_div_fmas_f64 v[6:7], v[6:7], v[8:9], v[10:11]
	s_delay_alu instid0(VALU_DEP_1) | instskip(NEXT) | instid1(VALU_DEP_1)
	v_div_fixup_f64 v[6:7], v[6:7], v[4:5], v[2:3]
	v_fmac_f64_e32 v[4:5], v[2:3], v[6:7]
	s_delay_alu instid0(VALU_DEP_1) | instskip(SKIP_1) | instid1(VALU_DEP_2)
	v_div_scale_f64 v[2:3], null, v[4:5], v[4:5], 1.0
	v_div_scale_f64 v[12:13], vcc_lo, 1.0, v[4:5], 1.0
	v_rcp_f64_e32 v[8:9], v[2:3]
	v_nop
	s_delay_alu instid0(TRANS32_DEP_1) | instskip(NEXT) | instid1(VALU_DEP_1)
	v_fma_f64 v[10:11], -v[2:3], v[8:9], 1.0
	v_fmac_f64_e32 v[8:9], v[8:9], v[10:11]
	s_delay_alu instid0(VALU_DEP_1) | instskip(NEXT) | instid1(VALU_DEP_1)
	v_fma_f64 v[10:11], -v[2:3], v[8:9], 1.0
	v_fmac_f64_e32 v[8:9], v[8:9], v[10:11]
	s_delay_alu instid0(VALU_DEP_1) | instskip(NEXT) | instid1(VALU_DEP_1)
	v_mul_f64_e32 v[10:11], v[12:13], v[8:9]
	v_fma_f64 v[2:3], -v[2:3], v[10:11], v[12:13]
	s_delay_alu instid0(VALU_DEP_1) | instskip(NEXT) | instid1(VALU_DEP_1)
	v_div_fmas_f64 v[2:3], v[2:3], v[8:9], v[10:11]
	v_div_fixup_f64 v[8:9], v[2:3], v[4:5], 1.0
                                        ; implicit-def: $vgpr2_vgpr3
	s_delay_alu instid0(VALU_DEP_1) | instskip(SKIP_1) | instid1(VALU_DEP_2)
	v_mul_f64_e32 v[6:7], v[6:7], v[8:9]
	v_xor_b32_e32 v9, 0x80000000, v9
	v_xor_b32_e32 v11, 0x80000000, v7
	s_delay_alu instid0(VALU_DEP_3)
	v_mov_b32_e32 v10, v6
.LBB12_15:
	s_and_not1_saveexec_b32 s3, s3
	s_cbranch_execz .LBB12_17
; %bb.16:
	v_div_scale_f64 v[6:7], null, v[2:3], v[2:3], v[4:5]
	v_div_scale_f64 v[12:13], vcc_lo, v[4:5], v[2:3], v[4:5]
	s_delay_alu instid0(VALU_DEP_2) | instskip(SKIP_1) | instid1(TRANS32_DEP_1)
	v_rcp_f64_e32 v[8:9], v[6:7]
	v_nop
	v_fma_f64 v[10:11], -v[6:7], v[8:9], 1.0
	s_delay_alu instid0(VALU_DEP_1) | instskip(NEXT) | instid1(VALU_DEP_1)
	v_fmac_f64_e32 v[8:9], v[8:9], v[10:11]
	v_fma_f64 v[10:11], -v[6:7], v[8:9], 1.0
	s_delay_alu instid0(VALU_DEP_1) | instskip(NEXT) | instid1(VALU_DEP_1)
	v_fmac_f64_e32 v[8:9], v[8:9], v[10:11]
	v_mul_f64_e32 v[10:11], v[12:13], v[8:9]
	s_delay_alu instid0(VALU_DEP_1) | instskip(NEXT) | instid1(VALU_DEP_1)
	v_fma_f64 v[6:7], -v[6:7], v[10:11], v[12:13]
	v_div_fmas_f64 v[6:7], v[6:7], v[8:9], v[10:11]
	s_delay_alu instid0(VALU_DEP_1) | instskip(NEXT) | instid1(VALU_DEP_1)
	v_div_fixup_f64 v[8:9], v[6:7], v[2:3], v[4:5]
	v_fmac_f64_e32 v[2:3], v[4:5], v[8:9]
	s_delay_alu instid0(VALU_DEP_1) | instskip(NEXT) | instid1(VALU_DEP_1)
	v_div_scale_f64 v[4:5], null, v[2:3], v[2:3], 1.0
	v_rcp_f64_e32 v[6:7], v[4:5]
	v_nop
	s_delay_alu instid0(TRANS32_DEP_1) | instskip(NEXT) | instid1(VALU_DEP_1)
	v_fma_f64 v[10:11], -v[4:5], v[6:7], 1.0
	v_fmac_f64_e32 v[6:7], v[6:7], v[10:11]
	s_delay_alu instid0(VALU_DEP_1) | instskip(NEXT) | instid1(VALU_DEP_1)
	v_fma_f64 v[10:11], -v[4:5], v[6:7], 1.0
	v_fmac_f64_e32 v[6:7], v[6:7], v[10:11]
	v_div_scale_f64 v[10:11], vcc_lo, 1.0, v[2:3], 1.0
	s_delay_alu instid0(VALU_DEP_1) | instskip(NEXT) | instid1(VALU_DEP_1)
	v_mul_f64_e32 v[12:13], v[10:11], v[6:7]
	v_fma_f64 v[4:5], -v[4:5], v[12:13], v[10:11]
	s_delay_alu instid0(VALU_DEP_1) | instskip(NEXT) | instid1(VALU_DEP_1)
	v_div_fmas_f64 v[4:5], v[4:5], v[6:7], v[12:13]
	v_div_fixup_f64 v[6:7], v[4:5], v[2:3], 1.0
	s_delay_alu instid0(VALU_DEP_1)
	v_mul_f64_e64 v[8:9], v[8:9], -v[6:7]
	v_xor_b32_e32 v11, 0x80000000, v7
	v_mov_b32_e32 v10, v6
.LBB12_17:
	s_or_b32 exec_lo, exec_lo, s3
	s_clause 0x1
	scratch_store_b128 v19, v[6:9], off
	scratch_load_b128 v[2:5], off, s11
	v_xor_b32_e32 v13, 0x80000000, v9
	v_mov_b32_e32 v12, v8
	s_wait_xcnt 0x1
	v_add_nc_u32_e32 v6, 0xd0, v40
	ds_store_b128 v40, v[10:13]
	s_wait_loadcnt 0x0
	ds_store_b128 v40, v[2:5] offset:208
	s_wait_storecnt_dscnt 0x0
	s_barrier_signal -1
	s_barrier_wait -1
	s_wait_xcnt 0x0
	s_and_saveexec_b32 s3, s2
	s_cbranch_execz .LBB12_19
; %bb.18:
	scratch_load_b128 v[2:5], v19, off
	ds_load_b128 v[8:11], v6
	v_mov_b32_e32 v7, 0
	ds_load_b128 v[42:45], v7 offset:16
	s_wait_loadcnt_dscnt 0x1
	v_mul_f64_e32 v[12:13], v[8:9], v[4:5]
	v_mul_f64_e32 v[4:5], v[10:11], v[4:5]
	s_delay_alu instid0(VALU_DEP_2) | instskip(NEXT) | instid1(VALU_DEP_2)
	v_fmac_f64_e32 v[12:13], v[10:11], v[2:3]
	v_fma_f64 v[2:3], v[8:9], v[2:3], -v[4:5]
	s_delay_alu instid0(VALU_DEP_2) | instskip(NEXT) | instid1(VALU_DEP_2)
	v_add_f64_e32 v[8:9], 0, v[12:13]
	v_add_f64_e32 v[2:3], 0, v[2:3]
	s_wait_dscnt 0x0
	s_delay_alu instid0(VALU_DEP_2) | instskip(NEXT) | instid1(VALU_DEP_2)
	v_mul_f64_e32 v[10:11], v[8:9], v[44:45]
	v_mul_f64_e32 v[4:5], v[2:3], v[44:45]
	s_delay_alu instid0(VALU_DEP_2) | instskip(NEXT) | instid1(VALU_DEP_2)
	v_fma_f64 v[2:3], v[2:3], v[42:43], -v[10:11]
	v_fmac_f64_e32 v[4:5], v[8:9], v[42:43]
	scratch_store_b128 off, v[2:5], off offset:16
.LBB12_19:
	s_wait_xcnt 0x0
	s_or_b32 exec_lo, exec_lo, s3
	s_wait_storecnt 0x0
	s_barrier_signal -1
	s_barrier_wait -1
	scratch_load_b128 v[2:5], off, s8
	s_mov_b32 s3, exec_lo
	s_wait_loadcnt 0x0
	ds_store_b128 v6, v[2:5]
	s_wait_dscnt 0x0
	s_barrier_signal -1
	s_barrier_wait -1
	v_cmpx_gt_u32_e32 2, v1
	s_cbranch_execz .LBB12_23
; %bb.20:
	scratch_load_b128 v[2:5], v19, off
	ds_load_b128 v[8:11], v6
	s_wait_loadcnt_dscnt 0x0
	v_mul_f64_e32 v[12:13], v[10:11], v[4:5]
	v_mul_f64_e32 v[42:43], v[8:9], v[4:5]
	s_delay_alu instid0(VALU_DEP_2) | instskip(NEXT) | instid1(VALU_DEP_2)
	v_fma_f64 v[4:5], v[8:9], v[2:3], -v[12:13]
	v_fmac_f64_e32 v[42:43], v[10:11], v[2:3]
	s_delay_alu instid0(VALU_DEP_2) | instskip(NEXT) | instid1(VALU_DEP_2)
	v_add_f64_e32 v[4:5], 0, v[4:5]
	v_add_f64_e32 v[2:3], 0, v[42:43]
	s_and_saveexec_b32 s25, s2
	s_cbranch_execz .LBB12_22
; %bb.21:
	scratch_load_b128 v[8:11], off, off offset:16
	v_mov_b32_e32 v7, 0
	ds_load_b128 v[42:45], v7 offset:224
	s_wait_loadcnt_dscnt 0x0
	v_mul_f64_e32 v[12:13], v[42:43], v[10:11]
	v_mul_f64_e32 v[10:11], v[44:45], v[10:11]
	s_delay_alu instid0(VALU_DEP_2) | instskip(NEXT) | instid1(VALU_DEP_2)
	v_fmac_f64_e32 v[12:13], v[44:45], v[8:9]
	v_fma_f64 v[8:9], v[42:43], v[8:9], -v[10:11]
	s_delay_alu instid0(VALU_DEP_2) | instskip(NEXT) | instid1(VALU_DEP_2)
	v_add_f64_e32 v[2:3], v[2:3], v[12:13]
	v_add_f64_e32 v[4:5], v[4:5], v[8:9]
.LBB12_22:
	s_or_b32 exec_lo, exec_lo, s25
	v_mov_b32_e32 v7, 0
	ds_load_b128 v[8:11], v7 offset:32
	s_wait_dscnt 0x0
	v_mul_f64_e32 v[42:43], v[2:3], v[10:11]
	v_mul_f64_e32 v[12:13], v[4:5], v[10:11]
	s_delay_alu instid0(VALU_DEP_2) | instskip(NEXT) | instid1(VALU_DEP_2)
	v_fma_f64 v[10:11], v[4:5], v[8:9], -v[42:43]
	v_fmac_f64_e32 v[12:13], v[2:3], v[8:9]
	scratch_store_b128 off, v[10:13], off offset:32
.LBB12_23:
	s_wait_xcnt 0x0
	s_or_b32 exec_lo, exec_lo, s3
	s_wait_storecnt 0x0
	s_barrier_signal -1
	s_barrier_wait -1
	scratch_load_b128 v[2:5], off, s9
	v_add_nc_u32_e32 v7, -1, v1
	s_mov_b32 s2, exec_lo
	s_wait_loadcnt 0x0
	ds_store_b128 v6, v[2:5]
	s_wait_dscnt 0x0
	s_barrier_signal -1
	s_barrier_wait -1
	v_cmpx_gt_u32_e32 3, v1
	s_cbranch_execz .LBB12_27
; %bb.24:
	v_dual_mov_b32 v10, v40 :: v_dual_add_nc_u32 v8, -1, v1
	v_mov_b64_e32 v[2:3], 0
	v_mov_b64_e32 v[4:5], 0
	v_add_nc_u32_e32 v9, 0xd0, v40
	s_delay_alu instid0(VALU_DEP_4)
	v_or_b32_e32 v10, 8, v10
	s_mov_b32 s3, 0
.LBB12_25:                              ; =>This Inner Loop Header: Depth=1
	scratch_load_b128 v[42:45], v10, off offset:-8
	ds_load_b128 v[46:49], v9
	s_wait_xcnt 0x0
	v_dual_add_nc_u32 v9, 16, v9 :: v_dual_add_nc_u32 v10, 16, v10
	v_add_nc_u32_e32 v8, 1, v8
	s_delay_alu instid0(VALU_DEP_1) | instskip(SKIP_4) | instid1(VALU_DEP_2)
	v_cmp_lt_u32_e32 vcc_lo, 1, v8
	s_or_b32 s3, vcc_lo, s3
	s_wait_loadcnt_dscnt 0x0
	v_mul_f64_e32 v[12:13], v[48:49], v[44:45]
	v_mul_f64_e32 v[44:45], v[46:47], v[44:45]
	v_fma_f64 v[12:13], v[46:47], v[42:43], -v[12:13]
	s_delay_alu instid0(VALU_DEP_2) | instskip(NEXT) | instid1(VALU_DEP_2)
	v_fmac_f64_e32 v[44:45], v[48:49], v[42:43]
	v_add_f64_e32 v[4:5], v[4:5], v[12:13]
	s_delay_alu instid0(VALU_DEP_2)
	v_add_f64_e32 v[2:3], v[2:3], v[44:45]
	s_and_not1_b32 exec_lo, exec_lo, s3
	s_cbranch_execnz .LBB12_25
; %bb.26:
	s_or_b32 exec_lo, exec_lo, s3
	v_mov_b32_e32 v8, 0
	ds_load_b128 v[8:11], v8 offset:48
	s_wait_dscnt 0x0
	v_mul_f64_e32 v[42:43], v[2:3], v[10:11]
	v_mul_f64_e32 v[12:13], v[4:5], v[10:11]
	s_delay_alu instid0(VALU_DEP_2) | instskip(NEXT) | instid1(VALU_DEP_2)
	v_fma_f64 v[10:11], v[4:5], v[8:9], -v[42:43]
	v_fmac_f64_e32 v[12:13], v[2:3], v[8:9]
	scratch_store_b128 off, v[10:13], off offset:48
.LBB12_27:
	s_wait_xcnt 0x0
	s_or_b32 exec_lo, exec_lo, s2
	s_wait_storecnt 0x0
	s_barrier_signal -1
	s_barrier_wait -1
	scratch_load_b128 v[2:5], off, s10
	s_mov_b32 s2, exec_lo
	s_wait_loadcnt 0x0
	ds_store_b128 v6, v[2:5]
	s_wait_dscnt 0x0
	s_barrier_signal -1
	s_barrier_wait -1
	v_cmpx_gt_u32_e32 4, v1
	s_cbranch_execz .LBB12_31
; %bb.28:
	v_dual_mov_b32 v10, v40 :: v_dual_add_nc_u32 v8, -1, v1
	v_mov_b64_e32 v[2:3], 0
	v_mov_b64_e32 v[4:5], 0
	v_add_nc_u32_e32 v9, 0xd0, v40
	s_delay_alu instid0(VALU_DEP_4)
	v_or_b32_e32 v10, 8, v10
	s_mov_b32 s3, 0
.LBB12_29:                              ; =>This Inner Loop Header: Depth=1
	scratch_load_b128 v[42:45], v10, off offset:-8
	ds_load_b128 v[46:49], v9
	s_wait_xcnt 0x0
	v_dual_add_nc_u32 v9, 16, v9 :: v_dual_add_nc_u32 v10, 16, v10
	v_add_nc_u32_e32 v8, 1, v8
	s_delay_alu instid0(VALU_DEP_1) | instskip(SKIP_4) | instid1(VALU_DEP_2)
	v_cmp_lt_u32_e32 vcc_lo, 2, v8
	s_or_b32 s3, vcc_lo, s3
	s_wait_loadcnt_dscnt 0x0
	v_mul_f64_e32 v[12:13], v[48:49], v[44:45]
	v_mul_f64_e32 v[44:45], v[46:47], v[44:45]
	v_fma_f64 v[12:13], v[46:47], v[42:43], -v[12:13]
	s_delay_alu instid0(VALU_DEP_2) | instskip(NEXT) | instid1(VALU_DEP_2)
	v_fmac_f64_e32 v[44:45], v[48:49], v[42:43]
	v_add_f64_e32 v[4:5], v[4:5], v[12:13]
	s_delay_alu instid0(VALU_DEP_2)
	v_add_f64_e32 v[2:3], v[2:3], v[44:45]
	s_and_not1_b32 exec_lo, exec_lo, s3
	s_cbranch_execnz .LBB12_29
; %bb.30:
	s_or_b32 exec_lo, exec_lo, s3
	v_mov_b32_e32 v8, 0
	ds_load_b128 v[8:11], v8 offset:64
	s_wait_dscnt 0x0
	v_mul_f64_e32 v[42:43], v[2:3], v[10:11]
	v_mul_f64_e32 v[12:13], v[4:5], v[10:11]
	s_delay_alu instid0(VALU_DEP_2) | instskip(NEXT) | instid1(VALU_DEP_2)
	v_fma_f64 v[10:11], v[4:5], v[8:9], -v[42:43]
	v_fmac_f64_e32 v[12:13], v[2:3], v[8:9]
	scratch_store_b128 off, v[10:13], off offset:64
.LBB12_31:
	s_wait_xcnt 0x0
	s_or_b32 exec_lo, exec_lo, s2
	s_wait_storecnt 0x0
	s_barrier_signal -1
	s_barrier_wait -1
	scratch_load_b128 v[2:5], off, s12
	;; [unrolled: 54-line block ×9, first 2 shown]
	s_mov_b32 s2, exec_lo
	s_wait_loadcnt 0x0
	ds_store_b128 v6, v[2:5]
	s_wait_dscnt 0x0
	s_barrier_signal -1
	s_barrier_wait -1
	v_cmpx_ne_u32_e32 12, v1
	s_cbranch_execz .LBB12_63
; %bb.60:
	v_mov_b32_e32 v8, v40
	v_mov_b64_e32 v[2:3], 0
	v_mov_b64_e32 v[4:5], 0
	s_mov_b32 s3, 0
	s_delay_alu instid0(VALU_DEP_3)
	v_or_b32_e32 v8, 8, v8
.LBB12_61:                              ; =>This Inner Loop Header: Depth=1
	scratch_load_b128 v[10:13], v8, off offset:-8
	ds_load_b128 v[40:43], v6
	v_dual_add_nc_u32 v7, 1, v7 :: v_dual_add_nc_u32 v6, 16, v6
	s_wait_xcnt 0x0
	v_add_nc_u32_e32 v8, 16, v8
	s_delay_alu instid0(VALU_DEP_2) | instskip(SKIP_4) | instid1(VALU_DEP_2)
	v_cmp_lt_u32_e32 vcc_lo, 10, v7
	s_or_b32 s3, vcc_lo, s3
	s_wait_loadcnt_dscnt 0x0
	v_mul_f64_e32 v[44:45], v[42:43], v[12:13]
	v_mul_f64_e32 v[12:13], v[40:41], v[12:13]
	v_fma_f64 v[40:41], v[40:41], v[10:11], -v[44:45]
	s_delay_alu instid0(VALU_DEP_2) | instskip(NEXT) | instid1(VALU_DEP_2)
	v_fmac_f64_e32 v[12:13], v[42:43], v[10:11]
	v_add_f64_e32 v[4:5], v[4:5], v[40:41]
	s_delay_alu instid0(VALU_DEP_2)
	v_add_f64_e32 v[2:3], v[2:3], v[12:13]
	s_and_not1_b32 exec_lo, exec_lo, s3
	s_cbranch_execnz .LBB12_61
; %bb.62:
	s_or_b32 exec_lo, exec_lo, s3
	v_mov_b32_e32 v6, 0
	ds_load_b128 v[6:9], v6 offset:192
	s_wait_dscnt 0x0
	v_mul_f64_e32 v[12:13], v[2:3], v[8:9]
	v_mul_f64_e32 v[10:11], v[4:5], v[8:9]
	s_delay_alu instid0(VALU_DEP_2) | instskip(NEXT) | instid1(VALU_DEP_2)
	v_fma_f64 v[8:9], v[4:5], v[6:7], -v[12:13]
	v_fmac_f64_e32 v[10:11], v[2:3], v[6:7]
	scratch_store_b128 off, v[8:11], off offset:192
.LBB12_63:
	s_wait_xcnt 0x0
	s_or_b32 exec_lo, exec_lo, s2
	s_mov_b32 s3, -1
	s_wait_storecnt 0x0
	s_barrier_signal -1
	s_barrier_wait -1
.LBB12_64:
	s_and_b32 vcc_lo, exec_lo, s3
	s_cbranch_vccz .LBB12_66
; %bb.65:
	s_wait_xcnt 0xc
	v_mov_b32_e32 v2, 0
	s_lshl_b64 s[2:3], s[18:19], 2
	s_delay_alu instid0(SALU_CYCLE_1)
	s_add_nc_u64 s[2:3], s[6:7], s[2:3]
	global_load_b32 v2, v2, s[2:3]
	s_wait_loadcnt 0x0
	v_cmp_ne_u32_e32 vcc_lo, 0, v2
	s_cbranch_vccz .LBB12_67
.LBB12_66:
	s_sendmsg sendmsg(MSG_DEALLOC_VGPRS)
	s_endpgm
.LBB12_67:
	s_wait_xcnt 0xc
	v_lshl_add_u32 v6, v1, 4, 0xd0
	s_wait_xcnt 0x0
	s_mov_b32 s2, exec_lo
	v_cmpx_eq_u32_e32 12, v1
	s_cbranch_execz .LBB12_69
; %bb.68:
	scratch_load_b128 v[2:5], off, s22
	v_mov_b32_e32 v8, 0
	s_delay_alu instid0(VALU_DEP_1)
	v_dual_mov_b32 v9, v8 :: v_dual_mov_b32 v10, v8
	v_mov_b32_e32 v11, v8
	scratch_store_b128 off, v[8:11], off offset:176
	s_wait_loadcnt 0x0
	ds_store_b128 v6, v[2:5]
.LBB12_69:
	s_wait_xcnt 0x0
	s_or_b32 exec_lo, exec_lo, s2
	s_wait_storecnt_dscnt 0x0
	s_barrier_signal -1
	s_barrier_wait -1
	s_clause 0x1
	scratch_load_b128 v[8:11], off, off offset:192
	scratch_load_b128 v[40:43], off, off offset:176
	v_mov_b32_e32 v2, 0
	s_mov_b32 s2, exec_lo
	ds_load_b128 v[44:47], v2 offset:400
	s_wait_loadcnt_dscnt 0x100
	v_mul_f64_e32 v[4:5], v[46:47], v[10:11]
	v_mul_f64_e32 v[10:11], v[44:45], v[10:11]
	s_delay_alu instid0(VALU_DEP_2) | instskip(NEXT) | instid1(VALU_DEP_2)
	v_fma_f64 v[4:5], v[44:45], v[8:9], -v[4:5]
	v_fmac_f64_e32 v[10:11], v[46:47], v[8:9]
	s_delay_alu instid0(VALU_DEP_2) | instskip(NEXT) | instid1(VALU_DEP_2)
	v_add_f64_e32 v[4:5], 0, v[4:5]
	v_add_f64_e32 v[10:11], 0, v[10:11]
	s_wait_loadcnt 0x0
	s_delay_alu instid0(VALU_DEP_2) | instskip(NEXT) | instid1(VALU_DEP_2)
	v_add_f64_e64 v[8:9], v[40:41], -v[4:5]
	v_add_f64_e64 v[10:11], v[42:43], -v[10:11]
	scratch_store_b128 off, v[8:11], off offset:176
	s_wait_xcnt 0x0
	v_cmpx_lt_u32_e32 10, v1
	s_cbranch_execz .LBB12_71
; %bb.70:
	scratch_load_b128 v[8:11], off, s21
	v_dual_mov_b32 v3, v2 :: v_dual_mov_b32 v4, v2
	v_mov_b32_e32 v5, v2
	scratch_store_b128 off, v[2:5], off offset:160
	s_wait_loadcnt 0x0
	ds_store_b128 v6, v[8:11]
.LBB12_71:
	s_wait_xcnt 0x0
	s_or_b32 exec_lo, exec_lo, s2
	s_wait_storecnt_dscnt 0x0
	s_barrier_signal -1
	s_barrier_wait -1
	s_clause 0x2
	scratch_load_b128 v[8:11], off, off offset:176
	scratch_load_b128 v[40:43], off, off offset:192
	;; [unrolled: 1-line block ×3, first 2 shown]
	ds_load_b128 v[48:51], v2 offset:384
	ds_load_b128 v[2:5], v2 offset:400
	s_mov_b32 s2, exec_lo
	s_wait_loadcnt_dscnt 0x201
	v_mul_f64_e32 v[12:13], v[50:51], v[10:11]
	v_mul_f64_e32 v[10:11], v[48:49], v[10:11]
	s_wait_loadcnt_dscnt 0x100
	v_mul_f64_e32 v[52:53], v[2:3], v[42:43]
	v_mul_f64_e32 v[42:43], v[4:5], v[42:43]
	s_delay_alu instid0(VALU_DEP_4) | instskip(NEXT) | instid1(VALU_DEP_4)
	v_fma_f64 v[12:13], v[48:49], v[8:9], -v[12:13]
	v_fmac_f64_e32 v[10:11], v[50:51], v[8:9]
	s_delay_alu instid0(VALU_DEP_4) | instskip(NEXT) | instid1(VALU_DEP_4)
	v_fmac_f64_e32 v[52:53], v[4:5], v[40:41]
	v_fma_f64 v[2:3], v[2:3], v[40:41], -v[42:43]
	s_delay_alu instid0(VALU_DEP_4) | instskip(NEXT) | instid1(VALU_DEP_4)
	v_add_f64_e32 v[4:5], 0, v[12:13]
	v_add_f64_e32 v[8:9], 0, v[10:11]
	s_delay_alu instid0(VALU_DEP_2) | instskip(NEXT) | instid1(VALU_DEP_2)
	v_add_f64_e32 v[2:3], v[4:5], v[2:3]
	v_add_f64_e32 v[4:5], v[8:9], v[52:53]
	s_wait_loadcnt 0x0
	s_delay_alu instid0(VALU_DEP_2) | instskip(NEXT) | instid1(VALU_DEP_2)
	v_add_f64_e64 v[2:3], v[44:45], -v[2:3]
	v_add_f64_e64 v[4:5], v[46:47], -v[4:5]
	scratch_store_b128 off, v[2:5], off offset:160
	s_wait_xcnt 0x0
	v_cmpx_lt_u32_e32 9, v1
	s_cbranch_execz .LBB12_73
; %bb.72:
	scratch_load_b128 v[2:5], off, s15
	v_mov_b32_e32 v8, 0
	s_delay_alu instid0(VALU_DEP_1)
	v_dual_mov_b32 v9, v8 :: v_dual_mov_b32 v10, v8
	v_mov_b32_e32 v11, v8
	scratch_store_b128 off, v[8:11], off offset:144
	s_wait_loadcnt 0x0
	ds_store_b128 v6, v[2:5]
.LBB12_73:
	s_wait_xcnt 0x0
	s_or_b32 exec_lo, exec_lo, s2
	s_wait_storecnt_dscnt 0x0
	s_barrier_signal -1
	s_barrier_wait -1
	s_clause 0x3
	scratch_load_b128 v[8:11], off, off offset:160
	scratch_load_b128 v[40:43], off, off offset:176
	;; [unrolled: 1-line block ×4, first 2 shown]
	v_mov_b32_e32 v2, 0
	ds_load_b128 v[52:55], v2 offset:368
	ds_load_b128 v[56:59], v2 offset:384
	s_mov_b32 s2, exec_lo
	s_wait_loadcnt_dscnt 0x301
	v_mul_f64_e32 v[4:5], v[54:55], v[10:11]
	v_mul_f64_e32 v[12:13], v[52:53], v[10:11]
	s_wait_loadcnt_dscnt 0x200
	v_mul_f64_e32 v[60:61], v[56:57], v[42:43]
	v_mul_f64_e32 v[42:43], v[58:59], v[42:43]
	s_delay_alu instid0(VALU_DEP_4) | instskip(NEXT) | instid1(VALU_DEP_4)
	v_fma_f64 v[4:5], v[52:53], v[8:9], -v[4:5]
	v_fmac_f64_e32 v[12:13], v[54:55], v[8:9]
	ds_load_b128 v[8:11], v2 offset:400
	v_fmac_f64_e32 v[60:61], v[58:59], v[40:41]
	v_fma_f64 v[40:41], v[56:57], v[40:41], -v[42:43]
	s_wait_loadcnt_dscnt 0x100
	v_mul_f64_e32 v[52:53], v[8:9], v[46:47]
	v_mul_f64_e32 v[46:47], v[10:11], v[46:47]
	v_add_f64_e32 v[4:5], 0, v[4:5]
	v_add_f64_e32 v[12:13], 0, v[12:13]
	s_delay_alu instid0(VALU_DEP_4) | instskip(NEXT) | instid1(VALU_DEP_4)
	v_fmac_f64_e32 v[52:53], v[10:11], v[44:45]
	v_fma_f64 v[8:9], v[8:9], v[44:45], -v[46:47]
	s_delay_alu instid0(VALU_DEP_4) | instskip(NEXT) | instid1(VALU_DEP_4)
	v_add_f64_e32 v[4:5], v[4:5], v[40:41]
	v_add_f64_e32 v[10:11], v[12:13], v[60:61]
	s_delay_alu instid0(VALU_DEP_2) | instskip(NEXT) | instid1(VALU_DEP_2)
	v_add_f64_e32 v[4:5], v[4:5], v[8:9]
	v_add_f64_e32 v[10:11], v[10:11], v[52:53]
	s_wait_loadcnt 0x0
	s_delay_alu instid0(VALU_DEP_2) | instskip(NEXT) | instid1(VALU_DEP_2)
	v_add_f64_e64 v[8:9], v[48:49], -v[4:5]
	v_add_f64_e64 v[10:11], v[50:51], -v[10:11]
	scratch_store_b128 off, v[8:11], off offset:144
	s_wait_xcnt 0x0
	v_cmpx_lt_u32_e32 8, v1
	s_cbranch_execz .LBB12_75
; %bb.74:
	scratch_load_b128 v[8:11], off, s13
	v_dual_mov_b32 v3, v2 :: v_dual_mov_b32 v4, v2
	v_mov_b32_e32 v5, v2
	scratch_store_b128 off, v[2:5], off offset:128
	s_wait_loadcnt 0x0
	ds_store_b128 v6, v[8:11]
.LBB12_75:
	s_wait_xcnt 0x0
	s_or_b32 exec_lo, exec_lo, s2
	s_wait_storecnt_dscnt 0x0
	s_barrier_signal -1
	s_barrier_wait -1
	s_clause 0x4
	scratch_load_b128 v[8:11], off, off offset:144
	scratch_load_b128 v[40:43], off, off offset:160
	;; [unrolled: 1-line block ×5, first 2 shown]
	ds_load_b128 v[56:59], v2 offset:352
	ds_load_b128 v[60:63], v2 offset:368
	s_mov_b32 s2, exec_lo
	s_wait_loadcnt_dscnt 0x401
	v_mul_f64_e32 v[4:5], v[58:59], v[10:11]
	v_mul_f64_e32 v[12:13], v[56:57], v[10:11]
	s_wait_loadcnt_dscnt 0x300
	v_mul_f64_e32 v[64:65], v[60:61], v[42:43]
	v_mul_f64_e32 v[42:43], v[62:63], v[42:43]
	s_delay_alu instid0(VALU_DEP_4) | instskip(NEXT) | instid1(VALU_DEP_4)
	v_fma_f64 v[56:57], v[56:57], v[8:9], -v[4:5]
	v_fmac_f64_e32 v[12:13], v[58:59], v[8:9]
	ds_load_b128 v[8:11], v2 offset:384
	ds_load_b128 v[2:5], v2 offset:400
	v_fmac_f64_e32 v[64:65], v[62:63], v[40:41]
	v_fma_f64 v[40:41], v[60:61], v[40:41], -v[42:43]
	s_wait_loadcnt_dscnt 0x201
	v_mul_f64_e32 v[58:59], v[8:9], v[46:47]
	v_mul_f64_e32 v[46:47], v[10:11], v[46:47]
	v_add_f64_e32 v[42:43], 0, v[56:57]
	v_add_f64_e32 v[12:13], 0, v[12:13]
	s_wait_loadcnt_dscnt 0x100
	v_mul_f64_e32 v[56:57], v[2:3], v[50:51]
	v_mul_f64_e32 v[50:51], v[4:5], v[50:51]
	v_fmac_f64_e32 v[58:59], v[10:11], v[44:45]
	v_fma_f64 v[8:9], v[8:9], v[44:45], -v[46:47]
	v_add_f64_e32 v[10:11], v[42:43], v[40:41]
	v_add_f64_e32 v[12:13], v[12:13], v[64:65]
	v_fmac_f64_e32 v[56:57], v[4:5], v[48:49]
	v_fma_f64 v[2:3], v[2:3], v[48:49], -v[50:51]
	s_delay_alu instid0(VALU_DEP_4) | instskip(NEXT) | instid1(VALU_DEP_4)
	v_add_f64_e32 v[4:5], v[10:11], v[8:9]
	v_add_f64_e32 v[8:9], v[12:13], v[58:59]
	s_delay_alu instid0(VALU_DEP_2) | instskip(NEXT) | instid1(VALU_DEP_2)
	v_add_f64_e32 v[2:3], v[4:5], v[2:3]
	v_add_f64_e32 v[4:5], v[8:9], v[56:57]
	s_wait_loadcnt 0x0
	s_delay_alu instid0(VALU_DEP_2) | instskip(NEXT) | instid1(VALU_DEP_2)
	v_add_f64_e64 v[2:3], v[52:53], -v[2:3]
	v_add_f64_e64 v[4:5], v[54:55], -v[4:5]
	scratch_store_b128 off, v[2:5], off offset:128
	s_wait_xcnt 0x0
	v_cmpx_lt_u32_e32 7, v1
	s_cbranch_execz .LBB12_77
; %bb.76:
	scratch_load_b128 v[2:5], off, s20
	v_mov_b32_e32 v8, 0
	s_delay_alu instid0(VALU_DEP_1)
	v_dual_mov_b32 v9, v8 :: v_dual_mov_b32 v10, v8
	v_mov_b32_e32 v11, v8
	scratch_store_b128 off, v[8:11], off offset:112
	s_wait_loadcnt 0x0
	ds_store_b128 v6, v[2:5]
.LBB12_77:
	s_wait_xcnt 0x0
	s_or_b32 exec_lo, exec_lo, s2
	s_wait_storecnt_dscnt 0x0
	s_barrier_signal -1
	s_barrier_wait -1
	s_clause 0x5
	scratch_load_b128 v[8:11], off, off offset:128
	scratch_load_b128 v[40:43], off, off offset:144
	;; [unrolled: 1-line block ×6, first 2 shown]
	v_mov_b32_e32 v2, 0
	ds_load_b128 v[60:63], v2 offset:336
	ds_load_b128 v[64:67], v2 offset:352
	s_mov_b32 s2, exec_lo
	s_wait_loadcnt_dscnt 0x501
	v_mul_f64_e32 v[4:5], v[62:63], v[10:11]
	v_mul_f64_e32 v[12:13], v[60:61], v[10:11]
	s_wait_loadcnt_dscnt 0x400
	v_mul_f64_e32 v[68:69], v[64:65], v[42:43]
	v_mul_f64_e32 v[42:43], v[66:67], v[42:43]
	s_delay_alu instid0(VALU_DEP_4) | instskip(NEXT) | instid1(VALU_DEP_4)
	v_fma_f64 v[4:5], v[60:61], v[8:9], -v[4:5]
	v_fmac_f64_e32 v[12:13], v[62:63], v[8:9]
	ds_load_b128 v[8:11], v2 offset:368
	ds_load_b128 v[60:63], v2 offset:384
	v_fmac_f64_e32 v[68:69], v[66:67], v[40:41]
	v_fma_f64 v[40:41], v[64:65], v[40:41], -v[42:43]
	s_wait_loadcnt_dscnt 0x301
	v_mul_f64_e32 v[70:71], v[8:9], v[46:47]
	v_mul_f64_e32 v[46:47], v[10:11], v[46:47]
	s_wait_loadcnt_dscnt 0x200
	v_mul_f64_e32 v[42:43], v[60:61], v[50:51]
	v_mul_f64_e32 v[50:51], v[62:63], v[50:51]
	v_add_f64_e32 v[4:5], 0, v[4:5]
	v_add_f64_e32 v[12:13], 0, v[12:13]
	v_fmac_f64_e32 v[70:71], v[10:11], v[44:45]
	v_fma_f64 v[44:45], v[8:9], v[44:45], -v[46:47]
	ds_load_b128 v[8:11], v2 offset:400
	v_fmac_f64_e32 v[42:43], v[62:63], v[48:49]
	v_fma_f64 v[48:49], v[60:61], v[48:49], -v[50:51]
	v_add_f64_e32 v[4:5], v[4:5], v[40:41]
	v_add_f64_e32 v[12:13], v[12:13], v[68:69]
	s_wait_loadcnt_dscnt 0x100
	v_mul_f64_e32 v[40:41], v[8:9], v[54:55]
	v_mul_f64_e32 v[46:47], v[10:11], v[54:55]
	s_delay_alu instid0(VALU_DEP_4) | instskip(NEXT) | instid1(VALU_DEP_4)
	v_add_f64_e32 v[4:5], v[4:5], v[44:45]
	v_add_f64_e32 v[12:13], v[12:13], v[70:71]
	s_delay_alu instid0(VALU_DEP_4) | instskip(NEXT) | instid1(VALU_DEP_4)
	v_fmac_f64_e32 v[40:41], v[10:11], v[52:53]
	v_fma_f64 v[8:9], v[8:9], v[52:53], -v[46:47]
	s_delay_alu instid0(VALU_DEP_4) | instskip(NEXT) | instid1(VALU_DEP_4)
	v_add_f64_e32 v[4:5], v[4:5], v[48:49]
	v_add_f64_e32 v[10:11], v[12:13], v[42:43]
	s_delay_alu instid0(VALU_DEP_2) | instskip(NEXT) | instid1(VALU_DEP_2)
	v_add_f64_e32 v[4:5], v[4:5], v[8:9]
	v_add_f64_e32 v[10:11], v[10:11], v[40:41]
	s_wait_loadcnt 0x0
	s_delay_alu instid0(VALU_DEP_2) | instskip(NEXT) | instid1(VALU_DEP_2)
	v_add_f64_e64 v[8:9], v[56:57], -v[4:5]
	v_add_f64_e64 v[10:11], v[58:59], -v[10:11]
	scratch_store_b128 off, v[8:11], off offset:112
	s_wait_xcnt 0x0
	v_cmpx_lt_u32_e32 6, v1
	s_cbranch_execz .LBB12_79
; %bb.78:
	scratch_load_b128 v[8:11], off, s14
	v_dual_mov_b32 v3, v2 :: v_dual_mov_b32 v4, v2
	v_mov_b32_e32 v5, v2
	scratch_store_b128 off, v[2:5], off offset:96
	s_wait_loadcnt 0x0
	ds_store_b128 v6, v[8:11]
.LBB12_79:
	s_wait_xcnt 0x0
	s_or_b32 exec_lo, exec_lo, s2
	s_wait_storecnt_dscnt 0x0
	s_barrier_signal -1
	s_barrier_wait -1
	s_clause 0x6
	scratch_load_b128 v[8:11], off, off offset:112
	scratch_load_b128 v[40:43], off, off offset:128
	;; [unrolled: 1-line block ×7, first 2 shown]
	ds_load_b128 v[64:67], v2 offset:320
	ds_load_b128 v[68:71], v2 offset:336
	s_mov_b32 s2, exec_lo
	s_wait_loadcnt_dscnt 0x601
	v_mul_f64_e32 v[4:5], v[66:67], v[10:11]
	v_mul_f64_e32 v[12:13], v[64:65], v[10:11]
	s_wait_loadcnt_dscnt 0x500
	v_mul_f64_e32 v[72:73], v[68:69], v[42:43]
	v_mul_f64_e32 v[42:43], v[70:71], v[42:43]
	s_delay_alu instid0(VALU_DEP_4) | instskip(NEXT) | instid1(VALU_DEP_4)
	v_fma_f64 v[4:5], v[64:65], v[8:9], -v[4:5]
	v_fmac_f64_e32 v[12:13], v[66:67], v[8:9]
	ds_load_b128 v[8:11], v2 offset:352
	ds_load_b128 v[64:67], v2 offset:368
	v_fmac_f64_e32 v[72:73], v[70:71], v[40:41]
	v_fma_f64 v[40:41], v[68:69], v[40:41], -v[42:43]
	s_wait_loadcnt_dscnt 0x401
	v_mul_f64_e32 v[74:75], v[8:9], v[46:47]
	v_mul_f64_e32 v[46:47], v[10:11], v[46:47]
	s_wait_loadcnt_dscnt 0x300
	v_mul_f64_e32 v[42:43], v[64:65], v[50:51]
	v_mul_f64_e32 v[50:51], v[66:67], v[50:51]
	v_add_f64_e32 v[4:5], 0, v[4:5]
	v_add_f64_e32 v[12:13], 0, v[12:13]
	v_fmac_f64_e32 v[74:75], v[10:11], v[44:45]
	v_fma_f64 v[44:45], v[8:9], v[44:45], -v[46:47]
	v_fmac_f64_e32 v[42:43], v[66:67], v[48:49]
	v_fma_f64 v[48:49], v[64:65], v[48:49], -v[50:51]
	v_add_f64_e32 v[40:41], v[4:5], v[40:41]
	v_add_f64_e32 v[12:13], v[12:13], v[72:73]
	ds_load_b128 v[8:11], v2 offset:384
	ds_load_b128 v[2:5], v2 offset:400
	s_wait_loadcnt_dscnt 0x201
	v_mul_f64_e32 v[46:47], v[8:9], v[54:55]
	v_mul_f64_e32 v[54:55], v[10:11], v[54:55]
	s_wait_loadcnt_dscnt 0x100
	v_mul_f64_e32 v[50:51], v[4:5], v[58:59]
	v_add_f64_e32 v[40:41], v[40:41], v[44:45]
	v_add_f64_e32 v[12:13], v[12:13], v[74:75]
	v_mul_f64_e32 v[44:45], v[2:3], v[58:59]
	v_fmac_f64_e32 v[46:47], v[10:11], v[52:53]
	v_fma_f64 v[8:9], v[8:9], v[52:53], -v[54:55]
	v_fma_f64 v[2:3], v[2:3], v[56:57], -v[50:51]
	v_add_f64_e32 v[10:11], v[40:41], v[48:49]
	v_add_f64_e32 v[12:13], v[12:13], v[42:43]
	v_fmac_f64_e32 v[44:45], v[4:5], v[56:57]
	s_delay_alu instid0(VALU_DEP_3) | instskip(NEXT) | instid1(VALU_DEP_3)
	v_add_f64_e32 v[4:5], v[10:11], v[8:9]
	v_add_f64_e32 v[8:9], v[12:13], v[46:47]
	s_delay_alu instid0(VALU_DEP_2) | instskip(NEXT) | instid1(VALU_DEP_2)
	v_add_f64_e32 v[2:3], v[4:5], v[2:3]
	v_add_f64_e32 v[4:5], v[8:9], v[44:45]
	s_wait_loadcnt 0x0
	s_delay_alu instid0(VALU_DEP_2) | instskip(NEXT) | instid1(VALU_DEP_2)
	v_add_f64_e64 v[2:3], v[60:61], -v[2:3]
	v_add_f64_e64 v[4:5], v[62:63], -v[4:5]
	scratch_store_b128 off, v[2:5], off offset:96
	s_wait_xcnt 0x0
	v_cmpx_lt_u32_e32 5, v1
	s_cbranch_execz .LBB12_81
; %bb.80:
	scratch_load_b128 v[2:5], off, s12
	v_mov_b32_e32 v8, 0
	s_delay_alu instid0(VALU_DEP_1)
	v_dual_mov_b32 v9, v8 :: v_dual_mov_b32 v10, v8
	v_mov_b32_e32 v11, v8
	scratch_store_b128 off, v[8:11], off offset:80
	s_wait_loadcnt 0x0
	ds_store_b128 v6, v[2:5]
.LBB12_81:
	s_wait_xcnt 0x0
	s_or_b32 exec_lo, exec_lo, s2
	s_wait_storecnt_dscnt 0x0
	s_barrier_signal -1
	s_barrier_wait -1
	s_clause 0x7
	scratch_load_b128 v[8:11], off, off offset:96
	scratch_load_b128 v[40:43], off, off offset:112
	;; [unrolled: 1-line block ×8, first 2 shown]
	v_mov_b32_e32 v2, 0
	ds_load_b128 v[68:71], v2 offset:304
	ds_load_b128 v[72:75], v2 offset:320
	s_mov_b32 s2, exec_lo
	s_wait_loadcnt_dscnt 0x701
	v_mul_f64_e32 v[4:5], v[70:71], v[10:11]
	v_mul_f64_e32 v[12:13], v[68:69], v[10:11]
	s_wait_loadcnt_dscnt 0x600
	v_mul_f64_e32 v[76:77], v[72:73], v[42:43]
	v_mul_f64_e32 v[42:43], v[74:75], v[42:43]
	s_delay_alu instid0(VALU_DEP_4) | instskip(NEXT) | instid1(VALU_DEP_4)
	v_fma_f64 v[4:5], v[68:69], v[8:9], -v[4:5]
	v_fmac_f64_e32 v[12:13], v[70:71], v[8:9]
	ds_load_b128 v[8:11], v2 offset:336
	ds_load_b128 v[68:71], v2 offset:352
	v_fmac_f64_e32 v[76:77], v[74:75], v[40:41]
	v_fma_f64 v[40:41], v[72:73], v[40:41], -v[42:43]
	s_wait_loadcnt_dscnt 0x501
	v_mul_f64_e32 v[78:79], v[8:9], v[46:47]
	v_mul_f64_e32 v[46:47], v[10:11], v[46:47]
	s_wait_loadcnt_dscnt 0x400
	v_mul_f64_e32 v[72:73], v[68:69], v[50:51]
	v_mul_f64_e32 v[50:51], v[70:71], v[50:51]
	v_add_f64_e32 v[4:5], 0, v[4:5]
	v_add_f64_e32 v[12:13], 0, v[12:13]
	v_fmac_f64_e32 v[78:79], v[10:11], v[44:45]
	v_fma_f64 v[44:45], v[8:9], v[44:45], -v[46:47]
	v_fmac_f64_e32 v[72:73], v[70:71], v[48:49]
	v_fma_f64 v[48:49], v[68:69], v[48:49], -v[50:51]
	v_add_f64_e32 v[4:5], v[4:5], v[40:41]
	v_add_f64_e32 v[12:13], v[12:13], v[76:77]
	ds_load_b128 v[8:11], v2 offset:368
	ds_load_b128 v[40:43], v2 offset:384
	s_wait_loadcnt_dscnt 0x301
	v_mul_f64_e32 v[46:47], v[8:9], v[54:55]
	v_mul_f64_e32 v[54:55], v[10:11], v[54:55]
	s_wait_loadcnt_dscnt 0x200
	v_mul_f64_e32 v[50:51], v[42:43], v[58:59]
	v_add_f64_e32 v[4:5], v[4:5], v[44:45]
	v_add_f64_e32 v[12:13], v[12:13], v[78:79]
	v_mul_f64_e32 v[44:45], v[40:41], v[58:59]
	v_fmac_f64_e32 v[46:47], v[10:11], v[52:53]
	v_fma_f64 v[52:53], v[8:9], v[52:53], -v[54:55]
	ds_load_b128 v[8:11], v2 offset:400
	v_fma_f64 v[40:41], v[40:41], v[56:57], -v[50:51]
	v_add_f64_e32 v[4:5], v[4:5], v[48:49]
	v_add_f64_e32 v[12:13], v[12:13], v[72:73]
	v_fmac_f64_e32 v[44:45], v[42:43], v[56:57]
	s_wait_loadcnt_dscnt 0x100
	v_mul_f64_e32 v[48:49], v[8:9], v[62:63]
	v_mul_f64_e32 v[54:55], v[10:11], v[62:63]
	v_add_f64_e32 v[4:5], v[4:5], v[52:53]
	v_add_f64_e32 v[12:13], v[12:13], v[46:47]
	s_delay_alu instid0(VALU_DEP_4) | instskip(NEXT) | instid1(VALU_DEP_4)
	v_fmac_f64_e32 v[48:49], v[10:11], v[60:61]
	v_fma_f64 v[8:9], v[8:9], v[60:61], -v[54:55]
	s_delay_alu instid0(VALU_DEP_4) | instskip(NEXT) | instid1(VALU_DEP_4)
	v_add_f64_e32 v[4:5], v[4:5], v[40:41]
	v_add_f64_e32 v[10:11], v[12:13], v[44:45]
	s_delay_alu instid0(VALU_DEP_2) | instskip(NEXT) | instid1(VALU_DEP_2)
	v_add_f64_e32 v[4:5], v[4:5], v[8:9]
	v_add_f64_e32 v[10:11], v[10:11], v[48:49]
	s_wait_loadcnt 0x0
	s_delay_alu instid0(VALU_DEP_2) | instskip(NEXT) | instid1(VALU_DEP_2)
	v_add_f64_e64 v[8:9], v[64:65], -v[4:5]
	v_add_f64_e64 v[10:11], v[66:67], -v[10:11]
	scratch_store_b128 off, v[8:11], off offset:80
	s_wait_xcnt 0x0
	v_cmpx_lt_u32_e32 4, v1
	s_cbranch_execz .LBB12_83
; %bb.82:
	scratch_load_b128 v[8:11], off, s10
	v_dual_mov_b32 v3, v2 :: v_dual_mov_b32 v4, v2
	v_mov_b32_e32 v5, v2
	scratch_store_b128 off, v[2:5], off offset:64
	s_wait_loadcnt 0x0
	ds_store_b128 v6, v[8:11]
.LBB12_83:
	s_wait_xcnt 0x0
	s_or_b32 exec_lo, exec_lo, s2
	s_wait_storecnt_dscnt 0x0
	s_barrier_signal -1
	s_barrier_wait -1
	s_clause 0x7
	scratch_load_b128 v[8:11], off, off offset:80
	scratch_load_b128 v[40:43], off, off offset:96
	;; [unrolled: 1-line block ×8, first 2 shown]
	ds_load_b128 v[68:71], v2 offset:288
	ds_load_b128 v[72:75], v2 offset:304
	scratch_load_b128 v[76:79], off, off offset:64
	s_mov_b32 s2, exec_lo
	s_wait_loadcnt_dscnt 0x801
	v_mul_f64_e32 v[4:5], v[70:71], v[10:11]
	v_mul_f64_e32 v[12:13], v[68:69], v[10:11]
	s_wait_loadcnt_dscnt 0x700
	v_mul_f64_e32 v[80:81], v[72:73], v[42:43]
	v_mul_f64_e32 v[42:43], v[74:75], v[42:43]
	s_delay_alu instid0(VALU_DEP_4) | instskip(NEXT) | instid1(VALU_DEP_4)
	v_fma_f64 v[4:5], v[68:69], v[8:9], -v[4:5]
	v_fmac_f64_e32 v[12:13], v[70:71], v[8:9]
	ds_load_b128 v[8:11], v2 offset:320
	ds_load_b128 v[68:71], v2 offset:336
	v_fmac_f64_e32 v[80:81], v[74:75], v[40:41]
	v_fma_f64 v[40:41], v[72:73], v[40:41], -v[42:43]
	s_wait_loadcnt_dscnt 0x601
	v_mul_f64_e32 v[82:83], v[8:9], v[46:47]
	v_mul_f64_e32 v[46:47], v[10:11], v[46:47]
	s_wait_loadcnt_dscnt 0x500
	v_mul_f64_e32 v[72:73], v[68:69], v[50:51]
	v_mul_f64_e32 v[50:51], v[70:71], v[50:51]
	v_add_f64_e32 v[4:5], 0, v[4:5]
	v_add_f64_e32 v[12:13], 0, v[12:13]
	v_fmac_f64_e32 v[82:83], v[10:11], v[44:45]
	v_fma_f64 v[44:45], v[8:9], v[44:45], -v[46:47]
	v_fmac_f64_e32 v[72:73], v[70:71], v[48:49]
	v_fma_f64 v[48:49], v[68:69], v[48:49], -v[50:51]
	v_add_f64_e32 v[4:5], v[4:5], v[40:41]
	v_add_f64_e32 v[12:13], v[12:13], v[80:81]
	ds_load_b128 v[8:11], v2 offset:352
	ds_load_b128 v[40:43], v2 offset:368
	s_wait_loadcnt_dscnt 0x401
	v_mul_f64_e32 v[46:47], v[8:9], v[54:55]
	v_mul_f64_e32 v[54:55], v[10:11], v[54:55]
	s_wait_loadcnt_dscnt 0x300
	v_mul_f64_e32 v[50:51], v[42:43], v[58:59]
	v_add_f64_e32 v[4:5], v[4:5], v[44:45]
	v_add_f64_e32 v[12:13], v[12:13], v[82:83]
	v_mul_f64_e32 v[44:45], v[40:41], v[58:59]
	v_fmac_f64_e32 v[46:47], v[10:11], v[52:53]
	v_fma_f64 v[52:53], v[8:9], v[52:53], -v[54:55]
	v_fma_f64 v[40:41], v[40:41], v[56:57], -v[50:51]
	v_add_f64_e32 v[48:49], v[4:5], v[48:49]
	v_add_f64_e32 v[12:13], v[12:13], v[72:73]
	ds_load_b128 v[8:11], v2 offset:384
	ds_load_b128 v[2:5], v2 offset:400
	v_fmac_f64_e32 v[44:45], v[42:43], v[56:57]
	s_wait_loadcnt_dscnt 0x201
	v_mul_f64_e32 v[54:55], v[8:9], v[62:63]
	v_mul_f64_e32 v[58:59], v[10:11], v[62:63]
	v_add_f64_e32 v[42:43], v[48:49], v[52:53]
	v_add_f64_e32 v[12:13], v[12:13], v[46:47]
	s_wait_loadcnt_dscnt 0x100
	v_mul_f64_e32 v[46:47], v[2:3], v[66:67]
	v_mul_f64_e32 v[48:49], v[4:5], v[66:67]
	v_fmac_f64_e32 v[54:55], v[10:11], v[60:61]
	v_fma_f64 v[8:9], v[8:9], v[60:61], -v[58:59]
	v_add_f64_e32 v[10:11], v[42:43], v[40:41]
	v_add_f64_e32 v[12:13], v[12:13], v[44:45]
	v_fmac_f64_e32 v[46:47], v[4:5], v[64:65]
	v_fma_f64 v[2:3], v[2:3], v[64:65], -v[48:49]
	s_delay_alu instid0(VALU_DEP_4) | instskip(NEXT) | instid1(VALU_DEP_4)
	v_add_f64_e32 v[4:5], v[10:11], v[8:9]
	v_add_f64_e32 v[8:9], v[12:13], v[54:55]
	s_delay_alu instid0(VALU_DEP_2) | instskip(NEXT) | instid1(VALU_DEP_2)
	v_add_f64_e32 v[2:3], v[4:5], v[2:3]
	v_add_f64_e32 v[4:5], v[8:9], v[46:47]
	s_wait_loadcnt 0x0
	s_delay_alu instid0(VALU_DEP_2) | instskip(NEXT) | instid1(VALU_DEP_2)
	v_add_f64_e64 v[2:3], v[76:77], -v[2:3]
	v_add_f64_e64 v[4:5], v[78:79], -v[4:5]
	scratch_store_b128 off, v[2:5], off offset:64
	s_wait_xcnt 0x0
	v_cmpx_lt_u32_e32 3, v1
	s_cbranch_execz .LBB12_85
; %bb.84:
	scratch_load_b128 v[2:5], off, s9
	v_mov_b32_e32 v8, 0
	s_delay_alu instid0(VALU_DEP_1)
	v_dual_mov_b32 v9, v8 :: v_dual_mov_b32 v10, v8
	v_mov_b32_e32 v11, v8
	scratch_store_b128 off, v[8:11], off offset:48
	s_wait_loadcnt 0x0
	ds_store_b128 v6, v[2:5]
.LBB12_85:
	s_wait_xcnt 0x0
	s_or_b32 exec_lo, exec_lo, s2
	s_wait_storecnt_dscnt 0x0
	s_barrier_signal -1
	s_barrier_wait -1
	s_clause 0x8
	scratch_load_b128 v[8:11], off, off offset:64
	scratch_load_b128 v[40:43], off, off offset:80
	;; [unrolled: 1-line block ×9, first 2 shown]
	v_mov_b32_e32 v2, 0
	scratch_load_b128 v[76:79], off, off offset:48
	s_mov_b32 s2, exec_lo
	ds_load_b128 v[72:75], v2 offset:272
	ds_load_b128 v[80:83], v2 offset:288
	s_wait_loadcnt_dscnt 0x901
	v_mul_f64_e32 v[4:5], v[74:75], v[10:11]
	v_mul_f64_e32 v[12:13], v[72:73], v[10:11]
	s_wait_loadcnt_dscnt 0x800
	v_mul_f64_e32 v[84:85], v[80:81], v[42:43]
	v_mul_f64_e32 v[42:43], v[82:83], v[42:43]
	s_delay_alu instid0(VALU_DEP_4) | instskip(NEXT) | instid1(VALU_DEP_4)
	v_fma_f64 v[4:5], v[72:73], v[8:9], -v[4:5]
	v_fmac_f64_e32 v[12:13], v[74:75], v[8:9]
	ds_load_b128 v[8:11], v2 offset:304
	ds_load_b128 v[72:75], v2 offset:320
	v_fmac_f64_e32 v[84:85], v[82:83], v[40:41]
	v_fma_f64 v[40:41], v[80:81], v[40:41], -v[42:43]
	s_wait_loadcnt_dscnt 0x701
	v_mul_f64_e32 v[86:87], v[8:9], v[46:47]
	v_mul_f64_e32 v[46:47], v[10:11], v[46:47]
	s_wait_loadcnt_dscnt 0x600
	v_mul_f64_e32 v[80:81], v[72:73], v[50:51]
	v_mul_f64_e32 v[50:51], v[74:75], v[50:51]
	v_add_f64_e32 v[4:5], 0, v[4:5]
	v_add_f64_e32 v[12:13], 0, v[12:13]
	v_fmac_f64_e32 v[86:87], v[10:11], v[44:45]
	v_fma_f64 v[44:45], v[8:9], v[44:45], -v[46:47]
	v_fmac_f64_e32 v[80:81], v[74:75], v[48:49]
	v_fma_f64 v[48:49], v[72:73], v[48:49], -v[50:51]
	v_add_f64_e32 v[4:5], v[4:5], v[40:41]
	v_add_f64_e32 v[12:13], v[12:13], v[84:85]
	ds_load_b128 v[8:11], v2 offset:336
	ds_load_b128 v[40:43], v2 offset:352
	s_wait_loadcnt_dscnt 0x501
	v_mul_f64_e32 v[82:83], v[8:9], v[54:55]
	v_mul_f64_e32 v[46:47], v[10:11], v[54:55]
	s_wait_loadcnt_dscnt 0x400
	v_mul_f64_e32 v[50:51], v[40:41], v[58:59]
	v_mul_f64_e32 v[54:55], v[42:43], v[58:59]
	v_add_f64_e32 v[4:5], v[4:5], v[44:45]
	v_add_f64_e32 v[12:13], v[12:13], v[86:87]
	v_fmac_f64_e32 v[82:83], v[10:11], v[52:53]
	v_fma_f64 v[52:53], v[8:9], v[52:53], -v[46:47]
	ds_load_b128 v[8:11], v2 offset:368
	ds_load_b128 v[44:47], v2 offset:384
	v_fmac_f64_e32 v[50:51], v[42:43], v[56:57]
	v_fma_f64 v[40:41], v[40:41], v[56:57], -v[54:55]
	v_add_f64_e32 v[4:5], v[4:5], v[48:49]
	v_add_f64_e32 v[12:13], v[12:13], v[80:81]
	s_wait_loadcnt_dscnt 0x301
	v_mul_f64_e32 v[48:49], v[8:9], v[62:63]
	v_mul_f64_e32 v[58:59], v[10:11], v[62:63]
	s_wait_loadcnt_dscnt 0x200
	v_mul_f64_e32 v[42:43], v[44:45], v[66:67]
	v_add_f64_e32 v[4:5], v[4:5], v[52:53]
	v_add_f64_e32 v[12:13], v[12:13], v[82:83]
	v_mul_f64_e32 v[52:53], v[46:47], v[66:67]
	v_fmac_f64_e32 v[48:49], v[10:11], v[60:61]
	v_fma_f64 v[54:55], v[8:9], v[60:61], -v[58:59]
	ds_load_b128 v[8:11], v2 offset:400
	v_fmac_f64_e32 v[42:43], v[46:47], v[64:65]
	v_add_f64_e32 v[4:5], v[4:5], v[40:41]
	v_add_f64_e32 v[12:13], v[12:13], v[50:51]
	s_wait_loadcnt_dscnt 0x100
	v_mul_f64_e32 v[40:41], v[8:9], v[70:71]
	v_mul_f64_e32 v[50:51], v[10:11], v[70:71]
	v_fma_f64 v[44:45], v[44:45], v[64:65], -v[52:53]
	v_add_f64_e32 v[4:5], v[4:5], v[54:55]
	v_add_f64_e32 v[12:13], v[12:13], v[48:49]
	v_fmac_f64_e32 v[40:41], v[10:11], v[68:69]
	v_fma_f64 v[8:9], v[8:9], v[68:69], -v[50:51]
	s_delay_alu instid0(VALU_DEP_4) | instskip(NEXT) | instid1(VALU_DEP_4)
	v_add_f64_e32 v[4:5], v[4:5], v[44:45]
	v_add_f64_e32 v[10:11], v[12:13], v[42:43]
	s_delay_alu instid0(VALU_DEP_2) | instskip(NEXT) | instid1(VALU_DEP_2)
	v_add_f64_e32 v[4:5], v[4:5], v[8:9]
	v_add_f64_e32 v[10:11], v[10:11], v[40:41]
	s_wait_loadcnt 0x0
	s_delay_alu instid0(VALU_DEP_2) | instskip(NEXT) | instid1(VALU_DEP_2)
	v_add_f64_e64 v[8:9], v[76:77], -v[4:5]
	v_add_f64_e64 v[10:11], v[78:79], -v[10:11]
	scratch_store_b128 off, v[8:11], off offset:48
	s_wait_xcnt 0x0
	v_cmpx_lt_u32_e32 2, v1
	s_cbranch_execz .LBB12_87
; %bb.86:
	scratch_load_b128 v[8:11], off, s8
	v_dual_mov_b32 v3, v2 :: v_dual_mov_b32 v4, v2
	v_mov_b32_e32 v5, v2
	scratch_store_b128 off, v[2:5], off offset:32
	s_wait_loadcnt 0x0
	ds_store_b128 v6, v[8:11]
.LBB12_87:
	s_wait_xcnt 0x0
	s_or_b32 exec_lo, exec_lo, s2
	s_wait_storecnt_dscnt 0x0
	s_barrier_signal -1
	s_barrier_wait -1
	s_clause 0x9
	scratch_load_b128 v[8:11], off, off offset:48
	scratch_load_b128 v[40:43], off, off offset:64
	;; [unrolled: 1-line block ×10, first 2 shown]
	ds_load_b128 v[76:79], v2 offset:256
	ds_load_b128 v[80:83], v2 offset:272
	scratch_load_b128 v[84:87], off, off offset:32
	s_mov_b32 s2, exec_lo
	v_ashrrev_i32_e32 v21, 31, v20
	v_ashrrev_i32_e32 v25, 31, v24
	;; [unrolled: 1-line block ×3, first 2 shown]
	v_dual_ashrrev_i32 v33, 31, v32 :: v_dual_ashrrev_i32 v19, 31, v18
	v_dual_ashrrev_i32 v23, 31, v22 :: v_dual_ashrrev_i32 v37, 31, v36
	v_ashrrev_i32_e32 v27, 31, v26
	v_ashrrev_i32_e32 v31, 31, v30
	;; [unrolled: 1-line block ×4, first 2 shown]
	s_wait_loadcnt_dscnt 0xa01
	v_mul_f64_e32 v[4:5], v[78:79], v[10:11]
	v_mul_f64_e32 v[12:13], v[76:77], v[10:11]
	s_wait_loadcnt_dscnt 0x900
	v_mul_f64_e32 v[88:89], v[80:81], v[42:43]
	v_mul_f64_e32 v[42:43], v[82:83], v[42:43]
	s_delay_alu instid0(VALU_DEP_4) | instskip(NEXT) | instid1(VALU_DEP_4)
	v_fma_f64 v[4:5], v[76:77], v[8:9], -v[4:5]
	v_fmac_f64_e32 v[12:13], v[78:79], v[8:9]
	ds_load_b128 v[8:11], v2 offset:288
	ds_load_b128 v[76:79], v2 offset:304
	v_fmac_f64_e32 v[88:89], v[82:83], v[40:41]
	v_fma_f64 v[40:41], v[80:81], v[40:41], -v[42:43]
	s_wait_loadcnt_dscnt 0x801
	v_mul_f64_e32 v[90:91], v[8:9], v[46:47]
	v_mul_f64_e32 v[46:47], v[10:11], v[46:47]
	s_wait_loadcnt_dscnt 0x700
	v_mul_f64_e32 v[80:81], v[76:77], v[50:51]
	v_mul_f64_e32 v[50:51], v[78:79], v[50:51]
	v_add_f64_e32 v[4:5], 0, v[4:5]
	v_add_f64_e32 v[12:13], 0, v[12:13]
	v_fmac_f64_e32 v[90:91], v[10:11], v[44:45]
	v_fma_f64 v[44:45], v[8:9], v[44:45], -v[46:47]
	v_fmac_f64_e32 v[80:81], v[78:79], v[48:49]
	v_fma_f64 v[48:49], v[76:77], v[48:49], -v[50:51]
	v_add_f64_e32 v[4:5], v[4:5], v[40:41]
	v_add_f64_e32 v[12:13], v[12:13], v[88:89]
	ds_load_b128 v[8:11], v2 offset:320
	ds_load_b128 v[40:43], v2 offset:336
	s_wait_loadcnt_dscnt 0x601
	v_mul_f64_e32 v[82:83], v[8:9], v[54:55]
	v_mul_f64_e32 v[46:47], v[10:11], v[54:55]
	s_wait_loadcnt_dscnt 0x500
	v_mul_f64_e32 v[50:51], v[40:41], v[58:59]
	v_mul_f64_e32 v[54:55], v[42:43], v[58:59]
	v_add_f64_e32 v[4:5], v[4:5], v[44:45]
	v_add_f64_e32 v[12:13], v[12:13], v[90:91]
	v_fmac_f64_e32 v[82:83], v[10:11], v[52:53]
	v_fma_f64 v[52:53], v[8:9], v[52:53], -v[46:47]
	ds_load_b128 v[8:11], v2 offset:352
	ds_load_b128 v[44:47], v2 offset:368
	v_fmac_f64_e32 v[50:51], v[42:43], v[56:57]
	v_fma_f64 v[40:41], v[40:41], v[56:57], -v[54:55]
	v_add_f64_e32 v[4:5], v[4:5], v[48:49]
	v_add_f64_e32 v[12:13], v[12:13], v[80:81]
	s_wait_loadcnt_dscnt 0x401
	v_mul_f64_e32 v[48:49], v[8:9], v[62:63]
	v_mul_f64_e32 v[58:59], v[10:11], v[62:63]
	s_wait_loadcnt_dscnt 0x300
	v_mul_f64_e32 v[42:43], v[44:45], v[66:67]
	v_add_f64_e32 v[4:5], v[4:5], v[52:53]
	v_add_f64_e32 v[12:13], v[12:13], v[82:83]
	v_mul_f64_e32 v[52:53], v[46:47], v[66:67]
	v_fmac_f64_e32 v[48:49], v[10:11], v[60:61]
	v_fma_f64 v[54:55], v[8:9], v[60:61], -v[58:59]
	v_fmac_f64_e32 v[42:43], v[46:47], v[64:65]
	v_add_f64_e32 v[40:41], v[4:5], v[40:41]
	v_add_f64_e32 v[12:13], v[12:13], v[50:51]
	ds_load_b128 v[8:11], v2 offset:384
	ds_load_b128 v[2:5], v2 offset:400
	v_fma_f64 v[44:45], v[44:45], v[64:65], -v[52:53]
	s_wait_loadcnt_dscnt 0x201
	v_mul_f64_e32 v[50:51], v[8:9], v[70:71]
	v_mul_f64_e32 v[56:57], v[10:11], v[70:71]
	s_wait_loadcnt_dscnt 0x100
	v_mul_f64_e32 v[46:47], v[2:3], v[74:75]
	v_add_f64_e32 v[40:41], v[40:41], v[54:55]
	v_add_f64_e32 v[12:13], v[12:13], v[48:49]
	v_mul_f64_e32 v[48:49], v[4:5], v[74:75]
	v_fmac_f64_e32 v[50:51], v[10:11], v[68:69]
	v_fma_f64 v[8:9], v[8:9], v[68:69], -v[56:57]
	v_fmac_f64_e32 v[46:47], v[4:5], v[72:73]
	v_add_f64_e32 v[10:11], v[40:41], v[44:45]
	v_add_f64_e32 v[12:13], v[12:13], v[42:43]
	v_fma_f64 v[2:3], v[2:3], v[72:73], -v[48:49]
	s_delay_alu instid0(VALU_DEP_3) | instskip(NEXT) | instid1(VALU_DEP_3)
	v_add_f64_e32 v[4:5], v[10:11], v[8:9]
	v_add_f64_e32 v[8:9], v[12:13], v[50:51]
	s_delay_alu instid0(VALU_DEP_2) | instskip(NEXT) | instid1(VALU_DEP_2)
	v_add_f64_e32 v[2:3], v[4:5], v[2:3]
	v_add_f64_e32 v[4:5], v[8:9], v[46:47]
	s_wait_loadcnt 0x0
	s_delay_alu instid0(VALU_DEP_2) | instskip(NEXT) | instid1(VALU_DEP_2)
	v_add_f64_e64 v[2:3], v[84:85], -v[2:3]
	v_add_f64_e64 v[4:5], v[86:87], -v[4:5]
	scratch_store_b128 off, v[2:5], off offset:32
	s_wait_xcnt 0x0
	v_cmpx_lt_u32_e32 1, v1
	s_cbranch_execz .LBB12_89
; %bb.88:
	scratch_load_b128 v[2:5], off, s11
	v_mov_b32_e32 v8, 0
	s_delay_alu instid0(VALU_DEP_1)
	v_dual_mov_b32 v9, v8 :: v_dual_mov_b32 v10, v8
	v_mov_b32_e32 v11, v8
	scratch_store_b128 off, v[8:11], off offset:16
	s_wait_loadcnt 0x0
	ds_store_b128 v6, v[2:5]
.LBB12_89:
	s_wait_xcnt 0x0
	s_or_b32 exec_lo, exec_lo, s2
	s_wait_storecnt_dscnt 0x0
	s_barrier_signal -1
	s_barrier_wait -1
	s_clause 0x9
	scratch_load_b128 v[8:11], off, off offset:32
	scratch_load_b128 v[40:43], off, off offset:48
	;; [unrolled: 1-line block ×10, first 2 shown]
	v_mov_b32_e32 v2, 0
	s_mov_b32 s2, exec_lo
	ds_load_b128 v[76:79], v2 offset:240
	s_clause 0x1
	scratch_load_b128 v[80:83], off, off offset:192
	scratch_load_b128 v[84:87], off, off offset:16
	s_wait_loadcnt_dscnt 0xb00
	v_mul_f64_e32 v[4:5], v[78:79], v[10:11]
	v_mul_f64_e32 v[12:13], v[76:77], v[10:11]
	ds_load_b128 v[88:91], v2 offset:256
	s_wait_loadcnt_dscnt 0xa00
	v_mul_f64_e32 v[92:93], v[88:89], v[42:43]
	v_mul_f64_e32 v[42:43], v[90:91], v[42:43]
	v_fma_f64 v[4:5], v[76:77], v[8:9], -v[4:5]
	v_fmac_f64_e32 v[12:13], v[78:79], v[8:9]
	ds_load_b128 v[8:11], v2 offset:272
	ds_load_b128 v[76:79], v2 offset:288
	s_wait_loadcnt_dscnt 0x901
	v_mul_f64_e32 v[94:95], v[8:9], v[46:47]
	v_mul_f64_e32 v[46:47], v[10:11], v[46:47]
	v_fmac_f64_e32 v[92:93], v[90:91], v[40:41]
	v_fma_f64 v[40:41], v[88:89], v[40:41], -v[42:43]
	s_wait_loadcnt_dscnt 0x800
	v_mul_f64_e32 v[88:89], v[76:77], v[50:51]
	v_mul_f64_e32 v[50:51], v[78:79], v[50:51]
	v_add_f64_e32 v[4:5], 0, v[4:5]
	v_add_f64_e32 v[12:13], 0, v[12:13]
	v_fmac_f64_e32 v[94:95], v[10:11], v[44:45]
	v_fma_f64 v[44:45], v[8:9], v[44:45], -v[46:47]
	v_fmac_f64_e32 v[88:89], v[78:79], v[48:49]
	v_fma_f64 v[48:49], v[76:77], v[48:49], -v[50:51]
	v_add_f64_e32 v[4:5], v[4:5], v[40:41]
	v_add_f64_e32 v[12:13], v[12:13], v[92:93]
	ds_load_b128 v[8:11], v2 offset:304
	ds_load_b128 v[40:43], v2 offset:320
	s_wait_loadcnt_dscnt 0x701
	v_mul_f64_e32 v[90:91], v[8:9], v[54:55]
	v_mul_f64_e32 v[46:47], v[10:11], v[54:55]
	s_wait_loadcnt_dscnt 0x600
	v_mul_f64_e32 v[50:51], v[40:41], v[58:59]
	v_mul_f64_e32 v[54:55], v[42:43], v[58:59]
	v_add_f64_e32 v[4:5], v[4:5], v[44:45]
	v_add_f64_e32 v[12:13], v[12:13], v[94:95]
	v_fmac_f64_e32 v[90:91], v[10:11], v[52:53]
	v_fma_f64 v[52:53], v[8:9], v[52:53], -v[46:47]
	ds_load_b128 v[8:11], v2 offset:336
	ds_load_b128 v[44:47], v2 offset:352
	v_fmac_f64_e32 v[50:51], v[42:43], v[56:57]
	v_fma_f64 v[40:41], v[40:41], v[56:57], -v[54:55]
	v_add_f64_e32 v[4:5], v[4:5], v[48:49]
	v_add_f64_e32 v[12:13], v[12:13], v[88:89]
	s_wait_loadcnt_dscnt 0x501
	v_mul_f64_e32 v[48:49], v[8:9], v[62:63]
	v_mul_f64_e32 v[58:59], v[10:11], v[62:63]
	s_wait_loadcnt_dscnt 0x400
	v_mul_f64_e32 v[54:55], v[46:47], v[66:67]
	v_add_f64_e32 v[4:5], v[4:5], v[52:53]
	v_add_f64_e32 v[12:13], v[12:13], v[90:91]
	v_mul_f64_e32 v[52:53], v[44:45], v[66:67]
	v_fmac_f64_e32 v[48:49], v[10:11], v[60:61]
	v_fma_f64 v[56:57], v[8:9], v[60:61], -v[58:59]
	v_fma_f64 v[44:45], v[44:45], v[64:65], -v[54:55]
	v_add_f64_e32 v[4:5], v[4:5], v[40:41]
	v_add_f64_e32 v[12:13], v[12:13], v[50:51]
	ds_load_b128 v[8:11], v2 offset:368
	ds_load_b128 v[40:43], v2 offset:384
	v_fmac_f64_e32 v[52:53], v[46:47], v[64:65]
	s_wait_loadcnt_dscnt 0x301
	v_mul_f64_e32 v[50:51], v[8:9], v[70:71]
	v_mul_f64_e32 v[58:59], v[10:11], v[70:71]
	s_wait_loadcnt_dscnt 0x200
	v_mul_f64_e32 v[46:47], v[40:41], v[74:75]
	v_add_f64_e32 v[4:5], v[4:5], v[56:57]
	v_add_f64_e32 v[12:13], v[12:13], v[48:49]
	v_mul_f64_e32 v[48:49], v[42:43], v[74:75]
	v_fmac_f64_e32 v[50:51], v[10:11], v[68:69]
	v_fma_f64 v[54:55], v[8:9], v[68:69], -v[58:59]
	ds_load_b128 v[8:11], v2 offset:400
	v_fmac_f64_e32 v[46:47], v[42:43], v[72:73]
	v_add_f64_e32 v[4:5], v[4:5], v[44:45]
	v_add_f64_e32 v[12:13], v[12:13], v[52:53]
	v_fma_f64 v[40:41], v[40:41], v[72:73], -v[48:49]
	s_wait_loadcnt_dscnt 0x100
	v_mul_f64_e32 v[44:45], v[8:9], v[82:83]
	v_mul_f64_e32 v[52:53], v[10:11], v[82:83]
	v_add_f64_e32 v[4:5], v[4:5], v[54:55]
	v_add_f64_e32 v[12:13], v[12:13], v[50:51]
	s_delay_alu instid0(VALU_DEP_4) | instskip(NEXT) | instid1(VALU_DEP_4)
	v_fmac_f64_e32 v[44:45], v[10:11], v[80:81]
	v_fma_f64 v[8:9], v[8:9], v[80:81], -v[52:53]
	s_delay_alu instid0(VALU_DEP_4) | instskip(NEXT) | instid1(VALU_DEP_4)
	v_add_f64_e32 v[4:5], v[4:5], v[40:41]
	v_add_f64_e32 v[10:11], v[12:13], v[46:47]
	s_delay_alu instid0(VALU_DEP_2) | instskip(NEXT) | instid1(VALU_DEP_2)
	v_add_f64_e32 v[4:5], v[4:5], v[8:9]
	v_add_f64_e32 v[10:11], v[10:11], v[44:45]
	s_wait_loadcnt 0x0
	s_delay_alu instid0(VALU_DEP_2) | instskip(NEXT) | instid1(VALU_DEP_2)
	v_add_f64_e64 v[8:9], v[84:85], -v[4:5]
	v_add_f64_e64 v[10:11], v[86:87], -v[10:11]
	scratch_store_b128 off, v[8:11], off offset:16
	s_wait_xcnt 0x0
	v_cmpx_ne_u32_e32 0, v1
	s_cbranch_execz .LBB12_91
; %bb.90:
	scratch_load_b128 v[8:11], off, off
	v_dual_mov_b32 v3, v2 :: v_dual_mov_b32 v4, v2
	v_mov_b32_e32 v5, v2
	scratch_store_b128 off, v[2:5], off
	s_wait_loadcnt 0x0
	ds_store_b128 v6, v[8:11]
.LBB12_91:
	s_wait_xcnt 0x0
	s_or_b32 exec_lo, exec_lo, s2
	s_wait_storecnt_dscnt 0x0
	s_barrier_signal -1
	s_barrier_wait -1
	s_clause 0x9
	scratch_load_b128 v[4:7], off, off offset:16
	scratch_load_b128 v[8:11], off, off offset:32
	;; [unrolled: 1-line block ×10, first 2 shown]
	ds_load_b128 v[72:75], v2 offset:224
	ds_load_b128 v[76:79], v2 offset:240
	s_clause 0x1
	scratch_load_b128 v[80:83], off, off
	scratch_load_b128 v[84:87], off, off offset:176
	s_and_b32 vcc_lo, exec_lo, s24
	s_wait_loadcnt_dscnt 0xb01
	v_mul_f64_e32 v[88:89], v[72:73], v[6:7]
	v_mul_f64_e32 v[6:7], v[74:75], v[6:7]
	s_wait_loadcnt_dscnt 0xa00
	v_mul_f64_e32 v[90:91], v[76:77], v[10:11]
	v_mul_f64_e32 v[92:93], v[78:79], v[10:11]
	ds_load_b128 v[10:13], v2 offset:256
	v_fmac_f64_e32 v[88:89], v[74:75], v[4:5]
	v_fma_f64 v[94:95], v[72:73], v[4:5], -v[6:7]
	scratch_load_b128 v[4:7], off, off offset:192
	v_fmac_f64_e32 v[90:91], v[78:79], v[8:9]
	v_fma_f64 v[8:9], v[76:77], v[8:9], -v[92:93]
	ds_load_b128 v[72:75], v2 offset:272
	s_wait_loadcnt_dscnt 0xa01
	v_mul_f64_e32 v[76:77], v[10:11], v[42:43]
	v_mul_f64_e32 v[42:43], v[12:13], v[42:43]
	s_wait_loadcnt_dscnt 0x900
	v_mul_f64_e32 v[92:93], v[72:73], v[46:47]
	v_mul_f64_e32 v[46:47], v[74:75], v[46:47]
	v_add_f64_e32 v[88:89], 0, v[88:89]
	v_add_f64_e32 v[78:79], 0, v[94:95]
	v_fmac_f64_e32 v[76:77], v[12:13], v[40:41]
	v_fma_f64 v[12:13], v[10:11], v[40:41], -v[42:43]
	v_fmac_f64_e32 v[92:93], v[74:75], v[44:45]
	v_fma_f64 v[44:45], v[72:73], v[44:45], -v[46:47]
	v_add_f64_e32 v[88:89], v[88:89], v[90:91]
	v_add_f64_e32 v[78:79], v[78:79], v[8:9]
	ds_load_b128 v[8:11], v2 offset:288
	ds_load_b128 v[40:43], v2 offset:304
	s_wait_loadcnt_dscnt 0x801
	v_mul_f64_e32 v[90:91], v[8:9], v[50:51]
	v_mul_f64_e32 v[46:47], v[10:11], v[50:51]
	s_wait_loadcnt_dscnt 0x700
	v_mul_f64_e32 v[72:73], v[40:41], v[54:55]
	v_mul_f64_e32 v[54:55], v[42:43], v[54:55]
	v_add_f64_e32 v[50:51], v[88:89], v[76:77]
	v_add_f64_e32 v[12:13], v[78:79], v[12:13]
	v_fmac_f64_e32 v[90:91], v[10:11], v[48:49]
	v_fma_f64 v[48:49], v[8:9], v[48:49], -v[46:47]
	v_fmac_f64_e32 v[72:73], v[42:43], v[52:53]
	v_fma_f64 v[40:41], v[40:41], v[52:53], -v[54:55]
	v_add_f64_e32 v[50:51], v[50:51], v[92:93]
	v_add_f64_e32 v[12:13], v[12:13], v[44:45]
	ds_load_b128 v[8:11], v2 offset:320
	ds_load_b128 v[44:47], v2 offset:336
	s_wait_loadcnt_dscnt 0x601
	v_mul_f64_e32 v[74:75], v[8:9], v[58:59]
	v_mul_f64_e32 v[58:59], v[10:11], v[58:59]
	v_add_f64_e32 v[42:43], v[50:51], v[90:91]
	v_add_f64_e32 v[12:13], v[12:13], v[48:49]
	s_wait_loadcnt_dscnt 0x500
	v_mul_f64_e32 v[48:49], v[44:45], v[62:63]
	v_mul_f64_e32 v[50:51], v[46:47], v[62:63]
	v_fmac_f64_e32 v[74:75], v[10:11], v[56:57]
	v_fma_f64 v[52:53], v[8:9], v[56:57], -v[58:59]
	v_add_f64_e32 v[54:55], v[42:43], v[72:73]
	v_add_f64_e32 v[12:13], v[12:13], v[40:41]
	ds_load_b128 v[8:11], v2 offset:352
	ds_load_b128 v[40:43], v2 offset:368
	v_fmac_f64_e32 v[48:49], v[46:47], v[60:61]
	v_fma_f64 v[44:45], v[44:45], v[60:61], -v[50:51]
	s_wait_loadcnt_dscnt 0x401
	v_mul_f64_e32 v[56:57], v[8:9], v[66:67]
	v_mul_f64_e32 v[58:59], v[10:11], v[66:67]
	s_wait_loadcnt_dscnt 0x300
	v_mul_f64_e32 v[50:51], v[40:41], v[70:71]
	v_add_f64_e32 v[46:47], v[54:55], v[74:75]
	v_add_f64_e32 v[12:13], v[12:13], v[52:53]
	v_mul_f64_e32 v[52:53], v[42:43], v[70:71]
	v_fmac_f64_e32 v[56:57], v[10:11], v[64:65]
	v_fma_f64 v[54:55], v[8:9], v[64:65], -v[58:59]
	v_fmac_f64_e32 v[50:51], v[42:43], v[68:69]
	v_add_f64_e32 v[48:49], v[46:47], v[48:49]
	v_add_f64_e32 v[12:13], v[12:13], v[44:45]
	ds_load_b128 v[8:11], v2 offset:384
	ds_load_b128 v[44:47], v2 offset:400
	v_fma_f64 v[40:41], v[40:41], v[68:69], -v[52:53]
	s_wait_loadcnt_dscnt 0x101
	v_mul_f64_e32 v[2:3], v[8:9], v[86:87]
	v_mul_f64_e32 v[58:59], v[10:11], v[86:87]
	v_add_f64_e32 v[42:43], v[48:49], v[56:57]
	v_add_f64_e32 v[12:13], v[12:13], v[54:55]
	s_delay_alu instid0(VALU_DEP_4) | instskip(NEXT) | instid1(VALU_DEP_4)
	v_fmac_f64_e32 v[2:3], v[10:11], v[84:85]
	v_fma_f64 v[8:9], v[8:9], v[84:85], -v[58:59]
	s_delay_alu instid0(VALU_DEP_3) | instskip(SKIP_4) | instid1(VALU_DEP_3)
	v_add_f64_e32 v[10:11], v[12:13], v[40:41]
	s_wait_loadcnt_dscnt 0x0
	v_mul_f64_e32 v[48:49], v[44:45], v[6:7]
	v_mul_f64_e32 v[6:7], v[46:47], v[6:7]
	v_add_f64_e32 v[12:13], v[42:43], v[50:51]
	v_fmac_f64_e32 v[48:49], v[46:47], v[4:5]
	s_delay_alu instid0(VALU_DEP_3) | instskip(SKIP_1) | instid1(VALU_DEP_4)
	v_fma_f64 v[4:5], v[44:45], v[4:5], -v[6:7]
	v_add_f64_e32 v[6:7], v[10:11], v[8:9]
	v_add_f64_e32 v[2:3], v[12:13], v[2:3]
	v_lshl_add_u64 v[8:9], v[24:25], 4, s[4:5]
	v_lshl_add_u64 v[10:11], v[26:27], 4, s[4:5]
	;; [unrolled: 1-line block ×5, first 2 shown]
	v_add_f64_e32 v[4:5], v[6:7], v[4:5]
	v_add_f64_e32 v[2:3], v[2:3], v[48:49]
	v_lshl_add_u64 v[6:7], v[22:23], 4, s[4:5]
	v_lshl_add_u64 v[22:23], v[34:35], 4, s[4:5]
	s_delay_alu instid0(VALU_DEP_4) | instskip(NEXT) | instid1(VALU_DEP_4)
	v_add_f64_e64 v[40:41], v[80:81], -v[4:5]
	v_add_f64_e64 v[42:43], v[82:83], -v[2:3]
	v_lshl_add_u64 v[2:3], v[18:19], 4, s[4:5]
	v_lshl_add_u64 v[4:5], v[20:21], 4, s[4:5]
	;; [unrolled: 1-line block ×4, first 2 shown]
	scratch_store_b128 off, v[40:43], off
	s_cbranch_vccz .LBB12_116
; %bb.92:
	v_mov_b32_e32 v28, 0
	s_load_b64 s[2:3], s[0:1], 0x4
	v_bfe_u32 v30, v0, 10, 10
	v_bfe_u32 v0, v0, 20, 10
	global_load_b32 v29, v28, s[16:17] offset:44
	s_wait_kmcnt 0x0
	s_lshr_b32 s0, s2, 16
	v_mul_u32_u24_e32 v30, s3, v30
	s_mul_i32 s0, s0, s3
	s_delay_alu instid0(SALU_CYCLE_1) | instskip(NEXT) | instid1(VALU_DEP_1)
	v_mul_u32_u24_e32 v1, s0, v1
	v_add3_u32 v0, v1, v30, v0
	s_delay_alu instid0(VALU_DEP_1)
	v_lshl_add_u32 v0, v0, 4, 0x1a8
	s_wait_loadcnt 0x0
	v_cmp_ne_u32_e32 vcc_lo, 12, v29
	s_cbranch_vccz .LBB12_94
; %bb.93:
	v_lshlrev_b32_e32 v1, 4, v29
	s_clause 0x1
	scratch_load_b128 v[30:33], off, s22
	scratch_load_b128 v[34:37], v1, off offset:-16
	s_wait_loadcnt 0x1
	ds_store_2addr_b64 v0, v[30:31], v[32:33] offset1:1
	s_wait_loadcnt 0x0
	s_clause 0x1
	scratch_store_b128 off, v[34:37], s22
	scratch_store_b128 v1, v[30:33], off offset:-16
.LBB12_94:
	global_load_b32 v1, v28, s[16:17] offset:40
	s_wait_loadcnt 0x0
	v_cmp_eq_u32_e32 vcc_lo, 11, v1
	s_cbranch_vccnz .LBB12_96
; %bb.95:
	v_lshlrev_b32_e32 v1, 4, v1
	s_clause 0x1
	scratch_load_b128 v[28:31], off, s21
	scratch_load_b128 v[32:35], v1, off offset:-16
	s_wait_loadcnt 0x1
	ds_store_2addr_b64 v0, v[28:29], v[30:31] offset1:1
	s_wait_loadcnt 0x0
	s_clause 0x1
	scratch_store_b128 off, v[32:35], s21
	scratch_store_b128 v1, v[28:31], off offset:-16
.LBB12_96:
	s_wait_xcnt 0x0
	v_mov_b32_e32 v1, 0
	global_load_b32 v28, v1, s[16:17] offset:36
	s_wait_loadcnt 0x0
	v_cmp_eq_u32_e32 vcc_lo, 10, v28
	s_cbranch_vccnz .LBB12_98
; %bb.97:
	v_lshlrev_b32_e32 v28, 4, v28
	s_delay_alu instid0(VALU_DEP_1)
	v_mov_b32_e32 v36, v28
	s_clause 0x1
	scratch_load_b128 v[28:31], off, s15
	scratch_load_b128 v[32:35], v36, off offset:-16
	s_wait_loadcnt 0x1
	ds_store_2addr_b64 v0, v[28:29], v[30:31] offset1:1
	s_wait_loadcnt 0x0
	s_clause 0x1
	scratch_store_b128 off, v[32:35], s15
	scratch_store_b128 v36, v[28:31], off offset:-16
.LBB12_98:
	global_load_b32 v1, v1, s[16:17] offset:32
	s_wait_loadcnt 0x0
	v_cmp_eq_u32_e32 vcc_lo, 9, v1
	s_cbranch_vccnz .LBB12_100
; %bb.99:
	s_wait_xcnt 0x0
	v_lshlrev_b32_e32 v1, 4, v1
	s_clause 0x1
	scratch_load_b128 v[28:31], off, s13
	scratch_load_b128 v[32:35], v1, off offset:-16
	s_wait_loadcnt 0x1
	ds_store_2addr_b64 v0, v[28:29], v[30:31] offset1:1
	s_wait_loadcnt 0x0
	s_clause 0x1
	scratch_store_b128 off, v[32:35], s13
	scratch_store_b128 v1, v[28:31], off offset:-16
.LBB12_100:
	s_wait_xcnt 0x0
	v_mov_b32_e32 v1, 0
	global_load_b32 v28, v1, s[16:17] offset:28
	s_wait_loadcnt 0x0
	v_cmp_eq_u32_e32 vcc_lo, 8, v28
	s_cbranch_vccnz .LBB12_102
; %bb.101:
	v_lshlrev_b32_e32 v28, 4, v28
	s_delay_alu instid0(VALU_DEP_1)
	v_mov_b32_e32 v36, v28
	s_clause 0x1
	scratch_load_b128 v[28:31], off, s20
	scratch_load_b128 v[32:35], v36, off offset:-16
	s_wait_loadcnt 0x1
	ds_store_2addr_b64 v0, v[28:29], v[30:31] offset1:1
	s_wait_loadcnt 0x0
	s_clause 0x1
	scratch_store_b128 off, v[32:35], s20
	scratch_store_b128 v36, v[28:31], off offset:-16
.LBB12_102:
	global_load_b32 v1, v1, s[16:17] offset:24
	s_wait_loadcnt 0x0
	v_cmp_eq_u32_e32 vcc_lo, 7, v1
	s_cbranch_vccnz .LBB12_104
; %bb.103:
	s_wait_xcnt 0x0
	v_lshlrev_b32_e32 v1, 4, v1
	s_clause 0x1
	scratch_load_b128 v[28:31], off, s14
	scratch_load_b128 v[32:35], v1, off offset:-16
	s_wait_loadcnt 0x1
	ds_store_2addr_b64 v0, v[28:29], v[30:31] offset1:1
	s_wait_loadcnt 0x0
	s_clause 0x1
	scratch_store_b128 off, v[32:35], s14
	scratch_store_b128 v1, v[28:31], off offset:-16
.LBB12_104:
	;; [unrolled: 37-line block ×4, first 2 shown]
	s_wait_xcnt 0x0
	v_mov_b32_e32 v1, 0
	global_load_b32 v28, v1, s[16:17] offset:4
	s_wait_loadcnt 0x0
	v_cmp_eq_u32_e32 vcc_lo, 2, v28
	s_cbranch_vccnz .LBB12_114
; %bb.113:
	v_lshlrev_b32_e32 v28, 4, v28
	s_delay_alu instid0(VALU_DEP_1)
	v_mov_b32_e32 v36, v28
	s_clause 0x1
	scratch_load_b128 v[28:31], off, s11
	scratch_load_b128 v[32:35], v36, off offset:-16
	s_wait_loadcnt 0x1
	ds_store_2addr_b64 v0, v[28:29], v[30:31] offset1:1
	s_wait_loadcnt 0x0
	s_clause 0x1
	scratch_store_b128 off, v[32:35], s11
	scratch_store_b128 v36, v[28:31], off offset:-16
.LBB12_114:
	global_load_b32 v1, v1, s[16:17]
	s_wait_loadcnt 0x0
	v_cmp_eq_u32_e32 vcc_lo, 1, v1
	s_cbranch_vccnz .LBB12_116
; %bb.115:
	s_wait_xcnt 0x0
	v_lshlrev_b32_e32 v1, 4, v1
	scratch_load_b128 v[28:31], off, off
	scratch_load_b128 v[32:35], v1, off offset:-16
	s_wait_loadcnt 0x1
	ds_store_2addr_b64 v0, v[28:29], v[30:31] offset1:1
	s_wait_loadcnt 0x0
	scratch_store_b128 off, v[32:35], off
	scratch_store_b128 v1, v[28:31], off offset:-16
.LBB12_116:
	scratch_load_b128 v[28:31], off, off
	s_clause 0xb
	scratch_load_b128 v[32:35], off, s11
	scratch_load_b128 v[36:39], off, s8
	;; [unrolled: 1-line block ×12, first 2 shown]
	s_wait_loadcnt 0xc
	global_store_b128 v[14:15], v[28:31], off
	s_wait_loadcnt 0xb
	global_store_b128 v[16:17], v[32:35], off
	;; [unrolled: 2-line block ×13, first 2 shown]
	s_sendmsg sendmsg(MSG_DEALLOC_VGPRS)
	s_endpgm
	.section	.rodata,"a",@progbits
	.p2align	6, 0x0
	.amdhsa_kernel _ZN9rocsolver6v33100L18getri_kernel_smallILi13E19rocblas_complex_numIdEPS3_EEvT1_iilPiilS6_bb
		.amdhsa_group_segment_fixed_size 1448
		.amdhsa_private_segment_fixed_size 224
		.amdhsa_kernarg_size 60
		.amdhsa_user_sgpr_count 4
		.amdhsa_user_sgpr_dispatch_ptr 1
		.amdhsa_user_sgpr_queue_ptr 0
		.amdhsa_user_sgpr_kernarg_segment_ptr 1
		.amdhsa_user_sgpr_dispatch_id 0
		.amdhsa_user_sgpr_kernarg_preload_length 0
		.amdhsa_user_sgpr_kernarg_preload_offset 0
		.amdhsa_user_sgpr_private_segment_size 0
		.amdhsa_wavefront_size32 1
		.amdhsa_uses_dynamic_stack 0
		.amdhsa_enable_private_segment 1
		.amdhsa_system_sgpr_workgroup_id_x 1
		.amdhsa_system_sgpr_workgroup_id_y 0
		.amdhsa_system_sgpr_workgroup_id_z 0
		.amdhsa_system_sgpr_workgroup_info 0
		.amdhsa_system_vgpr_workitem_id 2
		.amdhsa_next_free_vgpr 96
		.amdhsa_next_free_sgpr 28
		.amdhsa_named_barrier_count 0
		.amdhsa_reserve_vcc 1
		.amdhsa_float_round_mode_32 0
		.amdhsa_float_round_mode_16_64 0
		.amdhsa_float_denorm_mode_32 3
		.amdhsa_float_denorm_mode_16_64 3
		.amdhsa_fp16_overflow 0
		.amdhsa_memory_ordered 1
		.amdhsa_forward_progress 1
		.amdhsa_inst_pref_size 99
		.amdhsa_round_robin_scheduling 0
		.amdhsa_exception_fp_ieee_invalid_op 0
		.amdhsa_exception_fp_denorm_src 0
		.amdhsa_exception_fp_ieee_div_zero 0
		.amdhsa_exception_fp_ieee_overflow 0
		.amdhsa_exception_fp_ieee_underflow 0
		.amdhsa_exception_fp_ieee_inexact 0
		.amdhsa_exception_int_div_zero 0
	.end_amdhsa_kernel
	.section	.text._ZN9rocsolver6v33100L18getri_kernel_smallILi13E19rocblas_complex_numIdEPS3_EEvT1_iilPiilS6_bb,"axG",@progbits,_ZN9rocsolver6v33100L18getri_kernel_smallILi13E19rocblas_complex_numIdEPS3_EEvT1_iilPiilS6_bb,comdat
.Lfunc_end12:
	.size	_ZN9rocsolver6v33100L18getri_kernel_smallILi13E19rocblas_complex_numIdEPS3_EEvT1_iilPiilS6_bb, .Lfunc_end12-_ZN9rocsolver6v33100L18getri_kernel_smallILi13E19rocblas_complex_numIdEPS3_EEvT1_iilPiilS6_bb
                                        ; -- End function
	.set _ZN9rocsolver6v33100L18getri_kernel_smallILi13E19rocblas_complex_numIdEPS3_EEvT1_iilPiilS6_bb.num_vgpr, 96
	.set _ZN9rocsolver6v33100L18getri_kernel_smallILi13E19rocblas_complex_numIdEPS3_EEvT1_iilPiilS6_bb.num_agpr, 0
	.set _ZN9rocsolver6v33100L18getri_kernel_smallILi13E19rocblas_complex_numIdEPS3_EEvT1_iilPiilS6_bb.numbered_sgpr, 28
	.set _ZN9rocsolver6v33100L18getri_kernel_smallILi13E19rocblas_complex_numIdEPS3_EEvT1_iilPiilS6_bb.num_named_barrier, 0
	.set _ZN9rocsolver6v33100L18getri_kernel_smallILi13E19rocblas_complex_numIdEPS3_EEvT1_iilPiilS6_bb.private_seg_size, 224
	.set _ZN9rocsolver6v33100L18getri_kernel_smallILi13E19rocblas_complex_numIdEPS3_EEvT1_iilPiilS6_bb.uses_vcc, 1
	.set _ZN9rocsolver6v33100L18getri_kernel_smallILi13E19rocblas_complex_numIdEPS3_EEvT1_iilPiilS6_bb.uses_flat_scratch, 1
	.set _ZN9rocsolver6v33100L18getri_kernel_smallILi13E19rocblas_complex_numIdEPS3_EEvT1_iilPiilS6_bb.has_dyn_sized_stack, 0
	.set _ZN9rocsolver6v33100L18getri_kernel_smallILi13E19rocblas_complex_numIdEPS3_EEvT1_iilPiilS6_bb.has_recursion, 0
	.set _ZN9rocsolver6v33100L18getri_kernel_smallILi13E19rocblas_complex_numIdEPS3_EEvT1_iilPiilS6_bb.has_indirect_call, 0
	.section	.AMDGPU.csdata,"",@progbits
; Kernel info:
; codeLenInByte = 12564
; TotalNumSgprs: 30
; NumVgprs: 96
; ScratchSize: 224
; MemoryBound: 0
; FloatMode: 240
; IeeeMode: 1
; LDSByteSize: 1448 bytes/workgroup (compile time only)
; SGPRBlocks: 0
; VGPRBlocks: 5
; NumSGPRsForWavesPerEU: 30
; NumVGPRsForWavesPerEU: 96
; NamedBarCnt: 0
; Occupancy: 10
; WaveLimiterHint : 1
; COMPUTE_PGM_RSRC2:SCRATCH_EN: 1
; COMPUTE_PGM_RSRC2:USER_SGPR: 4
; COMPUTE_PGM_RSRC2:TRAP_HANDLER: 0
; COMPUTE_PGM_RSRC2:TGID_X_EN: 1
; COMPUTE_PGM_RSRC2:TGID_Y_EN: 0
; COMPUTE_PGM_RSRC2:TGID_Z_EN: 0
; COMPUTE_PGM_RSRC2:TIDIG_COMP_CNT: 2
	.section	.text._ZN9rocsolver6v33100L18getri_kernel_smallILi14E19rocblas_complex_numIdEPS3_EEvT1_iilPiilS6_bb,"axG",@progbits,_ZN9rocsolver6v33100L18getri_kernel_smallILi14E19rocblas_complex_numIdEPS3_EEvT1_iilPiilS6_bb,comdat
	.globl	_ZN9rocsolver6v33100L18getri_kernel_smallILi14E19rocblas_complex_numIdEPS3_EEvT1_iilPiilS6_bb ; -- Begin function _ZN9rocsolver6v33100L18getri_kernel_smallILi14E19rocblas_complex_numIdEPS3_EEvT1_iilPiilS6_bb
	.p2align	8
	.type	_ZN9rocsolver6v33100L18getri_kernel_smallILi14E19rocblas_complex_numIdEPS3_EEvT1_iilPiilS6_bb,@function
_ZN9rocsolver6v33100L18getri_kernel_smallILi14E19rocblas_complex_numIdEPS3_EEvT1_iilPiilS6_bb: ; @_ZN9rocsolver6v33100L18getri_kernel_smallILi14E19rocblas_complex_numIdEPS3_EEvT1_iilPiilS6_bb
; %bb.0:
	v_and_b32_e32 v1, 0x3ff, v0
	s_mov_b32 s4, exec_lo
	s_delay_alu instid0(VALU_DEP_1)
	v_cmpx_gt_u32_e32 14, v1
	s_cbranch_execz .LBB13_70
; %bb.1:
	s_clause 0x2
	s_load_b32 s8, s[2:3], 0x38
	s_load_b128 s[12:15], s[2:3], 0x10
	s_load_b128 s[4:7], s[2:3], 0x28
	s_getreg_b32 s11, hwreg(HW_REG_IB_STS2, 6, 4)
                                        ; implicit-def: $sgpr16_sgpr17
	s_wait_kmcnt 0x0
	s_bitcmp1_b32 s8, 8
	s_cselect_b32 s25, -1, 0
	s_bfe_u32 s9, ttmp6, 0x4000c
	s_and_b32 s10, ttmp6, 15
	s_add_co_i32 s9, s9, 1
	s_delay_alu instid0(SALU_CYCLE_1) | instskip(NEXT) | instid1(SALU_CYCLE_1)
	s_mul_i32 s9, ttmp9, s9
	s_add_co_i32 s10, s10, s9
	s_cmp_eq_u32 s11, 0
	s_cselect_b32 s18, ttmp9, s10
	s_bfe_u32 s8, s8, 0x10008
	s_ashr_i32 s19, s18, 31
	s_cmp_eq_u32 s8, 0
	s_cbranch_scc1 .LBB13_3
; %bb.2:
	s_load_b32 s8, s[2:3], 0x20
	s_mul_u64 s[4:5], s[4:5], s[18:19]
	s_delay_alu instid0(SALU_CYCLE_1) | instskip(NEXT) | instid1(SALU_CYCLE_1)
	s_lshl_b64 s[4:5], s[4:5], 2
	s_add_nc_u64 s[4:5], s[14:15], s[4:5]
	s_wait_kmcnt 0x0
	s_ashr_i32 s9, s8, 31
	s_delay_alu instid0(SALU_CYCLE_1) | instskip(NEXT) | instid1(SALU_CYCLE_1)
	s_lshl_b64 s[8:9], s[8:9], 2
	s_add_nc_u64 s[16:17], s[4:5], s[8:9]
.LBB13_3:
	s_clause 0x1
	s_load_b128 s[8:11], s[2:3], 0x0
	s_load_b32 s26, s[2:3], 0x38
	s_wait_xcnt 0x0
	s_mul_u64 s[2:3], s[12:13], s[18:19]
	s_movk_i32 s12, 0x50
	s_lshl_b64 s[2:3], s[2:3], 4
	s_movk_i32 s14, 0x60
	s_movk_i32 s20, 0x70
	;; [unrolled: 1-line block ×8, first 2 shown]
	s_wait_kmcnt 0x0
	v_add3_u32 v18, s11, s11, v1
	v_lshlrev_b32_e32 v42, 4, v1
	s_ashr_i32 s5, s10, 31
	s_mov_b32 s4, s10
	s_add_nc_u64 s[2:3], s[8:9], s[2:3]
	v_dual_mov_b32 v43, 0 :: v_dual_add_nc_u32 v20, s11, v18
	s_lshl_b64 s[4:5], s[4:5], 4
	s_mov_b32 s8, 32
	s_add_nc_u64 s[4:5], s[2:3], s[4:5]
	s_delay_alu instid0(VALU_DEP_1)
	v_add_nc_u32_e32 v22, s11, v20
	v_add_nc_u64_e32 v[14:15], s[4:5], v[42:43]
	s_ashr_i32 s3, s11, 31
	s_mov_b32 s2, s11
	s_mov_b32 s9, 48
	v_add_nc_u32_e32 v24, s11, v22
	s_mov_b32 s10, 64
	s_bitcmp0_b32 s26, 0
	v_lshl_add_u64 v[16:17], s[2:3], 4, v[14:15]
	s_clause 0x3
	global_load_b128 v[2:5], v18, s[4:5] scale_offset
	global_load_b128 v[6:9], v20, s[4:5] scale_offset
	;; [unrolled: 1-line block ×3, first 2 shown]
	global_load_b128 v[44:47], v[16:17], off
	v_add_nc_u32_e32 v26, s11, v24
	s_mov_b32 s3, -1
	s_delay_alu instid0(VALU_DEP_1) | instskip(NEXT) | instid1(VALU_DEP_1)
	v_add_nc_u32_e32 v28, s11, v26
	v_add_nc_u32_e32 v30, s11, v28
	s_clause 0x1
	global_load_b128 v[48:51], v22, s[4:5] scale_offset
	global_load_b128 v[52:55], v24, s[4:5] scale_offset
	v_add_nc_u32_e32 v32, s11, v30
	s_delay_alu instid0(VALU_DEP_1)
	v_add_nc_u32_e32 v34, s11, v32
	s_clause 0x3
	global_load_b128 v[56:59], v26, s[4:5] scale_offset
	global_load_b128 v[60:63], v28, s[4:5] scale_offset
	;; [unrolled: 1-line block ×4, first 2 shown]
	v_add_nc_u32_e32 v36, s11, v34
	s_clause 0x1
	global_load_b128 v[72:75], v34, s[4:5] scale_offset
	global_load_b128 v[76:79], v36, s[4:5] scale_offset
	v_add_nc_u32_e32 v38, s11, v36
	s_delay_alu instid0(VALU_DEP_1)
	v_add_nc_u32_e32 v40, s11, v38
	s_mov_b32 s11, 16
	s_clause 0x1
	global_load_b128 v[80:83], v38, s[4:5] scale_offset
	global_load_b128 v[84:87], v40, s[4:5] scale_offset
	s_wait_loadcnt 0xd
	scratch_store_b128 off, v[2:5], off offset:32
	s_wait_loadcnt 0xc
	scratch_store_b128 off, v[6:9], off offset:48
	s_wait_loadcnt 0xb
	scratch_store_b128 off, v[10:13], off
	s_wait_loadcnt 0xa
	scratch_store_b128 off, v[44:47], off offset:16
	s_wait_loadcnt 0x9
	scratch_store_b128 off, v[48:51], off offset:64
	;; [unrolled: 2-line block ×11, first 2 shown]
	s_cbranch_scc1 .LBB13_68
; %bb.4:
	v_cmp_eq_u32_e64 s2, 0, v1
	s_wait_xcnt 0x0
	s_and_saveexec_b32 s3, s2
; %bb.5:
	v_mov_b32_e32 v2, 0
	ds_store_b32 v2, v2 offset:448
; %bb.6:
	s_or_b32 exec_lo, exec_lo, s3
	s_wait_storecnt_dscnt 0x0
	s_barrier_signal -1
	s_barrier_wait -1
	scratch_load_b128 v[2:5], v1, off scale_offset
	s_wait_loadcnt 0x0
	v_cmp_eq_f64_e32 vcc_lo, 0, v[2:3]
	v_cmp_eq_f64_e64 s3, 0, v[4:5]
	s_and_b32 s3, vcc_lo, s3
	s_delay_alu instid0(SALU_CYCLE_1)
	s_and_saveexec_b32 s26, s3
	s_cbranch_execz .LBB13_10
; %bb.7:
	v_mov_b32_e32 v2, 0
	s_mov_b32 s27, 0
	ds_load_b32 v3, v2 offset:448
	s_wait_dscnt 0x0
	v_readfirstlane_b32 s3, v3
	v_add_nc_u32_e32 v3, 1, v1
	s_cmp_eq_u32 s3, 0
	s_delay_alu instid0(VALU_DEP_1) | instskip(SKIP_1) | instid1(SALU_CYCLE_1)
	v_cmp_gt_i32_e32 vcc_lo, s3, v3
	s_cselect_b32 s28, -1, 0
	s_or_b32 s28, s28, vcc_lo
	s_delay_alu instid0(SALU_CYCLE_1)
	s_and_b32 exec_lo, exec_lo, s28
	s_cbranch_execz .LBB13_10
; %bb.8:
	v_mov_b32_e32 v4, s3
.LBB13_9:                               ; =>This Inner Loop Header: Depth=1
	ds_cmpstore_rtn_b32 v4, v2, v3, v4 offset:448
	s_wait_dscnt 0x0
	v_cmp_ne_u32_e32 vcc_lo, 0, v4
	v_cmp_le_i32_e64 s3, v4, v3
	s_and_b32 s3, vcc_lo, s3
	s_delay_alu instid0(SALU_CYCLE_1) | instskip(NEXT) | instid1(SALU_CYCLE_1)
	s_and_b32 s3, exec_lo, s3
	s_or_b32 s27, s3, s27
	s_delay_alu instid0(SALU_CYCLE_1)
	s_and_not1_b32 exec_lo, exec_lo, s27
	s_cbranch_execnz .LBB13_9
.LBB13_10:
	s_or_b32 exec_lo, exec_lo, s26
	v_mov_b32_e32 v2, 0
	s_barrier_signal -1
	s_barrier_wait -1
	ds_load_b32 v3, v2 offset:448
	s_and_saveexec_b32 s3, s2
	s_cbranch_execz .LBB13_12
; %bb.11:
	s_lshl_b64 s[26:27], s[18:19], 2
	s_delay_alu instid0(SALU_CYCLE_1)
	s_add_nc_u64 s[26:27], s[6:7], s[26:27]
	s_wait_dscnt 0x0
	global_store_b32 v2, v3, s[26:27]
.LBB13_12:
	s_wait_xcnt 0x0
	s_or_b32 exec_lo, exec_lo, s3
	s_wait_dscnt 0x0
	v_cmp_ne_u32_e32 vcc_lo, 0, v3
	s_mov_b32 s3, 0
	s_cbranch_vccnz .LBB13_68
; %bb.13:
	v_lshl_add_u32 v19, v1, 4, 0
                                        ; implicit-def: $vgpr6_vgpr7
                                        ; implicit-def: $vgpr10_vgpr11
	scratch_load_b128 v[2:5], v19, off
	s_wait_loadcnt 0x0
	v_cmp_ngt_f64_e64 s3, |v[2:3]|, |v[4:5]|
	s_wait_xcnt 0x0
	s_and_saveexec_b32 s26, s3
	s_delay_alu instid0(SALU_CYCLE_1)
	s_xor_b32 s3, exec_lo, s26
	s_cbranch_execz .LBB13_15
; %bb.14:
	v_div_scale_f64 v[6:7], null, v[4:5], v[4:5], v[2:3]
	v_div_scale_f64 v[12:13], vcc_lo, v[2:3], v[4:5], v[2:3]
	s_delay_alu instid0(VALU_DEP_2) | instskip(SKIP_1) | instid1(TRANS32_DEP_1)
	v_rcp_f64_e32 v[8:9], v[6:7]
	v_nop
	v_fma_f64 v[10:11], -v[6:7], v[8:9], 1.0
	s_delay_alu instid0(VALU_DEP_1) | instskip(NEXT) | instid1(VALU_DEP_1)
	v_fmac_f64_e32 v[8:9], v[8:9], v[10:11]
	v_fma_f64 v[10:11], -v[6:7], v[8:9], 1.0
	s_delay_alu instid0(VALU_DEP_1) | instskip(NEXT) | instid1(VALU_DEP_1)
	v_fmac_f64_e32 v[8:9], v[8:9], v[10:11]
	v_mul_f64_e32 v[10:11], v[12:13], v[8:9]
	s_delay_alu instid0(VALU_DEP_1) | instskip(NEXT) | instid1(VALU_DEP_1)
	v_fma_f64 v[6:7], -v[6:7], v[10:11], v[12:13]
	v_div_fmas_f64 v[6:7], v[6:7], v[8:9], v[10:11]
	s_delay_alu instid0(VALU_DEP_1) | instskip(NEXT) | instid1(VALU_DEP_1)
	v_div_fixup_f64 v[6:7], v[6:7], v[4:5], v[2:3]
	v_fmac_f64_e32 v[4:5], v[2:3], v[6:7]
	s_delay_alu instid0(VALU_DEP_1) | instskip(SKIP_1) | instid1(VALU_DEP_2)
	v_div_scale_f64 v[2:3], null, v[4:5], v[4:5], 1.0
	v_div_scale_f64 v[12:13], vcc_lo, 1.0, v[4:5], 1.0
	v_rcp_f64_e32 v[8:9], v[2:3]
	v_nop
	s_delay_alu instid0(TRANS32_DEP_1) | instskip(NEXT) | instid1(VALU_DEP_1)
	v_fma_f64 v[10:11], -v[2:3], v[8:9], 1.0
	v_fmac_f64_e32 v[8:9], v[8:9], v[10:11]
	s_delay_alu instid0(VALU_DEP_1) | instskip(NEXT) | instid1(VALU_DEP_1)
	v_fma_f64 v[10:11], -v[2:3], v[8:9], 1.0
	v_fmac_f64_e32 v[8:9], v[8:9], v[10:11]
	s_delay_alu instid0(VALU_DEP_1) | instskip(NEXT) | instid1(VALU_DEP_1)
	v_mul_f64_e32 v[10:11], v[12:13], v[8:9]
	v_fma_f64 v[2:3], -v[2:3], v[10:11], v[12:13]
	s_delay_alu instid0(VALU_DEP_1) | instskip(NEXT) | instid1(VALU_DEP_1)
	v_div_fmas_f64 v[2:3], v[2:3], v[8:9], v[10:11]
	v_div_fixup_f64 v[8:9], v[2:3], v[4:5], 1.0
                                        ; implicit-def: $vgpr2_vgpr3
	s_delay_alu instid0(VALU_DEP_1) | instskip(SKIP_1) | instid1(VALU_DEP_2)
	v_mul_f64_e32 v[6:7], v[6:7], v[8:9]
	v_xor_b32_e32 v9, 0x80000000, v9
	v_xor_b32_e32 v11, 0x80000000, v7
	s_delay_alu instid0(VALU_DEP_3)
	v_mov_b32_e32 v10, v6
.LBB13_15:
	s_and_not1_saveexec_b32 s3, s3
	s_cbranch_execz .LBB13_17
; %bb.16:
	v_div_scale_f64 v[6:7], null, v[2:3], v[2:3], v[4:5]
	v_div_scale_f64 v[12:13], vcc_lo, v[4:5], v[2:3], v[4:5]
	s_delay_alu instid0(VALU_DEP_2) | instskip(SKIP_1) | instid1(TRANS32_DEP_1)
	v_rcp_f64_e32 v[8:9], v[6:7]
	v_nop
	v_fma_f64 v[10:11], -v[6:7], v[8:9], 1.0
	s_delay_alu instid0(VALU_DEP_1) | instskip(NEXT) | instid1(VALU_DEP_1)
	v_fmac_f64_e32 v[8:9], v[8:9], v[10:11]
	v_fma_f64 v[10:11], -v[6:7], v[8:9], 1.0
	s_delay_alu instid0(VALU_DEP_1) | instskip(NEXT) | instid1(VALU_DEP_1)
	v_fmac_f64_e32 v[8:9], v[8:9], v[10:11]
	v_mul_f64_e32 v[10:11], v[12:13], v[8:9]
	s_delay_alu instid0(VALU_DEP_1) | instskip(NEXT) | instid1(VALU_DEP_1)
	v_fma_f64 v[6:7], -v[6:7], v[10:11], v[12:13]
	v_div_fmas_f64 v[6:7], v[6:7], v[8:9], v[10:11]
	s_delay_alu instid0(VALU_DEP_1) | instskip(NEXT) | instid1(VALU_DEP_1)
	v_div_fixup_f64 v[8:9], v[6:7], v[2:3], v[4:5]
	v_fmac_f64_e32 v[2:3], v[4:5], v[8:9]
	s_delay_alu instid0(VALU_DEP_1) | instskip(NEXT) | instid1(VALU_DEP_1)
	v_div_scale_f64 v[4:5], null, v[2:3], v[2:3], 1.0
	v_rcp_f64_e32 v[6:7], v[4:5]
	v_nop
	s_delay_alu instid0(TRANS32_DEP_1) | instskip(NEXT) | instid1(VALU_DEP_1)
	v_fma_f64 v[10:11], -v[4:5], v[6:7], 1.0
	v_fmac_f64_e32 v[6:7], v[6:7], v[10:11]
	s_delay_alu instid0(VALU_DEP_1) | instskip(NEXT) | instid1(VALU_DEP_1)
	v_fma_f64 v[10:11], -v[4:5], v[6:7], 1.0
	v_fmac_f64_e32 v[6:7], v[6:7], v[10:11]
	v_div_scale_f64 v[10:11], vcc_lo, 1.0, v[2:3], 1.0
	s_delay_alu instid0(VALU_DEP_1) | instskip(NEXT) | instid1(VALU_DEP_1)
	v_mul_f64_e32 v[12:13], v[10:11], v[6:7]
	v_fma_f64 v[4:5], -v[4:5], v[12:13], v[10:11]
	s_delay_alu instid0(VALU_DEP_1) | instskip(NEXT) | instid1(VALU_DEP_1)
	v_div_fmas_f64 v[4:5], v[4:5], v[6:7], v[12:13]
	v_div_fixup_f64 v[6:7], v[4:5], v[2:3], 1.0
	s_delay_alu instid0(VALU_DEP_1)
	v_mul_f64_e64 v[8:9], v[8:9], -v[6:7]
	v_xor_b32_e32 v11, 0x80000000, v7
	v_mov_b32_e32 v10, v6
.LBB13_17:
	s_or_b32 exec_lo, exec_lo, s3
	s_clause 0x1
	scratch_store_b128 v19, v[6:9], off
	scratch_load_b128 v[2:5], off, s11
	v_xor_b32_e32 v13, 0x80000000, v9
	v_mov_b32_e32 v12, v8
	s_wait_xcnt 0x1
	v_add_nc_u32_e32 v6, 0xe0, v42
	ds_store_b128 v42, v[10:13]
	s_wait_loadcnt 0x0
	ds_store_b128 v42, v[2:5] offset:224
	s_wait_storecnt_dscnt 0x0
	s_barrier_signal -1
	s_barrier_wait -1
	s_wait_xcnt 0x0
	s_and_saveexec_b32 s3, s2
	s_cbranch_execz .LBB13_19
; %bb.18:
	scratch_load_b128 v[2:5], v19, off
	ds_load_b128 v[8:11], v6
	v_mov_b32_e32 v7, 0
	ds_load_b128 v[44:47], v7 offset:16
	s_wait_loadcnt_dscnt 0x1
	v_mul_f64_e32 v[12:13], v[8:9], v[4:5]
	v_mul_f64_e32 v[4:5], v[10:11], v[4:5]
	s_delay_alu instid0(VALU_DEP_2) | instskip(NEXT) | instid1(VALU_DEP_2)
	v_fmac_f64_e32 v[12:13], v[10:11], v[2:3]
	v_fma_f64 v[2:3], v[8:9], v[2:3], -v[4:5]
	s_delay_alu instid0(VALU_DEP_2) | instskip(NEXT) | instid1(VALU_DEP_2)
	v_add_f64_e32 v[8:9], 0, v[12:13]
	v_add_f64_e32 v[2:3], 0, v[2:3]
	s_wait_dscnt 0x0
	s_delay_alu instid0(VALU_DEP_2) | instskip(NEXT) | instid1(VALU_DEP_2)
	v_mul_f64_e32 v[10:11], v[8:9], v[46:47]
	v_mul_f64_e32 v[4:5], v[2:3], v[46:47]
	s_delay_alu instid0(VALU_DEP_2) | instskip(NEXT) | instid1(VALU_DEP_2)
	v_fma_f64 v[2:3], v[2:3], v[44:45], -v[10:11]
	v_fmac_f64_e32 v[4:5], v[8:9], v[44:45]
	scratch_store_b128 off, v[2:5], off offset:16
.LBB13_19:
	s_wait_xcnt 0x0
	s_or_b32 exec_lo, exec_lo, s3
	s_wait_storecnt 0x0
	s_barrier_signal -1
	s_barrier_wait -1
	scratch_load_b128 v[2:5], off, s8
	s_mov_b32 s3, exec_lo
	s_wait_loadcnt 0x0
	ds_store_b128 v6, v[2:5]
	s_wait_dscnt 0x0
	s_barrier_signal -1
	s_barrier_wait -1
	v_cmpx_gt_u32_e32 2, v1
	s_cbranch_execz .LBB13_23
; %bb.20:
	scratch_load_b128 v[2:5], v19, off
	ds_load_b128 v[8:11], v6
	s_wait_loadcnt_dscnt 0x0
	v_mul_f64_e32 v[12:13], v[10:11], v[4:5]
	v_mul_f64_e32 v[44:45], v[8:9], v[4:5]
	s_delay_alu instid0(VALU_DEP_2) | instskip(NEXT) | instid1(VALU_DEP_2)
	v_fma_f64 v[4:5], v[8:9], v[2:3], -v[12:13]
	v_fmac_f64_e32 v[44:45], v[10:11], v[2:3]
	s_delay_alu instid0(VALU_DEP_2) | instskip(NEXT) | instid1(VALU_DEP_2)
	v_add_f64_e32 v[4:5], 0, v[4:5]
	v_add_f64_e32 v[2:3], 0, v[44:45]
	s_and_saveexec_b32 s26, s2
	s_cbranch_execz .LBB13_22
; %bb.21:
	scratch_load_b128 v[8:11], off, off offset:16
	v_mov_b32_e32 v7, 0
	ds_load_b128 v[44:47], v7 offset:240
	s_wait_loadcnt_dscnt 0x0
	v_mul_f64_e32 v[12:13], v[44:45], v[10:11]
	v_mul_f64_e32 v[10:11], v[46:47], v[10:11]
	s_delay_alu instid0(VALU_DEP_2) | instskip(NEXT) | instid1(VALU_DEP_2)
	v_fmac_f64_e32 v[12:13], v[46:47], v[8:9]
	v_fma_f64 v[8:9], v[44:45], v[8:9], -v[10:11]
	s_delay_alu instid0(VALU_DEP_2) | instskip(NEXT) | instid1(VALU_DEP_2)
	v_add_f64_e32 v[2:3], v[2:3], v[12:13]
	v_add_f64_e32 v[4:5], v[4:5], v[8:9]
.LBB13_22:
	s_or_b32 exec_lo, exec_lo, s26
	v_mov_b32_e32 v7, 0
	ds_load_b128 v[8:11], v7 offset:32
	s_wait_dscnt 0x0
	v_mul_f64_e32 v[44:45], v[2:3], v[10:11]
	v_mul_f64_e32 v[12:13], v[4:5], v[10:11]
	s_delay_alu instid0(VALU_DEP_2) | instskip(NEXT) | instid1(VALU_DEP_2)
	v_fma_f64 v[10:11], v[4:5], v[8:9], -v[44:45]
	v_fmac_f64_e32 v[12:13], v[2:3], v[8:9]
	scratch_store_b128 off, v[10:13], off offset:32
.LBB13_23:
	s_wait_xcnt 0x0
	s_or_b32 exec_lo, exec_lo, s3
	s_wait_storecnt 0x0
	s_barrier_signal -1
	s_barrier_wait -1
	scratch_load_b128 v[2:5], off, s9
	v_add_nc_u32_e32 v7, -1, v1
	s_mov_b32 s2, exec_lo
	s_wait_loadcnt 0x0
	ds_store_b128 v6, v[2:5]
	s_wait_dscnt 0x0
	s_barrier_signal -1
	s_barrier_wait -1
	v_cmpx_gt_u32_e32 3, v1
	s_cbranch_execz .LBB13_27
; %bb.24:
	v_dual_mov_b32 v10, v42 :: v_dual_add_nc_u32 v8, -1, v1
	v_mov_b64_e32 v[2:3], 0
	v_mov_b64_e32 v[4:5], 0
	v_add_nc_u32_e32 v9, 0xe0, v42
	s_delay_alu instid0(VALU_DEP_4)
	v_or_b32_e32 v10, 8, v10
	s_mov_b32 s3, 0
.LBB13_25:                              ; =>This Inner Loop Header: Depth=1
	scratch_load_b128 v[44:47], v10, off offset:-8
	ds_load_b128 v[48:51], v9
	v_dual_add_nc_u32 v8, 1, v8 :: v_dual_add_nc_u32 v9, 16, v9
	s_wait_xcnt 0x0
	v_add_nc_u32_e32 v10, 16, v10
	s_delay_alu instid0(VALU_DEP_2) | instskip(SKIP_4) | instid1(VALU_DEP_2)
	v_cmp_lt_u32_e32 vcc_lo, 1, v8
	s_or_b32 s3, vcc_lo, s3
	s_wait_loadcnt_dscnt 0x0
	v_mul_f64_e32 v[12:13], v[50:51], v[46:47]
	v_mul_f64_e32 v[46:47], v[48:49], v[46:47]
	v_fma_f64 v[12:13], v[48:49], v[44:45], -v[12:13]
	s_delay_alu instid0(VALU_DEP_2) | instskip(NEXT) | instid1(VALU_DEP_2)
	v_fmac_f64_e32 v[46:47], v[50:51], v[44:45]
	v_add_f64_e32 v[4:5], v[4:5], v[12:13]
	s_delay_alu instid0(VALU_DEP_2)
	v_add_f64_e32 v[2:3], v[2:3], v[46:47]
	s_and_not1_b32 exec_lo, exec_lo, s3
	s_cbranch_execnz .LBB13_25
; %bb.26:
	s_or_b32 exec_lo, exec_lo, s3
	v_mov_b32_e32 v8, 0
	ds_load_b128 v[8:11], v8 offset:48
	s_wait_dscnt 0x0
	v_mul_f64_e32 v[44:45], v[2:3], v[10:11]
	v_mul_f64_e32 v[12:13], v[4:5], v[10:11]
	s_delay_alu instid0(VALU_DEP_2) | instskip(NEXT) | instid1(VALU_DEP_2)
	v_fma_f64 v[10:11], v[4:5], v[8:9], -v[44:45]
	v_fmac_f64_e32 v[12:13], v[2:3], v[8:9]
	scratch_store_b128 off, v[10:13], off offset:48
.LBB13_27:
	s_wait_xcnt 0x0
	s_or_b32 exec_lo, exec_lo, s2
	s_wait_storecnt 0x0
	s_barrier_signal -1
	s_barrier_wait -1
	scratch_load_b128 v[2:5], off, s10
	s_mov_b32 s2, exec_lo
	s_wait_loadcnt 0x0
	ds_store_b128 v6, v[2:5]
	s_wait_dscnt 0x0
	s_barrier_signal -1
	s_barrier_wait -1
	v_cmpx_gt_u32_e32 4, v1
	s_cbranch_execz .LBB13_31
; %bb.28:
	v_dual_mov_b32 v10, v42 :: v_dual_add_nc_u32 v8, -1, v1
	v_mov_b64_e32 v[2:3], 0
	v_mov_b64_e32 v[4:5], 0
	v_add_nc_u32_e32 v9, 0xe0, v42
	s_delay_alu instid0(VALU_DEP_4)
	v_or_b32_e32 v10, 8, v10
	s_mov_b32 s3, 0
.LBB13_29:                              ; =>This Inner Loop Header: Depth=1
	scratch_load_b128 v[44:47], v10, off offset:-8
	ds_load_b128 v[48:51], v9
	v_dual_add_nc_u32 v8, 1, v8 :: v_dual_add_nc_u32 v9, 16, v9
	s_wait_xcnt 0x0
	v_add_nc_u32_e32 v10, 16, v10
	s_delay_alu instid0(VALU_DEP_2) | instskip(SKIP_4) | instid1(VALU_DEP_2)
	v_cmp_lt_u32_e32 vcc_lo, 2, v8
	s_or_b32 s3, vcc_lo, s3
	s_wait_loadcnt_dscnt 0x0
	v_mul_f64_e32 v[12:13], v[50:51], v[46:47]
	v_mul_f64_e32 v[46:47], v[48:49], v[46:47]
	v_fma_f64 v[12:13], v[48:49], v[44:45], -v[12:13]
	s_delay_alu instid0(VALU_DEP_2) | instskip(NEXT) | instid1(VALU_DEP_2)
	v_fmac_f64_e32 v[46:47], v[50:51], v[44:45]
	v_add_f64_e32 v[4:5], v[4:5], v[12:13]
	s_delay_alu instid0(VALU_DEP_2)
	v_add_f64_e32 v[2:3], v[2:3], v[46:47]
	s_and_not1_b32 exec_lo, exec_lo, s3
	s_cbranch_execnz .LBB13_29
; %bb.30:
	s_or_b32 exec_lo, exec_lo, s3
	v_mov_b32_e32 v8, 0
	ds_load_b128 v[8:11], v8 offset:64
	s_wait_dscnt 0x0
	v_mul_f64_e32 v[44:45], v[2:3], v[10:11]
	v_mul_f64_e32 v[12:13], v[4:5], v[10:11]
	s_delay_alu instid0(VALU_DEP_2) | instskip(NEXT) | instid1(VALU_DEP_2)
	v_fma_f64 v[10:11], v[4:5], v[8:9], -v[44:45]
	v_fmac_f64_e32 v[12:13], v[2:3], v[8:9]
	scratch_store_b128 off, v[10:13], off offset:64
.LBB13_31:
	s_wait_xcnt 0x0
	s_or_b32 exec_lo, exec_lo, s2
	s_wait_storecnt 0x0
	s_barrier_signal -1
	s_barrier_wait -1
	scratch_load_b128 v[2:5], off, s12
	;; [unrolled: 54-line block ×10, first 2 shown]
	s_mov_b32 s2, exec_lo
	s_wait_loadcnt 0x0
	ds_store_b128 v6, v[2:5]
	s_wait_dscnt 0x0
	s_barrier_signal -1
	s_barrier_wait -1
	v_cmpx_ne_u32_e32 13, v1
	s_cbranch_execz .LBB13_67
; %bb.64:
	v_mov_b32_e32 v8, v42
	v_mov_b64_e32 v[2:3], 0
	v_mov_b64_e32 v[4:5], 0
	s_mov_b32 s3, 0
	s_delay_alu instid0(VALU_DEP_3)
	v_or_b32_e32 v8, 8, v8
.LBB13_65:                              ; =>This Inner Loop Header: Depth=1
	scratch_load_b128 v[10:13], v8, off offset:-8
	ds_load_b128 v[42:45], v6
	v_dual_add_nc_u32 v7, 1, v7 :: v_dual_add_nc_u32 v6, 16, v6
	s_wait_xcnt 0x0
	v_add_nc_u32_e32 v8, 16, v8
	s_delay_alu instid0(VALU_DEP_2) | instskip(SKIP_4) | instid1(VALU_DEP_2)
	v_cmp_lt_u32_e32 vcc_lo, 11, v7
	s_or_b32 s3, vcc_lo, s3
	s_wait_loadcnt_dscnt 0x0
	v_mul_f64_e32 v[46:47], v[44:45], v[12:13]
	v_mul_f64_e32 v[12:13], v[42:43], v[12:13]
	v_fma_f64 v[42:43], v[42:43], v[10:11], -v[46:47]
	s_delay_alu instid0(VALU_DEP_2) | instskip(NEXT) | instid1(VALU_DEP_2)
	v_fmac_f64_e32 v[12:13], v[44:45], v[10:11]
	v_add_f64_e32 v[4:5], v[4:5], v[42:43]
	s_delay_alu instid0(VALU_DEP_2)
	v_add_f64_e32 v[2:3], v[2:3], v[12:13]
	s_and_not1_b32 exec_lo, exec_lo, s3
	s_cbranch_execnz .LBB13_65
; %bb.66:
	s_or_b32 exec_lo, exec_lo, s3
	v_mov_b32_e32 v6, 0
	ds_load_b128 v[6:9], v6 offset:208
	s_wait_dscnt 0x0
	v_mul_f64_e32 v[12:13], v[2:3], v[8:9]
	v_mul_f64_e32 v[10:11], v[4:5], v[8:9]
	s_delay_alu instid0(VALU_DEP_2) | instskip(NEXT) | instid1(VALU_DEP_2)
	v_fma_f64 v[8:9], v[4:5], v[6:7], -v[12:13]
	v_fmac_f64_e32 v[10:11], v[2:3], v[6:7]
	scratch_store_b128 off, v[8:11], off offset:208
.LBB13_67:
	s_wait_xcnt 0x0
	s_or_b32 exec_lo, exec_lo, s2
	s_mov_b32 s3, -1
	s_wait_storecnt 0x0
	s_barrier_signal -1
	s_barrier_wait -1
.LBB13_68:
	s_and_b32 vcc_lo, exec_lo, s3
	s_cbranch_vccz .LBB13_70
; %bb.69:
	s_wait_xcnt 0xd
	v_mov_b32_e32 v2, 0
	s_lshl_b64 s[2:3], s[18:19], 2
	s_delay_alu instid0(SALU_CYCLE_1)
	s_add_nc_u64 s[2:3], s[6:7], s[2:3]
	global_load_b32 v2, v2, s[2:3]
	s_wait_loadcnt 0x0
	v_cmp_ne_u32_e32 vcc_lo, 0, v2
	s_cbranch_vccz .LBB13_71
.LBB13_70:
	s_sendmsg sendmsg(MSG_DEALLOC_VGPRS)
	s_endpgm
.LBB13_71:
	s_wait_xcnt 0xd
	v_lshl_add_u32 v6, v1, 4, 0xe0
	s_wait_xcnt 0x0
	s_mov_b32 s2, exec_lo
	v_cmpx_eq_u32_e32 13, v1
	s_cbranch_execz .LBB13_73
; %bb.72:
	scratch_load_b128 v[2:5], off, s23
	v_mov_b32_e32 v8, 0
	s_delay_alu instid0(VALU_DEP_1)
	v_dual_mov_b32 v9, v8 :: v_dual_mov_b32 v10, v8
	v_mov_b32_e32 v11, v8
	scratch_store_b128 off, v[8:11], off offset:192
	s_wait_loadcnt 0x0
	ds_store_b128 v6, v[2:5]
.LBB13_73:
	s_wait_xcnt 0x0
	s_or_b32 exec_lo, exec_lo, s2
	s_wait_storecnt_dscnt 0x0
	s_barrier_signal -1
	s_barrier_wait -1
	s_clause 0x1
	scratch_load_b128 v[8:11], off, off offset:208
	scratch_load_b128 v[42:45], off, off offset:192
	v_mov_b32_e32 v2, 0
	s_mov_b32 s2, exec_lo
	ds_load_b128 v[46:49], v2 offset:432
	s_wait_loadcnt_dscnt 0x100
	v_mul_f64_e32 v[4:5], v[48:49], v[10:11]
	v_mul_f64_e32 v[10:11], v[46:47], v[10:11]
	s_delay_alu instid0(VALU_DEP_2) | instskip(NEXT) | instid1(VALU_DEP_2)
	v_fma_f64 v[4:5], v[46:47], v[8:9], -v[4:5]
	v_fmac_f64_e32 v[10:11], v[48:49], v[8:9]
	s_delay_alu instid0(VALU_DEP_2) | instskip(NEXT) | instid1(VALU_DEP_2)
	v_add_f64_e32 v[4:5], 0, v[4:5]
	v_add_f64_e32 v[10:11], 0, v[10:11]
	s_wait_loadcnt 0x0
	s_delay_alu instid0(VALU_DEP_2) | instskip(NEXT) | instid1(VALU_DEP_2)
	v_add_f64_e64 v[8:9], v[42:43], -v[4:5]
	v_add_f64_e64 v[10:11], v[44:45], -v[10:11]
	scratch_store_b128 off, v[8:11], off offset:192
	s_wait_xcnt 0x0
	v_cmpx_lt_u32_e32 11, v1
	s_cbranch_execz .LBB13_75
; %bb.74:
	scratch_load_b128 v[8:11], off, s22
	v_dual_mov_b32 v3, v2 :: v_dual_mov_b32 v4, v2
	v_mov_b32_e32 v5, v2
	scratch_store_b128 off, v[2:5], off offset:176
	s_wait_loadcnt 0x0
	ds_store_b128 v6, v[8:11]
.LBB13_75:
	s_wait_xcnt 0x0
	s_or_b32 exec_lo, exec_lo, s2
	s_wait_storecnt_dscnt 0x0
	s_barrier_signal -1
	s_barrier_wait -1
	s_clause 0x2
	scratch_load_b128 v[8:11], off, off offset:192
	scratch_load_b128 v[42:45], off, off offset:208
	;; [unrolled: 1-line block ×3, first 2 shown]
	ds_load_b128 v[50:53], v2 offset:416
	ds_load_b128 v[2:5], v2 offset:432
	s_mov_b32 s2, exec_lo
	s_wait_loadcnt_dscnt 0x201
	v_mul_f64_e32 v[12:13], v[52:53], v[10:11]
	v_mul_f64_e32 v[10:11], v[50:51], v[10:11]
	s_wait_loadcnt_dscnt 0x100
	v_mul_f64_e32 v[54:55], v[2:3], v[44:45]
	v_mul_f64_e32 v[44:45], v[4:5], v[44:45]
	s_delay_alu instid0(VALU_DEP_4) | instskip(NEXT) | instid1(VALU_DEP_4)
	v_fma_f64 v[12:13], v[50:51], v[8:9], -v[12:13]
	v_fmac_f64_e32 v[10:11], v[52:53], v[8:9]
	s_delay_alu instid0(VALU_DEP_4) | instskip(NEXT) | instid1(VALU_DEP_4)
	v_fmac_f64_e32 v[54:55], v[4:5], v[42:43]
	v_fma_f64 v[2:3], v[2:3], v[42:43], -v[44:45]
	s_delay_alu instid0(VALU_DEP_4) | instskip(NEXT) | instid1(VALU_DEP_4)
	v_add_f64_e32 v[4:5], 0, v[12:13]
	v_add_f64_e32 v[8:9], 0, v[10:11]
	s_delay_alu instid0(VALU_DEP_2) | instskip(NEXT) | instid1(VALU_DEP_2)
	v_add_f64_e32 v[2:3], v[4:5], v[2:3]
	v_add_f64_e32 v[4:5], v[8:9], v[54:55]
	s_wait_loadcnt 0x0
	s_delay_alu instid0(VALU_DEP_2) | instskip(NEXT) | instid1(VALU_DEP_2)
	v_add_f64_e64 v[2:3], v[46:47], -v[2:3]
	v_add_f64_e64 v[4:5], v[48:49], -v[4:5]
	scratch_store_b128 off, v[2:5], off offset:176
	s_wait_xcnt 0x0
	v_cmpx_lt_u32_e32 10, v1
	s_cbranch_execz .LBB13_77
; %bb.76:
	scratch_load_b128 v[2:5], off, s21
	v_mov_b32_e32 v8, 0
	s_delay_alu instid0(VALU_DEP_1)
	v_dual_mov_b32 v9, v8 :: v_dual_mov_b32 v10, v8
	v_mov_b32_e32 v11, v8
	scratch_store_b128 off, v[8:11], off offset:160
	s_wait_loadcnt 0x0
	ds_store_b128 v6, v[2:5]
.LBB13_77:
	s_wait_xcnt 0x0
	s_or_b32 exec_lo, exec_lo, s2
	s_wait_storecnt_dscnt 0x0
	s_barrier_signal -1
	s_barrier_wait -1
	s_clause 0x3
	scratch_load_b128 v[8:11], off, off offset:176
	scratch_load_b128 v[42:45], off, off offset:192
	scratch_load_b128 v[46:49], off, off offset:208
	scratch_load_b128 v[50:53], off, off offset:160
	v_mov_b32_e32 v2, 0
	ds_load_b128 v[54:57], v2 offset:400
	ds_load_b128 v[58:61], v2 offset:416
	s_mov_b32 s2, exec_lo
	s_wait_loadcnt_dscnt 0x301
	v_mul_f64_e32 v[4:5], v[56:57], v[10:11]
	v_mul_f64_e32 v[12:13], v[54:55], v[10:11]
	s_wait_loadcnt_dscnt 0x200
	v_mul_f64_e32 v[62:63], v[58:59], v[44:45]
	v_mul_f64_e32 v[44:45], v[60:61], v[44:45]
	s_delay_alu instid0(VALU_DEP_4) | instskip(NEXT) | instid1(VALU_DEP_4)
	v_fma_f64 v[4:5], v[54:55], v[8:9], -v[4:5]
	v_fmac_f64_e32 v[12:13], v[56:57], v[8:9]
	ds_load_b128 v[8:11], v2 offset:432
	v_fmac_f64_e32 v[62:63], v[60:61], v[42:43]
	v_fma_f64 v[42:43], v[58:59], v[42:43], -v[44:45]
	s_wait_loadcnt_dscnt 0x100
	v_mul_f64_e32 v[54:55], v[8:9], v[48:49]
	v_mul_f64_e32 v[48:49], v[10:11], v[48:49]
	v_add_f64_e32 v[4:5], 0, v[4:5]
	v_add_f64_e32 v[12:13], 0, v[12:13]
	s_delay_alu instid0(VALU_DEP_4) | instskip(NEXT) | instid1(VALU_DEP_4)
	v_fmac_f64_e32 v[54:55], v[10:11], v[46:47]
	v_fma_f64 v[8:9], v[8:9], v[46:47], -v[48:49]
	s_delay_alu instid0(VALU_DEP_4) | instskip(NEXT) | instid1(VALU_DEP_4)
	v_add_f64_e32 v[4:5], v[4:5], v[42:43]
	v_add_f64_e32 v[10:11], v[12:13], v[62:63]
	s_delay_alu instid0(VALU_DEP_2) | instskip(NEXT) | instid1(VALU_DEP_2)
	v_add_f64_e32 v[4:5], v[4:5], v[8:9]
	v_add_f64_e32 v[10:11], v[10:11], v[54:55]
	s_wait_loadcnt 0x0
	s_delay_alu instid0(VALU_DEP_2) | instskip(NEXT) | instid1(VALU_DEP_2)
	v_add_f64_e64 v[8:9], v[50:51], -v[4:5]
	v_add_f64_e64 v[10:11], v[52:53], -v[10:11]
	scratch_store_b128 off, v[8:11], off offset:160
	s_wait_xcnt 0x0
	v_cmpx_lt_u32_e32 9, v1
	s_cbranch_execz .LBB13_79
; %bb.78:
	scratch_load_b128 v[8:11], off, s15
	v_dual_mov_b32 v3, v2 :: v_dual_mov_b32 v4, v2
	v_mov_b32_e32 v5, v2
	scratch_store_b128 off, v[2:5], off offset:144
	s_wait_loadcnt 0x0
	ds_store_b128 v6, v[8:11]
.LBB13_79:
	s_wait_xcnt 0x0
	s_or_b32 exec_lo, exec_lo, s2
	s_wait_storecnt_dscnt 0x0
	s_barrier_signal -1
	s_barrier_wait -1
	s_clause 0x4
	scratch_load_b128 v[8:11], off, off offset:160
	scratch_load_b128 v[42:45], off, off offset:176
	;; [unrolled: 1-line block ×5, first 2 shown]
	ds_load_b128 v[58:61], v2 offset:384
	ds_load_b128 v[62:65], v2 offset:400
	s_mov_b32 s2, exec_lo
	s_wait_loadcnt_dscnt 0x401
	v_mul_f64_e32 v[4:5], v[60:61], v[10:11]
	v_mul_f64_e32 v[12:13], v[58:59], v[10:11]
	s_wait_loadcnt_dscnt 0x300
	v_mul_f64_e32 v[66:67], v[62:63], v[44:45]
	v_mul_f64_e32 v[44:45], v[64:65], v[44:45]
	s_delay_alu instid0(VALU_DEP_4) | instskip(NEXT) | instid1(VALU_DEP_4)
	v_fma_f64 v[58:59], v[58:59], v[8:9], -v[4:5]
	v_fmac_f64_e32 v[12:13], v[60:61], v[8:9]
	ds_load_b128 v[8:11], v2 offset:416
	ds_load_b128 v[2:5], v2 offset:432
	v_fmac_f64_e32 v[66:67], v[64:65], v[42:43]
	v_fma_f64 v[42:43], v[62:63], v[42:43], -v[44:45]
	s_wait_loadcnt_dscnt 0x201
	v_mul_f64_e32 v[60:61], v[8:9], v[48:49]
	v_mul_f64_e32 v[48:49], v[10:11], v[48:49]
	v_add_f64_e32 v[44:45], 0, v[58:59]
	v_add_f64_e32 v[12:13], 0, v[12:13]
	s_wait_loadcnt_dscnt 0x100
	v_mul_f64_e32 v[58:59], v[2:3], v[52:53]
	v_mul_f64_e32 v[52:53], v[4:5], v[52:53]
	v_fmac_f64_e32 v[60:61], v[10:11], v[46:47]
	v_fma_f64 v[8:9], v[8:9], v[46:47], -v[48:49]
	v_add_f64_e32 v[10:11], v[44:45], v[42:43]
	v_add_f64_e32 v[12:13], v[12:13], v[66:67]
	v_fmac_f64_e32 v[58:59], v[4:5], v[50:51]
	v_fma_f64 v[2:3], v[2:3], v[50:51], -v[52:53]
	s_delay_alu instid0(VALU_DEP_4) | instskip(NEXT) | instid1(VALU_DEP_4)
	v_add_f64_e32 v[4:5], v[10:11], v[8:9]
	v_add_f64_e32 v[8:9], v[12:13], v[60:61]
	s_delay_alu instid0(VALU_DEP_2) | instskip(NEXT) | instid1(VALU_DEP_2)
	v_add_f64_e32 v[2:3], v[4:5], v[2:3]
	v_add_f64_e32 v[4:5], v[8:9], v[58:59]
	s_wait_loadcnt 0x0
	s_delay_alu instid0(VALU_DEP_2) | instskip(NEXT) | instid1(VALU_DEP_2)
	v_add_f64_e64 v[2:3], v[54:55], -v[2:3]
	v_add_f64_e64 v[4:5], v[56:57], -v[4:5]
	scratch_store_b128 off, v[2:5], off offset:144
	s_wait_xcnt 0x0
	v_cmpx_lt_u32_e32 8, v1
	s_cbranch_execz .LBB13_81
; %bb.80:
	scratch_load_b128 v[2:5], off, s13
	v_mov_b32_e32 v8, 0
	s_delay_alu instid0(VALU_DEP_1)
	v_dual_mov_b32 v9, v8 :: v_dual_mov_b32 v10, v8
	v_mov_b32_e32 v11, v8
	scratch_store_b128 off, v[8:11], off offset:128
	s_wait_loadcnt 0x0
	ds_store_b128 v6, v[2:5]
.LBB13_81:
	s_wait_xcnt 0x0
	s_or_b32 exec_lo, exec_lo, s2
	s_wait_storecnt_dscnt 0x0
	s_barrier_signal -1
	s_barrier_wait -1
	s_clause 0x5
	scratch_load_b128 v[8:11], off, off offset:144
	scratch_load_b128 v[42:45], off, off offset:160
	;; [unrolled: 1-line block ×6, first 2 shown]
	v_mov_b32_e32 v2, 0
	ds_load_b128 v[62:65], v2 offset:368
	ds_load_b128 v[66:69], v2 offset:384
	s_mov_b32 s2, exec_lo
	s_wait_loadcnt_dscnt 0x501
	v_mul_f64_e32 v[4:5], v[64:65], v[10:11]
	v_mul_f64_e32 v[12:13], v[62:63], v[10:11]
	s_wait_loadcnt_dscnt 0x400
	v_mul_f64_e32 v[70:71], v[66:67], v[44:45]
	v_mul_f64_e32 v[44:45], v[68:69], v[44:45]
	s_delay_alu instid0(VALU_DEP_4) | instskip(NEXT) | instid1(VALU_DEP_4)
	v_fma_f64 v[4:5], v[62:63], v[8:9], -v[4:5]
	v_fmac_f64_e32 v[12:13], v[64:65], v[8:9]
	ds_load_b128 v[8:11], v2 offset:400
	ds_load_b128 v[62:65], v2 offset:416
	v_fmac_f64_e32 v[70:71], v[68:69], v[42:43]
	v_fma_f64 v[42:43], v[66:67], v[42:43], -v[44:45]
	s_wait_loadcnt_dscnt 0x301
	v_mul_f64_e32 v[72:73], v[8:9], v[48:49]
	v_mul_f64_e32 v[48:49], v[10:11], v[48:49]
	s_wait_loadcnt_dscnt 0x200
	v_mul_f64_e32 v[44:45], v[62:63], v[52:53]
	v_mul_f64_e32 v[52:53], v[64:65], v[52:53]
	v_add_f64_e32 v[4:5], 0, v[4:5]
	v_add_f64_e32 v[12:13], 0, v[12:13]
	v_fmac_f64_e32 v[72:73], v[10:11], v[46:47]
	v_fma_f64 v[46:47], v[8:9], v[46:47], -v[48:49]
	ds_load_b128 v[8:11], v2 offset:432
	v_fmac_f64_e32 v[44:45], v[64:65], v[50:51]
	v_fma_f64 v[50:51], v[62:63], v[50:51], -v[52:53]
	v_add_f64_e32 v[4:5], v[4:5], v[42:43]
	v_add_f64_e32 v[12:13], v[12:13], v[70:71]
	s_wait_loadcnt_dscnt 0x100
	v_mul_f64_e32 v[42:43], v[8:9], v[56:57]
	v_mul_f64_e32 v[48:49], v[10:11], v[56:57]
	s_delay_alu instid0(VALU_DEP_4) | instskip(NEXT) | instid1(VALU_DEP_4)
	v_add_f64_e32 v[4:5], v[4:5], v[46:47]
	v_add_f64_e32 v[12:13], v[12:13], v[72:73]
	s_delay_alu instid0(VALU_DEP_4) | instskip(NEXT) | instid1(VALU_DEP_4)
	v_fmac_f64_e32 v[42:43], v[10:11], v[54:55]
	v_fma_f64 v[8:9], v[8:9], v[54:55], -v[48:49]
	s_delay_alu instid0(VALU_DEP_4) | instskip(NEXT) | instid1(VALU_DEP_4)
	v_add_f64_e32 v[4:5], v[4:5], v[50:51]
	v_add_f64_e32 v[10:11], v[12:13], v[44:45]
	s_delay_alu instid0(VALU_DEP_2) | instskip(NEXT) | instid1(VALU_DEP_2)
	v_add_f64_e32 v[4:5], v[4:5], v[8:9]
	v_add_f64_e32 v[10:11], v[10:11], v[42:43]
	s_wait_loadcnt 0x0
	s_delay_alu instid0(VALU_DEP_2) | instskip(NEXT) | instid1(VALU_DEP_2)
	v_add_f64_e64 v[8:9], v[58:59], -v[4:5]
	v_add_f64_e64 v[10:11], v[60:61], -v[10:11]
	scratch_store_b128 off, v[8:11], off offset:128
	s_wait_xcnt 0x0
	v_cmpx_lt_u32_e32 7, v1
	s_cbranch_execz .LBB13_83
; %bb.82:
	scratch_load_b128 v[8:11], off, s20
	v_dual_mov_b32 v3, v2 :: v_dual_mov_b32 v4, v2
	v_mov_b32_e32 v5, v2
	scratch_store_b128 off, v[2:5], off offset:112
	s_wait_loadcnt 0x0
	ds_store_b128 v6, v[8:11]
.LBB13_83:
	s_wait_xcnt 0x0
	s_or_b32 exec_lo, exec_lo, s2
	s_wait_storecnt_dscnt 0x0
	s_barrier_signal -1
	s_barrier_wait -1
	s_clause 0x6
	scratch_load_b128 v[8:11], off, off offset:128
	scratch_load_b128 v[42:45], off, off offset:144
	;; [unrolled: 1-line block ×7, first 2 shown]
	ds_load_b128 v[66:69], v2 offset:352
	ds_load_b128 v[70:73], v2 offset:368
	s_mov_b32 s2, exec_lo
	s_wait_loadcnt_dscnt 0x601
	v_mul_f64_e32 v[4:5], v[68:69], v[10:11]
	v_mul_f64_e32 v[12:13], v[66:67], v[10:11]
	s_wait_loadcnt_dscnt 0x500
	v_mul_f64_e32 v[74:75], v[70:71], v[44:45]
	v_mul_f64_e32 v[44:45], v[72:73], v[44:45]
	s_delay_alu instid0(VALU_DEP_4) | instskip(NEXT) | instid1(VALU_DEP_4)
	v_fma_f64 v[4:5], v[66:67], v[8:9], -v[4:5]
	v_fmac_f64_e32 v[12:13], v[68:69], v[8:9]
	ds_load_b128 v[8:11], v2 offset:384
	ds_load_b128 v[66:69], v2 offset:400
	v_fmac_f64_e32 v[74:75], v[72:73], v[42:43]
	v_fma_f64 v[42:43], v[70:71], v[42:43], -v[44:45]
	s_wait_loadcnt_dscnt 0x401
	v_mul_f64_e32 v[76:77], v[8:9], v[48:49]
	v_mul_f64_e32 v[48:49], v[10:11], v[48:49]
	s_wait_loadcnt_dscnt 0x300
	v_mul_f64_e32 v[44:45], v[66:67], v[52:53]
	v_mul_f64_e32 v[52:53], v[68:69], v[52:53]
	v_add_f64_e32 v[4:5], 0, v[4:5]
	v_add_f64_e32 v[12:13], 0, v[12:13]
	v_fmac_f64_e32 v[76:77], v[10:11], v[46:47]
	v_fma_f64 v[46:47], v[8:9], v[46:47], -v[48:49]
	v_fmac_f64_e32 v[44:45], v[68:69], v[50:51]
	v_fma_f64 v[50:51], v[66:67], v[50:51], -v[52:53]
	v_add_f64_e32 v[42:43], v[4:5], v[42:43]
	v_add_f64_e32 v[12:13], v[12:13], v[74:75]
	ds_load_b128 v[8:11], v2 offset:416
	ds_load_b128 v[2:5], v2 offset:432
	s_wait_loadcnt_dscnt 0x201
	v_mul_f64_e32 v[48:49], v[8:9], v[56:57]
	v_mul_f64_e32 v[56:57], v[10:11], v[56:57]
	s_wait_loadcnt_dscnt 0x100
	v_mul_f64_e32 v[52:53], v[4:5], v[60:61]
	v_add_f64_e32 v[42:43], v[42:43], v[46:47]
	v_add_f64_e32 v[12:13], v[12:13], v[76:77]
	v_mul_f64_e32 v[46:47], v[2:3], v[60:61]
	v_fmac_f64_e32 v[48:49], v[10:11], v[54:55]
	v_fma_f64 v[8:9], v[8:9], v[54:55], -v[56:57]
	v_fma_f64 v[2:3], v[2:3], v[58:59], -v[52:53]
	v_add_f64_e32 v[10:11], v[42:43], v[50:51]
	v_add_f64_e32 v[12:13], v[12:13], v[44:45]
	v_fmac_f64_e32 v[46:47], v[4:5], v[58:59]
	s_delay_alu instid0(VALU_DEP_3) | instskip(NEXT) | instid1(VALU_DEP_3)
	v_add_f64_e32 v[4:5], v[10:11], v[8:9]
	v_add_f64_e32 v[8:9], v[12:13], v[48:49]
	s_delay_alu instid0(VALU_DEP_2) | instskip(NEXT) | instid1(VALU_DEP_2)
	v_add_f64_e32 v[2:3], v[4:5], v[2:3]
	v_add_f64_e32 v[4:5], v[8:9], v[46:47]
	s_wait_loadcnt 0x0
	s_delay_alu instid0(VALU_DEP_2) | instskip(NEXT) | instid1(VALU_DEP_2)
	v_add_f64_e64 v[2:3], v[62:63], -v[2:3]
	v_add_f64_e64 v[4:5], v[64:65], -v[4:5]
	scratch_store_b128 off, v[2:5], off offset:112
	s_wait_xcnt 0x0
	v_cmpx_lt_u32_e32 6, v1
	s_cbranch_execz .LBB13_85
; %bb.84:
	scratch_load_b128 v[2:5], off, s14
	v_mov_b32_e32 v8, 0
	s_delay_alu instid0(VALU_DEP_1)
	v_dual_mov_b32 v9, v8 :: v_dual_mov_b32 v10, v8
	v_mov_b32_e32 v11, v8
	scratch_store_b128 off, v[8:11], off offset:96
	s_wait_loadcnt 0x0
	ds_store_b128 v6, v[2:5]
.LBB13_85:
	s_wait_xcnt 0x0
	s_or_b32 exec_lo, exec_lo, s2
	s_wait_storecnt_dscnt 0x0
	s_barrier_signal -1
	s_barrier_wait -1
	s_clause 0x7
	scratch_load_b128 v[8:11], off, off offset:112
	scratch_load_b128 v[42:45], off, off offset:128
	scratch_load_b128 v[46:49], off, off offset:144
	scratch_load_b128 v[50:53], off, off offset:160
	scratch_load_b128 v[54:57], off, off offset:176
	scratch_load_b128 v[58:61], off, off offset:192
	scratch_load_b128 v[62:65], off, off offset:208
	scratch_load_b128 v[66:69], off, off offset:96
	v_mov_b32_e32 v2, 0
	ds_load_b128 v[70:73], v2 offset:336
	ds_load_b128 v[74:77], v2 offset:352
	s_mov_b32 s2, exec_lo
	s_wait_loadcnt_dscnt 0x701
	v_mul_f64_e32 v[4:5], v[72:73], v[10:11]
	v_mul_f64_e32 v[12:13], v[70:71], v[10:11]
	s_wait_loadcnt_dscnt 0x600
	v_mul_f64_e32 v[78:79], v[74:75], v[44:45]
	v_mul_f64_e32 v[44:45], v[76:77], v[44:45]
	s_delay_alu instid0(VALU_DEP_4) | instskip(NEXT) | instid1(VALU_DEP_4)
	v_fma_f64 v[4:5], v[70:71], v[8:9], -v[4:5]
	v_fmac_f64_e32 v[12:13], v[72:73], v[8:9]
	ds_load_b128 v[8:11], v2 offset:368
	ds_load_b128 v[70:73], v2 offset:384
	v_fmac_f64_e32 v[78:79], v[76:77], v[42:43]
	v_fma_f64 v[42:43], v[74:75], v[42:43], -v[44:45]
	s_wait_loadcnt_dscnt 0x501
	v_mul_f64_e32 v[80:81], v[8:9], v[48:49]
	v_mul_f64_e32 v[48:49], v[10:11], v[48:49]
	s_wait_loadcnt_dscnt 0x400
	v_mul_f64_e32 v[74:75], v[70:71], v[52:53]
	v_mul_f64_e32 v[52:53], v[72:73], v[52:53]
	v_add_f64_e32 v[4:5], 0, v[4:5]
	v_add_f64_e32 v[12:13], 0, v[12:13]
	v_fmac_f64_e32 v[80:81], v[10:11], v[46:47]
	v_fma_f64 v[46:47], v[8:9], v[46:47], -v[48:49]
	v_fmac_f64_e32 v[74:75], v[72:73], v[50:51]
	v_fma_f64 v[50:51], v[70:71], v[50:51], -v[52:53]
	v_add_f64_e32 v[4:5], v[4:5], v[42:43]
	v_add_f64_e32 v[12:13], v[12:13], v[78:79]
	ds_load_b128 v[8:11], v2 offset:400
	ds_load_b128 v[42:45], v2 offset:416
	s_wait_loadcnt_dscnt 0x301
	v_mul_f64_e32 v[48:49], v[8:9], v[56:57]
	v_mul_f64_e32 v[56:57], v[10:11], v[56:57]
	s_wait_loadcnt_dscnt 0x200
	v_mul_f64_e32 v[52:53], v[44:45], v[60:61]
	v_add_f64_e32 v[4:5], v[4:5], v[46:47]
	v_add_f64_e32 v[12:13], v[12:13], v[80:81]
	v_mul_f64_e32 v[46:47], v[42:43], v[60:61]
	v_fmac_f64_e32 v[48:49], v[10:11], v[54:55]
	v_fma_f64 v[54:55], v[8:9], v[54:55], -v[56:57]
	ds_load_b128 v[8:11], v2 offset:432
	v_fma_f64 v[42:43], v[42:43], v[58:59], -v[52:53]
	v_add_f64_e32 v[4:5], v[4:5], v[50:51]
	v_add_f64_e32 v[12:13], v[12:13], v[74:75]
	v_fmac_f64_e32 v[46:47], v[44:45], v[58:59]
	s_wait_loadcnt_dscnt 0x100
	v_mul_f64_e32 v[50:51], v[8:9], v[64:65]
	v_mul_f64_e32 v[56:57], v[10:11], v[64:65]
	v_add_f64_e32 v[4:5], v[4:5], v[54:55]
	v_add_f64_e32 v[12:13], v[12:13], v[48:49]
	s_delay_alu instid0(VALU_DEP_4) | instskip(NEXT) | instid1(VALU_DEP_4)
	v_fmac_f64_e32 v[50:51], v[10:11], v[62:63]
	v_fma_f64 v[8:9], v[8:9], v[62:63], -v[56:57]
	s_delay_alu instid0(VALU_DEP_4) | instskip(NEXT) | instid1(VALU_DEP_4)
	v_add_f64_e32 v[4:5], v[4:5], v[42:43]
	v_add_f64_e32 v[10:11], v[12:13], v[46:47]
	s_delay_alu instid0(VALU_DEP_2) | instskip(NEXT) | instid1(VALU_DEP_2)
	v_add_f64_e32 v[4:5], v[4:5], v[8:9]
	v_add_f64_e32 v[10:11], v[10:11], v[50:51]
	s_wait_loadcnt 0x0
	s_delay_alu instid0(VALU_DEP_2) | instskip(NEXT) | instid1(VALU_DEP_2)
	v_add_f64_e64 v[8:9], v[66:67], -v[4:5]
	v_add_f64_e64 v[10:11], v[68:69], -v[10:11]
	scratch_store_b128 off, v[8:11], off offset:96
	s_wait_xcnt 0x0
	v_cmpx_lt_u32_e32 5, v1
	s_cbranch_execz .LBB13_87
; %bb.86:
	scratch_load_b128 v[8:11], off, s12
	v_dual_mov_b32 v3, v2 :: v_dual_mov_b32 v4, v2
	v_mov_b32_e32 v5, v2
	scratch_store_b128 off, v[2:5], off offset:80
	s_wait_loadcnt 0x0
	ds_store_b128 v6, v[8:11]
.LBB13_87:
	s_wait_xcnt 0x0
	s_or_b32 exec_lo, exec_lo, s2
	s_wait_storecnt_dscnt 0x0
	s_barrier_signal -1
	s_barrier_wait -1
	s_clause 0x7
	scratch_load_b128 v[8:11], off, off offset:96
	scratch_load_b128 v[42:45], off, off offset:112
	;; [unrolled: 1-line block ×8, first 2 shown]
	ds_load_b128 v[70:73], v2 offset:320
	ds_load_b128 v[74:77], v2 offset:336
	scratch_load_b128 v[78:81], off, off offset:80
	s_mov_b32 s2, exec_lo
	s_wait_loadcnt_dscnt 0x801
	v_mul_f64_e32 v[4:5], v[72:73], v[10:11]
	v_mul_f64_e32 v[12:13], v[70:71], v[10:11]
	s_wait_loadcnt_dscnt 0x700
	v_mul_f64_e32 v[82:83], v[74:75], v[44:45]
	v_mul_f64_e32 v[44:45], v[76:77], v[44:45]
	s_delay_alu instid0(VALU_DEP_4) | instskip(NEXT) | instid1(VALU_DEP_4)
	v_fma_f64 v[4:5], v[70:71], v[8:9], -v[4:5]
	v_fmac_f64_e32 v[12:13], v[72:73], v[8:9]
	ds_load_b128 v[8:11], v2 offset:352
	ds_load_b128 v[70:73], v2 offset:368
	v_fmac_f64_e32 v[82:83], v[76:77], v[42:43]
	v_fma_f64 v[42:43], v[74:75], v[42:43], -v[44:45]
	s_wait_loadcnt_dscnt 0x601
	v_mul_f64_e32 v[84:85], v[8:9], v[48:49]
	v_mul_f64_e32 v[48:49], v[10:11], v[48:49]
	s_wait_loadcnt_dscnt 0x500
	v_mul_f64_e32 v[74:75], v[70:71], v[52:53]
	v_mul_f64_e32 v[52:53], v[72:73], v[52:53]
	v_add_f64_e32 v[4:5], 0, v[4:5]
	v_add_f64_e32 v[12:13], 0, v[12:13]
	v_fmac_f64_e32 v[84:85], v[10:11], v[46:47]
	v_fma_f64 v[46:47], v[8:9], v[46:47], -v[48:49]
	v_fmac_f64_e32 v[74:75], v[72:73], v[50:51]
	v_fma_f64 v[50:51], v[70:71], v[50:51], -v[52:53]
	v_add_f64_e32 v[4:5], v[4:5], v[42:43]
	v_add_f64_e32 v[12:13], v[12:13], v[82:83]
	ds_load_b128 v[8:11], v2 offset:384
	ds_load_b128 v[42:45], v2 offset:400
	s_wait_loadcnt_dscnt 0x401
	v_mul_f64_e32 v[48:49], v[8:9], v[56:57]
	v_mul_f64_e32 v[56:57], v[10:11], v[56:57]
	s_wait_loadcnt_dscnt 0x300
	v_mul_f64_e32 v[52:53], v[44:45], v[60:61]
	v_add_f64_e32 v[4:5], v[4:5], v[46:47]
	v_add_f64_e32 v[12:13], v[12:13], v[84:85]
	v_mul_f64_e32 v[46:47], v[42:43], v[60:61]
	v_fmac_f64_e32 v[48:49], v[10:11], v[54:55]
	v_fma_f64 v[54:55], v[8:9], v[54:55], -v[56:57]
	v_fma_f64 v[42:43], v[42:43], v[58:59], -v[52:53]
	v_add_f64_e32 v[50:51], v[4:5], v[50:51]
	v_add_f64_e32 v[12:13], v[12:13], v[74:75]
	ds_load_b128 v[8:11], v2 offset:416
	ds_load_b128 v[2:5], v2 offset:432
	v_fmac_f64_e32 v[46:47], v[44:45], v[58:59]
	s_wait_loadcnt_dscnt 0x201
	v_mul_f64_e32 v[56:57], v[8:9], v[64:65]
	v_mul_f64_e32 v[60:61], v[10:11], v[64:65]
	v_add_f64_e32 v[44:45], v[50:51], v[54:55]
	v_add_f64_e32 v[12:13], v[12:13], v[48:49]
	s_wait_loadcnt_dscnt 0x100
	v_mul_f64_e32 v[48:49], v[2:3], v[68:69]
	v_mul_f64_e32 v[50:51], v[4:5], v[68:69]
	v_fmac_f64_e32 v[56:57], v[10:11], v[62:63]
	v_fma_f64 v[8:9], v[8:9], v[62:63], -v[60:61]
	v_add_f64_e32 v[10:11], v[44:45], v[42:43]
	v_add_f64_e32 v[12:13], v[12:13], v[46:47]
	v_fmac_f64_e32 v[48:49], v[4:5], v[66:67]
	v_fma_f64 v[2:3], v[2:3], v[66:67], -v[50:51]
	s_delay_alu instid0(VALU_DEP_4) | instskip(NEXT) | instid1(VALU_DEP_4)
	v_add_f64_e32 v[4:5], v[10:11], v[8:9]
	v_add_f64_e32 v[8:9], v[12:13], v[56:57]
	s_delay_alu instid0(VALU_DEP_2) | instskip(NEXT) | instid1(VALU_DEP_2)
	v_add_f64_e32 v[2:3], v[4:5], v[2:3]
	v_add_f64_e32 v[4:5], v[8:9], v[48:49]
	s_wait_loadcnt 0x0
	s_delay_alu instid0(VALU_DEP_2) | instskip(NEXT) | instid1(VALU_DEP_2)
	v_add_f64_e64 v[2:3], v[78:79], -v[2:3]
	v_add_f64_e64 v[4:5], v[80:81], -v[4:5]
	scratch_store_b128 off, v[2:5], off offset:80
	s_wait_xcnt 0x0
	v_cmpx_lt_u32_e32 4, v1
	s_cbranch_execz .LBB13_89
; %bb.88:
	scratch_load_b128 v[2:5], off, s10
	v_mov_b32_e32 v8, 0
	s_delay_alu instid0(VALU_DEP_1)
	v_dual_mov_b32 v9, v8 :: v_dual_mov_b32 v10, v8
	v_mov_b32_e32 v11, v8
	scratch_store_b128 off, v[8:11], off offset:64
	s_wait_loadcnt 0x0
	ds_store_b128 v6, v[2:5]
.LBB13_89:
	s_wait_xcnt 0x0
	s_or_b32 exec_lo, exec_lo, s2
	s_wait_storecnt_dscnt 0x0
	s_barrier_signal -1
	s_barrier_wait -1
	s_clause 0x8
	scratch_load_b128 v[8:11], off, off offset:80
	scratch_load_b128 v[42:45], off, off offset:96
	scratch_load_b128 v[46:49], off, off offset:112
	scratch_load_b128 v[50:53], off, off offset:128
	scratch_load_b128 v[54:57], off, off offset:144
	scratch_load_b128 v[58:61], off, off offset:160
	scratch_load_b128 v[62:65], off, off offset:176
	scratch_load_b128 v[66:69], off, off offset:192
	scratch_load_b128 v[70:73], off, off offset:208
	v_mov_b32_e32 v2, 0
	scratch_load_b128 v[78:81], off, off offset:64
	s_mov_b32 s2, exec_lo
	ds_load_b128 v[74:77], v2 offset:304
	ds_load_b128 v[82:85], v2 offset:320
	s_wait_loadcnt_dscnt 0x901
	v_mul_f64_e32 v[4:5], v[76:77], v[10:11]
	v_mul_f64_e32 v[12:13], v[74:75], v[10:11]
	s_wait_loadcnt_dscnt 0x800
	v_mul_f64_e32 v[86:87], v[82:83], v[44:45]
	v_mul_f64_e32 v[44:45], v[84:85], v[44:45]
	s_delay_alu instid0(VALU_DEP_4) | instskip(NEXT) | instid1(VALU_DEP_4)
	v_fma_f64 v[4:5], v[74:75], v[8:9], -v[4:5]
	v_fmac_f64_e32 v[12:13], v[76:77], v[8:9]
	ds_load_b128 v[8:11], v2 offset:336
	ds_load_b128 v[74:77], v2 offset:352
	v_fmac_f64_e32 v[86:87], v[84:85], v[42:43]
	v_fma_f64 v[42:43], v[82:83], v[42:43], -v[44:45]
	s_wait_loadcnt_dscnt 0x701
	v_mul_f64_e32 v[88:89], v[8:9], v[48:49]
	v_mul_f64_e32 v[48:49], v[10:11], v[48:49]
	s_wait_loadcnt_dscnt 0x600
	v_mul_f64_e32 v[82:83], v[74:75], v[52:53]
	v_mul_f64_e32 v[52:53], v[76:77], v[52:53]
	v_add_f64_e32 v[4:5], 0, v[4:5]
	v_add_f64_e32 v[12:13], 0, v[12:13]
	v_fmac_f64_e32 v[88:89], v[10:11], v[46:47]
	v_fma_f64 v[46:47], v[8:9], v[46:47], -v[48:49]
	v_fmac_f64_e32 v[82:83], v[76:77], v[50:51]
	v_fma_f64 v[50:51], v[74:75], v[50:51], -v[52:53]
	v_add_f64_e32 v[4:5], v[4:5], v[42:43]
	v_add_f64_e32 v[12:13], v[12:13], v[86:87]
	ds_load_b128 v[8:11], v2 offset:368
	ds_load_b128 v[42:45], v2 offset:384
	s_wait_loadcnt_dscnt 0x501
	v_mul_f64_e32 v[84:85], v[8:9], v[56:57]
	v_mul_f64_e32 v[48:49], v[10:11], v[56:57]
	s_wait_loadcnt_dscnt 0x400
	v_mul_f64_e32 v[52:53], v[42:43], v[60:61]
	v_mul_f64_e32 v[56:57], v[44:45], v[60:61]
	v_add_f64_e32 v[4:5], v[4:5], v[46:47]
	v_add_f64_e32 v[12:13], v[12:13], v[88:89]
	v_fmac_f64_e32 v[84:85], v[10:11], v[54:55]
	v_fma_f64 v[54:55], v[8:9], v[54:55], -v[48:49]
	ds_load_b128 v[8:11], v2 offset:400
	ds_load_b128 v[46:49], v2 offset:416
	v_fmac_f64_e32 v[52:53], v[44:45], v[58:59]
	v_fma_f64 v[42:43], v[42:43], v[58:59], -v[56:57]
	v_add_f64_e32 v[4:5], v[4:5], v[50:51]
	v_add_f64_e32 v[12:13], v[12:13], v[82:83]
	s_wait_loadcnt_dscnt 0x301
	v_mul_f64_e32 v[50:51], v[8:9], v[64:65]
	v_mul_f64_e32 v[60:61], v[10:11], v[64:65]
	s_wait_loadcnt_dscnt 0x200
	v_mul_f64_e32 v[44:45], v[46:47], v[68:69]
	v_add_f64_e32 v[4:5], v[4:5], v[54:55]
	v_add_f64_e32 v[12:13], v[12:13], v[84:85]
	v_mul_f64_e32 v[54:55], v[48:49], v[68:69]
	v_fmac_f64_e32 v[50:51], v[10:11], v[62:63]
	v_fma_f64 v[56:57], v[8:9], v[62:63], -v[60:61]
	ds_load_b128 v[8:11], v2 offset:432
	v_fmac_f64_e32 v[44:45], v[48:49], v[66:67]
	v_add_f64_e32 v[4:5], v[4:5], v[42:43]
	v_add_f64_e32 v[12:13], v[12:13], v[52:53]
	s_wait_loadcnt_dscnt 0x100
	v_mul_f64_e32 v[42:43], v[8:9], v[72:73]
	v_mul_f64_e32 v[52:53], v[10:11], v[72:73]
	v_fma_f64 v[46:47], v[46:47], v[66:67], -v[54:55]
	v_add_f64_e32 v[4:5], v[4:5], v[56:57]
	v_add_f64_e32 v[12:13], v[12:13], v[50:51]
	v_fmac_f64_e32 v[42:43], v[10:11], v[70:71]
	v_fma_f64 v[8:9], v[8:9], v[70:71], -v[52:53]
	s_delay_alu instid0(VALU_DEP_4) | instskip(NEXT) | instid1(VALU_DEP_4)
	v_add_f64_e32 v[4:5], v[4:5], v[46:47]
	v_add_f64_e32 v[10:11], v[12:13], v[44:45]
	s_delay_alu instid0(VALU_DEP_2) | instskip(NEXT) | instid1(VALU_DEP_2)
	v_add_f64_e32 v[4:5], v[4:5], v[8:9]
	v_add_f64_e32 v[10:11], v[10:11], v[42:43]
	s_wait_loadcnt 0x0
	s_delay_alu instid0(VALU_DEP_2) | instskip(NEXT) | instid1(VALU_DEP_2)
	v_add_f64_e64 v[8:9], v[78:79], -v[4:5]
	v_add_f64_e64 v[10:11], v[80:81], -v[10:11]
	scratch_store_b128 off, v[8:11], off offset:64
	s_wait_xcnt 0x0
	v_cmpx_lt_u32_e32 3, v1
	s_cbranch_execz .LBB13_91
; %bb.90:
	scratch_load_b128 v[8:11], off, s9
	v_dual_mov_b32 v3, v2 :: v_dual_mov_b32 v4, v2
	v_mov_b32_e32 v5, v2
	scratch_store_b128 off, v[2:5], off offset:48
	s_wait_loadcnt 0x0
	ds_store_b128 v6, v[8:11]
.LBB13_91:
	s_wait_xcnt 0x0
	s_or_b32 exec_lo, exec_lo, s2
	s_wait_storecnt_dscnt 0x0
	s_barrier_signal -1
	s_barrier_wait -1
	s_clause 0x9
	scratch_load_b128 v[8:11], off, off offset:64
	scratch_load_b128 v[42:45], off, off offset:80
	;; [unrolled: 1-line block ×10, first 2 shown]
	ds_load_b128 v[78:81], v2 offset:288
	ds_load_b128 v[82:85], v2 offset:304
	scratch_load_b128 v[86:89], off, off offset:48
	s_mov_b32 s2, exec_lo
	s_wait_loadcnt_dscnt 0xa01
	v_mul_f64_e32 v[4:5], v[80:81], v[10:11]
	v_mul_f64_e32 v[12:13], v[78:79], v[10:11]
	s_wait_loadcnt_dscnt 0x900
	v_mul_f64_e32 v[90:91], v[82:83], v[44:45]
	v_mul_f64_e32 v[44:45], v[84:85], v[44:45]
	s_delay_alu instid0(VALU_DEP_4) | instskip(NEXT) | instid1(VALU_DEP_4)
	v_fma_f64 v[4:5], v[78:79], v[8:9], -v[4:5]
	v_fmac_f64_e32 v[12:13], v[80:81], v[8:9]
	ds_load_b128 v[8:11], v2 offset:320
	ds_load_b128 v[78:81], v2 offset:336
	v_fmac_f64_e32 v[90:91], v[84:85], v[42:43]
	v_fma_f64 v[42:43], v[82:83], v[42:43], -v[44:45]
	s_wait_loadcnt_dscnt 0x801
	v_mul_f64_e32 v[92:93], v[8:9], v[48:49]
	v_mul_f64_e32 v[48:49], v[10:11], v[48:49]
	s_wait_loadcnt_dscnt 0x700
	v_mul_f64_e32 v[82:83], v[78:79], v[52:53]
	v_mul_f64_e32 v[52:53], v[80:81], v[52:53]
	v_add_f64_e32 v[4:5], 0, v[4:5]
	v_add_f64_e32 v[12:13], 0, v[12:13]
	v_fmac_f64_e32 v[92:93], v[10:11], v[46:47]
	v_fma_f64 v[46:47], v[8:9], v[46:47], -v[48:49]
	v_fmac_f64_e32 v[82:83], v[80:81], v[50:51]
	v_fma_f64 v[50:51], v[78:79], v[50:51], -v[52:53]
	v_add_f64_e32 v[4:5], v[4:5], v[42:43]
	v_add_f64_e32 v[12:13], v[12:13], v[90:91]
	ds_load_b128 v[8:11], v2 offset:352
	ds_load_b128 v[42:45], v2 offset:368
	s_wait_loadcnt_dscnt 0x601
	v_mul_f64_e32 v[84:85], v[8:9], v[56:57]
	v_mul_f64_e32 v[48:49], v[10:11], v[56:57]
	s_wait_loadcnt_dscnt 0x500
	v_mul_f64_e32 v[52:53], v[42:43], v[60:61]
	v_mul_f64_e32 v[56:57], v[44:45], v[60:61]
	v_add_f64_e32 v[4:5], v[4:5], v[46:47]
	v_add_f64_e32 v[12:13], v[12:13], v[92:93]
	v_fmac_f64_e32 v[84:85], v[10:11], v[54:55]
	v_fma_f64 v[54:55], v[8:9], v[54:55], -v[48:49]
	ds_load_b128 v[8:11], v2 offset:384
	ds_load_b128 v[46:49], v2 offset:400
	v_fmac_f64_e32 v[52:53], v[44:45], v[58:59]
	v_fma_f64 v[42:43], v[42:43], v[58:59], -v[56:57]
	v_add_f64_e32 v[4:5], v[4:5], v[50:51]
	v_add_f64_e32 v[12:13], v[12:13], v[82:83]
	s_wait_loadcnt_dscnt 0x401
	v_mul_f64_e32 v[50:51], v[8:9], v[64:65]
	v_mul_f64_e32 v[60:61], v[10:11], v[64:65]
	s_wait_loadcnt_dscnt 0x300
	v_mul_f64_e32 v[44:45], v[46:47], v[68:69]
	v_add_f64_e32 v[4:5], v[4:5], v[54:55]
	v_add_f64_e32 v[12:13], v[12:13], v[84:85]
	v_mul_f64_e32 v[54:55], v[48:49], v[68:69]
	v_fmac_f64_e32 v[50:51], v[10:11], v[62:63]
	v_fma_f64 v[56:57], v[8:9], v[62:63], -v[60:61]
	v_fmac_f64_e32 v[44:45], v[48:49], v[66:67]
	v_add_f64_e32 v[42:43], v[4:5], v[42:43]
	v_add_f64_e32 v[12:13], v[12:13], v[52:53]
	ds_load_b128 v[8:11], v2 offset:416
	ds_load_b128 v[2:5], v2 offset:432
	v_fma_f64 v[46:47], v[46:47], v[66:67], -v[54:55]
	s_wait_loadcnt_dscnt 0x201
	v_mul_f64_e32 v[52:53], v[8:9], v[72:73]
	v_mul_f64_e32 v[58:59], v[10:11], v[72:73]
	s_wait_loadcnt_dscnt 0x100
	v_mul_f64_e32 v[48:49], v[2:3], v[76:77]
	v_add_f64_e32 v[42:43], v[42:43], v[56:57]
	v_add_f64_e32 v[12:13], v[12:13], v[50:51]
	v_mul_f64_e32 v[50:51], v[4:5], v[76:77]
	v_fmac_f64_e32 v[52:53], v[10:11], v[70:71]
	v_fma_f64 v[8:9], v[8:9], v[70:71], -v[58:59]
	v_fmac_f64_e32 v[48:49], v[4:5], v[74:75]
	v_add_f64_e32 v[10:11], v[42:43], v[46:47]
	v_add_f64_e32 v[12:13], v[12:13], v[44:45]
	v_fma_f64 v[2:3], v[2:3], v[74:75], -v[50:51]
	s_delay_alu instid0(VALU_DEP_3) | instskip(NEXT) | instid1(VALU_DEP_3)
	v_add_f64_e32 v[4:5], v[10:11], v[8:9]
	v_add_f64_e32 v[8:9], v[12:13], v[52:53]
	s_delay_alu instid0(VALU_DEP_2) | instskip(NEXT) | instid1(VALU_DEP_2)
	v_add_f64_e32 v[2:3], v[4:5], v[2:3]
	v_add_f64_e32 v[4:5], v[8:9], v[48:49]
	s_wait_loadcnt 0x0
	s_delay_alu instid0(VALU_DEP_2) | instskip(NEXT) | instid1(VALU_DEP_2)
	v_add_f64_e64 v[2:3], v[86:87], -v[2:3]
	v_add_f64_e64 v[4:5], v[88:89], -v[4:5]
	scratch_store_b128 off, v[2:5], off offset:48
	s_wait_xcnt 0x0
	v_cmpx_lt_u32_e32 2, v1
	s_cbranch_execz .LBB13_93
; %bb.92:
	scratch_load_b128 v[2:5], off, s8
	v_mov_b32_e32 v8, 0
	s_delay_alu instid0(VALU_DEP_1)
	v_dual_mov_b32 v9, v8 :: v_dual_mov_b32 v10, v8
	v_mov_b32_e32 v11, v8
	scratch_store_b128 off, v[8:11], off offset:32
	s_wait_loadcnt 0x0
	ds_store_b128 v6, v[2:5]
.LBB13_93:
	s_wait_xcnt 0x0
	s_or_b32 exec_lo, exec_lo, s2
	s_wait_storecnt_dscnt 0x0
	s_barrier_signal -1
	s_barrier_wait -1
	s_clause 0x9
	scratch_load_b128 v[8:11], off, off offset:48
	scratch_load_b128 v[42:45], off, off offset:64
	;; [unrolled: 1-line block ×10, first 2 shown]
	v_mov_b32_e32 v2, 0
	scratch_load_b128 v[82:85], off, off offset:32
	s_mov_b32 s2, exec_lo
	v_dual_ashrrev_i32 v21, 31, v20 :: v_dual_ashrrev_i32 v19, 31, v18
	ds_load_b128 v[78:81], v2 offset:272
	ds_load_b128 v[86:89], v2 offset:288
	v_ashrrev_i32_e32 v27, 31, v26
	v_dual_ashrrev_i32 v23, 31, v22 :: v_dual_ashrrev_i32 v25, 31, v24
	v_ashrrev_i32_e32 v31, 31, v30
	v_ashrrev_i32_e32 v35, 31, v34
	v_dual_ashrrev_i32 v39, 31, v38 :: v_dual_ashrrev_i32 v29, 31, v28
	v_ashrrev_i32_e32 v37, 31, v36
	v_ashrrev_i32_e32 v33, 31, v32
	s_wait_loadcnt_dscnt 0xa01
	v_dual_mul_f64 v[4:5], v[78:79], v[10:11] :: v_dual_ashrrev_i32 v41, 31, v40
	v_mul_f64_e32 v[90:91], v[80:81], v[10:11]
	scratch_load_b128 v[10:13], off, off offset:208
	s_wait_loadcnt_dscnt 0xa00
	v_mul_f64_e32 v[92:93], v[86:87], v[44:45]
	v_mul_f64_e32 v[44:45], v[88:89], v[44:45]
	v_fmac_f64_e32 v[4:5], v[80:81], v[8:9]
	v_fma_f64 v[8:9], v[78:79], v[8:9], -v[90:91]
	ds_load_b128 v[78:81], v2 offset:304
	v_fmac_f64_e32 v[92:93], v[88:89], v[42:43]
	v_fma_f64 v[86:87], v[86:87], v[42:43], -v[44:45]
	ds_load_b128 v[42:45], v2 offset:320
	s_wait_loadcnt_dscnt 0x901
	v_mul_f64_e32 v[88:89], v[78:79], v[48:49]
	v_mul_f64_e32 v[48:49], v[80:81], v[48:49]
	s_wait_loadcnt_dscnt 0x800
	v_mul_f64_e32 v[90:91], v[42:43], v[52:53]
	v_mul_f64_e32 v[52:53], v[44:45], v[52:53]
	v_add_f64_e32 v[4:5], 0, v[4:5]
	v_add_f64_e32 v[8:9], 0, v[8:9]
	v_fmac_f64_e32 v[88:89], v[80:81], v[46:47]
	v_fma_f64 v[94:95], v[78:79], v[46:47], -v[48:49]
	ds_load_b128 v[46:49], v2 offset:336
	ds_load_b128 v[78:81], v2 offset:352
	v_fmac_f64_e32 v[90:91], v[44:45], v[50:51]
	v_fma_f64 v[42:43], v[42:43], v[50:51], -v[52:53]
	v_add_f64_e32 v[4:5], v[4:5], v[92:93]
	v_add_f64_e32 v[8:9], v[8:9], v[86:87]
	s_wait_loadcnt_dscnt 0x701
	v_mul_f64_e32 v[86:87], v[46:47], v[56:57]
	v_mul_f64_e32 v[44:45], v[48:49], v[56:57]
	s_wait_loadcnt_dscnt 0x600
	v_mul_f64_e32 v[50:51], v[78:79], v[60:61]
	v_mul_f64_e32 v[52:53], v[80:81], v[60:61]
	v_add_f64_e32 v[4:5], v[4:5], v[88:89]
	v_add_f64_e32 v[8:9], v[8:9], v[94:95]
	v_fmac_f64_e32 v[86:87], v[48:49], v[54:55]
	v_fma_f64 v[54:55], v[46:47], v[54:55], -v[44:45]
	v_fmac_f64_e32 v[50:51], v[80:81], v[58:59]
	v_fma_f64 v[52:53], v[78:79], v[58:59], -v[52:53]
	v_add_f64_e32 v[4:5], v[4:5], v[90:91]
	v_add_f64_e32 v[8:9], v[8:9], v[42:43]
	ds_load_b128 v[42:45], v2 offset:368
	ds_load_b128 v[46:49], v2 offset:384
	s_wait_loadcnt_dscnt 0x501
	v_mul_f64_e32 v[56:57], v[42:43], v[64:65]
	v_mul_f64_e32 v[60:61], v[44:45], v[64:65]
	s_wait_loadcnt_dscnt 0x400
	v_mul_f64_e32 v[58:59], v[48:49], v[68:69]
	v_add_f64_e32 v[4:5], v[4:5], v[86:87]
	v_add_f64_e32 v[8:9], v[8:9], v[54:55]
	v_mul_f64_e32 v[54:55], v[46:47], v[68:69]
	v_fmac_f64_e32 v[56:57], v[44:45], v[62:63]
	v_fma_f64 v[60:61], v[42:43], v[62:63], -v[60:61]
	v_fma_f64 v[46:47], v[46:47], v[66:67], -v[58:59]
	v_add_f64_e32 v[4:5], v[4:5], v[50:51]
	v_add_f64_e32 v[8:9], v[8:9], v[52:53]
	ds_load_b128 v[42:45], v2 offset:400
	ds_load_b128 v[50:53], v2 offset:416
	v_fmac_f64_e32 v[54:55], v[48:49], v[66:67]
	s_wait_loadcnt_dscnt 0x301
	v_mul_f64_e32 v[62:63], v[42:43], v[72:73]
	v_mul_f64_e32 v[64:65], v[44:45], v[72:73]
	s_wait_loadcnt_dscnt 0x200
	v_mul_f64_e32 v[48:49], v[50:51], v[76:77]
	v_add_f64_e32 v[4:5], v[4:5], v[56:57]
	v_add_f64_e32 v[8:9], v[8:9], v[60:61]
	v_mul_f64_e32 v[56:57], v[52:53], v[76:77]
	v_fmac_f64_e32 v[62:63], v[44:45], v[70:71]
	v_fma_f64 v[58:59], v[42:43], v[70:71], -v[64:65]
	ds_load_b128 v[42:45], v2 offset:432
	v_fmac_f64_e32 v[48:49], v[52:53], v[74:75]
	v_add_f64_e32 v[4:5], v[4:5], v[54:55]
	v_add_f64_e32 v[8:9], v[8:9], v[46:47]
	v_fma_f64 v[50:51], v[50:51], v[74:75], -v[56:57]
	s_delay_alu instid0(VALU_DEP_3) | instskip(NEXT) | instid1(VALU_DEP_3)
	v_add_f64_e32 v[4:5], v[4:5], v[62:63]
	v_add_f64_e32 v[8:9], v[8:9], v[58:59]
	s_wait_loadcnt_dscnt 0x0
	v_mul_f64_e32 v[46:47], v[42:43], v[12:13]
	v_mul_f64_e32 v[12:13], v[44:45], v[12:13]
	s_delay_alu instid0(VALU_DEP_4) | instskip(NEXT) | instid1(VALU_DEP_4)
	v_add_f64_e32 v[4:5], v[4:5], v[48:49]
	v_add_f64_e32 v[8:9], v[8:9], v[50:51]
	s_delay_alu instid0(VALU_DEP_4) | instskip(NEXT) | instid1(VALU_DEP_4)
	v_fmac_f64_e32 v[46:47], v[44:45], v[10:11]
	v_fma_f64 v[10:11], v[42:43], v[10:11], -v[12:13]
	s_delay_alu instid0(VALU_DEP_2) | instskip(NEXT) | instid1(VALU_DEP_2)
	v_add_f64_e32 v[4:5], v[4:5], v[46:47]
	v_add_f64_e32 v[8:9], v[8:9], v[10:11]
	s_delay_alu instid0(VALU_DEP_2) | instskip(NEXT) | instid1(VALU_DEP_2)
	v_add_f64_e64 v[10:11], v[84:85], -v[4:5]
	v_add_f64_e64 v[8:9], v[82:83], -v[8:9]
	scratch_store_b128 off, v[8:11], off offset:32
	s_wait_xcnt 0x0
	v_cmpx_lt_u32_e32 1, v1
	s_cbranch_execz .LBB13_95
; %bb.94:
	scratch_load_b128 v[8:11], off, s11
	v_dual_mov_b32 v3, v2 :: v_dual_mov_b32 v4, v2
	v_mov_b32_e32 v5, v2
	scratch_store_b128 off, v[2:5], off offset:16
	s_wait_loadcnt 0x0
	ds_store_b128 v6, v[8:11]
.LBB13_95:
	s_wait_xcnt 0x0
	s_or_b32 exec_lo, exec_lo, s2
	s_wait_storecnt_dscnt 0x0
	s_barrier_signal -1
	s_barrier_wait -1
	s_clause 0x9
	scratch_load_b128 v[8:11], off, off offset:32
	scratch_load_b128 v[42:45], off, off offset:48
	;; [unrolled: 1-line block ×10, first 2 shown]
	ds_load_b128 v[78:81], v2 offset:256
	s_clause 0x1
	scratch_load_b128 v[82:85], off, off offset:192
	scratch_load_b128 v[86:89], off, off offset:208
	s_mov_b32 s2, exec_lo
	s_wait_loadcnt_dscnt 0xb00
	v_mul_f64_e32 v[4:5], v[80:81], v[10:11]
	v_mul_f64_e32 v[90:91], v[78:79], v[10:11]
	ds_load_b128 v[10:13], v2 offset:272
	v_fma_f64 v[4:5], v[78:79], v[8:9], -v[4:5]
	v_fmac_f64_e32 v[90:91], v[80:81], v[8:9]
	ds_load_b128 v[78:81], v2 offset:288
	s_wait_loadcnt_dscnt 0xa01
	v_mul_f64_e32 v[92:93], v[10:11], v[44:45]
	v_mul_f64_e32 v[44:45], v[12:13], v[44:45]
	s_wait_loadcnt_dscnt 0x900
	v_mul_f64_e32 v[94:95], v[78:79], v[48:49]
	v_mul_f64_e32 v[48:49], v[80:81], v[48:49]
	v_add_f64_e32 v[4:5], 0, v[4:5]
	v_fmac_f64_e32 v[92:93], v[12:13], v[42:43]
	v_fma_f64 v[12:13], v[10:11], v[42:43], -v[44:45]
	v_add_f64_e32 v[42:43], 0, v[90:91]
	ds_load_b128 v[8:11], v2 offset:304
	v_fmac_f64_e32 v[94:95], v[80:81], v[46:47]
	v_fma_f64 v[78:79], v[78:79], v[46:47], -v[48:49]
	scratch_load_b128 v[46:49], off, off offset:16
	v_add_f64_e32 v[4:5], v[4:5], v[12:13]
	v_add_f64_e32 v[12:13], v[42:43], v[92:93]
	ds_load_b128 v[42:45], v2 offset:320
	s_wait_loadcnt_dscnt 0x901
	v_mul_f64_e32 v[90:91], v[8:9], v[52:53]
	v_mul_f64_e32 v[52:53], v[10:11], v[52:53]
	s_wait_loadcnt_dscnt 0x800
	v_mul_f64_e32 v[80:81], v[42:43], v[56:57]
	v_mul_f64_e32 v[56:57], v[44:45], v[56:57]
	v_add_f64_e32 v[4:5], v[4:5], v[78:79]
	v_add_f64_e32 v[12:13], v[12:13], v[94:95]
	v_fmac_f64_e32 v[90:91], v[10:11], v[50:51]
	v_fma_f64 v[50:51], v[8:9], v[50:51], -v[52:53]
	ds_load_b128 v[8:11], v2 offset:336
	v_fmac_f64_e32 v[80:81], v[44:45], v[54:55]
	v_fma_f64 v[54:55], v[42:43], v[54:55], -v[56:57]
	ds_load_b128 v[42:45], v2 offset:352
	s_wait_loadcnt_dscnt 0x701
	v_mul_f64_e32 v[52:53], v[8:9], v[60:61]
	v_mul_f64_e32 v[60:61], v[10:11], v[60:61]
	v_add_f64_e32 v[12:13], v[12:13], v[90:91]
	v_add_f64_e32 v[4:5], v[4:5], v[50:51]
	s_wait_loadcnt_dscnt 0x600
	v_mul_f64_e32 v[50:51], v[42:43], v[64:65]
	v_mul_f64_e32 v[56:57], v[44:45], v[64:65]
	v_fmac_f64_e32 v[52:53], v[10:11], v[58:59]
	v_fma_f64 v[58:59], v[8:9], v[58:59], -v[60:61]
	ds_load_b128 v[8:11], v2 offset:368
	v_add_f64_e32 v[12:13], v[12:13], v[80:81]
	v_add_f64_e32 v[4:5], v[4:5], v[54:55]
	v_fmac_f64_e32 v[50:51], v[44:45], v[62:63]
	v_fma_f64 v[56:57], v[42:43], v[62:63], -v[56:57]
	ds_load_b128 v[42:45], v2 offset:384
	s_wait_loadcnt_dscnt 0x501
	v_mul_f64_e32 v[54:55], v[8:9], v[68:69]
	v_mul_f64_e32 v[60:61], v[10:11], v[68:69]
	v_add_f64_e32 v[12:13], v[12:13], v[52:53]
	v_add_f64_e32 v[4:5], v[4:5], v[58:59]
	s_wait_loadcnt_dscnt 0x400
	v_mul_f64_e32 v[52:53], v[42:43], v[72:73]
	v_mul_f64_e32 v[58:59], v[44:45], v[72:73]
	v_fmac_f64_e32 v[54:55], v[10:11], v[66:67]
	v_fma_f64 v[60:61], v[8:9], v[66:67], -v[60:61]
	ds_load_b128 v[8:11], v2 offset:400
	v_add_f64_e32 v[12:13], v[12:13], v[50:51]
	v_add_f64_e32 v[4:5], v[4:5], v[56:57]
	v_fmac_f64_e32 v[52:53], v[44:45], v[70:71]
	v_fma_f64 v[58:59], v[42:43], v[70:71], -v[58:59]
	ds_load_b128 v[42:45], v2 offset:416
	s_wait_loadcnt_dscnt 0x301
	v_mul_f64_e32 v[50:51], v[8:9], v[76:77]
	v_mul_f64_e32 v[56:57], v[10:11], v[76:77]
	v_add_f64_e32 v[12:13], v[12:13], v[54:55]
	v_add_f64_e32 v[4:5], v[4:5], v[60:61]
	s_wait_loadcnt_dscnt 0x200
	v_mul_f64_e32 v[54:55], v[42:43], v[84:85]
	v_mul_f64_e32 v[60:61], v[44:45], v[84:85]
	v_fmac_f64_e32 v[50:51], v[10:11], v[74:75]
	v_fma_f64 v[8:9], v[8:9], v[74:75], -v[56:57]
	v_add_f64_e32 v[12:13], v[12:13], v[52:53]
	v_add_f64_e32 v[10:11], v[4:5], v[58:59]
	ds_load_b128 v[2:5], v2 offset:432
	v_fmac_f64_e32 v[54:55], v[44:45], v[82:83]
	v_fma_f64 v[42:43], v[42:43], v[82:83], -v[60:61]
	s_wait_loadcnt_dscnt 0x100
	v_mul_f64_e32 v[52:53], v[2:3], v[88:89]
	v_mul_f64_e32 v[56:57], v[4:5], v[88:89]
	v_add_f64_e32 v[8:9], v[10:11], v[8:9]
	v_add_f64_e32 v[10:11], v[12:13], v[50:51]
	s_delay_alu instid0(VALU_DEP_4) | instskip(NEXT) | instid1(VALU_DEP_4)
	v_fmac_f64_e32 v[52:53], v[4:5], v[86:87]
	v_fma_f64 v[2:3], v[2:3], v[86:87], -v[56:57]
	s_delay_alu instid0(VALU_DEP_4) | instskip(NEXT) | instid1(VALU_DEP_4)
	v_add_f64_e32 v[4:5], v[8:9], v[42:43]
	v_add_f64_e32 v[8:9], v[10:11], v[54:55]
	s_delay_alu instid0(VALU_DEP_2) | instskip(NEXT) | instid1(VALU_DEP_2)
	v_add_f64_e32 v[2:3], v[4:5], v[2:3]
	v_add_f64_e32 v[4:5], v[8:9], v[52:53]
	s_wait_loadcnt 0x0
	s_delay_alu instid0(VALU_DEP_2) | instskip(NEXT) | instid1(VALU_DEP_2)
	v_add_f64_e64 v[2:3], v[46:47], -v[2:3]
	v_add_f64_e64 v[4:5], v[48:49], -v[4:5]
	scratch_store_b128 off, v[2:5], off offset:16
	s_wait_xcnt 0x0
	v_cmpx_ne_u32_e32 0, v1
	s_cbranch_execz .LBB13_97
; %bb.96:
	scratch_load_b128 v[2:5], off, off
	v_mov_b32_e32 v8, 0
	s_delay_alu instid0(VALU_DEP_1)
	v_dual_mov_b32 v9, v8 :: v_dual_mov_b32 v10, v8
	v_mov_b32_e32 v11, v8
	scratch_store_b128 off, v[8:11], off
	s_wait_loadcnt 0x0
	ds_store_b128 v6, v[2:5]
.LBB13_97:
	s_wait_xcnt 0x0
	s_or_b32 exec_lo, exec_lo, s2
	s_wait_storecnt_dscnt 0x0
	s_barrier_signal -1
	s_barrier_wait -1
	s_clause 0x8
	scratch_load_b128 v[2:5], off, off offset:16
	scratch_load_b128 v[6:9], off, off offset:32
	;; [unrolled: 1-line block ×9, first 2 shown]
	v_mov_b32_e32 v42, 0
	s_and_b32 vcc_lo, exec_lo, s25
	ds_load_b128 v[68:71], v42 offset:240
	s_clause 0x2
	scratch_load_b128 v[72:75], off, off offset:160
	scratch_load_b128 v[76:79], off, off
	scratch_load_b128 v[84:87], off, off offset:176
	s_wait_loadcnt_dscnt 0xb00
	v_mul_f64_e32 v[88:89], v[70:71], v[4:5]
	ds_load_b128 v[80:83], v42 offset:256
	v_mul_f64_e32 v[90:91], v[68:69], v[4:5]
	s_wait_loadcnt_dscnt 0xa00
	v_mul_f64_e32 v[92:93], v[80:81], v[8:9]
	v_mul_f64_e32 v[8:9], v[82:83], v[8:9]
	v_fma_f64 v[88:89], v[68:69], v[2:3], -v[88:89]
	s_delay_alu instid0(VALU_DEP_4)
	v_fmac_f64_e32 v[90:91], v[70:71], v[2:3]
	ds_load_b128 v[2:5], v42 offset:272
	ds_load_b128 v[68:71], v42 offset:288
	v_fmac_f64_e32 v[92:93], v[82:83], v[6:7]
	s_wait_loadcnt_dscnt 0x901
	v_mul_f64_e32 v[94:95], v[2:3], v[12:13]
	v_fma_f64 v[80:81], v[80:81], v[6:7], -v[8:9]
	v_mul_f64_e32 v[12:13], v[4:5], v[12:13]
	scratch_load_b128 v[6:9], off, off offset:192
	v_fmac_f64_e32 v[94:95], v[4:5], v[10:11]
	v_fma_f64 v[82:83], v[2:3], v[10:11], -v[12:13]
	scratch_load_b128 v[2:5], off, off offset:208
	v_add_f64_e32 v[10:11], 0, v[88:89]
	v_add_f64_e32 v[12:13], 0, v[90:91]
	s_wait_loadcnt_dscnt 0xa00
	v_mul_f64_e32 v[88:89], v[68:69], v[46:47]
	v_mul_f64_e32 v[46:47], v[70:71], v[46:47]
	s_delay_alu instid0(VALU_DEP_4) | instskip(NEXT) | instid1(VALU_DEP_4)
	v_add_f64_e32 v[80:81], v[10:11], v[80:81]
	v_add_f64_e32 v[90:91], v[12:13], v[92:93]
	ds_load_b128 v[10:13], v42 offset:304
	v_fmac_f64_e32 v[88:89], v[70:71], v[44:45]
	v_fma_f64 v[68:69], v[68:69], v[44:45], -v[46:47]
	ds_load_b128 v[44:47], v42 offset:320
	s_wait_loadcnt_dscnt 0x901
	v_mul_f64_e32 v[70:71], v[10:11], v[50:51]
	v_mul_f64_e32 v[50:51], v[12:13], v[50:51]
	v_add_f64_e32 v[80:81], v[80:81], v[82:83]
	v_add_f64_e32 v[82:83], v[90:91], v[94:95]
	s_wait_loadcnt_dscnt 0x800
	v_mul_f64_e32 v[90:91], v[44:45], v[54:55]
	v_mul_f64_e32 v[54:55], v[46:47], v[54:55]
	v_fmac_f64_e32 v[70:71], v[12:13], v[48:49]
	v_fma_f64 v[92:93], v[10:11], v[48:49], -v[50:51]
	ds_load_b128 v[10:13], v42 offset:336
	ds_load_b128 v[48:51], v42 offset:352
	v_add_f64_e32 v[68:69], v[80:81], v[68:69]
	v_add_f64_e32 v[80:81], v[82:83], v[88:89]
	v_fmac_f64_e32 v[90:91], v[46:47], v[52:53]
	v_fma_f64 v[44:45], v[44:45], v[52:53], -v[54:55]
	s_wait_loadcnt_dscnt 0x701
	v_mul_f64_e32 v[82:83], v[10:11], v[58:59]
	v_mul_f64_e32 v[58:59], v[12:13], v[58:59]
	s_wait_loadcnt_dscnt 0x600
	v_mul_f64_e32 v[54:55], v[48:49], v[62:63]
	v_mul_f64_e32 v[62:63], v[50:51], v[62:63]
	v_add_f64_e32 v[46:47], v[68:69], v[92:93]
	v_add_f64_e32 v[52:53], v[80:81], v[70:71]
	v_fmac_f64_e32 v[82:83], v[12:13], v[56:57]
	v_fma_f64 v[56:57], v[10:11], v[56:57], -v[58:59]
	v_fmac_f64_e32 v[54:55], v[50:51], v[60:61]
	v_fma_f64 v[48:49], v[48:49], v[60:61], -v[62:63]
	v_add_f64_e32 v[58:59], v[46:47], v[44:45]
	v_add_f64_e32 v[52:53], v[52:53], v[90:91]
	ds_load_b128 v[10:13], v42 offset:368
	ds_load_b128 v[44:47], v42 offset:384
	s_wait_loadcnt_dscnt 0x501
	v_mul_f64_e32 v[68:69], v[10:11], v[66:67]
	v_mul_f64_e32 v[66:67], v[12:13], v[66:67]
	v_add_f64_e32 v[50:51], v[58:59], v[56:57]
	v_add_f64_e32 v[52:53], v[52:53], v[82:83]
	s_wait_loadcnt_dscnt 0x400
	v_mul_f64_e32 v[56:57], v[44:45], v[74:75]
	v_mul_f64_e32 v[58:59], v[46:47], v[74:75]
	v_fmac_f64_e32 v[68:69], v[12:13], v[64:65]
	v_fma_f64 v[60:61], v[10:11], v[64:65], -v[66:67]
	v_add_f64_e32 v[62:63], v[50:51], v[48:49]
	v_add_f64_e32 v[52:53], v[52:53], v[54:55]
	ds_load_b128 v[10:13], v42 offset:400
	ds_load_b128 v[48:51], v42 offset:416
	v_fmac_f64_e32 v[56:57], v[46:47], v[72:73]
	v_fma_f64 v[44:45], v[44:45], v[72:73], -v[58:59]
	s_wait_loadcnt_dscnt 0x201
	v_mul_f64_e32 v[54:55], v[10:11], v[86:87]
	v_mul_f64_e32 v[64:65], v[12:13], v[86:87]
	v_add_f64_e32 v[46:47], v[62:63], v[60:61]
	v_add_f64_e32 v[52:53], v[52:53], v[68:69]
	s_delay_alu instid0(VALU_DEP_4) | instskip(NEXT) | instid1(VALU_DEP_4)
	v_fmac_f64_e32 v[54:55], v[12:13], v[84:85]
	v_fma_f64 v[12:13], v[10:11], v[84:85], -v[64:65]
	s_wait_loadcnt_dscnt 0x100
	v_mul_f64_e32 v[58:59], v[48:49], v[8:9]
	v_mul_f64_e32 v[60:61], v[50:51], v[8:9]
	v_add_f64_e32 v[44:45], v[46:47], v[44:45]
	v_add_f64_e32 v[46:47], v[52:53], v[56:57]
	ds_load_b128 v[8:11], v42 offset:432
	s_wait_loadcnt_dscnt 0x0
	v_mul_f64_e32 v[52:53], v[8:9], v[4:5]
	v_mul_f64_e32 v[4:5], v[10:11], v[4:5]
	v_fmac_f64_e32 v[58:59], v[50:51], v[6:7]
	v_fma_f64 v[6:7], v[48:49], v[6:7], -v[60:61]
	v_add_f64_e32 v[12:13], v[44:45], v[12:13]
	v_add_f64_e32 v[44:45], v[46:47], v[54:55]
	v_fmac_f64_e32 v[52:53], v[10:11], v[2:3]
	v_fma_f64 v[2:3], v[8:9], v[2:3], -v[4:5]
	v_lshl_add_u64 v[8:9], v[24:25], 4, s[4:5]
	v_lshl_add_u64 v[10:11], v[26:27], 4, s[4:5]
	v_add_f64_e32 v[4:5], v[12:13], v[6:7]
	v_add_f64_e32 v[6:7], v[44:45], v[58:59]
	v_lshl_add_u64 v[12:13], v[28:29], 4, s[4:5]
	v_lshl_add_u64 v[24:25], v[36:37], 4, s[4:5]
	;; [unrolled: 1-line block ×4, first 2 shown]
	v_add_f64_e32 v[2:3], v[4:5], v[2:3]
	v_add_f64_e32 v[4:5], v[6:7], v[52:53]
	v_lshl_add_u64 v[6:7], v[22:23], 4, s[4:5]
	v_lshl_add_u64 v[22:23], v[34:35], 4, s[4:5]
	s_delay_alu instid0(VALU_DEP_4) | instskip(NEXT) | instid1(VALU_DEP_4)
	v_add_f64_e64 v[44:45], v[76:77], -v[2:3]
	v_add_f64_e64 v[46:47], v[78:79], -v[4:5]
	v_lshl_add_u64 v[2:3], v[18:19], 4, s[4:5]
	v_lshl_add_u64 v[4:5], v[20:21], 4, s[4:5]
	v_lshl_add_u64 v[18:19], v[30:31], 4, s[4:5]
	v_lshl_add_u64 v[20:21], v[32:33], 4, s[4:5]
	scratch_store_b128 off, v[44:47], off
	s_cbranch_vccz .LBB13_124
; %bb.98:
	global_load_b32 v30, v42, s[16:17] offset:48
	s_load_b64 s[2:3], s[0:1], 0x4
	v_bfe_u32 v31, v0, 10, 10
	v_bfe_u32 v0, v0, 20, 10
	s_wait_kmcnt 0x0
	s_lshr_b32 s0, s2, 16
	s_delay_alu instid0(VALU_DEP_2) | instskip(SKIP_1) | instid1(SALU_CYCLE_1)
	v_mul_u32_u24_e32 v31, s3, v31
	s_mul_i32 s0, s0, s3
	v_mul_u32_u24_e32 v1, s0, v1
	s_delay_alu instid0(VALU_DEP_1) | instskip(NEXT) | instid1(VALU_DEP_1)
	v_add3_u32 v0, v1, v31, v0
	v_lshl_add_u32 v0, v0, 4, 0x1c8
	s_wait_loadcnt 0x0
	v_cmp_ne_u32_e32 vcc_lo, 13, v30
	s_cbranch_vccz .LBB13_100
; %bb.99:
	v_lshlrev_b32_e32 v1, 4, v30
	s_clause 0x1
	scratch_load_b128 v[30:33], off, s23
	scratch_load_b128 v[34:37], v1, off offset:-16
	s_wait_loadcnt 0x1
	ds_store_2addr_b64 v0, v[30:31], v[32:33] offset1:1
	s_wait_loadcnt 0x0
	s_clause 0x1
	scratch_store_b128 off, v[34:37], s23
	scratch_store_b128 v1, v[30:33], off offset:-16
.LBB13_100:
	s_wait_xcnt 0x0
	v_mov_b32_e32 v1, 0
	global_load_b32 v30, v1, s[16:17] offset:44
	s_wait_loadcnt 0x0
	v_cmp_eq_u32_e32 vcc_lo, 12, v30
	s_cbranch_vccnz .LBB13_102
; %bb.101:
	v_lshlrev_b32_e32 v30, 4, v30
	s_delay_alu instid0(VALU_DEP_1)
	v_mov_b32_e32 v38, v30
	s_clause 0x1
	scratch_load_b128 v[30:33], off, s22
	scratch_load_b128 v[34:37], v38, off offset:-16
	s_wait_loadcnt 0x1
	ds_store_2addr_b64 v0, v[30:31], v[32:33] offset1:1
	s_wait_loadcnt 0x0
	s_clause 0x1
	scratch_store_b128 off, v[34:37], s22
	scratch_store_b128 v38, v[30:33], off offset:-16
.LBB13_102:
	global_load_b32 v1, v1, s[16:17] offset:40
	s_wait_loadcnt 0x0
	v_cmp_eq_u32_e32 vcc_lo, 11, v1
	s_cbranch_vccnz .LBB13_104
; %bb.103:
	s_wait_xcnt 0x0
	v_lshlrev_b32_e32 v1, 4, v1
	s_clause 0x1
	scratch_load_b128 v[30:33], off, s21
	scratch_load_b128 v[34:37], v1, off offset:-16
	s_wait_loadcnt 0x1
	ds_store_2addr_b64 v0, v[30:31], v[32:33] offset1:1
	s_wait_loadcnt 0x0
	s_clause 0x1
	scratch_store_b128 off, v[34:37], s21
	scratch_store_b128 v1, v[30:33], off offset:-16
.LBB13_104:
	s_wait_xcnt 0x0
	v_mov_b32_e32 v1, 0
	global_load_b32 v30, v1, s[16:17] offset:36
	s_wait_loadcnt 0x0
	v_cmp_eq_u32_e32 vcc_lo, 10, v30
	s_cbranch_vccnz .LBB13_106
; %bb.105:
	v_lshlrev_b32_e32 v30, 4, v30
	s_delay_alu instid0(VALU_DEP_1)
	v_mov_b32_e32 v38, v30
	s_clause 0x1
	scratch_load_b128 v[30:33], off, s15
	scratch_load_b128 v[34:37], v38, off offset:-16
	s_wait_loadcnt 0x1
	ds_store_2addr_b64 v0, v[30:31], v[32:33] offset1:1
	s_wait_loadcnt 0x0
	s_clause 0x1
	scratch_store_b128 off, v[34:37], s15
	scratch_store_b128 v38, v[30:33], off offset:-16
.LBB13_106:
	global_load_b32 v1, v1, s[16:17] offset:32
	s_wait_loadcnt 0x0
	v_cmp_eq_u32_e32 vcc_lo, 9, v1
	s_cbranch_vccnz .LBB13_108
; %bb.107:
	s_wait_xcnt 0x0
	v_lshlrev_b32_e32 v1, 4, v1
	s_clause 0x1
	scratch_load_b128 v[30:33], off, s13
	scratch_load_b128 v[34:37], v1, off offset:-16
	s_wait_loadcnt 0x1
	ds_store_2addr_b64 v0, v[30:31], v[32:33] offset1:1
	s_wait_loadcnt 0x0
	s_clause 0x1
	scratch_store_b128 off, v[34:37], s13
	scratch_store_b128 v1, v[30:33], off offset:-16
.LBB13_108:
	;; [unrolled: 37-line block ×5, first 2 shown]
	s_wait_xcnt 0x0
	v_mov_b32_e32 v1, 0
	global_load_b32 v30, v1, s[16:17] offset:4
	s_wait_loadcnt 0x0
	v_cmp_eq_u32_e32 vcc_lo, 2, v30
	s_cbranch_vccnz .LBB13_122
; %bb.121:
	v_lshlrev_b32_e32 v30, 4, v30
	s_delay_alu instid0(VALU_DEP_1)
	v_mov_b32_e32 v38, v30
	s_clause 0x1
	scratch_load_b128 v[30:33], off, s11
	scratch_load_b128 v[34:37], v38, off offset:-16
	s_wait_loadcnt 0x1
	ds_store_2addr_b64 v0, v[30:31], v[32:33] offset1:1
	s_wait_loadcnt 0x0
	s_clause 0x1
	scratch_store_b128 off, v[34:37], s11
	scratch_store_b128 v38, v[30:33], off offset:-16
.LBB13_122:
	global_load_b32 v1, v1, s[16:17]
	s_wait_loadcnt 0x0
	v_cmp_eq_u32_e32 vcc_lo, 1, v1
	s_cbranch_vccnz .LBB13_124
; %bb.123:
	s_wait_xcnt 0x0
	v_lshlrev_b32_e32 v1, 4, v1
	scratch_load_b128 v[30:33], off, off
	scratch_load_b128 v[34:37], v1, off offset:-16
	s_wait_loadcnt 0x1
	ds_store_2addr_b64 v0, v[30:31], v[32:33] offset1:1
	s_wait_loadcnt 0x0
	scratch_store_b128 off, v[34:37], off
	scratch_store_b128 v1, v[30:33], off offset:-16
.LBB13_124:
	scratch_load_b128 v[30:33], off, off
	s_clause 0xc
	scratch_load_b128 v[34:37], off, s11
	scratch_load_b128 v[38:41], off, s8
	;; [unrolled: 1-line block ×13, first 2 shown]
	s_wait_loadcnt 0xd
	global_store_b128 v[14:15], v[30:33], off
	s_wait_loadcnt 0xc
	global_store_b128 v[16:17], v[34:37], off
	;; [unrolled: 2-line block ×14, first 2 shown]
	s_sendmsg sendmsg(MSG_DEALLOC_VGPRS)
	s_endpgm
	.section	.rodata,"a",@progbits
	.p2align	6, 0x0
	.amdhsa_kernel _ZN9rocsolver6v33100L18getri_kernel_smallILi14E19rocblas_complex_numIdEPS3_EEvT1_iilPiilS6_bb
		.amdhsa_group_segment_fixed_size 1480
		.amdhsa_private_segment_fixed_size 240
		.amdhsa_kernarg_size 60
		.amdhsa_user_sgpr_count 4
		.amdhsa_user_sgpr_dispatch_ptr 1
		.amdhsa_user_sgpr_queue_ptr 0
		.amdhsa_user_sgpr_kernarg_segment_ptr 1
		.amdhsa_user_sgpr_dispatch_id 0
		.amdhsa_user_sgpr_kernarg_preload_length 0
		.amdhsa_user_sgpr_kernarg_preload_offset 0
		.amdhsa_user_sgpr_private_segment_size 0
		.amdhsa_wavefront_size32 1
		.amdhsa_uses_dynamic_stack 0
		.amdhsa_enable_private_segment 1
		.amdhsa_system_sgpr_workgroup_id_x 1
		.amdhsa_system_sgpr_workgroup_id_y 0
		.amdhsa_system_sgpr_workgroup_id_z 0
		.amdhsa_system_sgpr_workgroup_info 0
		.amdhsa_system_vgpr_workitem_id 2
		.amdhsa_next_free_vgpr 96
		.amdhsa_next_free_sgpr 29
		.amdhsa_named_barrier_count 0
		.amdhsa_reserve_vcc 1
		.amdhsa_float_round_mode_32 0
		.amdhsa_float_round_mode_16_64 0
		.amdhsa_float_denorm_mode_32 3
		.amdhsa_float_denorm_mode_16_64 3
		.amdhsa_fp16_overflow 0
		.amdhsa_memory_ordered 1
		.amdhsa_forward_progress 1
		.amdhsa_inst_pref_size 109
		.amdhsa_round_robin_scheduling 0
		.amdhsa_exception_fp_ieee_invalid_op 0
		.amdhsa_exception_fp_denorm_src 0
		.amdhsa_exception_fp_ieee_div_zero 0
		.amdhsa_exception_fp_ieee_overflow 0
		.amdhsa_exception_fp_ieee_underflow 0
		.amdhsa_exception_fp_ieee_inexact 0
		.amdhsa_exception_int_div_zero 0
	.end_amdhsa_kernel
	.section	.text._ZN9rocsolver6v33100L18getri_kernel_smallILi14E19rocblas_complex_numIdEPS3_EEvT1_iilPiilS6_bb,"axG",@progbits,_ZN9rocsolver6v33100L18getri_kernel_smallILi14E19rocblas_complex_numIdEPS3_EEvT1_iilPiilS6_bb,comdat
.Lfunc_end13:
	.size	_ZN9rocsolver6v33100L18getri_kernel_smallILi14E19rocblas_complex_numIdEPS3_EEvT1_iilPiilS6_bb, .Lfunc_end13-_ZN9rocsolver6v33100L18getri_kernel_smallILi14E19rocblas_complex_numIdEPS3_EEvT1_iilPiilS6_bb
                                        ; -- End function
	.set _ZN9rocsolver6v33100L18getri_kernel_smallILi14E19rocblas_complex_numIdEPS3_EEvT1_iilPiilS6_bb.num_vgpr, 96
	.set _ZN9rocsolver6v33100L18getri_kernel_smallILi14E19rocblas_complex_numIdEPS3_EEvT1_iilPiilS6_bb.num_agpr, 0
	.set _ZN9rocsolver6v33100L18getri_kernel_smallILi14E19rocblas_complex_numIdEPS3_EEvT1_iilPiilS6_bb.numbered_sgpr, 29
	.set _ZN9rocsolver6v33100L18getri_kernel_smallILi14E19rocblas_complex_numIdEPS3_EEvT1_iilPiilS6_bb.num_named_barrier, 0
	.set _ZN9rocsolver6v33100L18getri_kernel_smallILi14E19rocblas_complex_numIdEPS3_EEvT1_iilPiilS6_bb.private_seg_size, 240
	.set _ZN9rocsolver6v33100L18getri_kernel_smallILi14E19rocblas_complex_numIdEPS3_EEvT1_iilPiilS6_bb.uses_vcc, 1
	.set _ZN9rocsolver6v33100L18getri_kernel_smallILi14E19rocblas_complex_numIdEPS3_EEvT1_iilPiilS6_bb.uses_flat_scratch, 1
	.set _ZN9rocsolver6v33100L18getri_kernel_smallILi14E19rocblas_complex_numIdEPS3_EEvT1_iilPiilS6_bb.has_dyn_sized_stack, 0
	.set _ZN9rocsolver6v33100L18getri_kernel_smallILi14E19rocblas_complex_numIdEPS3_EEvT1_iilPiilS6_bb.has_recursion, 0
	.set _ZN9rocsolver6v33100L18getri_kernel_smallILi14E19rocblas_complex_numIdEPS3_EEvT1_iilPiilS6_bb.has_indirect_call, 0
	.section	.AMDGPU.csdata,"",@progbits
; Kernel info:
; codeLenInByte = 13872
; TotalNumSgprs: 31
; NumVgprs: 96
; ScratchSize: 240
; MemoryBound: 0
; FloatMode: 240
; IeeeMode: 1
; LDSByteSize: 1480 bytes/workgroup (compile time only)
; SGPRBlocks: 0
; VGPRBlocks: 5
; NumSGPRsForWavesPerEU: 31
; NumVGPRsForWavesPerEU: 96
; NamedBarCnt: 0
; Occupancy: 10
; WaveLimiterHint : 1
; COMPUTE_PGM_RSRC2:SCRATCH_EN: 1
; COMPUTE_PGM_RSRC2:USER_SGPR: 4
; COMPUTE_PGM_RSRC2:TRAP_HANDLER: 0
; COMPUTE_PGM_RSRC2:TGID_X_EN: 1
; COMPUTE_PGM_RSRC2:TGID_Y_EN: 0
; COMPUTE_PGM_RSRC2:TGID_Z_EN: 0
; COMPUTE_PGM_RSRC2:TIDIG_COMP_CNT: 2
	.section	.text._ZN9rocsolver6v33100L18getri_kernel_smallILi15E19rocblas_complex_numIdEPS3_EEvT1_iilPiilS6_bb,"axG",@progbits,_ZN9rocsolver6v33100L18getri_kernel_smallILi15E19rocblas_complex_numIdEPS3_EEvT1_iilPiilS6_bb,comdat
	.globl	_ZN9rocsolver6v33100L18getri_kernel_smallILi15E19rocblas_complex_numIdEPS3_EEvT1_iilPiilS6_bb ; -- Begin function _ZN9rocsolver6v33100L18getri_kernel_smallILi15E19rocblas_complex_numIdEPS3_EEvT1_iilPiilS6_bb
	.p2align	8
	.type	_ZN9rocsolver6v33100L18getri_kernel_smallILi15E19rocblas_complex_numIdEPS3_EEvT1_iilPiilS6_bb,@function
_ZN9rocsolver6v33100L18getri_kernel_smallILi15E19rocblas_complex_numIdEPS3_EEvT1_iilPiilS6_bb: ; @_ZN9rocsolver6v33100L18getri_kernel_smallILi15E19rocblas_complex_numIdEPS3_EEvT1_iilPiilS6_bb
; %bb.0:
	v_and_b32_e32 v1, 0x3ff, v0
	s_mov_b32 s4, exec_lo
	s_delay_alu instid0(VALU_DEP_1)
	v_cmpx_gt_u32_e32 15, v1
	s_cbranch_execz .LBB14_74
; %bb.1:
	s_clause 0x2
	s_load_b32 s8, s[2:3], 0x38
	s_load_b128 s[12:15], s[2:3], 0x10
	s_load_b128 s[4:7], s[2:3], 0x28
	s_getreg_b32 s11, hwreg(HW_REG_IB_STS2, 6, 4)
                                        ; implicit-def: $sgpr16_sgpr17
	s_wait_kmcnt 0x0
	s_bitcmp1_b32 s8, 8
	s_cselect_b32 s26, -1, 0
	s_bfe_u32 s9, ttmp6, 0x4000c
	s_and_b32 s10, ttmp6, 15
	s_add_co_i32 s9, s9, 1
	s_delay_alu instid0(SALU_CYCLE_1) | instskip(NEXT) | instid1(SALU_CYCLE_1)
	s_mul_i32 s9, ttmp9, s9
	s_add_co_i32 s10, s10, s9
	s_cmp_eq_u32 s11, 0
	s_cselect_b32 s18, ttmp9, s10
	s_bfe_u32 s8, s8, 0x10008
	s_ashr_i32 s19, s18, 31
	s_cmp_eq_u32 s8, 0
	s_cbranch_scc1 .LBB14_3
; %bb.2:
	s_load_b32 s8, s[2:3], 0x20
	s_mul_u64 s[4:5], s[4:5], s[18:19]
	s_delay_alu instid0(SALU_CYCLE_1) | instskip(NEXT) | instid1(SALU_CYCLE_1)
	s_lshl_b64 s[4:5], s[4:5], 2
	s_add_nc_u64 s[4:5], s[14:15], s[4:5]
	s_wait_kmcnt 0x0
	s_ashr_i32 s9, s8, 31
	s_delay_alu instid0(SALU_CYCLE_1) | instskip(NEXT) | instid1(SALU_CYCLE_1)
	s_lshl_b64 s[8:9], s[8:9], 2
	s_add_nc_u64 s[16:17], s[4:5], s[8:9]
.LBB14_3:
	s_clause 0x1
	s_load_b128 s[8:11], s[2:3], 0x0
	s_load_b32 s27, s[2:3], 0x38
	s_wait_xcnt 0x0
	s_mul_u64 s[2:3], s[12:13], s[18:19]
	s_movk_i32 s12, 0x50
	s_lshl_b64 s[2:3], s[2:3], 4
	s_movk_i32 s15, 0x60
	s_movk_i32 s20, 0x70
	;; [unrolled: 1-line block ×9, first 2 shown]
	v_lshlrev_b32_e32 v44, 4, v1
	s_wait_kmcnt 0x0
	v_add3_u32 v18, s11, s11, v1
	s_ashr_i32 s5, s10, 31
	s_mov_b32 s4, s10
	s_add_nc_u64 s[2:3], s[8:9], s[2:3]
	s_lshl_b64 s[4:5], s[4:5], 4
	v_dual_mov_b32 v45, 0 :: v_dual_add_nc_u32 v20, s11, v18
	s_add_nc_u64 s[4:5], s[2:3], s[4:5]
	s_ashr_i32 s3, s11, 31
	s_mov_b32 s2, s11
	s_delay_alu instid0(VALU_DEP_1)
	v_add_nc_u32_e32 v22, s11, v20
	v_add_nc_u64_e32 v[14:15], s[4:5], v[44:45]
	s_clause 0x1
	global_load_b128 v[2:5], v18, s[4:5] scale_offset
	global_load_b128 v[6:9], v20, s[4:5] scale_offset
	s_mov_b32 s8, 32
	s_mov_b32 s9, 48
	v_add_nc_u32_e32 v24, s11, v22
	s_mov_b32 s10, 64
	s_bitcmp0_b32 s27, 0
	v_lshl_add_u64 v[16:17], s[2:3], 4, v[14:15]
	s_mov_b32 s3, -1
	v_add_nc_u32_e32 v26, s11, v24
	s_delay_alu instid0(VALU_DEP_1) | instskip(NEXT) | instid1(VALU_DEP_1)
	v_add_nc_u32_e32 v28, s11, v26
	v_add_nc_u32_e32 v30, s11, v28
	s_clause 0x3
	global_load_b128 v[10:13], v1, s[4:5] scale_offset
	global_load_b128 v[46:49], v[16:17], off
	global_load_b128 v[50:53], v22, s[4:5] scale_offset
	global_load_b128 v[54:57], v24, s[4:5] scale_offset
	v_add_nc_u32_e32 v32, s11, v30
	s_delay_alu instid0(VALU_DEP_1)
	v_add_nc_u32_e32 v34, s11, v32
	s_clause 0x3
	global_load_b128 v[58:61], v26, s[4:5] scale_offset
	global_load_b128 v[62:65], v28, s[4:5] scale_offset
	;; [unrolled: 1-line block ×4, first 2 shown]
	v_add_nc_u32_e32 v36, s11, v34
	s_delay_alu instid0(VALU_DEP_1) | instskip(NEXT) | instid1(VALU_DEP_1)
	v_add_nc_u32_e32 v38, s11, v36
	v_add_nc_u32_e32 v40, s11, v38
	s_delay_alu instid0(VALU_DEP_1)
	v_add_nc_u32_e32 v42, s11, v40
	s_clause 0x1
	global_load_b128 v[74:77], v34, s[4:5] scale_offset
	global_load_b128 v[78:81], v36, s[4:5] scale_offset
	s_mov_b32 s11, 16
	s_clause 0x2
	global_load_b128 v[82:85], v38, s[4:5] scale_offset
	global_load_b128 v[86:89], v40, s[4:5] scale_offset
	;; [unrolled: 1-line block ×3, first 2 shown]
	s_wait_loadcnt 0xe
	scratch_store_b128 off, v[2:5], off offset:32
	s_wait_loadcnt 0xd
	scratch_store_b128 off, v[6:9], off offset:48
	s_wait_loadcnt 0xc
	scratch_store_b128 off, v[10:13], off
	s_wait_loadcnt 0xb
	scratch_store_b128 off, v[46:49], off offset:16
	s_wait_loadcnt 0xa
	scratch_store_b128 off, v[50:53], off offset:64
	;; [unrolled: 2-line block ×12, first 2 shown]
	s_cbranch_scc1 .LBB14_72
; %bb.4:
	v_cmp_eq_u32_e64 s2, 0, v1
	s_wait_xcnt 0x0
	s_and_saveexec_b32 s3, s2
; %bb.5:
	v_mov_b32_e32 v2, 0
	ds_store_b32 v2, v2 offset:480
; %bb.6:
	s_or_b32 exec_lo, exec_lo, s3
	s_wait_storecnt_dscnt 0x0
	s_barrier_signal -1
	s_barrier_wait -1
	scratch_load_b128 v[2:5], v1, off scale_offset
	s_wait_loadcnt 0x0
	v_cmp_eq_f64_e32 vcc_lo, 0, v[2:3]
	v_cmp_eq_f64_e64 s3, 0, v[4:5]
	s_and_b32 s3, vcc_lo, s3
	s_delay_alu instid0(SALU_CYCLE_1)
	s_and_saveexec_b32 s27, s3
	s_cbranch_execz .LBB14_10
; %bb.7:
	v_mov_b32_e32 v2, 0
	s_mov_b32 s28, 0
	ds_load_b32 v3, v2 offset:480
	s_wait_dscnt 0x0
	v_readfirstlane_b32 s3, v3
	v_add_nc_u32_e32 v3, 1, v1
	s_cmp_eq_u32 s3, 0
	s_delay_alu instid0(VALU_DEP_1) | instskip(SKIP_1) | instid1(SALU_CYCLE_1)
	v_cmp_gt_i32_e32 vcc_lo, s3, v3
	s_cselect_b32 s29, -1, 0
	s_or_b32 s29, s29, vcc_lo
	s_delay_alu instid0(SALU_CYCLE_1)
	s_and_b32 exec_lo, exec_lo, s29
	s_cbranch_execz .LBB14_10
; %bb.8:
	v_mov_b32_e32 v4, s3
.LBB14_9:                               ; =>This Inner Loop Header: Depth=1
	ds_cmpstore_rtn_b32 v4, v2, v3, v4 offset:480
	s_wait_dscnt 0x0
	v_cmp_ne_u32_e32 vcc_lo, 0, v4
	v_cmp_le_i32_e64 s3, v4, v3
	s_and_b32 s3, vcc_lo, s3
	s_delay_alu instid0(SALU_CYCLE_1) | instskip(NEXT) | instid1(SALU_CYCLE_1)
	s_and_b32 s3, exec_lo, s3
	s_or_b32 s28, s3, s28
	s_delay_alu instid0(SALU_CYCLE_1)
	s_and_not1_b32 exec_lo, exec_lo, s28
	s_cbranch_execnz .LBB14_9
.LBB14_10:
	s_or_b32 exec_lo, exec_lo, s27
	v_mov_b32_e32 v2, 0
	s_barrier_signal -1
	s_barrier_wait -1
	ds_load_b32 v3, v2 offset:480
	s_and_saveexec_b32 s3, s2
	s_cbranch_execz .LBB14_12
; %bb.11:
	s_lshl_b64 s[28:29], s[18:19], 2
	s_delay_alu instid0(SALU_CYCLE_1)
	s_add_nc_u64 s[28:29], s[6:7], s[28:29]
	s_wait_dscnt 0x0
	global_store_b32 v2, v3, s[28:29]
.LBB14_12:
	s_wait_xcnt 0x0
	s_or_b32 exec_lo, exec_lo, s3
	s_wait_dscnt 0x0
	v_cmp_ne_u32_e32 vcc_lo, 0, v3
	s_mov_b32 s3, 0
	s_cbranch_vccnz .LBB14_72
; %bb.13:
	v_lshl_add_u32 v19, v1, 4, 0
                                        ; implicit-def: $vgpr6_vgpr7
                                        ; implicit-def: $vgpr10_vgpr11
	scratch_load_b128 v[2:5], v19, off
	s_wait_loadcnt 0x0
	v_cmp_ngt_f64_e64 s3, |v[2:3]|, |v[4:5]|
	s_wait_xcnt 0x0
	s_and_saveexec_b32 s27, s3
	s_delay_alu instid0(SALU_CYCLE_1)
	s_xor_b32 s3, exec_lo, s27
	s_cbranch_execz .LBB14_15
; %bb.14:
	v_div_scale_f64 v[6:7], null, v[4:5], v[4:5], v[2:3]
	v_div_scale_f64 v[12:13], vcc_lo, v[2:3], v[4:5], v[2:3]
	s_delay_alu instid0(VALU_DEP_2) | instskip(SKIP_1) | instid1(TRANS32_DEP_1)
	v_rcp_f64_e32 v[8:9], v[6:7]
	v_nop
	v_fma_f64 v[10:11], -v[6:7], v[8:9], 1.0
	s_delay_alu instid0(VALU_DEP_1) | instskip(NEXT) | instid1(VALU_DEP_1)
	v_fmac_f64_e32 v[8:9], v[8:9], v[10:11]
	v_fma_f64 v[10:11], -v[6:7], v[8:9], 1.0
	s_delay_alu instid0(VALU_DEP_1) | instskip(NEXT) | instid1(VALU_DEP_1)
	v_fmac_f64_e32 v[8:9], v[8:9], v[10:11]
	v_mul_f64_e32 v[10:11], v[12:13], v[8:9]
	s_delay_alu instid0(VALU_DEP_1) | instskip(NEXT) | instid1(VALU_DEP_1)
	v_fma_f64 v[6:7], -v[6:7], v[10:11], v[12:13]
	v_div_fmas_f64 v[6:7], v[6:7], v[8:9], v[10:11]
	s_delay_alu instid0(VALU_DEP_1) | instskip(NEXT) | instid1(VALU_DEP_1)
	v_div_fixup_f64 v[6:7], v[6:7], v[4:5], v[2:3]
	v_fmac_f64_e32 v[4:5], v[2:3], v[6:7]
	s_delay_alu instid0(VALU_DEP_1) | instskip(SKIP_1) | instid1(VALU_DEP_2)
	v_div_scale_f64 v[2:3], null, v[4:5], v[4:5], 1.0
	v_div_scale_f64 v[12:13], vcc_lo, 1.0, v[4:5], 1.0
	v_rcp_f64_e32 v[8:9], v[2:3]
	v_nop
	s_delay_alu instid0(TRANS32_DEP_1) | instskip(NEXT) | instid1(VALU_DEP_1)
	v_fma_f64 v[10:11], -v[2:3], v[8:9], 1.0
	v_fmac_f64_e32 v[8:9], v[8:9], v[10:11]
	s_delay_alu instid0(VALU_DEP_1) | instskip(NEXT) | instid1(VALU_DEP_1)
	v_fma_f64 v[10:11], -v[2:3], v[8:9], 1.0
	v_fmac_f64_e32 v[8:9], v[8:9], v[10:11]
	s_delay_alu instid0(VALU_DEP_1) | instskip(NEXT) | instid1(VALU_DEP_1)
	v_mul_f64_e32 v[10:11], v[12:13], v[8:9]
	v_fma_f64 v[2:3], -v[2:3], v[10:11], v[12:13]
	s_delay_alu instid0(VALU_DEP_1) | instskip(NEXT) | instid1(VALU_DEP_1)
	v_div_fmas_f64 v[2:3], v[2:3], v[8:9], v[10:11]
	v_div_fixup_f64 v[8:9], v[2:3], v[4:5], 1.0
                                        ; implicit-def: $vgpr2_vgpr3
	s_delay_alu instid0(VALU_DEP_1) | instskip(SKIP_1) | instid1(VALU_DEP_2)
	v_mul_f64_e32 v[6:7], v[6:7], v[8:9]
	v_xor_b32_e32 v9, 0x80000000, v9
	v_xor_b32_e32 v11, 0x80000000, v7
	s_delay_alu instid0(VALU_DEP_3)
	v_mov_b32_e32 v10, v6
.LBB14_15:
	s_and_not1_saveexec_b32 s3, s3
	s_cbranch_execz .LBB14_17
; %bb.16:
	v_div_scale_f64 v[6:7], null, v[2:3], v[2:3], v[4:5]
	v_div_scale_f64 v[12:13], vcc_lo, v[4:5], v[2:3], v[4:5]
	s_delay_alu instid0(VALU_DEP_2) | instskip(SKIP_1) | instid1(TRANS32_DEP_1)
	v_rcp_f64_e32 v[8:9], v[6:7]
	v_nop
	v_fma_f64 v[10:11], -v[6:7], v[8:9], 1.0
	s_delay_alu instid0(VALU_DEP_1) | instskip(NEXT) | instid1(VALU_DEP_1)
	v_fmac_f64_e32 v[8:9], v[8:9], v[10:11]
	v_fma_f64 v[10:11], -v[6:7], v[8:9], 1.0
	s_delay_alu instid0(VALU_DEP_1) | instskip(NEXT) | instid1(VALU_DEP_1)
	v_fmac_f64_e32 v[8:9], v[8:9], v[10:11]
	v_mul_f64_e32 v[10:11], v[12:13], v[8:9]
	s_delay_alu instid0(VALU_DEP_1) | instskip(NEXT) | instid1(VALU_DEP_1)
	v_fma_f64 v[6:7], -v[6:7], v[10:11], v[12:13]
	v_div_fmas_f64 v[6:7], v[6:7], v[8:9], v[10:11]
	s_delay_alu instid0(VALU_DEP_1) | instskip(NEXT) | instid1(VALU_DEP_1)
	v_div_fixup_f64 v[8:9], v[6:7], v[2:3], v[4:5]
	v_fmac_f64_e32 v[2:3], v[4:5], v[8:9]
	s_delay_alu instid0(VALU_DEP_1) | instskip(NEXT) | instid1(VALU_DEP_1)
	v_div_scale_f64 v[4:5], null, v[2:3], v[2:3], 1.0
	v_rcp_f64_e32 v[6:7], v[4:5]
	v_nop
	s_delay_alu instid0(TRANS32_DEP_1) | instskip(NEXT) | instid1(VALU_DEP_1)
	v_fma_f64 v[10:11], -v[4:5], v[6:7], 1.0
	v_fmac_f64_e32 v[6:7], v[6:7], v[10:11]
	s_delay_alu instid0(VALU_DEP_1) | instskip(NEXT) | instid1(VALU_DEP_1)
	v_fma_f64 v[10:11], -v[4:5], v[6:7], 1.0
	v_fmac_f64_e32 v[6:7], v[6:7], v[10:11]
	v_div_scale_f64 v[10:11], vcc_lo, 1.0, v[2:3], 1.0
	s_delay_alu instid0(VALU_DEP_1) | instskip(NEXT) | instid1(VALU_DEP_1)
	v_mul_f64_e32 v[12:13], v[10:11], v[6:7]
	v_fma_f64 v[4:5], -v[4:5], v[12:13], v[10:11]
	s_delay_alu instid0(VALU_DEP_1) | instskip(NEXT) | instid1(VALU_DEP_1)
	v_div_fmas_f64 v[4:5], v[4:5], v[6:7], v[12:13]
	v_div_fixup_f64 v[6:7], v[4:5], v[2:3], 1.0
	s_delay_alu instid0(VALU_DEP_1)
	v_mul_f64_e64 v[8:9], v[8:9], -v[6:7]
	v_xor_b32_e32 v11, 0x80000000, v7
	v_mov_b32_e32 v10, v6
.LBB14_17:
	s_or_b32 exec_lo, exec_lo, s3
	s_clause 0x1
	scratch_store_b128 v19, v[6:9], off
	scratch_load_b128 v[2:5], off, s11
	v_xor_b32_e32 v13, 0x80000000, v9
	v_mov_b32_e32 v12, v8
	s_wait_xcnt 0x1
	v_add_nc_u32_e32 v6, 0xf0, v44
	ds_store_b128 v44, v[10:13]
	s_wait_loadcnt 0x0
	ds_store_b128 v44, v[2:5] offset:240
	s_wait_storecnt_dscnt 0x0
	s_barrier_signal -1
	s_barrier_wait -1
	s_wait_xcnt 0x0
	s_and_saveexec_b32 s3, s2
	s_cbranch_execz .LBB14_19
; %bb.18:
	scratch_load_b128 v[2:5], v19, off
	ds_load_b128 v[8:11], v6
	v_mov_b32_e32 v7, 0
	ds_load_b128 v[46:49], v7 offset:16
	s_wait_loadcnt_dscnt 0x1
	v_mul_f64_e32 v[12:13], v[8:9], v[4:5]
	v_mul_f64_e32 v[4:5], v[10:11], v[4:5]
	s_delay_alu instid0(VALU_DEP_2) | instskip(NEXT) | instid1(VALU_DEP_2)
	v_fmac_f64_e32 v[12:13], v[10:11], v[2:3]
	v_fma_f64 v[2:3], v[8:9], v[2:3], -v[4:5]
	s_delay_alu instid0(VALU_DEP_2) | instskip(NEXT) | instid1(VALU_DEP_2)
	v_add_f64_e32 v[8:9], 0, v[12:13]
	v_add_f64_e32 v[2:3], 0, v[2:3]
	s_wait_dscnt 0x0
	s_delay_alu instid0(VALU_DEP_2) | instskip(NEXT) | instid1(VALU_DEP_2)
	v_mul_f64_e32 v[10:11], v[8:9], v[48:49]
	v_mul_f64_e32 v[4:5], v[2:3], v[48:49]
	s_delay_alu instid0(VALU_DEP_2) | instskip(NEXT) | instid1(VALU_DEP_2)
	v_fma_f64 v[2:3], v[2:3], v[46:47], -v[10:11]
	v_fmac_f64_e32 v[4:5], v[8:9], v[46:47]
	scratch_store_b128 off, v[2:5], off offset:16
.LBB14_19:
	s_wait_xcnt 0x0
	s_or_b32 exec_lo, exec_lo, s3
	s_wait_storecnt 0x0
	s_barrier_signal -1
	s_barrier_wait -1
	scratch_load_b128 v[2:5], off, s8
	s_mov_b32 s3, exec_lo
	s_wait_loadcnt 0x0
	ds_store_b128 v6, v[2:5]
	s_wait_dscnt 0x0
	s_barrier_signal -1
	s_barrier_wait -1
	v_cmpx_gt_u32_e32 2, v1
	s_cbranch_execz .LBB14_23
; %bb.20:
	scratch_load_b128 v[2:5], v19, off
	ds_load_b128 v[8:11], v6
	s_wait_loadcnt_dscnt 0x0
	v_mul_f64_e32 v[12:13], v[10:11], v[4:5]
	v_mul_f64_e32 v[46:47], v[8:9], v[4:5]
	s_delay_alu instid0(VALU_DEP_2) | instskip(NEXT) | instid1(VALU_DEP_2)
	v_fma_f64 v[4:5], v[8:9], v[2:3], -v[12:13]
	v_fmac_f64_e32 v[46:47], v[10:11], v[2:3]
	s_delay_alu instid0(VALU_DEP_2) | instskip(NEXT) | instid1(VALU_DEP_2)
	v_add_f64_e32 v[4:5], 0, v[4:5]
	v_add_f64_e32 v[2:3], 0, v[46:47]
	s_and_saveexec_b32 s27, s2
	s_cbranch_execz .LBB14_22
; %bb.21:
	scratch_load_b128 v[8:11], off, off offset:16
	v_mov_b32_e32 v7, 0
	ds_load_b128 v[46:49], v7 offset:256
	s_wait_loadcnt_dscnt 0x0
	v_mul_f64_e32 v[12:13], v[46:47], v[10:11]
	v_mul_f64_e32 v[10:11], v[48:49], v[10:11]
	s_delay_alu instid0(VALU_DEP_2) | instskip(NEXT) | instid1(VALU_DEP_2)
	v_fmac_f64_e32 v[12:13], v[48:49], v[8:9]
	v_fma_f64 v[8:9], v[46:47], v[8:9], -v[10:11]
	s_delay_alu instid0(VALU_DEP_2) | instskip(NEXT) | instid1(VALU_DEP_2)
	v_add_f64_e32 v[2:3], v[2:3], v[12:13]
	v_add_f64_e32 v[4:5], v[4:5], v[8:9]
.LBB14_22:
	s_or_b32 exec_lo, exec_lo, s27
	v_mov_b32_e32 v7, 0
	ds_load_b128 v[8:11], v7 offset:32
	s_wait_dscnt 0x0
	v_mul_f64_e32 v[46:47], v[2:3], v[10:11]
	v_mul_f64_e32 v[12:13], v[4:5], v[10:11]
	s_delay_alu instid0(VALU_DEP_2) | instskip(NEXT) | instid1(VALU_DEP_2)
	v_fma_f64 v[10:11], v[4:5], v[8:9], -v[46:47]
	v_fmac_f64_e32 v[12:13], v[2:3], v[8:9]
	scratch_store_b128 off, v[10:13], off offset:32
.LBB14_23:
	s_wait_xcnt 0x0
	s_or_b32 exec_lo, exec_lo, s3
	s_wait_storecnt 0x0
	s_barrier_signal -1
	s_barrier_wait -1
	scratch_load_b128 v[2:5], off, s9
	v_add_nc_u32_e32 v7, -1, v1
	s_mov_b32 s2, exec_lo
	s_wait_loadcnt 0x0
	ds_store_b128 v6, v[2:5]
	s_wait_dscnt 0x0
	s_barrier_signal -1
	s_barrier_wait -1
	v_cmpx_gt_u32_e32 3, v1
	s_cbranch_execz .LBB14_27
; %bb.24:
	v_dual_mov_b32 v10, v44 :: v_dual_add_nc_u32 v8, -1, v1
	v_mov_b64_e32 v[2:3], 0
	v_mov_b64_e32 v[4:5], 0
	v_add_nc_u32_e32 v9, 0xf0, v44
	s_delay_alu instid0(VALU_DEP_4)
	v_or_b32_e32 v10, 8, v10
	s_mov_b32 s3, 0
.LBB14_25:                              ; =>This Inner Loop Header: Depth=1
	scratch_load_b128 v[46:49], v10, off offset:-8
	ds_load_b128 v[50:53], v9
	s_wait_xcnt 0x0
	v_dual_add_nc_u32 v9, 16, v9 :: v_dual_add_nc_u32 v10, 16, v10
	v_add_nc_u32_e32 v8, 1, v8
	s_delay_alu instid0(VALU_DEP_1) | instskip(SKIP_4) | instid1(VALU_DEP_2)
	v_cmp_lt_u32_e32 vcc_lo, 1, v8
	s_or_b32 s3, vcc_lo, s3
	s_wait_loadcnt_dscnt 0x0
	v_mul_f64_e32 v[12:13], v[52:53], v[48:49]
	v_mul_f64_e32 v[48:49], v[50:51], v[48:49]
	v_fma_f64 v[12:13], v[50:51], v[46:47], -v[12:13]
	s_delay_alu instid0(VALU_DEP_2) | instskip(NEXT) | instid1(VALU_DEP_2)
	v_fmac_f64_e32 v[48:49], v[52:53], v[46:47]
	v_add_f64_e32 v[4:5], v[4:5], v[12:13]
	s_delay_alu instid0(VALU_DEP_2)
	v_add_f64_e32 v[2:3], v[2:3], v[48:49]
	s_and_not1_b32 exec_lo, exec_lo, s3
	s_cbranch_execnz .LBB14_25
; %bb.26:
	s_or_b32 exec_lo, exec_lo, s3
	v_mov_b32_e32 v8, 0
	ds_load_b128 v[8:11], v8 offset:48
	s_wait_dscnt 0x0
	v_mul_f64_e32 v[46:47], v[2:3], v[10:11]
	v_mul_f64_e32 v[12:13], v[4:5], v[10:11]
	s_delay_alu instid0(VALU_DEP_2) | instskip(NEXT) | instid1(VALU_DEP_2)
	v_fma_f64 v[10:11], v[4:5], v[8:9], -v[46:47]
	v_fmac_f64_e32 v[12:13], v[2:3], v[8:9]
	scratch_store_b128 off, v[10:13], off offset:48
.LBB14_27:
	s_wait_xcnt 0x0
	s_or_b32 exec_lo, exec_lo, s2
	s_wait_storecnt 0x0
	s_barrier_signal -1
	s_barrier_wait -1
	scratch_load_b128 v[2:5], off, s10
	s_mov_b32 s2, exec_lo
	s_wait_loadcnt 0x0
	ds_store_b128 v6, v[2:5]
	s_wait_dscnt 0x0
	s_barrier_signal -1
	s_barrier_wait -1
	v_cmpx_gt_u32_e32 4, v1
	s_cbranch_execz .LBB14_31
; %bb.28:
	v_dual_mov_b32 v10, v44 :: v_dual_add_nc_u32 v8, -1, v1
	v_mov_b64_e32 v[2:3], 0
	v_mov_b64_e32 v[4:5], 0
	v_add_nc_u32_e32 v9, 0xf0, v44
	s_delay_alu instid0(VALU_DEP_4)
	v_or_b32_e32 v10, 8, v10
	s_mov_b32 s3, 0
.LBB14_29:                              ; =>This Inner Loop Header: Depth=1
	scratch_load_b128 v[46:49], v10, off offset:-8
	ds_load_b128 v[50:53], v9
	s_wait_xcnt 0x0
	v_dual_add_nc_u32 v9, 16, v9 :: v_dual_add_nc_u32 v10, 16, v10
	v_add_nc_u32_e32 v8, 1, v8
	s_delay_alu instid0(VALU_DEP_1) | instskip(SKIP_4) | instid1(VALU_DEP_2)
	v_cmp_lt_u32_e32 vcc_lo, 2, v8
	s_or_b32 s3, vcc_lo, s3
	s_wait_loadcnt_dscnt 0x0
	v_mul_f64_e32 v[12:13], v[52:53], v[48:49]
	v_mul_f64_e32 v[48:49], v[50:51], v[48:49]
	v_fma_f64 v[12:13], v[50:51], v[46:47], -v[12:13]
	s_delay_alu instid0(VALU_DEP_2) | instskip(NEXT) | instid1(VALU_DEP_2)
	v_fmac_f64_e32 v[48:49], v[52:53], v[46:47]
	v_add_f64_e32 v[4:5], v[4:5], v[12:13]
	s_delay_alu instid0(VALU_DEP_2)
	v_add_f64_e32 v[2:3], v[2:3], v[48:49]
	s_and_not1_b32 exec_lo, exec_lo, s3
	s_cbranch_execnz .LBB14_29
; %bb.30:
	s_or_b32 exec_lo, exec_lo, s3
	v_mov_b32_e32 v8, 0
	ds_load_b128 v[8:11], v8 offset:64
	s_wait_dscnt 0x0
	v_mul_f64_e32 v[46:47], v[2:3], v[10:11]
	v_mul_f64_e32 v[12:13], v[4:5], v[10:11]
	s_delay_alu instid0(VALU_DEP_2) | instskip(NEXT) | instid1(VALU_DEP_2)
	v_fma_f64 v[10:11], v[4:5], v[8:9], -v[46:47]
	v_fmac_f64_e32 v[12:13], v[2:3], v[8:9]
	scratch_store_b128 off, v[10:13], off offset:64
.LBB14_31:
	s_wait_xcnt 0x0
	s_or_b32 exec_lo, exec_lo, s2
	s_wait_storecnt 0x0
	s_barrier_signal -1
	s_barrier_wait -1
	scratch_load_b128 v[2:5], off, s12
	;; [unrolled: 54-line block ×11, first 2 shown]
	s_mov_b32 s2, exec_lo
	s_wait_loadcnt 0x0
	ds_store_b128 v6, v[2:5]
	s_wait_dscnt 0x0
	s_barrier_signal -1
	s_barrier_wait -1
	v_cmpx_ne_u32_e32 14, v1
	s_cbranch_execz .LBB14_71
; %bb.68:
	v_mov_b32_e32 v8, v44
	v_mov_b64_e32 v[2:3], 0
	v_mov_b64_e32 v[4:5], 0
	s_mov_b32 s3, 0
	s_delay_alu instid0(VALU_DEP_3)
	v_or_b32_e32 v8, 8, v8
.LBB14_69:                              ; =>This Inner Loop Header: Depth=1
	scratch_load_b128 v[10:13], v8, off offset:-8
	ds_load_b128 v[44:47], v6
	v_dual_add_nc_u32 v7, 1, v7 :: v_dual_add_nc_u32 v6, 16, v6
	s_wait_xcnt 0x0
	v_add_nc_u32_e32 v8, 16, v8
	s_delay_alu instid0(VALU_DEP_2) | instskip(SKIP_4) | instid1(VALU_DEP_2)
	v_cmp_lt_u32_e32 vcc_lo, 12, v7
	s_or_b32 s3, vcc_lo, s3
	s_wait_loadcnt_dscnt 0x0
	v_mul_f64_e32 v[48:49], v[46:47], v[12:13]
	v_mul_f64_e32 v[12:13], v[44:45], v[12:13]
	v_fma_f64 v[44:45], v[44:45], v[10:11], -v[48:49]
	s_delay_alu instid0(VALU_DEP_2) | instskip(NEXT) | instid1(VALU_DEP_2)
	v_fmac_f64_e32 v[12:13], v[46:47], v[10:11]
	v_add_f64_e32 v[4:5], v[4:5], v[44:45]
	s_delay_alu instid0(VALU_DEP_2)
	v_add_f64_e32 v[2:3], v[2:3], v[12:13]
	s_and_not1_b32 exec_lo, exec_lo, s3
	s_cbranch_execnz .LBB14_69
; %bb.70:
	s_or_b32 exec_lo, exec_lo, s3
	v_mov_b32_e32 v6, 0
	ds_load_b128 v[6:9], v6 offset:224
	s_wait_dscnt 0x0
	v_mul_f64_e32 v[12:13], v[2:3], v[8:9]
	v_mul_f64_e32 v[10:11], v[4:5], v[8:9]
	s_delay_alu instid0(VALU_DEP_2) | instskip(NEXT) | instid1(VALU_DEP_2)
	v_fma_f64 v[8:9], v[4:5], v[6:7], -v[12:13]
	v_fmac_f64_e32 v[10:11], v[2:3], v[6:7]
	scratch_store_b128 off, v[8:11], off offset:224
.LBB14_71:
	s_wait_xcnt 0x0
	s_or_b32 exec_lo, exec_lo, s2
	s_mov_b32 s3, -1
	s_wait_storecnt 0x0
	s_barrier_signal -1
	s_barrier_wait -1
.LBB14_72:
	s_and_b32 vcc_lo, exec_lo, s3
	s_cbranch_vccz .LBB14_74
; %bb.73:
	s_wait_xcnt 0xe
	v_mov_b32_e32 v2, 0
	s_lshl_b64 s[2:3], s[18:19], 2
	s_delay_alu instid0(SALU_CYCLE_1)
	s_add_nc_u64 s[2:3], s[6:7], s[2:3]
	global_load_b32 v2, v2, s[2:3]
	s_wait_loadcnt 0x0
	v_cmp_ne_u32_e32 vcc_lo, 0, v2
	s_cbranch_vccz .LBB14_75
.LBB14_74:
	s_sendmsg sendmsg(MSG_DEALLOC_VGPRS)
	s_endpgm
.LBB14_75:
	s_wait_xcnt 0xe
	v_lshl_add_u32 v6, v1, 4, 0xf0
	s_wait_xcnt 0x0
	s_mov_b32 s2, exec_lo
	v_cmpx_eq_u32_e32 14, v1
	s_cbranch_execz .LBB14_77
; %bb.76:
	scratch_load_b128 v[2:5], off, s24
	v_mov_b32_e32 v8, 0
	s_delay_alu instid0(VALU_DEP_1)
	v_dual_mov_b32 v9, v8 :: v_dual_mov_b32 v10, v8
	v_mov_b32_e32 v11, v8
	scratch_store_b128 off, v[8:11], off offset:208
	s_wait_loadcnt 0x0
	ds_store_b128 v6, v[2:5]
.LBB14_77:
	s_wait_xcnt 0x0
	s_or_b32 exec_lo, exec_lo, s2
	s_wait_storecnt_dscnt 0x0
	s_barrier_signal -1
	s_barrier_wait -1
	s_clause 0x1
	scratch_load_b128 v[8:11], off, off offset:224
	scratch_load_b128 v[44:47], off, off offset:208
	v_mov_b32_e32 v2, 0
	s_mov_b32 s2, exec_lo
	ds_load_b128 v[48:51], v2 offset:464
	s_wait_loadcnt_dscnt 0x100
	v_mul_f64_e32 v[4:5], v[50:51], v[10:11]
	v_mul_f64_e32 v[10:11], v[48:49], v[10:11]
	s_delay_alu instid0(VALU_DEP_2) | instskip(NEXT) | instid1(VALU_DEP_2)
	v_fma_f64 v[4:5], v[48:49], v[8:9], -v[4:5]
	v_fmac_f64_e32 v[10:11], v[50:51], v[8:9]
	s_delay_alu instid0(VALU_DEP_2) | instskip(NEXT) | instid1(VALU_DEP_2)
	v_add_f64_e32 v[4:5], 0, v[4:5]
	v_add_f64_e32 v[10:11], 0, v[10:11]
	s_wait_loadcnt 0x0
	s_delay_alu instid0(VALU_DEP_2) | instskip(NEXT) | instid1(VALU_DEP_2)
	v_add_f64_e64 v[8:9], v[44:45], -v[4:5]
	v_add_f64_e64 v[10:11], v[46:47], -v[10:11]
	scratch_store_b128 off, v[8:11], off offset:208
	s_wait_xcnt 0x0
	v_cmpx_lt_u32_e32 12, v1
	s_cbranch_execz .LBB14_79
; %bb.78:
	scratch_load_b128 v[8:11], off, s23
	v_dual_mov_b32 v3, v2 :: v_dual_mov_b32 v4, v2
	v_mov_b32_e32 v5, v2
	scratch_store_b128 off, v[2:5], off offset:192
	s_wait_loadcnt 0x0
	ds_store_b128 v6, v[8:11]
.LBB14_79:
	s_wait_xcnt 0x0
	s_or_b32 exec_lo, exec_lo, s2
	s_wait_storecnt_dscnt 0x0
	s_barrier_signal -1
	s_barrier_wait -1
	s_clause 0x2
	scratch_load_b128 v[8:11], off, off offset:208
	scratch_load_b128 v[44:47], off, off offset:224
	;; [unrolled: 1-line block ×3, first 2 shown]
	ds_load_b128 v[52:55], v2 offset:448
	ds_load_b128 v[2:5], v2 offset:464
	s_mov_b32 s2, exec_lo
	s_wait_loadcnt_dscnt 0x201
	v_mul_f64_e32 v[12:13], v[54:55], v[10:11]
	v_mul_f64_e32 v[10:11], v[52:53], v[10:11]
	s_wait_loadcnt_dscnt 0x100
	v_mul_f64_e32 v[56:57], v[2:3], v[46:47]
	v_mul_f64_e32 v[46:47], v[4:5], v[46:47]
	s_delay_alu instid0(VALU_DEP_4) | instskip(NEXT) | instid1(VALU_DEP_4)
	v_fma_f64 v[12:13], v[52:53], v[8:9], -v[12:13]
	v_fmac_f64_e32 v[10:11], v[54:55], v[8:9]
	s_delay_alu instid0(VALU_DEP_4) | instskip(NEXT) | instid1(VALU_DEP_4)
	v_fmac_f64_e32 v[56:57], v[4:5], v[44:45]
	v_fma_f64 v[2:3], v[2:3], v[44:45], -v[46:47]
	s_delay_alu instid0(VALU_DEP_4) | instskip(NEXT) | instid1(VALU_DEP_4)
	v_add_f64_e32 v[4:5], 0, v[12:13]
	v_add_f64_e32 v[8:9], 0, v[10:11]
	s_delay_alu instid0(VALU_DEP_2) | instskip(NEXT) | instid1(VALU_DEP_2)
	v_add_f64_e32 v[2:3], v[4:5], v[2:3]
	v_add_f64_e32 v[4:5], v[8:9], v[56:57]
	s_wait_loadcnt 0x0
	s_delay_alu instid0(VALU_DEP_2) | instskip(NEXT) | instid1(VALU_DEP_2)
	v_add_f64_e64 v[2:3], v[48:49], -v[2:3]
	v_add_f64_e64 v[4:5], v[50:51], -v[4:5]
	scratch_store_b128 off, v[2:5], off offset:192
	s_wait_xcnt 0x0
	v_cmpx_lt_u32_e32 11, v1
	s_cbranch_execz .LBB14_81
; %bb.80:
	scratch_load_b128 v[2:5], off, s22
	v_mov_b32_e32 v8, 0
	s_delay_alu instid0(VALU_DEP_1)
	v_dual_mov_b32 v9, v8 :: v_dual_mov_b32 v10, v8
	v_mov_b32_e32 v11, v8
	scratch_store_b128 off, v[8:11], off offset:176
	s_wait_loadcnt 0x0
	ds_store_b128 v6, v[2:5]
.LBB14_81:
	s_wait_xcnt 0x0
	s_or_b32 exec_lo, exec_lo, s2
	s_wait_storecnt_dscnt 0x0
	s_barrier_signal -1
	s_barrier_wait -1
	s_clause 0x3
	scratch_load_b128 v[8:11], off, off offset:192
	scratch_load_b128 v[44:47], off, off offset:208
	;; [unrolled: 1-line block ×4, first 2 shown]
	v_mov_b32_e32 v2, 0
	ds_load_b128 v[56:59], v2 offset:432
	ds_load_b128 v[60:63], v2 offset:448
	s_mov_b32 s2, exec_lo
	s_wait_loadcnt_dscnt 0x301
	v_mul_f64_e32 v[4:5], v[58:59], v[10:11]
	v_mul_f64_e32 v[12:13], v[56:57], v[10:11]
	s_wait_loadcnt_dscnt 0x200
	v_mul_f64_e32 v[64:65], v[60:61], v[46:47]
	v_mul_f64_e32 v[46:47], v[62:63], v[46:47]
	s_delay_alu instid0(VALU_DEP_4) | instskip(NEXT) | instid1(VALU_DEP_4)
	v_fma_f64 v[4:5], v[56:57], v[8:9], -v[4:5]
	v_fmac_f64_e32 v[12:13], v[58:59], v[8:9]
	ds_load_b128 v[8:11], v2 offset:464
	v_fmac_f64_e32 v[64:65], v[62:63], v[44:45]
	v_fma_f64 v[44:45], v[60:61], v[44:45], -v[46:47]
	s_wait_loadcnt_dscnt 0x100
	v_mul_f64_e32 v[56:57], v[8:9], v[50:51]
	v_mul_f64_e32 v[50:51], v[10:11], v[50:51]
	v_add_f64_e32 v[4:5], 0, v[4:5]
	v_add_f64_e32 v[12:13], 0, v[12:13]
	s_delay_alu instid0(VALU_DEP_4) | instskip(NEXT) | instid1(VALU_DEP_4)
	v_fmac_f64_e32 v[56:57], v[10:11], v[48:49]
	v_fma_f64 v[8:9], v[8:9], v[48:49], -v[50:51]
	s_delay_alu instid0(VALU_DEP_4) | instskip(NEXT) | instid1(VALU_DEP_4)
	v_add_f64_e32 v[4:5], v[4:5], v[44:45]
	v_add_f64_e32 v[10:11], v[12:13], v[64:65]
	s_delay_alu instid0(VALU_DEP_2) | instskip(NEXT) | instid1(VALU_DEP_2)
	v_add_f64_e32 v[4:5], v[4:5], v[8:9]
	v_add_f64_e32 v[10:11], v[10:11], v[56:57]
	s_wait_loadcnt 0x0
	s_delay_alu instid0(VALU_DEP_2) | instskip(NEXT) | instid1(VALU_DEP_2)
	v_add_f64_e64 v[8:9], v[52:53], -v[4:5]
	v_add_f64_e64 v[10:11], v[54:55], -v[10:11]
	scratch_store_b128 off, v[8:11], off offset:176
	s_wait_xcnt 0x0
	v_cmpx_lt_u32_e32 10, v1
	s_cbranch_execz .LBB14_83
; %bb.82:
	scratch_load_b128 v[8:11], off, s21
	v_dual_mov_b32 v3, v2 :: v_dual_mov_b32 v4, v2
	v_mov_b32_e32 v5, v2
	scratch_store_b128 off, v[2:5], off offset:160
	s_wait_loadcnt 0x0
	ds_store_b128 v6, v[8:11]
.LBB14_83:
	s_wait_xcnt 0x0
	s_or_b32 exec_lo, exec_lo, s2
	s_wait_storecnt_dscnt 0x0
	s_barrier_signal -1
	s_barrier_wait -1
	s_clause 0x4
	scratch_load_b128 v[8:11], off, off offset:176
	scratch_load_b128 v[44:47], off, off offset:192
	;; [unrolled: 1-line block ×5, first 2 shown]
	ds_load_b128 v[60:63], v2 offset:416
	ds_load_b128 v[64:67], v2 offset:432
	s_mov_b32 s2, exec_lo
	s_wait_loadcnt_dscnt 0x401
	v_mul_f64_e32 v[4:5], v[62:63], v[10:11]
	v_mul_f64_e32 v[12:13], v[60:61], v[10:11]
	s_wait_loadcnt_dscnt 0x300
	v_mul_f64_e32 v[68:69], v[64:65], v[46:47]
	v_mul_f64_e32 v[46:47], v[66:67], v[46:47]
	s_delay_alu instid0(VALU_DEP_4) | instskip(NEXT) | instid1(VALU_DEP_4)
	v_fma_f64 v[60:61], v[60:61], v[8:9], -v[4:5]
	v_fmac_f64_e32 v[12:13], v[62:63], v[8:9]
	ds_load_b128 v[8:11], v2 offset:448
	ds_load_b128 v[2:5], v2 offset:464
	v_fmac_f64_e32 v[68:69], v[66:67], v[44:45]
	v_fma_f64 v[44:45], v[64:65], v[44:45], -v[46:47]
	s_wait_loadcnt_dscnt 0x201
	v_mul_f64_e32 v[62:63], v[8:9], v[50:51]
	v_mul_f64_e32 v[50:51], v[10:11], v[50:51]
	v_add_f64_e32 v[46:47], 0, v[60:61]
	v_add_f64_e32 v[12:13], 0, v[12:13]
	s_wait_loadcnt_dscnt 0x100
	v_mul_f64_e32 v[60:61], v[2:3], v[54:55]
	v_mul_f64_e32 v[54:55], v[4:5], v[54:55]
	v_fmac_f64_e32 v[62:63], v[10:11], v[48:49]
	v_fma_f64 v[8:9], v[8:9], v[48:49], -v[50:51]
	v_add_f64_e32 v[10:11], v[46:47], v[44:45]
	v_add_f64_e32 v[12:13], v[12:13], v[68:69]
	v_fmac_f64_e32 v[60:61], v[4:5], v[52:53]
	v_fma_f64 v[2:3], v[2:3], v[52:53], -v[54:55]
	s_delay_alu instid0(VALU_DEP_4) | instskip(NEXT) | instid1(VALU_DEP_4)
	v_add_f64_e32 v[4:5], v[10:11], v[8:9]
	v_add_f64_e32 v[8:9], v[12:13], v[62:63]
	s_delay_alu instid0(VALU_DEP_2) | instskip(NEXT) | instid1(VALU_DEP_2)
	v_add_f64_e32 v[2:3], v[4:5], v[2:3]
	v_add_f64_e32 v[4:5], v[8:9], v[60:61]
	s_wait_loadcnt 0x0
	s_delay_alu instid0(VALU_DEP_2) | instskip(NEXT) | instid1(VALU_DEP_2)
	v_add_f64_e64 v[2:3], v[56:57], -v[2:3]
	v_add_f64_e64 v[4:5], v[58:59], -v[4:5]
	scratch_store_b128 off, v[2:5], off offset:160
	s_wait_xcnt 0x0
	v_cmpx_lt_u32_e32 9, v1
	s_cbranch_execz .LBB14_85
; %bb.84:
	scratch_load_b128 v[2:5], off, s14
	v_mov_b32_e32 v8, 0
	s_delay_alu instid0(VALU_DEP_1)
	v_dual_mov_b32 v9, v8 :: v_dual_mov_b32 v10, v8
	v_mov_b32_e32 v11, v8
	scratch_store_b128 off, v[8:11], off offset:144
	s_wait_loadcnt 0x0
	ds_store_b128 v6, v[2:5]
.LBB14_85:
	s_wait_xcnt 0x0
	s_or_b32 exec_lo, exec_lo, s2
	s_wait_storecnt_dscnt 0x0
	s_barrier_signal -1
	s_barrier_wait -1
	s_clause 0x5
	scratch_load_b128 v[8:11], off, off offset:160
	scratch_load_b128 v[44:47], off, off offset:176
	;; [unrolled: 1-line block ×6, first 2 shown]
	v_mov_b32_e32 v2, 0
	ds_load_b128 v[64:67], v2 offset:400
	ds_load_b128 v[68:71], v2 offset:416
	s_mov_b32 s2, exec_lo
	s_wait_loadcnt_dscnt 0x501
	v_mul_f64_e32 v[4:5], v[66:67], v[10:11]
	v_mul_f64_e32 v[12:13], v[64:65], v[10:11]
	s_wait_loadcnt_dscnt 0x400
	v_mul_f64_e32 v[72:73], v[68:69], v[46:47]
	v_mul_f64_e32 v[46:47], v[70:71], v[46:47]
	s_delay_alu instid0(VALU_DEP_4) | instskip(NEXT) | instid1(VALU_DEP_4)
	v_fma_f64 v[4:5], v[64:65], v[8:9], -v[4:5]
	v_fmac_f64_e32 v[12:13], v[66:67], v[8:9]
	ds_load_b128 v[8:11], v2 offset:432
	ds_load_b128 v[64:67], v2 offset:448
	v_fmac_f64_e32 v[72:73], v[70:71], v[44:45]
	v_fma_f64 v[44:45], v[68:69], v[44:45], -v[46:47]
	s_wait_loadcnt_dscnt 0x301
	v_mul_f64_e32 v[74:75], v[8:9], v[50:51]
	v_mul_f64_e32 v[50:51], v[10:11], v[50:51]
	s_wait_loadcnt_dscnt 0x200
	v_mul_f64_e32 v[46:47], v[64:65], v[54:55]
	v_mul_f64_e32 v[54:55], v[66:67], v[54:55]
	v_add_f64_e32 v[4:5], 0, v[4:5]
	v_add_f64_e32 v[12:13], 0, v[12:13]
	v_fmac_f64_e32 v[74:75], v[10:11], v[48:49]
	v_fma_f64 v[48:49], v[8:9], v[48:49], -v[50:51]
	ds_load_b128 v[8:11], v2 offset:464
	v_fmac_f64_e32 v[46:47], v[66:67], v[52:53]
	v_fma_f64 v[52:53], v[64:65], v[52:53], -v[54:55]
	v_add_f64_e32 v[4:5], v[4:5], v[44:45]
	v_add_f64_e32 v[12:13], v[12:13], v[72:73]
	s_wait_loadcnt_dscnt 0x100
	v_mul_f64_e32 v[44:45], v[8:9], v[58:59]
	v_mul_f64_e32 v[50:51], v[10:11], v[58:59]
	s_delay_alu instid0(VALU_DEP_4) | instskip(NEXT) | instid1(VALU_DEP_4)
	v_add_f64_e32 v[4:5], v[4:5], v[48:49]
	v_add_f64_e32 v[12:13], v[12:13], v[74:75]
	s_delay_alu instid0(VALU_DEP_4) | instskip(NEXT) | instid1(VALU_DEP_4)
	v_fmac_f64_e32 v[44:45], v[10:11], v[56:57]
	v_fma_f64 v[8:9], v[8:9], v[56:57], -v[50:51]
	s_delay_alu instid0(VALU_DEP_4) | instskip(NEXT) | instid1(VALU_DEP_4)
	v_add_f64_e32 v[4:5], v[4:5], v[52:53]
	v_add_f64_e32 v[10:11], v[12:13], v[46:47]
	s_delay_alu instid0(VALU_DEP_2) | instskip(NEXT) | instid1(VALU_DEP_2)
	v_add_f64_e32 v[4:5], v[4:5], v[8:9]
	v_add_f64_e32 v[10:11], v[10:11], v[44:45]
	s_wait_loadcnt 0x0
	s_delay_alu instid0(VALU_DEP_2) | instskip(NEXT) | instid1(VALU_DEP_2)
	v_add_f64_e64 v[8:9], v[60:61], -v[4:5]
	v_add_f64_e64 v[10:11], v[62:63], -v[10:11]
	scratch_store_b128 off, v[8:11], off offset:144
	s_wait_xcnt 0x0
	v_cmpx_lt_u32_e32 8, v1
	s_cbranch_execz .LBB14_87
; %bb.86:
	scratch_load_b128 v[8:11], off, s13
	v_dual_mov_b32 v3, v2 :: v_dual_mov_b32 v4, v2
	v_mov_b32_e32 v5, v2
	scratch_store_b128 off, v[2:5], off offset:128
	s_wait_loadcnt 0x0
	ds_store_b128 v6, v[8:11]
.LBB14_87:
	s_wait_xcnt 0x0
	s_or_b32 exec_lo, exec_lo, s2
	s_wait_storecnt_dscnt 0x0
	s_barrier_signal -1
	s_barrier_wait -1
	s_clause 0x6
	scratch_load_b128 v[8:11], off, off offset:144
	scratch_load_b128 v[44:47], off, off offset:160
	;; [unrolled: 1-line block ×7, first 2 shown]
	ds_load_b128 v[68:71], v2 offset:384
	ds_load_b128 v[72:75], v2 offset:400
	s_mov_b32 s2, exec_lo
	s_wait_loadcnt_dscnt 0x601
	v_mul_f64_e32 v[4:5], v[70:71], v[10:11]
	v_mul_f64_e32 v[12:13], v[68:69], v[10:11]
	s_wait_loadcnt_dscnt 0x500
	v_mul_f64_e32 v[76:77], v[72:73], v[46:47]
	v_mul_f64_e32 v[46:47], v[74:75], v[46:47]
	s_delay_alu instid0(VALU_DEP_4) | instskip(NEXT) | instid1(VALU_DEP_4)
	v_fma_f64 v[4:5], v[68:69], v[8:9], -v[4:5]
	v_fmac_f64_e32 v[12:13], v[70:71], v[8:9]
	ds_load_b128 v[8:11], v2 offset:416
	ds_load_b128 v[68:71], v2 offset:432
	v_fmac_f64_e32 v[76:77], v[74:75], v[44:45]
	v_fma_f64 v[44:45], v[72:73], v[44:45], -v[46:47]
	s_wait_loadcnt_dscnt 0x401
	v_mul_f64_e32 v[78:79], v[8:9], v[50:51]
	v_mul_f64_e32 v[50:51], v[10:11], v[50:51]
	s_wait_loadcnt_dscnt 0x300
	v_mul_f64_e32 v[46:47], v[68:69], v[54:55]
	v_mul_f64_e32 v[54:55], v[70:71], v[54:55]
	v_add_f64_e32 v[4:5], 0, v[4:5]
	v_add_f64_e32 v[12:13], 0, v[12:13]
	v_fmac_f64_e32 v[78:79], v[10:11], v[48:49]
	v_fma_f64 v[48:49], v[8:9], v[48:49], -v[50:51]
	v_fmac_f64_e32 v[46:47], v[70:71], v[52:53]
	v_fma_f64 v[52:53], v[68:69], v[52:53], -v[54:55]
	v_add_f64_e32 v[44:45], v[4:5], v[44:45]
	v_add_f64_e32 v[12:13], v[12:13], v[76:77]
	ds_load_b128 v[8:11], v2 offset:448
	ds_load_b128 v[2:5], v2 offset:464
	s_wait_loadcnt_dscnt 0x201
	v_mul_f64_e32 v[50:51], v[8:9], v[58:59]
	v_mul_f64_e32 v[58:59], v[10:11], v[58:59]
	s_wait_loadcnt_dscnt 0x100
	v_mul_f64_e32 v[54:55], v[4:5], v[62:63]
	v_add_f64_e32 v[44:45], v[44:45], v[48:49]
	v_add_f64_e32 v[12:13], v[12:13], v[78:79]
	v_mul_f64_e32 v[48:49], v[2:3], v[62:63]
	v_fmac_f64_e32 v[50:51], v[10:11], v[56:57]
	v_fma_f64 v[8:9], v[8:9], v[56:57], -v[58:59]
	v_fma_f64 v[2:3], v[2:3], v[60:61], -v[54:55]
	v_add_f64_e32 v[10:11], v[44:45], v[52:53]
	v_add_f64_e32 v[12:13], v[12:13], v[46:47]
	v_fmac_f64_e32 v[48:49], v[4:5], v[60:61]
	s_delay_alu instid0(VALU_DEP_3) | instskip(NEXT) | instid1(VALU_DEP_3)
	v_add_f64_e32 v[4:5], v[10:11], v[8:9]
	v_add_f64_e32 v[8:9], v[12:13], v[50:51]
	s_delay_alu instid0(VALU_DEP_2) | instskip(NEXT) | instid1(VALU_DEP_2)
	v_add_f64_e32 v[2:3], v[4:5], v[2:3]
	v_add_f64_e32 v[4:5], v[8:9], v[48:49]
	s_wait_loadcnt 0x0
	s_delay_alu instid0(VALU_DEP_2) | instskip(NEXT) | instid1(VALU_DEP_2)
	v_add_f64_e64 v[2:3], v[64:65], -v[2:3]
	v_add_f64_e64 v[4:5], v[66:67], -v[4:5]
	scratch_store_b128 off, v[2:5], off offset:128
	s_wait_xcnt 0x0
	v_cmpx_lt_u32_e32 7, v1
	s_cbranch_execz .LBB14_89
; %bb.88:
	scratch_load_b128 v[2:5], off, s20
	v_mov_b32_e32 v8, 0
	s_delay_alu instid0(VALU_DEP_1)
	v_dual_mov_b32 v9, v8 :: v_dual_mov_b32 v10, v8
	v_mov_b32_e32 v11, v8
	scratch_store_b128 off, v[8:11], off offset:112
	s_wait_loadcnt 0x0
	ds_store_b128 v6, v[2:5]
.LBB14_89:
	s_wait_xcnt 0x0
	s_or_b32 exec_lo, exec_lo, s2
	s_wait_storecnt_dscnt 0x0
	s_barrier_signal -1
	s_barrier_wait -1
	s_clause 0x7
	scratch_load_b128 v[8:11], off, off offset:128
	scratch_load_b128 v[44:47], off, off offset:144
	scratch_load_b128 v[48:51], off, off offset:160
	scratch_load_b128 v[52:55], off, off offset:176
	scratch_load_b128 v[56:59], off, off offset:192
	scratch_load_b128 v[60:63], off, off offset:208
	scratch_load_b128 v[64:67], off, off offset:224
	scratch_load_b128 v[68:71], off, off offset:112
	v_mov_b32_e32 v2, 0
	ds_load_b128 v[72:75], v2 offset:368
	ds_load_b128 v[76:79], v2 offset:384
	s_mov_b32 s2, exec_lo
	s_wait_loadcnt_dscnt 0x701
	v_mul_f64_e32 v[4:5], v[74:75], v[10:11]
	v_mul_f64_e32 v[12:13], v[72:73], v[10:11]
	s_wait_loadcnt_dscnt 0x600
	v_mul_f64_e32 v[80:81], v[76:77], v[46:47]
	v_mul_f64_e32 v[46:47], v[78:79], v[46:47]
	s_delay_alu instid0(VALU_DEP_4) | instskip(NEXT) | instid1(VALU_DEP_4)
	v_fma_f64 v[4:5], v[72:73], v[8:9], -v[4:5]
	v_fmac_f64_e32 v[12:13], v[74:75], v[8:9]
	ds_load_b128 v[8:11], v2 offset:400
	ds_load_b128 v[72:75], v2 offset:416
	v_fmac_f64_e32 v[80:81], v[78:79], v[44:45]
	v_fma_f64 v[44:45], v[76:77], v[44:45], -v[46:47]
	s_wait_loadcnt_dscnt 0x501
	v_mul_f64_e32 v[82:83], v[8:9], v[50:51]
	v_mul_f64_e32 v[50:51], v[10:11], v[50:51]
	s_wait_loadcnt_dscnt 0x400
	v_mul_f64_e32 v[76:77], v[72:73], v[54:55]
	v_mul_f64_e32 v[54:55], v[74:75], v[54:55]
	v_add_f64_e32 v[4:5], 0, v[4:5]
	v_add_f64_e32 v[12:13], 0, v[12:13]
	v_fmac_f64_e32 v[82:83], v[10:11], v[48:49]
	v_fma_f64 v[48:49], v[8:9], v[48:49], -v[50:51]
	v_fmac_f64_e32 v[76:77], v[74:75], v[52:53]
	v_fma_f64 v[52:53], v[72:73], v[52:53], -v[54:55]
	v_add_f64_e32 v[4:5], v[4:5], v[44:45]
	v_add_f64_e32 v[12:13], v[12:13], v[80:81]
	ds_load_b128 v[8:11], v2 offset:432
	ds_load_b128 v[44:47], v2 offset:448
	s_wait_loadcnt_dscnt 0x301
	v_mul_f64_e32 v[50:51], v[8:9], v[58:59]
	v_mul_f64_e32 v[58:59], v[10:11], v[58:59]
	s_wait_loadcnt_dscnt 0x200
	v_mul_f64_e32 v[54:55], v[46:47], v[62:63]
	v_add_f64_e32 v[4:5], v[4:5], v[48:49]
	v_add_f64_e32 v[12:13], v[12:13], v[82:83]
	v_mul_f64_e32 v[48:49], v[44:45], v[62:63]
	v_fmac_f64_e32 v[50:51], v[10:11], v[56:57]
	v_fma_f64 v[56:57], v[8:9], v[56:57], -v[58:59]
	ds_load_b128 v[8:11], v2 offset:464
	v_fma_f64 v[44:45], v[44:45], v[60:61], -v[54:55]
	v_add_f64_e32 v[4:5], v[4:5], v[52:53]
	v_add_f64_e32 v[12:13], v[12:13], v[76:77]
	v_fmac_f64_e32 v[48:49], v[46:47], v[60:61]
	s_wait_loadcnt_dscnt 0x100
	v_mul_f64_e32 v[52:53], v[8:9], v[66:67]
	v_mul_f64_e32 v[58:59], v[10:11], v[66:67]
	v_add_f64_e32 v[4:5], v[4:5], v[56:57]
	v_add_f64_e32 v[12:13], v[12:13], v[50:51]
	s_delay_alu instid0(VALU_DEP_4) | instskip(NEXT) | instid1(VALU_DEP_4)
	v_fmac_f64_e32 v[52:53], v[10:11], v[64:65]
	v_fma_f64 v[8:9], v[8:9], v[64:65], -v[58:59]
	s_delay_alu instid0(VALU_DEP_4) | instskip(NEXT) | instid1(VALU_DEP_4)
	v_add_f64_e32 v[4:5], v[4:5], v[44:45]
	v_add_f64_e32 v[10:11], v[12:13], v[48:49]
	s_delay_alu instid0(VALU_DEP_2) | instskip(NEXT) | instid1(VALU_DEP_2)
	v_add_f64_e32 v[4:5], v[4:5], v[8:9]
	v_add_f64_e32 v[10:11], v[10:11], v[52:53]
	s_wait_loadcnt 0x0
	s_delay_alu instid0(VALU_DEP_2) | instskip(NEXT) | instid1(VALU_DEP_2)
	v_add_f64_e64 v[8:9], v[68:69], -v[4:5]
	v_add_f64_e64 v[10:11], v[70:71], -v[10:11]
	scratch_store_b128 off, v[8:11], off offset:112
	s_wait_xcnt 0x0
	v_cmpx_lt_u32_e32 6, v1
	s_cbranch_execz .LBB14_91
; %bb.90:
	scratch_load_b128 v[8:11], off, s15
	v_dual_mov_b32 v3, v2 :: v_dual_mov_b32 v4, v2
	v_mov_b32_e32 v5, v2
	scratch_store_b128 off, v[2:5], off offset:96
	s_wait_loadcnt 0x0
	ds_store_b128 v6, v[8:11]
.LBB14_91:
	s_wait_xcnt 0x0
	s_or_b32 exec_lo, exec_lo, s2
	s_wait_storecnt_dscnt 0x0
	s_barrier_signal -1
	s_barrier_wait -1
	s_clause 0x7
	scratch_load_b128 v[8:11], off, off offset:112
	scratch_load_b128 v[44:47], off, off offset:128
	;; [unrolled: 1-line block ×8, first 2 shown]
	ds_load_b128 v[72:75], v2 offset:352
	ds_load_b128 v[76:79], v2 offset:368
	scratch_load_b128 v[80:83], off, off offset:96
	s_mov_b32 s2, exec_lo
	s_wait_loadcnt_dscnt 0x801
	v_mul_f64_e32 v[4:5], v[74:75], v[10:11]
	v_mul_f64_e32 v[12:13], v[72:73], v[10:11]
	s_wait_loadcnt_dscnt 0x700
	v_mul_f64_e32 v[84:85], v[76:77], v[46:47]
	v_mul_f64_e32 v[46:47], v[78:79], v[46:47]
	s_delay_alu instid0(VALU_DEP_4) | instskip(NEXT) | instid1(VALU_DEP_4)
	v_fma_f64 v[4:5], v[72:73], v[8:9], -v[4:5]
	v_fmac_f64_e32 v[12:13], v[74:75], v[8:9]
	ds_load_b128 v[8:11], v2 offset:384
	ds_load_b128 v[72:75], v2 offset:400
	v_fmac_f64_e32 v[84:85], v[78:79], v[44:45]
	v_fma_f64 v[44:45], v[76:77], v[44:45], -v[46:47]
	s_wait_loadcnt_dscnt 0x601
	v_mul_f64_e32 v[86:87], v[8:9], v[50:51]
	v_mul_f64_e32 v[50:51], v[10:11], v[50:51]
	s_wait_loadcnt_dscnt 0x500
	v_mul_f64_e32 v[76:77], v[72:73], v[54:55]
	v_mul_f64_e32 v[54:55], v[74:75], v[54:55]
	v_add_f64_e32 v[4:5], 0, v[4:5]
	v_add_f64_e32 v[12:13], 0, v[12:13]
	v_fmac_f64_e32 v[86:87], v[10:11], v[48:49]
	v_fma_f64 v[48:49], v[8:9], v[48:49], -v[50:51]
	v_fmac_f64_e32 v[76:77], v[74:75], v[52:53]
	v_fma_f64 v[52:53], v[72:73], v[52:53], -v[54:55]
	v_add_f64_e32 v[4:5], v[4:5], v[44:45]
	v_add_f64_e32 v[12:13], v[12:13], v[84:85]
	ds_load_b128 v[8:11], v2 offset:416
	ds_load_b128 v[44:47], v2 offset:432
	s_wait_loadcnt_dscnt 0x401
	v_mul_f64_e32 v[50:51], v[8:9], v[58:59]
	v_mul_f64_e32 v[58:59], v[10:11], v[58:59]
	s_wait_loadcnt_dscnt 0x300
	v_mul_f64_e32 v[54:55], v[46:47], v[62:63]
	v_add_f64_e32 v[4:5], v[4:5], v[48:49]
	v_add_f64_e32 v[12:13], v[12:13], v[86:87]
	v_mul_f64_e32 v[48:49], v[44:45], v[62:63]
	v_fmac_f64_e32 v[50:51], v[10:11], v[56:57]
	v_fma_f64 v[56:57], v[8:9], v[56:57], -v[58:59]
	v_fma_f64 v[44:45], v[44:45], v[60:61], -v[54:55]
	v_add_f64_e32 v[52:53], v[4:5], v[52:53]
	v_add_f64_e32 v[12:13], v[12:13], v[76:77]
	ds_load_b128 v[8:11], v2 offset:448
	ds_load_b128 v[2:5], v2 offset:464
	v_fmac_f64_e32 v[48:49], v[46:47], v[60:61]
	s_wait_loadcnt_dscnt 0x201
	v_mul_f64_e32 v[58:59], v[8:9], v[66:67]
	v_mul_f64_e32 v[62:63], v[10:11], v[66:67]
	v_add_f64_e32 v[46:47], v[52:53], v[56:57]
	v_add_f64_e32 v[12:13], v[12:13], v[50:51]
	s_wait_loadcnt_dscnt 0x100
	v_mul_f64_e32 v[50:51], v[2:3], v[70:71]
	v_mul_f64_e32 v[52:53], v[4:5], v[70:71]
	v_fmac_f64_e32 v[58:59], v[10:11], v[64:65]
	v_fma_f64 v[8:9], v[8:9], v[64:65], -v[62:63]
	v_add_f64_e32 v[10:11], v[46:47], v[44:45]
	v_add_f64_e32 v[12:13], v[12:13], v[48:49]
	v_fmac_f64_e32 v[50:51], v[4:5], v[68:69]
	v_fma_f64 v[2:3], v[2:3], v[68:69], -v[52:53]
	s_delay_alu instid0(VALU_DEP_4) | instskip(NEXT) | instid1(VALU_DEP_4)
	v_add_f64_e32 v[4:5], v[10:11], v[8:9]
	v_add_f64_e32 v[8:9], v[12:13], v[58:59]
	s_delay_alu instid0(VALU_DEP_2) | instskip(NEXT) | instid1(VALU_DEP_2)
	v_add_f64_e32 v[2:3], v[4:5], v[2:3]
	v_add_f64_e32 v[4:5], v[8:9], v[50:51]
	s_wait_loadcnt 0x0
	s_delay_alu instid0(VALU_DEP_2) | instskip(NEXT) | instid1(VALU_DEP_2)
	v_add_f64_e64 v[2:3], v[80:81], -v[2:3]
	v_add_f64_e64 v[4:5], v[82:83], -v[4:5]
	scratch_store_b128 off, v[2:5], off offset:96
	s_wait_xcnt 0x0
	v_cmpx_lt_u32_e32 5, v1
	s_cbranch_execz .LBB14_93
; %bb.92:
	scratch_load_b128 v[2:5], off, s12
	v_mov_b32_e32 v8, 0
	s_delay_alu instid0(VALU_DEP_1)
	v_dual_mov_b32 v9, v8 :: v_dual_mov_b32 v10, v8
	v_mov_b32_e32 v11, v8
	scratch_store_b128 off, v[8:11], off offset:80
	s_wait_loadcnt 0x0
	ds_store_b128 v6, v[2:5]
.LBB14_93:
	s_wait_xcnt 0x0
	s_or_b32 exec_lo, exec_lo, s2
	s_wait_storecnt_dscnt 0x0
	s_barrier_signal -1
	s_barrier_wait -1
	s_clause 0x8
	scratch_load_b128 v[8:11], off, off offset:96
	scratch_load_b128 v[44:47], off, off offset:112
	;; [unrolled: 1-line block ×9, first 2 shown]
	v_mov_b32_e32 v2, 0
	scratch_load_b128 v[80:83], off, off offset:80
	s_mov_b32 s2, exec_lo
	ds_load_b128 v[76:79], v2 offset:336
	ds_load_b128 v[84:87], v2 offset:352
	s_wait_loadcnt_dscnt 0x901
	v_mul_f64_e32 v[4:5], v[78:79], v[10:11]
	v_mul_f64_e32 v[12:13], v[76:77], v[10:11]
	s_wait_loadcnt_dscnt 0x800
	v_mul_f64_e32 v[88:89], v[84:85], v[46:47]
	v_mul_f64_e32 v[46:47], v[86:87], v[46:47]
	s_delay_alu instid0(VALU_DEP_4) | instskip(NEXT) | instid1(VALU_DEP_4)
	v_fma_f64 v[4:5], v[76:77], v[8:9], -v[4:5]
	v_fmac_f64_e32 v[12:13], v[78:79], v[8:9]
	ds_load_b128 v[8:11], v2 offset:368
	ds_load_b128 v[76:79], v2 offset:384
	v_fmac_f64_e32 v[88:89], v[86:87], v[44:45]
	v_fma_f64 v[44:45], v[84:85], v[44:45], -v[46:47]
	s_wait_loadcnt_dscnt 0x701
	v_mul_f64_e32 v[90:91], v[8:9], v[50:51]
	v_mul_f64_e32 v[50:51], v[10:11], v[50:51]
	s_wait_loadcnt_dscnt 0x600
	v_mul_f64_e32 v[84:85], v[76:77], v[54:55]
	v_mul_f64_e32 v[54:55], v[78:79], v[54:55]
	v_add_f64_e32 v[4:5], 0, v[4:5]
	v_add_f64_e32 v[12:13], 0, v[12:13]
	v_fmac_f64_e32 v[90:91], v[10:11], v[48:49]
	v_fma_f64 v[48:49], v[8:9], v[48:49], -v[50:51]
	v_fmac_f64_e32 v[84:85], v[78:79], v[52:53]
	v_fma_f64 v[52:53], v[76:77], v[52:53], -v[54:55]
	v_add_f64_e32 v[4:5], v[4:5], v[44:45]
	v_add_f64_e32 v[12:13], v[12:13], v[88:89]
	ds_load_b128 v[8:11], v2 offset:400
	ds_load_b128 v[44:47], v2 offset:416
	s_wait_loadcnt_dscnt 0x501
	v_mul_f64_e32 v[86:87], v[8:9], v[58:59]
	v_mul_f64_e32 v[50:51], v[10:11], v[58:59]
	s_wait_loadcnt_dscnt 0x400
	v_mul_f64_e32 v[54:55], v[44:45], v[62:63]
	v_mul_f64_e32 v[58:59], v[46:47], v[62:63]
	v_add_f64_e32 v[4:5], v[4:5], v[48:49]
	v_add_f64_e32 v[12:13], v[12:13], v[90:91]
	v_fmac_f64_e32 v[86:87], v[10:11], v[56:57]
	v_fma_f64 v[56:57], v[8:9], v[56:57], -v[50:51]
	ds_load_b128 v[8:11], v2 offset:432
	ds_load_b128 v[48:51], v2 offset:448
	v_fmac_f64_e32 v[54:55], v[46:47], v[60:61]
	v_fma_f64 v[44:45], v[44:45], v[60:61], -v[58:59]
	v_add_f64_e32 v[4:5], v[4:5], v[52:53]
	v_add_f64_e32 v[12:13], v[12:13], v[84:85]
	s_wait_loadcnt_dscnt 0x301
	v_mul_f64_e32 v[52:53], v[8:9], v[66:67]
	v_mul_f64_e32 v[62:63], v[10:11], v[66:67]
	s_wait_loadcnt_dscnt 0x200
	v_mul_f64_e32 v[46:47], v[48:49], v[70:71]
	v_add_f64_e32 v[4:5], v[4:5], v[56:57]
	v_add_f64_e32 v[12:13], v[12:13], v[86:87]
	v_mul_f64_e32 v[56:57], v[50:51], v[70:71]
	v_fmac_f64_e32 v[52:53], v[10:11], v[64:65]
	v_fma_f64 v[58:59], v[8:9], v[64:65], -v[62:63]
	ds_load_b128 v[8:11], v2 offset:464
	v_fmac_f64_e32 v[46:47], v[50:51], v[68:69]
	v_add_f64_e32 v[4:5], v[4:5], v[44:45]
	v_add_f64_e32 v[12:13], v[12:13], v[54:55]
	s_wait_loadcnt_dscnt 0x100
	v_mul_f64_e32 v[44:45], v[8:9], v[74:75]
	v_mul_f64_e32 v[54:55], v[10:11], v[74:75]
	v_fma_f64 v[48:49], v[48:49], v[68:69], -v[56:57]
	v_add_f64_e32 v[4:5], v[4:5], v[58:59]
	v_add_f64_e32 v[12:13], v[12:13], v[52:53]
	v_fmac_f64_e32 v[44:45], v[10:11], v[72:73]
	v_fma_f64 v[8:9], v[8:9], v[72:73], -v[54:55]
	s_delay_alu instid0(VALU_DEP_4) | instskip(NEXT) | instid1(VALU_DEP_4)
	v_add_f64_e32 v[4:5], v[4:5], v[48:49]
	v_add_f64_e32 v[10:11], v[12:13], v[46:47]
	s_delay_alu instid0(VALU_DEP_2) | instskip(NEXT) | instid1(VALU_DEP_2)
	v_add_f64_e32 v[4:5], v[4:5], v[8:9]
	v_add_f64_e32 v[10:11], v[10:11], v[44:45]
	s_wait_loadcnt 0x0
	s_delay_alu instid0(VALU_DEP_2) | instskip(NEXT) | instid1(VALU_DEP_2)
	v_add_f64_e64 v[8:9], v[80:81], -v[4:5]
	v_add_f64_e64 v[10:11], v[82:83], -v[10:11]
	scratch_store_b128 off, v[8:11], off offset:80
	s_wait_xcnt 0x0
	v_cmpx_lt_u32_e32 4, v1
	s_cbranch_execz .LBB14_95
; %bb.94:
	scratch_load_b128 v[8:11], off, s10
	v_dual_mov_b32 v3, v2 :: v_dual_mov_b32 v4, v2
	v_mov_b32_e32 v5, v2
	scratch_store_b128 off, v[2:5], off offset:64
	s_wait_loadcnt 0x0
	ds_store_b128 v6, v[8:11]
.LBB14_95:
	s_wait_xcnt 0x0
	s_or_b32 exec_lo, exec_lo, s2
	s_wait_storecnt_dscnt 0x0
	s_barrier_signal -1
	s_barrier_wait -1
	s_clause 0x9
	scratch_load_b128 v[8:11], off, off offset:80
	scratch_load_b128 v[44:47], off, off offset:96
	;; [unrolled: 1-line block ×10, first 2 shown]
	ds_load_b128 v[80:83], v2 offset:320
	ds_load_b128 v[84:87], v2 offset:336
	scratch_load_b128 v[88:91], off, off offset:64
	s_mov_b32 s2, exec_lo
	s_wait_loadcnt_dscnt 0xa01
	v_mul_f64_e32 v[4:5], v[82:83], v[10:11]
	v_mul_f64_e32 v[12:13], v[80:81], v[10:11]
	s_wait_loadcnt_dscnt 0x900
	v_mul_f64_e32 v[92:93], v[84:85], v[46:47]
	v_mul_f64_e32 v[46:47], v[86:87], v[46:47]
	s_delay_alu instid0(VALU_DEP_4) | instskip(NEXT) | instid1(VALU_DEP_4)
	v_fma_f64 v[4:5], v[80:81], v[8:9], -v[4:5]
	v_fmac_f64_e32 v[12:13], v[82:83], v[8:9]
	ds_load_b128 v[8:11], v2 offset:352
	ds_load_b128 v[80:83], v2 offset:368
	v_fmac_f64_e32 v[92:93], v[86:87], v[44:45]
	v_fma_f64 v[44:45], v[84:85], v[44:45], -v[46:47]
	s_wait_loadcnt_dscnt 0x801
	v_mul_f64_e32 v[94:95], v[8:9], v[50:51]
	v_mul_f64_e32 v[50:51], v[10:11], v[50:51]
	s_wait_loadcnt_dscnt 0x700
	v_mul_f64_e32 v[84:85], v[80:81], v[54:55]
	v_mul_f64_e32 v[54:55], v[82:83], v[54:55]
	v_add_f64_e32 v[4:5], 0, v[4:5]
	v_add_f64_e32 v[12:13], 0, v[12:13]
	v_fmac_f64_e32 v[94:95], v[10:11], v[48:49]
	v_fma_f64 v[48:49], v[8:9], v[48:49], -v[50:51]
	v_fmac_f64_e32 v[84:85], v[82:83], v[52:53]
	v_fma_f64 v[52:53], v[80:81], v[52:53], -v[54:55]
	v_add_f64_e32 v[4:5], v[4:5], v[44:45]
	v_add_f64_e32 v[12:13], v[12:13], v[92:93]
	ds_load_b128 v[8:11], v2 offset:384
	ds_load_b128 v[44:47], v2 offset:400
	s_wait_loadcnt_dscnt 0x601
	v_mul_f64_e32 v[86:87], v[8:9], v[58:59]
	v_mul_f64_e32 v[50:51], v[10:11], v[58:59]
	s_wait_loadcnt_dscnt 0x500
	v_mul_f64_e32 v[54:55], v[44:45], v[62:63]
	v_mul_f64_e32 v[58:59], v[46:47], v[62:63]
	v_add_f64_e32 v[4:5], v[4:5], v[48:49]
	v_add_f64_e32 v[12:13], v[12:13], v[94:95]
	v_fmac_f64_e32 v[86:87], v[10:11], v[56:57]
	v_fma_f64 v[56:57], v[8:9], v[56:57], -v[50:51]
	ds_load_b128 v[8:11], v2 offset:416
	ds_load_b128 v[48:51], v2 offset:432
	v_fmac_f64_e32 v[54:55], v[46:47], v[60:61]
	v_fma_f64 v[44:45], v[44:45], v[60:61], -v[58:59]
	v_add_f64_e32 v[4:5], v[4:5], v[52:53]
	v_add_f64_e32 v[12:13], v[12:13], v[84:85]
	s_wait_loadcnt_dscnt 0x401
	v_mul_f64_e32 v[52:53], v[8:9], v[66:67]
	v_mul_f64_e32 v[62:63], v[10:11], v[66:67]
	s_wait_loadcnt_dscnt 0x300
	v_mul_f64_e32 v[46:47], v[48:49], v[70:71]
	v_add_f64_e32 v[4:5], v[4:5], v[56:57]
	v_add_f64_e32 v[12:13], v[12:13], v[86:87]
	v_mul_f64_e32 v[56:57], v[50:51], v[70:71]
	v_fmac_f64_e32 v[52:53], v[10:11], v[64:65]
	v_fma_f64 v[58:59], v[8:9], v[64:65], -v[62:63]
	v_fmac_f64_e32 v[46:47], v[50:51], v[68:69]
	v_add_f64_e32 v[44:45], v[4:5], v[44:45]
	v_add_f64_e32 v[12:13], v[12:13], v[54:55]
	ds_load_b128 v[8:11], v2 offset:448
	ds_load_b128 v[2:5], v2 offset:464
	v_fma_f64 v[48:49], v[48:49], v[68:69], -v[56:57]
	s_wait_loadcnt_dscnt 0x201
	v_mul_f64_e32 v[54:55], v[8:9], v[74:75]
	v_mul_f64_e32 v[60:61], v[10:11], v[74:75]
	s_wait_loadcnt_dscnt 0x100
	v_mul_f64_e32 v[50:51], v[2:3], v[78:79]
	v_add_f64_e32 v[44:45], v[44:45], v[58:59]
	v_add_f64_e32 v[12:13], v[12:13], v[52:53]
	v_mul_f64_e32 v[52:53], v[4:5], v[78:79]
	v_fmac_f64_e32 v[54:55], v[10:11], v[72:73]
	v_fma_f64 v[8:9], v[8:9], v[72:73], -v[60:61]
	v_fmac_f64_e32 v[50:51], v[4:5], v[76:77]
	v_add_f64_e32 v[10:11], v[44:45], v[48:49]
	v_add_f64_e32 v[12:13], v[12:13], v[46:47]
	v_fma_f64 v[2:3], v[2:3], v[76:77], -v[52:53]
	s_delay_alu instid0(VALU_DEP_3) | instskip(NEXT) | instid1(VALU_DEP_3)
	v_add_f64_e32 v[4:5], v[10:11], v[8:9]
	v_add_f64_e32 v[8:9], v[12:13], v[54:55]
	s_delay_alu instid0(VALU_DEP_2) | instskip(NEXT) | instid1(VALU_DEP_2)
	v_add_f64_e32 v[2:3], v[4:5], v[2:3]
	v_add_f64_e32 v[4:5], v[8:9], v[50:51]
	s_wait_loadcnt 0x0
	s_delay_alu instid0(VALU_DEP_2) | instskip(NEXT) | instid1(VALU_DEP_2)
	v_add_f64_e64 v[2:3], v[88:89], -v[2:3]
	v_add_f64_e64 v[4:5], v[90:91], -v[4:5]
	scratch_store_b128 off, v[2:5], off offset:64
	s_wait_xcnt 0x0
	v_cmpx_lt_u32_e32 3, v1
	s_cbranch_execz .LBB14_97
; %bb.96:
	scratch_load_b128 v[2:5], off, s9
	v_mov_b32_e32 v8, 0
	s_delay_alu instid0(VALU_DEP_1)
	v_dual_mov_b32 v9, v8 :: v_dual_mov_b32 v10, v8
	v_mov_b32_e32 v11, v8
	scratch_store_b128 off, v[8:11], off offset:48
	s_wait_loadcnt 0x0
	ds_store_b128 v6, v[2:5]
.LBB14_97:
	s_wait_xcnt 0x0
	s_or_b32 exec_lo, exec_lo, s2
	s_wait_storecnt_dscnt 0x0
	s_barrier_signal -1
	s_barrier_wait -1
	s_clause 0x9
	scratch_load_b128 v[8:11], off, off offset:64
	scratch_load_b128 v[44:47], off, off offset:80
	;; [unrolled: 1-line block ×10, first 2 shown]
	v_mov_b32_e32 v2, 0
	s_mov_b32 s2, exec_lo
	ds_load_b128 v[80:83], v2 offset:304
	s_clause 0x1
	scratch_load_b128 v[84:87], off, off offset:224
	scratch_load_b128 v[88:91], off, off offset:48
	s_wait_loadcnt_dscnt 0xb00
	v_mul_f64_e32 v[4:5], v[82:83], v[10:11]
	v_mul_f64_e32 v[12:13], v[80:81], v[10:11]
	ds_load_b128 v[92:95], v2 offset:320
	s_wait_loadcnt_dscnt 0xa00
	v_mul_f64_e32 v[96:97], v[92:93], v[46:47]
	v_mul_f64_e32 v[46:47], v[94:95], v[46:47]
	v_fma_f64 v[4:5], v[80:81], v[8:9], -v[4:5]
	v_fmac_f64_e32 v[12:13], v[82:83], v[8:9]
	ds_load_b128 v[8:11], v2 offset:336
	ds_load_b128 v[80:83], v2 offset:352
	s_wait_loadcnt_dscnt 0x901
	v_mul_f64_e32 v[98:99], v[8:9], v[50:51]
	v_mul_f64_e32 v[50:51], v[10:11], v[50:51]
	v_fmac_f64_e32 v[96:97], v[94:95], v[44:45]
	v_fma_f64 v[44:45], v[92:93], v[44:45], -v[46:47]
	s_wait_loadcnt_dscnt 0x800
	v_mul_f64_e32 v[92:93], v[80:81], v[54:55]
	v_mul_f64_e32 v[54:55], v[82:83], v[54:55]
	v_add_f64_e32 v[4:5], 0, v[4:5]
	v_add_f64_e32 v[12:13], 0, v[12:13]
	v_fmac_f64_e32 v[98:99], v[10:11], v[48:49]
	v_fma_f64 v[48:49], v[8:9], v[48:49], -v[50:51]
	v_fmac_f64_e32 v[92:93], v[82:83], v[52:53]
	v_fma_f64 v[52:53], v[80:81], v[52:53], -v[54:55]
	v_add_f64_e32 v[4:5], v[4:5], v[44:45]
	v_add_f64_e32 v[12:13], v[12:13], v[96:97]
	ds_load_b128 v[8:11], v2 offset:368
	ds_load_b128 v[44:47], v2 offset:384
	s_wait_loadcnt_dscnt 0x701
	v_mul_f64_e32 v[94:95], v[8:9], v[58:59]
	v_mul_f64_e32 v[50:51], v[10:11], v[58:59]
	s_wait_loadcnt_dscnt 0x600
	v_mul_f64_e32 v[54:55], v[44:45], v[62:63]
	v_mul_f64_e32 v[58:59], v[46:47], v[62:63]
	v_add_f64_e32 v[4:5], v[4:5], v[48:49]
	v_add_f64_e32 v[12:13], v[12:13], v[98:99]
	v_fmac_f64_e32 v[94:95], v[10:11], v[56:57]
	v_fma_f64 v[56:57], v[8:9], v[56:57], -v[50:51]
	ds_load_b128 v[8:11], v2 offset:400
	ds_load_b128 v[48:51], v2 offset:416
	v_fmac_f64_e32 v[54:55], v[46:47], v[60:61]
	v_fma_f64 v[44:45], v[44:45], v[60:61], -v[58:59]
	v_add_f64_e32 v[4:5], v[4:5], v[52:53]
	v_add_f64_e32 v[12:13], v[12:13], v[92:93]
	s_wait_loadcnt_dscnt 0x501
	v_mul_f64_e32 v[52:53], v[8:9], v[66:67]
	v_mul_f64_e32 v[62:63], v[10:11], v[66:67]
	s_wait_loadcnt_dscnt 0x400
	v_mul_f64_e32 v[58:59], v[50:51], v[70:71]
	v_add_f64_e32 v[4:5], v[4:5], v[56:57]
	v_add_f64_e32 v[12:13], v[12:13], v[94:95]
	v_mul_f64_e32 v[56:57], v[48:49], v[70:71]
	v_fmac_f64_e32 v[52:53], v[10:11], v[64:65]
	v_fma_f64 v[60:61], v[8:9], v[64:65], -v[62:63]
	v_fma_f64 v[48:49], v[48:49], v[68:69], -v[58:59]
	v_add_f64_e32 v[4:5], v[4:5], v[44:45]
	v_add_f64_e32 v[12:13], v[12:13], v[54:55]
	ds_load_b128 v[8:11], v2 offset:432
	ds_load_b128 v[44:47], v2 offset:448
	v_fmac_f64_e32 v[56:57], v[50:51], v[68:69]
	s_wait_loadcnt_dscnt 0x301
	v_mul_f64_e32 v[54:55], v[8:9], v[74:75]
	v_mul_f64_e32 v[62:63], v[10:11], v[74:75]
	s_wait_loadcnt_dscnt 0x200
	v_mul_f64_e32 v[50:51], v[44:45], v[78:79]
	v_add_f64_e32 v[4:5], v[4:5], v[60:61]
	v_add_f64_e32 v[12:13], v[12:13], v[52:53]
	v_mul_f64_e32 v[52:53], v[46:47], v[78:79]
	v_fmac_f64_e32 v[54:55], v[10:11], v[72:73]
	v_fma_f64 v[58:59], v[8:9], v[72:73], -v[62:63]
	ds_load_b128 v[8:11], v2 offset:464
	v_fmac_f64_e32 v[50:51], v[46:47], v[76:77]
	v_add_f64_e32 v[4:5], v[4:5], v[48:49]
	v_add_f64_e32 v[12:13], v[12:13], v[56:57]
	v_fma_f64 v[44:45], v[44:45], v[76:77], -v[52:53]
	s_wait_loadcnt_dscnt 0x100
	v_mul_f64_e32 v[48:49], v[8:9], v[86:87]
	v_mul_f64_e32 v[56:57], v[10:11], v[86:87]
	v_add_f64_e32 v[4:5], v[4:5], v[58:59]
	v_add_f64_e32 v[12:13], v[12:13], v[54:55]
	s_delay_alu instid0(VALU_DEP_4) | instskip(NEXT) | instid1(VALU_DEP_4)
	v_fmac_f64_e32 v[48:49], v[10:11], v[84:85]
	v_fma_f64 v[8:9], v[8:9], v[84:85], -v[56:57]
	s_delay_alu instid0(VALU_DEP_4) | instskip(NEXT) | instid1(VALU_DEP_4)
	v_add_f64_e32 v[4:5], v[4:5], v[44:45]
	v_add_f64_e32 v[10:11], v[12:13], v[50:51]
	s_delay_alu instid0(VALU_DEP_2) | instskip(NEXT) | instid1(VALU_DEP_2)
	v_add_f64_e32 v[4:5], v[4:5], v[8:9]
	v_add_f64_e32 v[10:11], v[10:11], v[48:49]
	s_wait_loadcnt 0x0
	s_delay_alu instid0(VALU_DEP_2) | instskip(NEXT) | instid1(VALU_DEP_2)
	v_add_f64_e64 v[8:9], v[88:89], -v[4:5]
	v_add_f64_e64 v[10:11], v[90:91], -v[10:11]
	scratch_store_b128 off, v[8:11], off offset:48
	s_wait_xcnt 0x0
	v_cmpx_lt_u32_e32 2, v1
	s_cbranch_execz .LBB14_99
; %bb.98:
	scratch_load_b128 v[8:11], off, s8
	v_dual_mov_b32 v3, v2 :: v_dual_mov_b32 v4, v2
	v_mov_b32_e32 v5, v2
	scratch_store_b128 off, v[2:5], off offset:32
	s_wait_loadcnt 0x0
	ds_store_b128 v6, v[8:11]
.LBB14_99:
	s_wait_xcnt 0x0
	s_or_b32 exec_lo, exec_lo, s2
	s_wait_storecnt_dscnt 0x0
	s_barrier_signal -1
	s_barrier_wait -1
	s_clause 0x9
	scratch_load_b128 v[8:11], off, off offset:48
	scratch_load_b128 v[44:47], off, off offset:64
	;; [unrolled: 1-line block ×10, first 2 shown]
	ds_load_b128 v[80:83], v2 offset:288
	ds_load_b128 v[88:91], v2 offset:304
	s_clause 0x1
	scratch_load_b128 v[84:87], off, off offset:208
	scratch_load_b128 v[92:95], off, off offset:32
	s_mov_b32 s2, exec_lo
	v_ashrrev_i32_e32 v21, 31, v20
	v_ashrrev_i32_e32 v25, 31, v24
	;; [unrolled: 1-line block ×3, first 2 shown]
	v_dual_ashrrev_i32 v33, 31, v32 :: v_dual_ashrrev_i32 v19, 31, v18
	v_dual_ashrrev_i32 v23, 31, v22 :: v_dual_ashrrev_i32 v37, 31, v36
	;; [unrolled: 1-line block ×3, first 2 shown]
	v_ashrrev_i32_e32 v31, 31, v30
	v_ashrrev_i32_e32 v35, 31, v34
	;; [unrolled: 1-line block ×4, first 2 shown]
	s_wait_loadcnt_dscnt 0xb01
	v_mul_f64_e32 v[4:5], v[82:83], v[10:11]
	v_mul_f64_e32 v[100:101], v[80:81], v[10:11]
	scratch_load_b128 v[10:13], off, off offset:224
	s_wait_loadcnt_dscnt 0xb00
	v_mul_f64_e32 v[102:103], v[88:89], v[46:47]
	v_mul_f64_e32 v[46:47], v[90:91], v[46:47]
	v_fma_f64 v[4:5], v[80:81], v[8:9], -v[4:5]
	v_fmac_f64_e32 v[100:101], v[82:83], v[8:9]
	ds_load_b128 v[80:83], v2 offset:320
	ds_load_b128 v[96:99], v2 offset:336
	v_fmac_f64_e32 v[102:103], v[90:91], v[44:45]
	v_fma_f64 v[44:45], v[88:89], v[44:45], -v[46:47]
	s_wait_loadcnt_dscnt 0xa01
	v_mul_f64_e32 v[8:9], v[80:81], v[50:51]
	v_mul_f64_e32 v[50:51], v[82:83], v[50:51]
	s_wait_loadcnt_dscnt 0x900
	v_mul_f64_e32 v[88:89], v[96:97], v[54:55]
	v_mul_f64_e32 v[54:55], v[98:99], v[54:55]
	v_add_f64_e32 v[4:5], 0, v[4:5]
	v_add_f64_e32 v[46:47], 0, v[100:101]
	v_fmac_f64_e32 v[8:9], v[82:83], v[48:49]
	v_fma_f64 v[80:81], v[80:81], v[48:49], -v[50:51]
	v_fmac_f64_e32 v[88:89], v[98:99], v[52:53]
	v_fma_f64 v[52:53], v[96:97], v[52:53], -v[54:55]
	v_add_f64_e32 v[4:5], v[4:5], v[44:45]
	v_add_f64_e32 v[82:83], v[46:47], v[102:103]
	ds_load_b128 v[44:47], v2 offset:352
	ds_load_b128 v[48:51], v2 offset:368
	s_wait_loadcnt_dscnt 0x801
	v_mul_f64_e32 v[90:91], v[44:45], v[58:59]
	v_mul_f64_e32 v[58:59], v[46:47], v[58:59]
	v_add_f64_e32 v[4:5], v[4:5], v[80:81]
	v_add_f64_e32 v[8:9], v[82:83], v[8:9]
	s_wait_loadcnt_dscnt 0x700
	v_mul_f64_e32 v[80:81], v[48:49], v[62:63]
	v_mul_f64_e32 v[62:63], v[50:51], v[62:63]
	v_fmac_f64_e32 v[90:91], v[46:47], v[56:57]
	v_fma_f64 v[56:57], v[44:45], v[56:57], -v[58:59]
	v_add_f64_e32 v[4:5], v[4:5], v[52:53]
	v_add_f64_e32 v[8:9], v[8:9], v[88:89]
	ds_load_b128 v[44:47], v2 offset:384
	ds_load_b128 v[52:55], v2 offset:400
	v_fmac_f64_e32 v[80:81], v[50:51], v[60:61]
	v_fma_f64 v[48:49], v[48:49], v[60:61], -v[62:63]
	s_wait_loadcnt_dscnt 0x601
	v_mul_f64_e32 v[58:59], v[44:45], v[66:67]
	v_mul_f64_e32 v[66:67], v[46:47], v[66:67]
	s_wait_loadcnt_dscnt 0x500
	v_mul_f64_e32 v[60:61], v[54:55], v[70:71]
	v_add_f64_e32 v[4:5], v[4:5], v[56:57]
	v_add_f64_e32 v[8:9], v[8:9], v[90:91]
	v_mul_f64_e32 v[56:57], v[52:53], v[70:71]
	v_fmac_f64_e32 v[58:59], v[46:47], v[64:65]
	v_fma_f64 v[62:63], v[44:45], v[64:65], -v[66:67]
	v_fma_f64 v[52:53], v[52:53], v[68:69], -v[60:61]
	v_add_f64_e32 v[4:5], v[4:5], v[48:49]
	v_add_f64_e32 v[8:9], v[8:9], v[80:81]
	ds_load_b128 v[44:47], v2 offset:416
	ds_load_b128 v[48:51], v2 offset:432
	v_fmac_f64_e32 v[56:57], v[54:55], v[68:69]
	s_wait_loadcnt_dscnt 0x401
	v_mul_f64_e32 v[64:65], v[44:45], v[74:75]
	v_mul_f64_e32 v[66:67], v[46:47], v[74:75]
	s_wait_loadcnt_dscnt 0x300
	v_mul_f64_e32 v[54:55], v[48:49], v[78:79]
	v_add_f64_e32 v[4:5], v[4:5], v[62:63]
	v_add_f64_e32 v[8:9], v[8:9], v[58:59]
	v_mul_f64_e32 v[58:59], v[50:51], v[78:79]
	v_fmac_f64_e32 v[64:65], v[46:47], v[72:73]
	v_fma_f64 v[60:61], v[44:45], v[72:73], -v[66:67]
	v_fmac_f64_e32 v[54:55], v[50:51], v[76:77]
	v_add_f64_e32 v[52:53], v[4:5], v[52:53]
	v_add_f64_e32 v[8:9], v[8:9], v[56:57]
	ds_load_b128 v[44:47], v2 offset:448
	ds_load_b128 v[2:5], v2 offset:464
	v_fma_f64 v[48:49], v[48:49], v[76:77], -v[58:59]
	s_wait_loadcnt_dscnt 0x201
	v_mul_f64_e32 v[56:57], v[44:45], v[86:87]
	v_mul_f64_e32 v[62:63], v[46:47], v[86:87]
	v_add_f64_e32 v[50:51], v[52:53], v[60:61]
	v_add_f64_e32 v[8:9], v[8:9], v[64:65]
	s_wait_loadcnt_dscnt 0x0
	v_mul_f64_e32 v[52:53], v[2:3], v[12:13]
	v_mul_f64_e32 v[12:13], v[4:5], v[12:13]
	v_fmac_f64_e32 v[56:57], v[46:47], v[84:85]
	v_fma_f64 v[44:45], v[44:45], v[84:85], -v[62:63]
	v_add_f64_e32 v[46:47], v[50:51], v[48:49]
	v_add_f64_e32 v[8:9], v[8:9], v[54:55]
	v_fmac_f64_e32 v[52:53], v[4:5], v[10:11]
	v_fma_f64 v[2:3], v[2:3], v[10:11], -v[12:13]
	s_delay_alu instid0(VALU_DEP_4) | instskip(NEXT) | instid1(VALU_DEP_4)
	v_add_f64_e32 v[4:5], v[46:47], v[44:45]
	v_add_f64_e32 v[8:9], v[8:9], v[56:57]
	s_delay_alu instid0(VALU_DEP_2) | instskip(NEXT) | instid1(VALU_DEP_2)
	v_add_f64_e32 v[2:3], v[4:5], v[2:3]
	v_add_f64_e32 v[4:5], v[8:9], v[52:53]
	s_delay_alu instid0(VALU_DEP_2) | instskip(NEXT) | instid1(VALU_DEP_2)
	v_add_f64_e64 v[2:3], v[92:93], -v[2:3]
	v_add_f64_e64 v[4:5], v[94:95], -v[4:5]
	scratch_store_b128 off, v[2:5], off offset:32
	s_wait_xcnt 0x0
	v_cmpx_lt_u32_e32 1, v1
	s_cbranch_execz .LBB14_101
; %bb.100:
	scratch_load_b128 v[2:5], off, s11
	v_mov_b32_e32 v8, 0
	s_delay_alu instid0(VALU_DEP_1)
	v_dual_mov_b32 v9, v8 :: v_dual_mov_b32 v10, v8
	v_mov_b32_e32 v11, v8
	scratch_store_b128 off, v[8:11], off offset:16
	s_wait_loadcnt 0x0
	ds_store_b128 v6, v[2:5]
.LBB14_101:
	s_wait_xcnt 0x0
	s_or_b32 exec_lo, exec_lo, s2
	s_wait_storecnt_dscnt 0x0
	s_barrier_signal -1
	s_barrier_wait -1
	s_clause 0x9
	scratch_load_b128 v[8:11], off, off offset:32
	scratch_load_b128 v[44:47], off, off offset:48
	scratch_load_b128 v[48:51], off, off offset:64
	scratch_load_b128 v[52:55], off, off offset:80
	scratch_load_b128 v[56:59], off, off offset:96
	scratch_load_b128 v[60:63], off, off offset:112
	scratch_load_b128 v[64:67], off, off offset:128
	scratch_load_b128 v[68:71], off, off offset:144
	scratch_load_b128 v[72:75], off, off offset:160
	scratch_load_b128 v[76:79], off, off offset:176
	v_mov_b32_e32 v2, 0
	s_clause 0x2
	scratch_load_b128 v[84:87], off, off offset:192
	scratch_load_b128 v[88:91], off, off offset:208
	;; [unrolled: 1-line block ×3, first 2 shown]
	s_mov_b32 s2, exec_lo
	ds_load_b128 v[80:83], v2 offset:272
	s_wait_loadcnt_dscnt 0xc00
	v_mul_f64_e32 v[4:5], v[82:83], v[10:11]
	v_mul_f64_e32 v[96:97], v[80:81], v[10:11]
	ds_load_b128 v[10:13], v2 offset:288
	v_fma_f64 v[4:5], v[80:81], v[8:9], -v[4:5]
	v_fmac_f64_e32 v[96:97], v[82:83], v[8:9]
	ds_load_b128 v[80:83], v2 offset:304
	s_wait_loadcnt_dscnt 0xb01
	v_mul_f64_e32 v[98:99], v[10:11], v[46:47]
	v_mul_f64_e32 v[46:47], v[12:13], v[46:47]
	s_wait_loadcnt_dscnt 0xa00
	v_mul_f64_e32 v[100:101], v[80:81], v[50:51]
	v_mul_f64_e32 v[50:51], v[82:83], v[50:51]
	v_add_f64_e32 v[4:5], 0, v[4:5]
	v_fmac_f64_e32 v[98:99], v[12:13], v[44:45]
	v_fma_f64 v[12:13], v[10:11], v[44:45], -v[46:47]
	v_add_f64_e32 v[44:45], 0, v[96:97]
	ds_load_b128 v[8:11], v2 offset:320
	v_fmac_f64_e32 v[100:101], v[82:83], v[48:49]
	v_fma_f64 v[48:49], v[80:81], v[48:49], -v[50:51]
	v_add_f64_e32 v[4:5], v[4:5], v[12:13]
	v_add_f64_e32 v[12:13], v[44:45], v[98:99]
	ds_load_b128 v[44:47], v2 offset:336
	s_wait_loadcnt_dscnt 0x901
	v_mul_f64_e32 v[96:97], v[8:9], v[54:55]
	v_mul_f64_e32 v[54:55], v[10:11], v[54:55]
	s_wait_loadcnt_dscnt 0x800
	v_mul_f64_e32 v[80:81], v[44:45], v[58:59]
	v_mul_f64_e32 v[58:59], v[46:47], v[58:59]
	v_add_f64_e32 v[4:5], v[4:5], v[48:49]
	v_add_f64_e32 v[12:13], v[12:13], v[100:101]
	scratch_load_b128 v[48:51], off, off offset:16
	v_fmac_f64_e32 v[96:97], v[10:11], v[52:53]
	v_fma_f64 v[52:53], v[8:9], v[52:53], -v[54:55]
	ds_load_b128 v[8:11], v2 offset:352
	v_fmac_f64_e32 v[80:81], v[46:47], v[56:57]
	v_fma_f64 v[56:57], v[44:45], v[56:57], -v[58:59]
	ds_load_b128 v[44:47], v2 offset:368
	s_wait_loadcnt_dscnt 0x801
	v_mul_f64_e32 v[54:55], v[8:9], v[62:63]
	v_mul_f64_e32 v[62:63], v[10:11], v[62:63]
	v_add_f64_e32 v[12:13], v[12:13], v[96:97]
	v_add_f64_e32 v[4:5], v[4:5], v[52:53]
	s_wait_loadcnt_dscnt 0x700
	v_mul_f64_e32 v[52:53], v[44:45], v[66:67]
	v_mul_f64_e32 v[58:59], v[46:47], v[66:67]
	v_fmac_f64_e32 v[54:55], v[10:11], v[60:61]
	v_fma_f64 v[60:61], v[8:9], v[60:61], -v[62:63]
	ds_load_b128 v[8:11], v2 offset:384
	v_add_f64_e32 v[12:13], v[12:13], v[80:81]
	v_add_f64_e32 v[4:5], v[4:5], v[56:57]
	v_fmac_f64_e32 v[52:53], v[46:47], v[64:65]
	v_fma_f64 v[58:59], v[44:45], v[64:65], -v[58:59]
	ds_load_b128 v[44:47], v2 offset:400
	s_wait_loadcnt_dscnt 0x601
	v_mul_f64_e32 v[56:57], v[8:9], v[70:71]
	v_mul_f64_e32 v[62:63], v[10:11], v[70:71]
	v_add_f64_e32 v[12:13], v[12:13], v[54:55]
	v_add_f64_e32 v[4:5], v[4:5], v[60:61]
	s_wait_loadcnt_dscnt 0x500
	v_mul_f64_e32 v[54:55], v[44:45], v[74:75]
	v_mul_f64_e32 v[60:61], v[46:47], v[74:75]
	v_fmac_f64_e32 v[56:57], v[10:11], v[68:69]
	v_fma_f64 v[62:63], v[8:9], v[68:69], -v[62:63]
	ds_load_b128 v[8:11], v2 offset:416
	v_add_f64_e32 v[12:13], v[12:13], v[52:53]
	v_add_f64_e32 v[4:5], v[4:5], v[58:59]
	;; [unrolled: 16-line block ×3, first 2 shown]
	v_fmac_f64_e32 v[56:57], v[46:47], v[84:85]
	v_fma_f64 v[62:63], v[44:45], v[84:85], -v[62:63]
	ds_load_b128 v[44:47], v2 offset:464
	s_wait_loadcnt_dscnt 0x201
	v_mul_f64_e32 v[54:55], v[8:9], v[90:91]
	v_mul_f64_e32 v[60:61], v[10:11], v[90:91]
	v_add_f64_e32 v[12:13], v[12:13], v[52:53]
	v_add_f64_e32 v[4:5], v[4:5], v[58:59]
	s_wait_loadcnt_dscnt 0x100
	v_mul_f64_e32 v[52:53], v[44:45], v[94:95]
	v_mul_f64_e32 v[58:59], v[46:47], v[94:95]
	v_fmac_f64_e32 v[54:55], v[10:11], v[88:89]
	v_fma_f64 v[8:9], v[8:9], v[88:89], -v[60:61]
	v_add_f64_e32 v[10:11], v[12:13], v[56:57]
	v_add_f64_e32 v[4:5], v[4:5], v[62:63]
	v_fmac_f64_e32 v[52:53], v[46:47], v[92:93]
	v_fma_f64 v[12:13], v[44:45], v[92:93], -v[58:59]
	s_delay_alu instid0(VALU_DEP_3) | instskip(SKIP_1) | instid1(VALU_DEP_2)
	v_add_f64_e32 v[4:5], v[4:5], v[8:9]
	v_add_f64_e32 v[8:9], v[10:11], v[54:55]
	;; [unrolled: 1-line block ×3, first 2 shown]
	s_delay_alu instid0(VALU_DEP_2) | instskip(SKIP_1) | instid1(VALU_DEP_2)
	v_add_f64_e32 v[10:11], v[8:9], v[52:53]
	s_wait_loadcnt 0x0
	v_add_f64_e64 v[8:9], v[48:49], -v[4:5]
	s_delay_alu instid0(VALU_DEP_2)
	v_add_f64_e64 v[10:11], v[50:51], -v[10:11]
	scratch_store_b128 off, v[8:11], off offset:16
	s_wait_xcnt 0x0
	v_cmpx_ne_u32_e32 0, v1
	s_cbranch_execz .LBB14_103
; %bb.102:
	scratch_load_b128 v[8:11], off, off
	v_dual_mov_b32 v3, v2 :: v_dual_mov_b32 v4, v2
	v_mov_b32_e32 v5, v2
	scratch_store_b128 off, v[2:5], off
	s_wait_loadcnt 0x0
	ds_store_b128 v6, v[8:11]
.LBB14_103:
	s_wait_xcnt 0x0
	s_or_b32 exec_lo, exec_lo, s2
	s_wait_storecnt_dscnt 0x0
	s_barrier_signal -1
	s_barrier_wait -1
	s_clause 0x9
	scratch_load_b128 v[4:7], off, off offset:16
	scratch_load_b128 v[8:11], off, off offset:32
	;; [unrolled: 1-line block ×10, first 2 shown]
	ds_load_b128 v[76:79], v2 offset:256
	ds_load_b128 v[84:87], v2 offset:272
	s_clause 0x2
	scratch_load_b128 v[80:83], off, off offset:176
	scratch_load_b128 v[88:91], off, off
	scratch_load_b128 v[92:95], off, off offset:192
	s_and_b32 vcc_lo, exec_lo, s26
	s_wait_loadcnt_dscnt 0xc01
	v_mul_f64_e32 v[12:13], v[78:79], v[6:7]
	v_mul_f64_e32 v[96:97], v[76:77], v[6:7]
	s_wait_loadcnt_dscnt 0xb00
	v_mul_f64_e32 v[98:99], v[84:85], v[10:11]
	v_mul_f64_e32 v[100:101], v[86:87], v[10:11]
	s_delay_alu instid0(VALU_DEP_4) | instskip(NEXT) | instid1(VALU_DEP_4)
	v_fma_f64 v[102:103], v[76:77], v[4:5], -v[12:13]
	v_fmac_f64_e32 v[96:97], v[78:79], v[4:5]
	ds_load_b128 v[4:7], v2 offset:288
	ds_load_b128 v[10:13], v2 offset:304
	scratch_load_b128 v[76:79], off, off offset:208
	v_fmac_f64_e32 v[98:99], v[86:87], v[8:9]
	v_fma_f64 v[8:9], v[84:85], v[8:9], -v[100:101]
	scratch_load_b128 v[84:87], off, off offset:224
	s_wait_loadcnt_dscnt 0xc01
	v_mul_f64_e32 v[104:105], v[4:5], v[46:47]
	v_mul_f64_e32 v[46:47], v[6:7], v[46:47]
	v_add_f64_e32 v[100:101], 0, v[102:103]
	v_add_f64_e32 v[96:97], 0, v[96:97]
	s_wait_loadcnt_dscnt 0xb00
	v_mul_f64_e32 v[102:103], v[10:11], v[50:51]
	v_mul_f64_e32 v[50:51], v[12:13], v[50:51]
	v_fmac_f64_e32 v[104:105], v[6:7], v[44:45]
	v_fma_f64 v[106:107], v[4:5], v[44:45], -v[46:47]
	ds_load_b128 v[4:7], v2 offset:320
	ds_load_b128 v[44:47], v2 offset:336
	v_add_f64_e32 v[8:9], v[100:101], v[8:9]
	v_add_f64_e32 v[96:97], v[96:97], v[98:99]
	v_fmac_f64_e32 v[102:103], v[12:13], v[48:49]
	v_fma_f64 v[10:11], v[10:11], v[48:49], -v[50:51]
	s_wait_loadcnt_dscnt 0xa01
	v_mul_f64_e32 v[98:99], v[4:5], v[54:55]
	v_mul_f64_e32 v[54:55], v[6:7], v[54:55]
	s_wait_loadcnt_dscnt 0x900
	v_mul_f64_e32 v[48:49], v[44:45], v[58:59]
	v_mul_f64_e32 v[50:51], v[46:47], v[58:59]
	v_add_f64_e32 v[8:9], v[8:9], v[106:107]
	v_add_f64_e32 v[12:13], v[96:97], v[104:105]
	v_fmac_f64_e32 v[98:99], v[6:7], v[52:53]
	v_fma_f64 v[52:53], v[4:5], v[52:53], -v[54:55]
	v_fmac_f64_e32 v[48:49], v[46:47], v[56:57]
	v_fma_f64 v[44:45], v[44:45], v[56:57], -v[50:51]
	v_add_f64_e32 v[54:55], v[8:9], v[10:11]
	v_add_f64_e32 v[12:13], v[12:13], v[102:103]
	ds_load_b128 v[4:7], v2 offset:352
	ds_load_b128 v[8:11], v2 offset:368
	s_wait_loadcnt_dscnt 0x801
	v_mul_f64_e32 v[58:59], v[4:5], v[62:63]
	v_mul_f64_e32 v[62:63], v[6:7], v[62:63]
	s_wait_loadcnt_dscnt 0x700
	v_mul_f64_e32 v[50:51], v[8:9], v[66:67]
	v_add_f64_e32 v[46:47], v[54:55], v[52:53]
	v_add_f64_e32 v[12:13], v[12:13], v[98:99]
	v_mul_f64_e32 v[52:53], v[10:11], v[66:67]
	v_fmac_f64_e32 v[58:59], v[6:7], v[60:61]
	v_fma_f64 v[54:55], v[4:5], v[60:61], -v[62:63]
	v_fmac_f64_e32 v[50:51], v[10:11], v[64:65]
	v_add_f64_e32 v[56:57], v[46:47], v[44:45]
	v_add_f64_e32 v[12:13], v[12:13], v[48:49]
	ds_load_b128 v[4:7], v2 offset:384
	ds_load_b128 v[44:47], v2 offset:400
	v_fma_f64 v[8:9], v[8:9], v[64:65], -v[52:53]
	s_wait_loadcnt_dscnt 0x601
	v_mul_f64_e32 v[48:49], v[4:5], v[70:71]
	v_mul_f64_e32 v[60:61], v[6:7], v[70:71]
	s_wait_loadcnt_dscnt 0x500
	v_mul_f64_e32 v[52:53], v[44:45], v[74:75]
	v_add_f64_e32 v[10:11], v[56:57], v[54:55]
	v_add_f64_e32 v[12:13], v[12:13], v[58:59]
	v_mul_f64_e32 v[54:55], v[46:47], v[74:75]
	v_fmac_f64_e32 v[48:49], v[6:7], v[68:69]
	v_fma_f64 v[56:57], v[4:5], v[68:69], -v[60:61]
	v_fmac_f64_e32 v[52:53], v[46:47], v[72:73]
	v_add_f64_e32 v[58:59], v[10:11], v[8:9]
	v_add_f64_e32 v[12:13], v[12:13], v[50:51]
	ds_load_b128 v[4:7], v2 offset:416
	ds_load_b128 v[8:11], v2 offset:432
	v_fma_f64 v[44:45], v[44:45], v[72:73], -v[54:55]
	s_wait_loadcnt_dscnt 0x401
	v_mul_f64_e32 v[50:51], v[4:5], v[82:83]
	v_mul_f64_e32 v[60:61], v[6:7], v[82:83]
	s_wait_loadcnt_dscnt 0x200
	v_mul_f64_e32 v[54:55], v[10:11], v[94:95]
	v_add_f64_e32 v[46:47], v[58:59], v[56:57]
	v_add_f64_e32 v[12:13], v[12:13], v[48:49]
	v_mul_f64_e32 v[48:49], v[8:9], v[94:95]
	v_fmac_f64_e32 v[50:51], v[6:7], v[80:81]
	v_fma_f64 v[56:57], v[4:5], v[80:81], -v[60:61]
	v_fma_f64 v[8:9], v[8:9], v[92:93], -v[54:55]
	v_add_f64_e32 v[58:59], v[46:47], v[44:45]
	v_add_f64_e32 v[12:13], v[12:13], v[52:53]
	ds_load_b128 v[4:7], v2 offset:448
	ds_load_b128 v[44:47], v2 offset:464
	v_fmac_f64_e32 v[48:49], v[10:11], v[92:93]
	s_wait_loadcnt_dscnt 0x101
	v_mul_f64_e32 v[2:3], v[4:5], v[78:79]
	v_mul_f64_e32 v[52:53], v[6:7], v[78:79]
	s_wait_loadcnt_dscnt 0x0
	v_mul_f64_e32 v[54:55], v[46:47], v[86:87]
	v_add_f64_e32 v[10:11], v[58:59], v[56:57]
	v_add_f64_e32 v[12:13], v[12:13], v[50:51]
	v_mul_f64_e32 v[50:51], v[44:45], v[86:87]
	v_fmac_f64_e32 v[2:3], v[6:7], v[76:77]
	v_fma_f64 v[4:5], v[4:5], v[76:77], -v[52:53]
	v_add_f64_e32 v[6:7], v[10:11], v[8:9]
	v_add_f64_e32 v[8:9], v[12:13], v[48:49]
	v_fmac_f64_e32 v[50:51], v[46:47], v[84:85]
	v_fma_f64 v[10:11], v[44:45], v[84:85], -v[54:55]
	v_lshl_add_u64 v[12:13], v[28:29], 4, s[4:5]
	v_lshl_add_u64 v[28:29], v[40:41], 4, s[4:5]
	v_add_f64_e32 v[4:5], v[6:7], v[4:5]
	v_add_f64_e32 v[2:3], v[8:9], v[2:3]
	v_lshl_add_u64 v[6:7], v[22:23], 4, s[4:5]
	v_lshl_add_u64 v[8:9], v[24:25], 4, s[4:5]
	;; [unrolled: 1-line block ×4, first 2 shown]
	v_add_f64_e32 v[4:5], v[4:5], v[10:11]
	v_add_f64_e32 v[2:3], v[2:3], v[50:51]
	v_lshl_add_u64 v[10:11], v[26:27], 4, s[4:5]
	v_lshl_add_u64 v[26:27], v[38:39], 4, s[4:5]
	s_delay_alu instid0(VALU_DEP_4) | instskip(NEXT) | instid1(VALU_DEP_4)
	v_add_f64_e64 v[44:45], v[88:89], -v[4:5]
	v_add_f64_e64 v[46:47], v[90:91], -v[2:3]
	v_lshl_add_u64 v[2:3], v[18:19], 4, s[4:5]
	v_lshl_add_u64 v[4:5], v[20:21], 4, s[4:5]
	;; [unrolled: 1-line block ×5, first 2 shown]
	scratch_store_b128 off, v[44:47], off
	s_cbranch_vccz .LBB14_132
; %bb.104:
	v_mov_b32_e32 v32, 0
	s_load_b64 s[2:3], s[0:1], 0x4
	v_bfe_u32 v34, v0, 10, 10
	v_bfe_u32 v0, v0, 20, 10
	global_load_b32 v33, v32, s[16:17] offset:52
	s_wait_kmcnt 0x0
	s_lshr_b32 s0, s2, 16
	v_mul_u32_u24_e32 v34, s3, v34
	s_mul_i32 s0, s0, s3
	s_delay_alu instid0(SALU_CYCLE_1) | instskip(NEXT) | instid1(VALU_DEP_1)
	v_mul_u32_u24_e32 v1, s0, v1
	v_add3_u32 v0, v1, v34, v0
	s_delay_alu instid0(VALU_DEP_1)
	v_lshl_add_u32 v0, v0, 4, 0x1e8
	s_wait_loadcnt 0x0
	v_cmp_ne_u32_e32 vcc_lo, 14, v33
	s_cbranch_vccz .LBB14_106
; %bb.105:
	v_lshlrev_b32_e32 v1, 4, v33
	s_clause 0x1
	scratch_load_b128 v[34:37], off, s24
	scratch_load_b128 v[38:41], v1, off offset:-16
	s_wait_loadcnt 0x1
	ds_store_2addr_b64 v0, v[34:35], v[36:37] offset1:1
	s_wait_loadcnt 0x0
	s_clause 0x1
	scratch_store_b128 off, v[38:41], s24
	scratch_store_b128 v1, v[34:37], off offset:-16
.LBB14_106:
	global_load_b32 v1, v32, s[16:17] offset:48
	s_wait_loadcnt 0x0
	v_cmp_eq_u32_e32 vcc_lo, 13, v1
	s_cbranch_vccnz .LBB14_108
; %bb.107:
	v_lshlrev_b32_e32 v1, 4, v1
	s_clause 0x1
	scratch_load_b128 v[32:35], off, s23
	scratch_load_b128 v[36:39], v1, off offset:-16
	s_wait_loadcnt 0x1
	ds_store_2addr_b64 v0, v[32:33], v[34:35] offset1:1
	s_wait_loadcnt 0x0
	s_clause 0x1
	scratch_store_b128 off, v[36:39], s23
	scratch_store_b128 v1, v[32:35], off offset:-16
.LBB14_108:
	s_wait_xcnt 0x0
	v_mov_b32_e32 v1, 0
	global_load_b32 v32, v1, s[16:17] offset:44
	s_wait_loadcnt 0x0
	v_cmp_eq_u32_e32 vcc_lo, 12, v32
	s_cbranch_vccnz .LBB14_110
; %bb.109:
	v_lshlrev_b32_e32 v32, 4, v32
	s_delay_alu instid0(VALU_DEP_1)
	v_mov_b32_e32 v40, v32
	s_clause 0x1
	scratch_load_b128 v[32:35], off, s22
	scratch_load_b128 v[36:39], v40, off offset:-16
	s_wait_loadcnt 0x1
	ds_store_2addr_b64 v0, v[32:33], v[34:35] offset1:1
	s_wait_loadcnt 0x0
	s_clause 0x1
	scratch_store_b128 off, v[36:39], s22
	scratch_store_b128 v40, v[32:35], off offset:-16
.LBB14_110:
	global_load_b32 v1, v1, s[16:17] offset:40
	s_wait_loadcnt 0x0
	v_cmp_eq_u32_e32 vcc_lo, 11, v1
	s_cbranch_vccnz .LBB14_112
; %bb.111:
	s_wait_xcnt 0x0
	v_lshlrev_b32_e32 v1, 4, v1
	s_clause 0x1
	scratch_load_b128 v[32:35], off, s21
	scratch_load_b128 v[36:39], v1, off offset:-16
	s_wait_loadcnt 0x1
	ds_store_2addr_b64 v0, v[32:33], v[34:35] offset1:1
	s_wait_loadcnt 0x0
	s_clause 0x1
	scratch_store_b128 off, v[36:39], s21
	scratch_store_b128 v1, v[32:35], off offset:-16
.LBB14_112:
	s_wait_xcnt 0x0
	v_mov_b32_e32 v1, 0
	global_load_b32 v32, v1, s[16:17] offset:36
	s_wait_loadcnt 0x0
	v_cmp_eq_u32_e32 vcc_lo, 10, v32
	s_cbranch_vccnz .LBB14_114
; %bb.113:
	v_lshlrev_b32_e32 v32, 4, v32
	s_delay_alu instid0(VALU_DEP_1)
	v_mov_b32_e32 v40, v32
	s_clause 0x1
	scratch_load_b128 v[32:35], off, s14
	scratch_load_b128 v[36:39], v40, off offset:-16
	s_wait_loadcnt 0x1
	ds_store_2addr_b64 v0, v[32:33], v[34:35] offset1:1
	s_wait_loadcnt 0x0
	s_clause 0x1
	scratch_store_b128 off, v[36:39], s14
	scratch_store_b128 v40, v[32:35], off offset:-16
.LBB14_114:
	global_load_b32 v1, v1, s[16:17] offset:32
	s_wait_loadcnt 0x0
	v_cmp_eq_u32_e32 vcc_lo, 9, v1
	s_cbranch_vccnz .LBB14_116
; %bb.115:
	s_wait_xcnt 0x0
	v_lshlrev_b32_e32 v1, 4, v1
	s_clause 0x1
	scratch_load_b128 v[32:35], off, s13
	scratch_load_b128 v[36:39], v1, off offset:-16
	s_wait_loadcnt 0x1
	ds_store_2addr_b64 v0, v[32:33], v[34:35] offset1:1
	s_wait_loadcnt 0x0
	s_clause 0x1
	scratch_store_b128 off, v[36:39], s13
	scratch_store_b128 v1, v[32:35], off offset:-16
.LBB14_116:
	s_wait_xcnt 0x0
	v_mov_b32_e32 v1, 0
	global_load_b32 v32, v1, s[16:17] offset:28
	s_wait_loadcnt 0x0
	v_cmp_eq_u32_e32 vcc_lo, 8, v32
	s_cbranch_vccnz .LBB14_118
; %bb.117:
	v_lshlrev_b32_e32 v32, 4, v32
	s_delay_alu instid0(VALU_DEP_1)
	v_mov_b32_e32 v40, v32
	s_clause 0x1
	scratch_load_b128 v[32:35], off, s20
	scratch_load_b128 v[36:39], v40, off offset:-16
	s_wait_loadcnt 0x1
	ds_store_2addr_b64 v0, v[32:33], v[34:35] offset1:1
	s_wait_loadcnt 0x0
	s_clause 0x1
	scratch_store_b128 off, v[36:39], s20
	scratch_store_b128 v40, v[32:35], off offset:-16
.LBB14_118:
	global_load_b32 v1, v1, s[16:17] offset:24
	s_wait_loadcnt 0x0
	v_cmp_eq_u32_e32 vcc_lo, 7, v1
	s_cbranch_vccnz .LBB14_120
; %bb.119:
	s_wait_xcnt 0x0
	v_lshlrev_b32_e32 v1, 4, v1
	s_clause 0x1
	scratch_load_b128 v[32:35], off, s15
	scratch_load_b128 v[36:39], v1, off offset:-16
	s_wait_loadcnt 0x1
	ds_store_2addr_b64 v0, v[32:33], v[34:35] offset1:1
	s_wait_loadcnt 0x0
	s_clause 0x1
	scratch_store_b128 off, v[36:39], s15
	scratch_store_b128 v1, v[32:35], off offset:-16
.LBB14_120:
	s_wait_xcnt 0x0
	v_mov_b32_e32 v1, 0
	global_load_b32 v32, v1, s[16:17] offset:20
	s_wait_loadcnt 0x0
	v_cmp_eq_u32_e32 vcc_lo, 6, v32
	s_cbranch_vccnz .LBB14_122
; %bb.121:
	v_lshlrev_b32_e32 v32, 4, v32
	s_delay_alu instid0(VALU_DEP_1)
	v_mov_b32_e32 v40, v32
	s_clause 0x1
	scratch_load_b128 v[32:35], off, s12
	scratch_load_b128 v[36:39], v40, off offset:-16
	s_wait_loadcnt 0x1
	ds_store_2addr_b64 v0, v[32:33], v[34:35] offset1:1
	s_wait_loadcnt 0x0
	s_clause 0x1
	scratch_store_b128 off, v[36:39], s12
	scratch_store_b128 v40, v[32:35], off offset:-16
.LBB14_122:
	global_load_b32 v1, v1, s[16:17] offset:16
	s_wait_loadcnt 0x0
	v_cmp_eq_u32_e32 vcc_lo, 5, v1
	s_cbranch_vccnz .LBB14_124
; %bb.123:
	s_wait_xcnt 0x0
	v_lshlrev_b32_e32 v1, 4, v1
	s_clause 0x1
	scratch_load_b128 v[32:35], off, s10
	scratch_load_b128 v[36:39], v1, off offset:-16
	s_wait_loadcnt 0x1
	ds_store_2addr_b64 v0, v[32:33], v[34:35] offset1:1
	s_wait_loadcnt 0x0
	s_clause 0x1
	scratch_store_b128 off, v[36:39], s10
	scratch_store_b128 v1, v[32:35], off offset:-16
.LBB14_124:
	s_wait_xcnt 0x0
	v_mov_b32_e32 v1, 0
	global_load_b32 v32, v1, s[16:17] offset:12
	s_wait_loadcnt 0x0
	v_cmp_eq_u32_e32 vcc_lo, 4, v32
	s_cbranch_vccnz .LBB14_126
; %bb.125:
	v_lshlrev_b32_e32 v32, 4, v32
	s_delay_alu instid0(VALU_DEP_1)
	v_mov_b32_e32 v40, v32
	s_clause 0x1
	scratch_load_b128 v[32:35], off, s9
	scratch_load_b128 v[36:39], v40, off offset:-16
	s_wait_loadcnt 0x1
	ds_store_2addr_b64 v0, v[32:33], v[34:35] offset1:1
	s_wait_loadcnt 0x0
	s_clause 0x1
	scratch_store_b128 off, v[36:39], s9
	scratch_store_b128 v40, v[32:35], off offset:-16
.LBB14_126:
	global_load_b32 v1, v1, s[16:17] offset:8
	s_wait_loadcnt 0x0
	v_cmp_eq_u32_e32 vcc_lo, 3, v1
	s_cbranch_vccnz .LBB14_128
; %bb.127:
	s_wait_xcnt 0x0
	v_lshlrev_b32_e32 v1, 4, v1
	s_clause 0x1
	scratch_load_b128 v[32:35], off, s8
	scratch_load_b128 v[36:39], v1, off offset:-16
	s_wait_loadcnt 0x1
	ds_store_2addr_b64 v0, v[32:33], v[34:35] offset1:1
	s_wait_loadcnt 0x0
	s_clause 0x1
	scratch_store_b128 off, v[36:39], s8
	scratch_store_b128 v1, v[32:35], off offset:-16
.LBB14_128:
	s_wait_xcnt 0x0
	v_mov_b32_e32 v1, 0
	global_load_b32 v32, v1, s[16:17] offset:4
	s_wait_loadcnt 0x0
	v_cmp_eq_u32_e32 vcc_lo, 2, v32
	s_cbranch_vccnz .LBB14_130
; %bb.129:
	v_lshlrev_b32_e32 v32, 4, v32
	s_delay_alu instid0(VALU_DEP_1)
	v_mov_b32_e32 v40, v32
	s_clause 0x1
	scratch_load_b128 v[32:35], off, s11
	scratch_load_b128 v[36:39], v40, off offset:-16
	s_wait_loadcnt 0x1
	ds_store_2addr_b64 v0, v[32:33], v[34:35] offset1:1
	s_wait_loadcnt 0x0
	s_clause 0x1
	scratch_store_b128 off, v[36:39], s11
	scratch_store_b128 v40, v[32:35], off offset:-16
.LBB14_130:
	global_load_b32 v1, v1, s[16:17]
	s_wait_loadcnt 0x0
	v_cmp_eq_u32_e32 vcc_lo, 1, v1
	s_cbranch_vccnz .LBB14_132
; %bb.131:
	s_wait_xcnt 0x0
	v_lshlrev_b32_e32 v1, 4, v1
	scratch_load_b128 v[32:35], off, off
	scratch_load_b128 v[36:39], v1, off offset:-16
	s_wait_loadcnt 0x1
	ds_store_2addr_b64 v0, v[32:33], v[34:35] offset1:1
	s_wait_loadcnt 0x0
	scratch_store_b128 off, v[36:39], off
	scratch_store_b128 v1, v[32:35], off offset:-16
.LBB14_132:
	scratch_load_b128 v[32:35], off, off
	s_clause 0xd
	scratch_load_b128 v[36:39], off, s11
	scratch_load_b128 v[40:43], off, s8
	;; [unrolled: 1-line block ×14, first 2 shown]
	s_wait_loadcnt 0xe
	global_store_b128 v[14:15], v[32:35], off
	s_wait_loadcnt 0xd
	global_store_b128 v[16:17], v[36:39], off
	;; [unrolled: 2-line block ×15, first 2 shown]
	s_sendmsg sendmsg(MSG_DEALLOC_VGPRS)
	s_endpgm
	.section	.rodata,"a",@progbits
	.p2align	6, 0x0
	.amdhsa_kernel _ZN9rocsolver6v33100L18getri_kernel_smallILi15E19rocblas_complex_numIdEPS3_EEvT1_iilPiilS6_bb
		.amdhsa_group_segment_fixed_size 1512
		.amdhsa_private_segment_fixed_size 256
		.amdhsa_kernarg_size 60
		.amdhsa_user_sgpr_count 4
		.amdhsa_user_sgpr_dispatch_ptr 1
		.amdhsa_user_sgpr_queue_ptr 0
		.amdhsa_user_sgpr_kernarg_segment_ptr 1
		.amdhsa_user_sgpr_dispatch_id 0
		.amdhsa_user_sgpr_kernarg_preload_length 0
		.amdhsa_user_sgpr_kernarg_preload_offset 0
		.amdhsa_user_sgpr_private_segment_size 0
		.amdhsa_wavefront_size32 1
		.amdhsa_uses_dynamic_stack 0
		.amdhsa_enable_private_segment 1
		.amdhsa_system_sgpr_workgroup_id_x 1
		.amdhsa_system_sgpr_workgroup_id_y 0
		.amdhsa_system_sgpr_workgroup_id_z 0
		.amdhsa_system_sgpr_workgroup_info 0
		.amdhsa_system_vgpr_workitem_id 2
		.amdhsa_next_free_vgpr 108
		.amdhsa_next_free_sgpr 30
		.amdhsa_named_barrier_count 0
		.amdhsa_reserve_vcc 1
		.amdhsa_float_round_mode_32 0
		.amdhsa_float_round_mode_16_64 0
		.amdhsa_float_denorm_mode_32 3
		.amdhsa_float_denorm_mode_16_64 3
		.amdhsa_fp16_overflow 0
		.amdhsa_memory_ordered 1
		.amdhsa_forward_progress 1
		.amdhsa_inst_pref_size 119
		.amdhsa_round_robin_scheduling 0
		.amdhsa_exception_fp_ieee_invalid_op 0
		.amdhsa_exception_fp_denorm_src 0
		.amdhsa_exception_fp_ieee_div_zero 0
		.amdhsa_exception_fp_ieee_overflow 0
		.amdhsa_exception_fp_ieee_underflow 0
		.amdhsa_exception_fp_ieee_inexact 0
		.amdhsa_exception_int_div_zero 0
	.end_amdhsa_kernel
	.section	.text._ZN9rocsolver6v33100L18getri_kernel_smallILi15E19rocblas_complex_numIdEPS3_EEvT1_iilPiilS6_bb,"axG",@progbits,_ZN9rocsolver6v33100L18getri_kernel_smallILi15E19rocblas_complex_numIdEPS3_EEvT1_iilPiilS6_bb,comdat
.Lfunc_end14:
	.size	_ZN9rocsolver6v33100L18getri_kernel_smallILi15E19rocblas_complex_numIdEPS3_EEvT1_iilPiilS6_bb, .Lfunc_end14-_ZN9rocsolver6v33100L18getri_kernel_smallILi15E19rocblas_complex_numIdEPS3_EEvT1_iilPiilS6_bb
                                        ; -- End function
	.set _ZN9rocsolver6v33100L18getri_kernel_smallILi15E19rocblas_complex_numIdEPS3_EEvT1_iilPiilS6_bb.num_vgpr, 108
	.set _ZN9rocsolver6v33100L18getri_kernel_smallILi15E19rocblas_complex_numIdEPS3_EEvT1_iilPiilS6_bb.num_agpr, 0
	.set _ZN9rocsolver6v33100L18getri_kernel_smallILi15E19rocblas_complex_numIdEPS3_EEvT1_iilPiilS6_bb.numbered_sgpr, 30
	.set _ZN9rocsolver6v33100L18getri_kernel_smallILi15E19rocblas_complex_numIdEPS3_EEvT1_iilPiilS6_bb.num_named_barrier, 0
	.set _ZN9rocsolver6v33100L18getri_kernel_smallILi15E19rocblas_complex_numIdEPS3_EEvT1_iilPiilS6_bb.private_seg_size, 256
	.set _ZN9rocsolver6v33100L18getri_kernel_smallILi15E19rocblas_complex_numIdEPS3_EEvT1_iilPiilS6_bb.uses_vcc, 1
	.set _ZN9rocsolver6v33100L18getri_kernel_smallILi15E19rocblas_complex_numIdEPS3_EEvT1_iilPiilS6_bb.uses_flat_scratch, 1
	.set _ZN9rocsolver6v33100L18getri_kernel_smallILi15E19rocblas_complex_numIdEPS3_EEvT1_iilPiilS6_bb.has_dyn_sized_stack, 0
	.set _ZN9rocsolver6v33100L18getri_kernel_smallILi15E19rocblas_complex_numIdEPS3_EEvT1_iilPiilS6_bb.has_recursion, 0
	.set _ZN9rocsolver6v33100L18getri_kernel_smallILi15E19rocblas_complex_numIdEPS3_EEvT1_iilPiilS6_bb.has_indirect_call, 0
	.section	.AMDGPU.csdata,"",@progbits
; Kernel info:
; codeLenInByte = 15180
; TotalNumSgprs: 32
; NumVgprs: 108
; ScratchSize: 256
; MemoryBound: 0
; FloatMode: 240
; IeeeMode: 1
; LDSByteSize: 1512 bytes/workgroup (compile time only)
; SGPRBlocks: 0
; VGPRBlocks: 6
; NumSGPRsForWavesPerEU: 32
; NumVGPRsForWavesPerEU: 108
; NamedBarCnt: 0
; Occupancy: 9
; WaveLimiterHint : 1
; COMPUTE_PGM_RSRC2:SCRATCH_EN: 1
; COMPUTE_PGM_RSRC2:USER_SGPR: 4
; COMPUTE_PGM_RSRC2:TRAP_HANDLER: 0
; COMPUTE_PGM_RSRC2:TGID_X_EN: 1
; COMPUTE_PGM_RSRC2:TGID_Y_EN: 0
; COMPUTE_PGM_RSRC2:TGID_Z_EN: 0
; COMPUTE_PGM_RSRC2:TIDIG_COMP_CNT: 2
	.section	.text._ZN9rocsolver6v33100L18getri_kernel_smallILi16E19rocblas_complex_numIdEPS3_EEvT1_iilPiilS6_bb,"axG",@progbits,_ZN9rocsolver6v33100L18getri_kernel_smallILi16E19rocblas_complex_numIdEPS3_EEvT1_iilPiilS6_bb,comdat
	.globl	_ZN9rocsolver6v33100L18getri_kernel_smallILi16E19rocblas_complex_numIdEPS3_EEvT1_iilPiilS6_bb ; -- Begin function _ZN9rocsolver6v33100L18getri_kernel_smallILi16E19rocblas_complex_numIdEPS3_EEvT1_iilPiilS6_bb
	.p2align	8
	.type	_ZN9rocsolver6v33100L18getri_kernel_smallILi16E19rocblas_complex_numIdEPS3_EEvT1_iilPiilS6_bb,@function
_ZN9rocsolver6v33100L18getri_kernel_smallILi16E19rocblas_complex_numIdEPS3_EEvT1_iilPiilS6_bb: ; @_ZN9rocsolver6v33100L18getri_kernel_smallILi16E19rocblas_complex_numIdEPS3_EEvT1_iilPiilS6_bb
; %bb.0:
	v_and_b32_e32 v1, 0x3ff, v0
	s_mov_b32 s4, exec_lo
	s_delay_alu instid0(VALU_DEP_1)
	v_cmpx_gt_u32_e32 16, v1
	s_cbranch_execz .LBB15_78
; %bb.1:
	s_clause 0x2
	s_load_b32 s8, s[2:3], 0x38
	s_load_b128 s[12:15], s[2:3], 0x10
	s_load_b128 s[4:7], s[2:3], 0x28
	s_getreg_b32 s11, hwreg(HW_REG_IB_STS2, 6, 4)
                                        ; implicit-def: $sgpr16_sgpr17
	s_wait_kmcnt 0x0
	s_bitcmp1_b32 s8, 8
	s_cselect_b32 s27, -1, 0
	s_bfe_u32 s9, ttmp6, 0x4000c
	s_and_b32 s10, ttmp6, 15
	s_add_co_i32 s9, s9, 1
	s_delay_alu instid0(SALU_CYCLE_1) | instskip(NEXT) | instid1(SALU_CYCLE_1)
	s_mul_i32 s9, ttmp9, s9
	s_add_co_i32 s10, s10, s9
	s_cmp_eq_u32 s11, 0
	s_cselect_b32 s18, ttmp9, s10
	s_bfe_u32 s8, s8, 0x10008
	s_ashr_i32 s19, s18, 31
	s_cmp_eq_u32 s8, 0
	s_cbranch_scc1 .LBB15_3
; %bb.2:
	s_load_b32 s8, s[2:3], 0x20
	s_mul_u64 s[4:5], s[4:5], s[18:19]
	s_delay_alu instid0(SALU_CYCLE_1) | instskip(NEXT) | instid1(SALU_CYCLE_1)
	s_lshl_b64 s[4:5], s[4:5], 2
	s_add_nc_u64 s[4:5], s[14:15], s[4:5]
	s_wait_kmcnt 0x0
	s_ashr_i32 s9, s8, 31
	s_delay_alu instid0(SALU_CYCLE_1) | instskip(NEXT) | instid1(SALU_CYCLE_1)
	s_lshl_b64 s[8:9], s[8:9], 2
	s_add_nc_u64 s[16:17], s[4:5], s[8:9]
.LBB15_3:
	s_clause 0x1
	s_load_b128 s[8:11], s[2:3], 0x0
	s_load_b32 s28, s[2:3], 0x38
	s_wait_xcnt 0x0
	s_mul_u64 s[2:3], s[12:13], s[18:19]
	s_movk_i32 s13, 0x50
	s_lshl_b64 s[2:3], s[2:3], 4
	s_movk_i32 s15, 0x60
	s_movk_i32 s20, 0x70
	;; [unrolled: 1-line block ×10, first 2 shown]
	v_dual_mov_b32 v47, 0 :: v_dual_lshlrev_b32 v46, 4, v1
	s_wait_kmcnt 0x0
	v_add3_u32 v18, s11, s11, v1
	s_ashr_i32 s5, s10, 31
	s_mov_b32 s4, s10
	s_add_nc_u64 s[2:3], s[8:9], s[2:3]
	s_lshl_b64 s[4:5], s[4:5], 4
	v_add_nc_u32_e32 v20, s11, v18
	s_add_nc_u64 s[4:5], s[2:3], s[4:5]
	s_ashr_i32 s3, s11, 31
	s_mov_b32 s2, s11
	s_mov_b32 s10, 16
	v_add_nc_u32_e32 v22, s11, v20
	s_mov_b32 s8, 32
	s_mov_b32 s9, 48
	s_bitcmp0_b32 s28, 0
	v_add_nc_u64_e32 v[14:15], s[4:5], v[46:47]
	v_add_nc_u32_e32 v24, s11, v22
	s_delay_alu instid0(VALU_DEP_1) | instskip(NEXT) | instid1(VALU_DEP_3)
	v_add_nc_u32_e32 v26, s11, v24
	v_lshl_add_u64 v[16:17], s[2:3], 4, v[14:15]
	s_mov_b32 s3, -1
	s_clause 0x3
	global_load_b128 v[2:5], v18, s[4:5] scale_offset
	global_load_b128 v[6:9], v20, s[4:5] scale_offset
	;; [unrolled: 1-line block ×3, first 2 shown]
	global_load_b128 v[48:51], v[16:17], off
	v_add_nc_u32_e32 v28, s11, v26
	s_delay_alu instid0(VALU_DEP_1) | instskip(NEXT) | instid1(VALU_DEP_1)
	v_add_nc_u32_e32 v30, s11, v28
	v_add_nc_u32_e32 v32, s11, v30
	s_delay_alu instid0(VALU_DEP_1)
	v_add_nc_u32_e32 v34, s11, v32
	s_clause 0x5
	global_load_b128 v[52:55], v22, s[4:5] scale_offset
	global_load_b128 v[56:59], v24, s[4:5] scale_offset
	;; [unrolled: 1-line block ×6, first 2 shown]
	v_add_nc_u32_e32 v36, s11, v34
	s_delay_alu instid0(VALU_DEP_1) | instskip(NEXT) | instid1(VALU_DEP_1)
	v_add_nc_u32_e32 v38, s11, v36
	v_add_nc_u32_e32 v40, s11, v38
	s_delay_alu instid0(VALU_DEP_1)
	v_add_nc_u32_e32 v42, s11, v40
	s_clause 0x1
	global_load_b128 v[76:79], v34, s[4:5] scale_offset
	global_load_b128 v[80:83], v36, s[4:5] scale_offset
	v_add_nc_u32_e32 v44, s11, v42
	s_clause 0x1
	global_load_b128 v[84:87], v38, s[4:5] scale_offset
	global_load_b128 v[88:91], v40, s[4:5] scale_offset
	s_mov_b32 s11, 64
	s_clause 0x1
	global_load_b128 v[92:95], v42, s[4:5] scale_offset
	global_load_b128 v[96:99], v44, s[4:5] scale_offset
	s_wait_loadcnt 0xf
	scratch_store_b128 off, v[2:5], off offset:32
	s_wait_loadcnt 0xe
	scratch_store_b128 off, v[6:9], off offset:48
	s_wait_loadcnt 0xd
	scratch_store_b128 off, v[10:13], off
	s_wait_loadcnt 0xc
	scratch_store_b128 off, v[48:51], off offset:16
	s_wait_loadcnt 0xb
	scratch_store_b128 off, v[52:55], off offset:64
	;; [unrolled: 2-line block ×13, first 2 shown]
	s_cbranch_scc1 .LBB15_76
; %bb.4:
	v_cmp_eq_u32_e64 s2, 0, v1
	s_wait_xcnt 0x0
	s_and_saveexec_b32 s3, s2
; %bb.5:
	v_mov_b32_e32 v2, 0
	ds_store_b32 v2, v2 offset:512
; %bb.6:
	s_or_b32 exec_lo, exec_lo, s3
	s_wait_storecnt_dscnt 0x0
	s_barrier_signal -1
	s_barrier_wait -1
	scratch_load_b128 v[2:5], v1, off scale_offset
	s_wait_loadcnt 0x0
	v_cmp_eq_f64_e32 vcc_lo, 0, v[2:3]
	v_cmp_eq_f64_e64 s3, 0, v[4:5]
	s_and_b32 s3, vcc_lo, s3
	s_delay_alu instid0(SALU_CYCLE_1)
	s_and_saveexec_b32 s28, s3
	s_cbranch_execz .LBB15_10
; %bb.7:
	v_mov_b32_e32 v2, 0
	s_mov_b32 s29, 0
	ds_load_b32 v3, v2 offset:512
	s_wait_dscnt 0x0
	v_readfirstlane_b32 s3, v3
	v_add_nc_u32_e32 v3, 1, v1
	s_cmp_eq_u32 s3, 0
	s_delay_alu instid0(VALU_DEP_1) | instskip(SKIP_1) | instid1(SALU_CYCLE_1)
	v_cmp_gt_i32_e32 vcc_lo, s3, v3
	s_cselect_b32 s30, -1, 0
	s_or_b32 s30, s30, vcc_lo
	s_delay_alu instid0(SALU_CYCLE_1)
	s_and_b32 exec_lo, exec_lo, s30
	s_cbranch_execz .LBB15_10
; %bb.8:
	v_mov_b32_e32 v4, s3
.LBB15_9:                               ; =>This Inner Loop Header: Depth=1
	ds_cmpstore_rtn_b32 v4, v2, v3, v4 offset:512
	s_wait_dscnt 0x0
	v_cmp_ne_u32_e32 vcc_lo, 0, v4
	v_cmp_le_i32_e64 s3, v4, v3
	s_and_b32 s3, vcc_lo, s3
	s_delay_alu instid0(SALU_CYCLE_1) | instskip(NEXT) | instid1(SALU_CYCLE_1)
	s_and_b32 s3, exec_lo, s3
	s_or_b32 s29, s3, s29
	s_delay_alu instid0(SALU_CYCLE_1)
	s_and_not1_b32 exec_lo, exec_lo, s29
	s_cbranch_execnz .LBB15_9
.LBB15_10:
	s_or_b32 exec_lo, exec_lo, s28
	v_mov_b32_e32 v2, 0
	s_barrier_signal -1
	s_barrier_wait -1
	ds_load_b32 v3, v2 offset:512
	s_and_saveexec_b32 s3, s2
	s_cbranch_execz .LBB15_12
; %bb.11:
	s_lshl_b64 s[28:29], s[18:19], 2
	s_delay_alu instid0(SALU_CYCLE_1)
	s_add_nc_u64 s[28:29], s[6:7], s[28:29]
	s_wait_dscnt 0x0
	global_store_b32 v2, v3, s[28:29]
.LBB15_12:
	s_wait_xcnt 0x0
	s_or_b32 exec_lo, exec_lo, s3
	s_wait_dscnt 0x0
	v_cmp_ne_u32_e32 vcc_lo, 0, v3
	s_mov_b32 s3, 0
	s_cbranch_vccnz .LBB15_76
; %bb.13:
	v_lshl_add_u32 v19, v1, 4, 0
                                        ; implicit-def: $vgpr6_vgpr7
                                        ; implicit-def: $vgpr10_vgpr11
	scratch_load_b128 v[2:5], v19, off
	s_wait_loadcnt 0x0
	v_cmp_ngt_f64_e64 s3, |v[2:3]|, |v[4:5]|
	s_wait_xcnt 0x0
	s_and_saveexec_b32 s28, s3
	s_delay_alu instid0(SALU_CYCLE_1)
	s_xor_b32 s3, exec_lo, s28
	s_cbranch_execz .LBB15_15
; %bb.14:
	v_div_scale_f64 v[6:7], null, v[4:5], v[4:5], v[2:3]
	v_div_scale_f64 v[12:13], vcc_lo, v[2:3], v[4:5], v[2:3]
	s_delay_alu instid0(VALU_DEP_2) | instskip(SKIP_1) | instid1(TRANS32_DEP_1)
	v_rcp_f64_e32 v[8:9], v[6:7]
	v_nop
	v_fma_f64 v[10:11], -v[6:7], v[8:9], 1.0
	s_delay_alu instid0(VALU_DEP_1) | instskip(NEXT) | instid1(VALU_DEP_1)
	v_fmac_f64_e32 v[8:9], v[8:9], v[10:11]
	v_fma_f64 v[10:11], -v[6:7], v[8:9], 1.0
	s_delay_alu instid0(VALU_DEP_1) | instskip(NEXT) | instid1(VALU_DEP_1)
	v_fmac_f64_e32 v[8:9], v[8:9], v[10:11]
	v_mul_f64_e32 v[10:11], v[12:13], v[8:9]
	s_delay_alu instid0(VALU_DEP_1) | instskip(NEXT) | instid1(VALU_DEP_1)
	v_fma_f64 v[6:7], -v[6:7], v[10:11], v[12:13]
	v_div_fmas_f64 v[6:7], v[6:7], v[8:9], v[10:11]
	s_delay_alu instid0(VALU_DEP_1) | instskip(NEXT) | instid1(VALU_DEP_1)
	v_div_fixup_f64 v[6:7], v[6:7], v[4:5], v[2:3]
	v_fmac_f64_e32 v[4:5], v[2:3], v[6:7]
	s_delay_alu instid0(VALU_DEP_1) | instskip(SKIP_1) | instid1(VALU_DEP_2)
	v_div_scale_f64 v[2:3], null, v[4:5], v[4:5], 1.0
	v_div_scale_f64 v[12:13], vcc_lo, 1.0, v[4:5], 1.0
	v_rcp_f64_e32 v[8:9], v[2:3]
	v_nop
	s_delay_alu instid0(TRANS32_DEP_1) | instskip(NEXT) | instid1(VALU_DEP_1)
	v_fma_f64 v[10:11], -v[2:3], v[8:9], 1.0
	v_fmac_f64_e32 v[8:9], v[8:9], v[10:11]
	s_delay_alu instid0(VALU_DEP_1) | instskip(NEXT) | instid1(VALU_DEP_1)
	v_fma_f64 v[10:11], -v[2:3], v[8:9], 1.0
	v_fmac_f64_e32 v[8:9], v[8:9], v[10:11]
	s_delay_alu instid0(VALU_DEP_1) | instskip(NEXT) | instid1(VALU_DEP_1)
	v_mul_f64_e32 v[10:11], v[12:13], v[8:9]
	v_fma_f64 v[2:3], -v[2:3], v[10:11], v[12:13]
	s_delay_alu instid0(VALU_DEP_1) | instskip(NEXT) | instid1(VALU_DEP_1)
	v_div_fmas_f64 v[2:3], v[2:3], v[8:9], v[10:11]
	v_div_fixup_f64 v[8:9], v[2:3], v[4:5], 1.0
                                        ; implicit-def: $vgpr2_vgpr3
	s_delay_alu instid0(VALU_DEP_1) | instskip(SKIP_1) | instid1(VALU_DEP_2)
	v_mul_f64_e32 v[6:7], v[6:7], v[8:9]
	v_xor_b32_e32 v9, 0x80000000, v9
	v_xor_b32_e32 v11, 0x80000000, v7
	s_delay_alu instid0(VALU_DEP_3)
	v_mov_b32_e32 v10, v6
.LBB15_15:
	s_and_not1_saveexec_b32 s3, s3
	s_cbranch_execz .LBB15_17
; %bb.16:
	v_div_scale_f64 v[6:7], null, v[2:3], v[2:3], v[4:5]
	v_div_scale_f64 v[12:13], vcc_lo, v[4:5], v[2:3], v[4:5]
	s_delay_alu instid0(VALU_DEP_2) | instskip(SKIP_1) | instid1(TRANS32_DEP_1)
	v_rcp_f64_e32 v[8:9], v[6:7]
	v_nop
	v_fma_f64 v[10:11], -v[6:7], v[8:9], 1.0
	s_delay_alu instid0(VALU_DEP_1) | instskip(NEXT) | instid1(VALU_DEP_1)
	v_fmac_f64_e32 v[8:9], v[8:9], v[10:11]
	v_fma_f64 v[10:11], -v[6:7], v[8:9], 1.0
	s_delay_alu instid0(VALU_DEP_1) | instskip(NEXT) | instid1(VALU_DEP_1)
	v_fmac_f64_e32 v[8:9], v[8:9], v[10:11]
	v_mul_f64_e32 v[10:11], v[12:13], v[8:9]
	s_delay_alu instid0(VALU_DEP_1) | instskip(NEXT) | instid1(VALU_DEP_1)
	v_fma_f64 v[6:7], -v[6:7], v[10:11], v[12:13]
	v_div_fmas_f64 v[6:7], v[6:7], v[8:9], v[10:11]
	s_delay_alu instid0(VALU_DEP_1) | instskip(NEXT) | instid1(VALU_DEP_1)
	v_div_fixup_f64 v[8:9], v[6:7], v[2:3], v[4:5]
	v_fmac_f64_e32 v[2:3], v[4:5], v[8:9]
	s_delay_alu instid0(VALU_DEP_1) | instskip(NEXT) | instid1(VALU_DEP_1)
	v_div_scale_f64 v[4:5], null, v[2:3], v[2:3], 1.0
	v_rcp_f64_e32 v[6:7], v[4:5]
	v_nop
	s_delay_alu instid0(TRANS32_DEP_1) | instskip(NEXT) | instid1(VALU_DEP_1)
	v_fma_f64 v[10:11], -v[4:5], v[6:7], 1.0
	v_fmac_f64_e32 v[6:7], v[6:7], v[10:11]
	s_delay_alu instid0(VALU_DEP_1) | instskip(NEXT) | instid1(VALU_DEP_1)
	v_fma_f64 v[10:11], -v[4:5], v[6:7], 1.0
	v_fmac_f64_e32 v[6:7], v[6:7], v[10:11]
	v_div_scale_f64 v[10:11], vcc_lo, 1.0, v[2:3], 1.0
	s_delay_alu instid0(VALU_DEP_1) | instskip(NEXT) | instid1(VALU_DEP_1)
	v_mul_f64_e32 v[12:13], v[10:11], v[6:7]
	v_fma_f64 v[4:5], -v[4:5], v[12:13], v[10:11]
	s_delay_alu instid0(VALU_DEP_1) | instskip(NEXT) | instid1(VALU_DEP_1)
	v_div_fmas_f64 v[4:5], v[4:5], v[6:7], v[12:13]
	v_div_fixup_f64 v[6:7], v[4:5], v[2:3], 1.0
	s_delay_alu instid0(VALU_DEP_1)
	v_mul_f64_e64 v[8:9], v[8:9], -v[6:7]
	v_xor_b32_e32 v11, 0x80000000, v7
	v_mov_b32_e32 v10, v6
.LBB15_17:
	s_or_b32 exec_lo, exec_lo, s3
	s_clause 0x1
	scratch_store_b128 v19, v[6:9], off
	scratch_load_b128 v[2:5], off, s10
	v_xor_b32_e32 v13, 0x80000000, v9
	v_mov_b32_e32 v12, v8
	s_wait_xcnt 0x1
	v_add_nc_u32_e32 v6, 0x100, v46
	ds_store_b128 v46, v[10:13]
	s_wait_loadcnt 0x0
	ds_store_b128 v46, v[2:5] offset:256
	s_wait_storecnt_dscnt 0x0
	s_barrier_signal -1
	s_barrier_wait -1
	s_wait_xcnt 0x0
	s_and_saveexec_b32 s3, s2
	s_cbranch_execz .LBB15_19
; %bb.18:
	scratch_load_b128 v[2:5], v19, off
	ds_load_b128 v[8:11], v6
	v_mov_b32_e32 v7, 0
	ds_load_b128 v[48:51], v7 offset:16
	s_wait_loadcnt_dscnt 0x1
	v_mul_f64_e32 v[12:13], v[8:9], v[4:5]
	v_mul_f64_e32 v[4:5], v[10:11], v[4:5]
	s_delay_alu instid0(VALU_DEP_2) | instskip(NEXT) | instid1(VALU_DEP_2)
	v_fmac_f64_e32 v[12:13], v[10:11], v[2:3]
	v_fma_f64 v[2:3], v[8:9], v[2:3], -v[4:5]
	s_delay_alu instid0(VALU_DEP_2) | instskip(NEXT) | instid1(VALU_DEP_2)
	v_add_f64_e32 v[8:9], 0, v[12:13]
	v_add_f64_e32 v[2:3], 0, v[2:3]
	s_wait_dscnt 0x0
	s_delay_alu instid0(VALU_DEP_2) | instskip(NEXT) | instid1(VALU_DEP_2)
	v_mul_f64_e32 v[10:11], v[8:9], v[50:51]
	v_mul_f64_e32 v[4:5], v[2:3], v[50:51]
	s_delay_alu instid0(VALU_DEP_2) | instskip(NEXT) | instid1(VALU_DEP_2)
	v_fma_f64 v[2:3], v[2:3], v[48:49], -v[10:11]
	v_fmac_f64_e32 v[4:5], v[8:9], v[48:49]
	scratch_store_b128 off, v[2:5], off offset:16
.LBB15_19:
	s_wait_xcnt 0x0
	s_or_b32 exec_lo, exec_lo, s3
	s_wait_storecnt 0x0
	s_barrier_signal -1
	s_barrier_wait -1
	scratch_load_b128 v[2:5], off, s8
	s_mov_b32 s3, exec_lo
	s_wait_loadcnt 0x0
	ds_store_b128 v6, v[2:5]
	s_wait_dscnt 0x0
	s_barrier_signal -1
	s_barrier_wait -1
	v_cmpx_gt_u32_e32 2, v1
	s_cbranch_execz .LBB15_23
; %bb.20:
	scratch_load_b128 v[2:5], v19, off
	ds_load_b128 v[8:11], v6
	s_wait_loadcnt_dscnt 0x0
	v_mul_f64_e32 v[12:13], v[10:11], v[4:5]
	v_mul_f64_e32 v[48:49], v[8:9], v[4:5]
	s_delay_alu instid0(VALU_DEP_2) | instskip(NEXT) | instid1(VALU_DEP_2)
	v_fma_f64 v[4:5], v[8:9], v[2:3], -v[12:13]
	v_fmac_f64_e32 v[48:49], v[10:11], v[2:3]
	s_delay_alu instid0(VALU_DEP_2) | instskip(NEXT) | instid1(VALU_DEP_2)
	v_add_f64_e32 v[4:5], 0, v[4:5]
	v_add_f64_e32 v[2:3], 0, v[48:49]
	s_and_saveexec_b32 s28, s2
	s_cbranch_execz .LBB15_22
; %bb.21:
	scratch_load_b128 v[8:11], off, off offset:16
	v_mov_b32_e32 v7, 0
	ds_load_b128 v[48:51], v7 offset:272
	s_wait_loadcnt_dscnt 0x0
	v_mul_f64_e32 v[12:13], v[48:49], v[10:11]
	v_mul_f64_e32 v[10:11], v[50:51], v[10:11]
	s_delay_alu instid0(VALU_DEP_2) | instskip(NEXT) | instid1(VALU_DEP_2)
	v_fmac_f64_e32 v[12:13], v[50:51], v[8:9]
	v_fma_f64 v[8:9], v[48:49], v[8:9], -v[10:11]
	s_delay_alu instid0(VALU_DEP_2) | instskip(NEXT) | instid1(VALU_DEP_2)
	v_add_f64_e32 v[2:3], v[2:3], v[12:13]
	v_add_f64_e32 v[4:5], v[4:5], v[8:9]
.LBB15_22:
	s_or_b32 exec_lo, exec_lo, s28
	v_mov_b32_e32 v7, 0
	ds_load_b128 v[8:11], v7 offset:32
	s_wait_dscnt 0x0
	v_mul_f64_e32 v[48:49], v[2:3], v[10:11]
	v_mul_f64_e32 v[12:13], v[4:5], v[10:11]
	s_delay_alu instid0(VALU_DEP_2) | instskip(NEXT) | instid1(VALU_DEP_2)
	v_fma_f64 v[10:11], v[4:5], v[8:9], -v[48:49]
	v_fmac_f64_e32 v[12:13], v[2:3], v[8:9]
	scratch_store_b128 off, v[10:13], off offset:32
.LBB15_23:
	s_wait_xcnt 0x0
	s_or_b32 exec_lo, exec_lo, s3
	s_wait_storecnt 0x0
	s_barrier_signal -1
	s_barrier_wait -1
	scratch_load_b128 v[2:5], off, s9
	v_add_nc_u32_e32 v7, -1, v1
	s_mov_b32 s2, exec_lo
	s_wait_loadcnt 0x0
	ds_store_b128 v6, v[2:5]
	s_wait_dscnt 0x0
	s_barrier_signal -1
	s_barrier_wait -1
	v_cmpx_gt_u32_e32 3, v1
	s_cbranch_execz .LBB15_27
; %bb.24:
	v_dual_mov_b32 v10, v46 :: v_dual_add_nc_u32 v8, -1, v1
	v_mov_b64_e32 v[2:3], 0
	v_mov_b64_e32 v[4:5], 0
	v_add_nc_u32_e32 v9, 0x100, v46
	s_delay_alu instid0(VALU_DEP_4)
	v_or_b32_e32 v10, 8, v10
	s_mov_b32 s3, 0
.LBB15_25:                              ; =>This Inner Loop Header: Depth=1
	scratch_load_b128 v[48:51], v10, off offset:-8
	ds_load_b128 v[52:55], v9
	v_dual_add_nc_u32 v8, 1, v8 :: v_dual_add_nc_u32 v9, 16, v9
	s_wait_xcnt 0x0
	v_add_nc_u32_e32 v10, 16, v10
	s_delay_alu instid0(VALU_DEP_2) | instskip(SKIP_4) | instid1(VALU_DEP_2)
	v_cmp_lt_u32_e32 vcc_lo, 1, v8
	s_or_b32 s3, vcc_lo, s3
	s_wait_loadcnt_dscnt 0x0
	v_mul_f64_e32 v[12:13], v[54:55], v[50:51]
	v_mul_f64_e32 v[50:51], v[52:53], v[50:51]
	v_fma_f64 v[12:13], v[52:53], v[48:49], -v[12:13]
	s_delay_alu instid0(VALU_DEP_2) | instskip(NEXT) | instid1(VALU_DEP_2)
	v_fmac_f64_e32 v[50:51], v[54:55], v[48:49]
	v_add_f64_e32 v[4:5], v[4:5], v[12:13]
	s_delay_alu instid0(VALU_DEP_2)
	v_add_f64_e32 v[2:3], v[2:3], v[50:51]
	s_and_not1_b32 exec_lo, exec_lo, s3
	s_cbranch_execnz .LBB15_25
; %bb.26:
	s_or_b32 exec_lo, exec_lo, s3
	v_mov_b32_e32 v8, 0
	ds_load_b128 v[8:11], v8 offset:48
	s_wait_dscnt 0x0
	v_mul_f64_e32 v[48:49], v[2:3], v[10:11]
	v_mul_f64_e32 v[12:13], v[4:5], v[10:11]
	s_delay_alu instid0(VALU_DEP_2) | instskip(NEXT) | instid1(VALU_DEP_2)
	v_fma_f64 v[10:11], v[4:5], v[8:9], -v[48:49]
	v_fmac_f64_e32 v[12:13], v[2:3], v[8:9]
	scratch_store_b128 off, v[10:13], off offset:48
.LBB15_27:
	s_wait_xcnt 0x0
	s_or_b32 exec_lo, exec_lo, s2
	s_wait_storecnt 0x0
	s_barrier_signal -1
	s_barrier_wait -1
	scratch_load_b128 v[2:5], off, s11
	s_mov_b32 s2, exec_lo
	s_wait_loadcnt 0x0
	ds_store_b128 v6, v[2:5]
	s_wait_dscnt 0x0
	s_barrier_signal -1
	s_barrier_wait -1
	v_cmpx_gt_u32_e32 4, v1
	s_cbranch_execz .LBB15_31
; %bb.28:
	v_dual_mov_b32 v10, v46 :: v_dual_add_nc_u32 v8, -1, v1
	v_mov_b64_e32 v[2:3], 0
	v_mov_b64_e32 v[4:5], 0
	v_add_nc_u32_e32 v9, 0x100, v46
	s_delay_alu instid0(VALU_DEP_4)
	v_or_b32_e32 v10, 8, v10
	s_mov_b32 s3, 0
.LBB15_29:                              ; =>This Inner Loop Header: Depth=1
	scratch_load_b128 v[48:51], v10, off offset:-8
	ds_load_b128 v[52:55], v9
	v_dual_add_nc_u32 v8, 1, v8 :: v_dual_add_nc_u32 v9, 16, v9
	s_wait_xcnt 0x0
	v_add_nc_u32_e32 v10, 16, v10
	s_delay_alu instid0(VALU_DEP_2) | instskip(SKIP_4) | instid1(VALU_DEP_2)
	v_cmp_lt_u32_e32 vcc_lo, 2, v8
	s_or_b32 s3, vcc_lo, s3
	s_wait_loadcnt_dscnt 0x0
	v_mul_f64_e32 v[12:13], v[54:55], v[50:51]
	v_mul_f64_e32 v[50:51], v[52:53], v[50:51]
	v_fma_f64 v[12:13], v[52:53], v[48:49], -v[12:13]
	s_delay_alu instid0(VALU_DEP_2) | instskip(NEXT) | instid1(VALU_DEP_2)
	v_fmac_f64_e32 v[50:51], v[54:55], v[48:49]
	v_add_f64_e32 v[4:5], v[4:5], v[12:13]
	s_delay_alu instid0(VALU_DEP_2)
	v_add_f64_e32 v[2:3], v[2:3], v[50:51]
	s_and_not1_b32 exec_lo, exec_lo, s3
	s_cbranch_execnz .LBB15_29
; %bb.30:
	s_or_b32 exec_lo, exec_lo, s3
	v_mov_b32_e32 v8, 0
	ds_load_b128 v[8:11], v8 offset:64
	s_wait_dscnt 0x0
	v_mul_f64_e32 v[48:49], v[2:3], v[10:11]
	v_mul_f64_e32 v[12:13], v[4:5], v[10:11]
	s_delay_alu instid0(VALU_DEP_2) | instskip(NEXT) | instid1(VALU_DEP_2)
	v_fma_f64 v[10:11], v[4:5], v[8:9], -v[48:49]
	v_fmac_f64_e32 v[12:13], v[2:3], v[8:9]
	scratch_store_b128 off, v[10:13], off offset:64
.LBB15_31:
	s_wait_xcnt 0x0
	s_or_b32 exec_lo, exec_lo, s2
	s_wait_storecnt 0x0
	s_barrier_signal -1
	s_barrier_wait -1
	scratch_load_b128 v[2:5], off, s13
	;; [unrolled: 54-line block ×12, first 2 shown]
	s_mov_b32 s2, exec_lo
	s_wait_loadcnt 0x0
	ds_store_b128 v6, v[2:5]
	s_wait_dscnt 0x0
	s_barrier_signal -1
	s_barrier_wait -1
	v_cmpx_ne_u32_e32 15, v1
	s_cbranch_execz .LBB15_75
; %bb.72:
	v_mov_b32_e32 v8, v46
	v_mov_b64_e32 v[2:3], 0
	v_mov_b64_e32 v[4:5], 0
	s_mov_b32 s3, 0
	s_delay_alu instid0(VALU_DEP_3)
	v_or_b32_e32 v8, 8, v8
.LBB15_73:                              ; =>This Inner Loop Header: Depth=1
	scratch_load_b128 v[10:13], v8, off offset:-8
	ds_load_b128 v[46:49], v6
	v_dual_add_nc_u32 v7, 1, v7 :: v_dual_add_nc_u32 v6, 16, v6
	s_wait_xcnt 0x0
	v_add_nc_u32_e32 v8, 16, v8
	s_delay_alu instid0(VALU_DEP_2) | instskip(SKIP_4) | instid1(VALU_DEP_2)
	v_cmp_lt_u32_e32 vcc_lo, 13, v7
	s_or_b32 s3, vcc_lo, s3
	s_wait_loadcnt_dscnt 0x0
	v_mul_f64_e32 v[50:51], v[48:49], v[12:13]
	v_mul_f64_e32 v[12:13], v[46:47], v[12:13]
	v_fma_f64 v[46:47], v[46:47], v[10:11], -v[50:51]
	s_delay_alu instid0(VALU_DEP_2) | instskip(NEXT) | instid1(VALU_DEP_2)
	v_fmac_f64_e32 v[12:13], v[48:49], v[10:11]
	v_add_f64_e32 v[4:5], v[4:5], v[46:47]
	s_delay_alu instid0(VALU_DEP_2)
	v_add_f64_e32 v[2:3], v[2:3], v[12:13]
	s_and_not1_b32 exec_lo, exec_lo, s3
	s_cbranch_execnz .LBB15_73
; %bb.74:
	s_or_b32 exec_lo, exec_lo, s3
	v_mov_b32_e32 v6, 0
	ds_load_b128 v[6:9], v6 offset:240
	s_wait_dscnt 0x0
	v_mul_f64_e32 v[12:13], v[2:3], v[8:9]
	v_mul_f64_e32 v[10:11], v[4:5], v[8:9]
	s_delay_alu instid0(VALU_DEP_2) | instskip(NEXT) | instid1(VALU_DEP_2)
	v_fma_f64 v[8:9], v[4:5], v[6:7], -v[12:13]
	v_fmac_f64_e32 v[10:11], v[2:3], v[6:7]
	scratch_store_b128 off, v[8:11], off offset:240
.LBB15_75:
	s_wait_xcnt 0x0
	s_or_b32 exec_lo, exec_lo, s2
	s_mov_b32 s3, -1
	s_wait_storecnt 0x0
	s_barrier_signal -1
	s_barrier_wait -1
.LBB15_76:
	s_and_b32 vcc_lo, exec_lo, s3
	s_cbranch_vccz .LBB15_78
; %bb.77:
	s_wait_xcnt 0xf
	v_mov_b32_e32 v2, 0
	s_lshl_b64 s[2:3], s[18:19], 2
	s_delay_alu instid0(SALU_CYCLE_1)
	s_add_nc_u64 s[2:3], s[6:7], s[2:3]
	global_load_b32 v2, v2, s[2:3]
	s_wait_loadcnt 0x0
	v_cmp_ne_u32_e32 vcc_lo, 0, v2
	s_cbranch_vccz .LBB15_79
.LBB15_78:
	s_sendmsg sendmsg(MSG_DEALLOC_VGPRS)
	s_endpgm
.LBB15_79:
	s_wait_xcnt 0xf
	v_lshl_add_u32 v6, v1, 4, 0x100
	s_wait_xcnt 0x0
	s_mov_b32 s2, exec_lo
	v_cmpx_eq_u32_e32 15, v1
	s_cbranch_execz .LBB15_81
; %bb.80:
	scratch_load_b128 v[2:5], off, s26
	v_mov_b32_e32 v8, 0
	s_delay_alu instid0(VALU_DEP_1)
	v_dual_mov_b32 v9, v8 :: v_dual_mov_b32 v10, v8
	v_mov_b32_e32 v11, v8
	scratch_store_b128 off, v[8:11], off offset:224
	s_wait_loadcnt 0x0
	ds_store_b128 v6, v[2:5]
.LBB15_81:
	s_wait_xcnt 0x0
	s_or_b32 exec_lo, exec_lo, s2
	s_wait_storecnt_dscnt 0x0
	s_barrier_signal -1
	s_barrier_wait -1
	s_clause 0x1
	scratch_load_b128 v[8:11], off, off offset:240
	scratch_load_b128 v[46:49], off, off offset:224
	v_mov_b32_e32 v2, 0
	s_mov_b32 s2, exec_lo
	ds_load_b128 v[50:53], v2 offset:496
	s_wait_loadcnt_dscnt 0x100
	v_mul_f64_e32 v[4:5], v[52:53], v[10:11]
	v_mul_f64_e32 v[10:11], v[50:51], v[10:11]
	s_delay_alu instid0(VALU_DEP_2) | instskip(NEXT) | instid1(VALU_DEP_2)
	v_fma_f64 v[4:5], v[50:51], v[8:9], -v[4:5]
	v_fmac_f64_e32 v[10:11], v[52:53], v[8:9]
	s_delay_alu instid0(VALU_DEP_2) | instskip(NEXT) | instid1(VALU_DEP_2)
	v_add_f64_e32 v[4:5], 0, v[4:5]
	v_add_f64_e32 v[10:11], 0, v[10:11]
	s_wait_loadcnt 0x0
	s_delay_alu instid0(VALU_DEP_2) | instskip(NEXT) | instid1(VALU_DEP_2)
	v_add_f64_e64 v[8:9], v[46:47], -v[4:5]
	v_add_f64_e64 v[10:11], v[48:49], -v[10:11]
	scratch_store_b128 off, v[8:11], off offset:224
	s_wait_xcnt 0x0
	v_cmpx_lt_u32_e32 13, v1
	s_cbranch_execz .LBB15_83
; %bb.82:
	scratch_load_b128 v[8:11], off, s25
	v_dual_mov_b32 v3, v2 :: v_dual_mov_b32 v4, v2
	v_mov_b32_e32 v5, v2
	scratch_store_b128 off, v[2:5], off offset:208
	s_wait_loadcnt 0x0
	ds_store_b128 v6, v[8:11]
.LBB15_83:
	s_wait_xcnt 0x0
	s_or_b32 exec_lo, exec_lo, s2
	s_wait_storecnt_dscnt 0x0
	s_barrier_signal -1
	s_barrier_wait -1
	s_clause 0x2
	scratch_load_b128 v[8:11], off, off offset:224
	scratch_load_b128 v[46:49], off, off offset:240
	;; [unrolled: 1-line block ×3, first 2 shown]
	ds_load_b128 v[54:57], v2 offset:480
	ds_load_b128 v[2:5], v2 offset:496
	s_mov_b32 s2, exec_lo
	s_wait_loadcnt_dscnt 0x201
	v_mul_f64_e32 v[12:13], v[56:57], v[10:11]
	v_mul_f64_e32 v[10:11], v[54:55], v[10:11]
	s_wait_loadcnt_dscnt 0x100
	v_mul_f64_e32 v[58:59], v[2:3], v[48:49]
	v_mul_f64_e32 v[48:49], v[4:5], v[48:49]
	s_delay_alu instid0(VALU_DEP_4) | instskip(NEXT) | instid1(VALU_DEP_4)
	v_fma_f64 v[12:13], v[54:55], v[8:9], -v[12:13]
	v_fmac_f64_e32 v[10:11], v[56:57], v[8:9]
	s_delay_alu instid0(VALU_DEP_4) | instskip(NEXT) | instid1(VALU_DEP_4)
	v_fmac_f64_e32 v[58:59], v[4:5], v[46:47]
	v_fma_f64 v[2:3], v[2:3], v[46:47], -v[48:49]
	s_delay_alu instid0(VALU_DEP_4) | instskip(NEXT) | instid1(VALU_DEP_4)
	v_add_f64_e32 v[4:5], 0, v[12:13]
	v_add_f64_e32 v[8:9], 0, v[10:11]
	s_delay_alu instid0(VALU_DEP_2) | instskip(NEXT) | instid1(VALU_DEP_2)
	v_add_f64_e32 v[2:3], v[4:5], v[2:3]
	v_add_f64_e32 v[4:5], v[8:9], v[58:59]
	s_wait_loadcnt 0x0
	s_delay_alu instid0(VALU_DEP_2) | instskip(NEXT) | instid1(VALU_DEP_2)
	v_add_f64_e64 v[2:3], v[50:51], -v[2:3]
	v_add_f64_e64 v[4:5], v[52:53], -v[4:5]
	scratch_store_b128 off, v[2:5], off offset:208
	s_wait_xcnt 0x0
	v_cmpx_lt_u32_e32 12, v1
	s_cbranch_execz .LBB15_85
; %bb.84:
	scratch_load_b128 v[2:5], off, s23
	v_mov_b32_e32 v8, 0
	s_delay_alu instid0(VALU_DEP_1)
	v_dual_mov_b32 v9, v8 :: v_dual_mov_b32 v10, v8
	v_mov_b32_e32 v11, v8
	scratch_store_b128 off, v[8:11], off offset:192
	s_wait_loadcnt 0x0
	ds_store_b128 v6, v[2:5]
.LBB15_85:
	s_wait_xcnt 0x0
	s_or_b32 exec_lo, exec_lo, s2
	s_wait_storecnt_dscnt 0x0
	s_barrier_signal -1
	s_barrier_wait -1
	s_clause 0x3
	scratch_load_b128 v[8:11], off, off offset:208
	scratch_load_b128 v[46:49], off, off offset:224
	;; [unrolled: 1-line block ×4, first 2 shown]
	v_mov_b32_e32 v2, 0
	ds_load_b128 v[58:61], v2 offset:464
	ds_load_b128 v[62:65], v2 offset:480
	s_mov_b32 s2, exec_lo
	s_wait_loadcnt_dscnt 0x301
	v_mul_f64_e32 v[4:5], v[60:61], v[10:11]
	v_mul_f64_e32 v[12:13], v[58:59], v[10:11]
	s_wait_loadcnt_dscnt 0x200
	v_mul_f64_e32 v[66:67], v[62:63], v[48:49]
	v_mul_f64_e32 v[48:49], v[64:65], v[48:49]
	s_delay_alu instid0(VALU_DEP_4) | instskip(NEXT) | instid1(VALU_DEP_4)
	v_fma_f64 v[4:5], v[58:59], v[8:9], -v[4:5]
	v_fmac_f64_e32 v[12:13], v[60:61], v[8:9]
	ds_load_b128 v[8:11], v2 offset:496
	v_fmac_f64_e32 v[66:67], v[64:65], v[46:47]
	v_fma_f64 v[46:47], v[62:63], v[46:47], -v[48:49]
	s_wait_loadcnt_dscnt 0x100
	v_mul_f64_e32 v[58:59], v[8:9], v[52:53]
	v_mul_f64_e32 v[52:53], v[10:11], v[52:53]
	v_add_f64_e32 v[4:5], 0, v[4:5]
	v_add_f64_e32 v[12:13], 0, v[12:13]
	s_delay_alu instid0(VALU_DEP_4) | instskip(NEXT) | instid1(VALU_DEP_4)
	v_fmac_f64_e32 v[58:59], v[10:11], v[50:51]
	v_fma_f64 v[8:9], v[8:9], v[50:51], -v[52:53]
	s_delay_alu instid0(VALU_DEP_4) | instskip(NEXT) | instid1(VALU_DEP_4)
	v_add_f64_e32 v[4:5], v[4:5], v[46:47]
	v_add_f64_e32 v[10:11], v[12:13], v[66:67]
	s_delay_alu instid0(VALU_DEP_2) | instskip(NEXT) | instid1(VALU_DEP_2)
	v_add_f64_e32 v[4:5], v[4:5], v[8:9]
	v_add_f64_e32 v[10:11], v[10:11], v[58:59]
	s_wait_loadcnt 0x0
	s_delay_alu instid0(VALU_DEP_2) | instskip(NEXT) | instid1(VALU_DEP_2)
	v_add_f64_e64 v[8:9], v[54:55], -v[4:5]
	v_add_f64_e64 v[10:11], v[56:57], -v[10:11]
	scratch_store_b128 off, v[8:11], off offset:192
	s_wait_xcnt 0x0
	v_cmpx_lt_u32_e32 11, v1
	s_cbranch_execz .LBB15_87
; %bb.86:
	scratch_load_b128 v[8:11], off, s22
	v_dual_mov_b32 v3, v2 :: v_dual_mov_b32 v4, v2
	v_mov_b32_e32 v5, v2
	scratch_store_b128 off, v[2:5], off offset:176
	s_wait_loadcnt 0x0
	ds_store_b128 v6, v[8:11]
.LBB15_87:
	s_wait_xcnt 0x0
	s_or_b32 exec_lo, exec_lo, s2
	s_wait_storecnt_dscnt 0x0
	s_barrier_signal -1
	s_barrier_wait -1
	s_clause 0x4
	scratch_load_b128 v[8:11], off, off offset:192
	scratch_load_b128 v[46:49], off, off offset:208
	;; [unrolled: 1-line block ×5, first 2 shown]
	ds_load_b128 v[62:65], v2 offset:448
	ds_load_b128 v[66:69], v2 offset:464
	s_mov_b32 s2, exec_lo
	s_wait_loadcnt_dscnt 0x401
	v_mul_f64_e32 v[4:5], v[64:65], v[10:11]
	v_mul_f64_e32 v[12:13], v[62:63], v[10:11]
	s_wait_loadcnt_dscnt 0x300
	v_mul_f64_e32 v[70:71], v[66:67], v[48:49]
	v_mul_f64_e32 v[48:49], v[68:69], v[48:49]
	s_delay_alu instid0(VALU_DEP_4) | instskip(NEXT) | instid1(VALU_DEP_4)
	v_fma_f64 v[62:63], v[62:63], v[8:9], -v[4:5]
	v_fmac_f64_e32 v[12:13], v[64:65], v[8:9]
	ds_load_b128 v[8:11], v2 offset:480
	ds_load_b128 v[2:5], v2 offset:496
	v_fmac_f64_e32 v[70:71], v[68:69], v[46:47]
	v_fma_f64 v[46:47], v[66:67], v[46:47], -v[48:49]
	s_wait_loadcnt_dscnt 0x201
	v_mul_f64_e32 v[64:65], v[8:9], v[52:53]
	v_mul_f64_e32 v[52:53], v[10:11], v[52:53]
	v_add_f64_e32 v[48:49], 0, v[62:63]
	v_add_f64_e32 v[12:13], 0, v[12:13]
	s_wait_loadcnt_dscnt 0x100
	v_mul_f64_e32 v[62:63], v[2:3], v[56:57]
	v_mul_f64_e32 v[56:57], v[4:5], v[56:57]
	v_fmac_f64_e32 v[64:65], v[10:11], v[50:51]
	v_fma_f64 v[8:9], v[8:9], v[50:51], -v[52:53]
	v_add_f64_e32 v[10:11], v[48:49], v[46:47]
	v_add_f64_e32 v[12:13], v[12:13], v[70:71]
	v_fmac_f64_e32 v[62:63], v[4:5], v[54:55]
	v_fma_f64 v[2:3], v[2:3], v[54:55], -v[56:57]
	s_delay_alu instid0(VALU_DEP_4) | instskip(NEXT) | instid1(VALU_DEP_4)
	v_add_f64_e32 v[4:5], v[10:11], v[8:9]
	v_add_f64_e32 v[8:9], v[12:13], v[64:65]
	s_delay_alu instid0(VALU_DEP_2) | instskip(NEXT) | instid1(VALU_DEP_2)
	v_add_f64_e32 v[2:3], v[4:5], v[2:3]
	v_add_f64_e32 v[4:5], v[8:9], v[62:63]
	s_wait_loadcnt 0x0
	s_delay_alu instid0(VALU_DEP_2) | instskip(NEXT) | instid1(VALU_DEP_2)
	v_add_f64_e64 v[2:3], v[58:59], -v[2:3]
	v_add_f64_e64 v[4:5], v[60:61], -v[4:5]
	scratch_store_b128 off, v[2:5], off offset:176
	s_wait_xcnt 0x0
	v_cmpx_lt_u32_e32 10, v1
	s_cbranch_execz .LBB15_89
; %bb.88:
	scratch_load_b128 v[2:5], off, s21
	v_mov_b32_e32 v8, 0
	s_delay_alu instid0(VALU_DEP_1)
	v_dual_mov_b32 v9, v8 :: v_dual_mov_b32 v10, v8
	v_mov_b32_e32 v11, v8
	scratch_store_b128 off, v[8:11], off offset:160
	s_wait_loadcnt 0x0
	ds_store_b128 v6, v[2:5]
.LBB15_89:
	s_wait_xcnt 0x0
	s_or_b32 exec_lo, exec_lo, s2
	s_wait_storecnt_dscnt 0x0
	s_barrier_signal -1
	s_barrier_wait -1
	s_clause 0x5
	scratch_load_b128 v[8:11], off, off offset:176
	scratch_load_b128 v[46:49], off, off offset:192
	;; [unrolled: 1-line block ×6, first 2 shown]
	v_mov_b32_e32 v2, 0
	ds_load_b128 v[66:69], v2 offset:432
	ds_load_b128 v[70:73], v2 offset:448
	s_mov_b32 s2, exec_lo
	s_wait_loadcnt_dscnt 0x501
	v_mul_f64_e32 v[4:5], v[68:69], v[10:11]
	v_mul_f64_e32 v[12:13], v[66:67], v[10:11]
	s_wait_loadcnt_dscnt 0x400
	v_mul_f64_e32 v[74:75], v[70:71], v[48:49]
	v_mul_f64_e32 v[48:49], v[72:73], v[48:49]
	s_delay_alu instid0(VALU_DEP_4) | instskip(NEXT) | instid1(VALU_DEP_4)
	v_fma_f64 v[4:5], v[66:67], v[8:9], -v[4:5]
	v_fmac_f64_e32 v[12:13], v[68:69], v[8:9]
	ds_load_b128 v[8:11], v2 offset:464
	ds_load_b128 v[66:69], v2 offset:480
	v_fmac_f64_e32 v[74:75], v[72:73], v[46:47]
	v_fma_f64 v[46:47], v[70:71], v[46:47], -v[48:49]
	s_wait_loadcnt_dscnt 0x301
	v_mul_f64_e32 v[76:77], v[8:9], v[52:53]
	v_mul_f64_e32 v[52:53], v[10:11], v[52:53]
	s_wait_loadcnt_dscnt 0x200
	v_mul_f64_e32 v[48:49], v[66:67], v[56:57]
	v_mul_f64_e32 v[56:57], v[68:69], v[56:57]
	v_add_f64_e32 v[4:5], 0, v[4:5]
	v_add_f64_e32 v[12:13], 0, v[12:13]
	v_fmac_f64_e32 v[76:77], v[10:11], v[50:51]
	v_fma_f64 v[50:51], v[8:9], v[50:51], -v[52:53]
	ds_load_b128 v[8:11], v2 offset:496
	v_fmac_f64_e32 v[48:49], v[68:69], v[54:55]
	v_fma_f64 v[54:55], v[66:67], v[54:55], -v[56:57]
	v_add_f64_e32 v[4:5], v[4:5], v[46:47]
	v_add_f64_e32 v[12:13], v[12:13], v[74:75]
	s_wait_loadcnt_dscnt 0x100
	v_mul_f64_e32 v[46:47], v[8:9], v[60:61]
	v_mul_f64_e32 v[52:53], v[10:11], v[60:61]
	s_delay_alu instid0(VALU_DEP_4) | instskip(NEXT) | instid1(VALU_DEP_4)
	v_add_f64_e32 v[4:5], v[4:5], v[50:51]
	v_add_f64_e32 v[12:13], v[12:13], v[76:77]
	s_delay_alu instid0(VALU_DEP_4) | instskip(NEXT) | instid1(VALU_DEP_4)
	v_fmac_f64_e32 v[46:47], v[10:11], v[58:59]
	v_fma_f64 v[8:9], v[8:9], v[58:59], -v[52:53]
	s_delay_alu instid0(VALU_DEP_4) | instskip(NEXT) | instid1(VALU_DEP_4)
	v_add_f64_e32 v[4:5], v[4:5], v[54:55]
	v_add_f64_e32 v[10:11], v[12:13], v[48:49]
	s_delay_alu instid0(VALU_DEP_2) | instskip(NEXT) | instid1(VALU_DEP_2)
	v_add_f64_e32 v[4:5], v[4:5], v[8:9]
	v_add_f64_e32 v[10:11], v[10:11], v[46:47]
	s_wait_loadcnt 0x0
	s_delay_alu instid0(VALU_DEP_2) | instskip(NEXT) | instid1(VALU_DEP_2)
	v_add_f64_e64 v[8:9], v[62:63], -v[4:5]
	v_add_f64_e64 v[10:11], v[64:65], -v[10:11]
	scratch_store_b128 off, v[8:11], off offset:160
	s_wait_xcnt 0x0
	v_cmpx_lt_u32_e32 9, v1
	s_cbranch_execz .LBB15_91
; %bb.90:
	scratch_load_b128 v[8:11], off, s14
	v_dual_mov_b32 v3, v2 :: v_dual_mov_b32 v4, v2
	v_mov_b32_e32 v5, v2
	scratch_store_b128 off, v[2:5], off offset:144
	s_wait_loadcnt 0x0
	ds_store_b128 v6, v[8:11]
.LBB15_91:
	s_wait_xcnt 0x0
	s_or_b32 exec_lo, exec_lo, s2
	s_wait_storecnt_dscnt 0x0
	s_barrier_signal -1
	s_barrier_wait -1
	s_clause 0x6
	scratch_load_b128 v[8:11], off, off offset:160
	scratch_load_b128 v[46:49], off, off offset:176
	;; [unrolled: 1-line block ×7, first 2 shown]
	ds_load_b128 v[70:73], v2 offset:416
	ds_load_b128 v[74:77], v2 offset:432
	s_mov_b32 s2, exec_lo
	s_wait_loadcnt_dscnt 0x601
	v_mul_f64_e32 v[4:5], v[72:73], v[10:11]
	v_mul_f64_e32 v[12:13], v[70:71], v[10:11]
	s_wait_loadcnt_dscnt 0x500
	v_mul_f64_e32 v[78:79], v[74:75], v[48:49]
	v_mul_f64_e32 v[48:49], v[76:77], v[48:49]
	s_delay_alu instid0(VALU_DEP_4) | instskip(NEXT) | instid1(VALU_DEP_4)
	v_fma_f64 v[4:5], v[70:71], v[8:9], -v[4:5]
	v_fmac_f64_e32 v[12:13], v[72:73], v[8:9]
	ds_load_b128 v[8:11], v2 offset:448
	ds_load_b128 v[70:73], v2 offset:464
	v_fmac_f64_e32 v[78:79], v[76:77], v[46:47]
	v_fma_f64 v[46:47], v[74:75], v[46:47], -v[48:49]
	s_wait_loadcnt_dscnt 0x401
	v_mul_f64_e32 v[80:81], v[8:9], v[52:53]
	v_mul_f64_e32 v[52:53], v[10:11], v[52:53]
	s_wait_loadcnt_dscnt 0x300
	v_mul_f64_e32 v[48:49], v[70:71], v[56:57]
	v_mul_f64_e32 v[56:57], v[72:73], v[56:57]
	v_add_f64_e32 v[4:5], 0, v[4:5]
	v_add_f64_e32 v[12:13], 0, v[12:13]
	v_fmac_f64_e32 v[80:81], v[10:11], v[50:51]
	v_fma_f64 v[50:51], v[8:9], v[50:51], -v[52:53]
	v_fmac_f64_e32 v[48:49], v[72:73], v[54:55]
	v_fma_f64 v[54:55], v[70:71], v[54:55], -v[56:57]
	v_add_f64_e32 v[46:47], v[4:5], v[46:47]
	v_add_f64_e32 v[12:13], v[12:13], v[78:79]
	ds_load_b128 v[8:11], v2 offset:480
	ds_load_b128 v[2:5], v2 offset:496
	s_wait_loadcnt_dscnt 0x201
	v_mul_f64_e32 v[52:53], v[8:9], v[60:61]
	v_mul_f64_e32 v[60:61], v[10:11], v[60:61]
	s_wait_loadcnt_dscnt 0x100
	v_mul_f64_e32 v[56:57], v[4:5], v[64:65]
	v_add_f64_e32 v[46:47], v[46:47], v[50:51]
	v_add_f64_e32 v[12:13], v[12:13], v[80:81]
	v_mul_f64_e32 v[50:51], v[2:3], v[64:65]
	v_fmac_f64_e32 v[52:53], v[10:11], v[58:59]
	v_fma_f64 v[8:9], v[8:9], v[58:59], -v[60:61]
	v_fma_f64 v[2:3], v[2:3], v[62:63], -v[56:57]
	v_add_f64_e32 v[10:11], v[46:47], v[54:55]
	v_add_f64_e32 v[12:13], v[12:13], v[48:49]
	v_fmac_f64_e32 v[50:51], v[4:5], v[62:63]
	s_delay_alu instid0(VALU_DEP_3) | instskip(NEXT) | instid1(VALU_DEP_3)
	v_add_f64_e32 v[4:5], v[10:11], v[8:9]
	v_add_f64_e32 v[8:9], v[12:13], v[52:53]
	s_delay_alu instid0(VALU_DEP_2) | instskip(NEXT) | instid1(VALU_DEP_2)
	v_add_f64_e32 v[2:3], v[4:5], v[2:3]
	v_add_f64_e32 v[4:5], v[8:9], v[50:51]
	s_wait_loadcnt 0x0
	s_delay_alu instid0(VALU_DEP_2) | instskip(NEXT) | instid1(VALU_DEP_2)
	v_add_f64_e64 v[2:3], v[66:67], -v[2:3]
	v_add_f64_e64 v[4:5], v[68:69], -v[4:5]
	scratch_store_b128 off, v[2:5], off offset:144
	s_wait_xcnt 0x0
	v_cmpx_lt_u32_e32 8, v1
	s_cbranch_execz .LBB15_93
; %bb.92:
	scratch_load_b128 v[2:5], off, s12
	v_mov_b32_e32 v8, 0
	s_delay_alu instid0(VALU_DEP_1)
	v_dual_mov_b32 v9, v8 :: v_dual_mov_b32 v10, v8
	v_mov_b32_e32 v11, v8
	scratch_store_b128 off, v[8:11], off offset:128
	s_wait_loadcnt 0x0
	ds_store_b128 v6, v[2:5]
.LBB15_93:
	s_wait_xcnt 0x0
	s_or_b32 exec_lo, exec_lo, s2
	s_wait_storecnt_dscnt 0x0
	s_barrier_signal -1
	s_barrier_wait -1
	s_clause 0x7
	scratch_load_b128 v[8:11], off, off offset:144
	scratch_load_b128 v[46:49], off, off offset:160
	;; [unrolled: 1-line block ×8, first 2 shown]
	v_mov_b32_e32 v2, 0
	ds_load_b128 v[74:77], v2 offset:400
	ds_load_b128 v[78:81], v2 offset:416
	s_mov_b32 s2, exec_lo
	s_wait_loadcnt_dscnt 0x701
	v_mul_f64_e32 v[4:5], v[76:77], v[10:11]
	v_mul_f64_e32 v[12:13], v[74:75], v[10:11]
	s_wait_loadcnt_dscnt 0x600
	v_mul_f64_e32 v[82:83], v[78:79], v[48:49]
	v_mul_f64_e32 v[48:49], v[80:81], v[48:49]
	s_delay_alu instid0(VALU_DEP_4) | instskip(NEXT) | instid1(VALU_DEP_4)
	v_fma_f64 v[4:5], v[74:75], v[8:9], -v[4:5]
	v_fmac_f64_e32 v[12:13], v[76:77], v[8:9]
	ds_load_b128 v[8:11], v2 offset:432
	ds_load_b128 v[74:77], v2 offset:448
	v_fmac_f64_e32 v[82:83], v[80:81], v[46:47]
	v_fma_f64 v[46:47], v[78:79], v[46:47], -v[48:49]
	s_wait_loadcnt_dscnt 0x501
	v_mul_f64_e32 v[84:85], v[8:9], v[52:53]
	v_mul_f64_e32 v[52:53], v[10:11], v[52:53]
	s_wait_loadcnt_dscnt 0x400
	v_mul_f64_e32 v[78:79], v[74:75], v[56:57]
	v_mul_f64_e32 v[56:57], v[76:77], v[56:57]
	v_add_f64_e32 v[4:5], 0, v[4:5]
	v_add_f64_e32 v[12:13], 0, v[12:13]
	v_fmac_f64_e32 v[84:85], v[10:11], v[50:51]
	v_fma_f64 v[50:51], v[8:9], v[50:51], -v[52:53]
	v_fmac_f64_e32 v[78:79], v[76:77], v[54:55]
	v_fma_f64 v[54:55], v[74:75], v[54:55], -v[56:57]
	v_add_f64_e32 v[4:5], v[4:5], v[46:47]
	v_add_f64_e32 v[12:13], v[12:13], v[82:83]
	ds_load_b128 v[8:11], v2 offset:464
	ds_load_b128 v[46:49], v2 offset:480
	s_wait_loadcnt_dscnt 0x301
	v_mul_f64_e32 v[52:53], v[8:9], v[60:61]
	v_mul_f64_e32 v[60:61], v[10:11], v[60:61]
	s_wait_loadcnt_dscnt 0x200
	v_mul_f64_e32 v[56:57], v[48:49], v[64:65]
	v_add_f64_e32 v[4:5], v[4:5], v[50:51]
	v_add_f64_e32 v[12:13], v[12:13], v[84:85]
	v_mul_f64_e32 v[50:51], v[46:47], v[64:65]
	v_fmac_f64_e32 v[52:53], v[10:11], v[58:59]
	v_fma_f64 v[58:59], v[8:9], v[58:59], -v[60:61]
	ds_load_b128 v[8:11], v2 offset:496
	v_fma_f64 v[46:47], v[46:47], v[62:63], -v[56:57]
	v_add_f64_e32 v[4:5], v[4:5], v[54:55]
	v_add_f64_e32 v[12:13], v[12:13], v[78:79]
	v_fmac_f64_e32 v[50:51], v[48:49], v[62:63]
	s_wait_loadcnt_dscnt 0x100
	v_mul_f64_e32 v[54:55], v[8:9], v[68:69]
	v_mul_f64_e32 v[60:61], v[10:11], v[68:69]
	v_add_f64_e32 v[4:5], v[4:5], v[58:59]
	v_add_f64_e32 v[12:13], v[12:13], v[52:53]
	s_delay_alu instid0(VALU_DEP_4) | instskip(NEXT) | instid1(VALU_DEP_4)
	v_fmac_f64_e32 v[54:55], v[10:11], v[66:67]
	v_fma_f64 v[8:9], v[8:9], v[66:67], -v[60:61]
	s_delay_alu instid0(VALU_DEP_4) | instskip(NEXT) | instid1(VALU_DEP_4)
	v_add_f64_e32 v[4:5], v[4:5], v[46:47]
	v_add_f64_e32 v[10:11], v[12:13], v[50:51]
	s_delay_alu instid0(VALU_DEP_2) | instskip(NEXT) | instid1(VALU_DEP_2)
	v_add_f64_e32 v[4:5], v[4:5], v[8:9]
	v_add_f64_e32 v[10:11], v[10:11], v[54:55]
	s_wait_loadcnt 0x0
	s_delay_alu instid0(VALU_DEP_2) | instskip(NEXT) | instid1(VALU_DEP_2)
	v_add_f64_e64 v[8:9], v[70:71], -v[4:5]
	v_add_f64_e64 v[10:11], v[72:73], -v[10:11]
	scratch_store_b128 off, v[8:11], off offset:128
	s_wait_xcnt 0x0
	v_cmpx_lt_u32_e32 7, v1
	s_cbranch_execz .LBB15_95
; %bb.94:
	scratch_load_b128 v[8:11], off, s20
	v_dual_mov_b32 v3, v2 :: v_dual_mov_b32 v4, v2
	v_mov_b32_e32 v5, v2
	scratch_store_b128 off, v[2:5], off offset:112
	s_wait_loadcnt 0x0
	ds_store_b128 v6, v[8:11]
.LBB15_95:
	s_wait_xcnt 0x0
	s_or_b32 exec_lo, exec_lo, s2
	s_wait_storecnt_dscnt 0x0
	s_barrier_signal -1
	s_barrier_wait -1
	s_clause 0x7
	scratch_load_b128 v[8:11], off, off offset:128
	scratch_load_b128 v[46:49], off, off offset:144
	;; [unrolled: 1-line block ×8, first 2 shown]
	ds_load_b128 v[74:77], v2 offset:384
	ds_load_b128 v[78:81], v2 offset:400
	scratch_load_b128 v[82:85], off, off offset:112
	s_mov_b32 s2, exec_lo
	s_wait_loadcnt_dscnt 0x801
	v_mul_f64_e32 v[4:5], v[76:77], v[10:11]
	v_mul_f64_e32 v[12:13], v[74:75], v[10:11]
	s_wait_loadcnt_dscnt 0x700
	v_mul_f64_e32 v[86:87], v[78:79], v[48:49]
	v_mul_f64_e32 v[48:49], v[80:81], v[48:49]
	s_delay_alu instid0(VALU_DEP_4) | instskip(NEXT) | instid1(VALU_DEP_4)
	v_fma_f64 v[4:5], v[74:75], v[8:9], -v[4:5]
	v_fmac_f64_e32 v[12:13], v[76:77], v[8:9]
	ds_load_b128 v[8:11], v2 offset:416
	ds_load_b128 v[74:77], v2 offset:432
	v_fmac_f64_e32 v[86:87], v[80:81], v[46:47]
	v_fma_f64 v[46:47], v[78:79], v[46:47], -v[48:49]
	s_wait_loadcnt_dscnt 0x601
	v_mul_f64_e32 v[88:89], v[8:9], v[52:53]
	v_mul_f64_e32 v[52:53], v[10:11], v[52:53]
	s_wait_loadcnt_dscnt 0x500
	v_mul_f64_e32 v[78:79], v[74:75], v[56:57]
	v_mul_f64_e32 v[56:57], v[76:77], v[56:57]
	v_add_f64_e32 v[4:5], 0, v[4:5]
	v_add_f64_e32 v[12:13], 0, v[12:13]
	v_fmac_f64_e32 v[88:89], v[10:11], v[50:51]
	v_fma_f64 v[50:51], v[8:9], v[50:51], -v[52:53]
	v_fmac_f64_e32 v[78:79], v[76:77], v[54:55]
	v_fma_f64 v[54:55], v[74:75], v[54:55], -v[56:57]
	v_add_f64_e32 v[4:5], v[4:5], v[46:47]
	v_add_f64_e32 v[12:13], v[12:13], v[86:87]
	ds_load_b128 v[8:11], v2 offset:448
	ds_load_b128 v[46:49], v2 offset:464
	s_wait_loadcnt_dscnt 0x401
	v_mul_f64_e32 v[52:53], v[8:9], v[60:61]
	v_mul_f64_e32 v[60:61], v[10:11], v[60:61]
	s_wait_loadcnt_dscnt 0x300
	v_mul_f64_e32 v[56:57], v[48:49], v[64:65]
	v_add_f64_e32 v[4:5], v[4:5], v[50:51]
	v_add_f64_e32 v[12:13], v[12:13], v[88:89]
	v_mul_f64_e32 v[50:51], v[46:47], v[64:65]
	v_fmac_f64_e32 v[52:53], v[10:11], v[58:59]
	v_fma_f64 v[58:59], v[8:9], v[58:59], -v[60:61]
	v_fma_f64 v[46:47], v[46:47], v[62:63], -v[56:57]
	v_add_f64_e32 v[54:55], v[4:5], v[54:55]
	v_add_f64_e32 v[12:13], v[12:13], v[78:79]
	ds_load_b128 v[8:11], v2 offset:480
	ds_load_b128 v[2:5], v2 offset:496
	v_fmac_f64_e32 v[50:51], v[48:49], v[62:63]
	s_wait_loadcnt_dscnt 0x201
	v_mul_f64_e32 v[60:61], v[8:9], v[68:69]
	v_mul_f64_e32 v[64:65], v[10:11], v[68:69]
	v_add_f64_e32 v[48:49], v[54:55], v[58:59]
	v_add_f64_e32 v[12:13], v[12:13], v[52:53]
	s_wait_loadcnt_dscnt 0x100
	v_mul_f64_e32 v[52:53], v[2:3], v[72:73]
	v_mul_f64_e32 v[54:55], v[4:5], v[72:73]
	v_fmac_f64_e32 v[60:61], v[10:11], v[66:67]
	v_fma_f64 v[8:9], v[8:9], v[66:67], -v[64:65]
	v_add_f64_e32 v[10:11], v[48:49], v[46:47]
	v_add_f64_e32 v[12:13], v[12:13], v[50:51]
	v_fmac_f64_e32 v[52:53], v[4:5], v[70:71]
	v_fma_f64 v[2:3], v[2:3], v[70:71], -v[54:55]
	s_delay_alu instid0(VALU_DEP_4) | instskip(NEXT) | instid1(VALU_DEP_4)
	v_add_f64_e32 v[4:5], v[10:11], v[8:9]
	v_add_f64_e32 v[8:9], v[12:13], v[60:61]
	s_delay_alu instid0(VALU_DEP_2) | instskip(NEXT) | instid1(VALU_DEP_2)
	v_add_f64_e32 v[2:3], v[4:5], v[2:3]
	v_add_f64_e32 v[4:5], v[8:9], v[52:53]
	s_wait_loadcnt 0x0
	s_delay_alu instid0(VALU_DEP_2) | instskip(NEXT) | instid1(VALU_DEP_2)
	v_add_f64_e64 v[2:3], v[82:83], -v[2:3]
	v_add_f64_e64 v[4:5], v[84:85], -v[4:5]
	scratch_store_b128 off, v[2:5], off offset:112
	s_wait_xcnt 0x0
	v_cmpx_lt_u32_e32 6, v1
	s_cbranch_execz .LBB15_97
; %bb.96:
	scratch_load_b128 v[2:5], off, s15
	v_mov_b32_e32 v8, 0
	s_delay_alu instid0(VALU_DEP_1)
	v_dual_mov_b32 v9, v8 :: v_dual_mov_b32 v10, v8
	v_mov_b32_e32 v11, v8
	scratch_store_b128 off, v[8:11], off offset:96
	s_wait_loadcnt 0x0
	ds_store_b128 v6, v[2:5]
.LBB15_97:
	s_wait_xcnt 0x0
	s_or_b32 exec_lo, exec_lo, s2
	s_wait_storecnt_dscnt 0x0
	s_barrier_signal -1
	s_barrier_wait -1
	s_clause 0x8
	scratch_load_b128 v[8:11], off, off offset:112
	scratch_load_b128 v[46:49], off, off offset:128
	;; [unrolled: 1-line block ×9, first 2 shown]
	v_mov_b32_e32 v2, 0
	scratch_load_b128 v[82:85], off, off offset:96
	s_mov_b32 s2, exec_lo
	ds_load_b128 v[78:81], v2 offset:368
	ds_load_b128 v[86:89], v2 offset:384
	s_wait_loadcnt_dscnt 0x901
	v_mul_f64_e32 v[4:5], v[80:81], v[10:11]
	v_mul_f64_e32 v[12:13], v[78:79], v[10:11]
	s_wait_loadcnt_dscnt 0x800
	v_mul_f64_e32 v[90:91], v[86:87], v[48:49]
	v_mul_f64_e32 v[48:49], v[88:89], v[48:49]
	s_delay_alu instid0(VALU_DEP_4) | instskip(NEXT) | instid1(VALU_DEP_4)
	v_fma_f64 v[4:5], v[78:79], v[8:9], -v[4:5]
	v_fmac_f64_e32 v[12:13], v[80:81], v[8:9]
	ds_load_b128 v[8:11], v2 offset:400
	ds_load_b128 v[78:81], v2 offset:416
	v_fmac_f64_e32 v[90:91], v[88:89], v[46:47]
	v_fma_f64 v[46:47], v[86:87], v[46:47], -v[48:49]
	s_wait_loadcnt_dscnt 0x701
	v_mul_f64_e32 v[92:93], v[8:9], v[52:53]
	v_mul_f64_e32 v[52:53], v[10:11], v[52:53]
	s_wait_loadcnt_dscnt 0x600
	v_mul_f64_e32 v[86:87], v[78:79], v[56:57]
	v_mul_f64_e32 v[56:57], v[80:81], v[56:57]
	v_add_f64_e32 v[4:5], 0, v[4:5]
	v_add_f64_e32 v[12:13], 0, v[12:13]
	v_fmac_f64_e32 v[92:93], v[10:11], v[50:51]
	v_fma_f64 v[50:51], v[8:9], v[50:51], -v[52:53]
	v_fmac_f64_e32 v[86:87], v[80:81], v[54:55]
	v_fma_f64 v[54:55], v[78:79], v[54:55], -v[56:57]
	v_add_f64_e32 v[4:5], v[4:5], v[46:47]
	v_add_f64_e32 v[12:13], v[12:13], v[90:91]
	ds_load_b128 v[8:11], v2 offset:432
	ds_load_b128 v[46:49], v2 offset:448
	s_wait_loadcnt_dscnt 0x501
	v_mul_f64_e32 v[88:89], v[8:9], v[60:61]
	v_mul_f64_e32 v[52:53], v[10:11], v[60:61]
	s_wait_loadcnt_dscnt 0x400
	v_mul_f64_e32 v[56:57], v[46:47], v[64:65]
	v_mul_f64_e32 v[60:61], v[48:49], v[64:65]
	v_add_f64_e32 v[4:5], v[4:5], v[50:51]
	v_add_f64_e32 v[12:13], v[12:13], v[92:93]
	v_fmac_f64_e32 v[88:89], v[10:11], v[58:59]
	v_fma_f64 v[58:59], v[8:9], v[58:59], -v[52:53]
	ds_load_b128 v[8:11], v2 offset:464
	ds_load_b128 v[50:53], v2 offset:480
	v_fmac_f64_e32 v[56:57], v[48:49], v[62:63]
	v_fma_f64 v[46:47], v[46:47], v[62:63], -v[60:61]
	v_add_f64_e32 v[4:5], v[4:5], v[54:55]
	v_add_f64_e32 v[12:13], v[12:13], v[86:87]
	s_wait_loadcnt_dscnt 0x301
	v_mul_f64_e32 v[54:55], v[8:9], v[68:69]
	v_mul_f64_e32 v[64:65], v[10:11], v[68:69]
	s_wait_loadcnt_dscnt 0x200
	v_mul_f64_e32 v[48:49], v[50:51], v[72:73]
	v_add_f64_e32 v[4:5], v[4:5], v[58:59]
	v_add_f64_e32 v[12:13], v[12:13], v[88:89]
	v_mul_f64_e32 v[58:59], v[52:53], v[72:73]
	v_fmac_f64_e32 v[54:55], v[10:11], v[66:67]
	v_fma_f64 v[60:61], v[8:9], v[66:67], -v[64:65]
	ds_load_b128 v[8:11], v2 offset:496
	v_fmac_f64_e32 v[48:49], v[52:53], v[70:71]
	v_add_f64_e32 v[4:5], v[4:5], v[46:47]
	v_add_f64_e32 v[12:13], v[12:13], v[56:57]
	s_wait_loadcnt_dscnt 0x100
	v_mul_f64_e32 v[46:47], v[8:9], v[76:77]
	v_mul_f64_e32 v[56:57], v[10:11], v[76:77]
	v_fma_f64 v[50:51], v[50:51], v[70:71], -v[58:59]
	v_add_f64_e32 v[4:5], v[4:5], v[60:61]
	v_add_f64_e32 v[12:13], v[12:13], v[54:55]
	v_fmac_f64_e32 v[46:47], v[10:11], v[74:75]
	v_fma_f64 v[8:9], v[8:9], v[74:75], -v[56:57]
	s_delay_alu instid0(VALU_DEP_4) | instskip(NEXT) | instid1(VALU_DEP_4)
	v_add_f64_e32 v[4:5], v[4:5], v[50:51]
	v_add_f64_e32 v[10:11], v[12:13], v[48:49]
	s_delay_alu instid0(VALU_DEP_2) | instskip(NEXT) | instid1(VALU_DEP_2)
	v_add_f64_e32 v[4:5], v[4:5], v[8:9]
	v_add_f64_e32 v[10:11], v[10:11], v[46:47]
	s_wait_loadcnt 0x0
	s_delay_alu instid0(VALU_DEP_2) | instskip(NEXT) | instid1(VALU_DEP_2)
	v_add_f64_e64 v[8:9], v[82:83], -v[4:5]
	v_add_f64_e64 v[10:11], v[84:85], -v[10:11]
	scratch_store_b128 off, v[8:11], off offset:96
	s_wait_xcnt 0x0
	v_cmpx_lt_u32_e32 5, v1
	s_cbranch_execz .LBB15_99
; %bb.98:
	scratch_load_b128 v[8:11], off, s13
	v_dual_mov_b32 v3, v2 :: v_dual_mov_b32 v4, v2
	v_mov_b32_e32 v5, v2
	scratch_store_b128 off, v[2:5], off offset:80
	s_wait_loadcnt 0x0
	ds_store_b128 v6, v[8:11]
.LBB15_99:
	s_wait_xcnt 0x0
	s_or_b32 exec_lo, exec_lo, s2
	s_wait_storecnt_dscnt 0x0
	s_barrier_signal -1
	s_barrier_wait -1
	s_clause 0x9
	scratch_load_b128 v[8:11], off, off offset:96
	scratch_load_b128 v[46:49], off, off offset:112
	;; [unrolled: 1-line block ×10, first 2 shown]
	ds_load_b128 v[82:85], v2 offset:352
	ds_load_b128 v[86:89], v2 offset:368
	scratch_load_b128 v[90:93], off, off offset:80
	s_mov_b32 s2, exec_lo
	s_wait_loadcnt_dscnt 0xa01
	v_mul_f64_e32 v[4:5], v[84:85], v[10:11]
	v_mul_f64_e32 v[12:13], v[82:83], v[10:11]
	s_wait_loadcnt_dscnt 0x900
	v_mul_f64_e32 v[94:95], v[86:87], v[48:49]
	v_mul_f64_e32 v[48:49], v[88:89], v[48:49]
	s_delay_alu instid0(VALU_DEP_4) | instskip(NEXT) | instid1(VALU_DEP_4)
	v_fma_f64 v[4:5], v[82:83], v[8:9], -v[4:5]
	v_fmac_f64_e32 v[12:13], v[84:85], v[8:9]
	ds_load_b128 v[8:11], v2 offset:384
	ds_load_b128 v[82:85], v2 offset:400
	v_fmac_f64_e32 v[94:95], v[88:89], v[46:47]
	v_fma_f64 v[46:47], v[86:87], v[46:47], -v[48:49]
	s_wait_loadcnt_dscnt 0x801
	v_mul_f64_e32 v[96:97], v[8:9], v[52:53]
	v_mul_f64_e32 v[52:53], v[10:11], v[52:53]
	s_wait_loadcnt_dscnt 0x700
	v_mul_f64_e32 v[86:87], v[82:83], v[56:57]
	v_mul_f64_e32 v[56:57], v[84:85], v[56:57]
	v_add_f64_e32 v[4:5], 0, v[4:5]
	v_add_f64_e32 v[12:13], 0, v[12:13]
	v_fmac_f64_e32 v[96:97], v[10:11], v[50:51]
	v_fma_f64 v[50:51], v[8:9], v[50:51], -v[52:53]
	v_fmac_f64_e32 v[86:87], v[84:85], v[54:55]
	v_fma_f64 v[54:55], v[82:83], v[54:55], -v[56:57]
	v_add_f64_e32 v[4:5], v[4:5], v[46:47]
	v_add_f64_e32 v[12:13], v[12:13], v[94:95]
	ds_load_b128 v[8:11], v2 offset:416
	ds_load_b128 v[46:49], v2 offset:432
	s_wait_loadcnt_dscnt 0x601
	v_mul_f64_e32 v[88:89], v[8:9], v[60:61]
	v_mul_f64_e32 v[52:53], v[10:11], v[60:61]
	s_wait_loadcnt_dscnt 0x500
	v_mul_f64_e32 v[56:57], v[46:47], v[64:65]
	v_mul_f64_e32 v[60:61], v[48:49], v[64:65]
	v_add_f64_e32 v[4:5], v[4:5], v[50:51]
	v_add_f64_e32 v[12:13], v[12:13], v[96:97]
	v_fmac_f64_e32 v[88:89], v[10:11], v[58:59]
	v_fma_f64 v[58:59], v[8:9], v[58:59], -v[52:53]
	ds_load_b128 v[8:11], v2 offset:448
	ds_load_b128 v[50:53], v2 offset:464
	v_fmac_f64_e32 v[56:57], v[48:49], v[62:63]
	v_fma_f64 v[46:47], v[46:47], v[62:63], -v[60:61]
	v_add_f64_e32 v[4:5], v[4:5], v[54:55]
	v_add_f64_e32 v[12:13], v[12:13], v[86:87]
	s_wait_loadcnt_dscnt 0x401
	v_mul_f64_e32 v[54:55], v[8:9], v[68:69]
	v_mul_f64_e32 v[64:65], v[10:11], v[68:69]
	s_wait_loadcnt_dscnt 0x300
	v_mul_f64_e32 v[48:49], v[50:51], v[72:73]
	v_add_f64_e32 v[4:5], v[4:5], v[58:59]
	v_add_f64_e32 v[12:13], v[12:13], v[88:89]
	v_mul_f64_e32 v[58:59], v[52:53], v[72:73]
	v_fmac_f64_e32 v[54:55], v[10:11], v[66:67]
	v_fma_f64 v[60:61], v[8:9], v[66:67], -v[64:65]
	v_fmac_f64_e32 v[48:49], v[52:53], v[70:71]
	v_add_f64_e32 v[46:47], v[4:5], v[46:47]
	v_add_f64_e32 v[12:13], v[12:13], v[56:57]
	ds_load_b128 v[8:11], v2 offset:480
	ds_load_b128 v[2:5], v2 offset:496
	v_fma_f64 v[50:51], v[50:51], v[70:71], -v[58:59]
	s_wait_loadcnt_dscnt 0x201
	v_mul_f64_e32 v[56:57], v[8:9], v[76:77]
	v_mul_f64_e32 v[62:63], v[10:11], v[76:77]
	s_wait_loadcnt_dscnt 0x100
	v_mul_f64_e32 v[52:53], v[2:3], v[80:81]
	v_add_f64_e32 v[46:47], v[46:47], v[60:61]
	v_add_f64_e32 v[12:13], v[12:13], v[54:55]
	v_mul_f64_e32 v[54:55], v[4:5], v[80:81]
	v_fmac_f64_e32 v[56:57], v[10:11], v[74:75]
	v_fma_f64 v[8:9], v[8:9], v[74:75], -v[62:63]
	v_fmac_f64_e32 v[52:53], v[4:5], v[78:79]
	v_add_f64_e32 v[10:11], v[46:47], v[50:51]
	v_add_f64_e32 v[12:13], v[12:13], v[48:49]
	v_fma_f64 v[2:3], v[2:3], v[78:79], -v[54:55]
	s_delay_alu instid0(VALU_DEP_3) | instskip(NEXT) | instid1(VALU_DEP_3)
	v_add_f64_e32 v[4:5], v[10:11], v[8:9]
	v_add_f64_e32 v[8:9], v[12:13], v[56:57]
	s_delay_alu instid0(VALU_DEP_2) | instskip(NEXT) | instid1(VALU_DEP_2)
	v_add_f64_e32 v[2:3], v[4:5], v[2:3]
	v_add_f64_e32 v[4:5], v[8:9], v[52:53]
	s_wait_loadcnt 0x0
	s_delay_alu instid0(VALU_DEP_2) | instskip(NEXT) | instid1(VALU_DEP_2)
	v_add_f64_e64 v[2:3], v[90:91], -v[2:3]
	v_add_f64_e64 v[4:5], v[92:93], -v[4:5]
	scratch_store_b128 off, v[2:5], off offset:80
	s_wait_xcnt 0x0
	v_cmpx_lt_u32_e32 4, v1
	s_cbranch_execz .LBB15_101
; %bb.100:
	scratch_load_b128 v[2:5], off, s11
	v_mov_b32_e32 v8, 0
	s_delay_alu instid0(VALU_DEP_1)
	v_dual_mov_b32 v9, v8 :: v_dual_mov_b32 v10, v8
	v_mov_b32_e32 v11, v8
	scratch_store_b128 off, v[8:11], off offset:64
	s_wait_loadcnt 0x0
	ds_store_b128 v6, v[2:5]
.LBB15_101:
	s_wait_xcnt 0x0
	s_or_b32 exec_lo, exec_lo, s2
	s_wait_storecnt_dscnt 0x0
	s_barrier_signal -1
	s_barrier_wait -1
	s_clause 0x9
	scratch_load_b128 v[8:11], off, off offset:80
	scratch_load_b128 v[46:49], off, off offset:96
	;; [unrolled: 1-line block ×10, first 2 shown]
	v_mov_b32_e32 v2, 0
	s_mov_b32 s2, exec_lo
	ds_load_b128 v[82:85], v2 offset:336
	s_clause 0x1
	scratch_load_b128 v[86:89], off, off offset:240
	scratch_load_b128 v[90:93], off, off offset:64
	s_wait_loadcnt_dscnt 0xb00
	v_mul_f64_e32 v[4:5], v[84:85], v[10:11]
	v_mul_f64_e32 v[12:13], v[82:83], v[10:11]
	ds_load_b128 v[94:97], v2 offset:352
	s_wait_loadcnt_dscnt 0xa00
	v_mul_f64_e32 v[98:99], v[94:95], v[48:49]
	v_mul_f64_e32 v[48:49], v[96:97], v[48:49]
	v_fma_f64 v[4:5], v[82:83], v[8:9], -v[4:5]
	v_fmac_f64_e32 v[12:13], v[84:85], v[8:9]
	ds_load_b128 v[8:11], v2 offset:368
	ds_load_b128 v[82:85], v2 offset:384
	s_wait_loadcnt_dscnt 0x901
	v_mul_f64_e32 v[100:101], v[8:9], v[52:53]
	v_mul_f64_e32 v[52:53], v[10:11], v[52:53]
	v_fmac_f64_e32 v[98:99], v[96:97], v[46:47]
	v_fma_f64 v[46:47], v[94:95], v[46:47], -v[48:49]
	s_wait_loadcnt_dscnt 0x800
	v_mul_f64_e32 v[94:95], v[82:83], v[56:57]
	v_mul_f64_e32 v[56:57], v[84:85], v[56:57]
	v_add_f64_e32 v[4:5], 0, v[4:5]
	v_add_f64_e32 v[12:13], 0, v[12:13]
	v_fmac_f64_e32 v[100:101], v[10:11], v[50:51]
	v_fma_f64 v[50:51], v[8:9], v[50:51], -v[52:53]
	v_fmac_f64_e32 v[94:95], v[84:85], v[54:55]
	v_fma_f64 v[54:55], v[82:83], v[54:55], -v[56:57]
	v_add_f64_e32 v[4:5], v[4:5], v[46:47]
	v_add_f64_e32 v[12:13], v[12:13], v[98:99]
	ds_load_b128 v[8:11], v2 offset:400
	ds_load_b128 v[46:49], v2 offset:416
	s_wait_loadcnt_dscnt 0x701
	v_mul_f64_e32 v[96:97], v[8:9], v[60:61]
	v_mul_f64_e32 v[52:53], v[10:11], v[60:61]
	s_wait_loadcnt_dscnt 0x600
	v_mul_f64_e32 v[56:57], v[46:47], v[64:65]
	v_mul_f64_e32 v[60:61], v[48:49], v[64:65]
	v_add_f64_e32 v[4:5], v[4:5], v[50:51]
	v_add_f64_e32 v[12:13], v[12:13], v[100:101]
	v_fmac_f64_e32 v[96:97], v[10:11], v[58:59]
	v_fma_f64 v[58:59], v[8:9], v[58:59], -v[52:53]
	ds_load_b128 v[8:11], v2 offset:432
	ds_load_b128 v[50:53], v2 offset:448
	v_fmac_f64_e32 v[56:57], v[48:49], v[62:63]
	v_fma_f64 v[46:47], v[46:47], v[62:63], -v[60:61]
	v_add_f64_e32 v[4:5], v[4:5], v[54:55]
	v_add_f64_e32 v[12:13], v[12:13], v[94:95]
	s_wait_loadcnt_dscnt 0x501
	v_mul_f64_e32 v[54:55], v[8:9], v[68:69]
	v_mul_f64_e32 v[64:65], v[10:11], v[68:69]
	s_wait_loadcnt_dscnt 0x400
	v_mul_f64_e32 v[60:61], v[52:53], v[72:73]
	v_add_f64_e32 v[4:5], v[4:5], v[58:59]
	v_add_f64_e32 v[12:13], v[12:13], v[96:97]
	v_mul_f64_e32 v[58:59], v[50:51], v[72:73]
	v_fmac_f64_e32 v[54:55], v[10:11], v[66:67]
	v_fma_f64 v[62:63], v[8:9], v[66:67], -v[64:65]
	v_fma_f64 v[50:51], v[50:51], v[70:71], -v[60:61]
	v_add_f64_e32 v[4:5], v[4:5], v[46:47]
	v_add_f64_e32 v[12:13], v[12:13], v[56:57]
	ds_load_b128 v[8:11], v2 offset:464
	ds_load_b128 v[46:49], v2 offset:480
	v_fmac_f64_e32 v[58:59], v[52:53], v[70:71]
	s_wait_loadcnt_dscnt 0x301
	v_mul_f64_e32 v[56:57], v[8:9], v[76:77]
	v_mul_f64_e32 v[64:65], v[10:11], v[76:77]
	s_wait_loadcnt_dscnt 0x200
	v_mul_f64_e32 v[52:53], v[46:47], v[80:81]
	v_add_f64_e32 v[4:5], v[4:5], v[62:63]
	v_add_f64_e32 v[12:13], v[12:13], v[54:55]
	v_mul_f64_e32 v[54:55], v[48:49], v[80:81]
	v_fmac_f64_e32 v[56:57], v[10:11], v[74:75]
	v_fma_f64 v[60:61], v[8:9], v[74:75], -v[64:65]
	ds_load_b128 v[8:11], v2 offset:496
	v_fmac_f64_e32 v[52:53], v[48:49], v[78:79]
	v_add_f64_e32 v[4:5], v[4:5], v[50:51]
	v_add_f64_e32 v[12:13], v[12:13], v[58:59]
	v_fma_f64 v[46:47], v[46:47], v[78:79], -v[54:55]
	s_wait_loadcnt_dscnt 0x100
	v_mul_f64_e32 v[50:51], v[8:9], v[88:89]
	v_mul_f64_e32 v[58:59], v[10:11], v[88:89]
	v_add_f64_e32 v[4:5], v[4:5], v[60:61]
	v_add_f64_e32 v[12:13], v[12:13], v[56:57]
	s_delay_alu instid0(VALU_DEP_4) | instskip(NEXT) | instid1(VALU_DEP_4)
	v_fmac_f64_e32 v[50:51], v[10:11], v[86:87]
	v_fma_f64 v[8:9], v[8:9], v[86:87], -v[58:59]
	s_delay_alu instid0(VALU_DEP_4) | instskip(NEXT) | instid1(VALU_DEP_4)
	v_add_f64_e32 v[4:5], v[4:5], v[46:47]
	v_add_f64_e32 v[10:11], v[12:13], v[52:53]
	s_delay_alu instid0(VALU_DEP_2) | instskip(NEXT) | instid1(VALU_DEP_2)
	v_add_f64_e32 v[4:5], v[4:5], v[8:9]
	v_add_f64_e32 v[10:11], v[10:11], v[50:51]
	s_wait_loadcnt 0x0
	s_delay_alu instid0(VALU_DEP_2) | instskip(NEXT) | instid1(VALU_DEP_2)
	v_add_f64_e64 v[8:9], v[90:91], -v[4:5]
	v_add_f64_e64 v[10:11], v[92:93], -v[10:11]
	scratch_store_b128 off, v[8:11], off offset:64
	s_wait_xcnt 0x0
	v_cmpx_lt_u32_e32 3, v1
	s_cbranch_execz .LBB15_103
; %bb.102:
	scratch_load_b128 v[8:11], off, s9
	v_dual_mov_b32 v3, v2 :: v_dual_mov_b32 v4, v2
	v_mov_b32_e32 v5, v2
	scratch_store_b128 off, v[2:5], off offset:48
	s_wait_loadcnt 0x0
	ds_store_b128 v6, v[8:11]
.LBB15_103:
	s_wait_xcnt 0x0
	s_or_b32 exec_lo, exec_lo, s2
	s_wait_storecnt_dscnt 0x0
	s_barrier_signal -1
	s_barrier_wait -1
	s_clause 0x9
	scratch_load_b128 v[8:11], off, off offset:64
	scratch_load_b128 v[46:49], off, off offset:80
	;; [unrolled: 1-line block ×10, first 2 shown]
	ds_load_b128 v[82:85], v2 offset:320
	ds_load_b128 v[90:93], v2 offset:336
	s_clause 0x1
	scratch_load_b128 v[86:89], off, off offset:224
	scratch_load_b128 v[94:97], off, off offset:48
	s_mov_b32 s2, exec_lo
	s_wait_loadcnt_dscnt 0xb01
	v_mul_f64_e32 v[4:5], v[84:85], v[10:11]
	v_mul_f64_e32 v[102:103], v[82:83], v[10:11]
	scratch_load_b128 v[10:13], off, off offset:240
	s_wait_loadcnt_dscnt 0xb00
	v_mul_f64_e32 v[104:105], v[90:91], v[48:49]
	v_mul_f64_e32 v[48:49], v[92:93], v[48:49]
	v_fma_f64 v[4:5], v[82:83], v[8:9], -v[4:5]
	v_fmac_f64_e32 v[102:103], v[84:85], v[8:9]
	ds_load_b128 v[82:85], v2 offset:352
	ds_load_b128 v[98:101], v2 offset:368
	v_fmac_f64_e32 v[104:105], v[92:93], v[46:47]
	v_fma_f64 v[46:47], v[90:91], v[46:47], -v[48:49]
	s_wait_loadcnt_dscnt 0xa01
	v_mul_f64_e32 v[8:9], v[82:83], v[52:53]
	v_mul_f64_e32 v[52:53], v[84:85], v[52:53]
	s_wait_loadcnt_dscnt 0x900
	v_mul_f64_e32 v[90:91], v[98:99], v[56:57]
	v_mul_f64_e32 v[56:57], v[100:101], v[56:57]
	v_add_f64_e32 v[4:5], 0, v[4:5]
	v_add_f64_e32 v[48:49], 0, v[102:103]
	v_fmac_f64_e32 v[8:9], v[84:85], v[50:51]
	v_fma_f64 v[82:83], v[82:83], v[50:51], -v[52:53]
	v_fmac_f64_e32 v[90:91], v[100:101], v[54:55]
	v_fma_f64 v[54:55], v[98:99], v[54:55], -v[56:57]
	v_add_f64_e32 v[4:5], v[4:5], v[46:47]
	v_add_f64_e32 v[84:85], v[48:49], v[104:105]
	ds_load_b128 v[46:49], v2 offset:384
	ds_load_b128 v[50:53], v2 offset:400
	s_wait_loadcnt_dscnt 0x801
	v_mul_f64_e32 v[92:93], v[46:47], v[60:61]
	v_mul_f64_e32 v[60:61], v[48:49], v[60:61]
	v_add_f64_e32 v[4:5], v[4:5], v[82:83]
	v_add_f64_e32 v[8:9], v[84:85], v[8:9]
	s_wait_loadcnt_dscnt 0x700
	v_mul_f64_e32 v[82:83], v[50:51], v[64:65]
	v_mul_f64_e32 v[64:65], v[52:53], v[64:65]
	v_fmac_f64_e32 v[92:93], v[48:49], v[58:59]
	v_fma_f64 v[58:59], v[46:47], v[58:59], -v[60:61]
	v_add_f64_e32 v[4:5], v[4:5], v[54:55]
	v_add_f64_e32 v[8:9], v[8:9], v[90:91]
	ds_load_b128 v[46:49], v2 offset:416
	ds_load_b128 v[54:57], v2 offset:432
	v_fmac_f64_e32 v[82:83], v[52:53], v[62:63]
	v_fma_f64 v[50:51], v[50:51], v[62:63], -v[64:65]
	s_wait_loadcnt_dscnt 0x601
	v_mul_f64_e32 v[60:61], v[46:47], v[68:69]
	v_mul_f64_e32 v[68:69], v[48:49], v[68:69]
	s_wait_loadcnt_dscnt 0x500
	v_mul_f64_e32 v[62:63], v[56:57], v[72:73]
	v_add_f64_e32 v[4:5], v[4:5], v[58:59]
	v_add_f64_e32 v[8:9], v[8:9], v[92:93]
	v_mul_f64_e32 v[58:59], v[54:55], v[72:73]
	v_fmac_f64_e32 v[60:61], v[48:49], v[66:67]
	v_fma_f64 v[64:65], v[46:47], v[66:67], -v[68:69]
	v_fma_f64 v[54:55], v[54:55], v[70:71], -v[62:63]
	v_add_f64_e32 v[4:5], v[4:5], v[50:51]
	v_add_f64_e32 v[8:9], v[8:9], v[82:83]
	ds_load_b128 v[46:49], v2 offset:448
	ds_load_b128 v[50:53], v2 offset:464
	v_fmac_f64_e32 v[58:59], v[56:57], v[70:71]
	s_wait_loadcnt_dscnt 0x401
	v_mul_f64_e32 v[66:67], v[46:47], v[76:77]
	v_mul_f64_e32 v[68:69], v[48:49], v[76:77]
	s_wait_loadcnt_dscnt 0x300
	v_mul_f64_e32 v[56:57], v[50:51], v[80:81]
	v_add_f64_e32 v[4:5], v[4:5], v[64:65]
	v_add_f64_e32 v[8:9], v[8:9], v[60:61]
	v_mul_f64_e32 v[60:61], v[52:53], v[80:81]
	v_fmac_f64_e32 v[66:67], v[48:49], v[74:75]
	v_fma_f64 v[62:63], v[46:47], v[74:75], -v[68:69]
	v_fmac_f64_e32 v[56:57], v[52:53], v[78:79]
	v_add_f64_e32 v[54:55], v[4:5], v[54:55]
	v_add_f64_e32 v[8:9], v[8:9], v[58:59]
	ds_load_b128 v[46:49], v2 offset:480
	ds_load_b128 v[2:5], v2 offset:496
	v_fma_f64 v[50:51], v[50:51], v[78:79], -v[60:61]
	s_wait_loadcnt_dscnt 0x201
	v_mul_f64_e32 v[58:59], v[46:47], v[88:89]
	v_mul_f64_e32 v[64:65], v[48:49], v[88:89]
	v_add_f64_e32 v[52:53], v[54:55], v[62:63]
	v_add_f64_e32 v[8:9], v[8:9], v[66:67]
	s_wait_loadcnt_dscnt 0x0
	v_mul_f64_e32 v[54:55], v[2:3], v[12:13]
	v_mul_f64_e32 v[12:13], v[4:5], v[12:13]
	v_fmac_f64_e32 v[58:59], v[48:49], v[86:87]
	v_fma_f64 v[46:47], v[46:47], v[86:87], -v[64:65]
	v_add_f64_e32 v[48:49], v[52:53], v[50:51]
	v_add_f64_e32 v[8:9], v[8:9], v[56:57]
	v_fmac_f64_e32 v[54:55], v[4:5], v[10:11]
	v_fma_f64 v[2:3], v[2:3], v[10:11], -v[12:13]
	s_delay_alu instid0(VALU_DEP_4) | instskip(NEXT) | instid1(VALU_DEP_4)
	v_add_f64_e32 v[4:5], v[48:49], v[46:47]
	v_add_f64_e32 v[8:9], v[8:9], v[58:59]
	s_delay_alu instid0(VALU_DEP_2) | instskip(NEXT) | instid1(VALU_DEP_2)
	v_add_f64_e32 v[2:3], v[4:5], v[2:3]
	v_add_f64_e32 v[4:5], v[8:9], v[54:55]
	s_delay_alu instid0(VALU_DEP_2) | instskip(NEXT) | instid1(VALU_DEP_2)
	v_add_f64_e64 v[2:3], v[94:95], -v[2:3]
	v_add_f64_e64 v[4:5], v[96:97], -v[4:5]
	scratch_store_b128 off, v[2:5], off offset:48
	s_wait_xcnt 0x0
	v_cmpx_lt_u32_e32 2, v1
	s_cbranch_execz .LBB15_105
; %bb.104:
	scratch_load_b128 v[2:5], off, s8
	v_mov_b32_e32 v8, 0
	s_delay_alu instid0(VALU_DEP_1)
	v_dual_mov_b32 v9, v8 :: v_dual_mov_b32 v10, v8
	v_mov_b32_e32 v11, v8
	scratch_store_b128 off, v[8:11], off offset:32
	s_wait_loadcnt 0x0
	ds_store_b128 v6, v[2:5]
.LBB15_105:
	s_wait_xcnt 0x0
	s_or_b32 exec_lo, exec_lo, s2
	s_wait_storecnt_dscnt 0x0
	s_barrier_signal -1
	s_barrier_wait -1
	s_clause 0x9
	scratch_load_b128 v[8:11], off, off offset:48
	scratch_load_b128 v[46:49], off, off offset:64
	;; [unrolled: 1-line block ×10, first 2 shown]
	v_mov_b32_e32 v2, 0
	s_mov_b32 s2, exec_lo
	v_dual_ashrrev_i32 v21, 31, v20 :: v_dual_ashrrev_i32 v19, 31, v18
	v_ashrrev_i32_e32 v23, 31, v22
	ds_load_b128 v[82:85], v2 offset:304
	s_clause 0x2
	scratch_load_b128 v[86:89], off, off offset:208
	scratch_load_b128 v[90:93], off, off offset:32
	;; [unrolled: 1-line block ×3, first 2 shown]
	v_ashrrev_i32_e32 v27, 31, v26
	v_dual_ashrrev_i32 v31, 31, v30 :: v_dual_ashrrev_i32 v25, 31, v24
	v_dual_ashrrev_i32 v29, 31, v28 :: v_dual_ashrrev_i32 v35, 31, v34
	v_ashrrev_i32_e32 v39, 31, v38
	v_dual_ashrrev_i32 v43, 31, v42 :: v_dual_ashrrev_i32 v33, 31, v32
	v_ashrrev_i32_e32 v37, 31, v36
	v_ashrrev_i32_e32 v41, 31, v40
	s_wait_loadcnt_dscnt 0xc00
	v_dual_mul_f64 v[4:5], v[84:85], v[10:11] :: v_dual_ashrrev_i32 v45, 31, v44
	v_mul_f64_e32 v[106:107], v[82:83], v[10:11]
	ds_load_b128 v[94:97], v2 offset:320
	scratch_load_b128 v[10:13], off, off offset:224
	ds_load_b128 v[102:105], v2 offset:352
	v_fma_f64 v[4:5], v[82:83], v[8:9], -v[4:5]
	v_fmac_f64_e32 v[106:107], v[84:85], v[8:9]
	ds_load_b128 v[82:85], v2 offset:336
	s_wait_loadcnt_dscnt 0xc02
	v_mul_f64_e32 v[108:109], v[94:95], v[48:49]
	v_mul_f64_e32 v[48:49], v[96:97], v[48:49]
	s_wait_loadcnt_dscnt 0xb00
	v_mul_f64_e32 v[8:9], v[82:83], v[52:53]
	v_add_f64_e32 v[4:5], 0, v[4:5]
	s_delay_alu instid0(VALU_DEP_4) | instskip(NEXT) | instid1(VALU_DEP_4)
	v_fmac_f64_e32 v[108:109], v[96:97], v[46:47]
	v_fma_f64 v[46:47], v[94:95], v[46:47], -v[48:49]
	v_mul_f64_e32 v[48:49], v[84:85], v[52:53]
	v_add_f64_e32 v[52:53], 0, v[106:107]
	s_wait_loadcnt 0xa
	v_mul_f64_e32 v[94:95], v[102:103], v[56:57]
	v_mul_f64_e32 v[56:57], v[104:105], v[56:57]
	v_fmac_f64_e32 v[8:9], v[84:85], v[50:51]
	v_add_f64_e32 v[4:5], v[4:5], v[46:47]
	v_fma_f64 v[82:83], v[82:83], v[50:51], -v[48:49]
	v_add_f64_e32 v[84:85], v[52:53], v[108:109]
	ds_load_b128 v[46:49], v2 offset:368
	ds_load_b128 v[50:53], v2 offset:384
	v_fmac_f64_e32 v[94:95], v[104:105], v[54:55]
	v_fma_f64 v[54:55], v[102:103], v[54:55], -v[56:57]
	s_wait_loadcnt_dscnt 0x901
	v_mul_f64_e32 v[96:97], v[46:47], v[60:61]
	v_mul_f64_e32 v[60:61], v[48:49], v[60:61]
	v_add_f64_e32 v[4:5], v[4:5], v[82:83]
	v_add_f64_e32 v[8:9], v[84:85], v[8:9]
	s_wait_loadcnt_dscnt 0x800
	v_mul_f64_e32 v[82:83], v[50:51], v[64:65]
	v_mul_f64_e32 v[64:65], v[52:53], v[64:65]
	v_fmac_f64_e32 v[96:97], v[48:49], v[58:59]
	v_fma_f64 v[58:59], v[46:47], v[58:59], -v[60:61]
	v_add_f64_e32 v[4:5], v[4:5], v[54:55]
	v_add_f64_e32 v[8:9], v[8:9], v[94:95]
	ds_load_b128 v[46:49], v2 offset:400
	ds_load_b128 v[54:57], v2 offset:416
	v_fmac_f64_e32 v[82:83], v[52:53], v[62:63]
	v_fma_f64 v[50:51], v[50:51], v[62:63], -v[64:65]
	s_wait_loadcnt_dscnt 0x701
	v_mul_f64_e32 v[60:61], v[46:47], v[68:69]
	v_mul_f64_e32 v[68:69], v[48:49], v[68:69]
	s_wait_loadcnt_dscnt 0x600
	v_mul_f64_e32 v[62:63], v[56:57], v[72:73]
	v_add_f64_e32 v[4:5], v[4:5], v[58:59]
	v_add_f64_e32 v[8:9], v[8:9], v[96:97]
	v_mul_f64_e32 v[58:59], v[54:55], v[72:73]
	v_fmac_f64_e32 v[60:61], v[48:49], v[66:67]
	v_fma_f64 v[64:65], v[46:47], v[66:67], -v[68:69]
	v_fma_f64 v[54:55], v[54:55], v[70:71], -v[62:63]
	v_add_f64_e32 v[4:5], v[4:5], v[50:51]
	v_add_f64_e32 v[8:9], v[8:9], v[82:83]
	ds_load_b128 v[46:49], v2 offset:432
	ds_load_b128 v[50:53], v2 offset:448
	v_fmac_f64_e32 v[58:59], v[56:57], v[70:71]
	s_wait_loadcnt_dscnt 0x501
	v_mul_f64_e32 v[66:67], v[46:47], v[76:77]
	v_mul_f64_e32 v[68:69], v[48:49], v[76:77]
	s_wait_loadcnt_dscnt 0x400
	v_mul_f64_e32 v[62:63], v[52:53], v[80:81]
	v_add_f64_e32 v[4:5], v[4:5], v[64:65]
	v_add_f64_e32 v[8:9], v[8:9], v[60:61]
	v_mul_f64_e32 v[60:61], v[50:51], v[80:81]
	v_fmac_f64_e32 v[66:67], v[48:49], v[74:75]
	v_fma_f64 v[64:65], v[46:47], v[74:75], -v[68:69]
	v_fma_f64 v[50:51], v[50:51], v[78:79], -v[62:63]
	v_add_f64_e32 v[4:5], v[4:5], v[54:55]
	v_add_f64_e32 v[8:9], v[8:9], v[58:59]
	ds_load_b128 v[46:49], v2 offset:464
	ds_load_b128 v[54:57], v2 offset:480
	v_fmac_f64_e32 v[60:61], v[52:53], v[78:79]
	s_wait_loadcnt_dscnt 0x301
	v_mul_f64_e32 v[58:59], v[46:47], v[88:89]
	v_mul_f64_e32 v[68:69], v[48:49], v[88:89]
	s_wait_loadcnt_dscnt 0x0
	v_mul_f64_e32 v[52:53], v[54:55], v[12:13]
	v_mul_f64_e32 v[12:13], v[56:57], v[12:13]
	v_add_f64_e32 v[4:5], v[4:5], v[64:65]
	v_add_f64_e32 v[8:9], v[8:9], v[66:67]
	v_fmac_f64_e32 v[58:59], v[48:49], v[86:87]
	v_fma_f64 v[62:63], v[46:47], v[86:87], -v[68:69]
	ds_load_b128 v[46:49], v2 offset:496
	v_fmac_f64_e32 v[52:53], v[56:57], v[10:11]
	v_fma_f64 v[10:11], v[54:55], v[10:11], -v[12:13]
	v_add_f64_e32 v[4:5], v[4:5], v[50:51]
	v_add_f64_e32 v[8:9], v[8:9], v[60:61]
	s_wait_dscnt 0x0
	v_mul_f64_e32 v[50:51], v[46:47], v[100:101]
	v_mul_f64_e32 v[60:61], v[48:49], v[100:101]
	s_delay_alu instid0(VALU_DEP_4) | instskip(NEXT) | instid1(VALU_DEP_4)
	v_add_f64_e32 v[4:5], v[4:5], v[62:63]
	v_add_f64_e32 v[8:9], v[8:9], v[58:59]
	s_delay_alu instid0(VALU_DEP_4) | instskip(NEXT) | instid1(VALU_DEP_4)
	v_fmac_f64_e32 v[50:51], v[48:49], v[98:99]
	v_fma_f64 v[12:13], v[46:47], v[98:99], -v[60:61]
	s_delay_alu instid0(VALU_DEP_4) | instskip(NEXT) | instid1(VALU_DEP_4)
	v_add_f64_e32 v[4:5], v[4:5], v[10:11]
	v_add_f64_e32 v[8:9], v[8:9], v[52:53]
	s_delay_alu instid0(VALU_DEP_2) | instskip(NEXT) | instid1(VALU_DEP_2)
	v_add_f64_e32 v[4:5], v[4:5], v[12:13]
	v_add_f64_e32 v[10:11], v[8:9], v[50:51]
	s_delay_alu instid0(VALU_DEP_2) | instskip(NEXT) | instid1(VALU_DEP_2)
	v_add_f64_e64 v[8:9], v[90:91], -v[4:5]
	v_add_f64_e64 v[10:11], v[92:93], -v[10:11]
	scratch_store_b128 off, v[8:11], off offset:32
	s_wait_xcnt 0x0
	v_cmpx_lt_u32_e32 1, v1
	s_cbranch_execz .LBB15_107
; %bb.106:
	scratch_load_b128 v[8:11], off, s10
	v_dual_mov_b32 v3, v2 :: v_dual_mov_b32 v4, v2
	v_mov_b32_e32 v5, v2
	scratch_store_b128 off, v[2:5], off offset:16
	s_wait_loadcnt 0x0
	ds_store_b128 v6, v[8:11]
.LBB15_107:
	s_wait_xcnt 0x0
	s_or_b32 exec_lo, exec_lo, s2
	s_wait_storecnt_dscnt 0x0
	s_barrier_signal -1
	s_barrier_wait -1
	s_clause 0x9
	scratch_load_b128 v[8:11], off, off offset:32
	scratch_load_b128 v[46:49], off, off offset:48
	;; [unrolled: 1-line block ×10, first 2 shown]
	ds_load_b128 v[82:85], v2 offset:288
	s_clause 0x2
	scratch_load_b128 v[86:89], off, off offset:192
	scratch_load_b128 v[90:93], off, off offset:208
	;; [unrolled: 1-line block ×3, first 2 shown]
	s_mov_b32 s2, exec_lo
	s_wait_loadcnt_dscnt 0xc00
	v_mul_f64_e32 v[4:5], v[84:85], v[10:11]
	v_mul_f64_e32 v[98:99], v[82:83], v[10:11]
	ds_load_b128 v[10:13], v2 offset:304
	v_fma_f64 v[4:5], v[82:83], v[8:9], -v[4:5]
	v_fmac_f64_e32 v[98:99], v[84:85], v[8:9]
	ds_load_b128 v[82:85], v2 offset:320
	s_wait_loadcnt_dscnt 0xb01
	v_mul_f64_e32 v[100:101], v[10:11], v[48:49]
	v_mul_f64_e32 v[48:49], v[12:13], v[48:49]
	s_wait_loadcnt_dscnt 0xa00
	v_mul_f64_e32 v[102:103], v[82:83], v[52:53]
	v_mul_f64_e32 v[52:53], v[84:85], v[52:53]
	v_add_f64_e32 v[4:5], 0, v[4:5]
	v_add_f64_e32 v[98:99], 0, v[98:99]
	v_fmac_f64_e32 v[100:101], v[12:13], v[46:47]
	v_fma_f64 v[12:13], v[10:11], v[46:47], -v[48:49]
	ds_load_b128 v[8:11], v2 offset:336
	scratch_load_b128 v[46:49], off, off offset:240
	v_fmac_f64_e32 v[102:103], v[84:85], v[50:51]
	v_fma_f64 v[82:83], v[82:83], v[50:51], -v[52:53]
	ds_load_b128 v[50:53], v2 offset:352
	s_wait_loadcnt_dscnt 0xa01
	v_mul_f64_e32 v[104:105], v[8:9], v[56:57]
	v_mul_f64_e32 v[56:57], v[10:11], v[56:57]
	v_add_f64_e32 v[4:5], v[4:5], v[12:13]
	v_add_f64_e32 v[12:13], v[98:99], v[100:101]
	s_wait_loadcnt_dscnt 0x900
	v_mul_f64_e32 v[84:85], v[50:51], v[60:61]
	v_mul_f64_e32 v[60:61], v[52:53], v[60:61]
	v_fmac_f64_e32 v[104:105], v[10:11], v[54:55]
	v_fma_f64 v[54:55], v[8:9], v[54:55], -v[56:57]
	ds_load_b128 v[8:11], v2 offset:368
	v_add_f64_e32 v[4:5], v[4:5], v[82:83]
	v_add_f64_e32 v[12:13], v[12:13], v[102:103]
	v_fmac_f64_e32 v[84:85], v[52:53], v[58:59]
	v_fma_f64 v[58:59], v[50:51], v[58:59], -v[60:61]
	ds_load_b128 v[50:53], v2 offset:384
	s_wait_loadcnt_dscnt 0x801
	v_mul_f64_e32 v[82:83], v[8:9], v[64:65]
	v_mul_f64_e32 v[64:65], v[10:11], v[64:65]
	s_wait_loadcnt_dscnt 0x700
	v_mul_f64_e32 v[60:61], v[50:51], v[68:69]
	v_mul_f64_e32 v[68:69], v[52:53], v[68:69]
	v_add_f64_e32 v[4:5], v[4:5], v[54:55]
	v_add_f64_e32 v[12:13], v[12:13], v[104:105]
	scratch_load_b128 v[54:57], off, off offset:16
	v_fmac_f64_e32 v[82:83], v[10:11], v[62:63]
	v_fma_f64 v[62:63], v[8:9], v[62:63], -v[64:65]
	ds_load_b128 v[8:11], v2 offset:400
	v_fmac_f64_e32 v[60:61], v[52:53], v[66:67]
	v_fma_f64 v[66:67], v[50:51], v[66:67], -v[68:69]
	v_add_f64_e32 v[4:5], v[4:5], v[58:59]
	v_add_f64_e32 v[12:13], v[12:13], v[84:85]
	ds_load_b128 v[50:53], v2 offset:416
	s_wait_loadcnt_dscnt 0x701
	v_mul_f64_e32 v[58:59], v[8:9], v[72:73]
	v_mul_f64_e32 v[64:65], v[10:11], v[72:73]
	s_wait_loadcnt_dscnt 0x600
	v_mul_f64_e32 v[68:69], v[52:53], v[76:77]
	v_add_f64_e32 v[4:5], v[4:5], v[62:63]
	v_add_f64_e32 v[12:13], v[12:13], v[82:83]
	v_mul_f64_e32 v[62:63], v[50:51], v[76:77]
	v_fmac_f64_e32 v[58:59], v[10:11], v[70:71]
	v_fma_f64 v[64:65], v[8:9], v[70:71], -v[64:65]
	ds_load_b128 v[8:11], v2 offset:432
	v_fma_f64 v[68:69], v[50:51], v[74:75], -v[68:69]
	v_add_f64_e32 v[4:5], v[4:5], v[66:67]
	v_add_f64_e32 v[12:13], v[12:13], v[60:61]
	v_fmac_f64_e32 v[62:63], v[52:53], v[74:75]
	ds_load_b128 v[50:53], v2 offset:448
	s_wait_loadcnt_dscnt 0x501
	v_mul_f64_e32 v[60:61], v[8:9], v[80:81]
	v_mul_f64_e32 v[66:67], v[10:11], v[80:81]
	v_add_f64_e32 v[4:5], v[4:5], v[64:65]
	v_add_f64_e32 v[12:13], v[12:13], v[58:59]
	s_wait_loadcnt_dscnt 0x400
	v_mul_f64_e32 v[58:59], v[50:51], v[88:89]
	v_mul_f64_e32 v[64:65], v[52:53], v[88:89]
	v_fmac_f64_e32 v[60:61], v[10:11], v[78:79]
	v_fma_f64 v[66:67], v[8:9], v[78:79], -v[66:67]
	ds_load_b128 v[8:11], v2 offset:464
	v_add_f64_e32 v[4:5], v[4:5], v[68:69]
	v_add_f64_e32 v[12:13], v[12:13], v[62:63]
	v_fmac_f64_e32 v[58:59], v[52:53], v[86:87]
	v_fma_f64 v[64:65], v[50:51], v[86:87], -v[64:65]
	ds_load_b128 v[50:53], v2 offset:480
	s_wait_loadcnt_dscnt 0x301
	v_mul_f64_e32 v[62:63], v[8:9], v[92:93]
	v_mul_f64_e32 v[68:69], v[10:11], v[92:93]
	v_add_f64_e32 v[4:5], v[4:5], v[66:67]
	v_add_f64_e32 v[12:13], v[12:13], v[60:61]
	s_wait_loadcnt_dscnt 0x200
	v_mul_f64_e32 v[60:61], v[50:51], v[96:97]
	v_mul_f64_e32 v[66:67], v[52:53], v[96:97]
	v_fmac_f64_e32 v[62:63], v[10:11], v[90:91]
	v_fma_f64 v[8:9], v[8:9], v[90:91], -v[68:69]
	v_add_f64_e32 v[10:11], v[4:5], v[64:65]
	v_add_f64_e32 v[12:13], v[12:13], v[58:59]
	ds_load_b128 v[2:5], v2 offset:496
	v_fmac_f64_e32 v[60:61], v[52:53], v[94:95]
	v_fma_f64 v[50:51], v[50:51], v[94:95], -v[66:67]
	s_wait_loadcnt_dscnt 0x100
	v_mul_f64_e32 v[58:59], v[2:3], v[48:49]
	v_mul_f64_e32 v[48:49], v[4:5], v[48:49]
	v_add_f64_e32 v[8:9], v[10:11], v[8:9]
	v_add_f64_e32 v[10:11], v[12:13], v[62:63]
	s_delay_alu instid0(VALU_DEP_4) | instskip(NEXT) | instid1(VALU_DEP_4)
	v_fmac_f64_e32 v[58:59], v[4:5], v[46:47]
	v_fma_f64 v[2:3], v[2:3], v[46:47], -v[48:49]
	s_delay_alu instid0(VALU_DEP_4) | instskip(NEXT) | instid1(VALU_DEP_4)
	v_add_f64_e32 v[4:5], v[8:9], v[50:51]
	v_add_f64_e32 v[8:9], v[10:11], v[60:61]
	s_delay_alu instid0(VALU_DEP_2) | instskip(NEXT) | instid1(VALU_DEP_2)
	v_add_f64_e32 v[2:3], v[4:5], v[2:3]
	v_add_f64_e32 v[4:5], v[8:9], v[58:59]
	s_wait_loadcnt 0x0
	s_delay_alu instid0(VALU_DEP_2) | instskip(NEXT) | instid1(VALU_DEP_2)
	v_add_f64_e64 v[2:3], v[54:55], -v[2:3]
	v_add_f64_e64 v[4:5], v[56:57], -v[4:5]
	scratch_store_b128 off, v[2:5], off offset:16
	s_wait_xcnt 0x0
	v_cmpx_ne_u32_e32 0, v1
	s_cbranch_execz .LBB15_109
; %bb.108:
	scratch_load_b128 v[2:5], off, off
	v_mov_b32_e32 v8, 0
	s_delay_alu instid0(VALU_DEP_1)
	v_dual_mov_b32 v9, v8 :: v_dual_mov_b32 v10, v8
	v_mov_b32_e32 v11, v8
	scratch_store_b128 off, v[8:11], off
	s_wait_loadcnt 0x0
	ds_store_b128 v6, v[2:5]
.LBB15_109:
	s_wait_xcnt 0x0
	s_or_b32 exec_lo, exec_lo, s2
	s_wait_storecnt_dscnt 0x0
	s_barrier_signal -1
	s_barrier_wait -1
	s_clause 0x9
	scratch_load_b128 v[2:5], off, off offset:16
	scratch_load_b128 v[6:9], off, off offset:32
	;; [unrolled: 1-line block ×10, first 2 shown]
	v_mov_b32_e32 v46, 0
	s_and_b32 vcc_lo, exec_lo, s27
	ds_load_b128 v[76:79], v46 offset:272
	s_clause 0x2
	scratch_load_b128 v[80:83], off, off offset:176
	scratch_load_b128 v[84:87], off, off
	scratch_load_b128 v[92:95], off, off offset:192
	s_wait_loadcnt_dscnt 0xc00
	v_mul_f64_e32 v[96:97], v[78:79], v[4:5]
	v_mul_f64_e32 v[100:101], v[76:77], v[4:5]
	ds_load_b128 v[88:91], v46 offset:288
	v_fma_f64 v[104:105], v[76:77], v[2:3], -v[96:97]
	v_fmac_f64_e32 v[100:101], v[78:79], v[2:3]
	ds_load_b128 v[2:5], v46 offset:304
	s_wait_loadcnt_dscnt 0xb01
	v_mul_f64_e32 v[102:103], v[88:89], v[8:9]
	v_mul_f64_e32 v[8:9], v[90:91], v[8:9]
	scratch_load_b128 v[76:79], off, off offset:208
	ds_load_b128 v[96:99], v46 offset:320
	s_wait_loadcnt_dscnt 0xb01
	v_mul_f64_e32 v[106:107], v[2:3], v[12:13]
	v_mul_f64_e32 v[12:13], v[4:5], v[12:13]
	v_add_f64_e32 v[100:101], 0, v[100:101]
	v_fmac_f64_e32 v[102:103], v[90:91], v[6:7]
	v_fma_f64 v[88:89], v[88:89], v[6:7], -v[8:9]
	v_add_f64_e32 v[90:91], 0, v[104:105]
	scratch_load_b128 v[6:9], off, off offset:224
	v_fmac_f64_e32 v[106:107], v[4:5], v[10:11]
	v_fma_f64 v[108:109], v[2:3], v[10:11], -v[12:13]
	ds_load_b128 v[2:5], v46 offset:336
	s_wait_loadcnt_dscnt 0xb01
	v_mul_f64_e32 v[104:105], v[96:97], v[50:51]
	v_mul_f64_e32 v[50:51], v[98:99], v[50:51]
	scratch_load_b128 v[10:13], off, off offset:240
	v_add_f64_e32 v[100:101], v[100:101], v[102:103]
	v_add_f64_e32 v[110:111], v[90:91], v[88:89]
	ds_load_b128 v[88:91], v46 offset:352
	s_wait_loadcnt_dscnt 0xb01
	v_mul_f64_e32 v[102:103], v[2:3], v[54:55]
	v_fmac_f64_e32 v[104:105], v[98:99], v[48:49]
	v_fma_f64 v[48:49], v[96:97], v[48:49], -v[50:51]
	v_mul_f64_e32 v[50:51], v[4:5], v[54:55]
	s_wait_loadcnt_dscnt 0xa00
	v_mul_f64_e32 v[98:99], v[88:89], v[58:59]
	v_mul_f64_e32 v[58:59], v[90:91], v[58:59]
	v_add_f64_e32 v[96:97], v[100:101], v[106:107]
	v_add_f64_e32 v[54:55], v[110:111], v[108:109]
	v_fmac_f64_e32 v[102:103], v[4:5], v[52:53]
	v_fma_f64 v[52:53], v[2:3], v[52:53], -v[50:51]
	v_fmac_f64_e32 v[98:99], v[90:91], v[56:57]
	v_fma_f64 v[56:57], v[88:89], v[56:57], -v[58:59]
	v_add_f64_e32 v[96:97], v[96:97], v[104:105]
	v_add_f64_e32 v[54:55], v[54:55], v[48:49]
	ds_load_b128 v[2:5], v46 offset:368
	ds_load_b128 v[48:51], v46 offset:384
	s_wait_loadcnt_dscnt 0x901
	v_mul_f64_e32 v[100:101], v[2:3], v[62:63]
	v_mul_f64_e32 v[62:63], v[4:5], v[62:63]
	s_wait_loadcnt_dscnt 0x800
	v_mul_f64_e32 v[58:59], v[48:49], v[66:67]
	v_mul_f64_e32 v[66:67], v[50:51], v[66:67]
	v_add_f64_e32 v[52:53], v[54:55], v[52:53]
	v_add_f64_e32 v[54:55], v[96:97], v[102:103]
	v_fmac_f64_e32 v[100:101], v[4:5], v[60:61]
	v_fma_f64 v[60:61], v[2:3], v[60:61], -v[62:63]
	v_fmac_f64_e32 v[58:59], v[50:51], v[64:65]
	v_fma_f64 v[48:49], v[48:49], v[64:65], -v[66:67]
	v_add_f64_e32 v[56:57], v[52:53], v[56:57]
	v_add_f64_e32 v[62:63], v[54:55], v[98:99]
	ds_load_b128 v[2:5], v46 offset:400
	ds_load_b128 v[52:55], v46 offset:416
	s_wait_loadcnt_dscnt 0x701
	v_mul_f64_e32 v[88:89], v[2:3], v[70:71]
	v_mul_f64_e32 v[70:71], v[4:5], v[70:71]
	v_add_f64_e32 v[50:51], v[56:57], v[60:61]
	v_add_f64_e32 v[56:57], v[62:63], v[100:101]
	s_wait_loadcnt_dscnt 0x600
	v_mul_f64_e32 v[60:61], v[52:53], v[74:75]
	v_mul_f64_e32 v[62:63], v[54:55], v[74:75]
	v_fmac_f64_e32 v[88:89], v[4:5], v[68:69]
	v_fma_f64 v[64:65], v[2:3], v[68:69], -v[70:71]
	v_add_f64_e32 v[66:67], v[50:51], v[48:49]
	v_add_f64_e32 v[56:57], v[56:57], v[58:59]
	ds_load_b128 v[2:5], v46 offset:432
	ds_load_b128 v[48:51], v46 offset:448
	v_fmac_f64_e32 v[60:61], v[54:55], v[72:73]
	v_fma_f64 v[52:53], v[52:53], v[72:73], -v[62:63]
	s_wait_loadcnt_dscnt 0x501
	v_mul_f64_e32 v[58:59], v[2:3], v[82:83]
	v_mul_f64_e32 v[68:69], v[4:5], v[82:83]
	s_wait_loadcnt_dscnt 0x300
	v_mul_f64_e32 v[62:63], v[48:49], v[94:95]
	v_add_f64_e32 v[54:55], v[66:67], v[64:65]
	v_add_f64_e32 v[56:57], v[56:57], v[88:89]
	v_mul_f64_e32 v[64:65], v[50:51], v[94:95]
	v_fmac_f64_e32 v[58:59], v[4:5], v[80:81]
	v_fma_f64 v[66:67], v[2:3], v[80:81], -v[68:69]
	v_fmac_f64_e32 v[62:63], v[50:51], v[92:93]
	v_add_f64_e32 v[68:69], v[54:55], v[52:53]
	v_add_f64_e32 v[56:57], v[56:57], v[60:61]
	ds_load_b128 v[2:5], v46 offset:464
	ds_load_b128 v[52:55], v46 offset:480
	v_fma_f64 v[48:49], v[48:49], v[92:93], -v[64:65]
	s_wait_loadcnt_dscnt 0x201
	v_mul_f64_e32 v[60:61], v[2:3], v[78:79]
	v_mul_f64_e32 v[70:71], v[4:5], v[78:79]
	v_add_f64_e32 v[50:51], v[68:69], v[66:67]
	v_add_f64_e32 v[56:57], v[56:57], v[58:59]
	s_wait_loadcnt_dscnt 0x100
	v_mul_f64_e32 v[58:59], v[52:53], v[8:9]
	v_mul_f64_e32 v[8:9], v[54:55], v[8:9]
	v_fmac_f64_e32 v[60:61], v[4:5], v[76:77]
	v_fma_f64 v[64:65], v[2:3], v[76:77], -v[70:71]
	ds_load_b128 v[2:5], v46 offset:496
	v_add_f64_e32 v[48:49], v[50:51], v[48:49]
	v_add_f64_e32 v[50:51], v[56:57], v[62:63]
	v_fmac_f64_e32 v[58:59], v[54:55], v[6:7]
	v_fma_f64 v[6:7], v[52:53], v[6:7], -v[8:9]
	s_wait_loadcnt_dscnt 0x0
	v_mul_f64_e32 v[56:57], v[2:3], v[12:13]
	v_mul_f64_e32 v[12:13], v[4:5], v[12:13]
	v_add_f64_e32 v[8:9], v[48:49], v[64:65]
	v_add_f64_e32 v[48:49], v[50:51], v[60:61]
	s_delay_alu instid0(VALU_DEP_4) | instskip(NEXT) | instid1(VALU_DEP_4)
	v_fmac_f64_e32 v[56:57], v[4:5], v[10:11]
	v_fma_f64 v[2:3], v[2:3], v[10:11], -v[12:13]
	v_lshl_add_u64 v[10:11], v[26:27], 4, s[4:5]
	v_lshl_add_u64 v[12:13], v[28:29], 4, s[4:5]
	;; [unrolled: 1-line block ×4, first 2 shown]
	v_add_f64_e32 v[4:5], v[8:9], v[6:7]
	v_add_f64_e32 v[6:7], v[48:49], v[58:59]
	v_lshl_add_u64 v[8:9], v[24:25], 4, s[4:5]
	v_lshl_add_u64 v[24:25], v[36:37], 4, s[4:5]
	s_delay_alu instid0(VALU_DEP_4) | instskip(NEXT) | instid1(VALU_DEP_4)
	v_add_f64_e32 v[2:3], v[4:5], v[2:3]
	v_add_f64_e32 v[4:5], v[6:7], v[56:57]
	v_lshl_add_u64 v[6:7], v[22:23], 4, s[4:5]
	v_lshl_add_u64 v[22:23], v[34:35], 4, s[4:5]
	s_delay_alu instid0(VALU_DEP_4) | instskip(NEXT) | instid1(VALU_DEP_4)
	v_add_f64_e64 v[48:49], v[84:85], -v[2:3]
	v_add_f64_e64 v[50:51], v[86:87], -v[4:5]
	v_lshl_add_u64 v[2:3], v[18:19], 4, s[4:5]
	v_lshl_add_u64 v[4:5], v[20:21], 4, s[4:5]
	;; [unrolled: 1-line block ×6, first 2 shown]
	scratch_store_b128 off, v[48:51], off
	s_cbranch_vccz .LBB15_140
; %bb.110:
	global_load_b32 v34, v46, s[16:17] offset:56
	s_load_b64 s[2:3], s[0:1], 0x4
	v_bfe_u32 v35, v0, 10, 10
	v_bfe_u32 v0, v0, 20, 10
	s_wait_kmcnt 0x0
	s_lshr_b32 s0, s2, 16
	s_delay_alu instid0(VALU_DEP_2) | instskip(SKIP_1) | instid1(SALU_CYCLE_1)
	v_mul_u32_u24_e32 v35, s3, v35
	s_mul_i32 s0, s0, s3
	v_mul_u32_u24_e32 v1, s0, v1
	s_delay_alu instid0(VALU_DEP_1) | instskip(NEXT) | instid1(VALU_DEP_1)
	v_add3_u32 v0, v1, v35, v0
	v_lshl_add_u32 v0, v0, 4, 0x208
	s_wait_loadcnt 0x0
	v_cmp_ne_u32_e32 vcc_lo, 15, v34
	s_cbranch_vccz .LBB15_112
; %bb.111:
	v_lshlrev_b32_e32 v1, 4, v34
	s_clause 0x1
	scratch_load_b128 v[34:37], off, s26
	scratch_load_b128 v[38:41], v1, off offset:-16
	s_wait_loadcnt 0x1
	ds_store_2addr_b64 v0, v[34:35], v[36:37] offset1:1
	s_wait_loadcnt 0x0
	s_clause 0x1
	scratch_store_b128 off, v[38:41], s26
	scratch_store_b128 v1, v[34:37], off offset:-16
.LBB15_112:
	s_wait_xcnt 0x0
	v_mov_b32_e32 v1, 0
	global_load_b32 v34, v1, s[16:17] offset:52
	s_wait_loadcnt 0x0
	v_cmp_eq_u32_e32 vcc_lo, 14, v34
	s_cbranch_vccnz .LBB15_114
; %bb.113:
	v_lshlrev_b32_e32 v34, 4, v34
	s_delay_alu instid0(VALU_DEP_1)
	v_mov_b32_e32 v42, v34
	s_clause 0x1
	scratch_load_b128 v[34:37], off, s25
	scratch_load_b128 v[38:41], v42, off offset:-16
	s_wait_loadcnt 0x1
	ds_store_2addr_b64 v0, v[34:35], v[36:37] offset1:1
	s_wait_loadcnt 0x0
	s_clause 0x1
	scratch_store_b128 off, v[38:41], s25
	scratch_store_b128 v42, v[34:37], off offset:-16
.LBB15_114:
	global_load_b32 v1, v1, s[16:17] offset:48
	s_wait_loadcnt 0x0
	v_cmp_eq_u32_e32 vcc_lo, 13, v1
	s_cbranch_vccnz .LBB15_116
; %bb.115:
	s_wait_xcnt 0x0
	v_lshlrev_b32_e32 v1, 4, v1
	s_clause 0x1
	scratch_load_b128 v[34:37], off, s23
	scratch_load_b128 v[38:41], v1, off offset:-16
	s_wait_loadcnt 0x1
	ds_store_2addr_b64 v0, v[34:35], v[36:37] offset1:1
	s_wait_loadcnt 0x0
	s_clause 0x1
	scratch_store_b128 off, v[38:41], s23
	scratch_store_b128 v1, v[34:37], off offset:-16
.LBB15_116:
	s_wait_xcnt 0x0
	v_mov_b32_e32 v1, 0
	global_load_b32 v34, v1, s[16:17] offset:44
	s_wait_loadcnt 0x0
	v_cmp_eq_u32_e32 vcc_lo, 12, v34
	s_cbranch_vccnz .LBB15_118
; %bb.117:
	v_lshlrev_b32_e32 v34, 4, v34
	s_delay_alu instid0(VALU_DEP_1)
	v_mov_b32_e32 v42, v34
	s_clause 0x1
	scratch_load_b128 v[34:37], off, s22
	scratch_load_b128 v[38:41], v42, off offset:-16
	s_wait_loadcnt 0x1
	ds_store_2addr_b64 v0, v[34:35], v[36:37] offset1:1
	s_wait_loadcnt 0x0
	s_clause 0x1
	scratch_store_b128 off, v[38:41], s22
	scratch_store_b128 v42, v[34:37], off offset:-16
.LBB15_118:
	global_load_b32 v1, v1, s[16:17] offset:40
	s_wait_loadcnt 0x0
	v_cmp_eq_u32_e32 vcc_lo, 11, v1
	s_cbranch_vccnz .LBB15_120
; %bb.119:
	s_wait_xcnt 0x0
	v_lshlrev_b32_e32 v1, 4, v1
	s_clause 0x1
	scratch_load_b128 v[34:37], off, s21
	scratch_load_b128 v[38:41], v1, off offset:-16
	s_wait_loadcnt 0x1
	ds_store_2addr_b64 v0, v[34:35], v[36:37] offset1:1
	s_wait_loadcnt 0x0
	s_clause 0x1
	scratch_store_b128 off, v[38:41], s21
	scratch_store_b128 v1, v[34:37], off offset:-16
.LBB15_120:
	;; [unrolled: 37-line block ×6, first 2 shown]
	s_wait_xcnt 0x0
	v_mov_b32_e32 v1, 0
	global_load_b32 v34, v1, s[16:17] offset:4
	s_wait_loadcnt 0x0
	v_cmp_eq_u32_e32 vcc_lo, 2, v34
	s_cbranch_vccnz .LBB15_138
; %bb.137:
	v_lshlrev_b32_e32 v34, 4, v34
	s_delay_alu instid0(VALU_DEP_1)
	v_mov_b32_e32 v42, v34
	s_clause 0x1
	scratch_load_b128 v[34:37], off, s10
	scratch_load_b128 v[38:41], v42, off offset:-16
	s_wait_loadcnt 0x1
	ds_store_2addr_b64 v0, v[34:35], v[36:37] offset1:1
	s_wait_loadcnt 0x0
	s_clause 0x1
	scratch_store_b128 off, v[38:41], s10
	scratch_store_b128 v42, v[34:37], off offset:-16
.LBB15_138:
	global_load_b32 v1, v1, s[16:17]
	s_wait_loadcnt 0x0
	v_cmp_eq_u32_e32 vcc_lo, 1, v1
	s_cbranch_vccnz .LBB15_140
; %bb.139:
	s_wait_xcnt 0x0
	v_lshlrev_b32_e32 v1, 4, v1
	scratch_load_b128 v[34:37], off, off
	scratch_load_b128 v[38:41], v1, off offset:-16
	s_wait_loadcnt 0x1
	ds_store_2addr_b64 v0, v[34:35], v[36:37] offset1:1
	s_wait_loadcnt 0x0
	scratch_store_b128 off, v[38:41], off
	scratch_store_b128 v1, v[34:37], off offset:-16
.LBB15_140:
	scratch_load_b128 v[34:37], off, off
	s_clause 0xe
	scratch_load_b128 v[38:41], off, s10
	scratch_load_b128 v[42:45], off, s8
	;; [unrolled: 1-line block ×15, first 2 shown]
	s_wait_loadcnt 0xf
	global_store_b128 v[14:15], v[34:37], off
	s_wait_loadcnt 0xe
	global_store_b128 v[16:17], v[38:41], off
	s_wait_loadcnt 0xd
	global_store_b128 v[2:3], v[42:45], off
	s_wait_loadcnt 0xc
	global_store_b128 v[4:5], v[46:49], off
	s_wait_loadcnt 0xb
	global_store_b128 v[6:7], v[50:53], off
	s_wait_loadcnt 0xa
	global_store_b128 v[8:9], v[54:57], off
	s_wait_loadcnt 0x9
	global_store_b128 v[10:11], v[58:61], off
	s_wait_loadcnt 0x8
	global_store_b128 v[12:13], v[62:65], off
	s_wait_loadcnt 0x7
	global_store_b128 v[18:19], v[66:69], off
	s_wait_loadcnt 0x6
	global_store_b128 v[20:21], v[70:73], off
	s_wait_loadcnt 0x5
	global_store_b128 v[22:23], v[74:77], off
	s_wait_loadcnt 0x4
	global_store_b128 v[24:25], v[78:81], off
	s_wait_loadcnt 0x3
	global_store_b128 v[26:27], v[82:85], off
	s_wait_loadcnt 0x2
	global_store_b128 v[28:29], v[86:89], off
	s_wait_loadcnt 0x1
	global_store_b128 v[30:31], v[90:93], off
	s_wait_loadcnt 0x0
	global_store_b128 v[32:33], v[94:97], off
	s_sendmsg sendmsg(MSG_DEALLOC_VGPRS)
	s_endpgm
	.section	.rodata,"a",@progbits
	.p2align	6, 0x0
	.amdhsa_kernel _ZN9rocsolver6v33100L18getri_kernel_smallILi16E19rocblas_complex_numIdEPS3_EEvT1_iilPiilS6_bb
		.amdhsa_group_segment_fixed_size 1544
		.amdhsa_private_segment_fixed_size 272
		.amdhsa_kernarg_size 60
		.amdhsa_user_sgpr_count 4
		.amdhsa_user_sgpr_dispatch_ptr 1
		.amdhsa_user_sgpr_queue_ptr 0
		.amdhsa_user_sgpr_kernarg_segment_ptr 1
		.amdhsa_user_sgpr_dispatch_id 0
		.amdhsa_user_sgpr_kernarg_preload_length 0
		.amdhsa_user_sgpr_kernarg_preload_offset 0
		.amdhsa_user_sgpr_private_segment_size 0
		.amdhsa_wavefront_size32 1
		.amdhsa_uses_dynamic_stack 0
		.amdhsa_enable_private_segment 1
		.amdhsa_system_sgpr_workgroup_id_x 1
		.amdhsa_system_sgpr_workgroup_id_y 0
		.amdhsa_system_sgpr_workgroup_id_z 0
		.amdhsa_system_sgpr_workgroup_info 0
		.amdhsa_system_vgpr_workitem_id 2
		.amdhsa_next_free_vgpr 112
		.amdhsa_next_free_sgpr 31
		.amdhsa_named_barrier_count 0
		.amdhsa_reserve_vcc 1
		.amdhsa_float_round_mode_32 0
		.amdhsa_float_round_mode_16_64 0
		.amdhsa_float_denorm_mode_32 3
		.amdhsa_float_denorm_mode_16_64 3
		.amdhsa_fp16_overflow 0
		.amdhsa_memory_ordered 1
		.amdhsa_forward_progress 1
		.amdhsa_inst_pref_size 130
		.amdhsa_round_robin_scheduling 0
		.amdhsa_exception_fp_ieee_invalid_op 0
		.amdhsa_exception_fp_denorm_src 0
		.amdhsa_exception_fp_ieee_div_zero 0
		.amdhsa_exception_fp_ieee_overflow 0
		.amdhsa_exception_fp_ieee_underflow 0
		.amdhsa_exception_fp_ieee_inexact 0
		.amdhsa_exception_int_div_zero 0
	.end_amdhsa_kernel
	.section	.text._ZN9rocsolver6v33100L18getri_kernel_smallILi16E19rocblas_complex_numIdEPS3_EEvT1_iilPiilS6_bb,"axG",@progbits,_ZN9rocsolver6v33100L18getri_kernel_smallILi16E19rocblas_complex_numIdEPS3_EEvT1_iilPiilS6_bb,comdat
.Lfunc_end15:
	.size	_ZN9rocsolver6v33100L18getri_kernel_smallILi16E19rocblas_complex_numIdEPS3_EEvT1_iilPiilS6_bb, .Lfunc_end15-_ZN9rocsolver6v33100L18getri_kernel_smallILi16E19rocblas_complex_numIdEPS3_EEvT1_iilPiilS6_bb
                                        ; -- End function
	.set _ZN9rocsolver6v33100L18getri_kernel_smallILi16E19rocblas_complex_numIdEPS3_EEvT1_iilPiilS6_bb.num_vgpr, 112
	.set _ZN9rocsolver6v33100L18getri_kernel_smallILi16E19rocblas_complex_numIdEPS3_EEvT1_iilPiilS6_bb.num_agpr, 0
	.set _ZN9rocsolver6v33100L18getri_kernel_smallILi16E19rocblas_complex_numIdEPS3_EEvT1_iilPiilS6_bb.numbered_sgpr, 31
	.set _ZN9rocsolver6v33100L18getri_kernel_smallILi16E19rocblas_complex_numIdEPS3_EEvT1_iilPiilS6_bb.num_named_barrier, 0
	.set _ZN9rocsolver6v33100L18getri_kernel_smallILi16E19rocblas_complex_numIdEPS3_EEvT1_iilPiilS6_bb.private_seg_size, 272
	.set _ZN9rocsolver6v33100L18getri_kernel_smallILi16E19rocblas_complex_numIdEPS3_EEvT1_iilPiilS6_bb.uses_vcc, 1
	.set _ZN9rocsolver6v33100L18getri_kernel_smallILi16E19rocblas_complex_numIdEPS3_EEvT1_iilPiilS6_bb.uses_flat_scratch, 1
	.set _ZN9rocsolver6v33100L18getri_kernel_smallILi16E19rocblas_complex_numIdEPS3_EEvT1_iilPiilS6_bb.has_dyn_sized_stack, 0
	.set _ZN9rocsolver6v33100L18getri_kernel_smallILi16E19rocblas_complex_numIdEPS3_EEvT1_iilPiilS6_bb.has_recursion, 0
	.set _ZN9rocsolver6v33100L18getri_kernel_smallILi16E19rocblas_complex_numIdEPS3_EEvT1_iilPiilS6_bb.has_indirect_call, 0
	.section	.AMDGPU.csdata,"",@progbits
; Kernel info:
; codeLenInByte = 16600
; TotalNumSgprs: 33
; NumVgprs: 112
; ScratchSize: 272
; MemoryBound: 0
; FloatMode: 240
; IeeeMode: 1
; LDSByteSize: 1544 bytes/workgroup (compile time only)
; SGPRBlocks: 0
; VGPRBlocks: 6
; NumSGPRsForWavesPerEU: 33
; NumVGPRsForWavesPerEU: 112
; NamedBarCnt: 0
; Occupancy: 9
; WaveLimiterHint : 1
; COMPUTE_PGM_RSRC2:SCRATCH_EN: 1
; COMPUTE_PGM_RSRC2:USER_SGPR: 4
; COMPUTE_PGM_RSRC2:TRAP_HANDLER: 0
; COMPUTE_PGM_RSRC2:TGID_X_EN: 1
; COMPUTE_PGM_RSRC2:TGID_Y_EN: 0
; COMPUTE_PGM_RSRC2:TGID_Z_EN: 0
; COMPUTE_PGM_RSRC2:TIDIG_COMP_CNT: 2
	.section	.text._ZN9rocsolver6v33100L18getri_kernel_smallILi17E19rocblas_complex_numIdEPS3_EEvT1_iilPiilS6_bb,"axG",@progbits,_ZN9rocsolver6v33100L18getri_kernel_smallILi17E19rocblas_complex_numIdEPS3_EEvT1_iilPiilS6_bb,comdat
	.globl	_ZN9rocsolver6v33100L18getri_kernel_smallILi17E19rocblas_complex_numIdEPS3_EEvT1_iilPiilS6_bb ; -- Begin function _ZN9rocsolver6v33100L18getri_kernel_smallILi17E19rocblas_complex_numIdEPS3_EEvT1_iilPiilS6_bb
	.p2align	8
	.type	_ZN9rocsolver6v33100L18getri_kernel_smallILi17E19rocblas_complex_numIdEPS3_EEvT1_iilPiilS6_bb,@function
_ZN9rocsolver6v33100L18getri_kernel_smallILi17E19rocblas_complex_numIdEPS3_EEvT1_iilPiilS6_bb: ; @_ZN9rocsolver6v33100L18getri_kernel_smallILi17E19rocblas_complex_numIdEPS3_EEvT1_iilPiilS6_bb
; %bb.0:
	v_and_b32_e32 v1, 0x3ff, v0
	s_mov_b32 s4, exec_lo
	s_delay_alu instid0(VALU_DEP_1)
	v_cmpx_gt_u32_e32 17, v1
	s_cbranch_execz .LBB16_82
; %bb.1:
	s_clause 0x2
	s_load_b32 s8, s[2:3], 0x38
	s_load_b128 s[12:15], s[2:3], 0x10
	s_load_b128 s[4:7], s[2:3], 0x28
	s_getreg_b32 s11, hwreg(HW_REG_IB_STS2, 6, 4)
                                        ; implicit-def: $sgpr16_sgpr17
	s_wait_kmcnt 0x0
	s_bitcmp1_b32 s8, 8
	s_cselect_b32 s28, -1, 0
	s_bfe_u32 s9, ttmp6, 0x4000c
	s_and_b32 s10, ttmp6, 15
	s_add_co_i32 s9, s9, 1
	s_delay_alu instid0(SALU_CYCLE_1) | instskip(NEXT) | instid1(SALU_CYCLE_1)
	s_mul_i32 s9, ttmp9, s9
	s_add_co_i32 s10, s10, s9
	s_cmp_eq_u32 s11, 0
	s_cselect_b32 s18, ttmp9, s10
	s_bfe_u32 s8, s8, 0x10008
	s_ashr_i32 s19, s18, 31
	s_cmp_eq_u32 s8, 0
	s_cbranch_scc1 .LBB16_3
; %bb.2:
	s_load_b32 s8, s[2:3], 0x20
	s_mul_u64 s[4:5], s[4:5], s[18:19]
	s_delay_alu instid0(SALU_CYCLE_1) | instskip(NEXT) | instid1(SALU_CYCLE_1)
	s_lshl_b64 s[4:5], s[4:5], 2
	s_add_nc_u64 s[4:5], s[14:15], s[4:5]
	s_wait_kmcnt 0x0
	s_ashr_i32 s9, s8, 31
	s_delay_alu instid0(SALU_CYCLE_1) | instskip(NEXT) | instid1(SALU_CYCLE_1)
	s_lshl_b64 s[8:9], s[8:9], 2
	s_add_nc_u64 s[16:17], s[4:5], s[8:9]
.LBB16_3:
	s_clause 0x1
	s_load_b128 s[8:11], s[2:3], 0x0
	s_load_b32 s29, s[2:3], 0x38
	s_wait_xcnt 0x0
	s_mul_u64 s[2:3], s[12:13], s[18:19]
	s_movk_i32 s12, 0x50
	s_lshl_b64 s[2:3], s[2:3], 4
	s_movk_i32 s13, 0x60
	s_movk_i32 s20, 0x70
	;; [unrolled: 1-line block ×11, first 2 shown]
	v_dual_mov_b32 v49, 0 :: v_dual_lshlrev_b32 v48, 4, v1
	s_wait_kmcnt 0x0
	v_add3_u32 v18, s11, s11, v1
	s_ashr_i32 s5, s10, 31
	s_mov_b32 s4, s10
	s_add_nc_u64 s[2:3], s[8:9], s[2:3]
	s_lshl_b64 s[4:5], s[4:5], 4
	v_add_nc_u32_e32 v20, s11, v18
	s_add_nc_u64 s[4:5], s[2:3], s[4:5]
	s_ashr_i32 s3, s11, 31
	s_mov_b32 s2, s11
	s_clause 0x1
	global_load_b128 v[2:5], v18, s[4:5] scale_offset
	global_load_b128 v[6:9], v20, s[4:5] scale_offset
	v_add_nc_u32_e32 v22, s11, v20
	s_mov_b32 s8, 32
	s_mov_b32 s9, 48
	;; [unrolled: 1-line block ×3, first 2 shown]
	s_bitcmp0_b32 s29, 0
	v_add_nc_u32_e32 v24, s11, v22
	v_add_nc_u64_e32 v[14:15], s[4:5], v[48:49]
	s_delay_alu instid0(VALU_DEP_2) | instskip(NEXT) | instid1(VALU_DEP_2)
	v_add_nc_u32_e32 v26, s11, v24
	v_lshl_add_u64 v[16:17], s[2:3], 4, v[14:15]
	s_mov_b32 s3, -1
	s_delay_alu instid0(VALU_DEP_2) | instskip(NEXT) | instid1(VALU_DEP_1)
	v_add_nc_u32_e32 v28, s11, v26
	v_add_nc_u32_e32 v30, s11, v28
	s_clause 0x3
	global_load_b128 v[10:13], v1, s[4:5] scale_offset
	global_load_b128 v[50:53], v[16:17], off
	global_load_b128 v[54:57], v22, s[4:5] scale_offset
	global_load_b128 v[58:61], v24, s[4:5] scale_offset
	v_add_nc_u32_e32 v32, s11, v30
	s_delay_alu instid0(VALU_DEP_1)
	v_add_nc_u32_e32 v34, s11, v32
	s_clause 0x3
	global_load_b128 v[62:65], v26, s[4:5] scale_offset
	global_load_b128 v[66:69], v28, s[4:5] scale_offset
	;; [unrolled: 1-line block ×4, first 2 shown]
	v_add_nc_u32_e32 v36, s11, v34
	s_delay_alu instid0(VALU_DEP_1) | instskip(NEXT) | instid1(VALU_DEP_1)
	v_add_nc_u32_e32 v38, s11, v36
	v_add_nc_u32_e32 v40, s11, v38
	s_delay_alu instid0(VALU_DEP_1) | instskip(SKIP_4) | instid1(VALU_DEP_1)
	v_add_nc_u32_e32 v42, s11, v40
	s_clause 0x1
	global_load_b128 v[78:81], v34, s[4:5] scale_offset
	global_load_b128 v[82:85], v36, s[4:5] scale_offset
	v_add_nc_u32_e32 v44, s11, v42
	v_add_nc_u32_e32 v46, s11, v44
	s_clause 0x1
	global_load_b128 v[86:89], v38, s[4:5] scale_offset
	global_load_b128 v[90:93], v40, s[4:5] scale_offset
	s_mov_b32 s11, 16
	s_clause 0x2
	global_load_b128 v[94:97], v42, s[4:5] scale_offset
	global_load_b128 v[98:101], v44, s[4:5] scale_offset
	;; [unrolled: 1-line block ×3, first 2 shown]
	s_wait_loadcnt 0x10
	scratch_store_b128 off, v[2:5], off offset:32
	s_wait_loadcnt 0xf
	scratch_store_b128 off, v[6:9], off offset:48
	s_wait_loadcnt 0xe
	scratch_store_b128 off, v[10:13], off
	s_wait_loadcnt 0xd
	scratch_store_b128 off, v[50:53], off offset:16
	s_wait_loadcnt 0xc
	scratch_store_b128 off, v[54:57], off offset:64
	;; [unrolled: 2-line block ×14, first 2 shown]
	s_cbranch_scc1 .LBB16_80
; %bb.4:
	v_cmp_eq_u32_e64 s2, 0, v1
	s_wait_xcnt 0x0
	s_and_saveexec_b32 s3, s2
; %bb.5:
	v_mov_b32_e32 v2, 0
	ds_store_b32 v2, v2 offset:544
; %bb.6:
	s_or_b32 exec_lo, exec_lo, s3
	s_wait_storecnt_dscnt 0x0
	s_barrier_signal -1
	s_barrier_wait -1
	scratch_load_b128 v[2:5], v1, off scale_offset
	s_wait_loadcnt 0x0
	v_cmp_eq_f64_e32 vcc_lo, 0, v[2:3]
	v_cmp_eq_f64_e64 s3, 0, v[4:5]
	s_and_b32 s3, vcc_lo, s3
	s_delay_alu instid0(SALU_CYCLE_1)
	s_and_saveexec_b32 s29, s3
	s_cbranch_execz .LBB16_10
; %bb.7:
	v_mov_b32_e32 v2, 0
	s_mov_b32 s30, 0
	ds_load_b32 v3, v2 offset:544
	s_wait_dscnt 0x0
	v_readfirstlane_b32 s3, v3
	v_add_nc_u32_e32 v3, 1, v1
	s_cmp_eq_u32 s3, 0
	s_delay_alu instid0(VALU_DEP_1) | instskip(SKIP_1) | instid1(SALU_CYCLE_1)
	v_cmp_gt_i32_e32 vcc_lo, s3, v3
	s_cselect_b32 s31, -1, 0
	s_or_b32 s31, s31, vcc_lo
	s_delay_alu instid0(SALU_CYCLE_1)
	s_and_b32 exec_lo, exec_lo, s31
	s_cbranch_execz .LBB16_10
; %bb.8:
	v_mov_b32_e32 v4, s3
.LBB16_9:                               ; =>This Inner Loop Header: Depth=1
	ds_cmpstore_rtn_b32 v4, v2, v3, v4 offset:544
	s_wait_dscnt 0x0
	v_cmp_ne_u32_e32 vcc_lo, 0, v4
	v_cmp_le_i32_e64 s3, v4, v3
	s_and_b32 s3, vcc_lo, s3
	s_delay_alu instid0(SALU_CYCLE_1) | instskip(NEXT) | instid1(SALU_CYCLE_1)
	s_and_b32 s3, exec_lo, s3
	s_or_b32 s30, s3, s30
	s_delay_alu instid0(SALU_CYCLE_1)
	s_and_not1_b32 exec_lo, exec_lo, s30
	s_cbranch_execnz .LBB16_9
.LBB16_10:
	s_or_b32 exec_lo, exec_lo, s29
	v_mov_b32_e32 v2, 0
	s_barrier_signal -1
	s_barrier_wait -1
	ds_load_b32 v3, v2 offset:544
	s_and_saveexec_b32 s3, s2
	s_cbranch_execz .LBB16_12
; %bb.11:
	s_lshl_b64 s[30:31], s[18:19], 2
	s_delay_alu instid0(SALU_CYCLE_1)
	s_add_nc_u64 s[30:31], s[6:7], s[30:31]
	s_wait_dscnt 0x0
	global_store_b32 v2, v3, s[30:31]
.LBB16_12:
	s_wait_xcnt 0x0
	s_or_b32 exec_lo, exec_lo, s3
	s_wait_dscnt 0x0
	v_cmp_ne_u32_e32 vcc_lo, 0, v3
	s_mov_b32 s3, 0
	s_cbranch_vccnz .LBB16_80
; %bb.13:
	v_lshl_add_u32 v19, v1, 4, 0
                                        ; implicit-def: $vgpr6_vgpr7
                                        ; implicit-def: $vgpr10_vgpr11
	scratch_load_b128 v[2:5], v19, off
	s_wait_loadcnt 0x0
	v_cmp_ngt_f64_e64 s3, |v[2:3]|, |v[4:5]|
	s_wait_xcnt 0x0
	s_and_saveexec_b32 s29, s3
	s_delay_alu instid0(SALU_CYCLE_1)
	s_xor_b32 s3, exec_lo, s29
	s_cbranch_execz .LBB16_15
; %bb.14:
	v_div_scale_f64 v[6:7], null, v[4:5], v[4:5], v[2:3]
	v_div_scale_f64 v[12:13], vcc_lo, v[2:3], v[4:5], v[2:3]
	s_delay_alu instid0(VALU_DEP_2) | instskip(SKIP_1) | instid1(TRANS32_DEP_1)
	v_rcp_f64_e32 v[8:9], v[6:7]
	v_nop
	v_fma_f64 v[10:11], -v[6:7], v[8:9], 1.0
	s_delay_alu instid0(VALU_DEP_1) | instskip(NEXT) | instid1(VALU_DEP_1)
	v_fmac_f64_e32 v[8:9], v[8:9], v[10:11]
	v_fma_f64 v[10:11], -v[6:7], v[8:9], 1.0
	s_delay_alu instid0(VALU_DEP_1) | instskip(NEXT) | instid1(VALU_DEP_1)
	v_fmac_f64_e32 v[8:9], v[8:9], v[10:11]
	v_mul_f64_e32 v[10:11], v[12:13], v[8:9]
	s_delay_alu instid0(VALU_DEP_1) | instskip(NEXT) | instid1(VALU_DEP_1)
	v_fma_f64 v[6:7], -v[6:7], v[10:11], v[12:13]
	v_div_fmas_f64 v[6:7], v[6:7], v[8:9], v[10:11]
	s_delay_alu instid0(VALU_DEP_1) | instskip(NEXT) | instid1(VALU_DEP_1)
	v_div_fixup_f64 v[6:7], v[6:7], v[4:5], v[2:3]
	v_fmac_f64_e32 v[4:5], v[2:3], v[6:7]
	s_delay_alu instid0(VALU_DEP_1) | instskip(SKIP_1) | instid1(VALU_DEP_2)
	v_div_scale_f64 v[2:3], null, v[4:5], v[4:5], 1.0
	v_div_scale_f64 v[12:13], vcc_lo, 1.0, v[4:5], 1.0
	v_rcp_f64_e32 v[8:9], v[2:3]
	v_nop
	s_delay_alu instid0(TRANS32_DEP_1) | instskip(NEXT) | instid1(VALU_DEP_1)
	v_fma_f64 v[10:11], -v[2:3], v[8:9], 1.0
	v_fmac_f64_e32 v[8:9], v[8:9], v[10:11]
	s_delay_alu instid0(VALU_DEP_1) | instskip(NEXT) | instid1(VALU_DEP_1)
	v_fma_f64 v[10:11], -v[2:3], v[8:9], 1.0
	v_fmac_f64_e32 v[8:9], v[8:9], v[10:11]
	s_delay_alu instid0(VALU_DEP_1) | instskip(NEXT) | instid1(VALU_DEP_1)
	v_mul_f64_e32 v[10:11], v[12:13], v[8:9]
	v_fma_f64 v[2:3], -v[2:3], v[10:11], v[12:13]
	s_delay_alu instid0(VALU_DEP_1) | instskip(NEXT) | instid1(VALU_DEP_1)
	v_div_fmas_f64 v[2:3], v[2:3], v[8:9], v[10:11]
	v_div_fixup_f64 v[8:9], v[2:3], v[4:5], 1.0
                                        ; implicit-def: $vgpr2_vgpr3
	s_delay_alu instid0(VALU_DEP_1) | instskip(SKIP_1) | instid1(VALU_DEP_2)
	v_mul_f64_e32 v[6:7], v[6:7], v[8:9]
	v_xor_b32_e32 v9, 0x80000000, v9
	v_xor_b32_e32 v11, 0x80000000, v7
	s_delay_alu instid0(VALU_DEP_3)
	v_mov_b32_e32 v10, v6
.LBB16_15:
	s_and_not1_saveexec_b32 s3, s3
	s_cbranch_execz .LBB16_17
; %bb.16:
	v_div_scale_f64 v[6:7], null, v[2:3], v[2:3], v[4:5]
	v_div_scale_f64 v[12:13], vcc_lo, v[4:5], v[2:3], v[4:5]
	s_delay_alu instid0(VALU_DEP_2) | instskip(SKIP_1) | instid1(TRANS32_DEP_1)
	v_rcp_f64_e32 v[8:9], v[6:7]
	v_nop
	v_fma_f64 v[10:11], -v[6:7], v[8:9], 1.0
	s_delay_alu instid0(VALU_DEP_1) | instskip(NEXT) | instid1(VALU_DEP_1)
	v_fmac_f64_e32 v[8:9], v[8:9], v[10:11]
	v_fma_f64 v[10:11], -v[6:7], v[8:9], 1.0
	s_delay_alu instid0(VALU_DEP_1) | instskip(NEXT) | instid1(VALU_DEP_1)
	v_fmac_f64_e32 v[8:9], v[8:9], v[10:11]
	v_mul_f64_e32 v[10:11], v[12:13], v[8:9]
	s_delay_alu instid0(VALU_DEP_1) | instskip(NEXT) | instid1(VALU_DEP_1)
	v_fma_f64 v[6:7], -v[6:7], v[10:11], v[12:13]
	v_div_fmas_f64 v[6:7], v[6:7], v[8:9], v[10:11]
	s_delay_alu instid0(VALU_DEP_1) | instskip(NEXT) | instid1(VALU_DEP_1)
	v_div_fixup_f64 v[8:9], v[6:7], v[2:3], v[4:5]
	v_fmac_f64_e32 v[2:3], v[4:5], v[8:9]
	s_delay_alu instid0(VALU_DEP_1) | instskip(NEXT) | instid1(VALU_DEP_1)
	v_div_scale_f64 v[4:5], null, v[2:3], v[2:3], 1.0
	v_rcp_f64_e32 v[6:7], v[4:5]
	v_nop
	s_delay_alu instid0(TRANS32_DEP_1) | instskip(NEXT) | instid1(VALU_DEP_1)
	v_fma_f64 v[10:11], -v[4:5], v[6:7], 1.0
	v_fmac_f64_e32 v[6:7], v[6:7], v[10:11]
	s_delay_alu instid0(VALU_DEP_1) | instskip(NEXT) | instid1(VALU_DEP_1)
	v_fma_f64 v[10:11], -v[4:5], v[6:7], 1.0
	v_fmac_f64_e32 v[6:7], v[6:7], v[10:11]
	v_div_scale_f64 v[10:11], vcc_lo, 1.0, v[2:3], 1.0
	s_delay_alu instid0(VALU_DEP_1) | instskip(NEXT) | instid1(VALU_DEP_1)
	v_mul_f64_e32 v[12:13], v[10:11], v[6:7]
	v_fma_f64 v[4:5], -v[4:5], v[12:13], v[10:11]
	s_delay_alu instid0(VALU_DEP_1) | instskip(NEXT) | instid1(VALU_DEP_1)
	v_div_fmas_f64 v[4:5], v[4:5], v[6:7], v[12:13]
	v_div_fixup_f64 v[6:7], v[4:5], v[2:3], 1.0
	s_delay_alu instid0(VALU_DEP_1)
	v_mul_f64_e64 v[8:9], v[8:9], -v[6:7]
	v_xor_b32_e32 v11, 0x80000000, v7
	v_mov_b32_e32 v10, v6
.LBB16_17:
	s_or_b32 exec_lo, exec_lo, s3
	s_clause 0x1
	scratch_store_b128 v19, v[6:9], off
	scratch_load_b128 v[2:5], off, s11
	v_xor_b32_e32 v13, 0x80000000, v9
	v_mov_b32_e32 v12, v8
	s_wait_xcnt 0x1
	v_add_nc_u32_e32 v6, 0x110, v48
	ds_store_b128 v48, v[10:13]
	s_wait_loadcnt 0x0
	ds_store_b128 v48, v[2:5] offset:272
	s_wait_storecnt_dscnt 0x0
	s_barrier_signal -1
	s_barrier_wait -1
	s_wait_xcnt 0x0
	s_and_saveexec_b32 s3, s2
	s_cbranch_execz .LBB16_19
; %bb.18:
	scratch_load_b128 v[2:5], v19, off
	ds_load_b128 v[8:11], v6
	v_mov_b32_e32 v7, 0
	ds_load_b128 v[50:53], v7 offset:16
	s_wait_loadcnt_dscnt 0x1
	v_mul_f64_e32 v[12:13], v[8:9], v[4:5]
	v_mul_f64_e32 v[4:5], v[10:11], v[4:5]
	s_delay_alu instid0(VALU_DEP_2) | instskip(NEXT) | instid1(VALU_DEP_2)
	v_fmac_f64_e32 v[12:13], v[10:11], v[2:3]
	v_fma_f64 v[2:3], v[8:9], v[2:3], -v[4:5]
	s_delay_alu instid0(VALU_DEP_2) | instskip(NEXT) | instid1(VALU_DEP_2)
	v_add_f64_e32 v[8:9], 0, v[12:13]
	v_add_f64_e32 v[2:3], 0, v[2:3]
	s_wait_dscnt 0x0
	s_delay_alu instid0(VALU_DEP_2) | instskip(NEXT) | instid1(VALU_DEP_2)
	v_mul_f64_e32 v[10:11], v[8:9], v[52:53]
	v_mul_f64_e32 v[4:5], v[2:3], v[52:53]
	s_delay_alu instid0(VALU_DEP_2) | instskip(NEXT) | instid1(VALU_DEP_2)
	v_fma_f64 v[2:3], v[2:3], v[50:51], -v[10:11]
	v_fmac_f64_e32 v[4:5], v[8:9], v[50:51]
	scratch_store_b128 off, v[2:5], off offset:16
.LBB16_19:
	s_wait_xcnt 0x0
	s_or_b32 exec_lo, exec_lo, s3
	s_wait_storecnt 0x0
	s_barrier_signal -1
	s_barrier_wait -1
	scratch_load_b128 v[2:5], off, s8
	s_mov_b32 s3, exec_lo
	s_wait_loadcnt 0x0
	ds_store_b128 v6, v[2:5]
	s_wait_dscnt 0x0
	s_barrier_signal -1
	s_barrier_wait -1
	v_cmpx_gt_u32_e32 2, v1
	s_cbranch_execz .LBB16_23
; %bb.20:
	scratch_load_b128 v[2:5], v19, off
	ds_load_b128 v[8:11], v6
	s_wait_loadcnt_dscnt 0x0
	v_mul_f64_e32 v[12:13], v[10:11], v[4:5]
	v_mul_f64_e32 v[50:51], v[8:9], v[4:5]
	s_delay_alu instid0(VALU_DEP_2) | instskip(NEXT) | instid1(VALU_DEP_2)
	v_fma_f64 v[4:5], v[8:9], v[2:3], -v[12:13]
	v_fmac_f64_e32 v[50:51], v[10:11], v[2:3]
	s_delay_alu instid0(VALU_DEP_2) | instskip(NEXT) | instid1(VALU_DEP_2)
	v_add_f64_e32 v[4:5], 0, v[4:5]
	v_add_f64_e32 v[2:3], 0, v[50:51]
	s_and_saveexec_b32 s29, s2
	s_cbranch_execz .LBB16_22
; %bb.21:
	scratch_load_b128 v[8:11], off, off offset:16
	v_mov_b32_e32 v7, 0
	ds_load_b128 v[50:53], v7 offset:288
	s_wait_loadcnt_dscnt 0x0
	v_mul_f64_e32 v[12:13], v[50:51], v[10:11]
	v_mul_f64_e32 v[10:11], v[52:53], v[10:11]
	s_delay_alu instid0(VALU_DEP_2) | instskip(NEXT) | instid1(VALU_DEP_2)
	v_fmac_f64_e32 v[12:13], v[52:53], v[8:9]
	v_fma_f64 v[8:9], v[50:51], v[8:9], -v[10:11]
	s_delay_alu instid0(VALU_DEP_2) | instskip(NEXT) | instid1(VALU_DEP_2)
	v_add_f64_e32 v[2:3], v[2:3], v[12:13]
	v_add_f64_e32 v[4:5], v[4:5], v[8:9]
.LBB16_22:
	s_or_b32 exec_lo, exec_lo, s29
	v_mov_b32_e32 v7, 0
	ds_load_b128 v[8:11], v7 offset:32
	s_wait_dscnt 0x0
	v_mul_f64_e32 v[50:51], v[2:3], v[10:11]
	v_mul_f64_e32 v[12:13], v[4:5], v[10:11]
	s_delay_alu instid0(VALU_DEP_2) | instskip(NEXT) | instid1(VALU_DEP_2)
	v_fma_f64 v[10:11], v[4:5], v[8:9], -v[50:51]
	v_fmac_f64_e32 v[12:13], v[2:3], v[8:9]
	scratch_store_b128 off, v[10:13], off offset:32
.LBB16_23:
	s_wait_xcnt 0x0
	s_or_b32 exec_lo, exec_lo, s3
	s_wait_storecnt 0x0
	s_barrier_signal -1
	s_barrier_wait -1
	scratch_load_b128 v[2:5], off, s9
	v_add_nc_u32_e32 v7, -1, v1
	s_mov_b32 s2, exec_lo
	s_wait_loadcnt 0x0
	ds_store_b128 v6, v[2:5]
	s_wait_dscnt 0x0
	s_barrier_signal -1
	s_barrier_wait -1
	v_cmpx_gt_u32_e32 3, v1
	s_cbranch_execz .LBB16_27
; %bb.24:
	v_dual_mov_b32 v10, v48 :: v_dual_add_nc_u32 v8, -1, v1
	v_mov_b64_e32 v[2:3], 0
	v_mov_b64_e32 v[4:5], 0
	v_add_nc_u32_e32 v9, 0x110, v48
	s_delay_alu instid0(VALU_DEP_4)
	v_or_b32_e32 v10, 8, v10
	s_mov_b32 s3, 0
.LBB16_25:                              ; =>This Inner Loop Header: Depth=1
	scratch_load_b128 v[50:53], v10, off offset:-8
	ds_load_b128 v[54:57], v9
	s_wait_xcnt 0x0
	v_dual_add_nc_u32 v9, 16, v9 :: v_dual_add_nc_u32 v10, 16, v10
	v_add_nc_u32_e32 v8, 1, v8
	s_delay_alu instid0(VALU_DEP_1) | instskip(SKIP_4) | instid1(VALU_DEP_2)
	v_cmp_lt_u32_e32 vcc_lo, 1, v8
	s_or_b32 s3, vcc_lo, s3
	s_wait_loadcnt_dscnt 0x0
	v_mul_f64_e32 v[12:13], v[56:57], v[52:53]
	v_mul_f64_e32 v[52:53], v[54:55], v[52:53]
	v_fma_f64 v[12:13], v[54:55], v[50:51], -v[12:13]
	s_delay_alu instid0(VALU_DEP_2) | instskip(NEXT) | instid1(VALU_DEP_2)
	v_fmac_f64_e32 v[52:53], v[56:57], v[50:51]
	v_add_f64_e32 v[4:5], v[4:5], v[12:13]
	s_delay_alu instid0(VALU_DEP_2)
	v_add_f64_e32 v[2:3], v[2:3], v[52:53]
	s_and_not1_b32 exec_lo, exec_lo, s3
	s_cbranch_execnz .LBB16_25
; %bb.26:
	s_or_b32 exec_lo, exec_lo, s3
	v_mov_b32_e32 v8, 0
	ds_load_b128 v[8:11], v8 offset:48
	s_wait_dscnt 0x0
	v_mul_f64_e32 v[50:51], v[2:3], v[10:11]
	v_mul_f64_e32 v[12:13], v[4:5], v[10:11]
	s_delay_alu instid0(VALU_DEP_2) | instskip(NEXT) | instid1(VALU_DEP_2)
	v_fma_f64 v[10:11], v[4:5], v[8:9], -v[50:51]
	v_fmac_f64_e32 v[12:13], v[2:3], v[8:9]
	scratch_store_b128 off, v[10:13], off offset:48
.LBB16_27:
	s_wait_xcnt 0x0
	s_or_b32 exec_lo, exec_lo, s2
	s_wait_storecnt 0x0
	s_barrier_signal -1
	s_barrier_wait -1
	scratch_load_b128 v[2:5], off, s10
	s_mov_b32 s2, exec_lo
	s_wait_loadcnt 0x0
	ds_store_b128 v6, v[2:5]
	s_wait_dscnt 0x0
	s_barrier_signal -1
	s_barrier_wait -1
	v_cmpx_gt_u32_e32 4, v1
	s_cbranch_execz .LBB16_31
; %bb.28:
	v_dual_mov_b32 v10, v48 :: v_dual_add_nc_u32 v8, -1, v1
	v_mov_b64_e32 v[2:3], 0
	v_mov_b64_e32 v[4:5], 0
	v_add_nc_u32_e32 v9, 0x110, v48
	s_delay_alu instid0(VALU_DEP_4)
	v_or_b32_e32 v10, 8, v10
	s_mov_b32 s3, 0
.LBB16_29:                              ; =>This Inner Loop Header: Depth=1
	scratch_load_b128 v[50:53], v10, off offset:-8
	ds_load_b128 v[54:57], v9
	s_wait_xcnt 0x0
	v_dual_add_nc_u32 v9, 16, v9 :: v_dual_add_nc_u32 v10, 16, v10
	v_add_nc_u32_e32 v8, 1, v8
	s_delay_alu instid0(VALU_DEP_1) | instskip(SKIP_4) | instid1(VALU_DEP_2)
	v_cmp_lt_u32_e32 vcc_lo, 2, v8
	s_or_b32 s3, vcc_lo, s3
	s_wait_loadcnt_dscnt 0x0
	v_mul_f64_e32 v[12:13], v[56:57], v[52:53]
	v_mul_f64_e32 v[52:53], v[54:55], v[52:53]
	v_fma_f64 v[12:13], v[54:55], v[50:51], -v[12:13]
	s_delay_alu instid0(VALU_DEP_2) | instskip(NEXT) | instid1(VALU_DEP_2)
	v_fmac_f64_e32 v[52:53], v[56:57], v[50:51]
	v_add_f64_e32 v[4:5], v[4:5], v[12:13]
	s_delay_alu instid0(VALU_DEP_2)
	v_add_f64_e32 v[2:3], v[2:3], v[52:53]
	s_and_not1_b32 exec_lo, exec_lo, s3
	s_cbranch_execnz .LBB16_29
; %bb.30:
	s_or_b32 exec_lo, exec_lo, s3
	v_mov_b32_e32 v8, 0
	ds_load_b128 v[8:11], v8 offset:64
	s_wait_dscnt 0x0
	v_mul_f64_e32 v[50:51], v[2:3], v[10:11]
	v_mul_f64_e32 v[12:13], v[4:5], v[10:11]
	s_delay_alu instid0(VALU_DEP_2) | instskip(NEXT) | instid1(VALU_DEP_2)
	v_fma_f64 v[10:11], v[4:5], v[8:9], -v[50:51]
	v_fmac_f64_e32 v[12:13], v[2:3], v[8:9]
	scratch_store_b128 off, v[10:13], off offset:64
.LBB16_31:
	s_wait_xcnt 0x0
	s_or_b32 exec_lo, exec_lo, s2
	s_wait_storecnt 0x0
	s_barrier_signal -1
	s_barrier_wait -1
	scratch_load_b128 v[2:5], off, s12
	s_mov_b32 s2, exec_lo
	s_wait_loadcnt 0x0
	ds_store_b128 v6, v[2:5]
	s_wait_dscnt 0x0
	s_barrier_signal -1
	s_barrier_wait -1
	v_cmpx_gt_u32_e32 5, v1
	s_cbranch_execz .LBB16_35
; %bb.32:
	v_dual_mov_b32 v10, v48 :: v_dual_add_nc_u32 v8, -1, v1
	v_mov_b64_e32 v[2:3], 0
	v_mov_b64_e32 v[4:5], 0
	v_add_nc_u32_e32 v9, 0x110, v48
	s_delay_alu instid0(VALU_DEP_4)
	v_or_b32_e32 v10, 8, v10
	s_mov_b32 s3, 0
.LBB16_33:                              ; =>This Inner Loop Header: Depth=1
	scratch_load_b128 v[50:53], v10, off offset:-8
	ds_load_b128 v[54:57], v9
	s_wait_xcnt 0x0
	v_dual_add_nc_u32 v9, 16, v9 :: v_dual_add_nc_u32 v10, 16, v10
	v_add_nc_u32_e32 v8, 1, v8
	s_delay_alu instid0(VALU_DEP_1) | instskip(SKIP_4) | instid1(VALU_DEP_2)
	v_cmp_lt_u32_e32 vcc_lo, 3, v8
	s_or_b32 s3, vcc_lo, s3
	s_wait_loadcnt_dscnt 0x0
	v_mul_f64_e32 v[12:13], v[56:57], v[52:53]
	v_mul_f64_e32 v[52:53], v[54:55], v[52:53]
	v_fma_f64 v[12:13], v[54:55], v[50:51], -v[12:13]
	s_delay_alu instid0(VALU_DEP_2) | instskip(NEXT) | instid1(VALU_DEP_2)
	v_fmac_f64_e32 v[52:53], v[56:57], v[50:51]
	v_add_f64_e32 v[4:5], v[4:5], v[12:13]
	s_delay_alu instid0(VALU_DEP_2)
	v_add_f64_e32 v[2:3], v[2:3], v[52:53]
	s_and_not1_b32 exec_lo, exec_lo, s3
	s_cbranch_execnz .LBB16_33
; %bb.34:
	s_or_b32 exec_lo, exec_lo, s3
	v_mov_b32_e32 v8, 0
	ds_load_b128 v[8:11], v8 offset:80
	s_wait_dscnt 0x0
	v_mul_f64_e32 v[50:51], v[2:3], v[10:11]
	v_mul_f64_e32 v[12:13], v[4:5], v[10:11]
	s_delay_alu instid0(VALU_DEP_2) | instskip(NEXT) | instid1(VALU_DEP_2)
	v_fma_f64 v[10:11], v[4:5], v[8:9], -v[50:51]
	v_fmac_f64_e32 v[12:13], v[2:3], v[8:9]
	scratch_store_b128 off, v[10:13], off offset:80
.LBB16_35:
	s_wait_xcnt 0x0
	s_or_b32 exec_lo, exec_lo, s2
	s_wait_storecnt 0x0
	s_barrier_signal -1
	s_barrier_wait -1
	scratch_load_b128 v[2:5], off, s13
	s_mov_b32 s2, exec_lo
	s_wait_loadcnt 0x0
	ds_store_b128 v6, v[2:5]
	s_wait_dscnt 0x0
	s_barrier_signal -1
	s_barrier_wait -1
	v_cmpx_gt_u32_e32 6, v1
	s_cbranch_execz .LBB16_39
; %bb.36:
	v_dual_mov_b32 v10, v48 :: v_dual_add_nc_u32 v8, -1, v1
	v_mov_b64_e32 v[2:3], 0
	v_mov_b64_e32 v[4:5], 0
	v_add_nc_u32_e32 v9, 0x110, v48
	s_delay_alu instid0(VALU_DEP_4)
	v_or_b32_e32 v10, 8, v10
	s_mov_b32 s3, 0
.LBB16_37:                              ; =>This Inner Loop Header: Depth=1
	scratch_load_b128 v[50:53], v10, off offset:-8
	ds_load_b128 v[54:57], v9
	s_wait_xcnt 0x0
	v_dual_add_nc_u32 v9, 16, v9 :: v_dual_add_nc_u32 v10, 16, v10
	v_add_nc_u32_e32 v8, 1, v8
	s_delay_alu instid0(VALU_DEP_1) | instskip(SKIP_4) | instid1(VALU_DEP_2)
	v_cmp_lt_u32_e32 vcc_lo, 4, v8
	s_or_b32 s3, vcc_lo, s3
	s_wait_loadcnt_dscnt 0x0
	v_mul_f64_e32 v[12:13], v[56:57], v[52:53]
	v_mul_f64_e32 v[52:53], v[54:55], v[52:53]
	v_fma_f64 v[12:13], v[54:55], v[50:51], -v[12:13]
	s_delay_alu instid0(VALU_DEP_2) | instskip(NEXT) | instid1(VALU_DEP_2)
	v_fmac_f64_e32 v[52:53], v[56:57], v[50:51]
	v_add_f64_e32 v[4:5], v[4:5], v[12:13]
	s_delay_alu instid0(VALU_DEP_2)
	v_add_f64_e32 v[2:3], v[2:3], v[52:53]
	s_and_not1_b32 exec_lo, exec_lo, s3
	s_cbranch_execnz .LBB16_37
; %bb.38:
	s_or_b32 exec_lo, exec_lo, s3
	v_mov_b32_e32 v8, 0
	ds_load_b128 v[8:11], v8 offset:96
	s_wait_dscnt 0x0
	v_mul_f64_e32 v[50:51], v[2:3], v[10:11]
	v_mul_f64_e32 v[12:13], v[4:5], v[10:11]
	s_delay_alu instid0(VALU_DEP_2) | instskip(NEXT) | instid1(VALU_DEP_2)
	v_fma_f64 v[10:11], v[4:5], v[8:9], -v[50:51]
	v_fmac_f64_e32 v[12:13], v[2:3], v[8:9]
	scratch_store_b128 off, v[10:13], off offset:96
.LBB16_39:
	s_wait_xcnt 0x0
	s_or_b32 exec_lo, exec_lo, s2
	s_wait_storecnt 0x0
	s_barrier_signal -1
	s_barrier_wait -1
	scratch_load_b128 v[2:5], off, s20
	s_mov_b32 s2, exec_lo
	s_wait_loadcnt 0x0
	ds_store_b128 v6, v[2:5]
	s_wait_dscnt 0x0
	s_barrier_signal -1
	s_barrier_wait -1
	v_cmpx_gt_u32_e32 7, v1
	s_cbranch_execz .LBB16_43
; %bb.40:
	v_dual_mov_b32 v10, v48 :: v_dual_add_nc_u32 v8, -1, v1
	v_mov_b64_e32 v[2:3], 0
	v_mov_b64_e32 v[4:5], 0
	v_add_nc_u32_e32 v9, 0x110, v48
	s_delay_alu instid0(VALU_DEP_4)
	v_or_b32_e32 v10, 8, v10
	s_mov_b32 s3, 0
.LBB16_41:                              ; =>This Inner Loop Header: Depth=1
	scratch_load_b128 v[50:53], v10, off offset:-8
	ds_load_b128 v[54:57], v9
	s_wait_xcnt 0x0
	v_dual_add_nc_u32 v9, 16, v9 :: v_dual_add_nc_u32 v10, 16, v10
	v_add_nc_u32_e32 v8, 1, v8
	s_delay_alu instid0(VALU_DEP_1) | instskip(SKIP_4) | instid1(VALU_DEP_2)
	v_cmp_lt_u32_e32 vcc_lo, 5, v8
	s_or_b32 s3, vcc_lo, s3
	s_wait_loadcnt_dscnt 0x0
	v_mul_f64_e32 v[12:13], v[56:57], v[52:53]
	v_mul_f64_e32 v[52:53], v[54:55], v[52:53]
	v_fma_f64 v[12:13], v[54:55], v[50:51], -v[12:13]
	s_delay_alu instid0(VALU_DEP_2) | instskip(NEXT) | instid1(VALU_DEP_2)
	v_fmac_f64_e32 v[52:53], v[56:57], v[50:51]
	v_add_f64_e32 v[4:5], v[4:5], v[12:13]
	s_delay_alu instid0(VALU_DEP_2)
	v_add_f64_e32 v[2:3], v[2:3], v[52:53]
	s_and_not1_b32 exec_lo, exec_lo, s3
	s_cbranch_execnz .LBB16_41
; %bb.42:
	s_or_b32 exec_lo, exec_lo, s3
	v_mov_b32_e32 v8, 0
	ds_load_b128 v[8:11], v8 offset:112
	s_wait_dscnt 0x0
	v_mul_f64_e32 v[50:51], v[2:3], v[10:11]
	v_mul_f64_e32 v[12:13], v[4:5], v[10:11]
	s_delay_alu instid0(VALU_DEP_2) | instskip(NEXT) | instid1(VALU_DEP_2)
	v_fma_f64 v[10:11], v[4:5], v[8:9], -v[50:51]
	v_fmac_f64_e32 v[12:13], v[2:3], v[8:9]
	scratch_store_b128 off, v[10:13], off offset:112
.LBB16_43:
	s_wait_xcnt 0x0
	s_or_b32 exec_lo, exec_lo, s2
	s_wait_storecnt 0x0
	s_barrier_signal -1
	s_barrier_wait -1
	scratch_load_b128 v[2:5], off, s14
	s_mov_b32 s2, exec_lo
	s_wait_loadcnt 0x0
	ds_store_b128 v6, v[2:5]
	s_wait_dscnt 0x0
	s_barrier_signal -1
	s_barrier_wait -1
	v_cmpx_gt_u32_e32 8, v1
	s_cbranch_execz .LBB16_47
; %bb.44:
	v_dual_mov_b32 v10, v48 :: v_dual_add_nc_u32 v8, -1, v1
	v_mov_b64_e32 v[2:3], 0
	v_mov_b64_e32 v[4:5], 0
	v_add_nc_u32_e32 v9, 0x110, v48
	s_delay_alu instid0(VALU_DEP_4)
	v_or_b32_e32 v10, 8, v10
	s_mov_b32 s3, 0
.LBB16_45:                              ; =>This Inner Loop Header: Depth=1
	scratch_load_b128 v[50:53], v10, off offset:-8
	ds_load_b128 v[54:57], v9
	s_wait_xcnt 0x0
	v_dual_add_nc_u32 v9, 16, v9 :: v_dual_add_nc_u32 v10, 16, v10
	v_add_nc_u32_e32 v8, 1, v8
	s_delay_alu instid0(VALU_DEP_1) | instskip(SKIP_4) | instid1(VALU_DEP_2)
	v_cmp_lt_u32_e32 vcc_lo, 6, v8
	s_or_b32 s3, vcc_lo, s3
	s_wait_loadcnt_dscnt 0x0
	v_mul_f64_e32 v[12:13], v[56:57], v[52:53]
	v_mul_f64_e32 v[52:53], v[54:55], v[52:53]
	v_fma_f64 v[12:13], v[54:55], v[50:51], -v[12:13]
	s_delay_alu instid0(VALU_DEP_2) | instskip(NEXT) | instid1(VALU_DEP_2)
	v_fmac_f64_e32 v[52:53], v[56:57], v[50:51]
	v_add_f64_e32 v[4:5], v[4:5], v[12:13]
	s_delay_alu instid0(VALU_DEP_2)
	v_add_f64_e32 v[2:3], v[2:3], v[52:53]
	s_and_not1_b32 exec_lo, exec_lo, s3
	s_cbranch_execnz .LBB16_45
; %bb.46:
	s_or_b32 exec_lo, exec_lo, s3
	v_mov_b32_e32 v8, 0
	ds_load_b128 v[8:11], v8 offset:128
	s_wait_dscnt 0x0
	v_mul_f64_e32 v[50:51], v[2:3], v[10:11]
	v_mul_f64_e32 v[12:13], v[4:5], v[10:11]
	s_delay_alu instid0(VALU_DEP_2) | instskip(NEXT) | instid1(VALU_DEP_2)
	v_fma_f64 v[10:11], v[4:5], v[8:9], -v[50:51]
	v_fmac_f64_e32 v[12:13], v[2:3], v[8:9]
	scratch_store_b128 off, v[10:13], off offset:128
.LBB16_47:
	s_wait_xcnt 0x0
	s_or_b32 exec_lo, exec_lo, s2
	s_wait_storecnt 0x0
	s_barrier_signal -1
	s_barrier_wait -1
	scratch_load_b128 v[2:5], off, s15
	s_mov_b32 s2, exec_lo
	s_wait_loadcnt 0x0
	ds_store_b128 v6, v[2:5]
	s_wait_dscnt 0x0
	s_barrier_signal -1
	s_barrier_wait -1
	v_cmpx_gt_u32_e32 9, v1
	s_cbranch_execz .LBB16_51
; %bb.48:
	v_dual_mov_b32 v10, v48 :: v_dual_add_nc_u32 v8, -1, v1
	v_mov_b64_e32 v[2:3], 0
	v_mov_b64_e32 v[4:5], 0
	v_add_nc_u32_e32 v9, 0x110, v48
	s_delay_alu instid0(VALU_DEP_4)
	v_or_b32_e32 v10, 8, v10
	s_mov_b32 s3, 0
.LBB16_49:                              ; =>This Inner Loop Header: Depth=1
	scratch_load_b128 v[50:53], v10, off offset:-8
	ds_load_b128 v[54:57], v9
	s_wait_xcnt 0x0
	v_dual_add_nc_u32 v9, 16, v9 :: v_dual_add_nc_u32 v10, 16, v10
	v_add_nc_u32_e32 v8, 1, v8
	s_delay_alu instid0(VALU_DEP_1) | instskip(SKIP_4) | instid1(VALU_DEP_2)
	v_cmp_lt_u32_e32 vcc_lo, 7, v8
	s_or_b32 s3, vcc_lo, s3
	s_wait_loadcnt_dscnt 0x0
	v_mul_f64_e32 v[12:13], v[56:57], v[52:53]
	v_mul_f64_e32 v[52:53], v[54:55], v[52:53]
	v_fma_f64 v[12:13], v[54:55], v[50:51], -v[12:13]
	s_delay_alu instid0(VALU_DEP_2) | instskip(NEXT) | instid1(VALU_DEP_2)
	v_fmac_f64_e32 v[52:53], v[56:57], v[50:51]
	v_add_f64_e32 v[4:5], v[4:5], v[12:13]
	s_delay_alu instid0(VALU_DEP_2)
	v_add_f64_e32 v[2:3], v[2:3], v[52:53]
	s_and_not1_b32 exec_lo, exec_lo, s3
	s_cbranch_execnz .LBB16_49
; %bb.50:
	s_or_b32 exec_lo, exec_lo, s3
	v_mov_b32_e32 v8, 0
	ds_load_b128 v[8:11], v8 offset:144
	s_wait_dscnt 0x0
	v_mul_f64_e32 v[50:51], v[2:3], v[10:11]
	v_mul_f64_e32 v[12:13], v[4:5], v[10:11]
	s_delay_alu instid0(VALU_DEP_2) | instskip(NEXT) | instid1(VALU_DEP_2)
	v_fma_f64 v[10:11], v[4:5], v[8:9], -v[50:51]
	v_fmac_f64_e32 v[12:13], v[2:3], v[8:9]
	scratch_store_b128 off, v[10:13], off offset:144
.LBB16_51:
	s_wait_xcnt 0x0
	s_or_b32 exec_lo, exec_lo, s2
	s_wait_storecnt 0x0
	s_barrier_signal -1
	s_barrier_wait -1
	scratch_load_b128 v[2:5], off, s21
	s_mov_b32 s2, exec_lo
	s_wait_loadcnt 0x0
	ds_store_b128 v6, v[2:5]
	s_wait_dscnt 0x0
	s_barrier_signal -1
	s_barrier_wait -1
	v_cmpx_gt_u32_e32 10, v1
	s_cbranch_execz .LBB16_55
; %bb.52:
	v_dual_mov_b32 v10, v48 :: v_dual_add_nc_u32 v8, -1, v1
	v_mov_b64_e32 v[2:3], 0
	v_mov_b64_e32 v[4:5], 0
	v_add_nc_u32_e32 v9, 0x110, v48
	s_delay_alu instid0(VALU_DEP_4)
	v_or_b32_e32 v10, 8, v10
	s_mov_b32 s3, 0
.LBB16_53:                              ; =>This Inner Loop Header: Depth=1
	scratch_load_b128 v[50:53], v10, off offset:-8
	ds_load_b128 v[54:57], v9
	s_wait_xcnt 0x0
	v_dual_add_nc_u32 v9, 16, v9 :: v_dual_add_nc_u32 v10, 16, v10
	v_add_nc_u32_e32 v8, 1, v8
	s_delay_alu instid0(VALU_DEP_1) | instskip(SKIP_4) | instid1(VALU_DEP_2)
	v_cmp_lt_u32_e32 vcc_lo, 8, v8
	s_or_b32 s3, vcc_lo, s3
	s_wait_loadcnt_dscnt 0x0
	v_mul_f64_e32 v[12:13], v[56:57], v[52:53]
	v_mul_f64_e32 v[52:53], v[54:55], v[52:53]
	v_fma_f64 v[12:13], v[54:55], v[50:51], -v[12:13]
	s_delay_alu instid0(VALU_DEP_2) | instskip(NEXT) | instid1(VALU_DEP_2)
	v_fmac_f64_e32 v[52:53], v[56:57], v[50:51]
	v_add_f64_e32 v[4:5], v[4:5], v[12:13]
	s_delay_alu instid0(VALU_DEP_2)
	v_add_f64_e32 v[2:3], v[2:3], v[52:53]
	s_and_not1_b32 exec_lo, exec_lo, s3
	s_cbranch_execnz .LBB16_53
; %bb.54:
	s_or_b32 exec_lo, exec_lo, s3
	v_mov_b32_e32 v8, 0
	ds_load_b128 v[8:11], v8 offset:160
	s_wait_dscnt 0x0
	v_mul_f64_e32 v[50:51], v[2:3], v[10:11]
	v_mul_f64_e32 v[12:13], v[4:5], v[10:11]
	s_delay_alu instid0(VALU_DEP_2) | instskip(NEXT) | instid1(VALU_DEP_2)
	v_fma_f64 v[10:11], v[4:5], v[8:9], -v[50:51]
	v_fmac_f64_e32 v[12:13], v[2:3], v[8:9]
	scratch_store_b128 off, v[10:13], off offset:160
.LBB16_55:
	s_wait_xcnt 0x0
	s_or_b32 exec_lo, exec_lo, s2
	s_wait_storecnt 0x0
	s_barrier_signal -1
	s_barrier_wait -1
	scratch_load_b128 v[2:5], off, s22
	s_mov_b32 s2, exec_lo
	s_wait_loadcnt 0x0
	ds_store_b128 v6, v[2:5]
	s_wait_dscnt 0x0
	s_barrier_signal -1
	s_barrier_wait -1
	v_cmpx_gt_u32_e32 11, v1
	s_cbranch_execz .LBB16_59
; %bb.56:
	v_dual_mov_b32 v10, v48 :: v_dual_add_nc_u32 v8, -1, v1
	v_mov_b64_e32 v[2:3], 0
	v_mov_b64_e32 v[4:5], 0
	v_add_nc_u32_e32 v9, 0x110, v48
	s_delay_alu instid0(VALU_DEP_4)
	v_or_b32_e32 v10, 8, v10
	s_mov_b32 s3, 0
.LBB16_57:                              ; =>This Inner Loop Header: Depth=1
	scratch_load_b128 v[50:53], v10, off offset:-8
	ds_load_b128 v[54:57], v9
	s_wait_xcnt 0x0
	v_dual_add_nc_u32 v9, 16, v9 :: v_dual_add_nc_u32 v10, 16, v10
	v_add_nc_u32_e32 v8, 1, v8
	s_delay_alu instid0(VALU_DEP_1) | instskip(SKIP_4) | instid1(VALU_DEP_2)
	v_cmp_lt_u32_e32 vcc_lo, 9, v8
	s_or_b32 s3, vcc_lo, s3
	s_wait_loadcnt_dscnt 0x0
	v_mul_f64_e32 v[12:13], v[56:57], v[52:53]
	v_mul_f64_e32 v[52:53], v[54:55], v[52:53]
	v_fma_f64 v[12:13], v[54:55], v[50:51], -v[12:13]
	s_delay_alu instid0(VALU_DEP_2) | instskip(NEXT) | instid1(VALU_DEP_2)
	v_fmac_f64_e32 v[52:53], v[56:57], v[50:51]
	v_add_f64_e32 v[4:5], v[4:5], v[12:13]
	s_delay_alu instid0(VALU_DEP_2)
	v_add_f64_e32 v[2:3], v[2:3], v[52:53]
	s_and_not1_b32 exec_lo, exec_lo, s3
	s_cbranch_execnz .LBB16_57
; %bb.58:
	s_or_b32 exec_lo, exec_lo, s3
	v_mov_b32_e32 v8, 0
	ds_load_b128 v[8:11], v8 offset:176
	s_wait_dscnt 0x0
	v_mul_f64_e32 v[50:51], v[2:3], v[10:11]
	v_mul_f64_e32 v[12:13], v[4:5], v[10:11]
	s_delay_alu instid0(VALU_DEP_2) | instskip(NEXT) | instid1(VALU_DEP_2)
	v_fma_f64 v[10:11], v[4:5], v[8:9], -v[50:51]
	v_fmac_f64_e32 v[12:13], v[2:3], v[8:9]
	scratch_store_b128 off, v[10:13], off offset:176
.LBB16_59:
	s_wait_xcnt 0x0
	s_or_b32 exec_lo, exec_lo, s2
	s_wait_storecnt 0x0
	s_barrier_signal -1
	s_barrier_wait -1
	scratch_load_b128 v[2:5], off, s23
	s_mov_b32 s2, exec_lo
	s_wait_loadcnt 0x0
	ds_store_b128 v6, v[2:5]
	s_wait_dscnt 0x0
	s_barrier_signal -1
	s_barrier_wait -1
	v_cmpx_gt_u32_e32 12, v1
	s_cbranch_execz .LBB16_63
; %bb.60:
	v_dual_mov_b32 v10, v48 :: v_dual_add_nc_u32 v8, -1, v1
	v_mov_b64_e32 v[2:3], 0
	v_mov_b64_e32 v[4:5], 0
	v_add_nc_u32_e32 v9, 0x110, v48
	s_delay_alu instid0(VALU_DEP_4)
	v_or_b32_e32 v10, 8, v10
	s_mov_b32 s3, 0
.LBB16_61:                              ; =>This Inner Loop Header: Depth=1
	scratch_load_b128 v[50:53], v10, off offset:-8
	ds_load_b128 v[54:57], v9
	s_wait_xcnt 0x0
	v_dual_add_nc_u32 v9, 16, v9 :: v_dual_add_nc_u32 v10, 16, v10
	v_add_nc_u32_e32 v8, 1, v8
	s_delay_alu instid0(VALU_DEP_1) | instskip(SKIP_4) | instid1(VALU_DEP_2)
	v_cmp_lt_u32_e32 vcc_lo, 10, v8
	s_or_b32 s3, vcc_lo, s3
	s_wait_loadcnt_dscnt 0x0
	v_mul_f64_e32 v[12:13], v[56:57], v[52:53]
	v_mul_f64_e32 v[52:53], v[54:55], v[52:53]
	v_fma_f64 v[12:13], v[54:55], v[50:51], -v[12:13]
	s_delay_alu instid0(VALU_DEP_2) | instskip(NEXT) | instid1(VALU_DEP_2)
	v_fmac_f64_e32 v[52:53], v[56:57], v[50:51]
	v_add_f64_e32 v[4:5], v[4:5], v[12:13]
	s_delay_alu instid0(VALU_DEP_2)
	v_add_f64_e32 v[2:3], v[2:3], v[52:53]
	s_and_not1_b32 exec_lo, exec_lo, s3
	s_cbranch_execnz .LBB16_61
; %bb.62:
	s_or_b32 exec_lo, exec_lo, s3
	v_mov_b32_e32 v8, 0
	ds_load_b128 v[8:11], v8 offset:192
	s_wait_dscnt 0x0
	v_mul_f64_e32 v[50:51], v[2:3], v[10:11]
	v_mul_f64_e32 v[12:13], v[4:5], v[10:11]
	s_delay_alu instid0(VALU_DEP_2) | instskip(NEXT) | instid1(VALU_DEP_2)
	v_fma_f64 v[10:11], v[4:5], v[8:9], -v[50:51]
	v_fmac_f64_e32 v[12:13], v[2:3], v[8:9]
	scratch_store_b128 off, v[10:13], off offset:192
.LBB16_63:
	s_wait_xcnt 0x0
	s_or_b32 exec_lo, exec_lo, s2
	s_wait_storecnt 0x0
	s_barrier_signal -1
	s_barrier_wait -1
	scratch_load_b128 v[2:5], off, s26
	s_mov_b32 s2, exec_lo
	s_wait_loadcnt 0x0
	ds_store_b128 v6, v[2:5]
	s_wait_dscnt 0x0
	s_barrier_signal -1
	s_barrier_wait -1
	v_cmpx_gt_u32_e32 13, v1
	s_cbranch_execz .LBB16_67
; %bb.64:
	v_dual_mov_b32 v10, v48 :: v_dual_add_nc_u32 v8, -1, v1
	v_mov_b64_e32 v[2:3], 0
	v_mov_b64_e32 v[4:5], 0
	v_add_nc_u32_e32 v9, 0x110, v48
	s_delay_alu instid0(VALU_DEP_4)
	v_or_b32_e32 v10, 8, v10
	s_mov_b32 s3, 0
.LBB16_65:                              ; =>This Inner Loop Header: Depth=1
	scratch_load_b128 v[50:53], v10, off offset:-8
	ds_load_b128 v[54:57], v9
	s_wait_xcnt 0x0
	v_dual_add_nc_u32 v9, 16, v9 :: v_dual_add_nc_u32 v10, 16, v10
	v_add_nc_u32_e32 v8, 1, v8
	s_delay_alu instid0(VALU_DEP_1) | instskip(SKIP_4) | instid1(VALU_DEP_2)
	v_cmp_lt_u32_e32 vcc_lo, 11, v8
	s_or_b32 s3, vcc_lo, s3
	s_wait_loadcnt_dscnt 0x0
	v_mul_f64_e32 v[12:13], v[56:57], v[52:53]
	v_mul_f64_e32 v[52:53], v[54:55], v[52:53]
	v_fma_f64 v[12:13], v[54:55], v[50:51], -v[12:13]
	s_delay_alu instid0(VALU_DEP_2) | instskip(NEXT) | instid1(VALU_DEP_2)
	v_fmac_f64_e32 v[52:53], v[56:57], v[50:51]
	v_add_f64_e32 v[4:5], v[4:5], v[12:13]
	s_delay_alu instid0(VALU_DEP_2)
	v_add_f64_e32 v[2:3], v[2:3], v[52:53]
	s_and_not1_b32 exec_lo, exec_lo, s3
	s_cbranch_execnz .LBB16_65
; %bb.66:
	s_or_b32 exec_lo, exec_lo, s3
	v_mov_b32_e32 v8, 0
	ds_load_b128 v[8:11], v8 offset:208
	s_wait_dscnt 0x0
	v_mul_f64_e32 v[50:51], v[2:3], v[10:11]
	v_mul_f64_e32 v[12:13], v[4:5], v[10:11]
	s_delay_alu instid0(VALU_DEP_2) | instskip(NEXT) | instid1(VALU_DEP_2)
	v_fma_f64 v[10:11], v[4:5], v[8:9], -v[50:51]
	v_fmac_f64_e32 v[12:13], v[2:3], v[8:9]
	scratch_store_b128 off, v[10:13], off offset:208
.LBB16_67:
	s_wait_xcnt 0x0
	s_or_b32 exec_lo, exec_lo, s2
	s_wait_storecnt 0x0
	s_barrier_signal -1
	s_barrier_wait -1
	scratch_load_b128 v[2:5], off, s27
	s_mov_b32 s2, exec_lo
	s_wait_loadcnt 0x0
	ds_store_b128 v6, v[2:5]
	s_wait_dscnt 0x0
	s_barrier_signal -1
	s_barrier_wait -1
	v_cmpx_gt_u32_e32 14, v1
	s_cbranch_execz .LBB16_71
; %bb.68:
	v_dual_mov_b32 v10, v48 :: v_dual_add_nc_u32 v8, -1, v1
	v_mov_b64_e32 v[2:3], 0
	v_mov_b64_e32 v[4:5], 0
	v_add_nc_u32_e32 v9, 0x110, v48
	s_delay_alu instid0(VALU_DEP_4)
	v_or_b32_e32 v10, 8, v10
	s_mov_b32 s3, 0
.LBB16_69:                              ; =>This Inner Loop Header: Depth=1
	scratch_load_b128 v[50:53], v10, off offset:-8
	ds_load_b128 v[54:57], v9
	s_wait_xcnt 0x0
	v_dual_add_nc_u32 v9, 16, v9 :: v_dual_add_nc_u32 v10, 16, v10
	v_add_nc_u32_e32 v8, 1, v8
	s_delay_alu instid0(VALU_DEP_1) | instskip(SKIP_4) | instid1(VALU_DEP_2)
	v_cmp_lt_u32_e32 vcc_lo, 12, v8
	s_or_b32 s3, vcc_lo, s3
	s_wait_loadcnt_dscnt 0x0
	v_mul_f64_e32 v[12:13], v[56:57], v[52:53]
	v_mul_f64_e32 v[52:53], v[54:55], v[52:53]
	v_fma_f64 v[12:13], v[54:55], v[50:51], -v[12:13]
	s_delay_alu instid0(VALU_DEP_2) | instskip(NEXT) | instid1(VALU_DEP_2)
	v_fmac_f64_e32 v[52:53], v[56:57], v[50:51]
	v_add_f64_e32 v[4:5], v[4:5], v[12:13]
	s_delay_alu instid0(VALU_DEP_2)
	v_add_f64_e32 v[2:3], v[2:3], v[52:53]
	s_and_not1_b32 exec_lo, exec_lo, s3
	s_cbranch_execnz .LBB16_69
; %bb.70:
	s_or_b32 exec_lo, exec_lo, s3
	v_mov_b32_e32 v8, 0
	ds_load_b128 v[8:11], v8 offset:224
	s_wait_dscnt 0x0
	v_mul_f64_e32 v[50:51], v[2:3], v[10:11]
	v_mul_f64_e32 v[12:13], v[4:5], v[10:11]
	s_delay_alu instid0(VALU_DEP_2) | instskip(NEXT) | instid1(VALU_DEP_2)
	v_fma_f64 v[10:11], v[4:5], v[8:9], -v[50:51]
	v_fmac_f64_e32 v[12:13], v[2:3], v[8:9]
	scratch_store_b128 off, v[10:13], off offset:224
.LBB16_71:
	s_wait_xcnt 0x0
	s_or_b32 exec_lo, exec_lo, s2
	s_wait_storecnt 0x0
	s_barrier_signal -1
	s_barrier_wait -1
	scratch_load_b128 v[2:5], off, s24
	s_mov_b32 s2, exec_lo
	s_wait_loadcnt 0x0
	ds_store_b128 v6, v[2:5]
	s_wait_dscnt 0x0
	s_barrier_signal -1
	s_barrier_wait -1
	v_cmpx_gt_u32_e32 15, v1
	s_cbranch_execz .LBB16_75
; %bb.72:
	v_dual_mov_b32 v10, v48 :: v_dual_add_nc_u32 v8, -1, v1
	v_mov_b64_e32 v[2:3], 0
	v_mov_b64_e32 v[4:5], 0
	v_add_nc_u32_e32 v9, 0x110, v48
	s_delay_alu instid0(VALU_DEP_4)
	v_or_b32_e32 v10, 8, v10
	s_mov_b32 s3, 0
.LBB16_73:                              ; =>This Inner Loop Header: Depth=1
	scratch_load_b128 v[50:53], v10, off offset:-8
	ds_load_b128 v[54:57], v9
	s_wait_xcnt 0x0
	v_dual_add_nc_u32 v9, 16, v9 :: v_dual_add_nc_u32 v10, 16, v10
	v_add_nc_u32_e32 v8, 1, v8
	s_delay_alu instid0(VALU_DEP_1) | instskip(SKIP_4) | instid1(VALU_DEP_2)
	v_cmp_lt_u32_e32 vcc_lo, 13, v8
	s_or_b32 s3, vcc_lo, s3
	s_wait_loadcnt_dscnt 0x0
	v_mul_f64_e32 v[12:13], v[56:57], v[52:53]
	v_mul_f64_e32 v[52:53], v[54:55], v[52:53]
	v_fma_f64 v[12:13], v[54:55], v[50:51], -v[12:13]
	s_delay_alu instid0(VALU_DEP_2) | instskip(NEXT) | instid1(VALU_DEP_2)
	v_fmac_f64_e32 v[52:53], v[56:57], v[50:51]
	v_add_f64_e32 v[4:5], v[4:5], v[12:13]
	s_delay_alu instid0(VALU_DEP_2)
	v_add_f64_e32 v[2:3], v[2:3], v[52:53]
	s_and_not1_b32 exec_lo, exec_lo, s3
	s_cbranch_execnz .LBB16_73
; %bb.74:
	s_or_b32 exec_lo, exec_lo, s3
	v_mov_b32_e32 v8, 0
	ds_load_b128 v[8:11], v8 offset:240
	s_wait_dscnt 0x0
	v_mul_f64_e32 v[50:51], v[2:3], v[10:11]
	v_mul_f64_e32 v[12:13], v[4:5], v[10:11]
	s_delay_alu instid0(VALU_DEP_2) | instskip(NEXT) | instid1(VALU_DEP_2)
	v_fma_f64 v[10:11], v[4:5], v[8:9], -v[50:51]
	v_fmac_f64_e32 v[12:13], v[2:3], v[8:9]
	scratch_store_b128 off, v[10:13], off offset:240
.LBB16_75:
	s_wait_xcnt 0x0
	s_or_b32 exec_lo, exec_lo, s2
	s_wait_storecnt 0x0
	s_barrier_signal -1
	s_barrier_wait -1
	scratch_load_b128 v[2:5], off, s25
	s_mov_b32 s2, exec_lo
	s_wait_loadcnt 0x0
	ds_store_b128 v6, v[2:5]
	s_wait_dscnt 0x0
	s_barrier_signal -1
	s_barrier_wait -1
	v_cmpx_ne_u32_e32 16, v1
	s_cbranch_execz .LBB16_79
; %bb.76:
	v_mov_b32_e32 v8, v48
	v_mov_b64_e32 v[2:3], 0
	v_mov_b64_e32 v[4:5], 0
	s_mov_b32 s3, 0
	s_delay_alu instid0(VALU_DEP_3)
	v_or_b32_e32 v8, 8, v8
.LBB16_77:                              ; =>This Inner Loop Header: Depth=1
	scratch_load_b128 v[10:13], v8, off offset:-8
	ds_load_b128 v[48:51], v6
	v_dual_add_nc_u32 v7, 1, v7 :: v_dual_add_nc_u32 v6, 16, v6
	s_wait_xcnt 0x0
	v_add_nc_u32_e32 v8, 16, v8
	s_delay_alu instid0(VALU_DEP_2) | instskip(SKIP_4) | instid1(VALU_DEP_2)
	v_cmp_lt_u32_e32 vcc_lo, 14, v7
	s_or_b32 s3, vcc_lo, s3
	s_wait_loadcnt_dscnt 0x0
	v_mul_f64_e32 v[52:53], v[50:51], v[12:13]
	v_mul_f64_e32 v[12:13], v[48:49], v[12:13]
	v_fma_f64 v[48:49], v[48:49], v[10:11], -v[52:53]
	s_delay_alu instid0(VALU_DEP_2) | instskip(NEXT) | instid1(VALU_DEP_2)
	v_fmac_f64_e32 v[12:13], v[50:51], v[10:11]
	v_add_f64_e32 v[4:5], v[4:5], v[48:49]
	s_delay_alu instid0(VALU_DEP_2)
	v_add_f64_e32 v[2:3], v[2:3], v[12:13]
	s_and_not1_b32 exec_lo, exec_lo, s3
	s_cbranch_execnz .LBB16_77
; %bb.78:
	s_or_b32 exec_lo, exec_lo, s3
	v_mov_b32_e32 v6, 0
	ds_load_b128 v[6:9], v6 offset:256
	s_wait_dscnt 0x0
	v_mul_f64_e32 v[12:13], v[2:3], v[8:9]
	v_mul_f64_e32 v[10:11], v[4:5], v[8:9]
	s_delay_alu instid0(VALU_DEP_2) | instskip(NEXT) | instid1(VALU_DEP_2)
	v_fma_f64 v[8:9], v[4:5], v[6:7], -v[12:13]
	v_fmac_f64_e32 v[10:11], v[2:3], v[6:7]
	scratch_store_b128 off, v[8:11], off offset:256
.LBB16_79:
	s_wait_xcnt 0x0
	s_or_b32 exec_lo, exec_lo, s2
	s_mov_b32 s3, -1
	s_wait_storecnt 0x0
	s_barrier_signal -1
	s_barrier_wait -1
.LBB16_80:
	s_and_b32 vcc_lo, exec_lo, s3
	s_cbranch_vccz .LBB16_82
; %bb.81:
	s_wait_xcnt 0x10
	v_mov_b32_e32 v2, 0
	s_lshl_b64 s[2:3], s[18:19], 2
	s_delay_alu instid0(SALU_CYCLE_1)
	s_add_nc_u64 s[2:3], s[6:7], s[2:3]
	global_load_b32 v2, v2, s[2:3]
	s_wait_loadcnt 0x0
	v_cmp_ne_u32_e32 vcc_lo, 0, v2
	s_cbranch_vccz .LBB16_83
.LBB16_82:
	s_sendmsg sendmsg(MSG_DEALLOC_VGPRS)
	s_endpgm
.LBB16_83:
	s_wait_xcnt 0x10
	v_lshl_add_u32 v6, v1, 4, 0x110
	s_wait_xcnt 0x0
	s_mov_b32 s2, exec_lo
	v_cmpx_eq_u32_e32 16, v1
	s_cbranch_execz .LBB16_85
; %bb.84:
	scratch_load_b128 v[2:5], off, s24
	v_mov_b32_e32 v8, 0
	s_delay_alu instid0(VALU_DEP_1)
	v_dual_mov_b32 v9, v8 :: v_dual_mov_b32 v10, v8
	v_mov_b32_e32 v11, v8
	scratch_store_b128 off, v[8:11], off offset:240
	s_wait_loadcnt 0x0
	ds_store_b128 v6, v[2:5]
.LBB16_85:
	s_wait_xcnt 0x0
	s_or_b32 exec_lo, exec_lo, s2
	s_wait_storecnt_dscnt 0x0
	s_barrier_signal -1
	s_barrier_wait -1
	s_clause 0x1
	scratch_load_b128 v[8:11], off, off offset:256
	scratch_load_b128 v[48:51], off, off offset:240
	v_mov_b32_e32 v2, 0
	s_mov_b32 s2, exec_lo
	ds_load_b128 v[52:55], v2 offset:528
	s_wait_loadcnt_dscnt 0x100
	v_mul_f64_e32 v[4:5], v[54:55], v[10:11]
	v_mul_f64_e32 v[10:11], v[52:53], v[10:11]
	s_delay_alu instid0(VALU_DEP_2) | instskip(NEXT) | instid1(VALU_DEP_2)
	v_fma_f64 v[4:5], v[52:53], v[8:9], -v[4:5]
	v_fmac_f64_e32 v[10:11], v[54:55], v[8:9]
	s_delay_alu instid0(VALU_DEP_2) | instskip(NEXT) | instid1(VALU_DEP_2)
	v_add_f64_e32 v[4:5], 0, v[4:5]
	v_add_f64_e32 v[10:11], 0, v[10:11]
	s_wait_loadcnt 0x0
	s_delay_alu instid0(VALU_DEP_2) | instskip(NEXT) | instid1(VALU_DEP_2)
	v_add_f64_e64 v[8:9], v[48:49], -v[4:5]
	v_add_f64_e64 v[10:11], v[50:51], -v[10:11]
	scratch_store_b128 off, v[8:11], off offset:240
	s_wait_xcnt 0x0
	v_cmpx_lt_u32_e32 14, v1
	s_cbranch_execz .LBB16_87
; %bb.86:
	scratch_load_b128 v[8:11], off, s27
	v_dual_mov_b32 v3, v2 :: v_dual_mov_b32 v4, v2
	v_mov_b32_e32 v5, v2
	scratch_store_b128 off, v[2:5], off offset:224
	s_wait_loadcnt 0x0
	ds_store_b128 v6, v[8:11]
.LBB16_87:
	s_wait_xcnt 0x0
	s_or_b32 exec_lo, exec_lo, s2
	s_wait_storecnt_dscnt 0x0
	s_barrier_signal -1
	s_barrier_wait -1
	s_clause 0x2
	scratch_load_b128 v[8:11], off, off offset:240
	scratch_load_b128 v[48:51], off, off offset:256
	;; [unrolled: 1-line block ×3, first 2 shown]
	ds_load_b128 v[56:59], v2 offset:512
	ds_load_b128 v[2:5], v2 offset:528
	s_mov_b32 s2, exec_lo
	s_wait_loadcnt_dscnt 0x201
	v_mul_f64_e32 v[12:13], v[58:59], v[10:11]
	v_mul_f64_e32 v[10:11], v[56:57], v[10:11]
	s_wait_loadcnt_dscnt 0x100
	v_mul_f64_e32 v[60:61], v[2:3], v[50:51]
	v_mul_f64_e32 v[50:51], v[4:5], v[50:51]
	s_delay_alu instid0(VALU_DEP_4) | instskip(NEXT) | instid1(VALU_DEP_4)
	v_fma_f64 v[12:13], v[56:57], v[8:9], -v[12:13]
	v_fmac_f64_e32 v[10:11], v[58:59], v[8:9]
	s_delay_alu instid0(VALU_DEP_4) | instskip(NEXT) | instid1(VALU_DEP_4)
	v_fmac_f64_e32 v[60:61], v[4:5], v[48:49]
	v_fma_f64 v[2:3], v[2:3], v[48:49], -v[50:51]
	s_delay_alu instid0(VALU_DEP_4) | instskip(NEXT) | instid1(VALU_DEP_4)
	v_add_f64_e32 v[4:5], 0, v[12:13]
	v_add_f64_e32 v[8:9], 0, v[10:11]
	s_delay_alu instid0(VALU_DEP_2) | instskip(NEXT) | instid1(VALU_DEP_2)
	v_add_f64_e32 v[2:3], v[4:5], v[2:3]
	v_add_f64_e32 v[4:5], v[8:9], v[60:61]
	s_wait_loadcnt 0x0
	s_delay_alu instid0(VALU_DEP_2) | instskip(NEXT) | instid1(VALU_DEP_2)
	v_add_f64_e64 v[2:3], v[52:53], -v[2:3]
	v_add_f64_e64 v[4:5], v[54:55], -v[4:5]
	scratch_store_b128 off, v[2:5], off offset:224
	s_wait_xcnt 0x0
	v_cmpx_lt_u32_e32 13, v1
	s_cbranch_execz .LBB16_89
; %bb.88:
	scratch_load_b128 v[2:5], off, s26
	v_mov_b32_e32 v8, 0
	s_delay_alu instid0(VALU_DEP_1)
	v_dual_mov_b32 v9, v8 :: v_dual_mov_b32 v10, v8
	v_mov_b32_e32 v11, v8
	scratch_store_b128 off, v[8:11], off offset:208
	s_wait_loadcnt 0x0
	ds_store_b128 v6, v[2:5]
.LBB16_89:
	s_wait_xcnt 0x0
	s_or_b32 exec_lo, exec_lo, s2
	s_wait_storecnt_dscnt 0x0
	s_barrier_signal -1
	s_barrier_wait -1
	s_clause 0x3
	scratch_load_b128 v[8:11], off, off offset:224
	scratch_load_b128 v[48:51], off, off offset:240
	;; [unrolled: 1-line block ×4, first 2 shown]
	v_mov_b32_e32 v2, 0
	ds_load_b128 v[60:63], v2 offset:496
	ds_load_b128 v[64:67], v2 offset:512
	s_mov_b32 s2, exec_lo
	s_wait_loadcnt_dscnt 0x301
	v_mul_f64_e32 v[4:5], v[62:63], v[10:11]
	v_mul_f64_e32 v[12:13], v[60:61], v[10:11]
	s_wait_loadcnt_dscnt 0x200
	v_mul_f64_e32 v[68:69], v[64:65], v[50:51]
	v_mul_f64_e32 v[50:51], v[66:67], v[50:51]
	s_delay_alu instid0(VALU_DEP_4) | instskip(NEXT) | instid1(VALU_DEP_4)
	v_fma_f64 v[4:5], v[60:61], v[8:9], -v[4:5]
	v_fmac_f64_e32 v[12:13], v[62:63], v[8:9]
	ds_load_b128 v[8:11], v2 offset:528
	v_fmac_f64_e32 v[68:69], v[66:67], v[48:49]
	v_fma_f64 v[48:49], v[64:65], v[48:49], -v[50:51]
	s_wait_loadcnt_dscnt 0x100
	v_mul_f64_e32 v[60:61], v[8:9], v[54:55]
	v_mul_f64_e32 v[54:55], v[10:11], v[54:55]
	v_add_f64_e32 v[4:5], 0, v[4:5]
	v_add_f64_e32 v[12:13], 0, v[12:13]
	s_delay_alu instid0(VALU_DEP_4) | instskip(NEXT) | instid1(VALU_DEP_4)
	v_fmac_f64_e32 v[60:61], v[10:11], v[52:53]
	v_fma_f64 v[8:9], v[8:9], v[52:53], -v[54:55]
	s_delay_alu instid0(VALU_DEP_4) | instskip(NEXT) | instid1(VALU_DEP_4)
	v_add_f64_e32 v[4:5], v[4:5], v[48:49]
	v_add_f64_e32 v[10:11], v[12:13], v[68:69]
	s_delay_alu instid0(VALU_DEP_2) | instskip(NEXT) | instid1(VALU_DEP_2)
	v_add_f64_e32 v[4:5], v[4:5], v[8:9]
	v_add_f64_e32 v[10:11], v[10:11], v[60:61]
	s_wait_loadcnt 0x0
	s_delay_alu instid0(VALU_DEP_2) | instskip(NEXT) | instid1(VALU_DEP_2)
	v_add_f64_e64 v[8:9], v[56:57], -v[4:5]
	v_add_f64_e64 v[10:11], v[58:59], -v[10:11]
	scratch_store_b128 off, v[8:11], off offset:208
	s_wait_xcnt 0x0
	v_cmpx_lt_u32_e32 12, v1
	s_cbranch_execz .LBB16_91
; %bb.90:
	scratch_load_b128 v[8:11], off, s23
	v_dual_mov_b32 v3, v2 :: v_dual_mov_b32 v4, v2
	v_mov_b32_e32 v5, v2
	scratch_store_b128 off, v[2:5], off offset:192
	s_wait_loadcnt 0x0
	ds_store_b128 v6, v[8:11]
.LBB16_91:
	s_wait_xcnt 0x0
	s_or_b32 exec_lo, exec_lo, s2
	s_wait_storecnt_dscnt 0x0
	s_barrier_signal -1
	s_barrier_wait -1
	s_clause 0x4
	scratch_load_b128 v[8:11], off, off offset:208
	scratch_load_b128 v[48:51], off, off offset:224
	;; [unrolled: 1-line block ×5, first 2 shown]
	ds_load_b128 v[64:67], v2 offset:480
	ds_load_b128 v[68:71], v2 offset:496
	s_mov_b32 s2, exec_lo
	s_wait_loadcnt_dscnt 0x401
	v_mul_f64_e32 v[4:5], v[66:67], v[10:11]
	v_mul_f64_e32 v[12:13], v[64:65], v[10:11]
	s_wait_loadcnt_dscnt 0x300
	v_mul_f64_e32 v[72:73], v[68:69], v[50:51]
	v_mul_f64_e32 v[50:51], v[70:71], v[50:51]
	s_delay_alu instid0(VALU_DEP_4) | instskip(NEXT) | instid1(VALU_DEP_4)
	v_fma_f64 v[64:65], v[64:65], v[8:9], -v[4:5]
	v_fmac_f64_e32 v[12:13], v[66:67], v[8:9]
	ds_load_b128 v[8:11], v2 offset:512
	ds_load_b128 v[2:5], v2 offset:528
	v_fmac_f64_e32 v[72:73], v[70:71], v[48:49]
	v_fma_f64 v[48:49], v[68:69], v[48:49], -v[50:51]
	s_wait_loadcnt_dscnt 0x201
	v_mul_f64_e32 v[66:67], v[8:9], v[54:55]
	v_mul_f64_e32 v[54:55], v[10:11], v[54:55]
	v_add_f64_e32 v[50:51], 0, v[64:65]
	v_add_f64_e32 v[12:13], 0, v[12:13]
	s_wait_loadcnt_dscnt 0x100
	v_mul_f64_e32 v[64:65], v[2:3], v[58:59]
	v_mul_f64_e32 v[58:59], v[4:5], v[58:59]
	v_fmac_f64_e32 v[66:67], v[10:11], v[52:53]
	v_fma_f64 v[8:9], v[8:9], v[52:53], -v[54:55]
	v_add_f64_e32 v[10:11], v[50:51], v[48:49]
	v_add_f64_e32 v[12:13], v[12:13], v[72:73]
	v_fmac_f64_e32 v[64:65], v[4:5], v[56:57]
	v_fma_f64 v[2:3], v[2:3], v[56:57], -v[58:59]
	s_delay_alu instid0(VALU_DEP_4) | instskip(NEXT) | instid1(VALU_DEP_4)
	v_add_f64_e32 v[4:5], v[10:11], v[8:9]
	v_add_f64_e32 v[8:9], v[12:13], v[66:67]
	s_delay_alu instid0(VALU_DEP_2) | instskip(NEXT) | instid1(VALU_DEP_2)
	v_add_f64_e32 v[2:3], v[4:5], v[2:3]
	v_add_f64_e32 v[4:5], v[8:9], v[64:65]
	s_wait_loadcnt 0x0
	s_delay_alu instid0(VALU_DEP_2) | instskip(NEXT) | instid1(VALU_DEP_2)
	v_add_f64_e64 v[2:3], v[60:61], -v[2:3]
	v_add_f64_e64 v[4:5], v[62:63], -v[4:5]
	scratch_store_b128 off, v[2:5], off offset:192
	s_wait_xcnt 0x0
	v_cmpx_lt_u32_e32 11, v1
	s_cbranch_execz .LBB16_93
; %bb.92:
	scratch_load_b128 v[2:5], off, s22
	v_mov_b32_e32 v8, 0
	s_delay_alu instid0(VALU_DEP_1)
	v_dual_mov_b32 v9, v8 :: v_dual_mov_b32 v10, v8
	v_mov_b32_e32 v11, v8
	scratch_store_b128 off, v[8:11], off offset:176
	s_wait_loadcnt 0x0
	ds_store_b128 v6, v[2:5]
.LBB16_93:
	s_wait_xcnt 0x0
	s_or_b32 exec_lo, exec_lo, s2
	s_wait_storecnt_dscnt 0x0
	s_barrier_signal -1
	s_barrier_wait -1
	s_clause 0x5
	scratch_load_b128 v[8:11], off, off offset:192
	scratch_load_b128 v[48:51], off, off offset:208
	;; [unrolled: 1-line block ×6, first 2 shown]
	v_mov_b32_e32 v2, 0
	ds_load_b128 v[68:71], v2 offset:464
	ds_load_b128 v[72:75], v2 offset:480
	s_mov_b32 s2, exec_lo
	s_wait_loadcnt_dscnt 0x501
	v_mul_f64_e32 v[4:5], v[70:71], v[10:11]
	v_mul_f64_e32 v[12:13], v[68:69], v[10:11]
	s_wait_loadcnt_dscnt 0x400
	v_mul_f64_e32 v[76:77], v[72:73], v[50:51]
	v_mul_f64_e32 v[50:51], v[74:75], v[50:51]
	s_delay_alu instid0(VALU_DEP_4) | instskip(NEXT) | instid1(VALU_DEP_4)
	v_fma_f64 v[4:5], v[68:69], v[8:9], -v[4:5]
	v_fmac_f64_e32 v[12:13], v[70:71], v[8:9]
	ds_load_b128 v[8:11], v2 offset:496
	ds_load_b128 v[68:71], v2 offset:512
	v_fmac_f64_e32 v[76:77], v[74:75], v[48:49]
	v_fma_f64 v[48:49], v[72:73], v[48:49], -v[50:51]
	s_wait_loadcnt_dscnt 0x301
	v_mul_f64_e32 v[78:79], v[8:9], v[54:55]
	v_mul_f64_e32 v[54:55], v[10:11], v[54:55]
	s_wait_loadcnt_dscnt 0x200
	v_mul_f64_e32 v[50:51], v[68:69], v[58:59]
	v_mul_f64_e32 v[58:59], v[70:71], v[58:59]
	v_add_f64_e32 v[4:5], 0, v[4:5]
	v_add_f64_e32 v[12:13], 0, v[12:13]
	v_fmac_f64_e32 v[78:79], v[10:11], v[52:53]
	v_fma_f64 v[52:53], v[8:9], v[52:53], -v[54:55]
	ds_load_b128 v[8:11], v2 offset:528
	v_fmac_f64_e32 v[50:51], v[70:71], v[56:57]
	v_fma_f64 v[56:57], v[68:69], v[56:57], -v[58:59]
	v_add_f64_e32 v[4:5], v[4:5], v[48:49]
	v_add_f64_e32 v[12:13], v[12:13], v[76:77]
	s_wait_loadcnt_dscnt 0x100
	v_mul_f64_e32 v[48:49], v[8:9], v[62:63]
	v_mul_f64_e32 v[54:55], v[10:11], v[62:63]
	s_delay_alu instid0(VALU_DEP_4) | instskip(NEXT) | instid1(VALU_DEP_4)
	v_add_f64_e32 v[4:5], v[4:5], v[52:53]
	v_add_f64_e32 v[12:13], v[12:13], v[78:79]
	s_delay_alu instid0(VALU_DEP_4) | instskip(NEXT) | instid1(VALU_DEP_4)
	v_fmac_f64_e32 v[48:49], v[10:11], v[60:61]
	v_fma_f64 v[8:9], v[8:9], v[60:61], -v[54:55]
	s_delay_alu instid0(VALU_DEP_4) | instskip(NEXT) | instid1(VALU_DEP_4)
	v_add_f64_e32 v[4:5], v[4:5], v[56:57]
	v_add_f64_e32 v[10:11], v[12:13], v[50:51]
	s_delay_alu instid0(VALU_DEP_2) | instskip(NEXT) | instid1(VALU_DEP_2)
	v_add_f64_e32 v[4:5], v[4:5], v[8:9]
	v_add_f64_e32 v[10:11], v[10:11], v[48:49]
	s_wait_loadcnt 0x0
	s_delay_alu instid0(VALU_DEP_2) | instskip(NEXT) | instid1(VALU_DEP_2)
	v_add_f64_e64 v[8:9], v[64:65], -v[4:5]
	v_add_f64_e64 v[10:11], v[66:67], -v[10:11]
	scratch_store_b128 off, v[8:11], off offset:176
	s_wait_xcnt 0x0
	v_cmpx_lt_u32_e32 10, v1
	s_cbranch_execz .LBB16_95
; %bb.94:
	scratch_load_b128 v[8:11], off, s21
	v_dual_mov_b32 v3, v2 :: v_dual_mov_b32 v4, v2
	v_mov_b32_e32 v5, v2
	scratch_store_b128 off, v[2:5], off offset:160
	s_wait_loadcnt 0x0
	ds_store_b128 v6, v[8:11]
.LBB16_95:
	s_wait_xcnt 0x0
	s_or_b32 exec_lo, exec_lo, s2
	s_wait_storecnt_dscnt 0x0
	s_barrier_signal -1
	s_barrier_wait -1
	s_clause 0x6
	scratch_load_b128 v[8:11], off, off offset:176
	scratch_load_b128 v[48:51], off, off offset:192
	;; [unrolled: 1-line block ×7, first 2 shown]
	ds_load_b128 v[72:75], v2 offset:448
	ds_load_b128 v[76:79], v2 offset:464
	s_mov_b32 s2, exec_lo
	s_wait_loadcnt_dscnt 0x601
	v_mul_f64_e32 v[4:5], v[74:75], v[10:11]
	v_mul_f64_e32 v[12:13], v[72:73], v[10:11]
	s_wait_loadcnt_dscnt 0x500
	v_mul_f64_e32 v[80:81], v[76:77], v[50:51]
	v_mul_f64_e32 v[50:51], v[78:79], v[50:51]
	s_delay_alu instid0(VALU_DEP_4) | instskip(NEXT) | instid1(VALU_DEP_4)
	v_fma_f64 v[4:5], v[72:73], v[8:9], -v[4:5]
	v_fmac_f64_e32 v[12:13], v[74:75], v[8:9]
	ds_load_b128 v[8:11], v2 offset:480
	ds_load_b128 v[72:75], v2 offset:496
	v_fmac_f64_e32 v[80:81], v[78:79], v[48:49]
	v_fma_f64 v[48:49], v[76:77], v[48:49], -v[50:51]
	s_wait_loadcnt_dscnt 0x401
	v_mul_f64_e32 v[82:83], v[8:9], v[54:55]
	v_mul_f64_e32 v[54:55], v[10:11], v[54:55]
	s_wait_loadcnt_dscnt 0x300
	v_mul_f64_e32 v[50:51], v[72:73], v[58:59]
	v_mul_f64_e32 v[58:59], v[74:75], v[58:59]
	v_add_f64_e32 v[4:5], 0, v[4:5]
	v_add_f64_e32 v[12:13], 0, v[12:13]
	v_fmac_f64_e32 v[82:83], v[10:11], v[52:53]
	v_fma_f64 v[52:53], v[8:9], v[52:53], -v[54:55]
	v_fmac_f64_e32 v[50:51], v[74:75], v[56:57]
	v_fma_f64 v[56:57], v[72:73], v[56:57], -v[58:59]
	v_add_f64_e32 v[48:49], v[4:5], v[48:49]
	v_add_f64_e32 v[12:13], v[12:13], v[80:81]
	ds_load_b128 v[8:11], v2 offset:512
	ds_load_b128 v[2:5], v2 offset:528
	s_wait_loadcnt_dscnt 0x201
	v_mul_f64_e32 v[54:55], v[8:9], v[62:63]
	v_mul_f64_e32 v[62:63], v[10:11], v[62:63]
	s_wait_loadcnt_dscnt 0x100
	v_mul_f64_e32 v[58:59], v[4:5], v[66:67]
	v_add_f64_e32 v[48:49], v[48:49], v[52:53]
	v_add_f64_e32 v[12:13], v[12:13], v[82:83]
	v_mul_f64_e32 v[52:53], v[2:3], v[66:67]
	v_fmac_f64_e32 v[54:55], v[10:11], v[60:61]
	v_fma_f64 v[8:9], v[8:9], v[60:61], -v[62:63]
	v_fma_f64 v[2:3], v[2:3], v[64:65], -v[58:59]
	v_add_f64_e32 v[10:11], v[48:49], v[56:57]
	v_add_f64_e32 v[12:13], v[12:13], v[50:51]
	v_fmac_f64_e32 v[52:53], v[4:5], v[64:65]
	s_delay_alu instid0(VALU_DEP_3) | instskip(NEXT) | instid1(VALU_DEP_3)
	v_add_f64_e32 v[4:5], v[10:11], v[8:9]
	v_add_f64_e32 v[8:9], v[12:13], v[54:55]
	s_delay_alu instid0(VALU_DEP_2) | instskip(NEXT) | instid1(VALU_DEP_2)
	v_add_f64_e32 v[2:3], v[4:5], v[2:3]
	v_add_f64_e32 v[4:5], v[8:9], v[52:53]
	s_wait_loadcnt 0x0
	s_delay_alu instid0(VALU_DEP_2) | instskip(NEXT) | instid1(VALU_DEP_2)
	v_add_f64_e64 v[2:3], v[68:69], -v[2:3]
	v_add_f64_e64 v[4:5], v[70:71], -v[4:5]
	scratch_store_b128 off, v[2:5], off offset:160
	s_wait_xcnt 0x0
	v_cmpx_lt_u32_e32 9, v1
	s_cbranch_execz .LBB16_97
; %bb.96:
	scratch_load_b128 v[2:5], off, s15
	v_mov_b32_e32 v8, 0
	s_delay_alu instid0(VALU_DEP_1)
	v_dual_mov_b32 v9, v8 :: v_dual_mov_b32 v10, v8
	v_mov_b32_e32 v11, v8
	scratch_store_b128 off, v[8:11], off offset:144
	s_wait_loadcnt 0x0
	ds_store_b128 v6, v[2:5]
.LBB16_97:
	s_wait_xcnt 0x0
	s_or_b32 exec_lo, exec_lo, s2
	s_wait_storecnt_dscnt 0x0
	s_barrier_signal -1
	s_barrier_wait -1
	s_clause 0x7
	scratch_load_b128 v[8:11], off, off offset:160
	scratch_load_b128 v[48:51], off, off offset:176
	scratch_load_b128 v[52:55], off, off offset:192
	scratch_load_b128 v[56:59], off, off offset:208
	scratch_load_b128 v[60:63], off, off offset:224
	scratch_load_b128 v[64:67], off, off offset:240
	scratch_load_b128 v[68:71], off, off offset:256
	scratch_load_b128 v[72:75], off, off offset:144
	v_mov_b32_e32 v2, 0
	ds_load_b128 v[76:79], v2 offset:432
	ds_load_b128 v[80:83], v2 offset:448
	s_mov_b32 s2, exec_lo
	s_wait_loadcnt_dscnt 0x701
	v_mul_f64_e32 v[4:5], v[78:79], v[10:11]
	v_mul_f64_e32 v[12:13], v[76:77], v[10:11]
	s_wait_loadcnt_dscnt 0x600
	v_mul_f64_e32 v[84:85], v[80:81], v[50:51]
	v_mul_f64_e32 v[50:51], v[82:83], v[50:51]
	s_delay_alu instid0(VALU_DEP_4) | instskip(NEXT) | instid1(VALU_DEP_4)
	v_fma_f64 v[4:5], v[76:77], v[8:9], -v[4:5]
	v_fmac_f64_e32 v[12:13], v[78:79], v[8:9]
	ds_load_b128 v[8:11], v2 offset:464
	ds_load_b128 v[76:79], v2 offset:480
	v_fmac_f64_e32 v[84:85], v[82:83], v[48:49]
	v_fma_f64 v[48:49], v[80:81], v[48:49], -v[50:51]
	s_wait_loadcnt_dscnt 0x501
	v_mul_f64_e32 v[86:87], v[8:9], v[54:55]
	v_mul_f64_e32 v[54:55], v[10:11], v[54:55]
	s_wait_loadcnt_dscnt 0x400
	v_mul_f64_e32 v[80:81], v[76:77], v[58:59]
	v_mul_f64_e32 v[58:59], v[78:79], v[58:59]
	v_add_f64_e32 v[4:5], 0, v[4:5]
	v_add_f64_e32 v[12:13], 0, v[12:13]
	v_fmac_f64_e32 v[86:87], v[10:11], v[52:53]
	v_fma_f64 v[52:53], v[8:9], v[52:53], -v[54:55]
	v_fmac_f64_e32 v[80:81], v[78:79], v[56:57]
	v_fma_f64 v[56:57], v[76:77], v[56:57], -v[58:59]
	v_add_f64_e32 v[4:5], v[4:5], v[48:49]
	v_add_f64_e32 v[12:13], v[12:13], v[84:85]
	ds_load_b128 v[8:11], v2 offset:496
	ds_load_b128 v[48:51], v2 offset:512
	s_wait_loadcnt_dscnt 0x301
	v_mul_f64_e32 v[54:55], v[8:9], v[62:63]
	v_mul_f64_e32 v[62:63], v[10:11], v[62:63]
	s_wait_loadcnt_dscnt 0x200
	v_mul_f64_e32 v[58:59], v[50:51], v[66:67]
	v_add_f64_e32 v[4:5], v[4:5], v[52:53]
	v_add_f64_e32 v[12:13], v[12:13], v[86:87]
	v_mul_f64_e32 v[52:53], v[48:49], v[66:67]
	v_fmac_f64_e32 v[54:55], v[10:11], v[60:61]
	v_fma_f64 v[60:61], v[8:9], v[60:61], -v[62:63]
	ds_load_b128 v[8:11], v2 offset:528
	v_fma_f64 v[48:49], v[48:49], v[64:65], -v[58:59]
	v_add_f64_e32 v[4:5], v[4:5], v[56:57]
	v_add_f64_e32 v[12:13], v[12:13], v[80:81]
	v_fmac_f64_e32 v[52:53], v[50:51], v[64:65]
	s_wait_loadcnt_dscnt 0x100
	v_mul_f64_e32 v[56:57], v[8:9], v[70:71]
	v_mul_f64_e32 v[62:63], v[10:11], v[70:71]
	v_add_f64_e32 v[4:5], v[4:5], v[60:61]
	v_add_f64_e32 v[12:13], v[12:13], v[54:55]
	s_delay_alu instid0(VALU_DEP_4) | instskip(NEXT) | instid1(VALU_DEP_4)
	v_fmac_f64_e32 v[56:57], v[10:11], v[68:69]
	v_fma_f64 v[8:9], v[8:9], v[68:69], -v[62:63]
	s_delay_alu instid0(VALU_DEP_4) | instskip(NEXT) | instid1(VALU_DEP_4)
	v_add_f64_e32 v[4:5], v[4:5], v[48:49]
	v_add_f64_e32 v[10:11], v[12:13], v[52:53]
	s_delay_alu instid0(VALU_DEP_2) | instskip(NEXT) | instid1(VALU_DEP_2)
	v_add_f64_e32 v[4:5], v[4:5], v[8:9]
	v_add_f64_e32 v[10:11], v[10:11], v[56:57]
	s_wait_loadcnt 0x0
	s_delay_alu instid0(VALU_DEP_2) | instskip(NEXT) | instid1(VALU_DEP_2)
	v_add_f64_e64 v[8:9], v[72:73], -v[4:5]
	v_add_f64_e64 v[10:11], v[74:75], -v[10:11]
	scratch_store_b128 off, v[8:11], off offset:144
	s_wait_xcnt 0x0
	v_cmpx_lt_u32_e32 8, v1
	s_cbranch_execz .LBB16_99
; %bb.98:
	scratch_load_b128 v[8:11], off, s14
	v_dual_mov_b32 v3, v2 :: v_dual_mov_b32 v4, v2
	v_mov_b32_e32 v5, v2
	scratch_store_b128 off, v[2:5], off offset:128
	s_wait_loadcnt 0x0
	ds_store_b128 v6, v[8:11]
.LBB16_99:
	s_wait_xcnt 0x0
	s_or_b32 exec_lo, exec_lo, s2
	s_wait_storecnt_dscnt 0x0
	s_barrier_signal -1
	s_barrier_wait -1
	s_clause 0x7
	scratch_load_b128 v[8:11], off, off offset:144
	scratch_load_b128 v[48:51], off, off offset:160
	;; [unrolled: 1-line block ×8, first 2 shown]
	ds_load_b128 v[76:79], v2 offset:416
	ds_load_b128 v[80:83], v2 offset:432
	scratch_load_b128 v[84:87], off, off offset:128
	s_mov_b32 s2, exec_lo
	s_wait_loadcnt_dscnt 0x801
	v_mul_f64_e32 v[4:5], v[78:79], v[10:11]
	v_mul_f64_e32 v[12:13], v[76:77], v[10:11]
	s_wait_loadcnt_dscnt 0x700
	v_mul_f64_e32 v[88:89], v[80:81], v[50:51]
	v_mul_f64_e32 v[50:51], v[82:83], v[50:51]
	s_delay_alu instid0(VALU_DEP_4) | instskip(NEXT) | instid1(VALU_DEP_4)
	v_fma_f64 v[4:5], v[76:77], v[8:9], -v[4:5]
	v_fmac_f64_e32 v[12:13], v[78:79], v[8:9]
	ds_load_b128 v[8:11], v2 offset:448
	ds_load_b128 v[76:79], v2 offset:464
	v_fmac_f64_e32 v[88:89], v[82:83], v[48:49]
	v_fma_f64 v[48:49], v[80:81], v[48:49], -v[50:51]
	s_wait_loadcnt_dscnt 0x601
	v_mul_f64_e32 v[90:91], v[8:9], v[54:55]
	v_mul_f64_e32 v[54:55], v[10:11], v[54:55]
	s_wait_loadcnt_dscnt 0x500
	v_mul_f64_e32 v[80:81], v[76:77], v[58:59]
	v_mul_f64_e32 v[58:59], v[78:79], v[58:59]
	v_add_f64_e32 v[4:5], 0, v[4:5]
	v_add_f64_e32 v[12:13], 0, v[12:13]
	v_fmac_f64_e32 v[90:91], v[10:11], v[52:53]
	v_fma_f64 v[52:53], v[8:9], v[52:53], -v[54:55]
	v_fmac_f64_e32 v[80:81], v[78:79], v[56:57]
	v_fma_f64 v[56:57], v[76:77], v[56:57], -v[58:59]
	v_add_f64_e32 v[4:5], v[4:5], v[48:49]
	v_add_f64_e32 v[12:13], v[12:13], v[88:89]
	ds_load_b128 v[8:11], v2 offset:480
	ds_load_b128 v[48:51], v2 offset:496
	s_wait_loadcnt_dscnt 0x401
	v_mul_f64_e32 v[54:55], v[8:9], v[62:63]
	v_mul_f64_e32 v[62:63], v[10:11], v[62:63]
	s_wait_loadcnt_dscnt 0x300
	v_mul_f64_e32 v[58:59], v[50:51], v[66:67]
	v_add_f64_e32 v[4:5], v[4:5], v[52:53]
	v_add_f64_e32 v[12:13], v[12:13], v[90:91]
	v_mul_f64_e32 v[52:53], v[48:49], v[66:67]
	v_fmac_f64_e32 v[54:55], v[10:11], v[60:61]
	v_fma_f64 v[60:61], v[8:9], v[60:61], -v[62:63]
	v_fma_f64 v[48:49], v[48:49], v[64:65], -v[58:59]
	v_add_f64_e32 v[56:57], v[4:5], v[56:57]
	v_add_f64_e32 v[12:13], v[12:13], v[80:81]
	ds_load_b128 v[8:11], v2 offset:512
	ds_load_b128 v[2:5], v2 offset:528
	v_fmac_f64_e32 v[52:53], v[50:51], v[64:65]
	s_wait_loadcnt_dscnt 0x201
	v_mul_f64_e32 v[62:63], v[8:9], v[70:71]
	v_mul_f64_e32 v[66:67], v[10:11], v[70:71]
	v_add_f64_e32 v[50:51], v[56:57], v[60:61]
	v_add_f64_e32 v[12:13], v[12:13], v[54:55]
	s_wait_loadcnt_dscnt 0x100
	v_mul_f64_e32 v[54:55], v[2:3], v[74:75]
	v_mul_f64_e32 v[56:57], v[4:5], v[74:75]
	v_fmac_f64_e32 v[62:63], v[10:11], v[68:69]
	v_fma_f64 v[8:9], v[8:9], v[68:69], -v[66:67]
	v_add_f64_e32 v[10:11], v[50:51], v[48:49]
	v_add_f64_e32 v[12:13], v[12:13], v[52:53]
	v_fmac_f64_e32 v[54:55], v[4:5], v[72:73]
	v_fma_f64 v[2:3], v[2:3], v[72:73], -v[56:57]
	s_delay_alu instid0(VALU_DEP_4) | instskip(NEXT) | instid1(VALU_DEP_4)
	v_add_f64_e32 v[4:5], v[10:11], v[8:9]
	v_add_f64_e32 v[8:9], v[12:13], v[62:63]
	s_delay_alu instid0(VALU_DEP_2) | instskip(NEXT) | instid1(VALU_DEP_2)
	v_add_f64_e32 v[2:3], v[4:5], v[2:3]
	v_add_f64_e32 v[4:5], v[8:9], v[54:55]
	s_wait_loadcnt 0x0
	s_delay_alu instid0(VALU_DEP_2) | instskip(NEXT) | instid1(VALU_DEP_2)
	v_add_f64_e64 v[2:3], v[84:85], -v[2:3]
	v_add_f64_e64 v[4:5], v[86:87], -v[4:5]
	scratch_store_b128 off, v[2:5], off offset:128
	s_wait_xcnt 0x0
	v_cmpx_lt_u32_e32 7, v1
	s_cbranch_execz .LBB16_101
; %bb.100:
	scratch_load_b128 v[2:5], off, s20
	v_mov_b32_e32 v8, 0
	s_delay_alu instid0(VALU_DEP_1)
	v_dual_mov_b32 v9, v8 :: v_dual_mov_b32 v10, v8
	v_mov_b32_e32 v11, v8
	scratch_store_b128 off, v[8:11], off offset:112
	s_wait_loadcnt 0x0
	ds_store_b128 v6, v[2:5]
.LBB16_101:
	s_wait_xcnt 0x0
	s_or_b32 exec_lo, exec_lo, s2
	s_wait_storecnt_dscnt 0x0
	s_barrier_signal -1
	s_barrier_wait -1
	s_clause 0x8
	scratch_load_b128 v[8:11], off, off offset:128
	scratch_load_b128 v[48:51], off, off offset:144
	;; [unrolled: 1-line block ×9, first 2 shown]
	v_mov_b32_e32 v2, 0
	scratch_load_b128 v[84:87], off, off offset:112
	s_mov_b32 s2, exec_lo
	ds_load_b128 v[80:83], v2 offset:400
	ds_load_b128 v[88:91], v2 offset:416
	s_wait_loadcnt_dscnt 0x901
	v_mul_f64_e32 v[4:5], v[82:83], v[10:11]
	v_mul_f64_e32 v[12:13], v[80:81], v[10:11]
	s_wait_loadcnt_dscnt 0x800
	v_mul_f64_e32 v[92:93], v[88:89], v[50:51]
	v_mul_f64_e32 v[50:51], v[90:91], v[50:51]
	s_delay_alu instid0(VALU_DEP_4) | instskip(NEXT) | instid1(VALU_DEP_4)
	v_fma_f64 v[4:5], v[80:81], v[8:9], -v[4:5]
	v_fmac_f64_e32 v[12:13], v[82:83], v[8:9]
	ds_load_b128 v[8:11], v2 offset:432
	ds_load_b128 v[80:83], v2 offset:448
	v_fmac_f64_e32 v[92:93], v[90:91], v[48:49]
	v_fma_f64 v[48:49], v[88:89], v[48:49], -v[50:51]
	s_wait_loadcnt_dscnt 0x701
	v_mul_f64_e32 v[94:95], v[8:9], v[54:55]
	v_mul_f64_e32 v[54:55], v[10:11], v[54:55]
	s_wait_loadcnt_dscnt 0x600
	v_mul_f64_e32 v[88:89], v[80:81], v[58:59]
	v_mul_f64_e32 v[58:59], v[82:83], v[58:59]
	v_add_f64_e32 v[4:5], 0, v[4:5]
	v_add_f64_e32 v[12:13], 0, v[12:13]
	v_fmac_f64_e32 v[94:95], v[10:11], v[52:53]
	v_fma_f64 v[52:53], v[8:9], v[52:53], -v[54:55]
	v_fmac_f64_e32 v[88:89], v[82:83], v[56:57]
	v_fma_f64 v[56:57], v[80:81], v[56:57], -v[58:59]
	v_add_f64_e32 v[4:5], v[4:5], v[48:49]
	v_add_f64_e32 v[12:13], v[12:13], v[92:93]
	ds_load_b128 v[8:11], v2 offset:464
	ds_load_b128 v[48:51], v2 offset:480
	s_wait_loadcnt_dscnt 0x501
	v_mul_f64_e32 v[90:91], v[8:9], v[62:63]
	v_mul_f64_e32 v[54:55], v[10:11], v[62:63]
	s_wait_loadcnt_dscnt 0x400
	v_mul_f64_e32 v[58:59], v[48:49], v[66:67]
	v_mul_f64_e32 v[62:63], v[50:51], v[66:67]
	v_add_f64_e32 v[4:5], v[4:5], v[52:53]
	v_add_f64_e32 v[12:13], v[12:13], v[94:95]
	v_fmac_f64_e32 v[90:91], v[10:11], v[60:61]
	v_fma_f64 v[60:61], v[8:9], v[60:61], -v[54:55]
	ds_load_b128 v[8:11], v2 offset:496
	ds_load_b128 v[52:55], v2 offset:512
	v_fmac_f64_e32 v[58:59], v[50:51], v[64:65]
	v_fma_f64 v[48:49], v[48:49], v[64:65], -v[62:63]
	v_add_f64_e32 v[4:5], v[4:5], v[56:57]
	v_add_f64_e32 v[12:13], v[12:13], v[88:89]
	s_wait_loadcnt_dscnt 0x301
	v_mul_f64_e32 v[56:57], v[8:9], v[70:71]
	v_mul_f64_e32 v[66:67], v[10:11], v[70:71]
	s_wait_loadcnt_dscnt 0x200
	v_mul_f64_e32 v[50:51], v[52:53], v[74:75]
	v_add_f64_e32 v[4:5], v[4:5], v[60:61]
	v_add_f64_e32 v[12:13], v[12:13], v[90:91]
	v_mul_f64_e32 v[60:61], v[54:55], v[74:75]
	v_fmac_f64_e32 v[56:57], v[10:11], v[68:69]
	v_fma_f64 v[62:63], v[8:9], v[68:69], -v[66:67]
	ds_load_b128 v[8:11], v2 offset:528
	v_fmac_f64_e32 v[50:51], v[54:55], v[72:73]
	v_add_f64_e32 v[4:5], v[4:5], v[48:49]
	v_add_f64_e32 v[12:13], v[12:13], v[58:59]
	s_wait_loadcnt_dscnt 0x100
	v_mul_f64_e32 v[48:49], v[8:9], v[78:79]
	v_mul_f64_e32 v[58:59], v[10:11], v[78:79]
	v_fma_f64 v[52:53], v[52:53], v[72:73], -v[60:61]
	v_add_f64_e32 v[4:5], v[4:5], v[62:63]
	v_add_f64_e32 v[12:13], v[12:13], v[56:57]
	v_fmac_f64_e32 v[48:49], v[10:11], v[76:77]
	v_fma_f64 v[8:9], v[8:9], v[76:77], -v[58:59]
	s_delay_alu instid0(VALU_DEP_4) | instskip(NEXT) | instid1(VALU_DEP_4)
	v_add_f64_e32 v[4:5], v[4:5], v[52:53]
	v_add_f64_e32 v[10:11], v[12:13], v[50:51]
	s_delay_alu instid0(VALU_DEP_2) | instskip(NEXT) | instid1(VALU_DEP_2)
	v_add_f64_e32 v[4:5], v[4:5], v[8:9]
	v_add_f64_e32 v[10:11], v[10:11], v[48:49]
	s_wait_loadcnt 0x0
	s_delay_alu instid0(VALU_DEP_2) | instskip(NEXT) | instid1(VALU_DEP_2)
	v_add_f64_e64 v[8:9], v[84:85], -v[4:5]
	v_add_f64_e64 v[10:11], v[86:87], -v[10:11]
	scratch_store_b128 off, v[8:11], off offset:112
	s_wait_xcnt 0x0
	v_cmpx_lt_u32_e32 6, v1
	s_cbranch_execz .LBB16_103
; %bb.102:
	scratch_load_b128 v[8:11], off, s13
	v_dual_mov_b32 v3, v2 :: v_dual_mov_b32 v4, v2
	v_mov_b32_e32 v5, v2
	scratch_store_b128 off, v[2:5], off offset:96
	s_wait_loadcnt 0x0
	ds_store_b128 v6, v[8:11]
.LBB16_103:
	s_wait_xcnt 0x0
	s_or_b32 exec_lo, exec_lo, s2
	s_wait_storecnt_dscnt 0x0
	s_barrier_signal -1
	s_barrier_wait -1
	s_clause 0x9
	scratch_load_b128 v[8:11], off, off offset:112
	scratch_load_b128 v[48:51], off, off offset:128
	scratch_load_b128 v[52:55], off, off offset:144
	scratch_load_b128 v[56:59], off, off offset:160
	scratch_load_b128 v[60:63], off, off offset:176
	scratch_load_b128 v[64:67], off, off offset:192
	scratch_load_b128 v[68:71], off, off offset:208
	scratch_load_b128 v[72:75], off, off offset:224
	scratch_load_b128 v[76:79], off, off offset:240
	scratch_load_b128 v[80:83], off, off offset:256
	ds_load_b128 v[84:87], v2 offset:384
	ds_load_b128 v[88:91], v2 offset:400
	scratch_load_b128 v[92:95], off, off offset:96
	s_mov_b32 s2, exec_lo
	s_wait_loadcnt_dscnt 0xa01
	v_mul_f64_e32 v[4:5], v[86:87], v[10:11]
	v_mul_f64_e32 v[12:13], v[84:85], v[10:11]
	s_wait_loadcnt_dscnt 0x900
	v_mul_f64_e32 v[96:97], v[88:89], v[50:51]
	v_mul_f64_e32 v[50:51], v[90:91], v[50:51]
	s_delay_alu instid0(VALU_DEP_4) | instskip(NEXT) | instid1(VALU_DEP_4)
	v_fma_f64 v[4:5], v[84:85], v[8:9], -v[4:5]
	v_fmac_f64_e32 v[12:13], v[86:87], v[8:9]
	ds_load_b128 v[8:11], v2 offset:416
	ds_load_b128 v[84:87], v2 offset:432
	v_fmac_f64_e32 v[96:97], v[90:91], v[48:49]
	v_fma_f64 v[48:49], v[88:89], v[48:49], -v[50:51]
	s_wait_loadcnt_dscnt 0x801
	v_mul_f64_e32 v[98:99], v[8:9], v[54:55]
	v_mul_f64_e32 v[54:55], v[10:11], v[54:55]
	s_wait_loadcnt_dscnt 0x700
	v_mul_f64_e32 v[88:89], v[84:85], v[58:59]
	v_mul_f64_e32 v[58:59], v[86:87], v[58:59]
	v_add_f64_e32 v[4:5], 0, v[4:5]
	v_add_f64_e32 v[12:13], 0, v[12:13]
	v_fmac_f64_e32 v[98:99], v[10:11], v[52:53]
	v_fma_f64 v[52:53], v[8:9], v[52:53], -v[54:55]
	v_fmac_f64_e32 v[88:89], v[86:87], v[56:57]
	v_fma_f64 v[56:57], v[84:85], v[56:57], -v[58:59]
	v_add_f64_e32 v[4:5], v[4:5], v[48:49]
	v_add_f64_e32 v[12:13], v[12:13], v[96:97]
	ds_load_b128 v[8:11], v2 offset:448
	ds_load_b128 v[48:51], v2 offset:464
	s_wait_loadcnt_dscnt 0x601
	v_mul_f64_e32 v[90:91], v[8:9], v[62:63]
	v_mul_f64_e32 v[54:55], v[10:11], v[62:63]
	s_wait_loadcnt_dscnt 0x500
	v_mul_f64_e32 v[58:59], v[48:49], v[66:67]
	v_mul_f64_e32 v[62:63], v[50:51], v[66:67]
	v_add_f64_e32 v[4:5], v[4:5], v[52:53]
	v_add_f64_e32 v[12:13], v[12:13], v[98:99]
	v_fmac_f64_e32 v[90:91], v[10:11], v[60:61]
	v_fma_f64 v[60:61], v[8:9], v[60:61], -v[54:55]
	ds_load_b128 v[8:11], v2 offset:480
	ds_load_b128 v[52:55], v2 offset:496
	v_fmac_f64_e32 v[58:59], v[50:51], v[64:65]
	v_fma_f64 v[48:49], v[48:49], v[64:65], -v[62:63]
	v_add_f64_e32 v[4:5], v[4:5], v[56:57]
	v_add_f64_e32 v[12:13], v[12:13], v[88:89]
	s_wait_loadcnt_dscnt 0x401
	v_mul_f64_e32 v[56:57], v[8:9], v[70:71]
	v_mul_f64_e32 v[66:67], v[10:11], v[70:71]
	s_wait_loadcnt_dscnt 0x300
	v_mul_f64_e32 v[50:51], v[52:53], v[74:75]
	v_add_f64_e32 v[4:5], v[4:5], v[60:61]
	v_add_f64_e32 v[12:13], v[12:13], v[90:91]
	v_mul_f64_e32 v[60:61], v[54:55], v[74:75]
	v_fmac_f64_e32 v[56:57], v[10:11], v[68:69]
	v_fma_f64 v[62:63], v[8:9], v[68:69], -v[66:67]
	v_fmac_f64_e32 v[50:51], v[54:55], v[72:73]
	v_add_f64_e32 v[48:49], v[4:5], v[48:49]
	v_add_f64_e32 v[12:13], v[12:13], v[58:59]
	ds_load_b128 v[8:11], v2 offset:512
	ds_load_b128 v[2:5], v2 offset:528
	v_fma_f64 v[52:53], v[52:53], v[72:73], -v[60:61]
	s_wait_loadcnt_dscnt 0x201
	v_mul_f64_e32 v[58:59], v[8:9], v[78:79]
	v_mul_f64_e32 v[64:65], v[10:11], v[78:79]
	s_wait_loadcnt_dscnt 0x100
	v_mul_f64_e32 v[54:55], v[2:3], v[82:83]
	v_add_f64_e32 v[48:49], v[48:49], v[62:63]
	v_add_f64_e32 v[12:13], v[12:13], v[56:57]
	v_mul_f64_e32 v[56:57], v[4:5], v[82:83]
	v_fmac_f64_e32 v[58:59], v[10:11], v[76:77]
	v_fma_f64 v[8:9], v[8:9], v[76:77], -v[64:65]
	v_fmac_f64_e32 v[54:55], v[4:5], v[80:81]
	v_add_f64_e32 v[10:11], v[48:49], v[52:53]
	v_add_f64_e32 v[12:13], v[12:13], v[50:51]
	v_fma_f64 v[2:3], v[2:3], v[80:81], -v[56:57]
	s_delay_alu instid0(VALU_DEP_3) | instskip(NEXT) | instid1(VALU_DEP_3)
	v_add_f64_e32 v[4:5], v[10:11], v[8:9]
	v_add_f64_e32 v[8:9], v[12:13], v[58:59]
	s_delay_alu instid0(VALU_DEP_2) | instskip(NEXT) | instid1(VALU_DEP_2)
	v_add_f64_e32 v[2:3], v[4:5], v[2:3]
	v_add_f64_e32 v[4:5], v[8:9], v[54:55]
	s_wait_loadcnt 0x0
	s_delay_alu instid0(VALU_DEP_2) | instskip(NEXT) | instid1(VALU_DEP_2)
	v_add_f64_e64 v[2:3], v[92:93], -v[2:3]
	v_add_f64_e64 v[4:5], v[94:95], -v[4:5]
	scratch_store_b128 off, v[2:5], off offset:96
	s_wait_xcnt 0x0
	v_cmpx_lt_u32_e32 5, v1
	s_cbranch_execz .LBB16_105
; %bb.104:
	scratch_load_b128 v[2:5], off, s12
	v_mov_b32_e32 v8, 0
	s_delay_alu instid0(VALU_DEP_1)
	v_dual_mov_b32 v9, v8 :: v_dual_mov_b32 v10, v8
	v_mov_b32_e32 v11, v8
	scratch_store_b128 off, v[8:11], off offset:80
	s_wait_loadcnt 0x0
	ds_store_b128 v6, v[2:5]
.LBB16_105:
	s_wait_xcnt 0x0
	s_or_b32 exec_lo, exec_lo, s2
	s_wait_storecnt_dscnt 0x0
	s_barrier_signal -1
	s_barrier_wait -1
	s_clause 0x9
	scratch_load_b128 v[8:11], off, off offset:96
	scratch_load_b128 v[48:51], off, off offset:112
	;; [unrolled: 1-line block ×10, first 2 shown]
	v_mov_b32_e32 v2, 0
	s_mov_b32 s2, exec_lo
	ds_load_b128 v[84:87], v2 offset:368
	s_clause 0x1
	scratch_load_b128 v[88:91], off, off offset:256
	scratch_load_b128 v[92:95], off, off offset:80
	s_wait_loadcnt_dscnt 0xb00
	v_mul_f64_e32 v[4:5], v[86:87], v[10:11]
	v_mul_f64_e32 v[12:13], v[84:85], v[10:11]
	ds_load_b128 v[96:99], v2 offset:384
	s_wait_loadcnt_dscnt 0xa00
	v_mul_f64_e32 v[100:101], v[96:97], v[50:51]
	v_mul_f64_e32 v[50:51], v[98:99], v[50:51]
	v_fma_f64 v[4:5], v[84:85], v[8:9], -v[4:5]
	v_fmac_f64_e32 v[12:13], v[86:87], v[8:9]
	ds_load_b128 v[8:11], v2 offset:400
	ds_load_b128 v[84:87], v2 offset:416
	s_wait_loadcnt_dscnt 0x901
	v_mul_f64_e32 v[102:103], v[8:9], v[54:55]
	v_mul_f64_e32 v[54:55], v[10:11], v[54:55]
	v_fmac_f64_e32 v[100:101], v[98:99], v[48:49]
	v_fma_f64 v[48:49], v[96:97], v[48:49], -v[50:51]
	s_wait_loadcnt_dscnt 0x800
	v_mul_f64_e32 v[96:97], v[84:85], v[58:59]
	v_mul_f64_e32 v[58:59], v[86:87], v[58:59]
	v_add_f64_e32 v[4:5], 0, v[4:5]
	v_add_f64_e32 v[12:13], 0, v[12:13]
	v_fmac_f64_e32 v[102:103], v[10:11], v[52:53]
	v_fma_f64 v[52:53], v[8:9], v[52:53], -v[54:55]
	v_fmac_f64_e32 v[96:97], v[86:87], v[56:57]
	v_fma_f64 v[56:57], v[84:85], v[56:57], -v[58:59]
	v_add_f64_e32 v[4:5], v[4:5], v[48:49]
	v_add_f64_e32 v[12:13], v[12:13], v[100:101]
	ds_load_b128 v[8:11], v2 offset:432
	ds_load_b128 v[48:51], v2 offset:448
	s_wait_loadcnt_dscnt 0x701
	v_mul_f64_e32 v[98:99], v[8:9], v[62:63]
	v_mul_f64_e32 v[54:55], v[10:11], v[62:63]
	s_wait_loadcnt_dscnt 0x600
	v_mul_f64_e32 v[58:59], v[48:49], v[66:67]
	v_mul_f64_e32 v[62:63], v[50:51], v[66:67]
	v_add_f64_e32 v[4:5], v[4:5], v[52:53]
	v_add_f64_e32 v[12:13], v[12:13], v[102:103]
	v_fmac_f64_e32 v[98:99], v[10:11], v[60:61]
	v_fma_f64 v[60:61], v[8:9], v[60:61], -v[54:55]
	ds_load_b128 v[8:11], v2 offset:464
	ds_load_b128 v[52:55], v2 offset:480
	v_fmac_f64_e32 v[58:59], v[50:51], v[64:65]
	v_fma_f64 v[48:49], v[48:49], v[64:65], -v[62:63]
	v_add_f64_e32 v[4:5], v[4:5], v[56:57]
	v_add_f64_e32 v[12:13], v[12:13], v[96:97]
	s_wait_loadcnt_dscnt 0x501
	v_mul_f64_e32 v[56:57], v[8:9], v[70:71]
	v_mul_f64_e32 v[66:67], v[10:11], v[70:71]
	s_wait_loadcnt_dscnt 0x400
	v_mul_f64_e32 v[62:63], v[54:55], v[74:75]
	v_add_f64_e32 v[4:5], v[4:5], v[60:61]
	v_add_f64_e32 v[12:13], v[12:13], v[98:99]
	v_mul_f64_e32 v[60:61], v[52:53], v[74:75]
	v_fmac_f64_e32 v[56:57], v[10:11], v[68:69]
	v_fma_f64 v[64:65], v[8:9], v[68:69], -v[66:67]
	v_fma_f64 v[52:53], v[52:53], v[72:73], -v[62:63]
	v_add_f64_e32 v[4:5], v[4:5], v[48:49]
	v_add_f64_e32 v[12:13], v[12:13], v[58:59]
	ds_load_b128 v[8:11], v2 offset:496
	ds_load_b128 v[48:51], v2 offset:512
	v_fmac_f64_e32 v[60:61], v[54:55], v[72:73]
	s_wait_loadcnt_dscnt 0x301
	v_mul_f64_e32 v[58:59], v[8:9], v[78:79]
	v_mul_f64_e32 v[66:67], v[10:11], v[78:79]
	s_wait_loadcnt_dscnt 0x200
	v_mul_f64_e32 v[54:55], v[48:49], v[82:83]
	v_add_f64_e32 v[4:5], v[4:5], v[64:65]
	v_add_f64_e32 v[12:13], v[12:13], v[56:57]
	v_mul_f64_e32 v[56:57], v[50:51], v[82:83]
	v_fmac_f64_e32 v[58:59], v[10:11], v[76:77]
	v_fma_f64 v[62:63], v[8:9], v[76:77], -v[66:67]
	ds_load_b128 v[8:11], v2 offset:528
	v_fmac_f64_e32 v[54:55], v[50:51], v[80:81]
	v_add_f64_e32 v[4:5], v[4:5], v[52:53]
	v_add_f64_e32 v[12:13], v[12:13], v[60:61]
	v_fma_f64 v[48:49], v[48:49], v[80:81], -v[56:57]
	s_wait_loadcnt_dscnt 0x100
	v_mul_f64_e32 v[52:53], v[8:9], v[90:91]
	v_mul_f64_e32 v[60:61], v[10:11], v[90:91]
	v_add_f64_e32 v[4:5], v[4:5], v[62:63]
	v_add_f64_e32 v[12:13], v[12:13], v[58:59]
	s_delay_alu instid0(VALU_DEP_4) | instskip(NEXT) | instid1(VALU_DEP_4)
	v_fmac_f64_e32 v[52:53], v[10:11], v[88:89]
	v_fma_f64 v[8:9], v[8:9], v[88:89], -v[60:61]
	s_delay_alu instid0(VALU_DEP_4) | instskip(NEXT) | instid1(VALU_DEP_4)
	v_add_f64_e32 v[4:5], v[4:5], v[48:49]
	v_add_f64_e32 v[10:11], v[12:13], v[54:55]
	s_delay_alu instid0(VALU_DEP_2) | instskip(NEXT) | instid1(VALU_DEP_2)
	v_add_f64_e32 v[4:5], v[4:5], v[8:9]
	v_add_f64_e32 v[10:11], v[10:11], v[52:53]
	s_wait_loadcnt 0x0
	s_delay_alu instid0(VALU_DEP_2) | instskip(NEXT) | instid1(VALU_DEP_2)
	v_add_f64_e64 v[8:9], v[92:93], -v[4:5]
	v_add_f64_e64 v[10:11], v[94:95], -v[10:11]
	scratch_store_b128 off, v[8:11], off offset:80
	s_wait_xcnt 0x0
	v_cmpx_lt_u32_e32 4, v1
	s_cbranch_execz .LBB16_107
; %bb.106:
	scratch_load_b128 v[8:11], off, s10
	v_dual_mov_b32 v3, v2 :: v_dual_mov_b32 v4, v2
	v_mov_b32_e32 v5, v2
	scratch_store_b128 off, v[2:5], off offset:64
	s_wait_loadcnt 0x0
	ds_store_b128 v6, v[8:11]
.LBB16_107:
	s_wait_xcnt 0x0
	s_or_b32 exec_lo, exec_lo, s2
	s_wait_storecnt_dscnt 0x0
	s_barrier_signal -1
	s_barrier_wait -1
	s_clause 0x9
	scratch_load_b128 v[8:11], off, off offset:80
	scratch_load_b128 v[48:51], off, off offset:96
	;; [unrolled: 1-line block ×10, first 2 shown]
	ds_load_b128 v[84:87], v2 offset:352
	ds_load_b128 v[92:95], v2 offset:368
	s_clause 0x1
	scratch_load_b128 v[88:91], off, off offset:240
	scratch_load_b128 v[96:99], off, off offset:64
	s_mov_b32 s2, exec_lo
	s_wait_loadcnt_dscnt 0xb01
	v_mul_f64_e32 v[4:5], v[86:87], v[10:11]
	v_mul_f64_e32 v[104:105], v[84:85], v[10:11]
	scratch_load_b128 v[10:13], off, off offset:256
	s_wait_loadcnt_dscnt 0xb00
	v_mul_f64_e32 v[106:107], v[92:93], v[50:51]
	v_mul_f64_e32 v[50:51], v[94:95], v[50:51]
	v_fma_f64 v[4:5], v[84:85], v[8:9], -v[4:5]
	v_fmac_f64_e32 v[104:105], v[86:87], v[8:9]
	ds_load_b128 v[84:87], v2 offset:384
	ds_load_b128 v[100:103], v2 offset:400
	v_fmac_f64_e32 v[106:107], v[94:95], v[48:49]
	v_fma_f64 v[48:49], v[92:93], v[48:49], -v[50:51]
	s_wait_loadcnt_dscnt 0xa01
	v_mul_f64_e32 v[8:9], v[84:85], v[54:55]
	v_mul_f64_e32 v[54:55], v[86:87], v[54:55]
	s_wait_loadcnt_dscnt 0x900
	v_mul_f64_e32 v[92:93], v[100:101], v[58:59]
	v_mul_f64_e32 v[58:59], v[102:103], v[58:59]
	v_add_f64_e32 v[4:5], 0, v[4:5]
	v_add_f64_e32 v[50:51], 0, v[104:105]
	v_fmac_f64_e32 v[8:9], v[86:87], v[52:53]
	v_fma_f64 v[84:85], v[84:85], v[52:53], -v[54:55]
	v_fmac_f64_e32 v[92:93], v[102:103], v[56:57]
	v_fma_f64 v[56:57], v[100:101], v[56:57], -v[58:59]
	v_add_f64_e32 v[4:5], v[4:5], v[48:49]
	v_add_f64_e32 v[86:87], v[50:51], v[106:107]
	ds_load_b128 v[48:51], v2 offset:416
	ds_load_b128 v[52:55], v2 offset:432
	s_wait_loadcnt_dscnt 0x801
	v_mul_f64_e32 v[94:95], v[48:49], v[62:63]
	v_mul_f64_e32 v[62:63], v[50:51], v[62:63]
	v_add_f64_e32 v[4:5], v[4:5], v[84:85]
	v_add_f64_e32 v[8:9], v[86:87], v[8:9]
	s_wait_loadcnt_dscnt 0x700
	v_mul_f64_e32 v[84:85], v[52:53], v[66:67]
	v_mul_f64_e32 v[66:67], v[54:55], v[66:67]
	v_fmac_f64_e32 v[94:95], v[50:51], v[60:61]
	v_fma_f64 v[60:61], v[48:49], v[60:61], -v[62:63]
	v_add_f64_e32 v[4:5], v[4:5], v[56:57]
	v_add_f64_e32 v[8:9], v[8:9], v[92:93]
	ds_load_b128 v[48:51], v2 offset:448
	ds_load_b128 v[56:59], v2 offset:464
	v_fmac_f64_e32 v[84:85], v[54:55], v[64:65]
	v_fma_f64 v[52:53], v[52:53], v[64:65], -v[66:67]
	s_wait_loadcnt_dscnt 0x601
	v_mul_f64_e32 v[62:63], v[48:49], v[70:71]
	v_mul_f64_e32 v[70:71], v[50:51], v[70:71]
	s_wait_loadcnt_dscnt 0x500
	v_mul_f64_e32 v[64:65], v[58:59], v[74:75]
	v_add_f64_e32 v[4:5], v[4:5], v[60:61]
	v_add_f64_e32 v[8:9], v[8:9], v[94:95]
	v_mul_f64_e32 v[60:61], v[56:57], v[74:75]
	v_fmac_f64_e32 v[62:63], v[50:51], v[68:69]
	v_fma_f64 v[66:67], v[48:49], v[68:69], -v[70:71]
	v_fma_f64 v[56:57], v[56:57], v[72:73], -v[64:65]
	v_add_f64_e32 v[4:5], v[4:5], v[52:53]
	v_add_f64_e32 v[8:9], v[8:9], v[84:85]
	ds_load_b128 v[48:51], v2 offset:480
	ds_load_b128 v[52:55], v2 offset:496
	v_fmac_f64_e32 v[60:61], v[58:59], v[72:73]
	s_wait_loadcnt_dscnt 0x401
	v_mul_f64_e32 v[68:69], v[48:49], v[78:79]
	v_mul_f64_e32 v[70:71], v[50:51], v[78:79]
	s_wait_loadcnt_dscnt 0x300
	v_mul_f64_e32 v[58:59], v[52:53], v[82:83]
	v_add_f64_e32 v[4:5], v[4:5], v[66:67]
	v_add_f64_e32 v[8:9], v[8:9], v[62:63]
	v_mul_f64_e32 v[62:63], v[54:55], v[82:83]
	v_fmac_f64_e32 v[68:69], v[50:51], v[76:77]
	v_fma_f64 v[64:65], v[48:49], v[76:77], -v[70:71]
	v_fmac_f64_e32 v[58:59], v[54:55], v[80:81]
	v_add_f64_e32 v[56:57], v[4:5], v[56:57]
	v_add_f64_e32 v[8:9], v[8:9], v[60:61]
	ds_load_b128 v[48:51], v2 offset:512
	ds_load_b128 v[2:5], v2 offset:528
	v_fma_f64 v[52:53], v[52:53], v[80:81], -v[62:63]
	s_wait_loadcnt_dscnt 0x201
	v_mul_f64_e32 v[60:61], v[48:49], v[90:91]
	v_mul_f64_e32 v[66:67], v[50:51], v[90:91]
	v_add_f64_e32 v[54:55], v[56:57], v[64:65]
	v_add_f64_e32 v[8:9], v[8:9], v[68:69]
	s_wait_loadcnt_dscnt 0x0
	v_mul_f64_e32 v[56:57], v[2:3], v[12:13]
	v_mul_f64_e32 v[12:13], v[4:5], v[12:13]
	v_fmac_f64_e32 v[60:61], v[50:51], v[88:89]
	v_fma_f64 v[48:49], v[48:49], v[88:89], -v[66:67]
	v_add_f64_e32 v[50:51], v[54:55], v[52:53]
	v_add_f64_e32 v[8:9], v[8:9], v[58:59]
	v_fmac_f64_e32 v[56:57], v[4:5], v[10:11]
	v_fma_f64 v[2:3], v[2:3], v[10:11], -v[12:13]
	s_delay_alu instid0(VALU_DEP_4) | instskip(NEXT) | instid1(VALU_DEP_4)
	v_add_f64_e32 v[4:5], v[50:51], v[48:49]
	v_add_f64_e32 v[8:9], v[8:9], v[60:61]
	s_delay_alu instid0(VALU_DEP_2) | instskip(NEXT) | instid1(VALU_DEP_2)
	v_add_f64_e32 v[2:3], v[4:5], v[2:3]
	v_add_f64_e32 v[4:5], v[8:9], v[56:57]
	s_delay_alu instid0(VALU_DEP_2) | instskip(NEXT) | instid1(VALU_DEP_2)
	v_add_f64_e64 v[2:3], v[96:97], -v[2:3]
	v_add_f64_e64 v[4:5], v[98:99], -v[4:5]
	scratch_store_b128 off, v[2:5], off offset:64
	s_wait_xcnt 0x0
	v_cmpx_lt_u32_e32 3, v1
	s_cbranch_execz .LBB16_109
; %bb.108:
	scratch_load_b128 v[2:5], off, s9
	v_mov_b32_e32 v8, 0
	s_delay_alu instid0(VALU_DEP_1)
	v_dual_mov_b32 v9, v8 :: v_dual_mov_b32 v10, v8
	v_mov_b32_e32 v11, v8
	scratch_store_b128 off, v[8:11], off offset:48
	s_wait_loadcnt 0x0
	ds_store_b128 v6, v[2:5]
.LBB16_109:
	s_wait_xcnt 0x0
	s_or_b32 exec_lo, exec_lo, s2
	s_wait_storecnt_dscnt 0x0
	s_barrier_signal -1
	s_barrier_wait -1
	s_clause 0x9
	scratch_load_b128 v[8:11], off, off offset:64
	scratch_load_b128 v[48:51], off, off offset:80
	;; [unrolled: 1-line block ×10, first 2 shown]
	v_mov_b32_e32 v2, 0
	s_mov_b32 s2, exec_lo
	ds_load_b128 v[84:87], v2 offset:336
	s_clause 0x2
	scratch_load_b128 v[88:91], off, off offset:224
	scratch_load_b128 v[92:95], off, off offset:48
	;; [unrolled: 1-line block ×3, first 2 shown]
	s_wait_loadcnt_dscnt 0xc00
	v_mul_f64_e32 v[4:5], v[86:87], v[10:11]
	v_mul_f64_e32 v[108:109], v[84:85], v[10:11]
	ds_load_b128 v[96:99], v2 offset:352
	scratch_load_b128 v[10:13], off, off offset:240
	ds_load_b128 v[104:107], v2 offset:384
	v_fma_f64 v[4:5], v[84:85], v[8:9], -v[4:5]
	v_fmac_f64_e32 v[108:109], v[86:87], v[8:9]
	ds_load_b128 v[84:87], v2 offset:368
	s_wait_loadcnt_dscnt 0xc02
	v_mul_f64_e32 v[110:111], v[96:97], v[50:51]
	v_mul_f64_e32 v[50:51], v[98:99], v[50:51]
	s_wait_loadcnt_dscnt 0xb00
	v_mul_f64_e32 v[8:9], v[84:85], v[54:55]
	v_mul_f64_e32 v[54:55], v[86:87], v[54:55]
	v_add_f64_e32 v[4:5], 0, v[4:5]
	v_fmac_f64_e32 v[110:111], v[98:99], v[48:49]
	v_fma_f64 v[48:49], v[96:97], v[48:49], -v[50:51]
	v_add_f64_e32 v[50:51], 0, v[108:109]
	s_wait_loadcnt 0xa
	v_mul_f64_e32 v[96:97], v[104:105], v[58:59]
	v_mul_f64_e32 v[58:59], v[106:107], v[58:59]
	v_fmac_f64_e32 v[8:9], v[86:87], v[52:53]
	v_fma_f64 v[84:85], v[84:85], v[52:53], -v[54:55]
	v_add_f64_e32 v[4:5], v[4:5], v[48:49]
	v_add_f64_e32 v[86:87], v[50:51], v[110:111]
	ds_load_b128 v[48:51], v2 offset:400
	ds_load_b128 v[52:55], v2 offset:416
	v_fmac_f64_e32 v[96:97], v[106:107], v[56:57]
	v_fma_f64 v[56:57], v[104:105], v[56:57], -v[58:59]
	s_wait_loadcnt_dscnt 0x901
	v_mul_f64_e32 v[98:99], v[48:49], v[62:63]
	v_mul_f64_e32 v[62:63], v[50:51], v[62:63]
	v_add_f64_e32 v[4:5], v[4:5], v[84:85]
	v_add_f64_e32 v[8:9], v[86:87], v[8:9]
	s_wait_loadcnt_dscnt 0x800
	v_mul_f64_e32 v[84:85], v[52:53], v[66:67]
	v_mul_f64_e32 v[66:67], v[54:55], v[66:67]
	v_fmac_f64_e32 v[98:99], v[50:51], v[60:61]
	v_fma_f64 v[60:61], v[48:49], v[60:61], -v[62:63]
	v_add_f64_e32 v[4:5], v[4:5], v[56:57]
	v_add_f64_e32 v[8:9], v[8:9], v[96:97]
	ds_load_b128 v[48:51], v2 offset:432
	ds_load_b128 v[56:59], v2 offset:448
	v_fmac_f64_e32 v[84:85], v[54:55], v[64:65]
	v_fma_f64 v[52:53], v[52:53], v[64:65], -v[66:67]
	s_wait_loadcnt_dscnt 0x701
	v_mul_f64_e32 v[62:63], v[48:49], v[70:71]
	v_mul_f64_e32 v[70:71], v[50:51], v[70:71]
	s_wait_loadcnt_dscnt 0x600
	v_mul_f64_e32 v[64:65], v[58:59], v[74:75]
	v_add_f64_e32 v[4:5], v[4:5], v[60:61]
	v_add_f64_e32 v[8:9], v[8:9], v[98:99]
	v_mul_f64_e32 v[60:61], v[56:57], v[74:75]
	v_fmac_f64_e32 v[62:63], v[50:51], v[68:69]
	v_fma_f64 v[66:67], v[48:49], v[68:69], -v[70:71]
	v_fma_f64 v[56:57], v[56:57], v[72:73], -v[64:65]
	v_add_f64_e32 v[4:5], v[4:5], v[52:53]
	v_add_f64_e32 v[8:9], v[8:9], v[84:85]
	ds_load_b128 v[48:51], v2 offset:464
	ds_load_b128 v[52:55], v2 offset:480
	v_fmac_f64_e32 v[60:61], v[58:59], v[72:73]
	s_wait_loadcnt_dscnt 0x501
	v_mul_f64_e32 v[68:69], v[48:49], v[78:79]
	v_mul_f64_e32 v[70:71], v[50:51], v[78:79]
	s_wait_loadcnt_dscnt 0x400
	v_mul_f64_e32 v[64:65], v[54:55], v[82:83]
	v_add_f64_e32 v[4:5], v[4:5], v[66:67]
	v_add_f64_e32 v[8:9], v[8:9], v[62:63]
	v_mul_f64_e32 v[62:63], v[52:53], v[82:83]
	v_fmac_f64_e32 v[68:69], v[50:51], v[76:77]
	v_fma_f64 v[66:67], v[48:49], v[76:77], -v[70:71]
	v_fma_f64 v[52:53], v[52:53], v[80:81], -v[64:65]
	v_add_f64_e32 v[4:5], v[4:5], v[56:57]
	v_add_f64_e32 v[8:9], v[8:9], v[60:61]
	ds_load_b128 v[48:51], v2 offset:496
	ds_load_b128 v[56:59], v2 offset:512
	v_fmac_f64_e32 v[62:63], v[54:55], v[80:81]
	s_wait_loadcnt_dscnt 0x301
	v_mul_f64_e32 v[60:61], v[48:49], v[90:91]
	v_mul_f64_e32 v[70:71], v[50:51], v[90:91]
	s_wait_loadcnt_dscnt 0x0
	v_mul_f64_e32 v[54:55], v[56:57], v[12:13]
	v_add_f64_e32 v[4:5], v[4:5], v[66:67]
	v_add_f64_e32 v[8:9], v[8:9], v[68:69]
	v_mul_f64_e32 v[12:13], v[58:59], v[12:13]
	v_fmac_f64_e32 v[60:61], v[50:51], v[88:89]
	v_fma_f64 v[64:65], v[48:49], v[88:89], -v[70:71]
	ds_load_b128 v[48:51], v2 offset:528
	v_fmac_f64_e32 v[54:55], v[58:59], v[10:11]
	v_add_f64_e32 v[4:5], v[4:5], v[52:53]
	v_add_f64_e32 v[8:9], v[8:9], v[62:63]
	v_fma_f64 v[10:11], v[56:57], v[10:11], -v[12:13]
	s_wait_dscnt 0x0
	v_mul_f64_e32 v[52:53], v[48:49], v[102:103]
	v_mul_f64_e32 v[62:63], v[50:51], v[102:103]
	v_add_f64_e32 v[4:5], v[4:5], v[64:65]
	v_add_f64_e32 v[8:9], v[8:9], v[60:61]
	s_delay_alu instid0(VALU_DEP_4) | instskip(NEXT) | instid1(VALU_DEP_4)
	v_fmac_f64_e32 v[52:53], v[50:51], v[100:101]
	v_fma_f64 v[12:13], v[48:49], v[100:101], -v[62:63]
	s_delay_alu instid0(VALU_DEP_4) | instskip(NEXT) | instid1(VALU_DEP_4)
	v_add_f64_e32 v[4:5], v[4:5], v[10:11]
	v_add_f64_e32 v[8:9], v[8:9], v[54:55]
	s_delay_alu instid0(VALU_DEP_2) | instskip(NEXT) | instid1(VALU_DEP_2)
	v_add_f64_e32 v[4:5], v[4:5], v[12:13]
	v_add_f64_e32 v[10:11], v[8:9], v[52:53]
	s_delay_alu instid0(VALU_DEP_2) | instskip(NEXT) | instid1(VALU_DEP_2)
	v_add_f64_e64 v[8:9], v[92:93], -v[4:5]
	v_add_f64_e64 v[10:11], v[94:95], -v[10:11]
	scratch_store_b128 off, v[8:11], off offset:48
	s_wait_xcnt 0x0
	v_cmpx_lt_u32_e32 2, v1
	s_cbranch_execz .LBB16_111
; %bb.110:
	scratch_load_b128 v[8:11], off, s8
	v_dual_mov_b32 v3, v2 :: v_dual_mov_b32 v4, v2
	v_mov_b32_e32 v5, v2
	scratch_store_b128 off, v[2:5], off offset:32
	s_wait_loadcnt 0x0
	ds_store_b128 v6, v[8:11]
.LBB16_111:
	s_wait_xcnt 0x0
	s_or_b32 exec_lo, exec_lo, s2
	s_wait_storecnt_dscnt 0x0
	s_barrier_signal -1
	s_barrier_wait -1
	s_clause 0x9
	scratch_load_b128 v[8:11], off, off offset:48
	scratch_load_b128 v[48:51], off, off offset:64
	;; [unrolled: 1-line block ×10, first 2 shown]
	ds_load_b128 v[84:87], v2 offset:320
	ds_load_b128 v[92:95], v2 offset:336
	s_clause 0x1
	scratch_load_b128 v[88:91], off, off offset:208
	scratch_load_b128 v[96:99], off, off offset:32
	s_mov_b32 s2, exec_lo
	v_ashrrev_i32_e32 v21, 31, v20
	v_ashrrev_i32_e32 v25, 31, v24
	;; [unrolled: 1-line block ×3, first 2 shown]
	v_dual_ashrrev_i32 v33, 31, v32 :: v_dual_ashrrev_i32 v19, 31, v18
	v_dual_ashrrev_i32 v23, 31, v22 :: v_dual_ashrrev_i32 v37, 31, v36
	v_ashrrev_i32_e32 v41, 31, v40
	v_dual_ashrrev_i32 v45, 31, v44 :: v_dual_ashrrev_i32 v27, 31, v26
	v_ashrrev_i32_e32 v31, 31, v30
	v_ashrrev_i32_e32 v35, 31, v34
	;; [unrolled: 1-line block ×5, first 2 shown]
	s_wait_loadcnt_dscnt 0xb01
	v_mul_f64_e32 v[4:5], v[86:87], v[10:11]
	v_mul_f64_e32 v[104:105], v[84:85], v[10:11]
	s_wait_loadcnt_dscnt 0xa00
	v_mul_f64_e32 v[106:107], v[92:93], v[50:51]
	v_mul_f64_e32 v[50:51], v[94:95], v[50:51]
	scratch_load_b128 v[10:13], off, off offset:224
	v_fma_f64 v[4:5], v[84:85], v[8:9], -v[4:5]
	v_fmac_f64_e32 v[104:105], v[86:87], v[8:9]
	ds_load_b128 v[84:87], v2 offset:352
	ds_load_b128 v[100:103], v2 offset:368
	v_fmac_f64_e32 v[106:107], v[94:95], v[48:49]
	v_fma_f64 v[108:109], v[92:93], v[48:49], -v[50:51]
	s_clause 0x1
	scratch_load_b128 v[48:51], off, off offset:240
	scratch_load_b128 v[92:95], off, off offset:256
	s_wait_loadcnt_dscnt 0xc01
	v_mul_f64_e32 v[8:9], v[84:85], v[54:55]
	v_mul_f64_e32 v[54:55], v[86:87], v[54:55]
	s_wait_loadcnt_dscnt 0xb00
	v_mul_f64_e32 v[112:113], v[100:101], v[58:59]
	v_mul_f64_e32 v[58:59], v[102:103], v[58:59]
	v_add_f64_e32 v[4:5], 0, v[4:5]
	v_add_f64_e32 v[104:105], 0, v[104:105]
	v_fmac_f64_e32 v[8:9], v[86:87], v[52:53]
	v_fma_f64 v[110:111], v[84:85], v[52:53], -v[54:55]
	ds_load_b128 v[52:55], v2 offset:384
	ds_load_b128 v[84:87], v2 offset:400
	v_fmac_f64_e32 v[112:113], v[102:103], v[56:57]
	v_fma_f64 v[56:57], v[100:101], v[56:57], -v[58:59]
	v_add_f64_e32 v[4:5], v[4:5], v[108:109]
	v_add_f64_e32 v[104:105], v[104:105], v[106:107]
	s_wait_loadcnt_dscnt 0xa01
	v_mul_f64_e32 v[100:101], v[52:53], v[62:63]
	v_mul_f64_e32 v[58:59], v[54:55], v[62:63]
	s_wait_loadcnt_dscnt 0x900
	v_mul_f64_e32 v[62:63], v[84:85], v[66:67]
	v_mul_f64_e32 v[66:67], v[86:87], v[66:67]
	v_add_f64_e32 v[4:5], v[4:5], v[110:111]
	v_add_f64_e32 v[8:9], v[104:105], v[8:9]
	v_fmac_f64_e32 v[100:101], v[54:55], v[60:61]
	v_fma_f64 v[60:61], v[52:53], v[60:61], -v[58:59]
	v_fmac_f64_e32 v[62:63], v[86:87], v[64:65]
	v_fma_f64 v[64:65], v[84:85], v[64:65], -v[66:67]
	v_add_f64_e32 v[4:5], v[4:5], v[56:57]
	v_add_f64_e32 v[8:9], v[8:9], v[112:113]
	ds_load_b128 v[52:55], v2 offset:416
	ds_load_b128 v[56:59], v2 offset:432
	s_wait_loadcnt_dscnt 0x801
	v_mul_f64_e32 v[102:103], v[52:53], v[70:71]
	v_mul_f64_e32 v[70:71], v[54:55], v[70:71]
	s_wait_loadcnt_dscnt 0x700
	v_mul_f64_e32 v[66:67], v[56:57], v[74:75]
	v_mul_f64_e32 v[74:75], v[58:59], v[74:75]
	v_add_f64_e32 v[4:5], v[4:5], v[60:61]
	v_add_f64_e32 v[8:9], v[8:9], v[100:101]
	v_fmac_f64_e32 v[102:103], v[54:55], v[68:69]
	v_fma_f64 v[68:69], v[52:53], v[68:69], -v[70:71]
	v_fmac_f64_e32 v[66:67], v[58:59], v[72:73]
	v_fma_f64 v[56:57], v[56:57], v[72:73], -v[74:75]
	v_add_f64_e32 v[4:5], v[4:5], v[64:65]
	v_add_f64_e32 v[8:9], v[8:9], v[62:63]
	ds_load_b128 v[52:55], v2 offset:448
	ds_load_b128 v[60:63], v2 offset:464
	s_wait_loadcnt_dscnt 0x601
	v_mul_f64_e32 v[64:65], v[52:53], v[78:79]
	v_mul_f64_e32 v[70:71], v[54:55], v[78:79]
	s_wait_loadcnt_dscnt 0x500
	v_mul_f64_e32 v[72:73], v[62:63], v[82:83]
	v_add_f64_e32 v[4:5], v[4:5], v[68:69]
	v_add_f64_e32 v[8:9], v[8:9], v[102:103]
	v_mul_f64_e32 v[68:69], v[60:61], v[82:83]
	v_fmac_f64_e32 v[64:65], v[54:55], v[76:77]
	v_fma_f64 v[70:71], v[52:53], v[76:77], -v[70:71]
	v_fma_f64 v[60:61], v[60:61], v[80:81], -v[72:73]
	v_add_f64_e32 v[4:5], v[4:5], v[56:57]
	v_add_f64_e32 v[8:9], v[8:9], v[66:67]
	ds_load_b128 v[52:55], v2 offset:480
	ds_load_b128 v[56:59], v2 offset:496
	v_fmac_f64_e32 v[68:69], v[62:63], v[80:81]
	s_wait_loadcnt_dscnt 0x401
	v_mul_f64_e32 v[66:67], v[52:53], v[90:91]
	v_mul_f64_e32 v[74:75], v[54:55], v[90:91]
	v_add_f64_e32 v[4:5], v[4:5], v[70:71]
	v_add_f64_e32 v[8:9], v[8:9], v[64:65]
	s_wait_loadcnt_dscnt 0x200
	v_mul_f64_e32 v[62:63], v[56:57], v[12:13]
	v_mul_f64_e32 v[12:13], v[58:59], v[12:13]
	v_fmac_f64_e32 v[66:67], v[54:55], v[88:89]
	v_fma_f64 v[64:65], v[52:53], v[88:89], -v[74:75]
	v_add_f64_e32 v[60:61], v[4:5], v[60:61]
	v_add_f64_e32 v[8:9], v[8:9], v[68:69]
	ds_load_b128 v[52:55], v2 offset:512
	ds_load_b128 v[2:5], v2 offset:528
	v_fmac_f64_e32 v[62:63], v[58:59], v[10:11]
	v_fma_f64 v[10:11], v[56:57], v[10:11], -v[12:13]
	s_wait_loadcnt_dscnt 0x101
	v_mul_f64_e32 v[68:69], v[52:53], v[50:51]
	v_mul_f64_e32 v[50:51], v[54:55], v[50:51]
	s_wait_loadcnt_dscnt 0x0
	v_mul_f64_e32 v[56:57], v[2:3], v[94:95]
	v_mul_f64_e32 v[58:59], v[4:5], v[94:95]
	v_add_f64_e32 v[12:13], v[60:61], v[64:65]
	v_add_f64_e32 v[8:9], v[8:9], v[66:67]
	v_fmac_f64_e32 v[68:69], v[54:55], v[48:49]
	v_fma_f64 v[48:49], v[52:53], v[48:49], -v[50:51]
	v_fmac_f64_e32 v[56:57], v[4:5], v[92:93]
	v_fma_f64 v[2:3], v[2:3], v[92:93], -v[58:59]
	v_add_f64_e32 v[10:11], v[12:13], v[10:11]
	v_add_f64_e32 v[8:9], v[8:9], v[62:63]
	s_delay_alu instid0(VALU_DEP_2) | instskip(NEXT) | instid1(VALU_DEP_2)
	v_add_f64_e32 v[4:5], v[10:11], v[48:49]
	v_add_f64_e32 v[8:9], v[8:9], v[68:69]
	s_delay_alu instid0(VALU_DEP_2) | instskip(NEXT) | instid1(VALU_DEP_2)
	v_add_f64_e32 v[2:3], v[4:5], v[2:3]
	v_add_f64_e32 v[4:5], v[8:9], v[56:57]
	s_delay_alu instid0(VALU_DEP_2) | instskip(NEXT) | instid1(VALU_DEP_2)
	v_add_f64_e64 v[2:3], v[96:97], -v[2:3]
	v_add_f64_e64 v[4:5], v[98:99], -v[4:5]
	scratch_store_b128 off, v[2:5], off offset:32
	s_wait_xcnt 0x0
	v_cmpx_lt_u32_e32 1, v1
	s_cbranch_execz .LBB16_113
; %bb.112:
	scratch_load_b128 v[2:5], off, s11
	v_mov_b32_e32 v8, 0
	s_delay_alu instid0(VALU_DEP_1)
	v_dual_mov_b32 v9, v8 :: v_dual_mov_b32 v10, v8
	v_mov_b32_e32 v11, v8
	scratch_store_b128 off, v[8:11], off offset:16
	s_wait_loadcnt 0x0
	ds_store_b128 v6, v[2:5]
.LBB16_113:
	s_wait_xcnt 0x0
	s_or_b32 exec_lo, exec_lo, s2
	s_wait_storecnt_dscnt 0x0
	s_barrier_signal -1
	s_barrier_wait -1
	s_clause 0x9
	scratch_load_b128 v[8:11], off, off offset:32
	scratch_load_b128 v[48:51], off, off offset:48
	;; [unrolled: 1-line block ×10, first 2 shown]
	v_mov_b32_e32 v2, 0
	s_clause 0x2
	scratch_load_b128 v[88:91], off, off offset:192
	scratch_load_b128 v[92:95], off, off offset:208
	;; [unrolled: 1-line block ×3, first 2 shown]
	s_mov_b32 s2, exec_lo
	ds_load_b128 v[84:87], v2 offset:304
	s_wait_loadcnt_dscnt 0xc00
	v_mul_f64_e32 v[4:5], v[86:87], v[10:11]
	v_mul_f64_e32 v[100:101], v[84:85], v[10:11]
	ds_load_b128 v[10:13], v2 offset:320
	v_fma_f64 v[4:5], v[84:85], v[8:9], -v[4:5]
	v_fmac_f64_e32 v[100:101], v[86:87], v[8:9]
	ds_load_b128 v[84:87], v2 offset:336
	s_wait_loadcnt_dscnt 0xb01
	v_mul_f64_e32 v[102:103], v[10:11], v[50:51]
	v_mul_f64_e32 v[50:51], v[12:13], v[50:51]
	s_wait_loadcnt_dscnt 0xa00
	v_mul_f64_e32 v[104:105], v[84:85], v[54:55]
	v_mul_f64_e32 v[54:55], v[86:87], v[54:55]
	v_add_f64_e32 v[4:5], 0, v[4:5]
	v_add_f64_e32 v[100:101], 0, v[100:101]
	v_fmac_f64_e32 v[102:103], v[12:13], v[48:49]
	v_fma_f64 v[12:13], v[10:11], v[48:49], -v[50:51]
	ds_load_b128 v[8:11], v2 offset:352
	scratch_load_b128 v[48:51], off, off offset:240
	v_fmac_f64_e32 v[104:105], v[86:87], v[52:53]
	v_fma_f64 v[108:109], v[84:85], v[52:53], -v[54:55]
	ds_load_b128 v[52:55], v2 offset:368
	s_wait_loadcnt_dscnt 0xa01
	v_mul_f64_e32 v[106:107], v[8:9], v[58:59]
	v_mul_f64_e32 v[58:59], v[10:11], v[58:59]
	scratch_load_b128 v[84:87], off, off offset:256
	v_add_f64_e32 v[4:5], v[4:5], v[12:13]
	v_add_f64_e32 v[12:13], v[100:101], v[102:103]
	s_wait_loadcnt_dscnt 0xa00
	v_mul_f64_e32 v[100:101], v[52:53], v[62:63]
	v_mul_f64_e32 v[62:63], v[54:55], v[62:63]
	v_fmac_f64_e32 v[106:107], v[10:11], v[56:57]
	v_fma_f64 v[56:57], v[8:9], v[56:57], -v[58:59]
	ds_load_b128 v[8:11], v2 offset:384
	v_add_f64_e32 v[4:5], v[4:5], v[108:109]
	v_add_f64_e32 v[12:13], v[12:13], v[104:105]
	v_fmac_f64_e32 v[100:101], v[54:55], v[60:61]
	v_fma_f64 v[60:61], v[52:53], v[60:61], -v[62:63]
	ds_load_b128 v[52:55], v2 offset:400
	s_wait_loadcnt_dscnt 0x901
	v_mul_f64_e32 v[102:103], v[8:9], v[66:67]
	v_mul_f64_e32 v[58:59], v[10:11], v[66:67]
	s_wait_loadcnt_dscnt 0x800
	v_mul_f64_e32 v[62:63], v[52:53], v[70:71]
	v_mul_f64_e32 v[66:67], v[54:55], v[70:71]
	v_add_f64_e32 v[4:5], v[4:5], v[56:57]
	v_add_f64_e32 v[12:13], v[12:13], v[106:107]
	v_fmac_f64_e32 v[102:103], v[10:11], v[64:65]
	v_fma_f64 v[64:65], v[8:9], v[64:65], -v[58:59]
	ds_load_b128 v[8:11], v2 offset:416
	scratch_load_b128 v[56:59], off, off offset:16
	v_fmac_f64_e32 v[62:63], v[54:55], v[68:69]
	v_fma_f64 v[66:67], v[52:53], v[68:69], -v[66:67]
	v_add_f64_e32 v[4:5], v[4:5], v[60:61]
	v_add_f64_e32 v[12:13], v[12:13], v[100:101]
	ds_load_b128 v[52:55], v2 offset:432
	s_wait_loadcnt_dscnt 0x801
	v_mul_f64_e32 v[60:61], v[8:9], v[74:75]
	v_mul_f64_e32 v[70:71], v[10:11], v[74:75]
	s_wait_loadcnt_dscnt 0x700
	v_mul_f64_e32 v[68:69], v[54:55], v[78:79]
	v_add_f64_e32 v[4:5], v[4:5], v[64:65]
	v_add_f64_e32 v[12:13], v[12:13], v[102:103]
	v_mul_f64_e32 v[64:65], v[52:53], v[78:79]
	v_fmac_f64_e32 v[60:61], v[10:11], v[72:73]
	v_fma_f64 v[70:71], v[8:9], v[72:73], -v[70:71]
	ds_load_b128 v[8:11], v2 offset:448
	v_fma_f64 v[68:69], v[52:53], v[76:77], -v[68:69]
	v_add_f64_e32 v[4:5], v[4:5], v[66:67]
	v_add_f64_e32 v[12:13], v[12:13], v[62:63]
	v_fmac_f64_e32 v[64:65], v[54:55], v[76:77]
	ds_load_b128 v[52:55], v2 offset:464
	s_wait_loadcnt_dscnt 0x601
	v_mul_f64_e32 v[62:63], v[8:9], v[82:83]
	v_mul_f64_e32 v[66:67], v[10:11], v[82:83]
	v_add_f64_e32 v[4:5], v[4:5], v[70:71]
	v_add_f64_e32 v[12:13], v[12:13], v[60:61]
	s_wait_loadcnt_dscnt 0x500
	v_mul_f64_e32 v[60:61], v[52:53], v[90:91]
	v_mul_f64_e32 v[70:71], v[54:55], v[90:91]
	v_fmac_f64_e32 v[62:63], v[10:11], v[80:81]
	v_fma_f64 v[66:67], v[8:9], v[80:81], -v[66:67]
	ds_load_b128 v[8:11], v2 offset:480
	v_add_f64_e32 v[4:5], v[4:5], v[68:69]
	v_add_f64_e32 v[12:13], v[12:13], v[64:65]
	v_fmac_f64_e32 v[60:61], v[54:55], v[88:89]
	v_fma_f64 v[70:71], v[52:53], v[88:89], -v[70:71]
	ds_load_b128 v[52:55], v2 offset:496
	s_wait_loadcnt_dscnt 0x401
	v_mul_f64_e32 v[64:65], v[8:9], v[94:95]
	v_mul_f64_e32 v[68:69], v[10:11], v[94:95]
	v_add_f64_e32 v[4:5], v[4:5], v[66:67]
	v_add_f64_e32 v[12:13], v[12:13], v[62:63]
	s_wait_loadcnt_dscnt 0x300
	v_mul_f64_e32 v[62:63], v[52:53], v[98:99]
	v_mul_f64_e32 v[66:67], v[54:55], v[98:99]
	v_fmac_f64_e32 v[64:65], v[10:11], v[92:93]
	v_fma_f64 v[68:69], v[8:9], v[92:93], -v[68:69]
	ds_load_b128 v[8:11], v2 offset:512
	v_add_f64_e32 v[4:5], v[4:5], v[70:71]
	v_add_f64_e32 v[12:13], v[12:13], v[60:61]
	s_wait_loadcnt_dscnt 0x200
	v_mul_f64_e32 v[60:61], v[8:9], v[50:51]
	v_mul_f64_e32 v[70:71], v[10:11], v[50:51]
	v_fmac_f64_e32 v[62:63], v[54:55], v[96:97]
	v_fma_f64 v[54:55], v[52:53], v[96:97], -v[66:67]
	ds_load_b128 v[50:53], v2 offset:528
	s_wait_loadcnt_dscnt 0x100
	v_mul_f64_e32 v[66:67], v[52:53], v[86:87]
	v_add_f64_e32 v[4:5], v[4:5], v[68:69]
	v_add_f64_e32 v[12:13], v[12:13], v[64:65]
	v_mul_f64_e32 v[64:65], v[50:51], v[86:87]
	v_fmac_f64_e32 v[60:61], v[10:11], v[48:49]
	v_fma_f64 v[8:9], v[8:9], v[48:49], -v[70:71]
	v_add_f64_e32 v[4:5], v[4:5], v[54:55]
	v_add_f64_e32 v[10:11], v[12:13], v[62:63]
	v_fmac_f64_e32 v[64:65], v[52:53], v[84:85]
	v_fma_f64 v[12:13], v[50:51], v[84:85], -v[66:67]
	s_delay_alu instid0(VALU_DEP_4) | instskip(NEXT) | instid1(VALU_DEP_4)
	v_add_f64_e32 v[4:5], v[4:5], v[8:9]
	v_add_f64_e32 v[8:9], v[10:11], v[60:61]
	s_delay_alu instid0(VALU_DEP_2) | instskip(NEXT) | instid1(VALU_DEP_2)
	v_add_f64_e32 v[4:5], v[4:5], v[12:13]
	v_add_f64_e32 v[10:11], v[8:9], v[64:65]
	s_wait_loadcnt 0x0
	s_delay_alu instid0(VALU_DEP_2) | instskip(NEXT) | instid1(VALU_DEP_2)
	v_add_f64_e64 v[8:9], v[56:57], -v[4:5]
	v_add_f64_e64 v[10:11], v[58:59], -v[10:11]
	scratch_store_b128 off, v[8:11], off offset:16
	s_wait_xcnt 0x0
	v_cmpx_ne_u32_e32 0, v1
	s_cbranch_execz .LBB16_115
; %bb.114:
	scratch_load_b128 v[8:11], off, off
	v_dual_mov_b32 v3, v2 :: v_dual_mov_b32 v4, v2
	v_mov_b32_e32 v5, v2
	scratch_store_b128 off, v[2:5], off
	s_wait_loadcnt 0x0
	ds_store_b128 v6, v[8:11]
.LBB16_115:
	s_wait_xcnt 0x0
	s_or_b32 exec_lo, exec_lo, s2
	s_wait_storecnt_dscnt 0x0
	s_barrier_signal -1
	s_barrier_wait -1
	s_clause 0x9
	scratch_load_b128 v[4:7], off, off offset:16
	scratch_load_b128 v[8:11], off, off offset:32
	;; [unrolled: 1-line block ×10, first 2 shown]
	ds_load_b128 v[80:83], v2 offset:288
	ds_load_b128 v[88:91], v2 offset:304
	s_clause 0x1
	scratch_load_b128 v[84:87], off, off offset:176
	scratch_load_b128 v[92:95], off, off
	s_and_b32 vcc_lo, exec_lo, s28
	s_wait_loadcnt_dscnt 0xb01
	v_mul_f64_e32 v[96:97], v[82:83], v[6:7]
	v_mul_f64_e32 v[98:99], v[80:81], v[6:7]
	s_wait_loadcnt_dscnt 0xa00
	v_mul_f64_e32 v[100:101], v[88:89], v[10:11]
	v_mul_f64_e32 v[102:103], v[90:91], v[10:11]
	scratch_load_b128 v[10:13], off, off offset:192
	v_fma_f64 v[96:97], v[80:81], v[4:5], -v[96:97]
	v_fmac_f64_e32 v[98:99], v[82:83], v[4:5]
	ds_load_b128 v[4:7], v2 offset:320
	ds_load_b128 v[80:83], v2 offset:336
	v_fmac_f64_e32 v[100:101], v[90:91], v[8:9]
	v_fma_f64 v[8:9], v[88:89], v[8:9], -v[102:103]
	scratch_load_b128 v[88:91], off, off offset:208
	s_wait_loadcnt_dscnt 0xb01
	v_mul_f64_e32 v[104:105], v[4:5], v[50:51]
	v_mul_f64_e32 v[50:51], v[6:7], v[50:51]
	s_wait_loadcnt_dscnt 0xa00
	v_mul_f64_e32 v[102:103], v[80:81], v[54:55]
	v_mul_f64_e32 v[54:55], v[82:83], v[54:55]
	v_add_f64_e32 v[96:97], 0, v[96:97]
	v_add_f64_e32 v[98:99], 0, v[98:99]
	v_fmac_f64_e32 v[104:105], v[6:7], v[48:49]
	v_fma_f64 v[106:107], v[4:5], v[48:49], -v[50:51]
	scratch_load_b128 v[4:7], off, off offset:224
	ds_load_b128 v[48:51], v2 offset:352
	v_fmac_f64_e32 v[102:103], v[82:83], v[52:53]
	v_fma_f64 v[108:109], v[80:81], v[52:53], -v[54:55]
	ds_load_b128 v[52:55], v2 offset:368
	scratch_load_b128 v[80:83], off, off offset:256
	v_add_f64_e32 v[8:9], v[96:97], v[8:9]
	v_add_f64_e32 v[100:101], v[98:99], v[100:101]
	scratch_load_b128 v[96:99], off, off offset:240
	s_wait_loadcnt_dscnt 0xc01
	v_mul_f64_e32 v[110:111], v[48:49], v[58:59]
	v_mul_f64_e32 v[58:59], v[50:51], v[58:59]
	v_add_f64_e32 v[8:9], v[8:9], v[106:107]
	v_add_f64_e32 v[100:101], v[100:101], v[104:105]
	s_wait_loadcnt_dscnt 0xb00
	v_mul_f64_e32 v[104:105], v[52:53], v[62:63]
	v_mul_f64_e32 v[62:63], v[54:55], v[62:63]
	v_fmac_f64_e32 v[110:111], v[50:51], v[56:57]
	v_fma_f64 v[106:107], v[48:49], v[56:57], -v[58:59]
	ds_load_b128 v[48:51], v2 offset:384
	ds_load_b128 v[56:59], v2 offset:400
	v_add_f64_e32 v[8:9], v[8:9], v[108:109]
	v_add_f64_e32 v[100:101], v[100:101], v[102:103]
	s_wait_loadcnt_dscnt 0xa01
	v_mul_f64_e32 v[102:103], v[48:49], v[66:67]
	v_fmac_f64_e32 v[104:105], v[54:55], v[60:61]
	v_fma_f64 v[52:53], v[52:53], v[60:61], -v[62:63]
	v_mul_f64_e32 v[54:55], v[50:51], v[66:67]
	s_wait_loadcnt_dscnt 0x900
	v_mul_f64_e32 v[62:63], v[56:57], v[70:71]
	v_mul_f64_e32 v[66:67], v[58:59], v[70:71]
	v_add_f64_e32 v[8:9], v[8:9], v[106:107]
	v_add_f64_e32 v[60:61], v[100:101], v[110:111]
	v_fmac_f64_e32 v[102:103], v[50:51], v[64:65]
	v_fma_f64 v[64:65], v[48:49], v[64:65], -v[54:55]
	v_fmac_f64_e32 v[62:63], v[58:59], v[68:69]
	v_fma_f64 v[56:57], v[56:57], v[68:69], -v[66:67]
	v_add_f64_e32 v[8:9], v[8:9], v[52:53]
	v_add_f64_e32 v[60:61], v[60:61], v[104:105]
	ds_load_b128 v[48:51], v2 offset:416
	ds_load_b128 v[52:55], v2 offset:432
	s_wait_loadcnt_dscnt 0x801
	v_mul_f64_e32 v[70:71], v[48:49], v[74:75]
	v_mul_f64_e32 v[74:75], v[50:51], v[74:75]
	v_add_f64_e32 v[8:9], v[8:9], v[64:65]
	v_add_f64_e32 v[58:59], v[60:61], v[102:103]
	s_wait_loadcnt_dscnt 0x700
	v_mul_f64_e32 v[60:61], v[52:53], v[78:79]
	v_mul_f64_e32 v[64:65], v[54:55], v[78:79]
	v_fmac_f64_e32 v[70:71], v[50:51], v[72:73]
	v_fma_f64 v[66:67], v[48:49], v[72:73], -v[74:75]
	v_add_f64_e32 v[8:9], v[8:9], v[56:57]
	v_add_f64_e32 v[62:63], v[58:59], v[62:63]
	ds_load_b128 v[48:51], v2 offset:448
	ds_load_b128 v[56:59], v2 offset:464
	v_fmac_f64_e32 v[60:61], v[54:55], v[76:77]
	v_fma_f64 v[52:53], v[52:53], v[76:77], -v[64:65]
	s_wait_loadcnt_dscnt 0x601
	v_mul_f64_e32 v[68:69], v[48:49], v[86:87]
	v_mul_f64_e32 v[72:73], v[50:51], v[86:87]
	v_add_f64_e32 v[8:9], v[8:9], v[66:67]
	v_add_f64_e32 v[54:55], v[62:63], v[70:71]
	s_wait_loadcnt_dscnt 0x400
	v_mul_f64_e32 v[62:63], v[56:57], v[12:13]
	v_mul_f64_e32 v[12:13], v[58:59], v[12:13]
	v_fmac_f64_e32 v[68:69], v[50:51], v[84:85]
	v_fma_f64 v[64:65], v[48:49], v[84:85], -v[72:73]
	v_add_f64_e32 v[8:9], v[8:9], v[52:53]
	v_add_f64_e32 v[60:61], v[54:55], v[60:61]
	ds_load_b128 v[48:51], v2 offset:480
	ds_load_b128 v[52:55], v2 offset:496
	v_fmac_f64_e32 v[62:63], v[58:59], v[10:11]
	v_fma_f64 v[10:11], v[56:57], v[10:11], -v[12:13]
	s_wait_loadcnt_dscnt 0x301
	v_mul_f64_e32 v[66:67], v[48:49], v[90:91]
	v_mul_f64_e32 v[70:71], v[50:51], v[90:91]
	v_add_f64_e32 v[8:9], v[8:9], v[64:65]
	v_add_f64_e32 v[12:13], v[60:61], v[68:69]
	s_delay_alu instid0(VALU_DEP_4) | instskip(NEXT) | instid1(VALU_DEP_4)
	v_fmac_f64_e32 v[66:67], v[50:51], v[88:89]
	v_fma_f64 v[48:49], v[48:49], v[88:89], -v[70:71]
	s_wait_loadcnt_dscnt 0x200
	v_mul_f64_e32 v[56:57], v[52:53], v[6:7]
	v_mul_f64_e32 v[58:59], v[54:55], v[6:7]
	v_add_f64_e32 v[50:51], v[8:9], v[10:11]
	v_add_f64_e32 v[60:61], v[12:13], v[62:63]
	ds_load_b128 v[6:9], v2 offset:512
	ds_load_b128 v[10:13], v2 offset:528
	s_wait_loadcnt_dscnt 0x1
	v_mul_f64_e32 v[2:3], v[6:7], v[98:99]
	v_mul_f64_e32 v[62:63], v[8:9], v[98:99]
	v_fmac_f64_e32 v[56:57], v[54:55], v[4:5]
	v_fma_f64 v[4:5], v[52:53], v[4:5], -v[58:59]
	s_wait_dscnt 0x0
	v_mul_f64_e32 v[52:53], v[10:11], v[82:83]
	v_mul_f64_e32 v[54:55], v[12:13], v[82:83]
	v_add_f64_e32 v[48:49], v[50:51], v[48:49]
	v_add_f64_e32 v[50:51], v[60:61], v[66:67]
	v_fmac_f64_e32 v[2:3], v[8:9], v[96:97]
	v_fma_f64 v[6:7], v[6:7], v[96:97], -v[62:63]
	v_fmac_f64_e32 v[52:53], v[12:13], v[80:81]
	v_fma_f64 v[10:11], v[10:11], v[80:81], -v[54:55]
	v_lshl_add_u64 v[12:13], v[28:29], 4, s[4:5]
	v_lshl_add_u64 v[28:29], v[40:41], 4, s[4:5]
	v_add_f64_e32 v[4:5], v[48:49], v[4:5]
	v_add_f64_e32 v[8:9], v[50:51], v[56:57]
	s_delay_alu instid0(VALU_DEP_2) | instskip(NEXT) | instid1(VALU_DEP_2)
	v_add_f64_e32 v[4:5], v[4:5], v[6:7]
	v_add_f64_e32 v[2:3], v[8:9], v[2:3]
	v_lshl_add_u64 v[6:7], v[22:23], 4, s[4:5]
	v_lshl_add_u64 v[8:9], v[24:25], 4, s[4:5]
	v_lshl_add_u64 v[22:23], v[34:35], 4, s[4:5]
	v_lshl_add_u64 v[24:25], v[36:37], 4, s[4:5]
	v_lshl_add_u64 v[34:35], v[46:47], 4, s[4:5]
	v_add_f64_e32 v[4:5], v[4:5], v[10:11]
	v_add_f64_e32 v[2:3], v[2:3], v[52:53]
	v_lshl_add_u64 v[10:11], v[26:27], 4, s[4:5]
	v_lshl_add_u64 v[26:27], v[38:39], 4, s[4:5]
	s_delay_alu instid0(VALU_DEP_4) | instskip(NEXT) | instid1(VALU_DEP_4)
	v_add_f64_e64 v[48:49], v[92:93], -v[4:5]
	v_add_f64_e64 v[50:51], v[94:95], -v[2:3]
	v_lshl_add_u64 v[2:3], v[18:19], 4, s[4:5]
	v_lshl_add_u64 v[4:5], v[20:21], 4, s[4:5]
	;; [unrolled: 1-line block ×6, first 2 shown]
	scratch_store_b128 off, v[48:51], off
	s_cbranch_vccz .LBB16_148
; %bb.116:
	v_mov_b32_e32 v36, 0
	s_load_b64 s[2:3], s[0:1], 0x4
	v_bfe_u32 v38, v0, 10, 10
	v_bfe_u32 v0, v0, 20, 10
	global_load_b32 v37, v36, s[16:17] offset:60
	s_wait_kmcnt 0x0
	s_lshr_b32 s0, s2, 16
	v_mul_u32_u24_e32 v38, s3, v38
	s_mul_i32 s0, s0, s3
	s_delay_alu instid0(SALU_CYCLE_1) | instskip(NEXT) | instid1(VALU_DEP_1)
	v_mul_u32_u24_e32 v1, s0, v1
	v_add3_u32 v0, v1, v38, v0
	s_delay_alu instid0(VALU_DEP_1)
	v_lshl_add_u32 v0, v0, 4, 0x228
	s_wait_loadcnt 0x0
	v_cmp_ne_u32_e32 vcc_lo, 16, v37
	s_cbranch_vccz .LBB16_118
; %bb.117:
	v_lshlrev_b32_e32 v1, 4, v37
	s_clause 0x1
	scratch_load_b128 v[38:41], off, s24
	scratch_load_b128 v[42:45], v1, off offset:-16
	s_wait_loadcnt 0x1
	ds_store_2addr_b64 v0, v[38:39], v[40:41] offset1:1
	s_wait_loadcnt 0x0
	s_clause 0x1
	scratch_store_b128 off, v[42:45], s24
	scratch_store_b128 v1, v[38:41], off offset:-16
.LBB16_118:
	global_load_b32 v1, v36, s[16:17] offset:56
	s_wait_loadcnt 0x0
	v_cmp_eq_u32_e32 vcc_lo, 15, v1
	s_cbranch_vccnz .LBB16_120
; %bb.119:
	v_lshlrev_b32_e32 v1, 4, v1
	s_clause 0x1
	scratch_load_b128 v[36:39], off, s27
	scratch_load_b128 v[40:43], v1, off offset:-16
	s_wait_loadcnt 0x1
	ds_store_2addr_b64 v0, v[36:37], v[38:39] offset1:1
	s_wait_loadcnt 0x0
	s_clause 0x1
	scratch_store_b128 off, v[40:43], s27
	scratch_store_b128 v1, v[36:39], off offset:-16
.LBB16_120:
	s_wait_xcnt 0x0
	v_mov_b32_e32 v1, 0
	global_load_b32 v36, v1, s[16:17] offset:52
	s_wait_loadcnt 0x0
	v_cmp_eq_u32_e32 vcc_lo, 14, v36
	s_cbranch_vccnz .LBB16_122
; %bb.121:
	v_lshlrev_b32_e32 v36, 4, v36
	s_delay_alu instid0(VALU_DEP_1)
	v_mov_b32_e32 v44, v36
	s_clause 0x1
	scratch_load_b128 v[36:39], off, s26
	scratch_load_b128 v[40:43], v44, off offset:-16
	s_wait_loadcnt 0x1
	ds_store_2addr_b64 v0, v[36:37], v[38:39] offset1:1
	s_wait_loadcnt 0x0
	s_clause 0x1
	scratch_store_b128 off, v[40:43], s26
	scratch_store_b128 v44, v[36:39], off offset:-16
.LBB16_122:
	global_load_b32 v1, v1, s[16:17] offset:48
	s_wait_loadcnt 0x0
	v_cmp_eq_u32_e32 vcc_lo, 13, v1
	s_cbranch_vccnz .LBB16_124
; %bb.123:
	s_wait_xcnt 0x0
	v_lshlrev_b32_e32 v1, 4, v1
	s_clause 0x1
	scratch_load_b128 v[36:39], off, s23
	scratch_load_b128 v[40:43], v1, off offset:-16
	s_wait_loadcnt 0x1
	ds_store_2addr_b64 v0, v[36:37], v[38:39] offset1:1
	s_wait_loadcnt 0x0
	s_clause 0x1
	scratch_store_b128 off, v[40:43], s23
	scratch_store_b128 v1, v[36:39], off offset:-16
.LBB16_124:
	s_wait_xcnt 0x0
	v_mov_b32_e32 v1, 0
	global_load_b32 v36, v1, s[16:17] offset:44
	s_wait_loadcnt 0x0
	v_cmp_eq_u32_e32 vcc_lo, 12, v36
	s_cbranch_vccnz .LBB16_126
; %bb.125:
	v_lshlrev_b32_e32 v36, 4, v36
	s_delay_alu instid0(VALU_DEP_1)
	v_mov_b32_e32 v44, v36
	s_clause 0x1
	scratch_load_b128 v[36:39], off, s22
	scratch_load_b128 v[40:43], v44, off offset:-16
	s_wait_loadcnt 0x1
	ds_store_2addr_b64 v0, v[36:37], v[38:39] offset1:1
	s_wait_loadcnt 0x0
	s_clause 0x1
	scratch_store_b128 off, v[40:43], s22
	scratch_store_b128 v44, v[36:39], off offset:-16
.LBB16_126:
	global_load_b32 v1, v1, s[16:17] offset:40
	s_wait_loadcnt 0x0
	v_cmp_eq_u32_e32 vcc_lo, 11, v1
	s_cbranch_vccnz .LBB16_128
; %bb.127:
	s_wait_xcnt 0x0
	v_lshlrev_b32_e32 v1, 4, v1
	s_clause 0x1
	scratch_load_b128 v[36:39], off, s21
	scratch_load_b128 v[40:43], v1, off offset:-16
	s_wait_loadcnt 0x1
	ds_store_2addr_b64 v0, v[36:37], v[38:39] offset1:1
	s_wait_loadcnt 0x0
	s_clause 0x1
	scratch_store_b128 off, v[40:43], s21
	scratch_store_b128 v1, v[36:39], off offset:-16
.LBB16_128:
	;; [unrolled: 37-line block ×6, first 2 shown]
	s_wait_xcnt 0x0
	v_mov_b32_e32 v1, 0
	global_load_b32 v36, v1, s[16:17] offset:4
	s_wait_loadcnt 0x0
	v_cmp_eq_u32_e32 vcc_lo, 2, v36
	s_cbranch_vccnz .LBB16_146
; %bb.145:
	v_lshlrev_b32_e32 v36, 4, v36
	s_delay_alu instid0(VALU_DEP_1)
	v_mov_b32_e32 v44, v36
	s_clause 0x1
	scratch_load_b128 v[36:39], off, s11
	scratch_load_b128 v[40:43], v44, off offset:-16
	s_wait_loadcnt 0x1
	ds_store_2addr_b64 v0, v[36:37], v[38:39] offset1:1
	s_wait_loadcnt 0x0
	s_clause 0x1
	scratch_store_b128 off, v[40:43], s11
	scratch_store_b128 v44, v[36:39], off offset:-16
.LBB16_146:
	global_load_b32 v1, v1, s[16:17]
	s_wait_loadcnt 0x0
	v_cmp_eq_u32_e32 vcc_lo, 1, v1
	s_cbranch_vccnz .LBB16_148
; %bb.147:
	s_wait_xcnt 0x0
	v_lshlrev_b32_e32 v1, 4, v1
	scratch_load_b128 v[36:39], off, off
	scratch_load_b128 v[40:43], v1, off offset:-16
	s_wait_loadcnt 0x1
	ds_store_2addr_b64 v0, v[36:37], v[38:39] offset1:1
	s_wait_loadcnt 0x0
	scratch_store_b128 off, v[40:43], off
	scratch_store_b128 v1, v[36:39], off offset:-16
.LBB16_148:
	scratch_load_b128 v[36:39], off, off
	s_clause 0xf
	scratch_load_b128 v[40:43], off, s11
	scratch_load_b128 v[44:47], off, s8
	;; [unrolled: 1-line block ×15, first 2 shown]
	; meta instruction
	; meta instruction
	;; [unrolled: 1-line block ×15, first 2 shown]
	scratch_load_b128 v[100:103], off, s25
	s_wait_loadcnt 0x10
	global_store_b128 v[14:15], v[36:39], off
	s_wait_loadcnt 0xf
	global_store_b128 v[16:17], v[40:43], off
	;; [unrolled: 2-line block ×17, first 2 shown]
	s_sendmsg sendmsg(MSG_DEALLOC_VGPRS)
	s_endpgm
	.section	.rodata,"a",@progbits
	.p2align	6, 0x0
	.amdhsa_kernel _ZN9rocsolver6v33100L18getri_kernel_smallILi17E19rocblas_complex_numIdEPS3_EEvT1_iilPiilS6_bb
		.amdhsa_group_segment_fixed_size 1576
		.amdhsa_private_segment_fixed_size 288
		.amdhsa_kernarg_size 60
		.amdhsa_user_sgpr_count 4
		.amdhsa_user_sgpr_dispatch_ptr 1
		.amdhsa_user_sgpr_queue_ptr 0
		.amdhsa_user_sgpr_kernarg_segment_ptr 1
		.amdhsa_user_sgpr_dispatch_id 0
		.amdhsa_user_sgpr_kernarg_preload_length 0
		.amdhsa_user_sgpr_kernarg_preload_offset 0
		.amdhsa_user_sgpr_private_segment_size 0
		.amdhsa_wavefront_size32 1
		.amdhsa_uses_dynamic_stack 0
		.amdhsa_enable_private_segment 1
		.amdhsa_system_sgpr_workgroup_id_x 1
		.amdhsa_system_sgpr_workgroup_id_y 0
		.amdhsa_system_sgpr_workgroup_id_z 0
		.amdhsa_system_sgpr_workgroup_info 0
		.amdhsa_system_vgpr_workitem_id 2
		.amdhsa_next_free_vgpr 114
		.amdhsa_next_free_sgpr 32
		.amdhsa_named_barrier_count 0
		.amdhsa_reserve_vcc 1
		.amdhsa_float_round_mode_32 0
		.amdhsa_float_round_mode_16_64 0
		.amdhsa_float_denorm_mode_32 3
		.amdhsa_float_denorm_mode_16_64 3
		.amdhsa_fp16_overflow 0
		.amdhsa_memory_ordered 1
		.amdhsa_forward_progress 1
		.amdhsa_inst_pref_size 141
		.amdhsa_round_robin_scheduling 0
		.amdhsa_exception_fp_ieee_invalid_op 0
		.amdhsa_exception_fp_denorm_src 0
		.amdhsa_exception_fp_ieee_div_zero 0
		.amdhsa_exception_fp_ieee_overflow 0
		.amdhsa_exception_fp_ieee_underflow 0
		.amdhsa_exception_fp_ieee_inexact 0
		.amdhsa_exception_int_div_zero 0
	.end_amdhsa_kernel
	.section	.text._ZN9rocsolver6v33100L18getri_kernel_smallILi17E19rocblas_complex_numIdEPS3_EEvT1_iilPiilS6_bb,"axG",@progbits,_ZN9rocsolver6v33100L18getri_kernel_smallILi17E19rocblas_complex_numIdEPS3_EEvT1_iilPiilS6_bb,comdat
.Lfunc_end16:
	.size	_ZN9rocsolver6v33100L18getri_kernel_smallILi17E19rocblas_complex_numIdEPS3_EEvT1_iilPiilS6_bb, .Lfunc_end16-_ZN9rocsolver6v33100L18getri_kernel_smallILi17E19rocblas_complex_numIdEPS3_EEvT1_iilPiilS6_bb
                                        ; -- End function
	.set _ZN9rocsolver6v33100L18getri_kernel_smallILi17E19rocblas_complex_numIdEPS3_EEvT1_iilPiilS6_bb.num_vgpr, 114
	.set _ZN9rocsolver6v33100L18getri_kernel_smallILi17E19rocblas_complex_numIdEPS3_EEvT1_iilPiilS6_bb.num_agpr, 0
	.set _ZN9rocsolver6v33100L18getri_kernel_smallILi17E19rocblas_complex_numIdEPS3_EEvT1_iilPiilS6_bb.numbered_sgpr, 32
	.set _ZN9rocsolver6v33100L18getri_kernel_smallILi17E19rocblas_complex_numIdEPS3_EEvT1_iilPiilS6_bb.num_named_barrier, 0
	.set _ZN9rocsolver6v33100L18getri_kernel_smallILi17E19rocblas_complex_numIdEPS3_EEvT1_iilPiilS6_bb.private_seg_size, 288
	.set _ZN9rocsolver6v33100L18getri_kernel_smallILi17E19rocblas_complex_numIdEPS3_EEvT1_iilPiilS6_bb.uses_vcc, 1
	.set _ZN9rocsolver6v33100L18getri_kernel_smallILi17E19rocblas_complex_numIdEPS3_EEvT1_iilPiilS6_bb.uses_flat_scratch, 1
	.set _ZN9rocsolver6v33100L18getri_kernel_smallILi17E19rocblas_complex_numIdEPS3_EEvT1_iilPiilS6_bb.has_dyn_sized_stack, 0
	.set _ZN9rocsolver6v33100L18getri_kernel_smallILi17E19rocblas_complex_numIdEPS3_EEvT1_iilPiilS6_bb.has_recursion, 0
	.set _ZN9rocsolver6v33100L18getri_kernel_smallILi17E19rocblas_complex_numIdEPS3_EEvT1_iilPiilS6_bb.has_indirect_call, 0
	.section	.AMDGPU.csdata,"",@progbits
; Kernel info:
; codeLenInByte = 18008
; TotalNumSgprs: 34
; NumVgprs: 114
; ScratchSize: 288
; MemoryBound: 0
; FloatMode: 240
; IeeeMode: 1
; LDSByteSize: 1576 bytes/workgroup (compile time only)
; SGPRBlocks: 0
; VGPRBlocks: 7
; NumSGPRsForWavesPerEU: 34
; NumVGPRsForWavesPerEU: 114
; NamedBarCnt: 0
; Occupancy: 8
; WaveLimiterHint : 1
; COMPUTE_PGM_RSRC2:SCRATCH_EN: 1
; COMPUTE_PGM_RSRC2:USER_SGPR: 4
; COMPUTE_PGM_RSRC2:TRAP_HANDLER: 0
; COMPUTE_PGM_RSRC2:TGID_X_EN: 1
; COMPUTE_PGM_RSRC2:TGID_Y_EN: 0
; COMPUTE_PGM_RSRC2:TGID_Z_EN: 0
; COMPUTE_PGM_RSRC2:TIDIG_COMP_CNT: 2
	.section	.text._ZN9rocsolver6v33100L18getri_kernel_smallILi18E19rocblas_complex_numIdEPS3_EEvT1_iilPiilS6_bb,"axG",@progbits,_ZN9rocsolver6v33100L18getri_kernel_smallILi18E19rocblas_complex_numIdEPS3_EEvT1_iilPiilS6_bb,comdat
	.globl	_ZN9rocsolver6v33100L18getri_kernel_smallILi18E19rocblas_complex_numIdEPS3_EEvT1_iilPiilS6_bb ; -- Begin function _ZN9rocsolver6v33100L18getri_kernel_smallILi18E19rocblas_complex_numIdEPS3_EEvT1_iilPiilS6_bb
	.p2align	8
	.type	_ZN9rocsolver6v33100L18getri_kernel_smallILi18E19rocblas_complex_numIdEPS3_EEvT1_iilPiilS6_bb,@function
_ZN9rocsolver6v33100L18getri_kernel_smallILi18E19rocblas_complex_numIdEPS3_EEvT1_iilPiilS6_bb: ; @_ZN9rocsolver6v33100L18getri_kernel_smallILi18E19rocblas_complex_numIdEPS3_EEvT1_iilPiilS6_bb
; %bb.0:
	v_and_b32_e32 v1, 0x3ff, v0
	s_mov_b32 s4, exec_lo
	s_delay_alu instid0(VALU_DEP_1)
	v_cmpx_gt_u32_e32 18, v1
	s_cbranch_execz .LBB17_86
; %bb.1:
	s_clause 0x2
	s_load_b32 s8, s[2:3], 0x38
	s_load_b128 s[12:15], s[2:3], 0x10
	s_load_b128 s[4:7], s[2:3], 0x28
	s_getreg_b32 s11, hwreg(HW_REG_IB_STS2, 6, 4)
                                        ; implicit-def: $sgpr16_sgpr17
	s_wait_kmcnt 0x0
	s_bitcmp1_b32 s8, 8
	s_cselect_b32 s29, -1, 0
	s_bfe_u32 s9, ttmp6, 0x4000c
	s_and_b32 s10, ttmp6, 15
	s_add_co_i32 s9, s9, 1
	s_delay_alu instid0(SALU_CYCLE_1) | instskip(NEXT) | instid1(SALU_CYCLE_1)
	s_mul_i32 s9, ttmp9, s9
	s_add_co_i32 s10, s10, s9
	s_cmp_eq_u32 s11, 0
	s_cselect_b32 s18, ttmp9, s10
	s_bfe_u32 s8, s8, 0x10008
	s_ashr_i32 s19, s18, 31
	s_cmp_eq_u32 s8, 0
	s_cbranch_scc1 .LBB17_3
; %bb.2:
	s_load_b32 s8, s[2:3], 0x20
	s_mul_u64 s[4:5], s[4:5], s[18:19]
	s_delay_alu instid0(SALU_CYCLE_1) | instskip(NEXT) | instid1(SALU_CYCLE_1)
	s_lshl_b64 s[4:5], s[4:5], 2
	s_add_nc_u64 s[4:5], s[14:15], s[4:5]
	s_wait_kmcnt 0x0
	s_ashr_i32 s9, s8, 31
	s_delay_alu instid0(SALU_CYCLE_1) | instskip(NEXT) | instid1(SALU_CYCLE_1)
	s_lshl_b64 s[8:9], s[8:9], 2
	s_add_nc_u64 s[16:17], s[4:5], s[8:9]
.LBB17_3:
	s_clause 0x1
	s_load_b128 s[8:11], s[2:3], 0x0
	s_load_b32 s30, s[2:3], 0x38
	s_mul_u64 s[4:5], s[12:13], s[18:19]
	s_movk_i32 s14, 0x80
	s_wait_xcnt 0x0
	s_lshl_b64 s[2:3], s[4:5], 4
	s_movk_i32 s13, 0x50
	s_movk_i32 s15, 0x60
	;; [unrolled: 1-line block ×3, first 2 shown]
	s_mov_b32 s12, s14
	s_movk_i32 s20, 0xa0
	s_movk_i32 s22, 0xb0
	;; [unrolled: 1-line block ×8, first 2 shown]
	v_dual_mov_b32 v51, 0 :: v_dual_lshlrev_b32 v50, 4, v1
	s_wait_kmcnt 0x0
	s_ashr_i32 s5, s10, 31
	s_mov_b32 s4, s10
	v_add3_u32 v18, s11, s11, v1
	s_add_nc_u64 s[2:3], s[8:9], s[2:3]
	s_lshl_b64 s[4:5], s[4:5], 4
	s_mov_b32 s8, 32
	s_add_nc_u64 s[4:5], s[2:3], s[4:5]
	v_add_nc_u32_e32 v20, s11, v18
	global_load_b128 v[2:5], v18, s[4:5] scale_offset
	s_ashr_i32 s3, s11, 31
	s_mov_b32 s2, s11
	s_mov_b32 s9, 48
	v_add_nc_u32_e32 v22, s11, v20
	s_mov_b32 s10, 64
	s_bitcmp0_b32 s30, 0
	v_add_nc_u64_e32 v[14:15], s[4:5], v[50:51]
	s_delay_alu instid0(VALU_DEP_2) | instskip(NEXT) | instid1(VALU_DEP_1)
	v_add_nc_u32_e32 v24, s11, v22
	v_add_nc_u32_e32 v26, s11, v24
	global_load_b128 v[6:9], v20, s[4:5] scale_offset
	v_lshl_add_u64 v[16:17], s[2:3], 4, v[14:15]
	s_movk_i32 s2, 0x90
	s_mov_b32 s3, -1
	v_add_nc_u32_e32 v28, s11, v26
	s_mov_b32 s14, s2
	s_clause 0x3
	global_load_b128 v[10:13], v1, s[4:5] scale_offset
	global_load_b128 v[52:55], v[16:17], off
	global_load_b128 v[56:59], v22, s[4:5] scale_offset
	global_load_b128 v[60:63], v24, s[4:5] scale_offset
	v_add_nc_u32_e32 v30, s11, v28
	s_delay_alu instid0(VALU_DEP_1) | instskip(NEXT) | instid1(VALU_DEP_1)
	v_add_nc_u32_e32 v32, s11, v30
	v_add_nc_u32_e32 v34, s11, v32
	s_delay_alu instid0(VALU_DEP_1) | instskip(NEXT) | instid1(VALU_DEP_1)
	v_add_nc_u32_e32 v36, s11, v34
	v_add_nc_u32_e32 v38, s11, v36
	s_clause 0x5
	global_load_b128 v[64:67], v26, s[4:5] scale_offset
	global_load_b128 v[68:71], v28, s[4:5] scale_offset
	;; [unrolled: 1-line block ×6, first 2 shown]
	v_add_nc_u32_e32 v40, s11, v38
	s_delay_alu instid0(VALU_DEP_1) | instskip(NEXT) | instid1(VALU_DEP_1)
	v_add_nc_u32_e32 v42, s11, v40
	v_add_nc_u32_e32 v44, s11, v42
	s_delay_alu instid0(VALU_DEP_1)
	v_add_nc_u32_e32 v46, s11, v44
	s_clause 0x1
	global_load_b128 v[88:91], v38, s[4:5] scale_offset
	global_load_b128 v[92:95], v40, s[4:5] scale_offset
	v_add_nc_u32_e32 v48, s11, v46
	s_clause 0x1
	global_load_b128 v[96:99], v42, s[4:5] scale_offset
	global_load_b128 v[100:103], v44, s[4:5] scale_offset
	s_mov_b32 s11, 16
	s_wait_loadcnt 0xf
	scratch_store_b128 off, v[2:5], off offset:32
	s_clause 0x1
	global_load_b128 v[2:5], v46, s[4:5] scale_offset
	global_load_b128 v[104:107], v48, s[4:5] scale_offset
	s_wait_loadcnt 0x10
	scratch_store_b128 off, v[6:9], off offset:48
	s_wait_loadcnt 0xf
	scratch_store_b128 off, v[10:13], off
	s_wait_loadcnt 0xe
	scratch_store_b128 off, v[52:55], off offset:16
	s_wait_loadcnt 0xd
	scratch_store_b128 off, v[56:59], off offset:64
	s_wait_loadcnt 0xc
	scratch_store_b128 off, v[60:63], off offset:80
	s_wait_loadcnt 0xb
	scratch_store_b128 off, v[64:67], off offset:96
	s_wait_loadcnt 0xa
	scratch_store_b128 off, v[68:71], off offset:112
	s_wait_loadcnt 0x9
	scratch_store_b128 off, v[72:75], off offset:128
	s_wait_loadcnt 0x8
	scratch_store_b128 off, v[76:79], off offset:144
	s_wait_loadcnt 0x7
	scratch_store_b128 off, v[80:83], off offset:160
	s_wait_loadcnt 0x6
	scratch_store_b128 off, v[84:87], off offset:176
	s_wait_loadcnt 0x5
	scratch_store_b128 off, v[88:91], off offset:192
	s_wait_loadcnt 0x4
	scratch_store_b128 off, v[92:95], off offset:208
	s_wait_loadcnt 0x3
	scratch_store_b128 off, v[96:99], off offset:224
	s_wait_loadcnt 0x2
	scratch_store_b128 off, v[100:103], off offset:240
	s_wait_loadcnt 0x1
	scratch_store_b128 off, v[2:5], off offset:256
	s_wait_loadcnt 0x0
	scratch_store_b128 off, v[104:107], off offset:272
	s_cbranch_scc1 .LBB17_84
; %bb.4:
	v_cmp_eq_u32_e64 s2, 0, v1
	s_wait_xcnt 0x0
	s_and_saveexec_b32 s3, s2
; %bb.5:
	v_mov_b32_e32 v2, 0
	ds_store_b32 v2, v2 offset:576
; %bb.6:
	s_or_b32 exec_lo, exec_lo, s3
	s_wait_storecnt_dscnt 0x0
	s_barrier_signal -1
	s_barrier_wait -1
	scratch_load_b128 v[2:5], v1, off scale_offset
	s_wait_loadcnt 0x0
	v_cmp_eq_f64_e32 vcc_lo, 0, v[2:3]
	v_cmp_eq_f64_e64 s3, 0, v[4:5]
	s_and_b32 s3, vcc_lo, s3
	s_delay_alu instid0(SALU_CYCLE_1)
	s_and_saveexec_b32 s30, s3
	s_cbranch_execz .LBB17_10
; %bb.7:
	v_mov_b32_e32 v2, 0
	s_mov_b32 s31, 0
	ds_load_b32 v3, v2 offset:576
	s_wait_dscnt 0x0
	v_readfirstlane_b32 s3, v3
	v_add_nc_u32_e32 v3, 1, v1
	s_cmp_eq_u32 s3, 0
	s_delay_alu instid0(VALU_DEP_1) | instskip(SKIP_1) | instid1(SALU_CYCLE_1)
	v_cmp_gt_i32_e32 vcc_lo, s3, v3
	s_cselect_b32 s33, -1, 0
	s_or_b32 s33, s33, vcc_lo
	s_delay_alu instid0(SALU_CYCLE_1)
	s_and_b32 exec_lo, exec_lo, s33
	s_cbranch_execz .LBB17_10
; %bb.8:
	v_mov_b32_e32 v4, s3
.LBB17_9:                               ; =>This Inner Loop Header: Depth=1
	ds_cmpstore_rtn_b32 v4, v2, v3, v4 offset:576
	s_wait_dscnt 0x0
	v_cmp_ne_u32_e32 vcc_lo, 0, v4
	v_cmp_le_i32_e64 s3, v4, v3
	s_and_b32 s3, vcc_lo, s3
	s_delay_alu instid0(SALU_CYCLE_1) | instskip(NEXT) | instid1(SALU_CYCLE_1)
	s_and_b32 s3, exec_lo, s3
	s_or_b32 s31, s3, s31
	s_delay_alu instid0(SALU_CYCLE_1)
	s_and_not1_b32 exec_lo, exec_lo, s31
	s_cbranch_execnz .LBB17_9
.LBB17_10:
	s_or_b32 exec_lo, exec_lo, s30
	v_mov_b32_e32 v2, 0
	s_barrier_signal -1
	s_barrier_wait -1
	ds_load_b32 v3, v2 offset:576
	s_and_saveexec_b32 s3, s2
	s_cbranch_execz .LBB17_12
; %bb.11:
	s_lshl_b64 s[30:31], s[18:19], 2
	s_delay_alu instid0(SALU_CYCLE_1)
	s_add_nc_u64 s[30:31], s[6:7], s[30:31]
	s_wait_dscnt 0x0
	global_store_b32 v2, v3, s[30:31]
.LBB17_12:
	s_wait_xcnt 0x0
	s_or_b32 exec_lo, exec_lo, s3
	s_wait_dscnt 0x0
	v_cmp_ne_u32_e32 vcc_lo, 0, v3
	s_mov_b32 s3, 0
	s_cbranch_vccnz .LBB17_84
; %bb.13:
	v_lshl_add_u32 v19, v1, 4, 0
                                        ; implicit-def: $vgpr6_vgpr7
                                        ; implicit-def: $vgpr10_vgpr11
	scratch_load_b128 v[2:5], v19, off
	s_wait_loadcnt 0x0
	v_cmp_ngt_f64_e64 s3, |v[2:3]|, |v[4:5]|
	s_wait_xcnt 0x0
	s_and_saveexec_b32 s30, s3
	s_delay_alu instid0(SALU_CYCLE_1)
	s_xor_b32 s3, exec_lo, s30
	s_cbranch_execz .LBB17_15
; %bb.14:
	v_div_scale_f64 v[6:7], null, v[4:5], v[4:5], v[2:3]
	v_div_scale_f64 v[12:13], vcc_lo, v[2:3], v[4:5], v[2:3]
	s_delay_alu instid0(VALU_DEP_2) | instskip(SKIP_1) | instid1(TRANS32_DEP_1)
	v_rcp_f64_e32 v[8:9], v[6:7]
	v_nop
	v_fma_f64 v[10:11], -v[6:7], v[8:9], 1.0
	s_delay_alu instid0(VALU_DEP_1) | instskip(NEXT) | instid1(VALU_DEP_1)
	v_fmac_f64_e32 v[8:9], v[8:9], v[10:11]
	v_fma_f64 v[10:11], -v[6:7], v[8:9], 1.0
	s_delay_alu instid0(VALU_DEP_1) | instskip(NEXT) | instid1(VALU_DEP_1)
	v_fmac_f64_e32 v[8:9], v[8:9], v[10:11]
	v_mul_f64_e32 v[10:11], v[12:13], v[8:9]
	s_delay_alu instid0(VALU_DEP_1) | instskip(NEXT) | instid1(VALU_DEP_1)
	v_fma_f64 v[6:7], -v[6:7], v[10:11], v[12:13]
	v_div_fmas_f64 v[6:7], v[6:7], v[8:9], v[10:11]
	s_delay_alu instid0(VALU_DEP_1) | instskip(NEXT) | instid1(VALU_DEP_1)
	v_div_fixup_f64 v[6:7], v[6:7], v[4:5], v[2:3]
	v_fmac_f64_e32 v[4:5], v[2:3], v[6:7]
	s_delay_alu instid0(VALU_DEP_1) | instskip(SKIP_1) | instid1(VALU_DEP_2)
	v_div_scale_f64 v[2:3], null, v[4:5], v[4:5], 1.0
	v_div_scale_f64 v[12:13], vcc_lo, 1.0, v[4:5], 1.0
	v_rcp_f64_e32 v[8:9], v[2:3]
	v_nop
	s_delay_alu instid0(TRANS32_DEP_1) | instskip(NEXT) | instid1(VALU_DEP_1)
	v_fma_f64 v[10:11], -v[2:3], v[8:9], 1.0
	v_fmac_f64_e32 v[8:9], v[8:9], v[10:11]
	s_delay_alu instid0(VALU_DEP_1) | instskip(NEXT) | instid1(VALU_DEP_1)
	v_fma_f64 v[10:11], -v[2:3], v[8:9], 1.0
	v_fmac_f64_e32 v[8:9], v[8:9], v[10:11]
	s_delay_alu instid0(VALU_DEP_1) | instskip(NEXT) | instid1(VALU_DEP_1)
	v_mul_f64_e32 v[10:11], v[12:13], v[8:9]
	v_fma_f64 v[2:3], -v[2:3], v[10:11], v[12:13]
	s_delay_alu instid0(VALU_DEP_1) | instskip(NEXT) | instid1(VALU_DEP_1)
	v_div_fmas_f64 v[2:3], v[2:3], v[8:9], v[10:11]
	v_div_fixup_f64 v[8:9], v[2:3], v[4:5], 1.0
                                        ; implicit-def: $vgpr2_vgpr3
	s_delay_alu instid0(VALU_DEP_1) | instskip(SKIP_1) | instid1(VALU_DEP_2)
	v_mul_f64_e32 v[6:7], v[6:7], v[8:9]
	v_xor_b32_e32 v9, 0x80000000, v9
	v_xor_b32_e32 v11, 0x80000000, v7
	s_delay_alu instid0(VALU_DEP_3)
	v_mov_b32_e32 v10, v6
.LBB17_15:
	s_and_not1_saveexec_b32 s3, s3
	s_cbranch_execz .LBB17_17
; %bb.16:
	v_div_scale_f64 v[6:7], null, v[2:3], v[2:3], v[4:5]
	v_div_scale_f64 v[12:13], vcc_lo, v[4:5], v[2:3], v[4:5]
	s_delay_alu instid0(VALU_DEP_2) | instskip(SKIP_1) | instid1(TRANS32_DEP_1)
	v_rcp_f64_e32 v[8:9], v[6:7]
	v_nop
	v_fma_f64 v[10:11], -v[6:7], v[8:9], 1.0
	s_delay_alu instid0(VALU_DEP_1) | instskip(NEXT) | instid1(VALU_DEP_1)
	v_fmac_f64_e32 v[8:9], v[8:9], v[10:11]
	v_fma_f64 v[10:11], -v[6:7], v[8:9], 1.0
	s_delay_alu instid0(VALU_DEP_1) | instskip(NEXT) | instid1(VALU_DEP_1)
	v_fmac_f64_e32 v[8:9], v[8:9], v[10:11]
	v_mul_f64_e32 v[10:11], v[12:13], v[8:9]
	s_delay_alu instid0(VALU_DEP_1) | instskip(NEXT) | instid1(VALU_DEP_1)
	v_fma_f64 v[6:7], -v[6:7], v[10:11], v[12:13]
	v_div_fmas_f64 v[6:7], v[6:7], v[8:9], v[10:11]
	s_delay_alu instid0(VALU_DEP_1) | instskip(NEXT) | instid1(VALU_DEP_1)
	v_div_fixup_f64 v[8:9], v[6:7], v[2:3], v[4:5]
	v_fmac_f64_e32 v[2:3], v[4:5], v[8:9]
	s_delay_alu instid0(VALU_DEP_1) | instskip(NEXT) | instid1(VALU_DEP_1)
	v_div_scale_f64 v[4:5], null, v[2:3], v[2:3], 1.0
	v_rcp_f64_e32 v[6:7], v[4:5]
	v_nop
	s_delay_alu instid0(TRANS32_DEP_1) | instskip(NEXT) | instid1(VALU_DEP_1)
	v_fma_f64 v[10:11], -v[4:5], v[6:7], 1.0
	v_fmac_f64_e32 v[6:7], v[6:7], v[10:11]
	s_delay_alu instid0(VALU_DEP_1) | instskip(NEXT) | instid1(VALU_DEP_1)
	v_fma_f64 v[10:11], -v[4:5], v[6:7], 1.0
	v_fmac_f64_e32 v[6:7], v[6:7], v[10:11]
	v_div_scale_f64 v[10:11], vcc_lo, 1.0, v[2:3], 1.0
	s_delay_alu instid0(VALU_DEP_1) | instskip(NEXT) | instid1(VALU_DEP_1)
	v_mul_f64_e32 v[12:13], v[10:11], v[6:7]
	v_fma_f64 v[4:5], -v[4:5], v[12:13], v[10:11]
	s_delay_alu instid0(VALU_DEP_1) | instskip(NEXT) | instid1(VALU_DEP_1)
	v_div_fmas_f64 v[4:5], v[4:5], v[6:7], v[12:13]
	v_div_fixup_f64 v[6:7], v[4:5], v[2:3], 1.0
	s_delay_alu instid0(VALU_DEP_1)
	v_mul_f64_e64 v[8:9], v[8:9], -v[6:7]
	v_xor_b32_e32 v11, 0x80000000, v7
	v_mov_b32_e32 v10, v6
.LBB17_17:
	s_or_b32 exec_lo, exec_lo, s3
	s_clause 0x1
	scratch_store_b128 v19, v[6:9], off
	scratch_load_b128 v[2:5], off, s11
	v_xor_b32_e32 v13, 0x80000000, v9
	v_mov_b32_e32 v12, v8
	s_wait_xcnt 0x1
	v_add_nc_u32_e32 v6, 0x120, v50
	ds_store_b128 v50, v[10:13]
	s_wait_loadcnt 0x0
	ds_store_b128 v50, v[2:5] offset:288
	s_wait_storecnt_dscnt 0x0
	s_barrier_signal -1
	s_barrier_wait -1
	s_wait_xcnt 0x0
	s_and_saveexec_b32 s3, s2
	s_cbranch_execz .LBB17_19
; %bb.18:
	scratch_load_b128 v[2:5], v19, off
	ds_load_b128 v[8:11], v6
	v_mov_b32_e32 v7, 0
	ds_load_b128 v[52:55], v7 offset:16
	s_wait_loadcnt_dscnt 0x1
	v_mul_f64_e32 v[12:13], v[8:9], v[4:5]
	v_mul_f64_e32 v[4:5], v[10:11], v[4:5]
	s_delay_alu instid0(VALU_DEP_2) | instskip(NEXT) | instid1(VALU_DEP_2)
	v_fmac_f64_e32 v[12:13], v[10:11], v[2:3]
	v_fma_f64 v[2:3], v[8:9], v[2:3], -v[4:5]
	s_delay_alu instid0(VALU_DEP_2) | instskip(NEXT) | instid1(VALU_DEP_2)
	v_add_f64_e32 v[8:9], 0, v[12:13]
	v_add_f64_e32 v[2:3], 0, v[2:3]
	s_wait_dscnt 0x0
	s_delay_alu instid0(VALU_DEP_2) | instskip(NEXT) | instid1(VALU_DEP_2)
	v_mul_f64_e32 v[10:11], v[8:9], v[54:55]
	v_mul_f64_e32 v[4:5], v[2:3], v[54:55]
	s_delay_alu instid0(VALU_DEP_2) | instskip(NEXT) | instid1(VALU_DEP_2)
	v_fma_f64 v[2:3], v[2:3], v[52:53], -v[10:11]
	v_fmac_f64_e32 v[4:5], v[8:9], v[52:53]
	scratch_store_b128 off, v[2:5], off offset:16
.LBB17_19:
	s_wait_xcnt 0x0
	s_or_b32 exec_lo, exec_lo, s3
	s_wait_storecnt 0x0
	s_barrier_signal -1
	s_barrier_wait -1
	scratch_load_b128 v[2:5], off, s8
	s_mov_b32 s3, exec_lo
	s_wait_loadcnt 0x0
	ds_store_b128 v6, v[2:5]
	s_wait_dscnt 0x0
	s_barrier_signal -1
	s_barrier_wait -1
	v_cmpx_gt_u32_e32 2, v1
	s_cbranch_execz .LBB17_23
; %bb.20:
	scratch_load_b128 v[2:5], v19, off
	ds_load_b128 v[8:11], v6
	s_wait_loadcnt_dscnt 0x0
	v_mul_f64_e32 v[12:13], v[10:11], v[4:5]
	v_mul_f64_e32 v[52:53], v[8:9], v[4:5]
	s_delay_alu instid0(VALU_DEP_2) | instskip(NEXT) | instid1(VALU_DEP_2)
	v_fma_f64 v[4:5], v[8:9], v[2:3], -v[12:13]
	v_fmac_f64_e32 v[52:53], v[10:11], v[2:3]
	s_delay_alu instid0(VALU_DEP_2) | instskip(NEXT) | instid1(VALU_DEP_2)
	v_add_f64_e32 v[4:5], 0, v[4:5]
	v_add_f64_e32 v[2:3], 0, v[52:53]
	s_and_saveexec_b32 s30, s2
	s_cbranch_execz .LBB17_22
; %bb.21:
	scratch_load_b128 v[8:11], off, off offset:16
	v_mov_b32_e32 v7, 0
	ds_load_b128 v[52:55], v7 offset:304
	s_wait_loadcnt_dscnt 0x0
	v_mul_f64_e32 v[12:13], v[52:53], v[10:11]
	v_mul_f64_e32 v[10:11], v[54:55], v[10:11]
	s_delay_alu instid0(VALU_DEP_2) | instskip(NEXT) | instid1(VALU_DEP_2)
	v_fmac_f64_e32 v[12:13], v[54:55], v[8:9]
	v_fma_f64 v[8:9], v[52:53], v[8:9], -v[10:11]
	s_delay_alu instid0(VALU_DEP_2) | instskip(NEXT) | instid1(VALU_DEP_2)
	v_add_f64_e32 v[2:3], v[2:3], v[12:13]
	v_add_f64_e32 v[4:5], v[4:5], v[8:9]
.LBB17_22:
	s_or_b32 exec_lo, exec_lo, s30
	v_mov_b32_e32 v7, 0
	ds_load_b128 v[8:11], v7 offset:32
	s_wait_dscnt 0x0
	v_mul_f64_e32 v[52:53], v[2:3], v[10:11]
	v_mul_f64_e32 v[12:13], v[4:5], v[10:11]
	s_delay_alu instid0(VALU_DEP_2) | instskip(NEXT) | instid1(VALU_DEP_2)
	v_fma_f64 v[10:11], v[4:5], v[8:9], -v[52:53]
	v_fmac_f64_e32 v[12:13], v[2:3], v[8:9]
	scratch_store_b128 off, v[10:13], off offset:32
.LBB17_23:
	s_wait_xcnt 0x0
	s_or_b32 exec_lo, exec_lo, s3
	s_wait_storecnt 0x0
	s_barrier_signal -1
	s_barrier_wait -1
	scratch_load_b128 v[2:5], off, s9
	v_add_nc_u32_e32 v7, -1, v1
	s_mov_b32 s2, exec_lo
	s_wait_loadcnt 0x0
	ds_store_b128 v6, v[2:5]
	s_wait_dscnt 0x0
	s_barrier_signal -1
	s_barrier_wait -1
	v_cmpx_gt_u32_e32 3, v1
	s_cbranch_execz .LBB17_27
; %bb.24:
	v_dual_mov_b32 v10, v50 :: v_dual_add_nc_u32 v8, -1, v1
	v_mov_b64_e32 v[2:3], 0
	v_mov_b64_e32 v[4:5], 0
	v_add_nc_u32_e32 v9, 0x120, v50
	s_delay_alu instid0(VALU_DEP_4)
	v_or_b32_e32 v10, 8, v10
	s_mov_b32 s3, 0
.LBB17_25:                              ; =>This Inner Loop Header: Depth=1
	scratch_load_b128 v[52:55], v10, off offset:-8
	ds_load_b128 v[56:59], v9
	v_dual_add_nc_u32 v8, 1, v8 :: v_dual_add_nc_u32 v9, 16, v9
	s_wait_xcnt 0x0
	v_add_nc_u32_e32 v10, 16, v10
	s_delay_alu instid0(VALU_DEP_2) | instskip(SKIP_4) | instid1(VALU_DEP_2)
	v_cmp_lt_u32_e32 vcc_lo, 1, v8
	s_or_b32 s3, vcc_lo, s3
	s_wait_loadcnt_dscnt 0x0
	v_mul_f64_e32 v[12:13], v[58:59], v[54:55]
	v_mul_f64_e32 v[54:55], v[56:57], v[54:55]
	v_fma_f64 v[12:13], v[56:57], v[52:53], -v[12:13]
	s_delay_alu instid0(VALU_DEP_2) | instskip(NEXT) | instid1(VALU_DEP_2)
	v_fmac_f64_e32 v[54:55], v[58:59], v[52:53]
	v_add_f64_e32 v[4:5], v[4:5], v[12:13]
	s_delay_alu instid0(VALU_DEP_2)
	v_add_f64_e32 v[2:3], v[2:3], v[54:55]
	s_and_not1_b32 exec_lo, exec_lo, s3
	s_cbranch_execnz .LBB17_25
; %bb.26:
	s_or_b32 exec_lo, exec_lo, s3
	v_mov_b32_e32 v8, 0
	ds_load_b128 v[8:11], v8 offset:48
	s_wait_dscnt 0x0
	v_mul_f64_e32 v[52:53], v[2:3], v[10:11]
	v_mul_f64_e32 v[12:13], v[4:5], v[10:11]
	s_delay_alu instid0(VALU_DEP_2) | instskip(NEXT) | instid1(VALU_DEP_2)
	v_fma_f64 v[10:11], v[4:5], v[8:9], -v[52:53]
	v_fmac_f64_e32 v[12:13], v[2:3], v[8:9]
	scratch_store_b128 off, v[10:13], off offset:48
.LBB17_27:
	s_wait_xcnt 0x0
	s_or_b32 exec_lo, exec_lo, s2
	s_wait_storecnt 0x0
	s_barrier_signal -1
	s_barrier_wait -1
	scratch_load_b128 v[2:5], off, s10
	s_mov_b32 s2, exec_lo
	s_wait_loadcnt 0x0
	ds_store_b128 v6, v[2:5]
	s_wait_dscnt 0x0
	s_barrier_signal -1
	s_barrier_wait -1
	v_cmpx_gt_u32_e32 4, v1
	s_cbranch_execz .LBB17_31
; %bb.28:
	v_dual_mov_b32 v10, v50 :: v_dual_add_nc_u32 v8, -1, v1
	v_mov_b64_e32 v[2:3], 0
	v_mov_b64_e32 v[4:5], 0
	v_add_nc_u32_e32 v9, 0x120, v50
	s_delay_alu instid0(VALU_DEP_4)
	v_or_b32_e32 v10, 8, v10
	s_mov_b32 s3, 0
.LBB17_29:                              ; =>This Inner Loop Header: Depth=1
	scratch_load_b128 v[52:55], v10, off offset:-8
	ds_load_b128 v[56:59], v9
	v_dual_add_nc_u32 v8, 1, v8 :: v_dual_add_nc_u32 v9, 16, v9
	s_wait_xcnt 0x0
	v_add_nc_u32_e32 v10, 16, v10
	s_delay_alu instid0(VALU_DEP_2) | instskip(SKIP_4) | instid1(VALU_DEP_2)
	v_cmp_lt_u32_e32 vcc_lo, 2, v8
	s_or_b32 s3, vcc_lo, s3
	s_wait_loadcnt_dscnt 0x0
	v_mul_f64_e32 v[12:13], v[58:59], v[54:55]
	v_mul_f64_e32 v[54:55], v[56:57], v[54:55]
	v_fma_f64 v[12:13], v[56:57], v[52:53], -v[12:13]
	s_delay_alu instid0(VALU_DEP_2) | instskip(NEXT) | instid1(VALU_DEP_2)
	v_fmac_f64_e32 v[54:55], v[58:59], v[52:53]
	v_add_f64_e32 v[4:5], v[4:5], v[12:13]
	s_delay_alu instid0(VALU_DEP_2)
	v_add_f64_e32 v[2:3], v[2:3], v[54:55]
	s_and_not1_b32 exec_lo, exec_lo, s3
	s_cbranch_execnz .LBB17_29
; %bb.30:
	s_or_b32 exec_lo, exec_lo, s3
	v_mov_b32_e32 v8, 0
	ds_load_b128 v[8:11], v8 offset:64
	s_wait_dscnt 0x0
	v_mul_f64_e32 v[52:53], v[2:3], v[10:11]
	v_mul_f64_e32 v[12:13], v[4:5], v[10:11]
	s_delay_alu instid0(VALU_DEP_2) | instskip(NEXT) | instid1(VALU_DEP_2)
	v_fma_f64 v[10:11], v[4:5], v[8:9], -v[52:53]
	v_fmac_f64_e32 v[12:13], v[2:3], v[8:9]
	scratch_store_b128 off, v[10:13], off offset:64
.LBB17_31:
	s_wait_xcnt 0x0
	s_or_b32 exec_lo, exec_lo, s2
	s_wait_storecnt 0x0
	s_barrier_signal -1
	s_barrier_wait -1
	scratch_load_b128 v[2:5], off, s13
	;; [unrolled: 54-line block ×14, first 2 shown]
	s_mov_b32 s2, exec_lo
	s_wait_loadcnt 0x0
	ds_store_b128 v6, v[2:5]
	s_wait_dscnt 0x0
	s_barrier_signal -1
	s_barrier_wait -1
	v_cmpx_ne_u32_e32 17, v1
	s_cbranch_execz .LBB17_83
; %bb.80:
	v_mov_b32_e32 v8, v50
	v_mov_b64_e32 v[2:3], 0
	v_mov_b64_e32 v[4:5], 0
	s_mov_b32 s3, 0
	s_delay_alu instid0(VALU_DEP_3)
	v_or_b32_e32 v8, 8, v8
.LBB17_81:                              ; =>This Inner Loop Header: Depth=1
	scratch_load_b128 v[10:13], v8, off offset:-8
	ds_load_b128 v[50:53], v6
	v_dual_add_nc_u32 v7, 1, v7 :: v_dual_add_nc_u32 v6, 16, v6
	s_wait_xcnt 0x0
	v_add_nc_u32_e32 v8, 16, v8
	s_delay_alu instid0(VALU_DEP_2) | instskip(SKIP_4) | instid1(VALU_DEP_2)
	v_cmp_lt_u32_e32 vcc_lo, 15, v7
	s_or_b32 s3, vcc_lo, s3
	s_wait_loadcnt_dscnt 0x0
	v_mul_f64_e32 v[54:55], v[52:53], v[12:13]
	v_mul_f64_e32 v[12:13], v[50:51], v[12:13]
	v_fma_f64 v[50:51], v[50:51], v[10:11], -v[54:55]
	s_delay_alu instid0(VALU_DEP_2) | instskip(NEXT) | instid1(VALU_DEP_2)
	v_fmac_f64_e32 v[12:13], v[52:53], v[10:11]
	v_add_f64_e32 v[4:5], v[4:5], v[50:51]
	s_delay_alu instid0(VALU_DEP_2)
	v_add_f64_e32 v[2:3], v[2:3], v[12:13]
	s_and_not1_b32 exec_lo, exec_lo, s3
	s_cbranch_execnz .LBB17_81
; %bb.82:
	s_or_b32 exec_lo, exec_lo, s3
	v_mov_b32_e32 v6, 0
	ds_load_b128 v[6:9], v6 offset:272
	s_wait_dscnt 0x0
	v_mul_f64_e32 v[12:13], v[2:3], v[8:9]
	v_mul_f64_e32 v[10:11], v[4:5], v[8:9]
	s_delay_alu instid0(VALU_DEP_2) | instskip(NEXT) | instid1(VALU_DEP_2)
	v_fma_f64 v[8:9], v[4:5], v[6:7], -v[12:13]
	v_fmac_f64_e32 v[10:11], v[2:3], v[6:7]
	scratch_store_b128 off, v[8:11], off offset:272
.LBB17_83:
	s_wait_xcnt 0x0
	s_or_b32 exec_lo, exec_lo, s2
	s_mov_b32 s3, -1
	s_wait_storecnt 0x0
	s_barrier_signal -1
	s_barrier_wait -1
.LBB17_84:
	s_and_b32 vcc_lo, exec_lo, s3
	s_cbranch_vccz .LBB17_86
; %bb.85:
	s_wait_xcnt 0x1
	v_mov_b32_e32 v2, 0
	s_lshl_b64 s[2:3], s[18:19], 2
	s_delay_alu instid0(SALU_CYCLE_1)
	s_add_nc_u64 s[2:3], s[6:7], s[2:3]
	global_load_b32 v2, v2, s[2:3]
	s_wait_loadcnt 0x0
	v_cmp_ne_u32_e32 vcc_lo, 0, v2
	s_cbranch_vccz .LBB17_87
.LBB17_86:
	s_sendmsg sendmsg(MSG_DEALLOC_VGPRS)
	s_endpgm
.LBB17_87:
	v_lshl_add_u32 v6, v1, 4, 0x120
	s_wait_xcnt 0x0
	s_mov_b32 s2, exec_lo
	v_cmpx_eq_u32_e32 17, v1
	s_cbranch_execz .LBB17_89
; %bb.88:
	scratch_load_b128 v[2:5], off, s23
	v_mov_b32_e32 v8, 0
	s_delay_alu instid0(VALU_DEP_1)
	v_dual_mov_b32 v9, v8 :: v_dual_mov_b32 v10, v8
	v_mov_b32_e32 v11, v8
	scratch_store_b128 off, v[8:11], off offset:256
	s_wait_loadcnt 0x0
	ds_store_b128 v6, v[2:5]
.LBB17_89:
	s_wait_xcnt 0x0
	s_or_b32 exec_lo, exec_lo, s2
	s_wait_storecnt_dscnt 0x0
	s_barrier_signal -1
	s_barrier_wait -1
	s_clause 0x1
	scratch_load_b128 v[8:11], off, off offset:272
	scratch_load_b128 v[50:53], off, off offset:256
	v_mov_b32_e32 v2, 0
	s_mov_b32 s2, exec_lo
	ds_load_b128 v[54:57], v2 offset:560
	s_wait_loadcnt_dscnt 0x100
	v_mul_f64_e32 v[4:5], v[56:57], v[10:11]
	v_mul_f64_e32 v[10:11], v[54:55], v[10:11]
	s_delay_alu instid0(VALU_DEP_2) | instskip(NEXT) | instid1(VALU_DEP_2)
	v_fma_f64 v[4:5], v[54:55], v[8:9], -v[4:5]
	v_fmac_f64_e32 v[10:11], v[56:57], v[8:9]
	s_delay_alu instid0(VALU_DEP_2) | instskip(NEXT) | instid1(VALU_DEP_2)
	v_add_f64_e32 v[4:5], 0, v[4:5]
	v_add_f64_e32 v[10:11], 0, v[10:11]
	s_wait_loadcnt 0x0
	s_delay_alu instid0(VALU_DEP_2) | instskip(NEXT) | instid1(VALU_DEP_2)
	v_add_f64_e64 v[8:9], v[50:51], -v[4:5]
	v_add_f64_e64 v[10:11], v[52:53], -v[10:11]
	scratch_store_b128 off, v[8:11], off offset:256
	s_wait_xcnt 0x0
	v_cmpx_lt_u32_e32 15, v1
	s_cbranch_execz .LBB17_91
; %bb.90:
	scratch_load_b128 v[8:11], off, s26
	v_dual_mov_b32 v3, v2 :: v_dual_mov_b32 v4, v2
	v_mov_b32_e32 v5, v2
	scratch_store_b128 off, v[2:5], off offset:240
	s_wait_loadcnt 0x0
	ds_store_b128 v6, v[8:11]
.LBB17_91:
	s_wait_xcnt 0x0
	s_or_b32 exec_lo, exec_lo, s2
	s_wait_storecnt_dscnt 0x0
	s_barrier_signal -1
	s_barrier_wait -1
	s_clause 0x2
	scratch_load_b128 v[8:11], off, off offset:256
	scratch_load_b128 v[50:53], off, off offset:272
	;; [unrolled: 1-line block ×3, first 2 shown]
	ds_load_b128 v[58:61], v2 offset:544
	ds_load_b128 v[2:5], v2 offset:560
	s_mov_b32 s2, exec_lo
	s_wait_loadcnt_dscnt 0x201
	v_mul_f64_e32 v[12:13], v[60:61], v[10:11]
	v_mul_f64_e32 v[10:11], v[58:59], v[10:11]
	s_wait_loadcnt_dscnt 0x100
	v_mul_f64_e32 v[62:63], v[2:3], v[52:53]
	v_mul_f64_e32 v[52:53], v[4:5], v[52:53]
	s_delay_alu instid0(VALU_DEP_4) | instskip(NEXT) | instid1(VALU_DEP_4)
	v_fma_f64 v[12:13], v[58:59], v[8:9], -v[12:13]
	v_fmac_f64_e32 v[10:11], v[60:61], v[8:9]
	s_delay_alu instid0(VALU_DEP_4) | instskip(NEXT) | instid1(VALU_DEP_4)
	v_fmac_f64_e32 v[62:63], v[4:5], v[50:51]
	v_fma_f64 v[2:3], v[2:3], v[50:51], -v[52:53]
	s_delay_alu instid0(VALU_DEP_4) | instskip(NEXT) | instid1(VALU_DEP_4)
	v_add_f64_e32 v[4:5], 0, v[12:13]
	v_add_f64_e32 v[8:9], 0, v[10:11]
	s_delay_alu instid0(VALU_DEP_2) | instskip(NEXT) | instid1(VALU_DEP_2)
	v_add_f64_e32 v[2:3], v[4:5], v[2:3]
	v_add_f64_e32 v[4:5], v[8:9], v[62:63]
	s_wait_loadcnt 0x0
	s_delay_alu instid0(VALU_DEP_2) | instskip(NEXT) | instid1(VALU_DEP_2)
	v_add_f64_e64 v[2:3], v[54:55], -v[2:3]
	v_add_f64_e64 v[4:5], v[56:57], -v[4:5]
	scratch_store_b128 off, v[2:5], off offset:240
	s_wait_xcnt 0x0
	v_cmpx_lt_u32_e32 14, v1
	s_cbranch_execz .LBB17_93
; %bb.92:
	scratch_load_b128 v[2:5], off, s28
	v_mov_b32_e32 v8, 0
	s_delay_alu instid0(VALU_DEP_1)
	v_dual_mov_b32 v9, v8 :: v_dual_mov_b32 v10, v8
	v_mov_b32_e32 v11, v8
	scratch_store_b128 off, v[8:11], off offset:224
	s_wait_loadcnt 0x0
	ds_store_b128 v6, v[2:5]
.LBB17_93:
	s_wait_xcnt 0x0
	s_or_b32 exec_lo, exec_lo, s2
	s_wait_storecnt_dscnt 0x0
	s_barrier_signal -1
	s_barrier_wait -1
	s_clause 0x3
	scratch_load_b128 v[8:11], off, off offset:240
	scratch_load_b128 v[50:53], off, off offset:256
	;; [unrolled: 1-line block ×4, first 2 shown]
	v_mov_b32_e32 v2, 0
	ds_load_b128 v[62:65], v2 offset:528
	ds_load_b128 v[66:69], v2 offset:544
	s_mov_b32 s2, exec_lo
	s_wait_loadcnt_dscnt 0x301
	v_mul_f64_e32 v[4:5], v[64:65], v[10:11]
	v_mul_f64_e32 v[12:13], v[62:63], v[10:11]
	s_wait_loadcnt_dscnt 0x200
	v_mul_f64_e32 v[70:71], v[66:67], v[52:53]
	v_mul_f64_e32 v[52:53], v[68:69], v[52:53]
	s_delay_alu instid0(VALU_DEP_4) | instskip(NEXT) | instid1(VALU_DEP_4)
	v_fma_f64 v[4:5], v[62:63], v[8:9], -v[4:5]
	v_fmac_f64_e32 v[12:13], v[64:65], v[8:9]
	ds_load_b128 v[8:11], v2 offset:560
	v_fmac_f64_e32 v[70:71], v[68:69], v[50:51]
	v_fma_f64 v[50:51], v[66:67], v[50:51], -v[52:53]
	s_wait_loadcnt_dscnt 0x100
	v_mul_f64_e32 v[62:63], v[8:9], v[56:57]
	v_mul_f64_e32 v[56:57], v[10:11], v[56:57]
	v_add_f64_e32 v[4:5], 0, v[4:5]
	v_add_f64_e32 v[12:13], 0, v[12:13]
	s_delay_alu instid0(VALU_DEP_4) | instskip(NEXT) | instid1(VALU_DEP_4)
	v_fmac_f64_e32 v[62:63], v[10:11], v[54:55]
	v_fma_f64 v[8:9], v[8:9], v[54:55], -v[56:57]
	s_delay_alu instid0(VALU_DEP_4) | instskip(NEXT) | instid1(VALU_DEP_4)
	v_add_f64_e32 v[4:5], v[4:5], v[50:51]
	v_add_f64_e32 v[10:11], v[12:13], v[70:71]
	s_delay_alu instid0(VALU_DEP_2) | instskip(NEXT) | instid1(VALU_DEP_2)
	v_add_f64_e32 v[4:5], v[4:5], v[8:9]
	v_add_f64_e32 v[10:11], v[10:11], v[62:63]
	s_wait_loadcnt 0x0
	s_delay_alu instid0(VALU_DEP_2) | instskip(NEXT) | instid1(VALU_DEP_2)
	v_add_f64_e64 v[8:9], v[58:59], -v[4:5]
	v_add_f64_e64 v[10:11], v[60:61], -v[10:11]
	scratch_store_b128 off, v[8:11], off offset:224
	s_wait_xcnt 0x0
	v_cmpx_lt_u32_e32 13, v1
	s_cbranch_execz .LBB17_95
; %bb.94:
	scratch_load_b128 v[8:11], off, s27
	v_dual_mov_b32 v3, v2 :: v_dual_mov_b32 v4, v2
	v_mov_b32_e32 v5, v2
	scratch_store_b128 off, v[2:5], off offset:208
	s_wait_loadcnt 0x0
	ds_store_b128 v6, v[8:11]
.LBB17_95:
	s_wait_xcnt 0x0
	s_or_b32 exec_lo, exec_lo, s2
	s_wait_storecnt_dscnt 0x0
	s_barrier_signal -1
	s_barrier_wait -1
	s_clause 0x4
	scratch_load_b128 v[8:11], off, off offset:224
	scratch_load_b128 v[50:53], off, off offset:240
	;; [unrolled: 1-line block ×5, first 2 shown]
	ds_load_b128 v[66:69], v2 offset:512
	ds_load_b128 v[70:73], v2 offset:528
	s_mov_b32 s2, exec_lo
	s_wait_loadcnt_dscnt 0x401
	v_mul_f64_e32 v[4:5], v[68:69], v[10:11]
	v_mul_f64_e32 v[12:13], v[66:67], v[10:11]
	s_wait_loadcnt_dscnt 0x300
	v_mul_f64_e32 v[74:75], v[70:71], v[52:53]
	v_mul_f64_e32 v[52:53], v[72:73], v[52:53]
	s_delay_alu instid0(VALU_DEP_4) | instskip(NEXT) | instid1(VALU_DEP_4)
	v_fma_f64 v[66:67], v[66:67], v[8:9], -v[4:5]
	v_fmac_f64_e32 v[12:13], v[68:69], v[8:9]
	ds_load_b128 v[8:11], v2 offset:544
	ds_load_b128 v[2:5], v2 offset:560
	v_fmac_f64_e32 v[74:75], v[72:73], v[50:51]
	v_fma_f64 v[50:51], v[70:71], v[50:51], -v[52:53]
	s_wait_loadcnt_dscnt 0x201
	v_mul_f64_e32 v[68:69], v[8:9], v[56:57]
	v_mul_f64_e32 v[56:57], v[10:11], v[56:57]
	v_add_f64_e32 v[52:53], 0, v[66:67]
	v_add_f64_e32 v[12:13], 0, v[12:13]
	s_wait_loadcnt_dscnt 0x100
	v_mul_f64_e32 v[66:67], v[2:3], v[60:61]
	v_mul_f64_e32 v[60:61], v[4:5], v[60:61]
	v_fmac_f64_e32 v[68:69], v[10:11], v[54:55]
	v_fma_f64 v[8:9], v[8:9], v[54:55], -v[56:57]
	v_add_f64_e32 v[10:11], v[52:53], v[50:51]
	v_add_f64_e32 v[12:13], v[12:13], v[74:75]
	v_fmac_f64_e32 v[66:67], v[4:5], v[58:59]
	v_fma_f64 v[2:3], v[2:3], v[58:59], -v[60:61]
	s_delay_alu instid0(VALU_DEP_4) | instskip(NEXT) | instid1(VALU_DEP_4)
	v_add_f64_e32 v[4:5], v[10:11], v[8:9]
	v_add_f64_e32 v[8:9], v[12:13], v[68:69]
	s_delay_alu instid0(VALU_DEP_2) | instskip(NEXT) | instid1(VALU_DEP_2)
	v_add_f64_e32 v[2:3], v[4:5], v[2:3]
	v_add_f64_e32 v[4:5], v[8:9], v[66:67]
	s_wait_loadcnt 0x0
	s_delay_alu instid0(VALU_DEP_2) | instskip(NEXT) | instid1(VALU_DEP_2)
	v_add_f64_e64 v[2:3], v[62:63], -v[2:3]
	v_add_f64_e64 v[4:5], v[64:65], -v[4:5]
	scratch_store_b128 off, v[2:5], off offset:208
	s_wait_xcnt 0x0
	v_cmpx_lt_u32_e32 12, v1
	s_cbranch_execz .LBB17_97
; %bb.96:
	scratch_load_b128 v[2:5], off, s25
	v_mov_b32_e32 v8, 0
	s_delay_alu instid0(VALU_DEP_1)
	v_dual_mov_b32 v9, v8 :: v_dual_mov_b32 v10, v8
	v_mov_b32_e32 v11, v8
	scratch_store_b128 off, v[8:11], off offset:192
	s_wait_loadcnt 0x0
	ds_store_b128 v6, v[2:5]
.LBB17_97:
	s_wait_xcnt 0x0
	s_or_b32 exec_lo, exec_lo, s2
	s_wait_storecnt_dscnt 0x0
	s_barrier_signal -1
	s_barrier_wait -1
	s_clause 0x5
	scratch_load_b128 v[8:11], off, off offset:208
	scratch_load_b128 v[50:53], off, off offset:224
	;; [unrolled: 1-line block ×6, first 2 shown]
	v_mov_b32_e32 v2, 0
	ds_load_b128 v[70:73], v2 offset:496
	ds_load_b128 v[74:77], v2 offset:512
	s_mov_b32 s2, exec_lo
	s_wait_loadcnt_dscnt 0x501
	v_mul_f64_e32 v[4:5], v[72:73], v[10:11]
	v_mul_f64_e32 v[12:13], v[70:71], v[10:11]
	s_wait_loadcnt_dscnt 0x400
	v_mul_f64_e32 v[78:79], v[74:75], v[52:53]
	v_mul_f64_e32 v[52:53], v[76:77], v[52:53]
	s_delay_alu instid0(VALU_DEP_4) | instskip(NEXT) | instid1(VALU_DEP_4)
	v_fma_f64 v[4:5], v[70:71], v[8:9], -v[4:5]
	v_fmac_f64_e32 v[12:13], v[72:73], v[8:9]
	ds_load_b128 v[8:11], v2 offset:528
	ds_load_b128 v[70:73], v2 offset:544
	v_fmac_f64_e32 v[78:79], v[76:77], v[50:51]
	v_fma_f64 v[50:51], v[74:75], v[50:51], -v[52:53]
	s_wait_loadcnt_dscnt 0x301
	v_mul_f64_e32 v[80:81], v[8:9], v[56:57]
	v_mul_f64_e32 v[56:57], v[10:11], v[56:57]
	s_wait_loadcnt_dscnt 0x200
	v_mul_f64_e32 v[52:53], v[70:71], v[60:61]
	v_mul_f64_e32 v[60:61], v[72:73], v[60:61]
	v_add_f64_e32 v[4:5], 0, v[4:5]
	v_add_f64_e32 v[12:13], 0, v[12:13]
	v_fmac_f64_e32 v[80:81], v[10:11], v[54:55]
	v_fma_f64 v[54:55], v[8:9], v[54:55], -v[56:57]
	ds_load_b128 v[8:11], v2 offset:560
	v_fmac_f64_e32 v[52:53], v[72:73], v[58:59]
	v_fma_f64 v[58:59], v[70:71], v[58:59], -v[60:61]
	v_add_f64_e32 v[4:5], v[4:5], v[50:51]
	v_add_f64_e32 v[12:13], v[12:13], v[78:79]
	s_wait_loadcnt_dscnt 0x100
	v_mul_f64_e32 v[50:51], v[8:9], v[64:65]
	v_mul_f64_e32 v[56:57], v[10:11], v[64:65]
	s_delay_alu instid0(VALU_DEP_4) | instskip(NEXT) | instid1(VALU_DEP_4)
	v_add_f64_e32 v[4:5], v[4:5], v[54:55]
	v_add_f64_e32 v[12:13], v[12:13], v[80:81]
	s_delay_alu instid0(VALU_DEP_4) | instskip(NEXT) | instid1(VALU_DEP_4)
	v_fmac_f64_e32 v[50:51], v[10:11], v[62:63]
	v_fma_f64 v[8:9], v[8:9], v[62:63], -v[56:57]
	s_delay_alu instid0(VALU_DEP_4) | instskip(NEXT) | instid1(VALU_DEP_4)
	v_add_f64_e32 v[4:5], v[4:5], v[58:59]
	v_add_f64_e32 v[10:11], v[12:13], v[52:53]
	s_delay_alu instid0(VALU_DEP_2) | instskip(NEXT) | instid1(VALU_DEP_2)
	v_add_f64_e32 v[4:5], v[4:5], v[8:9]
	v_add_f64_e32 v[10:11], v[10:11], v[50:51]
	s_wait_loadcnt 0x0
	s_delay_alu instid0(VALU_DEP_2) | instskip(NEXT) | instid1(VALU_DEP_2)
	v_add_f64_e64 v[8:9], v[66:67], -v[4:5]
	v_add_f64_e64 v[10:11], v[68:69], -v[10:11]
	scratch_store_b128 off, v[8:11], off offset:192
	s_wait_xcnt 0x0
	v_cmpx_lt_u32_e32 11, v1
	s_cbranch_execz .LBB17_99
; %bb.98:
	scratch_load_b128 v[8:11], off, s22
	v_dual_mov_b32 v3, v2 :: v_dual_mov_b32 v4, v2
	v_mov_b32_e32 v5, v2
	scratch_store_b128 off, v[2:5], off offset:176
	s_wait_loadcnt 0x0
	ds_store_b128 v6, v[8:11]
.LBB17_99:
	s_wait_xcnt 0x0
	s_or_b32 exec_lo, exec_lo, s2
	s_wait_storecnt_dscnt 0x0
	s_barrier_signal -1
	s_barrier_wait -1
	s_clause 0x6
	scratch_load_b128 v[8:11], off, off offset:192
	scratch_load_b128 v[50:53], off, off offset:208
	;; [unrolled: 1-line block ×7, first 2 shown]
	ds_load_b128 v[74:77], v2 offset:480
	ds_load_b128 v[78:81], v2 offset:496
	s_mov_b32 s2, exec_lo
	s_wait_loadcnt_dscnt 0x601
	v_mul_f64_e32 v[4:5], v[76:77], v[10:11]
	v_mul_f64_e32 v[12:13], v[74:75], v[10:11]
	s_wait_loadcnt_dscnt 0x500
	v_mul_f64_e32 v[82:83], v[78:79], v[52:53]
	v_mul_f64_e32 v[52:53], v[80:81], v[52:53]
	s_delay_alu instid0(VALU_DEP_4) | instskip(NEXT) | instid1(VALU_DEP_4)
	v_fma_f64 v[4:5], v[74:75], v[8:9], -v[4:5]
	v_fmac_f64_e32 v[12:13], v[76:77], v[8:9]
	ds_load_b128 v[8:11], v2 offset:512
	ds_load_b128 v[74:77], v2 offset:528
	v_fmac_f64_e32 v[82:83], v[80:81], v[50:51]
	v_fma_f64 v[50:51], v[78:79], v[50:51], -v[52:53]
	s_wait_loadcnt_dscnt 0x401
	v_mul_f64_e32 v[84:85], v[8:9], v[56:57]
	v_mul_f64_e32 v[56:57], v[10:11], v[56:57]
	s_wait_loadcnt_dscnt 0x300
	v_mul_f64_e32 v[52:53], v[74:75], v[60:61]
	v_mul_f64_e32 v[60:61], v[76:77], v[60:61]
	v_add_f64_e32 v[4:5], 0, v[4:5]
	v_add_f64_e32 v[12:13], 0, v[12:13]
	v_fmac_f64_e32 v[84:85], v[10:11], v[54:55]
	v_fma_f64 v[54:55], v[8:9], v[54:55], -v[56:57]
	v_fmac_f64_e32 v[52:53], v[76:77], v[58:59]
	v_fma_f64 v[58:59], v[74:75], v[58:59], -v[60:61]
	v_add_f64_e32 v[50:51], v[4:5], v[50:51]
	v_add_f64_e32 v[12:13], v[12:13], v[82:83]
	ds_load_b128 v[8:11], v2 offset:544
	ds_load_b128 v[2:5], v2 offset:560
	s_wait_loadcnt_dscnt 0x201
	v_mul_f64_e32 v[56:57], v[8:9], v[64:65]
	v_mul_f64_e32 v[64:65], v[10:11], v[64:65]
	s_wait_loadcnt_dscnt 0x100
	v_mul_f64_e32 v[60:61], v[4:5], v[68:69]
	v_add_f64_e32 v[50:51], v[50:51], v[54:55]
	v_add_f64_e32 v[12:13], v[12:13], v[84:85]
	v_mul_f64_e32 v[54:55], v[2:3], v[68:69]
	v_fmac_f64_e32 v[56:57], v[10:11], v[62:63]
	v_fma_f64 v[8:9], v[8:9], v[62:63], -v[64:65]
	v_fma_f64 v[2:3], v[2:3], v[66:67], -v[60:61]
	v_add_f64_e32 v[10:11], v[50:51], v[58:59]
	v_add_f64_e32 v[12:13], v[12:13], v[52:53]
	v_fmac_f64_e32 v[54:55], v[4:5], v[66:67]
	s_delay_alu instid0(VALU_DEP_3) | instskip(NEXT) | instid1(VALU_DEP_3)
	v_add_f64_e32 v[4:5], v[10:11], v[8:9]
	v_add_f64_e32 v[8:9], v[12:13], v[56:57]
	s_delay_alu instid0(VALU_DEP_2) | instskip(NEXT) | instid1(VALU_DEP_2)
	v_add_f64_e32 v[2:3], v[4:5], v[2:3]
	v_add_f64_e32 v[4:5], v[8:9], v[54:55]
	s_wait_loadcnt 0x0
	s_delay_alu instid0(VALU_DEP_2) | instskip(NEXT) | instid1(VALU_DEP_2)
	v_add_f64_e64 v[2:3], v[70:71], -v[2:3]
	v_add_f64_e64 v[4:5], v[72:73], -v[4:5]
	scratch_store_b128 off, v[2:5], off offset:176
	s_wait_xcnt 0x0
	v_cmpx_lt_u32_e32 10, v1
	s_cbranch_execz .LBB17_101
; %bb.100:
	scratch_load_b128 v[2:5], off, s20
	v_mov_b32_e32 v8, 0
	s_delay_alu instid0(VALU_DEP_1)
	v_dual_mov_b32 v9, v8 :: v_dual_mov_b32 v10, v8
	v_mov_b32_e32 v11, v8
	scratch_store_b128 off, v[8:11], off offset:160
	s_wait_loadcnt 0x0
	ds_store_b128 v6, v[2:5]
.LBB17_101:
	s_wait_xcnt 0x0
	s_or_b32 exec_lo, exec_lo, s2
	s_wait_storecnt_dscnt 0x0
	s_barrier_signal -1
	s_barrier_wait -1
	s_clause 0x7
	scratch_load_b128 v[8:11], off, off offset:176
	scratch_load_b128 v[50:53], off, off offset:192
	;; [unrolled: 1-line block ×8, first 2 shown]
	v_mov_b32_e32 v2, 0
	ds_load_b128 v[78:81], v2 offset:464
	ds_load_b128 v[82:85], v2 offset:480
	s_mov_b32 s2, exec_lo
	s_wait_loadcnt_dscnt 0x701
	v_mul_f64_e32 v[4:5], v[80:81], v[10:11]
	v_mul_f64_e32 v[12:13], v[78:79], v[10:11]
	s_wait_loadcnt_dscnt 0x600
	v_mul_f64_e32 v[86:87], v[82:83], v[52:53]
	v_mul_f64_e32 v[52:53], v[84:85], v[52:53]
	s_delay_alu instid0(VALU_DEP_4) | instskip(NEXT) | instid1(VALU_DEP_4)
	v_fma_f64 v[4:5], v[78:79], v[8:9], -v[4:5]
	v_fmac_f64_e32 v[12:13], v[80:81], v[8:9]
	ds_load_b128 v[8:11], v2 offset:496
	ds_load_b128 v[78:81], v2 offset:512
	v_fmac_f64_e32 v[86:87], v[84:85], v[50:51]
	v_fma_f64 v[50:51], v[82:83], v[50:51], -v[52:53]
	s_wait_loadcnt_dscnt 0x501
	v_mul_f64_e32 v[88:89], v[8:9], v[56:57]
	v_mul_f64_e32 v[56:57], v[10:11], v[56:57]
	s_wait_loadcnt_dscnt 0x400
	v_mul_f64_e32 v[82:83], v[78:79], v[60:61]
	v_mul_f64_e32 v[60:61], v[80:81], v[60:61]
	v_add_f64_e32 v[4:5], 0, v[4:5]
	v_add_f64_e32 v[12:13], 0, v[12:13]
	v_fmac_f64_e32 v[88:89], v[10:11], v[54:55]
	v_fma_f64 v[54:55], v[8:9], v[54:55], -v[56:57]
	v_fmac_f64_e32 v[82:83], v[80:81], v[58:59]
	v_fma_f64 v[58:59], v[78:79], v[58:59], -v[60:61]
	v_add_f64_e32 v[4:5], v[4:5], v[50:51]
	v_add_f64_e32 v[12:13], v[12:13], v[86:87]
	ds_load_b128 v[8:11], v2 offset:528
	ds_load_b128 v[50:53], v2 offset:544
	s_wait_loadcnt_dscnt 0x301
	v_mul_f64_e32 v[56:57], v[8:9], v[64:65]
	v_mul_f64_e32 v[64:65], v[10:11], v[64:65]
	s_wait_loadcnt_dscnt 0x200
	v_mul_f64_e32 v[60:61], v[52:53], v[68:69]
	v_add_f64_e32 v[4:5], v[4:5], v[54:55]
	v_add_f64_e32 v[12:13], v[12:13], v[88:89]
	v_mul_f64_e32 v[54:55], v[50:51], v[68:69]
	v_fmac_f64_e32 v[56:57], v[10:11], v[62:63]
	v_fma_f64 v[62:63], v[8:9], v[62:63], -v[64:65]
	ds_load_b128 v[8:11], v2 offset:560
	v_fma_f64 v[50:51], v[50:51], v[66:67], -v[60:61]
	v_add_f64_e32 v[4:5], v[4:5], v[58:59]
	v_add_f64_e32 v[12:13], v[12:13], v[82:83]
	v_fmac_f64_e32 v[54:55], v[52:53], v[66:67]
	s_wait_loadcnt_dscnt 0x100
	v_mul_f64_e32 v[58:59], v[8:9], v[72:73]
	v_mul_f64_e32 v[64:65], v[10:11], v[72:73]
	v_add_f64_e32 v[4:5], v[4:5], v[62:63]
	v_add_f64_e32 v[12:13], v[12:13], v[56:57]
	s_delay_alu instid0(VALU_DEP_4) | instskip(NEXT) | instid1(VALU_DEP_4)
	v_fmac_f64_e32 v[58:59], v[10:11], v[70:71]
	v_fma_f64 v[8:9], v[8:9], v[70:71], -v[64:65]
	s_delay_alu instid0(VALU_DEP_4) | instskip(NEXT) | instid1(VALU_DEP_4)
	v_add_f64_e32 v[4:5], v[4:5], v[50:51]
	v_add_f64_e32 v[10:11], v[12:13], v[54:55]
	s_delay_alu instid0(VALU_DEP_2) | instskip(NEXT) | instid1(VALU_DEP_2)
	v_add_f64_e32 v[4:5], v[4:5], v[8:9]
	v_add_f64_e32 v[10:11], v[10:11], v[58:59]
	s_wait_loadcnt 0x0
	s_delay_alu instid0(VALU_DEP_2) | instskip(NEXT) | instid1(VALU_DEP_2)
	v_add_f64_e64 v[8:9], v[74:75], -v[4:5]
	v_add_f64_e64 v[10:11], v[76:77], -v[10:11]
	scratch_store_b128 off, v[8:11], off offset:160
	s_wait_xcnt 0x0
	v_cmpx_lt_u32_e32 9, v1
	s_cbranch_execz .LBB17_103
; %bb.102:
	scratch_load_b128 v[8:11], off, s14
	v_dual_mov_b32 v3, v2 :: v_dual_mov_b32 v4, v2
	v_mov_b32_e32 v5, v2
	scratch_store_b128 off, v[2:5], off offset:144
	s_wait_loadcnt 0x0
	ds_store_b128 v6, v[8:11]
.LBB17_103:
	s_wait_xcnt 0x0
	s_or_b32 exec_lo, exec_lo, s2
	s_wait_storecnt_dscnt 0x0
	s_barrier_signal -1
	s_barrier_wait -1
	s_clause 0x7
	scratch_load_b128 v[8:11], off, off offset:160
	scratch_load_b128 v[50:53], off, off offset:176
	;; [unrolled: 1-line block ×8, first 2 shown]
	ds_load_b128 v[78:81], v2 offset:448
	ds_load_b128 v[82:85], v2 offset:464
	scratch_load_b128 v[86:89], off, off offset:144
	s_mov_b32 s2, exec_lo
	s_wait_loadcnt_dscnt 0x801
	v_mul_f64_e32 v[4:5], v[80:81], v[10:11]
	v_mul_f64_e32 v[12:13], v[78:79], v[10:11]
	s_wait_loadcnt_dscnt 0x700
	v_mul_f64_e32 v[90:91], v[82:83], v[52:53]
	v_mul_f64_e32 v[52:53], v[84:85], v[52:53]
	s_delay_alu instid0(VALU_DEP_4) | instskip(NEXT) | instid1(VALU_DEP_4)
	v_fma_f64 v[4:5], v[78:79], v[8:9], -v[4:5]
	v_fmac_f64_e32 v[12:13], v[80:81], v[8:9]
	ds_load_b128 v[8:11], v2 offset:480
	ds_load_b128 v[78:81], v2 offset:496
	v_fmac_f64_e32 v[90:91], v[84:85], v[50:51]
	v_fma_f64 v[50:51], v[82:83], v[50:51], -v[52:53]
	s_wait_loadcnt_dscnt 0x601
	v_mul_f64_e32 v[92:93], v[8:9], v[56:57]
	v_mul_f64_e32 v[56:57], v[10:11], v[56:57]
	s_wait_loadcnt_dscnt 0x500
	v_mul_f64_e32 v[82:83], v[78:79], v[60:61]
	v_mul_f64_e32 v[60:61], v[80:81], v[60:61]
	v_add_f64_e32 v[4:5], 0, v[4:5]
	v_add_f64_e32 v[12:13], 0, v[12:13]
	v_fmac_f64_e32 v[92:93], v[10:11], v[54:55]
	v_fma_f64 v[54:55], v[8:9], v[54:55], -v[56:57]
	v_fmac_f64_e32 v[82:83], v[80:81], v[58:59]
	v_fma_f64 v[58:59], v[78:79], v[58:59], -v[60:61]
	v_add_f64_e32 v[4:5], v[4:5], v[50:51]
	v_add_f64_e32 v[12:13], v[12:13], v[90:91]
	ds_load_b128 v[8:11], v2 offset:512
	ds_load_b128 v[50:53], v2 offset:528
	s_wait_loadcnt_dscnt 0x401
	v_mul_f64_e32 v[56:57], v[8:9], v[64:65]
	v_mul_f64_e32 v[64:65], v[10:11], v[64:65]
	s_wait_loadcnt_dscnt 0x300
	v_mul_f64_e32 v[60:61], v[52:53], v[68:69]
	v_add_f64_e32 v[4:5], v[4:5], v[54:55]
	v_add_f64_e32 v[12:13], v[12:13], v[92:93]
	v_mul_f64_e32 v[54:55], v[50:51], v[68:69]
	v_fmac_f64_e32 v[56:57], v[10:11], v[62:63]
	v_fma_f64 v[62:63], v[8:9], v[62:63], -v[64:65]
	v_fma_f64 v[50:51], v[50:51], v[66:67], -v[60:61]
	v_add_f64_e32 v[58:59], v[4:5], v[58:59]
	v_add_f64_e32 v[12:13], v[12:13], v[82:83]
	ds_load_b128 v[8:11], v2 offset:544
	ds_load_b128 v[2:5], v2 offset:560
	v_fmac_f64_e32 v[54:55], v[52:53], v[66:67]
	s_wait_loadcnt_dscnt 0x201
	v_mul_f64_e32 v[64:65], v[8:9], v[72:73]
	v_mul_f64_e32 v[68:69], v[10:11], v[72:73]
	v_add_f64_e32 v[52:53], v[58:59], v[62:63]
	v_add_f64_e32 v[12:13], v[12:13], v[56:57]
	s_wait_loadcnt_dscnt 0x100
	v_mul_f64_e32 v[56:57], v[2:3], v[76:77]
	v_mul_f64_e32 v[58:59], v[4:5], v[76:77]
	v_fmac_f64_e32 v[64:65], v[10:11], v[70:71]
	v_fma_f64 v[8:9], v[8:9], v[70:71], -v[68:69]
	v_add_f64_e32 v[10:11], v[52:53], v[50:51]
	v_add_f64_e32 v[12:13], v[12:13], v[54:55]
	v_fmac_f64_e32 v[56:57], v[4:5], v[74:75]
	v_fma_f64 v[2:3], v[2:3], v[74:75], -v[58:59]
	s_delay_alu instid0(VALU_DEP_4) | instskip(NEXT) | instid1(VALU_DEP_4)
	v_add_f64_e32 v[4:5], v[10:11], v[8:9]
	v_add_f64_e32 v[8:9], v[12:13], v[64:65]
	s_delay_alu instid0(VALU_DEP_2) | instskip(NEXT) | instid1(VALU_DEP_2)
	v_add_f64_e32 v[2:3], v[4:5], v[2:3]
	v_add_f64_e32 v[4:5], v[8:9], v[56:57]
	s_wait_loadcnt 0x0
	s_delay_alu instid0(VALU_DEP_2) | instskip(NEXT) | instid1(VALU_DEP_2)
	v_add_f64_e64 v[2:3], v[86:87], -v[2:3]
	v_add_f64_e64 v[4:5], v[88:89], -v[4:5]
	scratch_store_b128 off, v[2:5], off offset:144
	s_wait_xcnt 0x0
	v_cmpx_lt_u32_e32 8, v1
	s_cbranch_execz .LBB17_105
; %bb.104:
	scratch_load_b128 v[2:5], off, s12
	v_mov_b32_e32 v8, 0
	s_delay_alu instid0(VALU_DEP_1)
	v_dual_mov_b32 v9, v8 :: v_dual_mov_b32 v10, v8
	v_mov_b32_e32 v11, v8
	scratch_store_b128 off, v[8:11], off offset:128
	s_wait_loadcnt 0x0
	ds_store_b128 v6, v[2:5]
.LBB17_105:
	s_wait_xcnt 0x0
	s_or_b32 exec_lo, exec_lo, s2
	s_wait_storecnt_dscnt 0x0
	s_barrier_signal -1
	s_barrier_wait -1
	s_clause 0x8
	scratch_load_b128 v[8:11], off, off offset:144
	scratch_load_b128 v[50:53], off, off offset:160
	;; [unrolled: 1-line block ×9, first 2 shown]
	v_mov_b32_e32 v2, 0
	scratch_load_b128 v[86:89], off, off offset:128
	s_mov_b32 s2, exec_lo
	ds_load_b128 v[82:85], v2 offset:432
	ds_load_b128 v[90:93], v2 offset:448
	s_wait_loadcnt_dscnt 0x901
	v_mul_f64_e32 v[4:5], v[84:85], v[10:11]
	v_mul_f64_e32 v[12:13], v[82:83], v[10:11]
	s_wait_loadcnt_dscnt 0x800
	v_mul_f64_e32 v[94:95], v[90:91], v[52:53]
	v_mul_f64_e32 v[52:53], v[92:93], v[52:53]
	s_delay_alu instid0(VALU_DEP_4) | instskip(NEXT) | instid1(VALU_DEP_4)
	v_fma_f64 v[4:5], v[82:83], v[8:9], -v[4:5]
	v_fmac_f64_e32 v[12:13], v[84:85], v[8:9]
	ds_load_b128 v[8:11], v2 offset:464
	ds_load_b128 v[82:85], v2 offset:480
	v_fmac_f64_e32 v[94:95], v[92:93], v[50:51]
	v_fma_f64 v[50:51], v[90:91], v[50:51], -v[52:53]
	s_wait_loadcnt_dscnt 0x701
	v_mul_f64_e32 v[96:97], v[8:9], v[56:57]
	v_mul_f64_e32 v[56:57], v[10:11], v[56:57]
	s_wait_loadcnt_dscnt 0x600
	v_mul_f64_e32 v[90:91], v[82:83], v[60:61]
	v_mul_f64_e32 v[60:61], v[84:85], v[60:61]
	v_add_f64_e32 v[4:5], 0, v[4:5]
	v_add_f64_e32 v[12:13], 0, v[12:13]
	v_fmac_f64_e32 v[96:97], v[10:11], v[54:55]
	v_fma_f64 v[54:55], v[8:9], v[54:55], -v[56:57]
	v_fmac_f64_e32 v[90:91], v[84:85], v[58:59]
	v_fma_f64 v[58:59], v[82:83], v[58:59], -v[60:61]
	v_add_f64_e32 v[4:5], v[4:5], v[50:51]
	v_add_f64_e32 v[12:13], v[12:13], v[94:95]
	ds_load_b128 v[8:11], v2 offset:496
	ds_load_b128 v[50:53], v2 offset:512
	s_wait_loadcnt_dscnt 0x501
	v_mul_f64_e32 v[92:93], v[8:9], v[64:65]
	v_mul_f64_e32 v[56:57], v[10:11], v[64:65]
	s_wait_loadcnt_dscnt 0x400
	v_mul_f64_e32 v[60:61], v[50:51], v[68:69]
	v_mul_f64_e32 v[64:65], v[52:53], v[68:69]
	v_add_f64_e32 v[4:5], v[4:5], v[54:55]
	v_add_f64_e32 v[12:13], v[12:13], v[96:97]
	v_fmac_f64_e32 v[92:93], v[10:11], v[62:63]
	v_fma_f64 v[62:63], v[8:9], v[62:63], -v[56:57]
	ds_load_b128 v[8:11], v2 offset:528
	ds_load_b128 v[54:57], v2 offset:544
	v_fmac_f64_e32 v[60:61], v[52:53], v[66:67]
	v_fma_f64 v[50:51], v[50:51], v[66:67], -v[64:65]
	v_add_f64_e32 v[4:5], v[4:5], v[58:59]
	v_add_f64_e32 v[12:13], v[12:13], v[90:91]
	s_wait_loadcnt_dscnt 0x301
	v_mul_f64_e32 v[58:59], v[8:9], v[72:73]
	v_mul_f64_e32 v[68:69], v[10:11], v[72:73]
	s_wait_loadcnt_dscnt 0x200
	v_mul_f64_e32 v[52:53], v[54:55], v[76:77]
	v_add_f64_e32 v[4:5], v[4:5], v[62:63]
	v_add_f64_e32 v[12:13], v[12:13], v[92:93]
	v_mul_f64_e32 v[62:63], v[56:57], v[76:77]
	v_fmac_f64_e32 v[58:59], v[10:11], v[70:71]
	v_fma_f64 v[64:65], v[8:9], v[70:71], -v[68:69]
	ds_load_b128 v[8:11], v2 offset:560
	v_fmac_f64_e32 v[52:53], v[56:57], v[74:75]
	v_add_f64_e32 v[4:5], v[4:5], v[50:51]
	v_add_f64_e32 v[12:13], v[12:13], v[60:61]
	s_wait_loadcnt_dscnt 0x100
	v_mul_f64_e32 v[50:51], v[8:9], v[80:81]
	v_mul_f64_e32 v[60:61], v[10:11], v[80:81]
	v_fma_f64 v[54:55], v[54:55], v[74:75], -v[62:63]
	v_add_f64_e32 v[4:5], v[4:5], v[64:65]
	v_add_f64_e32 v[12:13], v[12:13], v[58:59]
	v_fmac_f64_e32 v[50:51], v[10:11], v[78:79]
	v_fma_f64 v[8:9], v[8:9], v[78:79], -v[60:61]
	s_delay_alu instid0(VALU_DEP_4) | instskip(NEXT) | instid1(VALU_DEP_4)
	v_add_f64_e32 v[4:5], v[4:5], v[54:55]
	v_add_f64_e32 v[10:11], v[12:13], v[52:53]
	s_delay_alu instid0(VALU_DEP_2) | instskip(NEXT) | instid1(VALU_DEP_2)
	v_add_f64_e32 v[4:5], v[4:5], v[8:9]
	v_add_f64_e32 v[10:11], v[10:11], v[50:51]
	s_wait_loadcnt 0x0
	s_delay_alu instid0(VALU_DEP_2) | instskip(NEXT) | instid1(VALU_DEP_2)
	v_add_f64_e64 v[8:9], v[86:87], -v[4:5]
	v_add_f64_e64 v[10:11], v[88:89], -v[10:11]
	scratch_store_b128 off, v[8:11], off offset:128
	s_wait_xcnt 0x0
	v_cmpx_lt_u32_e32 7, v1
	s_cbranch_execz .LBB17_107
; %bb.106:
	scratch_load_b128 v[8:11], off, s21
	v_dual_mov_b32 v3, v2 :: v_dual_mov_b32 v4, v2
	v_mov_b32_e32 v5, v2
	scratch_store_b128 off, v[2:5], off offset:112
	s_wait_loadcnt 0x0
	ds_store_b128 v6, v[8:11]
.LBB17_107:
	s_wait_xcnt 0x0
	s_or_b32 exec_lo, exec_lo, s2
	s_wait_storecnt_dscnt 0x0
	s_barrier_signal -1
	s_barrier_wait -1
	s_clause 0x9
	scratch_load_b128 v[8:11], off, off offset:128
	scratch_load_b128 v[50:53], off, off offset:144
	;; [unrolled: 1-line block ×10, first 2 shown]
	ds_load_b128 v[86:89], v2 offset:416
	ds_load_b128 v[90:93], v2 offset:432
	scratch_load_b128 v[94:97], off, off offset:112
	s_mov_b32 s2, exec_lo
	s_wait_loadcnt_dscnt 0xa01
	v_mul_f64_e32 v[4:5], v[88:89], v[10:11]
	v_mul_f64_e32 v[12:13], v[86:87], v[10:11]
	s_wait_loadcnt_dscnt 0x900
	v_mul_f64_e32 v[98:99], v[90:91], v[52:53]
	v_mul_f64_e32 v[52:53], v[92:93], v[52:53]
	s_delay_alu instid0(VALU_DEP_4) | instskip(NEXT) | instid1(VALU_DEP_4)
	v_fma_f64 v[4:5], v[86:87], v[8:9], -v[4:5]
	v_fmac_f64_e32 v[12:13], v[88:89], v[8:9]
	ds_load_b128 v[8:11], v2 offset:448
	ds_load_b128 v[86:89], v2 offset:464
	v_fmac_f64_e32 v[98:99], v[92:93], v[50:51]
	v_fma_f64 v[50:51], v[90:91], v[50:51], -v[52:53]
	s_wait_loadcnt_dscnt 0x801
	v_mul_f64_e32 v[100:101], v[8:9], v[56:57]
	v_mul_f64_e32 v[56:57], v[10:11], v[56:57]
	s_wait_loadcnt_dscnt 0x700
	v_mul_f64_e32 v[90:91], v[86:87], v[60:61]
	v_mul_f64_e32 v[60:61], v[88:89], v[60:61]
	v_add_f64_e32 v[4:5], 0, v[4:5]
	v_add_f64_e32 v[12:13], 0, v[12:13]
	v_fmac_f64_e32 v[100:101], v[10:11], v[54:55]
	v_fma_f64 v[54:55], v[8:9], v[54:55], -v[56:57]
	v_fmac_f64_e32 v[90:91], v[88:89], v[58:59]
	v_fma_f64 v[58:59], v[86:87], v[58:59], -v[60:61]
	v_add_f64_e32 v[4:5], v[4:5], v[50:51]
	v_add_f64_e32 v[12:13], v[12:13], v[98:99]
	ds_load_b128 v[8:11], v2 offset:480
	ds_load_b128 v[50:53], v2 offset:496
	s_wait_loadcnt_dscnt 0x601
	v_mul_f64_e32 v[92:93], v[8:9], v[64:65]
	v_mul_f64_e32 v[56:57], v[10:11], v[64:65]
	s_wait_loadcnt_dscnt 0x500
	v_mul_f64_e32 v[60:61], v[50:51], v[68:69]
	v_mul_f64_e32 v[64:65], v[52:53], v[68:69]
	v_add_f64_e32 v[4:5], v[4:5], v[54:55]
	v_add_f64_e32 v[12:13], v[12:13], v[100:101]
	v_fmac_f64_e32 v[92:93], v[10:11], v[62:63]
	v_fma_f64 v[62:63], v[8:9], v[62:63], -v[56:57]
	ds_load_b128 v[8:11], v2 offset:512
	ds_load_b128 v[54:57], v2 offset:528
	v_fmac_f64_e32 v[60:61], v[52:53], v[66:67]
	v_fma_f64 v[50:51], v[50:51], v[66:67], -v[64:65]
	v_add_f64_e32 v[4:5], v[4:5], v[58:59]
	v_add_f64_e32 v[12:13], v[12:13], v[90:91]
	s_wait_loadcnt_dscnt 0x401
	v_mul_f64_e32 v[58:59], v[8:9], v[72:73]
	v_mul_f64_e32 v[68:69], v[10:11], v[72:73]
	s_wait_loadcnt_dscnt 0x300
	v_mul_f64_e32 v[52:53], v[54:55], v[76:77]
	v_add_f64_e32 v[4:5], v[4:5], v[62:63]
	v_add_f64_e32 v[12:13], v[12:13], v[92:93]
	v_mul_f64_e32 v[62:63], v[56:57], v[76:77]
	v_fmac_f64_e32 v[58:59], v[10:11], v[70:71]
	v_fma_f64 v[64:65], v[8:9], v[70:71], -v[68:69]
	v_fmac_f64_e32 v[52:53], v[56:57], v[74:75]
	v_add_f64_e32 v[50:51], v[4:5], v[50:51]
	v_add_f64_e32 v[12:13], v[12:13], v[60:61]
	ds_load_b128 v[8:11], v2 offset:544
	ds_load_b128 v[2:5], v2 offset:560
	v_fma_f64 v[54:55], v[54:55], v[74:75], -v[62:63]
	s_wait_loadcnt_dscnt 0x201
	v_mul_f64_e32 v[60:61], v[8:9], v[80:81]
	v_mul_f64_e32 v[66:67], v[10:11], v[80:81]
	s_wait_loadcnt_dscnt 0x100
	v_mul_f64_e32 v[56:57], v[2:3], v[84:85]
	v_add_f64_e32 v[50:51], v[50:51], v[64:65]
	v_add_f64_e32 v[12:13], v[12:13], v[58:59]
	v_mul_f64_e32 v[58:59], v[4:5], v[84:85]
	v_fmac_f64_e32 v[60:61], v[10:11], v[78:79]
	v_fma_f64 v[8:9], v[8:9], v[78:79], -v[66:67]
	v_fmac_f64_e32 v[56:57], v[4:5], v[82:83]
	v_add_f64_e32 v[10:11], v[50:51], v[54:55]
	v_add_f64_e32 v[12:13], v[12:13], v[52:53]
	v_fma_f64 v[2:3], v[2:3], v[82:83], -v[58:59]
	s_delay_alu instid0(VALU_DEP_3) | instskip(NEXT) | instid1(VALU_DEP_3)
	v_add_f64_e32 v[4:5], v[10:11], v[8:9]
	v_add_f64_e32 v[8:9], v[12:13], v[60:61]
	s_delay_alu instid0(VALU_DEP_2) | instskip(NEXT) | instid1(VALU_DEP_2)
	v_add_f64_e32 v[2:3], v[4:5], v[2:3]
	v_add_f64_e32 v[4:5], v[8:9], v[56:57]
	s_wait_loadcnt 0x0
	s_delay_alu instid0(VALU_DEP_2) | instskip(NEXT) | instid1(VALU_DEP_2)
	v_add_f64_e64 v[2:3], v[94:95], -v[2:3]
	v_add_f64_e64 v[4:5], v[96:97], -v[4:5]
	scratch_store_b128 off, v[2:5], off offset:112
	s_wait_xcnt 0x0
	v_cmpx_lt_u32_e32 6, v1
	s_cbranch_execz .LBB17_109
; %bb.108:
	scratch_load_b128 v[2:5], off, s15
	v_mov_b32_e32 v8, 0
	s_delay_alu instid0(VALU_DEP_1)
	v_dual_mov_b32 v9, v8 :: v_dual_mov_b32 v10, v8
	v_mov_b32_e32 v11, v8
	scratch_store_b128 off, v[8:11], off offset:96
	s_wait_loadcnt 0x0
	ds_store_b128 v6, v[2:5]
.LBB17_109:
	s_wait_xcnt 0x0
	s_or_b32 exec_lo, exec_lo, s2
	s_wait_storecnt_dscnt 0x0
	s_barrier_signal -1
	s_barrier_wait -1
	s_clause 0x9
	scratch_load_b128 v[8:11], off, off offset:112
	scratch_load_b128 v[50:53], off, off offset:128
	;; [unrolled: 1-line block ×10, first 2 shown]
	v_mov_b32_e32 v2, 0
	s_mov_b32 s2, exec_lo
	ds_load_b128 v[86:89], v2 offset:400
	s_clause 0x1
	scratch_load_b128 v[90:93], off, off offset:272
	scratch_load_b128 v[94:97], off, off offset:96
	s_wait_loadcnt_dscnt 0xb00
	v_mul_f64_e32 v[4:5], v[88:89], v[10:11]
	v_mul_f64_e32 v[12:13], v[86:87], v[10:11]
	ds_load_b128 v[98:101], v2 offset:416
	s_wait_loadcnt_dscnt 0xa00
	v_mul_f64_e32 v[102:103], v[98:99], v[52:53]
	v_mul_f64_e32 v[52:53], v[100:101], v[52:53]
	v_fma_f64 v[4:5], v[86:87], v[8:9], -v[4:5]
	v_fmac_f64_e32 v[12:13], v[88:89], v[8:9]
	ds_load_b128 v[8:11], v2 offset:432
	ds_load_b128 v[86:89], v2 offset:448
	s_wait_loadcnt_dscnt 0x901
	v_mul_f64_e32 v[104:105], v[8:9], v[56:57]
	v_mul_f64_e32 v[56:57], v[10:11], v[56:57]
	v_fmac_f64_e32 v[102:103], v[100:101], v[50:51]
	v_fma_f64 v[50:51], v[98:99], v[50:51], -v[52:53]
	s_wait_loadcnt_dscnt 0x800
	v_mul_f64_e32 v[98:99], v[86:87], v[60:61]
	v_mul_f64_e32 v[60:61], v[88:89], v[60:61]
	v_add_f64_e32 v[4:5], 0, v[4:5]
	v_add_f64_e32 v[12:13], 0, v[12:13]
	v_fmac_f64_e32 v[104:105], v[10:11], v[54:55]
	v_fma_f64 v[54:55], v[8:9], v[54:55], -v[56:57]
	v_fmac_f64_e32 v[98:99], v[88:89], v[58:59]
	v_fma_f64 v[58:59], v[86:87], v[58:59], -v[60:61]
	v_add_f64_e32 v[4:5], v[4:5], v[50:51]
	v_add_f64_e32 v[12:13], v[12:13], v[102:103]
	ds_load_b128 v[8:11], v2 offset:464
	ds_load_b128 v[50:53], v2 offset:480
	s_wait_loadcnt_dscnt 0x701
	v_mul_f64_e32 v[100:101], v[8:9], v[64:65]
	v_mul_f64_e32 v[56:57], v[10:11], v[64:65]
	s_wait_loadcnt_dscnt 0x600
	v_mul_f64_e32 v[60:61], v[50:51], v[68:69]
	v_mul_f64_e32 v[64:65], v[52:53], v[68:69]
	v_add_f64_e32 v[4:5], v[4:5], v[54:55]
	v_add_f64_e32 v[12:13], v[12:13], v[104:105]
	v_fmac_f64_e32 v[100:101], v[10:11], v[62:63]
	v_fma_f64 v[62:63], v[8:9], v[62:63], -v[56:57]
	ds_load_b128 v[8:11], v2 offset:496
	ds_load_b128 v[54:57], v2 offset:512
	v_fmac_f64_e32 v[60:61], v[52:53], v[66:67]
	v_fma_f64 v[50:51], v[50:51], v[66:67], -v[64:65]
	v_add_f64_e32 v[4:5], v[4:5], v[58:59]
	v_add_f64_e32 v[12:13], v[12:13], v[98:99]
	s_wait_loadcnt_dscnt 0x501
	v_mul_f64_e32 v[58:59], v[8:9], v[72:73]
	v_mul_f64_e32 v[68:69], v[10:11], v[72:73]
	s_wait_loadcnt_dscnt 0x400
	v_mul_f64_e32 v[64:65], v[56:57], v[76:77]
	v_add_f64_e32 v[4:5], v[4:5], v[62:63]
	v_add_f64_e32 v[12:13], v[12:13], v[100:101]
	v_mul_f64_e32 v[62:63], v[54:55], v[76:77]
	v_fmac_f64_e32 v[58:59], v[10:11], v[70:71]
	v_fma_f64 v[66:67], v[8:9], v[70:71], -v[68:69]
	v_fma_f64 v[54:55], v[54:55], v[74:75], -v[64:65]
	v_add_f64_e32 v[4:5], v[4:5], v[50:51]
	v_add_f64_e32 v[12:13], v[12:13], v[60:61]
	ds_load_b128 v[8:11], v2 offset:528
	ds_load_b128 v[50:53], v2 offset:544
	v_fmac_f64_e32 v[62:63], v[56:57], v[74:75]
	s_wait_loadcnt_dscnt 0x301
	v_mul_f64_e32 v[60:61], v[8:9], v[80:81]
	v_mul_f64_e32 v[68:69], v[10:11], v[80:81]
	s_wait_loadcnt_dscnt 0x200
	v_mul_f64_e32 v[56:57], v[50:51], v[84:85]
	v_add_f64_e32 v[4:5], v[4:5], v[66:67]
	v_add_f64_e32 v[12:13], v[12:13], v[58:59]
	v_mul_f64_e32 v[58:59], v[52:53], v[84:85]
	v_fmac_f64_e32 v[60:61], v[10:11], v[78:79]
	v_fma_f64 v[64:65], v[8:9], v[78:79], -v[68:69]
	ds_load_b128 v[8:11], v2 offset:560
	v_fmac_f64_e32 v[56:57], v[52:53], v[82:83]
	v_add_f64_e32 v[4:5], v[4:5], v[54:55]
	v_add_f64_e32 v[12:13], v[12:13], v[62:63]
	v_fma_f64 v[50:51], v[50:51], v[82:83], -v[58:59]
	s_wait_loadcnt_dscnt 0x100
	v_mul_f64_e32 v[54:55], v[8:9], v[92:93]
	v_mul_f64_e32 v[62:63], v[10:11], v[92:93]
	v_add_f64_e32 v[4:5], v[4:5], v[64:65]
	v_add_f64_e32 v[12:13], v[12:13], v[60:61]
	s_delay_alu instid0(VALU_DEP_4) | instskip(NEXT) | instid1(VALU_DEP_4)
	v_fmac_f64_e32 v[54:55], v[10:11], v[90:91]
	v_fma_f64 v[8:9], v[8:9], v[90:91], -v[62:63]
	s_delay_alu instid0(VALU_DEP_4) | instskip(NEXT) | instid1(VALU_DEP_4)
	v_add_f64_e32 v[4:5], v[4:5], v[50:51]
	v_add_f64_e32 v[10:11], v[12:13], v[56:57]
	s_delay_alu instid0(VALU_DEP_2) | instskip(NEXT) | instid1(VALU_DEP_2)
	v_add_f64_e32 v[4:5], v[4:5], v[8:9]
	v_add_f64_e32 v[10:11], v[10:11], v[54:55]
	s_wait_loadcnt 0x0
	s_delay_alu instid0(VALU_DEP_2) | instskip(NEXT) | instid1(VALU_DEP_2)
	v_add_f64_e64 v[8:9], v[94:95], -v[4:5]
	v_add_f64_e64 v[10:11], v[96:97], -v[10:11]
	scratch_store_b128 off, v[8:11], off offset:96
	s_wait_xcnt 0x0
	v_cmpx_lt_u32_e32 5, v1
	s_cbranch_execz .LBB17_111
; %bb.110:
	scratch_load_b128 v[8:11], off, s13
	v_dual_mov_b32 v3, v2 :: v_dual_mov_b32 v4, v2
	v_mov_b32_e32 v5, v2
	scratch_store_b128 off, v[2:5], off offset:80
	s_wait_loadcnt 0x0
	ds_store_b128 v6, v[8:11]
.LBB17_111:
	s_wait_xcnt 0x0
	s_or_b32 exec_lo, exec_lo, s2
	s_wait_storecnt_dscnt 0x0
	s_barrier_signal -1
	s_barrier_wait -1
	s_clause 0x9
	scratch_load_b128 v[8:11], off, off offset:96
	scratch_load_b128 v[50:53], off, off offset:112
	;; [unrolled: 1-line block ×10, first 2 shown]
	ds_load_b128 v[86:89], v2 offset:384
	ds_load_b128 v[94:97], v2 offset:400
	s_clause 0x1
	scratch_load_b128 v[90:93], off, off offset:256
	scratch_load_b128 v[98:101], off, off offset:80
	s_mov_b32 s2, exec_lo
	s_wait_loadcnt_dscnt 0xb01
	v_mul_f64_e32 v[4:5], v[88:89], v[10:11]
	v_mul_f64_e32 v[106:107], v[86:87], v[10:11]
	scratch_load_b128 v[10:13], off, off offset:272
	s_wait_loadcnt_dscnt 0xb00
	v_mul_f64_e32 v[108:109], v[94:95], v[52:53]
	v_mul_f64_e32 v[52:53], v[96:97], v[52:53]
	v_fma_f64 v[4:5], v[86:87], v[8:9], -v[4:5]
	v_fmac_f64_e32 v[106:107], v[88:89], v[8:9]
	ds_load_b128 v[86:89], v2 offset:416
	ds_load_b128 v[102:105], v2 offset:432
	v_fmac_f64_e32 v[108:109], v[96:97], v[50:51]
	v_fma_f64 v[50:51], v[94:95], v[50:51], -v[52:53]
	s_wait_loadcnt_dscnt 0xa01
	v_mul_f64_e32 v[8:9], v[86:87], v[56:57]
	v_mul_f64_e32 v[56:57], v[88:89], v[56:57]
	s_wait_loadcnt_dscnt 0x900
	v_mul_f64_e32 v[94:95], v[102:103], v[60:61]
	v_mul_f64_e32 v[60:61], v[104:105], v[60:61]
	v_add_f64_e32 v[4:5], 0, v[4:5]
	v_add_f64_e32 v[52:53], 0, v[106:107]
	v_fmac_f64_e32 v[8:9], v[88:89], v[54:55]
	v_fma_f64 v[86:87], v[86:87], v[54:55], -v[56:57]
	v_fmac_f64_e32 v[94:95], v[104:105], v[58:59]
	v_fma_f64 v[58:59], v[102:103], v[58:59], -v[60:61]
	v_add_f64_e32 v[4:5], v[4:5], v[50:51]
	v_add_f64_e32 v[88:89], v[52:53], v[108:109]
	ds_load_b128 v[50:53], v2 offset:448
	ds_load_b128 v[54:57], v2 offset:464
	s_wait_loadcnt_dscnt 0x801
	v_mul_f64_e32 v[96:97], v[50:51], v[64:65]
	v_mul_f64_e32 v[64:65], v[52:53], v[64:65]
	v_add_f64_e32 v[4:5], v[4:5], v[86:87]
	v_add_f64_e32 v[8:9], v[88:89], v[8:9]
	s_wait_loadcnt_dscnt 0x700
	v_mul_f64_e32 v[86:87], v[54:55], v[68:69]
	v_mul_f64_e32 v[68:69], v[56:57], v[68:69]
	v_fmac_f64_e32 v[96:97], v[52:53], v[62:63]
	v_fma_f64 v[62:63], v[50:51], v[62:63], -v[64:65]
	v_add_f64_e32 v[4:5], v[4:5], v[58:59]
	v_add_f64_e32 v[8:9], v[8:9], v[94:95]
	ds_load_b128 v[50:53], v2 offset:480
	ds_load_b128 v[58:61], v2 offset:496
	v_fmac_f64_e32 v[86:87], v[56:57], v[66:67]
	v_fma_f64 v[54:55], v[54:55], v[66:67], -v[68:69]
	s_wait_loadcnt_dscnt 0x601
	v_mul_f64_e32 v[64:65], v[50:51], v[72:73]
	v_mul_f64_e32 v[72:73], v[52:53], v[72:73]
	s_wait_loadcnt_dscnt 0x500
	v_mul_f64_e32 v[66:67], v[60:61], v[76:77]
	v_add_f64_e32 v[4:5], v[4:5], v[62:63]
	v_add_f64_e32 v[8:9], v[8:9], v[96:97]
	v_mul_f64_e32 v[62:63], v[58:59], v[76:77]
	v_fmac_f64_e32 v[64:65], v[52:53], v[70:71]
	v_fma_f64 v[68:69], v[50:51], v[70:71], -v[72:73]
	v_fma_f64 v[58:59], v[58:59], v[74:75], -v[66:67]
	v_add_f64_e32 v[4:5], v[4:5], v[54:55]
	v_add_f64_e32 v[8:9], v[8:9], v[86:87]
	ds_load_b128 v[50:53], v2 offset:512
	ds_load_b128 v[54:57], v2 offset:528
	v_fmac_f64_e32 v[62:63], v[60:61], v[74:75]
	s_wait_loadcnt_dscnt 0x401
	v_mul_f64_e32 v[70:71], v[50:51], v[80:81]
	v_mul_f64_e32 v[72:73], v[52:53], v[80:81]
	s_wait_loadcnt_dscnt 0x300
	v_mul_f64_e32 v[60:61], v[54:55], v[84:85]
	v_add_f64_e32 v[4:5], v[4:5], v[68:69]
	v_add_f64_e32 v[8:9], v[8:9], v[64:65]
	v_mul_f64_e32 v[64:65], v[56:57], v[84:85]
	v_fmac_f64_e32 v[70:71], v[52:53], v[78:79]
	v_fma_f64 v[66:67], v[50:51], v[78:79], -v[72:73]
	v_fmac_f64_e32 v[60:61], v[56:57], v[82:83]
	v_add_f64_e32 v[58:59], v[4:5], v[58:59]
	v_add_f64_e32 v[8:9], v[8:9], v[62:63]
	ds_load_b128 v[50:53], v2 offset:544
	ds_load_b128 v[2:5], v2 offset:560
	v_fma_f64 v[54:55], v[54:55], v[82:83], -v[64:65]
	s_wait_loadcnt_dscnt 0x201
	v_mul_f64_e32 v[62:63], v[50:51], v[92:93]
	v_mul_f64_e32 v[68:69], v[52:53], v[92:93]
	v_add_f64_e32 v[56:57], v[58:59], v[66:67]
	v_add_f64_e32 v[8:9], v[8:9], v[70:71]
	s_wait_loadcnt_dscnt 0x0
	v_mul_f64_e32 v[58:59], v[2:3], v[12:13]
	v_mul_f64_e32 v[12:13], v[4:5], v[12:13]
	v_fmac_f64_e32 v[62:63], v[52:53], v[90:91]
	v_fma_f64 v[50:51], v[50:51], v[90:91], -v[68:69]
	v_add_f64_e32 v[52:53], v[56:57], v[54:55]
	v_add_f64_e32 v[8:9], v[8:9], v[60:61]
	v_fmac_f64_e32 v[58:59], v[4:5], v[10:11]
	v_fma_f64 v[2:3], v[2:3], v[10:11], -v[12:13]
	s_delay_alu instid0(VALU_DEP_4) | instskip(NEXT) | instid1(VALU_DEP_4)
	v_add_f64_e32 v[4:5], v[52:53], v[50:51]
	v_add_f64_e32 v[8:9], v[8:9], v[62:63]
	s_delay_alu instid0(VALU_DEP_2) | instskip(NEXT) | instid1(VALU_DEP_2)
	v_add_f64_e32 v[2:3], v[4:5], v[2:3]
	v_add_f64_e32 v[4:5], v[8:9], v[58:59]
	s_delay_alu instid0(VALU_DEP_2) | instskip(NEXT) | instid1(VALU_DEP_2)
	v_add_f64_e64 v[2:3], v[98:99], -v[2:3]
	v_add_f64_e64 v[4:5], v[100:101], -v[4:5]
	scratch_store_b128 off, v[2:5], off offset:80
	s_wait_xcnt 0x0
	v_cmpx_lt_u32_e32 4, v1
	s_cbranch_execz .LBB17_113
; %bb.112:
	scratch_load_b128 v[2:5], off, s10
	v_mov_b32_e32 v8, 0
	s_delay_alu instid0(VALU_DEP_1)
	v_dual_mov_b32 v9, v8 :: v_dual_mov_b32 v10, v8
	v_mov_b32_e32 v11, v8
	scratch_store_b128 off, v[8:11], off offset:64
	s_wait_loadcnt 0x0
	ds_store_b128 v6, v[2:5]
.LBB17_113:
	s_wait_xcnt 0x0
	s_or_b32 exec_lo, exec_lo, s2
	s_wait_storecnt_dscnt 0x0
	s_barrier_signal -1
	s_barrier_wait -1
	s_clause 0x9
	scratch_load_b128 v[8:11], off, off offset:80
	scratch_load_b128 v[50:53], off, off offset:96
	;; [unrolled: 1-line block ×10, first 2 shown]
	v_mov_b32_e32 v2, 0
	s_mov_b32 s2, exec_lo
	ds_load_b128 v[86:89], v2 offset:368
	s_clause 0x2
	scratch_load_b128 v[90:93], off, off offset:240
	scratch_load_b128 v[94:97], off, off offset:64
	;; [unrolled: 1-line block ×3, first 2 shown]
	s_wait_loadcnt_dscnt 0xc00
	v_mul_f64_e32 v[4:5], v[88:89], v[10:11]
	v_mul_f64_e32 v[110:111], v[86:87], v[10:11]
	ds_load_b128 v[98:101], v2 offset:384
	scratch_load_b128 v[10:13], off, off offset:256
	ds_load_b128 v[106:109], v2 offset:416
	v_fma_f64 v[4:5], v[86:87], v[8:9], -v[4:5]
	v_fmac_f64_e32 v[110:111], v[88:89], v[8:9]
	ds_load_b128 v[86:89], v2 offset:400
	s_wait_loadcnt_dscnt 0xc02
	v_mul_f64_e32 v[112:113], v[98:99], v[52:53]
	v_mul_f64_e32 v[52:53], v[100:101], v[52:53]
	s_wait_loadcnt_dscnt 0xb00
	v_mul_f64_e32 v[8:9], v[86:87], v[56:57]
	v_mul_f64_e32 v[56:57], v[88:89], v[56:57]
	v_add_f64_e32 v[4:5], 0, v[4:5]
	v_fmac_f64_e32 v[112:113], v[100:101], v[50:51]
	v_fma_f64 v[50:51], v[98:99], v[50:51], -v[52:53]
	v_add_f64_e32 v[52:53], 0, v[110:111]
	s_wait_loadcnt 0xa
	v_mul_f64_e32 v[98:99], v[106:107], v[60:61]
	v_mul_f64_e32 v[60:61], v[108:109], v[60:61]
	v_fmac_f64_e32 v[8:9], v[88:89], v[54:55]
	v_fma_f64 v[86:87], v[86:87], v[54:55], -v[56:57]
	v_add_f64_e32 v[4:5], v[4:5], v[50:51]
	v_add_f64_e32 v[88:89], v[52:53], v[112:113]
	ds_load_b128 v[50:53], v2 offset:432
	ds_load_b128 v[54:57], v2 offset:448
	v_fmac_f64_e32 v[98:99], v[108:109], v[58:59]
	v_fma_f64 v[58:59], v[106:107], v[58:59], -v[60:61]
	s_wait_loadcnt_dscnt 0x901
	v_mul_f64_e32 v[100:101], v[50:51], v[64:65]
	v_mul_f64_e32 v[64:65], v[52:53], v[64:65]
	v_add_f64_e32 v[4:5], v[4:5], v[86:87]
	v_add_f64_e32 v[8:9], v[88:89], v[8:9]
	s_wait_loadcnt_dscnt 0x800
	v_mul_f64_e32 v[86:87], v[54:55], v[68:69]
	v_mul_f64_e32 v[68:69], v[56:57], v[68:69]
	v_fmac_f64_e32 v[100:101], v[52:53], v[62:63]
	v_fma_f64 v[62:63], v[50:51], v[62:63], -v[64:65]
	v_add_f64_e32 v[4:5], v[4:5], v[58:59]
	v_add_f64_e32 v[8:9], v[8:9], v[98:99]
	ds_load_b128 v[50:53], v2 offset:464
	ds_load_b128 v[58:61], v2 offset:480
	v_fmac_f64_e32 v[86:87], v[56:57], v[66:67]
	v_fma_f64 v[54:55], v[54:55], v[66:67], -v[68:69]
	s_wait_loadcnt_dscnt 0x701
	v_mul_f64_e32 v[64:65], v[50:51], v[72:73]
	v_mul_f64_e32 v[72:73], v[52:53], v[72:73]
	s_wait_loadcnt_dscnt 0x600
	v_mul_f64_e32 v[66:67], v[60:61], v[76:77]
	v_add_f64_e32 v[4:5], v[4:5], v[62:63]
	v_add_f64_e32 v[8:9], v[8:9], v[100:101]
	v_mul_f64_e32 v[62:63], v[58:59], v[76:77]
	v_fmac_f64_e32 v[64:65], v[52:53], v[70:71]
	v_fma_f64 v[68:69], v[50:51], v[70:71], -v[72:73]
	v_fma_f64 v[58:59], v[58:59], v[74:75], -v[66:67]
	v_add_f64_e32 v[4:5], v[4:5], v[54:55]
	v_add_f64_e32 v[8:9], v[8:9], v[86:87]
	ds_load_b128 v[50:53], v2 offset:496
	ds_load_b128 v[54:57], v2 offset:512
	v_fmac_f64_e32 v[62:63], v[60:61], v[74:75]
	s_wait_loadcnt_dscnt 0x501
	v_mul_f64_e32 v[70:71], v[50:51], v[80:81]
	v_mul_f64_e32 v[72:73], v[52:53], v[80:81]
	s_wait_loadcnt_dscnt 0x400
	v_mul_f64_e32 v[66:67], v[56:57], v[84:85]
	v_add_f64_e32 v[4:5], v[4:5], v[68:69]
	v_add_f64_e32 v[8:9], v[8:9], v[64:65]
	v_mul_f64_e32 v[64:65], v[54:55], v[84:85]
	v_fmac_f64_e32 v[70:71], v[52:53], v[78:79]
	v_fma_f64 v[68:69], v[50:51], v[78:79], -v[72:73]
	v_fma_f64 v[54:55], v[54:55], v[82:83], -v[66:67]
	v_add_f64_e32 v[4:5], v[4:5], v[58:59]
	v_add_f64_e32 v[8:9], v[8:9], v[62:63]
	ds_load_b128 v[50:53], v2 offset:528
	ds_load_b128 v[58:61], v2 offset:544
	v_fmac_f64_e32 v[64:65], v[56:57], v[82:83]
	s_wait_loadcnt_dscnt 0x301
	v_mul_f64_e32 v[62:63], v[50:51], v[92:93]
	v_mul_f64_e32 v[72:73], v[52:53], v[92:93]
	s_wait_loadcnt_dscnt 0x0
	v_mul_f64_e32 v[56:57], v[58:59], v[12:13]
	v_add_f64_e32 v[4:5], v[4:5], v[68:69]
	v_add_f64_e32 v[8:9], v[8:9], v[70:71]
	v_mul_f64_e32 v[12:13], v[60:61], v[12:13]
	v_fmac_f64_e32 v[62:63], v[52:53], v[90:91]
	v_fma_f64 v[66:67], v[50:51], v[90:91], -v[72:73]
	ds_load_b128 v[50:53], v2 offset:560
	v_fmac_f64_e32 v[56:57], v[60:61], v[10:11]
	v_add_f64_e32 v[4:5], v[4:5], v[54:55]
	v_add_f64_e32 v[8:9], v[8:9], v[64:65]
	v_fma_f64 v[10:11], v[58:59], v[10:11], -v[12:13]
	s_wait_dscnt 0x0
	v_mul_f64_e32 v[54:55], v[50:51], v[104:105]
	v_mul_f64_e32 v[64:65], v[52:53], v[104:105]
	v_add_f64_e32 v[4:5], v[4:5], v[66:67]
	v_add_f64_e32 v[8:9], v[8:9], v[62:63]
	s_delay_alu instid0(VALU_DEP_4) | instskip(NEXT) | instid1(VALU_DEP_4)
	v_fmac_f64_e32 v[54:55], v[52:53], v[102:103]
	v_fma_f64 v[12:13], v[50:51], v[102:103], -v[64:65]
	s_delay_alu instid0(VALU_DEP_4) | instskip(NEXT) | instid1(VALU_DEP_4)
	v_add_f64_e32 v[4:5], v[4:5], v[10:11]
	v_add_f64_e32 v[8:9], v[8:9], v[56:57]
	s_delay_alu instid0(VALU_DEP_2) | instskip(NEXT) | instid1(VALU_DEP_2)
	v_add_f64_e32 v[4:5], v[4:5], v[12:13]
	v_add_f64_e32 v[10:11], v[8:9], v[54:55]
	s_delay_alu instid0(VALU_DEP_2) | instskip(NEXT) | instid1(VALU_DEP_2)
	v_add_f64_e64 v[8:9], v[94:95], -v[4:5]
	v_add_f64_e64 v[10:11], v[96:97], -v[10:11]
	scratch_store_b128 off, v[8:11], off offset:64
	s_wait_xcnt 0x0
	v_cmpx_lt_u32_e32 3, v1
	s_cbranch_execz .LBB17_115
; %bb.114:
	scratch_load_b128 v[8:11], off, s9
	v_dual_mov_b32 v3, v2 :: v_dual_mov_b32 v4, v2
	v_mov_b32_e32 v5, v2
	scratch_store_b128 off, v[2:5], off offset:48
	s_wait_loadcnt 0x0
	ds_store_b128 v6, v[8:11]
.LBB17_115:
	s_wait_xcnt 0x0
	s_or_b32 exec_lo, exec_lo, s2
	s_wait_storecnt_dscnt 0x0
	s_barrier_signal -1
	s_barrier_wait -1
	s_clause 0x9
	scratch_load_b128 v[8:11], off, off offset:64
	scratch_load_b128 v[50:53], off, off offset:80
	;; [unrolled: 1-line block ×10, first 2 shown]
	ds_load_b128 v[86:89], v2 offset:352
	ds_load_b128 v[94:97], v2 offset:368
	s_clause 0x1
	scratch_load_b128 v[90:93], off, off offset:224
	scratch_load_b128 v[98:101], off, off offset:48
	s_mov_b32 s2, exec_lo
	s_wait_loadcnt_dscnt 0xb01
	v_mul_f64_e32 v[4:5], v[88:89], v[10:11]
	v_mul_f64_e32 v[110:111], v[86:87], v[10:11]
	scratch_load_b128 v[10:13], off, off offset:240
	s_wait_loadcnt_dscnt 0xb00
	v_mul_f64_e32 v[112:113], v[94:95], v[52:53]
	v_mul_f64_e32 v[52:53], v[96:97], v[52:53]
	v_fma_f64 v[4:5], v[86:87], v[8:9], -v[4:5]
	v_fmac_f64_e32 v[110:111], v[88:89], v[8:9]
	ds_load_b128 v[86:89], v2 offset:384
	ds_load_b128 v[102:105], v2 offset:400
	scratch_load_b128 v[106:109], off, off offset:256
	v_fmac_f64_e32 v[112:113], v[96:97], v[50:51]
	v_fma_f64 v[94:95], v[94:95], v[50:51], -v[52:53]
	scratch_load_b128 v[50:53], off, off offset:272
	s_wait_loadcnt_dscnt 0xc01
	v_mul_f64_e32 v[8:9], v[86:87], v[56:57]
	v_mul_f64_e32 v[56:57], v[88:89], v[56:57]
	v_add_f64_e32 v[4:5], 0, v[4:5]
	v_add_f64_e32 v[96:97], 0, v[110:111]
	s_wait_loadcnt_dscnt 0xb00
	v_mul_f64_e32 v[110:111], v[102:103], v[60:61]
	v_mul_f64_e32 v[60:61], v[104:105], v[60:61]
	v_fmac_f64_e32 v[8:9], v[88:89], v[54:55]
	v_fma_f64 v[114:115], v[86:87], v[54:55], -v[56:57]
	ds_load_b128 v[54:57], v2 offset:416
	ds_load_b128 v[86:89], v2 offset:432
	v_add_f64_e32 v[4:5], v[4:5], v[94:95]
	v_add_f64_e32 v[94:95], v[96:97], v[112:113]
	v_fmac_f64_e32 v[110:111], v[104:105], v[58:59]
	v_fma_f64 v[58:59], v[102:103], v[58:59], -v[60:61]
	s_wait_loadcnt_dscnt 0xa01
	v_mul_f64_e32 v[96:97], v[54:55], v[64:65]
	v_mul_f64_e32 v[64:65], v[56:57], v[64:65]
	v_add_f64_e32 v[4:5], v[4:5], v[114:115]
	v_add_f64_e32 v[8:9], v[94:95], v[8:9]
	s_wait_loadcnt_dscnt 0x900
	v_mul_f64_e32 v[94:95], v[86:87], v[68:69]
	v_mul_f64_e32 v[68:69], v[88:89], v[68:69]
	v_fmac_f64_e32 v[96:97], v[56:57], v[62:63]
	v_fma_f64 v[62:63], v[54:55], v[62:63], -v[64:65]
	v_add_f64_e32 v[4:5], v[4:5], v[58:59]
	v_add_f64_e32 v[8:9], v[8:9], v[110:111]
	ds_load_b128 v[54:57], v2 offset:448
	ds_load_b128 v[58:61], v2 offset:464
	v_fmac_f64_e32 v[94:95], v[88:89], v[66:67]
	v_fma_f64 v[66:67], v[86:87], v[66:67], -v[68:69]
	s_wait_loadcnt_dscnt 0x801
	v_mul_f64_e32 v[102:103], v[54:55], v[72:73]
	v_mul_f64_e32 v[64:65], v[56:57], v[72:73]
	s_wait_loadcnt_dscnt 0x700
	v_mul_f64_e32 v[68:69], v[58:59], v[76:77]
	v_mul_f64_e32 v[72:73], v[60:61], v[76:77]
	v_add_f64_e32 v[4:5], v[4:5], v[62:63]
	v_add_f64_e32 v[8:9], v[8:9], v[96:97]
	v_fmac_f64_e32 v[102:103], v[56:57], v[70:71]
	v_fma_f64 v[70:71], v[54:55], v[70:71], -v[64:65]
	ds_load_b128 v[54:57], v2 offset:480
	ds_load_b128 v[62:65], v2 offset:496
	v_fmac_f64_e32 v[68:69], v[60:61], v[74:75]
	v_fma_f64 v[58:59], v[58:59], v[74:75], -v[72:73]
	v_add_f64_e32 v[4:5], v[4:5], v[66:67]
	v_add_f64_e32 v[8:9], v[8:9], v[94:95]
	s_wait_loadcnt_dscnt 0x601
	v_mul_f64_e32 v[66:67], v[54:55], v[80:81]
	v_mul_f64_e32 v[76:77], v[56:57], v[80:81]
	s_wait_loadcnt_dscnt 0x500
	v_mul_f64_e32 v[72:73], v[64:65], v[84:85]
	v_add_f64_e32 v[4:5], v[4:5], v[70:71]
	v_add_f64_e32 v[8:9], v[8:9], v[102:103]
	v_mul_f64_e32 v[70:71], v[62:63], v[84:85]
	v_fmac_f64_e32 v[66:67], v[56:57], v[78:79]
	v_fma_f64 v[74:75], v[54:55], v[78:79], -v[76:77]
	v_fma_f64 v[62:63], v[62:63], v[82:83], -v[72:73]
	v_add_f64_e32 v[4:5], v[4:5], v[58:59]
	v_add_f64_e32 v[8:9], v[8:9], v[68:69]
	ds_load_b128 v[54:57], v2 offset:512
	ds_load_b128 v[58:61], v2 offset:528
	v_fmac_f64_e32 v[70:71], v[64:65], v[82:83]
	s_wait_loadcnt_dscnt 0x401
	v_mul_f64_e32 v[68:69], v[54:55], v[92:93]
	v_mul_f64_e32 v[76:77], v[56:57], v[92:93]
	v_add_f64_e32 v[4:5], v[4:5], v[74:75]
	v_add_f64_e32 v[8:9], v[8:9], v[66:67]
	s_wait_loadcnt_dscnt 0x200
	v_mul_f64_e32 v[64:65], v[58:59], v[12:13]
	v_mul_f64_e32 v[12:13], v[60:61], v[12:13]
	v_fmac_f64_e32 v[68:69], v[56:57], v[90:91]
	v_fma_f64 v[66:67], v[54:55], v[90:91], -v[76:77]
	v_add_f64_e32 v[62:63], v[4:5], v[62:63]
	v_add_f64_e32 v[8:9], v[8:9], v[70:71]
	ds_load_b128 v[54:57], v2 offset:544
	ds_load_b128 v[2:5], v2 offset:560
	v_fmac_f64_e32 v[64:65], v[60:61], v[10:11]
	v_fma_f64 v[10:11], v[58:59], v[10:11], -v[12:13]
	s_wait_loadcnt_dscnt 0x101
	v_mul_f64_e32 v[70:71], v[54:55], v[108:109]
	v_mul_f64_e32 v[72:73], v[56:57], v[108:109]
	s_wait_loadcnt_dscnt 0x0
	v_mul_f64_e32 v[58:59], v[2:3], v[52:53]
	v_mul_f64_e32 v[52:53], v[4:5], v[52:53]
	v_add_f64_e32 v[12:13], v[62:63], v[66:67]
	v_add_f64_e32 v[8:9], v[8:9], v[68:69]
	v_fmac_f64_e32 v[70:71], v[56:57], v[106:107]
	v_fma_f64 v[54:55], v[54:55], v[106:107], -v[72:73]
	v_fmac_f64_e32 v[58:59], v[4:5], v[50:51]
	v_fma_f64 v[2:3], v[2:3], v[50:51], -v[52:53]
	v_add_f64_e32 v[10:11], v[12:13], v[10:11]
	v_add_f64_e32 v[8:9], v[8:9], v[64:65]
	s_delay_alu instid0(VALU_DEP_2) | instskip(NEXT) | instid1(VALU_DEP_2)
	v_add_f64_e32 v[4:5], v[10:11], v[54:55]
	v_add_f64_e32 v[8:9], v[8:9], v[70:71]
	s_delay_alu instid0(VALU_DEP_2) | instskip(NEXT) | instid1(VALU_DEP_2)
	;; [unrolled: 3-line block ×3, first 2 shown]
	v_add_f64_e64 v[2:3], v[98:99], -v[2:3]
	v_add_f64_e64 v[4:5], v[100:101], -v[4:5]
	scratch_store_b128 off, v[2:5], off offset:48
	s_wait_xcnt 0x0
	v_cmpx_lt_u32_e32 2, v1
	s_cbranch_execz .LBB17_117
; %bb.116:
	scratch_load_b128 v[2:5], off, s8
	v_mov_b32_e32 v8, 0
	s_delay_alu instid0(VALU_DEP_1)
	v_dual_mov_b32 v9, v8 :: v_dual_mov_b32 v10, v8
	v_mov_b32_e32 v11, v8
	scratch_store_b128 off, v[8:11], off offset:32
	s_wait_loadcnt 0x0
	ds_store_b128 v6, v[2:5]
.LBB17_117:
	s_wait_xcnt 0x0
	s_or_b32 exec_lo, exec_lo, s2
	s_wait_storecnt_dscnt 0x0
	s_barrier_signal -1
	s_barrier_wait -1
	s_clause 0x9
	scratch_load_b128 v[8:11], off, off offset:48
	scratch_load_b128 v[50:53], off, off offset:64
	;; [unrolled: 1-line block ×10, first 2 shown]
	v_mov_b32_e32 v2, 0
	s_mov_b32 s2, exec_lo
	v_dual_ashrrev_i32 v21, 31, v20 :: v_dual_ashrrev_i32 v19, 31, v18
	v_ashrrev_i32_e32 v23, 31, v22
	ds_load_b128 v[86:89], v2 offset:336
	s_clause 0x1
	scratch_load_b128 v[90:93], off, off offset:208
	scratch_load_b128 v[94:97], off, off offset:32
	v_ashrrev_i32_e32 v27, 31, v26
	v_ashrrev_i32_e32 v31, 31, v30
	v_dual_ashrrev_i32 v35, 31, v34 :: v_dual_ashrrev_i32 v25, 31, v24
	v_dual_ashrrev_i32 v29, 31, v28 :: v_dual_ashrrev_i32 v39, 31, v38
	v_ashrrev_i32_e32 v43, 31, v42
	v_dual_ashrrev_i32 v47, 31, v46 :: v_dual_ashrrev_i32 v33, 31, v32
	v_ashrrev_i32_e32 v37, 31, v36
	v_ashrrev_i32_e32 v41, 31, v40
	;; [unrolled: 1-line block ×3, first 2 shown]
	s_wait_loadcnt_dscnt 0xb00
	v_dual_mul_f64 v[4:5], v[88:89], v[10:11] :: v_dual_ashrrev_i32 v49, 31, v48
	v_mul_f64_e32 v[106:107], v[86:87], v[10:11]
	ds_load_b128 v[98:101], v2 offset:352
	scratch_load_b128 v[10:13], off, off offset:224
	s_wait_loadcnt_dscnt 0xb00
	v_mul_f64_e32 v[108:109], v[98:99], v[52:53]
	v_mul_f64_e32 v[52:53], v[100:101], v[52:53]
	v_fma_f64 v[4:5], v[86:87], v[8:9], -v[4:5]
	v_fmac_f64_e32 v[106:107], v[88:89], v[8:9]
	ds_load_b128 v[86:89], v2 offset:368
	ds_load_b128 v[102:105], v2 offset:384
	s_wait_loadcnt_dscnt 0xa01
	v_mul_f64_e32 v[8:9], v[86:87], v[56:57]
	v_fmac_f64_e32 v[108:109], v[100:101], v[50:51]
	v_fma_f64 v[98:99], v[98:99], v[50:51], -v[52:53]
	v_mul_f64_e32 v[56:57], v[88:89], v[56:57]
	scratch_load_b128 v[50:53], off, off offset:240
	v_add_f64_e32 v[4:5], 0, v[4:5]
	v_add_f64_e32 v[100:101], 0, v[106:107]
	s_wait_loadcnt_dscnt 0xa00
	v_mul_f64_e32 v[106:107], v[102:103], v[60:61]
	v_mul_f64_e32 v[60:61], v[104:105], v[60:61]
	v_fmac_f64_e32 v[8:9], v[88:89], v[54:55]
	v_fma_f64 v[110:111], v[86:87], v[54:55], -v[56:57]
	scratch_load_b128 v[54:57], off, off offset:256
	ds_load_b128 v[86:89], v2 offset:400
	v_add_f64_e32 v[4:5], v[4:5], v[98:99]
	v_add_f64_e32 v[108:109], v[100:101], v[108:109]
	v_fmac_f64_e32 v[106:107], v[104:105], v[58:59]
	v_fma_f64 v[102:103], v[102:103], v[58:59], -v[60:61]
	scratch_load_b128 v[58:61], off, off offset:272
	ds_load_b128 v[98:101], v2 offset:416
	s_wait_loadcnt_dscnt 0xb01
	v_mul_f64_e32 v[104:105], v[86:87], v[64:65]
	v_mul_f64_e32 v[64:65], v[88:89], v[64:65]
	v_add_f64_e32 v[4:5], v[4:5], v[110:111]
	v_add_f64_e32 v[8:9], v[108:109], v[8:9]
	s_wait_loadcnt_dscnt 0xa00
	v_mul_f64_e32 v[108:109], v[98:99], v[68:69]
	v_mul_f64_e32 v[68:69], v[100:101], v[68:69]
	v_fmac_f64_e32 v[104:105], v[88:89], v[62:63]
	v_fma_f64 v[110:111], v[86:87], v[62:63], -v[64:65]
	ds_load_b128 v[62:65], v2 offset:432
	ds_load_b128 v[86:89], v2 offset:448
	v_add_f64_e32 v[4:5], v[4:5], v[102:103]
	v_add_f64_e32 v[8:9], v[8:9], v[106:107]
	v_fmac_f64_e32 v[108:109], v[100:101], v[66:67]
	s_wait_loadcnt_dscnt 0x901
	v_mul_f64_e32 v[102:103], v[62:63], v[72:73]
	v_fma_f64 v[66:67], v[98:99], v[66:67], -v[68:69]
	v_mul_f64_e32 v[68:69], v[64:65], v[72:73]
	s_wait_loadcnt_dscnt 0x800
	v_mul_f64_e32 v[72:73], v[86:87], v[76:77]
	v_mul_f64_e32 v[76:77], v[88:89], v[76:77]
	v_add_f64_e32 v[4:5], v[4:5], v[110:111]
	v_add_f64_e32 v[8:9], v[8:9], v[104:105]
	v_fmac_f64_e32 v[102:103], v[64:65], v[70:71]
	v_fma_f64 v[70:71], v[62:63], v[70:71], -v[68:69]
	v_fmac_f64_e32 v[72:73], v[88:89], v[74:75]
	v_fma_f64 v[74:75], v[86:87], v[74:75], -v[76:77]
	v_add_f64_e32 v[4:5], v[4:5], v[66:67]
	v_add_f64_e32 v[8:9], v[8:9], v[108:109]
	ds_load_b128 v[62:65], v2 offset:464
	ds_load_b128 v[66:69], v2 offset:480
	s_wait_loadcnt_dscnt 0x701
	v_mul_f64_e32 v[98:99], v[62:63], v[80:81]
	v_mul_f64_e32 v[80:81], v[64:65], v[80:81]
	s_wait_loadcnt_dscnt 0x600
	v_mul_f64_e32 v[76:77], v[66:67], v[84:85]
	v_mul_f64_e32 v[84:85], v[68:69], v[84:85]
	v_add_f64_e32 v[4:5], v[4:5], v[70:71]
	v_add_f64_e32 v[8:9], v[8:9], v[102:103]
	v_fmac_f64_e32 v[98:99], v[64:65], v[78:79]
	v_fma_f64 v[78:79], v[62:63], v[78:79], -v[80:81]
	v_fmac_f64_e32 v[76:77], v[68:69], v[82:83]
	v_fma_f64 v[66:67], v[66:67], v[82:83], -v[84:85]
	v_add_f64_e32 v[4:5], v[4:5], v[74:75]
	v_add_f64_e32 v[8:9], v[8:9], v[72:73]
	ds_load_b128 v[62:65], v2 offset:496
	ds_load_b128 v[70:73], v2 offset:512
	s_wait_loadcnt_dscnt 0x501
	v_mul_f64_e32 v[74:75], v[62:63], v[92:93]
	v_mul_f64_e32 v[80:81], v[64:65], v[92:93]
	v_add_f64_e32 v[4:5], v[4:5], v[78:79]
	v_add_f64_e32 v[8:9], v[8:9], v[98:99]
	s_wait_loadcnt_dscnt 0x300
	v_mul_f64_e32 v[78:79], v[70:71], v[12:13]
	v_mul_f64_e32 v[12:13], v[72:73], v[12:13]
	v_fmac_f64_e32 v[74:75], v[64:65], v[90:91]
	v_fma_f64 v[80:81], v[62:63], v[90:91], -v[80:81]
	v_add_f64_e32 v[4:5], v[4:5], v[66:67]
	v_add_f64_e32 v[8:9], v[8:9], v[76:77]
	ds_load_b128 v[62:65], v2 offset:528
	ds_load_b128 v[66:69], v2 offset:544
	v_fmac_f64_e32 v[78:79], v[72:73], v[10:11]
	v_fma_f64 v[10:11], v[70:71], v[10:11], -v[12:13]
	s_wait_loadcnt_dscnt 0x201
	v_mul_f64_e32 v[76:77], v[62:63], v[52:53]
	v_mul_f64_e32 v[52:53], v[64:65], v[52:53]
	v_add_f64_e32 v[4:5], v[4:5], v[80:81]
	v_add_f64_e32 v[8:9], v[8:9], v[74:75]
	s_wait_loadcnt_dscnt 0x100
	v_mul_f64_e32 v[12:13], v[66:67], v[56:57]
	v_mul_f64_e32 v[56:57], v[68:69], v[56:57]
	v_fmac_f64_e32 v[76:77], v[64:65], v[50:51]
	v_fma_f64 v[50:51], v[62:63], v[50:51], -v[52:53]
	v_add_f64_e32 v[4:5], v[4:5], v[10:11]
	v_add_f64_e32 v[52:53], v[8:9], v[78:79]
	ds_load_b128 v[8:11], v2 offset:560
	s_wait_loadcnt_dscnt 0x0
	v_mul_f64_e32 v[62:63], v[8:9], v[60:61]
	v_mul_f64_e32 v[60:61], v[10:11], v[60:61]
	v_fmac_f64_e32 v[12:13], v[68:69], v[54:55]
	v_fma_f64 v[54:55], v[66:67], v[54:55], -v[56:57]
	v_add_f64_e32 v[4:5], v[4:5], v[50:51]
	v_add_f64_e32 v[50:51], v[52:53], v[76:77]
	v_fmac_f64_e32 v[62:63], v[10:11], v[58:59]
	v_fma_f64 v[8:9], v[8:9], v[58:59], -v[60:61]
	s_delay_alu instid0(VALU_DEP_4) | instskip(NEXT) | instid1(VALU_DEP_4)
	v_add_f64_e32 v[4:5], v[4:5], v[54:55]
	v_add_f64_e32 v[10:11], v[50:51], v[12:13]
	s_delay_alu instid0(VALU_DEP_2) | instskip(NEXT) | instid1(VALU_DEP_2)
	v_add_f64_e32 v[4:5], v[4:5], v[8:9]
	v_add_f64_e32 v[10:11], v[10:11], v[62:63]
	s_delay_alu instid0(VALU_DEP_2) | instskip(NEXT) | instid1(VALU_DEP_2)
	v_add_f64_e64 v[8:9], v[94:95], -v[4:5]
	v_add_f64_e64 v[10:11], v[96:97], -v[10:11]
	scratch_store_b128 off, v[8:11], off offset:32
	s_wait_xcnt 0x0
	v_cmpx_lt_u32_e32 1, v1
	s_cbranch_execz .LBB17_119
; %bb.118:
	scratch_load_b128 v[8:11], off, s11
	v_dual_mov_b32 v3, v2 :: v_dual_mov_b32 v4, v2
	v_mov_b32_e32 v5, v2
	scratch_store_b128 off, v[2:5], off offset:16
	s_wait_loadcnt 0x0
	ds_store_b128 v6, v[8:11]
.LBB17_119:
	s_wait_xcnt 0x0
	s_or_b32 exec_lo, exec_lo, s2
	s_wait_storecnt_dscnt 0x0
	s_barrier_signal -1
	s_barrier_wait -1
	s_clause 0x9
	scratch_load_b128 v[8:11], off, off offset:32
	scratch_load_b128 v[50:53], off, off offset:48
	;; [unrolled: 1-line block ×10, first 2 shown]
	ds_load_b128 v[86:89], v2 offset:320
	s_clause 0x2
	scratch_load_b128 v[90:93], off, off offset:192
	scratch_load_b128 v[94:97], off, off offset:208
	;; [unrolled: 1-line block ×3, first 2 shown]
	s_mov_b32 s2, exec_lo
	s_wait_loadcnt_dscnt 0xc00
	v_mul_f64_e32 v[4:5], v[88:89], v[10:11]
	v_mul_f64_e32 v[102:103], v[86:87], v[10:11]
	ds_load_b128 v[10:13], v2 offset:336
	v_fma_f64 v[4:5], v[86:87], v[8:9], -v[4:5]
	v_fmac_f64_e32 v[102:103], v[88:89], v[8:9]
	ds_load_b128 v[86:89], v2 offset:352
	s_wait_loadcnt_dscnt 0xb01
	v_mul_f64_e32 v[104:105], v[10:11], v[52:53]
	v_mul_f64_e32 v[52:53], v[12:13], v[52:53]
	s_wait_loadcnt_dscnt 0xa00
	v_mul_f64_e32 v[106:107], v[86:87], v[56:57]
	v_mul_f64_e32 v[56:57], v[88:89], v[56:57]
	v_add_f64_e32 v[4:5], 0, v[4:5]
	v_add_f64_e32 v[102:103], 0, v[102:103]
	v_fmac_f64_e32 v[104:105], v[12:13], v[50:51]
	v_fma_f64 v[12:13], v[10:11], v[50:51], -v[52:53]
	ds_load_b128 v[8:11], v2 offset:368
	scratch_load_b128 v[50:53], off, off offset:240
	v_fmac_f64_e32 v[106:107], v[88:89], v[54:55]
	v_fma_f64 v[110:111], v[86:87], v[54:55], -v[56:57]
	ds_load_b128 v[54:57], v2 offset:384
	s_wait_loadcnt_dscnt 0xa01
	v_mul_f64_e32 v[108:109], v[8:9], v[60:61]
	v_mul_f64_e32 v[60:61], v[10:11], v[60:61]
	scratch_load_b128 v[86:89], off, off offset:256
	v_add_f64_e32 v[4:5], v[4:5], v[12:13]
	v_add_f64_e32 v[12:13], v[102:103], v[104:105]
	s_wait_loadcnt_dscnt 0xa00
	v_mul_f64_e32 v[102:103], v[54:55], v[64:65]
	v_mul_f64_e32 v[64:65], v[56:57], v[64:65]
	v_fmac_f64_e32 v[108:109], v[10:11], v[58:59]
	v_fma_f64 v[104:105], v[8:9], v[58:59], -v[60:61]
	ds_load_b128 v[8:11], v2 offset:400
	scratch_load_b128 v[58:61], off, off offset:272
	v_add_f64_e32 v[4:5], v[4:5], v[110:111]
	v_add_f64_e32 v[12:13], v[12:13], v[106:107]
	v_fmac_f64_e32 v[102:103], v[56:57], v[62:63]
	v_fma_f64 v[62:63], v[54:55], v[62:63], -v[64:65]
	ds_load_b128 v[54:57], v2 offset:416
	s_wait_loadcnt_dscnt 0xa01
	v_mul_f64_e32 v[106:107], v[8:9], v[68:69]
	v_mul_f64_e32 v[68:69], v[10:11], v[68:69]
	s_wait_loadcnt_dscnt 0x900
	v_mul_f64_e32 v[64:65], v[56:57], v[72:73]
	v_add_f64_e32 v[4:5], v[4:5], v[104:105]
	v_add_f64_e32 v[12:13], v[12:13], v[108:109]
	v_mul_f64_e32 v[104:105], v[54:55], v[72:73]
	v_fmac_f64_e32 v[106:107], v[10:11], v[66:67]
	v_fma_f64 v[66:67], v[8:9], v[66:67], -v[68:69]
	ds_load_b128 v[8:11], v2 offset:432
	v_add_f64_e32 v[4:5], v[4:5], v[62:63]
	v_add_f64_e32 v[12:13], v[12:13], v[102:103]
	v_fmac_f64_e32 v[104:105], v[56:57], v[70:71]
	v_fma_f64 v[70:71], v[54:55], v[70:71], -v[64:65]
	ds_load_b128 v[54:57], v2 offset:448
	s_wait_loadcnt_dscnt 0x801
	v_mul_f64_e32 v[68:69], v[8:9], v[76:77]
	v_mul_f64_e32 v[72:73], v[10:11], v[76:77]
	scratch_load_b128 v[62:65], off, off offset:16
	s_wait_loadcnt_dscnt 0x800
	v_mul_f64_e32 v[76:77], v[56:57], v[80:81]
	v_add_f64_e32 v[4:5], v[4:5], v[66:67]
	v_add_f64_e32 v[12:13], v[12:13], v[106:107]
	v_mul_f64_e32 v[66:67], v[54:55], v[80:81]
	v_fmac_f64_e32 v[68:69], v[10:11], v[74:75]
	v_fma_f64 v[72:73], v[8:9], v[74:75], -v[72:73]
	ds_load_b128 v[8:11], v2 offset:464
	v_fma_f64 v[76:77], v[54:55], v[78:79], -v[76:77]
	v_add_f64_e32 v[4:5], v[4:5], v[70:71]
	v_add_f64_e32 v[12:13], v[12:13], v[104:105]
	v_fmac_f64_e32 v[66:67], v[56:57], v[78:79]
	ds_load_b128 v[54:57], v2 offset:480
	s_wait_loadcnt_dscnt 0x701
	v_mul_f64_e32 v[70:71], v[8:9], v[84:85]
	v_mul_f64_e32 v[74:75], v[10:11], v[84:85]
	v_add_f64_e32 v[4:5], v[4:5], v[72:73]
	v_add_f64_e32 v[12:13], v[12:13], v[68:69]
	s_wait_loadcnt_dscnt 0x600
	v_mul_f64_e32 v[68:69], v[54:55], v[92:93]
	v_mul_f64_e32 v[72:73], v[56:57], v[92:93]
	v_fmac_f64_e32 v[70:71], v[10:11], v[82:83]
	v_fma_f64 v[74:75], v[8:9], v[82:83], -v[74:75]
	ds_load_b128 v[8:11], v2 offset:496
	v_add_f64_e32 v[4:5], v[4:5], v[76:77]
	v_add_f64_e32 v[12:13], v[12:13], v[66:67]
	v_fmac_f64_e32 v[68:69], v[56:57], v[90:91]
	v_fma_f64 v[72:73], v[54:55], v[90:91], -v[72:73]
	ds_load_b128 v[54:57], v2 offset:512
	s_wait_loadcnt_dscnt 0x501
	v_mul_f64_e32 v[66:67], v[8:9], v[96:97]
	v_mul_f64_e32 v[76:77], v[10:11], v[96:97]
	v_add_f64_e32 v[4:5], v[4:5], v[74:75]
	v_add_f64_e32 v[12:13], v[12:13], v[70:71]
	s_wait_loadcnt_dscnt 0x400
	v_mul_f64_e32 v[70:71], v[54:55], v[100:101]
	v_mul_f64_e32 v[74:75], v[56:57], v[100:101]
	v_fmac_f64_e32 v[66:67], v[10:11], v[94:95]
	v_fma_f64 v[76:77], v[8:9], v[94:95], -v[76:77]
	ds_load_b128 v[8:11], v2 offset:528
	v_add_f64_e32 v[4:5], v[4:5], v[72:73]
	v_add_f64_e32 v[12:13], v[12:13], v[68:69]
	s_wait_loadcnt_dscnt 0x300
	v_mul_f64_e32 v[68:69], v[8:9], v[52:53]
	v_mul_f64_e32 v[72:73], v[10:11], v[52:53]
	v_fmac_f64_e32 v[70:71], v[56:57], v[98:99]
	v_fma_f64 v[56:57], v[54:55], v[98:99], -v[74:75]
	ds_load_b128 v[52:55], v2 offset:544
	s_wait_loadcnt_dscnt 0x200
	v_mul_f64_e32 v[74:75], v[54:55], v[88:89]
	v_add_f64_e32 v[4:5], v[4:5], v[76:77]
	v_add_f64_e32 v[12:13], v[12:13], v[66:67]
	v_mul_f64_e32 v[66:67], v[52:53], v[88:89]
	v_fmac_f64_e32 v[68:69], v[10:11], v[50:51]
	v_fma_f64 v[8:9], v[8:9], v[50:51], -v[72:73]
	v_fma_f64 v[52:53], v[52:53], v[86:87], -v[74:75]
	v_add_f64_e32 v[10:11], v[4:5], v[56:57]
	v_add_f64_e32 v[12:13], v[12:13], v[70:71]
	ds_load_b128 v[2:5], v2 offset:560
	v_fmac_f64_e32 v[66:67], v[54:55], v[86:87]
	s_wait_loadcnt_dscnt 0x100
	v_mul_f64_e32 v[50:51], v[2:3], v[60:61]
	v_mul_f64_e32 v[56:57], v[4:5], v[60:61]
	v_add_f64_e32 v[8:9], v[10:11], v[8:9]
	v_add_f64_e32 v[10:11], v[12:13], v[68:69]
	s_delay_alu instid0(VALU_DEP_4) | instskip(NEXT) | instid1(VALU_DEP_4)
	v_fmac_f64_e32 v[50:51], v[4:5], v[58:59]
	v_fma_f64 v[2:3], v[2:3], v[58:59], -v[56:57]
	s_delay_alu instid0(VALU_DEP_4) | instskip(NEXT) | instid1(VALU_DEP_4)
	v_add_f64_e32 v[4:5], v[8:9], v[52:53]
	v_add_f64_e32 v[8:9], v[10:11], v[66:67]
	s_delay_alu instid0(VALU_DEP_2) | instskip(NEXT) | instid1(VALU_DEP_2)
	v_add_f64_e32 v[2:3], v[4:5], v[2:3]
	v_add_f64_e32 v[4:5], v[8:9], v[50:51]
	s_wait_loadcnt 0x0
	s_delay_alu instid0(VALU_DEP_2) | instskip(NEXT) | instid1(VALU_DEP_2)
	v_add_f64_e64 v[2:3], v[62:63], -v[2:3]
	v_add_f64_e64 v[4:5], v[64:65], -v[4:5]
	scratch_store_b128 off, v[2:5], off offset:16
	s_wait_xcnt 0x0
	v_cmpx_ne_u32_e32 0, v1
	s_cbranch_execz .LBB17_121
; %bb.120:
	scratch_load_b128 v[2:5], off, off
	v_mov_b32_e32 v8, 0
	s_delay_alu instid0(VALU_DEP_1)
	v_dual_mov_b32 v9, v8 :: v_dual_mov_b32 v10, v8
	v_mov_b32_e32 v11, v8
	scratch_store_b128 off, v[8:11], off
	s_wait_loadcnt 0x0
	ds_store_b128 v6, v[2:5]
.LBB17_121:
	s_wait_xcnt 0x0
	s_or_b32 exec_lo, exec_lo, s2
	s_wait_storecnt_dscnt 0x0
	s_barrier_signal -1
	s_barrier_wait -1
	s_clause 0x9
	scratch_load_b128 v[2:5], off, off offset:16
	scratch_load_b128 v[6:9], off, off offset:32
	;; [unrolled: 1-line block ×10, first 2 shown]
	v_mov_b32_e32 v50, 0
	s_and_b32 vcc_lo, exec_lo, s29
	ds_load_b128 v[80:83], v50 offset:304
	s_clause 0x2
	scratch_load_b128 v[84:87], off, off offset:176
	scratch_load_b128 v[88:91], off, off
	scratch_load_b128 v[96:99], off, off offset:192
	s_wait_loadcnt_dscnt 0xc00
	v_mul_f64_e32 v[100:101], v[82:83], v[4:5]
	v_mul_f64_e32 v[102:103], v[80:81], v[4:5]
	ds_load_b128 v[92:95], v50 offset:320
	s_wait_loadcnt_dscnt 0xb00
	v_mul_f64_e32 v[104:105], v[92:93], v[8:9]
	v_mul_f64_e32 v[8:9], v[94:95], v[8:9]
	v_fma_f64 v[100:101], v[80:81], v[2:3], -v[100:101]
	v_fmac_f64_e32 v[102:103], v[82:83], v[2:3]
	ds_load_b128 v[2:5], v50 offset:336
	ds_load_b128 v[80:83], v50 offset:352
	s_wait_loadcnt_dscnt 0xa01
	v_mul_f64_e32 v[106:107], v[2:3], v[12:13]
	v_mul_f64_e32 v[12:13], v[4:5], v[12:13]
	v_fmac_f64_e32 v[104:105], v[94:95], v[6:7]
	v_fma_f64 v[92:93], v[92:93], v[6:7], -v[8:9]
	scratch_load_b128 v[6:9], off, off offset:208
	v_add_f64_e32 v[94:95], 0, v[100:101]
	v_add_f64_e32 v[100:101], 0, v[102:103]
	s_wait_loadcnt_dscnt 0xa00
	v_mul_f64_e32 v[102:103], v[80:81], v[54:55]
	v_mul_f64_e32 v[54:55], v[82:83], v[54:55]
	v_fmac_f64_e32 v[106:107], v[4:5], v[10:11]
	v_fma_f64 v[108:109], v[2:3], v[10:11], -v[12:13]
	scratch_load_b128 v[2:5], off, off offset:224
	v_add_f64_e32 v[110:111], v[94:95], v[92:93]
	v_add_f64_e32 v[100:101], v[100:101], v[104:105]
	ds_load_b128 v[10:13], v50 offset:368
	ds_load_b128 v[92:95], v50 offset:384
	v_fmac_f64_e32 v[102:103], v[82:83], v[52:53]
	v_fma_f64 v[112:113], v[80:81], v[52:53], -v[54:55]
	s_clause 0x1
	scratch_load_b128 v[52:55], off, off offset:240
	scratch_load_b128 v[80:83], off, off offset:256
	s_wait_loadcnt_dscnt 0xc01
	v_mul_f64_e32 v[104:105], v[10:11], v[58:59]
	v_mul_f64_e32 v[58:59], v[12:13], v[58:59]
	v_add_f64_e32 v[108:109], v[110:111], v[108:109]
	v_add_f64_e32 v[100:101], v[100:101], v[106:107]
	s_wait_loadcnt_dscnt 0xb00
	v_mul_f64_e32 v[106:107], v[92:93], v[62:63]
	v_mul_f64_e32 v[62:63], v[94:95], v[62:63]
	v_fmac_f64_e32 v[104:105], v[12:13], v[56:57]
	v_fma_f64 v[110:111], v[10:11], v[56:57], -v[58:59]
	ds_load_b128 v[10:13], v50 offset:400
	scratch_load_b128 v[56:59], off, off offset:272
	v_add_f64_e32 v[108:109], v[108:109], v[112:113]
	v_add_f64_e32 v[100:101], v[100:101], v[102:103]
	v_fmac_f64_e32 v[106:107], v[94:95], v[60:61]
	v_fma_f64 v[92:93], v[92:93], v[60:61], -v[62:63]
	ds_load_b128 v[60:63], v50 offset:416
	s_wait_loadcnt_dscnt 0xb01
	v_mul_f64_e32 v[94:95], v[10:11], v[66:67]
	v_mul_f64_e32 v[66:67], v[12:13], v[66:67]
	v_add_f64_e32 v[102:103], v[108:109], v[110:111]
	v_add_f64_e32 v[100:101], v[100:101], v[104:105]
	s_wait_loadcnt_dscnt 0xa00
	v_mul_f64_e32 v[104:105], v[60:61], v[70:71]
	v_mul_f64_e32 v[70:71], v[62:63], v[70:71]
	v_fmac_f64_e32 v[94:95], v[12:13], v[64:65]
	v_fma_f64 v[108:109], v[10:11], v[64:65], -v[66:67]
	ds_load_b128 v[10:13], v50 offset:432
	ds_load_b128 v[64:67], v50 offset:448
	v_add_f64_e32 v[92:93], v[102:103], v[92:93]
	v_add_f64_e32 v[100:101], v[100:101], v[106:107]
	s_wait_loadcnt_dscnt 0x901
	v_mul_f64_e32 v[102:103], v[10:11], v[74:75]
	v_mul_f64_e32 v[74:75], v[12:13], v[74:75]
	v_fmac_f64_e32 v[104:105], v[62:63], v[68:69]
	v_fma_f64 v[60:61], v[60:61], v[68:69], -v[70:71]
	s_wait_loadcnt_dscnt 0x800
	v_mul_f64_e32 v[70:71], v[64:65], v[78:79]
	v_mul_f64_e32 v[78:79], v[66:67], v[78:79]
	v_add_f64_e32 v[62:63], v[92:93], v[108:109]
	v_add_f64_e32 v[68:69], v[100:101], v[94:95]
	v_fmac_f64_e32 v[102:103], v[12:13], v[72:73]
	v_fma_f64 v[72:73], v[10:11], v[72:73], -v[74:75]
	v_fmac_f64_e32 v[70:71], v[66:67], v[76:77]
	v_fma_f64 v[64:65], v[64:65], v[76:77], -v[78:79]
	v_add_f64_e32 v[74:75], v[62:63], v[60:61]
	v_add_f64_e32 v[68:69], v[68:69], v[104:105]
	ds_load_b128 v[10:13], v50 offset:464
	ds_load_b128 v[60:63], v50 offset:480
	s_wait_loadcnt_dscnt 0x701
	v_mul_f64_e32 v[92:93], v[10:11], v[86:87]
	v_mul_f64_e32 v[86:87], v[12:13], v[86:87]
	v_add_f64_e32 v[66:67], v[74:75], v[72:73]
	v_add_f64_e32 v[68:69], v[68:69], v[102:103]
	s_wait_loadcnt_dscnt 0x500
	v_mul_f64_e32 v[72:73], v[60:61], v[98:99]
	v_mul_f64_e32 v[74:75], v[62:63], v[98:99]
	v_fmac_f64_e32 v[92:93], v[12:13], v[84:85]
	v_fma_f64 v[76:77], v[10:11], v[84:85], -v[86:87]
	v_add_f64_e32 v[78:79], v[66:67], v[64:65]
	v_add_f64_e32 v[68:69], v[68:69], v[70:71]
	ds_load_b128 v[10:13], v50 offset:496
	ds_load_b128 v[64:67], v50 offset:512
	v_fmac_f64_e32 v[72:73], v[62:63], v[96:97]
	v_fma_f64 v[60:61], v[60:61], v[96:97], -v[74:75]
	s_wait_loadcnt_dscnt 0x401
	v_mul_f64_e32 v[70:71], v[10:11], v[8:9]
	v_mul_f64_e32 v[8:9], v[12:13], v[8:9]
	v_add_f64_e32 v[62:63], v[78:79], v[76:77]
	v_add_f64_e32 v[68:69], v[68:69], v[92:93]
	s_wait_loadcnt_dscnt 0x300
	v_mul_f64_e32 v[74:75], v[64:65], v[4:5]
	v_mul_f64_e32 v[76:77], v[66:67], v[4:5]
	v_fmac_f64_e32 v[70:71], v[12:13], v[6:7]
	v_fma_f64 v[12:13], v[10:11], v[6:7], -v[8:9]
	ds_load_b128 v[4:7], v50 offset:528
	ds_load_b128 v[8:11], v50 offset:544
	v_add_f64_e32 v[60:61], v[62:63], v[60:61]
	v_add_f64_e32 v[62:63], v[68:69], v[72:73]
	s_wait_loadcnt_dscnt 0x201
	v_mul_f64_e32 v[68:69], v[4:5], v[54:55]
	v_mul_f64_e32 v[54:55], v[6:7], v[54:55]
	v_fmac_f64_e32 v[74:75], v[66:67], v[2:3]
	v_fma_f64 v[2:3], v[64:65], v[2:3], -v[76:77]
	s_wait_loadcnt_dscnt 0x100
	v_mul_f64_e32 v[64:65], v[10:11], v[82:83]
	v_add_f64_e32 v[12:13], v[60:61], v[12:13]
	v_add_f64_e32 v[60:61], v[62:63], v[70:71]
	v_mul_f64_e32 v[62:63], v[8:9], v[82:83]
	v_fmac_f64_e32 v[68:69], v[6:7], v[52:53]
	v_fma_f64 v[6:7], v[4:5], v[52:53], -v[54:55]
	v_fma_f64 v[8:9], v[8:9], v[80:81], -v[64:65]
	v_add_f64_e32 v[12:13], v[12:13], v[2:3]
	v_add_f64_e32 v[52:53], v[60:61], v[74:75]
	ds_load_b128 v[2:5], v50 offset:560
	v_fmac_f64_e32 v[62:63], v[10:11], v[80:81]
	s_wait_loadcnt_dscnt 0x0
	v_mul_f64_e32 v[54:55], v[2:3], v[58:59]
	v_mul_f64_e32 v[58:59], v[4:5], v[58:59]
	v_add_f64_e32 v[6:7], v[12:13], v[6:7]
	v_add_f64_e32 v[10:11], v[52:53], v[68:69]
	v_lshl_add_u64 v[12:13], v[28:29], 4, s[4:5]
	v_lshl_add_u64 v[28:29], v[40:41], 4, s[4:5]
	v_fmac_f64_e32 v[54:55], v[4:5], v[56:57]
	v_fma_f64 v[2:3], v[2:3], v[56:57], -v[58:59]
	v_add_f64_e32 v[4:5], v[6:7], v[8:9]
	v_add_f64_e32 v[6:7], v[10:11], v[62:63]
	v_lshl_add_u64 v[8:9], v[24:25], 4, s[4:5]
	v_lshl_add_u64 v[10:11], v[26:27], 4, s[4:5]
	v_lshl_add_u64 v[24:25], v[36:37], 4, s[4:5]
	v_lshl_add_u64 v[26:27], v[38:39], 4, s[4:5]
	v_lshl_add_u64 v[36:37], v[48:49], 4, s[4:5]
	v_add_f64_e32 v[2:3], v[4:5], v[2:3]
	v_add_f64_e32 v[4:5], v[6:7], v[54:55]
	v_lshl_add_u64 v[6:7], v[22:23], 4, s[4:5]
	v_lshl_add_u64 v[22:23], v[34:35], 4, s[4:5]
	;; [unrolled: 1-line block ×3, first 2 shown]
	v_add_f64_e64 v[52:53], v[88:89], -v[2:3]
	v_add_f64_e64 v[54:55], v[90:91], -v[4:5]
	v_lshl_add_u64 v[2:3], v[18:19], 4, s[4:5]
	v_lshl_add_u64 v[4:5], v[20:21], 4, s[4:5]
	;; [unrolled: 1-line block ×6, first 2 shown]
	scratch_store_b128 off, v[52:55], off
	s_cbranch_vccz .LBB17_156
; %bb.122:
	global_load_b32 v38, v50, s[16:17] offset:64
	s_load_b64 s[2:3], s[0:1], 0x4
	v_bfe_u32 v39, v0, 10, 10
	v_bfe_u32 v0, v0, 20, 10
	s_wait_kmcnt 0x0
	s_lshr_b32 s0, s2, 16
	s_delay_alu instid0(VALU_DEP_2) | instskip(SKIP_1) | instid1(SALU_CYCLE_1)
	v_mul_u32_u24_e32 v39, s3, v39
	s_mul_i32 s0, s0, s3
	v_mul_u32_u24_e32 v1, s0, v1
	s_delay_alu instid0(VALU_DEP_1) | instskip(NEXT) | instid1(VALU_DEP_1)
	v_add3_u32 v0, v1, v39, v0
	v_lshl_add_u32 v0, v0, 4, 0x248
	s_wait_loadcnt 0x0
	v_cmp_ne_u32_e32 vcc_lo, 17, v38
	s_cbranch_vccz .LBB17_124
; %bb.123:
	v_lshlrev_b32_e32 v1, 4, v38
	s_clause 0x1
	scratch_load_b128 v[38:41], off, s23
	scratch_load_b128 v[42:45], v1, off offset:-16
	s_wait_loadcnt 0x1
	ds_store_2addr_b64 v0, v[38:39], v[40:41] offset1:1
	s_wait_loadcnt 0x0
	s_clause 0x1
	scratch_store_b128 off, v[42:45], s23
	scratch_store_b128 v1, v[38:41], off offset:-16
.LBB17_124:
	s_wait_xcnt 0x0
	v_mov_b32_e32 v1, 0
	global_load_b32 v38, v1, s[16:17] offset:60
	s_wait_loadcnt 0x0
	v_cmp_eq_u32_e32 vcc_lo, 16, v38
	s_cbranch_vccnz .LBB17_126
; %bb.125:
	v_lshlrev_b32_e32 v38, 4, v38
	s_delay_alu instid0(VALU_DEP_1)
	v_mov_b32_e32 v46, v38
	s_clause 0x1
	scratch_load_b128 v[38:41], off, s26
	scratch_load_b128 v[42:45], v46, off offset:-16
	s_wait_loadcnt 0x1
	ds_store_2addr_b64 v0, v[38:39], v[40:41] offset1:1
	s_wait_loadcnt 0x0
	s_clause 0x1
	scratch_store_b128 off, v[42:45], s26
	scratch_store_b128 v46, v[38:41], off offset:-16
.LBB17_126:
	global_load_b32 v1, v1, s[16:17] offset:56
	s_wait_loadcnt 0x0
	v_cmp_eq_u32_e32 vcc_lo, 15, v1
	s_cbranch_vccnz .LBB17_128
; %bb.127:
	s_wait_xcnt 0x0
	v_lshlrev_b32_e32 v1, 4, v1
	s_clause 0x1
	scratch_load_b128 v[38:41], off, s28
	scratch_load_b128 v[42:45], v1, off offset:-16
	s_wait_loadcnt 0x1
	ds_store_2addr_b64 v0, v[38:39], v[40:41] offset1:1
	s_wait_loadcnt 0x0
	s_clause 0x1
	scratch_store_b128 off, v[42:45], s28
	scratch_store_b128 v1, v[38:41], off offset:-16
.LBB17_128:
	s_wait_xcnt 0x0
	v_mov_b32_e32 v1, 0
	global_load_b32 v38, v1, s[16:17] offset:52
	s_wait_loadcnt 0x0
	v_cmp_eq_u32_e32 vcc_lo, 14, v38
	s_cbranch_vccnz .LBB17_130
; %bb.129:
	v_lshlrev_b32_e32 v38, 4, v38
	s_delay_alu instid0(VALU_DEP_1)
	v_mov_b32_e32 v46, v38
	s_clause 0x1
	scratch_load_b128 v[38:41], off, s27
	scratch_load_b128 v[42:45], v46, off offset:-16
	s_wait_loadcnt 0x1
	ds_store_2addr_b64 v0, v[38:39], v[40:41] offset1:1
	s_wait_loadcnt 0x0
	s_clause 0x1
	scratch_store_b128 off, v[42:45], s27
	scratch_store_b128 v46, v[38:41], off offset:-16
.LBB17_130:
	global_load_b32 v1, v1, s[16:17] offset:48
	s_wait_loadcnt 0x0
	v_cmp_eq_u32_e32 vcc_lo, 13, v1
	s_cbranch_vccnz .LBB17_132
; %bb.131:
	s_wait_xcnt 0x0
	v_lshlrev_b32_e32 v1, 4, v1
	s_clause 0x1
	scratch_load_b128 v[38:41], off, s25
	scratch_load_b128 v[42:45], v1, off offset:-16
	s_wait_loadcnt 0x1
	ds_store_2addr_b64 v0, v[38:39], v[40:41] offset1:1
	s_wait_loadcnt 0x0
	s_clause 0x1
	scratch_store_b128 off, v[42:45], s25
	scratch_store_b128 v1, v[38:41], off offset:-16
.LBB17_132:
	;; [unrolled: 37-line block ×7, first 2 shown]
	s_wait_xcnt 0x0
	v_mov_b32_e32 v1, 0
	global_load_b32 v38, v1, s[16:17] offset:4
	s_wait_loadcnt 0x0
	v_cmp_eq_u32_e32 vcc_lo, 2, v38
	s_cbranch_vccnz .LBB17_154
; %bb.153:
	v_lshlrev_b32_e32 v38, 4, v38
	s_delay_alu instid0(VALU_DEP_1)
	v_mov_b32_e32 v46, v38
	s_clause 0x1
	scratch_load_b128 v[38:41], off, s11
	scratch_load_b128 v[42:45], v46, off offset:-16
	s_wait_loadcnt 0x1
	ds_store_2addr_b64 v0, v[38:39], v[40:41] offset1:1
	s_wait_loadcnt 0x0
	s_clause 0x1
	scratch_store_b128 off, v[42:45], s11
	scratch_store_b128 v46, v[38:41], off offset:-16
.LBB17_154:
	global_load_b32 v1, v1, s[16:17]
	s_wait_loadcnt 0x0
	v_cmp_eq_u32_e32 vcc_lo, 1, v1
	s_cbranch_vccnz .LBB17_156
; %bb.155:
	s_wait_xcnt 0x0
	v_lshlrev_b32_e32 v1, 4, v1
	scratch_load_b128 v[38:41], off, off
	scratch_load_b128 v[42:45], v1, off offset:-16
	s_wait_loadcnt 0x1
	ds_store_2addr_b64 v0, v[38:39], v[40:41] offset1:1
	s_wait_loadcnt 0x0
	scratch_store_b128 off, v[42:45], off
	scratch_store_b128 v1, v[38:41], off offset:-16
.LBB17_156:
	scratch_load_b128 v[38:41], off, off
	s_clause 0x10
	scratch_load_b128 v[42:45], off, s11
	scratch_load_b128 v[46:49], off, s8
	;; [unrolled: 1-line block ×15, first 2 shown]
	; meta instruction
	; meta instruction
	;; [unrolled: 1-line block ×15, first 2 shown]
	scratch_load_b128 v[102:105], off, s23
	scratch_load_b128 v[106:109], off, s24
	s_wait_loadcnt 0x11
	global_store_b128 v[14:15], v[38:41], off
	s_wait_loadcnt 0x10
	global_store_b128 v[16:17], v[42:45], off
	;; [unrolled: 2-line block ×18, first 2 shown]
	s_sendmsg sendmsg(MSG_DEALLOC_VGPRS)
	s_endpgm
	.section	.rodata,"a",@progbits
	.p2align	6, 0x0
	.amdhsa_kernel _ZN9rocsolver6v33100L18getri_kernel_smallILi18E19rocblas_complex_numIdEPS3_EEvT1_iilPiilS6_bb
		.amdhsa_group_segment_fixed_size 1608
		.amdhsa_private_segment_fixed_size 304
		.amdhsa_kernarg_size 60
		.amdhsa_user_sgpr_count 4
		.amdhsa_user_sgpr_dispatch_ptr 1
		.amdhsa_user_sgpr_queue_ptr 0
		.amdhsa_user_sgpr_kernarg_segment_ptr 1
		.amdhsa_user_sgpr_dispatch_id 0
		.amdhsa_user_sgpr_kernarg_preload_length 0
		.amdhsa_user_sgpr_kernarg_preload_offset 0
		.amdhsa_user_sgpr_private_segment_size 0
		.amdhsa_wavefront_size32 1
		.amdhsa_uses_dynamic_stack 0
		.amdhsa_enable_private_segment 1
		.amdhsa_system_sgpr_workgroup_id_x 1
		.amdhsa_system_sgpr_workgroup_id_y 0
		.amdhsa_system_sgpr_workgroup_id_z 0
		.amdhsa_system_sgpr_workgroup_info 0
		.amdhsa_system_vgpr_workitem_id 2
		.amdhsa_next_free_vgpr 116
		.amdhsa_next_free_sgpr 34
		.amdhsa_named_barrier_count 0
		.amdhsa_reserve_vcc 1
		.amdhsa_float_round_mode_32 0
		.amdhsa_float_round_mode_16_64 0
		.amdhsa_float_denorm_mode_32 3
		.amdhsa_float_denorm_mode_16_64 3
		.amdhsa_fp16_overflow 0
		.amdhsa_memory_ordered 1
		.amdhsa_forward_progress 1
		.amdhsa_inst_pref_size 153
		.amdhsa_round_robin_scheduling 0
		.amdhsa_exception_fp_ieee_invalid_op 0
		.amdhsa_exception_fp_denorm_src 0
		.amdhsa_exception_fp_ieee_div_zero 0
		.amdhsa_exception_fp_ieee_overflow 0
		.amdhsa_exception_fp_ieee_underflow 0
		.amdhsa_exception_fp_ieee_inexact 0
		.amdhsa_exception_int_div_zero 0
	.end_amdhsa_kernel
	.section	.text._ZN9rocsolver6v33100L18getri_kernel_smallILi18E19rocblas_complex_numIdEPS3_EEvT1_iilPiilS6_bb,"axG",@progbits,_ZN9rocsolver6v33100L18getri_kernel_smallILi18E19rocblas_complex_numIdEPS3_EEvT1_iilPiilS6_bb,comdat
.Lfunc_end17:
	.size	_ZN9rocsolver6v33100L18getri_kernel_smallILi18E19rocblas_complex_numIdEPS3_EEvT1_iilPiilS6_bb, .Lfunc_end17-_ZN9rocsolver6v33100L18getri_kernel_smallILi18E19rocblas_complex_numIdEPS3_EEvT1_iilPiilS6_bb
                                        ; -- End function
	.set _ZN9rocsolver6v33100L18getri_kernel_smallILi18E19rocblas_complex_numIdEPS3_EEvT1_iilPiilS6_bb.num_vgpr, 116
	.set _ZN9rocsolver6v33100L18getri_kernel_smallILi18E19rocblas_complex_numIdEPS3_EEvT1_iilPiilS6_bb.num_agpr, 0
	.set _ZN9rocsolver6v33100L18getri_kernel_smallILi18E19rocblas_complex_numIdEPS3_EEvT1_iilPiilS6_bb.numbered_sgpr, 34
	.set _ZN9rocsolver6v33100L18getri_kernel_smallILi18E19rocblas_complex_numIdEPS3_EEvT1_iilPiilS6_bb.num_named_barrier, 0
	.set _ZN9rocsolver6v33100L18getri_kernel_smallILi18E19rocblas_complex_numIdEPS3_EEvT1_iilPiilS6_bb.private_seg_size, 304
	.set _ZN9rocsolver6v33100L18getri_kernel_smallILi18E19rocblas_complex_numIdEPS3_EEvT1_iilPiilS6_bb.uses_vcc, 1
	.set _ZN9rocsolver6v33100L18getri_kernel_smallILi18E19rocblas_complex_numIdEPS3_EEvT1_iilPiilS6_bb.uses_flat_scratch, 1
	.set _ZN9rocsolver6v33100L18getri_kernel_smallILi18E19rocblas_complex_numIdEPS3_EEvT1_iilPiilS6_bb.has_dyn_sized_stack, 0
	.set _ZN9rocsolver6v33100L18getri_kernel_smallILi18E19rocblas_complex_numIdEPS3_EEvT1_iilPiilS6_bb.has_recursion, 0
	.set _ZN9rocsolver6v33100L18getri_kernel_smallILi18E19rocblas_complex_numIdEPS3_EEvT1_iilPiilS6_bb.has_indirect_call, 0
	.section	.AMDGPU.csdata,"",@progbits
; Kernel info:
; codeLenInByte = 19504
; TotalNumSgprs: 36
; NumVgprs: 116
; ScratchSize: 304
; MemoryBound: 0
; FloatMode: 240
; IeeeMode: 1
; LDSByteSize: 1608 bytes/workgroup (compile time only)
; SGPRBlocks: 0
; VGPRBlocks: 7
; NumSGPRsForWavesPerEU: 36
; NumVGPRsForWavesPerEU: 116
; NamedBarCnt: 0
; Occupancy: 8
; WaveLimiterHint : 1
; COMPUTE_PGM_RSRC2:SCRATCH_EN: 1
; COMPUTE_PGM_RSRC2:USER_SGPR: 4
; COMPUTE_PGM_RSRC2:TRAP_HANDLER: 0
; COMPUTE_PGM_RSRC2:TGID_X_EN: 1
; COMPUTE_PGM_RSRC2:TGID_Y_EN: 0
; COMPUTE_PGM_RSRC2:TGID_Z_EN: 0
; COMPUTE_PGM_RSRC2:TIDIG_COMP_CNT: 2
	.section	.text._ZN9rocsolver6v33100L18getri_kernel_smallILi19E19rocblas_complex_numIdEPS3_EEvT1_iilPiilS6_bb,"axG",@progbits,_ZN9rocsolver6v33100L18getri_kernel_smallILi19E19rocblas_complex_numIdEPS3_EEvT1_iilPiilS6_bb,comdat
	.globl	_ZN9rocsolver6v33100L18getri_kernel_smallILi19E19rocblas_complex_numIdEPS3_EEvT1_iilPiilS6_bb ; -- Begin function _ZN9rocsolver6v33100L18getri_kernel_smallILi19E19rocblas_complex_numIdEPS3_EEvT1_iilPiilS6_bb
	.p2align	8
	.type	_ZN9rocsolver6v33100L18getri_kernel_smallILi19E19rocblas_complex_numIdEPS3_EEvT1_iilPiilS6_bb,@function
_ZN9rocsolver6v33100L18getri_kernel_smallILi19E19rocblas_complex_numIdEPS3_EEvT1_iilPiilS6_bb: ; @_ZN9rocsolver6v33100L18getri_kernel_smallILi19E19rocblas_complex_numIdEPS3_EEvT1_iilPiilS6_bb
; %bb.0:
	v_and_b32_e32 v1, 0x3ff, v0
	s_mov_b32 s4, exec_lo
	s_delay_alu instid0(VALU_DEP_1)
	v_cmpx_gt_u32_e32 19, v1
	s_cbranch_execz .LBB18_90
; %bb.1:
	s_clause 0x2
	s_load_b32 s8, s[2:3], 0x38
	s_load_b128 s[12:15], s[2:3], 0x10
	s_load_b128 s[4:7], s[2:3], 0x28
	s_getreg_b32 s11, hwreg(HW_REG_IB_STS2, 6, 4)
                                        ; implicit-def: $sgpr16_sgpr17
	s_wait_kmcnt 0x0
	s_bitcmp1_b32 s8, 8
	s_cselect_b32 s30, -1, 0
	s_bfe_u32 s9, ttmp6, 0x4000c
	s_and_b32 s10, ttmp6, 15
	s_add_co_i32 s9, s9, 1
	s_delay_alu instid0(SALU_CYCLE_1) | instskip(NEXT) | instid1(SALU_CYCLE_1)
	s_mul_i32 s9, ttmp9, s9
	s_add_co_i32 s10, s10, s9
	s_cmp_eq_u32 s11, 0
	s_cselect_b32 s18, ttmp9, s10
	s_bfe_u32 s8, s8, 0x10008
	s_ashr_i32 s19, s18, 31
	s_cmp_eq_u32 s8, 0
	s_cbranch_scc1 .LBB18_3
; %bb.2:
	s_load_b32 s8, s[2:3], 0x20
	s_mul_u64 s[4:5], s[4:5], s[18:19]
	s_delay_alu instid0(SALU_CYCLE_1) | instskip(NEXT) | instid1(SALU_CYCLE_1)
	s_lshl_b64 s[4:5], s[4:5], 2
	s_add_nc_u64 s[4:5], s[14:15], s[4:5]
	s_wait_kmcnt 0x0
	s_ashr_i32 s9, s8, 31
	s_delay_alu instid0(SALU_CYCLE_1) | instskip(NEXT) | instid1(SALU_CYCLE_1)
	s_lshl_b64 s[8:9], s[8:9], 2
	s_add_nc_u64 s[16:17], s[4:5], s[8:9]
.LBB18_3:
	s_load_b128 s[8:11], s[2:3], 0x0
	s_mul_u64 s[4:5], s[12:13], s[18:19]
	s_wait_xcnt 0x0
	s_load_b32 s2, s[2:3], 0x38
	s_lshl_b64 s[4:5], s[4:5], 4
	v_dual_mov_b32 v53, 0 :: v_dual_lshlrev_b32 v52, 4, v1
	s_movk_i32 s15, 0x80
	s_movk_i32 s20, 0x90
	;; [unrolled: 1-line block ×5, first 2 shown]
	s_mov_b32 s14, s15
	s_mov_b32 s15, s20
	;; [unrolled: 1-line block ×3, first 2 shown]
	s_movk_i32 s26, 0xc0
	s_movk_i32 s28, 0xd0
	;; [unrolled: 1-line block ×6, first 2 shown]
	s_wait_kmcnt 0x0
	v_add3_u32 v18, s11, s11, v1
	s_ashr_i32 s13, s10, 31
	s_mov_b32 s12, s10
	s_add_nc_u64 s[4:5], s[8:9], s[4:5]
	s_lshl_b64 s[8:9], s[12:13], 4
	v_add_nc_u32_e32 v20, s11, v18
	s_add_nc_u64 s[4:5], s[4:5], s[8:9]
	s_ashr_i32 s9, s11, 31
	v_add_nc_u64_e32 v[14:15], s[4:5], v[52:53]
	s_mov_b32 s8, s11
	v_add_nc_u32_e32 v22, s11, v20
	s_mov_b32 s10, 64
	s_movk_i32 s12, 0x50
	s_movk_i32 s13, 0x60
	s_movk_i32 s25, 0x120
	v_add_nc_u32_e32 v24, s11, v22
	v_lshl_add_u64 v[16:17], s[8:9], 4, v[14:15]
	s_mov_b32 s8, 32
	s_mov_b32 s9, 48
	s_bitcmp0_b32 s2, 0
	v_add_nc_u32_e32 v26, s11, v24
	s_clause 0x3
	global_load_b128 v[2:5], v18, s[4:5] scale_offset
	global_load_b128 v[6:9], v1, s[4:5] scale_offset
	;; [unrolled: 1-line block ×3, first 2 shown]
	global_load_b128 v[54:57], v[16:17], off
	s_mov_b32 s3, -1
	v_add_nc_u32_e32 v28, s11, v26
	s_delay_alu instid0(VALU_DEP_1)
	v_add_nc_u32_e32 v30, s11, v28
	s_clause 0x3
	global_load_b128 v[58:61], v22, s[4:5] scale_offset
	global_load_b128 v[62:65], v24, s[4:5] scale_offset
	;; [unrolled: 1-line block ×4, first 2 shown]
	v_add_nc_u32_e32 v32, s11, v30
	s_delay_alu instid0(VALU_DEP_1) | instskip(NEXT) | instid1(VALU_DEP_1)
	v_add_nc_u32_e32 v34, s11, v32
	v_add_nc_u32_e32 v36, s11, v34
	s_delay_alu instid0(VALU_DEP_1) | instskip(NEXT) | instid1(VALU_DEP_1)
	v_add_nc_u32_e32 v38, s11, v36
	v_add_nc_u32_e32 v40, s11, v38
	s_delay_alu instid0(VALU_DEP_1)
	v_add_nc_u32_e32 v42, s11, v40
	s_clause 0x5
	global_load_b128 v[74:77], v30, s[4:5] scale_offset
	global_load_b128 v[78:81], v32, s[4:5] scale_offset
	;; [unrolled: 1-line block ×6, first 2 shown]
	v_add_nc_u32_e32 v44, s11, v42
	s_delay_alu instid0(VALU_DEP_1) | instskip(NEXT) | instid1(VALU_DEP_1)
	v_add_nc_u32_e32 v46, s11, v44
	v_add_nc_u32_e32 v48, s11, v46
	s_delay_alu instid0(VALU_DEP_1)
	v_add_nc_u32_e32 v50, s11, v48
	s_clause 0x1
	global_load_b128 v[98:101], v42, s[4:5] scale_offset
	global_load_b128 v[102:105], v44, s[4:5] scale_offset
	s_mov_b32 s11, 16
	s_wait_loadcnt 0xf
	scratch_store_b128 off, v[2:5], off offset:32
	s_wait_loadcnt 0xe
	scratch_store_b128 off, v[6:9], off
	s_clause 0x1
	global_load_b128 v[2:5], v46, s[4:5] scale_offset
	global_load_b128 v[6:9], v48, s[4:5] scale_offset
	s_wait_loadcnt 0xf
	scratch_store_b128 off, v[10:13], off offset:48
	global_load_b128 v[10:13], v50, s[4:5] scale_offset
	s_wait_loadcnt 0xf
	scratch_store_b128 off, v[54:57], off offset:16
	s_wait_loadcnt 0xe
	scratch_store_b128 off, v[58:61], off offset:64
	;; [unrolled: 2-line block ×16, first 2 shown]
	s_cbranch_scc1 .LBB18_88
; %bb.4:
	v_cmp_eq_u32_e64 s2, 0, v1
	s_wait_xcnt 0x0
	s_and_saveexec_b32 s3, s2
; %bb.5:
	v_mov_b32_e32 v2, 0
	ds_store_b32 v2, v2 offset:608
; %bb.6:
	s_or_b32 exec_lo, exec_lo, s3
	s_wait_storecnt_dscnt 0x0
	s_barrier_signal -1
	s_barrier_wait -1
	scratch_load_b128 v[2:5], v1, off scale_offset
	s_wait_loadcnt 0x0
	v_cmp_eq_f64_e32 vcc_lo, 0, v[2:3]
	v_cmp_eq_f64_e64 s3, 0, v[4:5]
	s_and_b32 s3, vcc_lo, s3
	s_delay_alu instid0(SALU_CYCLE_1)
	s_and_saveexec_b32 s31, s3
	s_cbranch_execz .LBB18_10
; %bb.7:
	v_mov_b32_e32 v2, 0
	s_mov_b32 s33, 0
	ds_load_b32 v3, v2 offset:608
	s_wait_dscnt 0x0
	v_readfirstlane_b32 s3, v3
	v_add_nc_u32_e32 v3, 1, v1
	s_cmp_eq_u32 s3, 0
	s_delay_alu instid0(VALU_DEP_1) | instskip(SKIP_1) | instid1(SALU_CYCLE_1)
	v_cmp_gt_i32_e32 vcc_lo, s3, v3
	s_cselect_b32 s34, -1, 0
	s_or_b32 s34, s34, vcc_lo
	s_delay_alu instid0(SALU_CYCLE_1)
	s_and_b32 exec_lo, exec_lo, s34
	s_cbranch_execz .LBB18_10
; %bb.8:
	v_mov_b32_e32 v4, s3
.LBB18_9:                               ; =>This Inner Loop Header: Depth=1
	ds_cmpstore_rtn_b32 v4, v2, v3, v4 offset:608
	s_wait_dscnt 0x0
	v_cmp_ne_u32_e32 vcc_lo, 0, v4
	v_cmp_le_i32_e64 s3, v4, v3
	s_and_b32 s3, vcc_lo, s3
	s_delay_alu instid0(SALU_CYCLE_1) | instskip(NEXT) | instid1(SALU_CYCLE_1)
	s_and_b32 s3, exec_lo, s3
	s_or_b32 s33, s3, s33
	s_delay_alu instid0(SALU_CYCLE_1)
	s_and_not1_b32 exec_lo, exec_lo, s33
	s_cbranch_execnz .LBB18_9
.LBB18_10:
	s_or_b32 exec_lo, exec_lo, s31
	v_mov_b32_e32 v2, 0
	s_barrier_signal -1
	s_barrier_wait -1
	ds_load_b32 v3, v2 offset:608
	s_and_saveexec_b32 s3, s2
	s_cbranch_execz .LBB18_12
; %bb.11:
	s_lshl_b64 s[34:35], s[18:19], 2
	s_delay_alu instid0(SALU_CYCLE_1)
	s_add_nc_u64 s[34:35], s[6:7], s[34:35]
	s_wait_dscnt 0x0
	global_store_b32 v2, v3, s[34:35]
.LBB18_12:
	s_wait_xcnt 0x0
	s_or_b32 exec_lo, exec_lo, s3
	s_wait_dscnt 0x0
	v_cmp_ne_u32_e32 vcc_lo, 0, v3
	s_mov_b32 s3, 0
	s_cbranch_vccnz .LBB18_88
; %bb.13:
	v_lshl_add_u32 v19, v1, 4, 0
                                        ; implicit-def: $vgpr6_vgpr7
                                        ; implicit-def: $vgpr10_vgpr11
	scratch_load_b128 v[2:5], v19, off
	s_wait_loadcnt 0x0
	v_cmp_ngt_f64_e64 s3, |v[2:3]|, |v[4:5]|
	s_wait_xcnt 0x0
	s_and_saveexec_b32 s31, s3
	s_delay_alu instid0(SALU_CYCLE_1)
	s_xor_b32 s3, exec_lo, s31
	s_cbranch_execz .LBB18_15
; %bb.14:
	v_div_scale_f64 v[6:7], null, v[4:5], v[4:5], v[2:3]
	v_div_scale_f64 v[12:13], vcc_lo, v[2:3], v[4:5], v[2:3]
	s_delay_alu instid0(VALU_DEP_2) | instskip(SKIP_1) | instid1(TRANS32_DEP_1)
	v_rcp_f64_e32 v[8:9], v[6:7]
	v_nop
	v_fma_f64 v[10:11], -v[6:7], v[8:9], 1.0
	s_delay_alu instid0(VALU_DEP_1) | instskip(NEXT) | instid1(VALU_DEP_1)
	v_fmac_f64_e32 v[8:9], v[8:9], v[10:11]
	v_fma_f64 v[10:11], -v[6:7], v[8:9], 1.0
	s_delay_alu instid0(VALU_DEP_1) | instskip(NEXT) | instid1(VALU_DEP_1)
	v_fmac_f64_e32 v[8:9], v[8:9], v[10:11]
	v_mul_f64_e32 v[10:11], v[12:13], v[8:9]
	s_delay_alu instid0(VALU_DEP_1) | instskip(NEXT) | instid1(VALU_DEP_1)
	v_fma_f64 v[6:7], -v[6:7], v[10:11], v[12:13]
	v_div_fmas_f64 v[6:7], v[6:7], v[8:9], v[10:11]
	s_delay_alu instid0(VALU_DEP_1) | instskip(NEXT) | instid1(VALU_DEP_1)
	v_div_fixup_f64 v[6:7], v[6:7], v[4:5], v[2:3]
	v_fmac_f64_e32 v[4:5], v[2:3], v[6:7]
	s_delay_alu instid0(VALU_DEP_1) | instskip(SKIP_1) | instid1(VALU_DEP_2)
	v_div_scale_f64 v[2:3], null, v[4:5], v[4:5], 1.0
	v_div_scale_f64 v[12:13], vcc_lo, 1.0, v[4:5], 1.0
	v_rcp_f64_e32 v[8:9], v[2:3]
	v_nop
	s_delay_alu instid0(TRANS32_DEP_1) | instskip(NEXT) | instid1(VALU_DEP_1)
	v_fma_f64 v[10:11], -v[2:3], v[8:9], 1.0
	v_fmac_f64_e32 v[8:9], v[8:9], v[10:11]
	s_delay_alu instid0(VALU_DEP_1) | instskip(NEXT) | instid1(VALU_DEP_1)
	v_fma_f64 v[10:11], -v[2:3], v[8:9], 1.0
	v_fmac_f64_e32 v[8:9], v[8:9], v[10:11]
	s_delay_alu instid0(VALU_DEP_1) | instskip(NEXT) | instid1(VALU_DEP_1)
	v_mul_f64_e32 v[10:11], v[12:13], v[8:9]
	v_fma_f64 v[2:3], -v[2:3], v[10:11], v[12:13]
	s_delay_alu instid0(VALU_DEP_1) | instskip(NEXT) | instid1(VALU_DEP_1)
	v_div_fmas_f64 v[2:3], v[2:3], v[8:9], v[10:11]
	v_div_fixup_f64 v[8:9], v[2:3], v[4:5], 1.0
                                        ; implicit-def: $vgpr2_vgpr3
	s_delay_alu instid0(VALU_DEP_1) | instskip(SKIP_1) | instid1(VALU_DEP_2)
	v_mul_f64_e32 v[6:7], v[6:7], v[8:9]
	v_xor_b32_e32 v9, 0x80000000, v9
	v_xor_b32_e32 v11, 0x80000000, v7
	s_delay_alu instid0(VALU_DEP_3)
	v_mov_b32_e32 v10, v6
.LBB18_15:
	s_and_not1_saveexec_b32 s3, s3
	s_cbranch_execz .LBB18_17
; %bb.16:
	v_div_scale_f64 v[6:7], null, v[2:3], v[2:3], v[4:5]
	v_div_scale_f64 v[12:13], vcc_lo, v[4:5], v[2:3], v[4:5]
	s_delay_alu instid0(VALU_DEP_2) | instskip(SKIP_1) | instid1(TRANS32_DEP_1)
	v_rcp_f64_e32 v[8:9], v[6:7]
	v_nop
	v_fma_f64 v[10:11], -v[6:7], v[8:9], 1.0
	s_delay_alu instid0(VALU_DEP_1) | instskip(NEXT) | instid1(VALU_DEP_1)
	v_fmac_f64_e32 v[8:9], v[8:9], v[10:11]
	v_fma_f64 v[10:11], -v[6:7], v[8:9], 1.0
	s_delay_alu instid0(VALU_DEP_1) | instskip(NEXT) | instid1(VALU_DEP_1)
	v_fmac_f64_e32 v[8:9], v[8:9], v[10:11]
	v_mul_f64_e32 v[10:11], v[12:13], v[8:9]
	s_delay_alu instid0(VALU_DEP_1) | instskip(NEXT) | instid1(VALU_DEP_1)
	v_fma_f64 v[6:7], -v[6:7], v[10:11], v[12:13]
	v_div_fmas_f64 v[6:7], v[6:7], v[8:9], v[10:11]
	s_delay_alu instid0(VALU_DEP_1) | instskip(NEXT) | instid1(VALU_DEP_1)
	v_div_fixup_f64 v[8:9], v[6:7], v[2:3], v[4:5]
	v_fmac_f64_e32 v[2:3], v[4:5], v[8:9]
	s_delay_alu instid0(VALU_DEP_1) | instskip(NEXT) | instid1(VALU_DEP_1)
	v_div_scale_f64 v[4:5], null, v[2:3], v[2:3], 1.0
	v_rcp_f64_e32 v[6:7], v[4:5]
	v_nop
	s_delay_alu instid0(TRANS32_DEP_1) | instskip(NEXT) | instid1(VALU_DEP_1)
	v_fma_f64 v[10:11], -v[4:5], v[6:7], 1.0
	v_fmac_f64_e32 v[6:7], v[6:7], v[10:11]
	s_delay_alu instid0(VALU_DEP_1) | instskip(NEXT) | instid1(VALU_DEP_1)
	v_fma_f64 v[10:11], -v[4:5], v[6:7], 1.0
	v_fmac_f64_e32 v[6:7], v[6:7], v[10:11]
	v_div_scale_f64 v[10:11], vcc_lo, 1.0, v[2:3], 1.0
	s_delay_alu instid0(VALU_DEP_1) | instskip(NEXT) | instid1(VALU_DEP_1)
	v_mul_f64_e32 v[12:13], v[10:11], v[6:7]
	v_fma_f64 v[4:5], -v[4:5], v[12:13], v[10:11]
	s_delay_alu instid0(VALU_DEP_1) | instskip(NEXT) | instid1(VALU_DEP_1)
	v_div_fmas_f64 v[4:5], v[4:5], v[6:7], v[12:13]
	v_div_fixup_f64 v[6:7], v[4:5], v[2:3], 1.0
	s_delay_alu instid0(VALU_DEP_1)
	v_mul_f64_e64 v[8:9], v[8:9], -v[6:7]
	v_xor_b32_e32 v11, 0x80000000, v7
	v_mov_b32_e32 v10, v6
.LBB18_17:
	s_or_b32 exec_lo, exec_lo, s3
	s_clause 0x1
	scratch_store_b128 v19, v[6:9], off
	scratch_load_b128 v[2:5], off, s11
	v_xor_b32_e32 v13, 0x80000000, v9
	v_mov_b32_e32 v12, v8
	s_wait_xcnt 0x1
	v_add_nc_u32_e32 v6, 0x130, v52
	ds_store_b128 v52, v[10:13]
	s_wait_loadcnt 0x0
	ds_store_b128 v52, v[2:5] offset:304
	s_wait_storecnt_dscnt 0x0
	s_barrier_signal -1
	s_barrier_wait -1
	s_wait_xcnt 0x0
	s_and_saveexec_b32 s3, s2
	s_cbranch_execz .LBB18_19
; %bb.18:
	scratch_load_b128 v[2:5], v19, off
	ds_load_b128 v[8:11], v6
	v_mov_b32_e32 v7, 0
	ds_load_b128 v[54:57], v7 offset:16
	s_wait_loadcnt_dscnt 0x1
	v_mul_f64_e32 v[12:13], v[8:9], v[4:5]
	v_mul_f64_e32 v[4:5], v[10:11], v[4:5]
	s_delay_alu instid0(VALU_DEP_2) | instskip(NEXT) | instid1(VALU_DEP_2)
	v_fmac_f64_e32 v[12:13], v[10:11], v[2:3]
	v_fma_f64 v[2:3], v[8:9], v[2:3], -v[4:5]
	s_delay_alu instid0(VALU_DEP_2) | instskip(NEXT) | instid1(VALU_DEP_2)
	v_add_f64_e32 v[8:9], 0, v[12:13]
	v_add_f64_e32 v[2:3], 0, v[2:3]
	s_wait_dscnt 0x0
	s_delay_alu instid0(VALU_DEP_2) | instskip(NEXT) | instid1(VALU_DEP_2)
	v_mul_f64_e32 v[10:11], v[8:9], v[56:57]
	v_mul_f64_e32 v[4:5], v[2:3], v[56:57]
	s_delay_alu instid0(VALU_DEP_2) | instskip(NEXT) | instid1(VALU_DEP_2)
	v_fma_f64 v[2:3], v[2:3], v[54:55], -v[10:11]
	v_fmac_f64_e32 v[4:5], v[8:9], v[54:55]
	scratch_store_b128 off, v[2:5], off offset:16
.LBB18_19:
	s_wait_xcnt 0x0
	s_or_b32 exec_lo, exec_lo, s3
	s_wait_storecnt 0x0
	s_barrier_signal -1
	s_barrier_wait -1
	scratch_load_b128 v[2:5], off, s8
	s_mov_b32 s3, exec_lo
	s_wait_loadcnt 0x0
	ds_store_b128 v6, v[2:5]
	s_wait_dscnt 0x0
	s_barrier_signal -1
	s_barrier_wait -1
	v_cmpx_gt_u32_e32 2, v1
	s_cbranch_execz .LBB18_23
; %bb.20:
	scratch_load_b128 v[2:5], v19, off
	ds_load_b128 v[8:11], v6
	s_wait_loadcnt_dscnt 0x0
	v_mul_f64_e32 v[12:13], v[10:11], v[4:5]
	v_mul_f64_e32 v[54:55], v[8:9], v[4:5]
	s_delay_alu instid0(VALU_DEP_2) | instskip(NEXT) | instid1(VALU_DEP_2)
	v_fma_f64 v[4:5], v[8:9], v[2:3], -v[12:13]
	v_fmac_f64_e32 v[54:55], v[10:11], v[2:3]
	s_delay_alu instid0(VALU_DEP_2) | instskip(NEXT) | instid1(VALU_DEP_2)
	v_add_f64_e32 v[4:5], 0, v[4:5]
	v_add_f64_e32 v[2:3], 0, v[54:55]
	s_and_saveexec_b32 s31, s2
	s_cbranch_execz .LBB18_22
; %bb.21:
	scratch_load_b128 v[8:11], off, off offset:16
	v_mov_b32_e32 v7, 0
	ds_load_b128 v[54:57], v7 offset:320
	s_wait_loadcnt_dscnt 0x0
	v_mul_f64_e32 v[12:13], v[54:55], v[10:11]
	v_mul_f64_e32 v[10:11], v[56:57], v[10:11]
	s_delay_alu instid0(VALU_DEP_2) | instskip(NEXT) | instid1(VALU_DEP_2)
	v_fmac_f64_e32 v[12:13], v[56:57], v[8:9]
	v_fma_f64 v[8:9], v[54:55], v[8:9], -v[10:11]
	s_delay_alu instid0(VALU_DEP_2) | instskip(NEXT) | instid1(VALU_DEP_2)
	v_add_f64_e32 v[2:3], v[2:3], v[12:13]
	v_add_f64_e32 v[4:5], v[4:5], v[8:9]
.LBB18_22:
	s_or_b32 exec_lo, exec_lo, s31
	v_mov_b32_e32 v7, 0
	ds_load_b128 v[8:11], v7 offset:32
	s_wait_dscnt 0x0
	v_mul_f64_e32 v[54:55], v[2:3], v[10:11]
	v_mul_f64_e32 v[12:13], v[4:5], v[10:11]
	s_delay_alu instid0(VALU_DEP_2) | instskip(NEXT) | instid1(VALU_DEP_2)
	v_fma_f64 v[10:11], v[4:5], v[8:9], -v[54:55]
	v_fmac_f64_e32 v[12:13], v[2:3], v[8:9]
	scratch_store_b128 off, v[10:13], off offset:32
.LBB18_23:
	s_wait_xcnt 0x0
	s_or_b32 exec_lo, exec_lo, s3
	s_wait_storecnt 0x0
	s_barrier_signal -1
	s_barrier_wait -1
	scratch_load_b128 v[2:5], off, s9
	v_add_nc_u32_e32 v7, -1, v1
	s_mov_b32 s2, exec_lo
	s_wait_loadcnt 0x0
	ds_store_b128 v6, v[2:5]
	s_wait_dscnt 0x0
	s_barrier_signal -1
	s_barrier_wait -1
	v_cmpx_gt_u32_e32 3, v1
	s_cbranch_execz .LBB18_27
; %bb.24:
	v_dual_mov_b32 v10, v52 :: v_dual_add_nc_u32 v8, -1, v1
	v_mov_b64_e32 v[2:3], 0
	v_mov_b64_e32 v[4:5], 0
	v_add_nc_u32_e32 v9, 0x130, v52
	s_delay_alu instid0(VALU_DEP_4)
	v_or_b32_e32 v10, 8, v10
	s_mov_b32 s3, 0
.LBB18_25:                              ; =>This Inner Loop Header: Depth=1
	scratch_load_b128 v[54:57], v10, off offset:-8
	ds_load_b128 v[58:61], v9
	s_wait_xcnt 0x0
	v_dual_add_nc_u32 v9, 16, v9 :: v_dual_add_nc_u32 v10, 16, v10
	v_add_nc_u32_e32 v8, 1, v8
	s_delay_alu instid0(VALU_DEP_1) | instskip(SKIP_4) | instid1(VALU_DEP_2)
	v_cmp_lt_u32_e32 vcc_lo, 1, v8
	s_or_b32 s3, vcc_lo, s3
	s_wait_loadcnt_dscnt 0x0
	v_mul_f64_e32 v[12:13], v[60:61], v[56:57]
	v_mul_f64_e32 v[56:57], v[58:59], v[56:57]
	v_fma_f64 v[12:13], v[58:59], v[54:55], -v[12:13]
	s_delay_alu instid0(VALU_DEP_2) | instskip(NEXT) | instid1(VALU_DEP_2)
	v_fmac_f64_e32 v[56:57], v[60:61], v[54:55]
	v_add_f64_e32 v[4:5], v[4:5], v[12:13]
	s_delay_alu instid0(VALU_DEP_2)
	v_add_f64_e32 v[2:3], v[2:3], v[56:57]
	s_and_not1_b32 exec_lo, exec_lo, s3
	s_cbranch_execnz .LBB18_25
; %bb.26:
	s_or_b32 exec_lo, exec_lo, s3
	v_mov_b32_e32 v8, 0
	ds_load_b128 v[8:11], v8 offset:48
	s_wait_dscnt 0x0
	v_mul_f64_e32 v[54:55], v[2:3], v[10:11]
	v_mul_f64_e32 v[12:13], v[4:5], v[10:11]
	s_delay_alu instid0(VALU_DEP_2) | instskip(NEXT) | instid1(VALU_DEP_2)
	v_fma_f64 v[10:11], v[4:5], v[8:9], -v[54:55]
	v_fmac_f64_e32 v[12:13], v[2:3], v[8:9]
	scratch_store_b128 off, v[10:13], off offset:48
.LBB18_27:
	s_wait_xcnt 0x0
	s_or_b32 exec_lo, exec_lo, s2
	s_wait_storecnt 0x0
	s_barrier_signal -1
	s_barrier_wait -1
	scratch_load_b128 v[2:5], off, s10
	s_mov_b32 s2, exec_lo
	s_wait_loadcnt 0x0
	ds_store_b128 v6, v[2:5]
	s_wait_dscnt 0x0
	s_barrier_signal -1
	s_barrier_wait -1
	v_cmpx_gt_u32_e32 4, v1
	s_cbranch_execz .LBB18_31
; %bb.28:
	v_dual_mov_b32 v10, v52 :: v_dual_add_nc_u32 v8, -1, v1
	v_mov_b64_e32 v[2:3], 0
	v_mov_b64_e32 v[4:5], 0
	v_add_nc_u32_e32 v9, 0x130, v52
	s_delay_alu instid0(VALU_DEP_4)
	v_or_b32_e32 v10, 8, v10
	s_mov_b32 s3, 0
.LBB18_29:                              ; =>This Inner Loop Header: Depth=1
	scratch_load_b128 v[54:57], v10, off offset:-8
	ds_load_b128 v[58:61], v9
	s_wait_xcnt 0x0
	v_dual_add_nc_u32 v9, 16, v9 :: v_dual_add_nc_u32 v10, 16, v10
	v_add_nc_u32_e32 v8, 1, v8
	s_delay_alu instid0(VALU_DEP_1) | instskip(SKIP_4) | instid1(VALU_DEP_2)
	v_cmp_lt_u32_e32 vcc_lo, 2, v8
	s_or_b32 s3, vcc_lo, s3
	s_wait_loadcnt_dscnt 0x0
	v_mul_f64_e32 v[12:13], v[60:61], v[56:57]
	v_mul_f64_e32 v[56:57], v[58:59], v[56:57]
	v_fma_f64 v[12:13], v[58:59], v[54:55], -v[12:13]
	s_delay_alu instid0(VALU_DEP_2) | instskip(NEXT) | instid1(VALU_DEP_2)
	v_fmac_f64_e32 v[56:57], v[60:61], v[54:55]
	v_add_f64_e32 v[4:5], v[4:5], v[12:13]
	s_delay_alu instid0(VALU_DEP_2)
	v_add_f64_e32 v[2:3], v[2:3], v[56:57]
	s_and_not1_b32 exec_lo, exec_lo, s3
	s_cbranch_execnz .LBB18_29
; %bb.30:
	s_or_b32 exec_lo, exec_lo, s3
	v_mov_b32_e32 v8, 0
	ds_load_b128 v[8:11], v8 offset:64
	s_wait_dscnt 0x0
	v_mul_f64_e32 v[54:55], v[2:3], v[10:11]
	v_mul_f64_e32 v[12:13], v[4:5], v[10:11]
	s_delay_alu instid0(VALU_DEP_2) | instskip(NEXT) | instid1(VALU_DEP_2)
	v_fma_f64 v[10:11], v[4:5], v[8:9], -v[54:55]
	v_fmac_f64_e32 v[12:13], v[2:3], v[8:9]
	scratch_store_b128 off, v[10:13], off offset:64
.LBB18_31:
	s_wait_xcnt 0x0
	s_or_b32 exec_lo, exec_lo, s2
	s_wait_storecnt 0x0
	s_barrier_signal -1
	s_barrier_wait -1
	scratch_load_b128 v[2:5], off, s12
	;; [unrolled: 54-line block ×15, first 2 shown]
	s_mov_b32 s2, exec_lo
	s_wait_loadcnt 0x0
	ds_store_b128 v6, v[2:5]
	s_wait_dscnt 0x0
	s_barrier_signal -1
	s_barrier_wait -1
	v_cmpx_ne_u32_e32 18, v1
	s_cbranch_execz .LBB18_87
; %bb.84:
	v_mov_b32_e32 v8, v52
	v_mov_b64_e32 v[2:3], 0
	v_mov_b64_e32 v[4:5], 0
	s_mov_b32 s3, 0
	s_delay_alu instid0(VALU_DEP_3)
	v_or_b32_e32 v8, 8, v8
.LBB18_85:                              ; =>This Inner Loop Header: Depth=1
	scratch_load_b128 v[10:13], v8, off offset:-8
	ds_load_b128 v[52:55], v6
	v_dual_add_nc_u32 v7, 1, v7 :: v_dual_add_nc_u32 v6, 16, v6
	s_wait_xcnt 0x0
	v_add_nc_u32_e32 v8, 16, v8
	s_delay_alu instid0(VALU_DEP_2) | instskip(SKIP_4) | instid1(VALU_DEP_2)
	v_cmp_lt_u32_e32 vcc_lo, 16, v7
	s_or_b32 s3, vcc_lo, s3
	s_wait_loadcnt_dscnt 0x0
	v_mul_f64_e32 v[56:57], v[54:55], v[12:13]
	v_mul_f64_e32 v[12:13], v[52:53], v[12:13]
	v_fma_f64 v[52:53], v[52:53], v[10:11], -v[56:57]
	s_delay_alu instid0(VALU_DEP_2) | instskip(NEXT) | instid1(VALU_DEP_2)
	v_fmac_f64_e32 v[12:13], v[54:55], v[10:11]
	v_add_f64_e32 v[4:5], v[4:5], v[52:53]
	s_delay_alu instid0(VALU_DEP_2)
	v_add_f64_e32 v[2:3], v[2:3], v[12:13]
	s_and_not1_b32 exec_lo, exec_lo, s3
	s_cbranch_execnz .LBB18_85
; %bb.86:
	s_or_b32 exec_lo, exec_lo, s3
	v_mov_b32_e32 v6, 0
	ds_load_b128 v[6:9], v6 offset:288
	s_wait_dscnt 0x0
	v_mul_f64_e32 v[12:13], v[2:3], v[8:9]
	v_mul_f64_e32 v[10:11], v[4:5], v[8:9]
	s_delay_alu instid0(VALU_DEP_2) | instskip(NEXT) | instid1(VALU_DEP_2)
	v_fma_f64 v[8:9], v[4:5], v[6:7], -v[12:13]
	v_fmac_f64_e32 v[10:11], v[2:3], v[6:7]
	scratch_store_b128 off, v[8:11], off offset:288
.LBB18_87:
	s_wait_xcnt 0x0
	s_or_b32 exec_lo, exec_lo, s2
	s_mov_b32 s3, -1
	s_wait_storecnt 0x0
	s_barrier_signal -1
	s_barrier_wait -1
.LBB18_88:
	s_and_b32 vcc_lo, exec_lo, s3
	s_cbranch_vccz .LBB18_90
; %bb.89:
	s_wait_xcnt 0x2
	v_mov_b32_e32 v2, 0
	s_lshl_b64 s[2:3], s[18:19], 2
	s_delay_alu instid0(SALU_CYCLE_1)
	s_add_nc_u64 s[2:3], s[6:7], s[2:3]
	global_load_b32 v2, v2, s[2:3]
	s_wait_loadcnt 0x0
	v_cmp_ne_u32_e32 vcc_lo, 0, v2
	s_cbranch_vccz .LBB18_91
.LBB18_90:
	s_sendmsg sendmsg(MSG_DEALLOC_VGPRS)
	s_endpgm
.LBB18_91:
	s_wait_xcnt 0x2
	v_lshl_add_u32 v6, v1, 4, 0x130
	s_wait_xcnt 0x0
	s_mov_b32 s2, exec_lo
	v_cmpx_eq_u32_e32 18, v1
	s_cbranch_execz .LBB18_93
; %bb.92:
	scratch_load_b128 v[2:5], off, s21
	v_mov_b32_e32 v8, 0
	s_delay_alu instid0(VALU_DEP_1)
	v_dual_mov_b32 v9, v8 :: v_dual_mov_b32 v10, v8
	v_mov_b32_e32 v11, v8
	scratch_store_b128 off, v[8:11], off offset:272
	s_wait_loadcnt 0x0
	ds_store_b128 v6, v[2:5]
.LBB18_93:
	s_wait_xcnt 0x0
	s_or_b32 exec_lo, exec_lo, s2
	s_wait_storecnt_dscnt 0x0
	s_barrier_signal -1
	s_barrier_wait -1
	s_clause 0x1
	scratch_load_b128 v[8:11], off, off offset:288
	scratch_load_b128 v[52:55], off, off offset:272
	v_mov_b32_e32 v2, 0
	s_mov_b32 s2, exec_lo
	ds_load_b128 v[56:59], v2 offset:592
	s_wait_loadcnt_dscnt 0x100
	v_mul_f64_e32 v[4:5], v[58:59], v[10:11]
	v_mul_f64_e32 v[10:11], v[56:57], v[10:11]
	s_delay_alu instid0(VALU_DEP_2) | instskip(NEXT) | instid1(VALU_DEP_2)
	v_fma_f64 v[4:5], v[56:57], v[8:9], -v[4:5]
	v_fmac_f64_e32 v[10:11], v[58:59], v[8:9]
	s_delay_alu instid0(VALU_DEP_2) | instskip(NEXT) | instid1(VALU_DEP_2)
	v_add_f64_e32 v[4:5], 0, v[4:5]
	v_add_f64_e32 v[10:11], 0, v[10:11]
	s_wait_loadcnt 0x0
	s_delay_alu instid0(VALU_DEP_2) | instskip(NEXT) | instid1(VALU_DEP_2)
	v_add_f64_e64 v[8:9], v[52:53], -v[4:5]
	v_add_f64_e64 v[10:11], v[54:55], -v[10:11]
	scratch_store_b128 off, v[8:11], off offset:272
	s_wait_xcnt 0x0
	v_cmpx_lt_u32_e32 16, v1
	s_cbranch_execz .LBB18_95
; %bb.94:
	scratch_load_b128 v[8:11], off, s27
	v_dual_mov_b32 v3, v2 :: v_dual_mov_b32 v4, v2
	v_mov_b32_e32 v5, v2
	scratch_store_b128 off, v[2:5], off offset:256
	s_wait_loadcnt 0x0
	ds_store_b128 v6, v[8:11]
.LBB18_95:
	s_wait_xcnt 0x0
	s_or_b32 exec_lo, exec_lo, s2
	s_wait_storecnt_dscnt 0x0
	s_barrier_signal -1
	s_barrier_wait -1
	s_clause 0x2
	scratch_load_b128 v[8:11], off, off offset:272
	scratch_load_b128 v[52:55], off, off offset:288
	scratch_load_b128 v[56:59], off, off offset:256
	ds_load_b128 v[60:63], v2 offset:576
	ds_load_b128 v[2:5], v2 offset:592
	s_mov_b32 s2, exec_lo
	s_wait_loadcnt_dscnt 0x201
	v_mul_f64_e32 v[12:13], v[62:63], v[10:11]
	v_mul_f64_e32 v[10:11], v[60:61], v[10:11]
	s_wait_loadcnt_dscnt 0x100
	v_mul_f64_e32 v[64:65], v[2:3], v[54:55]
	v_mul_f64_e32 v[54:55], v[4:5], v[54:55]
	s_delay_alu instid0(VALU_DEP_4) | instskip(NEXT) | instid1(VALU_DEP_4)
	v_fma_f64 v[12:13], v[60:61], v[8:9], -v[12:13]
	v_fmac_f64_e32 v[10:11], v[62:63], v[8:9]
	s_delay_alu instid0(VALU_DEP_4) | instskip(NEXT) | instid1(VALU_DEP_4)
	v_fmac_f64_e32 v[64:65], v[4:5], v[52:53]
	v_fma_f64 v[2:3], v[2:3], v[52:53], -v[54:55]
	s_delay_alu instid0(VALU_DEP_4) | instskip(NEXT) | instid1(VALU_DEP_4)
	v_add_f64_e32 v[4:5], 0, v[12:13]
	v_add_f64_e32 v[8:9], 0, v[10:11]
	s_delay_alu instid0(VALU_DEP_2) | instskip(NEXT) | instid1(VALU_DEP_2)
	v_add_f64_e32 v[2:3], v[4:5], v[2:3]
	v_add_f64_e32 v[4:5], v[8:9], v[64:65]
	s_wait_loadcnt 0x0
	s_delay_alu instid0(VALU_DEP_2) | instskip(NEXT) | instid1(VALU_DEP_2)
	v_add_f64_e64 v[2:3], v[56:57], -v[2:3]
	v_add_f64_e64 v[4:5], v[58:59], -v[4:5]
	scratch_store_b128 off, v[2:5], off offset:256
	s_wait_xcnt 0x0
	v_cmpx_lt_u32_e32 15, v1
	s_cbranch_execz .LBB18_97
; %bb.96:
	scratch_load_b128 v[2:5], off, s24
	v_mov_b32_e32 v8, 0
	s_delay_alu instid0(VALU_DEP_1)
	v_dual_mov_b32 v9, v8 :: v_dual_mov_b32 v10, v8
	v_mov_b32_e32 v11, v8
	scratch_store_b128 off, v[8:11], off offset:240
	s_wait_loadcnt 0x0
	ds_store_b128 v6, v[2:5]
.LBB18_97:
	s_wait_xcnt 0x0
	s_or_b32 exec_lo, exec_lo, s2
	s_wait_storecnt_dscnt 0x0
	s_barrier_signal -1
	s_barrier_wait -1
	s_clause 0x3
	scratch_load_b128 v[8:11], off, off offset:256
	scratch_load_b128 v[52:55], off, off offset:272
	;; [unrolled: 1-line block ×4, first 2 shown]
	v_mov_b32_e32 v2, 0
	ds_load_b128 v[64:67], v2 offset:560
	ds_load_b128 v[68:71], v2 offset:576
	s_mov_b32 s2, exec_lo
	s_wait_loadcnt_dscnt 0x301
	v_mul_f64_e32 v[4:5], v[66:67], v[10:11]
	v_mul_f64_e32 v[12:13], v[64:65], v[10:11]
	s_wait_loadcnt_dscnt 0x200
	v_mul_f64_e32 v[72:73], v[68:69], v[54:55]
	v_mul_f64_e32 v[54:55], v[70:71], v[54:55]
	s_delay_alu instid0(VALU_DEP_4) | instskip(NEXT) | instid1(VALU_DEP_4)
	v_fma_f64 v[4:5], v[64:65], v[8:9], -v[4:5]
	v_fmac_f64_e32 v[12:13], v[66:67], v[8:9]
	ds_load_b128 v[8:11], v2 offset:592
	v_fmac_f64_e32 v[72:73], v[70:71], v[52:53]
	v_fma_f64 v[52:53], v[68:69], v[52:53], -v[54:55]
	s_wait_loadcnt_dscnt 0x100
	v_mul_f64_e32 v[64:65], v[8:9], v[58:59]
	v_mul_f64_e32 v[58:59], v[10:11], v[58:59]
	v_add_f64_e32 v[4:5], 0, v[4:5]
	v_add_f64_e32 v[12:13], 0, v[12:13]
	s_delay_alu instid0(VALU_DEP_4) | instskip(NEXT) | instid1(VALU_DEP_4)
	v_fmac_f64_e32 v[64:65], v[10:11], v[56:57]
	v_fma_f64 v[8:9], v[8:9], v[56:57], -v[58:59]
	s_delay_alu instid0(VALU_DEP_4) | instskip(NEXT) | instid1(VALU_DEP_4)
	v_add_f64_e32 v[4:5], v[4:5], v[52:53]
	v_add_f64_e32 v[10:11], v[12:13], v[72:73]
	s_delay_alu instid0(VALU_DEP_2) | instskip(NEXT) | instid1(VALU_DEP_2)
	v_add_f64_e32 v[4:5], v[4:5], v[8:9]
	v_add_f64_e32 v[10:11], v[10:11], v[64:65]
	s_wait_loadcnt 0x0
	s_delay_alu instid0(VALU_DEP_2) | instskip(NEXT) | instid1(VALU_DEP_2)
	v_add_f64_e64 v[8:9], v[60:61], -v[4:5]
	v_add_f64_e64 v[10:11], v[62:63], -v[10:11]
	scratch_store_b128 off, v[8:11], off offset:240
	s_wait_xcnt 0x0
	v_cmpx_lt_u32_e32 14, v1
	s_cbranch_execz .LBB18_99
; %bb.98:
	scratch_load_b128 v[8:11], off, s29
	v_dual_mov_b32 v3, v2 :: v_dual_mov_b32 v4, v2
	v_mov_b32_e32 v5, v2
	scratch_store_b128 off, v[2:5], off offset:224
	s_wait_loadcnt 0x0
	ds_store_b128 v6, v[8:11]
.LBB18_99:
	s_wait_xcnt 0x0
	s_or_b32 exec_lo, exec_lo, s2
	s_wait_storecnt_dscnt 0x0
	s_barrier_signal -1
	s_barrier_wait -1
	s_clause 0x4
	scratch_load_b128 v[8:11], off, off offset:240
	scratch_load_b128 v[52:55], off, off offset:256
	;; [unrolled: 1-line block ×5, first 2 shown]
	ds_load_b128 v[68:71], v2 offset:544
	ds_load_b128 v[72:75], v2 offset:560
	s_mov_b32 s2, exec_lo
	s_wait_loadcnt_dscnt 0x401
	v_mul_f64_e32 v[4:5], v[70:71], v[10:11]
	v_mul_f64_e32 v[12:13], v[68:69], v[10:11]
	s_wait_loadcnt_dscnt 0x300
	v_mul_f64_e32 v[76:77], v[72:73], v[54:55]
	v_mul_f64_e32 v[54:55], v[74:75], v[54:55]
	s_delay_alu instid0(VALU_DEP_4) | instskip(NEXT) | instid1(VALU_DEP_4)
	v_fma_f64 v[68:69], v[68:69], v[8:9], -v[4:5]
	v_fmac_f64_e32 v[12:13], v[70:71], v[8:9]
	ds_load_b128 v[8:11], v2 offset:576
	ds_load_b128 v[2:5], v2 offset:592
	v_fmac_f64_e32 v[76:77], v[74:75], v[52:53]
	v_fma_f64 v[52:53], v[72:73], v[52:53], -v[54:55]
	s_wait_loadcnt_dscnt 0x201
	v_mul_f64_e32 v[70:71], v[8:9], v[58:59]
	v_mul_f64_e32 v[58:59], v[10:11], v[58:59]
	v_add_f64_e32 v[54:55], 0, v[68:69]
	v_add_f64_e32 v[12:13], 0, v[12:13]
	s_wait_loadcnt_dscnt 0x100
	v_mul_f64_e32 v[68:69], v[2:3], v[62:63]
	v_mul_f64_e32 v[62:63], v[4:5], v[62:63]
	v_fmac_f64_e32 v[70:71], v[10:11], v[56:57]
	v_fma_f64 v[8:9], v[8:9], v[56:57], -v[58:59]
	v_add_f64_e32 v[10:11], v[54:55], v[52:53]
	v_add_f64_e32 v[12:13], v[12:13], v[76:77]
	v_fmac_f64_e32 v[68:69], v[4:5], v[60:61]
	v_fma_f64 v[2:3], v[2:3], v[60:61], -v[62:63]
	s_delay_alu instid0(VALU_DEP_4) | instskip(NEXT) | instid1(VALU_DEP_4)
	v_add_f64_e32 v[4:5], v[10:11], v[8:9]
	v_add_f64_e32 v[8:9], v[12:13], v[70:71]
	s_delay_alu instid0(VALU_DEP_2) | instskip(NEXT) | instid1(VALU_DEP_2)
	v_add_f64_e32 v[2:3], v[4:5], v[2:3]
	v_add_f64_e32 v[4:5], v[8:9], v[68:69]
	s_wait_loadcnt 0x0
	s_delay_alu instid0(VALU_DEP_2) | instskip(NEXT) | instid1(VALU_DEP_2)
	v_add_f64_e64 v[2:3], v[64:65], -v[2:3]
	v_add_f64_e64 v[4:5], v[66:67], -v[4:5]
	scratch_store_b128 off, v[2:5], off offset:224
	s_wait_xcnt 0x0
	v_cmpx_lt_u32_e32 13, v1
	s_cbranch_execz .LBB18_101
; %bb.100:
	scratch_load_b128 v[2:5], off, s28
	v_mov_b32_e32 v8, 0
	s_delay_alu instid0(VALU_DEP_1)
	v_dual_mov_b32 v9, v8 :: v_dual_mov_b32 v10, v8
	v_mov_b32_e32 v11, v8
	scratch_store_b128 off, v[8:11], off offset:208
	s_wait_loadcnt 0x0
	ds_store_b128 v6, v[2:5]
.LBB18_101:
	s_wait_xcnt 0x0
	s_or_b32 exec_lo, exec_lo, s2
	s_wait_storecnt_dscnt 0x0
	s_barrier_signal -1
	s_barrier_wait -1
	s_clause 0x5
	scratch_load_b128 v[8:11], off, off offset:224
	scratch_load_b128 v[52:55], off, off offset:240
	;; [unrolled: 1-line block ×6, first 2 shown]
	v_mov_b32_e32 v2, 0
	ds_load_b128 v[72:75], v2 offset:528
	ds_load_b128 v[76:79], v2 offset:544
	s_mov_b32 s2, exec_lo
	s_wait_loadcnt_dscnt 0x501
	v_mul_f64_e32 v[4:5], v[74:75], v[10:11]
	v_mul_f64_e32 v[12:13], v[72:73], v[10:11]
	s_wait_loadcnt_dscnt 0x400
	v_mul_f64_e32 v[80:81], v[76:77], v[54:55]
	v_mul_f64_e32 v[54:55], v[78:79], v[54:55]
	s_delay_alu instid0(VALU_DEP_4) | instskip(NEXT) | instid1(VALU_DEP_4)
	v_fma_f64 v[4:5], v[72:73], v[8:9], -v[4:5]
	v_fmac_f64_e32 v[12:13], v[74:75], v[8:9]
	ds_load_b128 v[8:11], v2 offset:560
	ds_load_b128 v[72:75], v2 offset:576
	v_fmac_f64_e32 v[80:81], v[78:79], v[52:53]
	v_fma_f64 v[52:53], v[76:77], v[52:53], -v[54:55]
	s_wait_loadcnt_dscnt 0x301
	v_mul_f64_e32 v[82:83], v[8:9], v[58:59]
	v_mul_f64_e32 v[58:59], v[10:11], v[58:59]
	s_wait_loadcnt_dscnt 0x200
	v_mul_f64_e32 v[54:55], v[72:73], v[62:63]
	v_mul_f64_e32 v[62:63], v[74:75], v[62:63]
	v_add_f64_e32 v[4:5], 0, v[4:5]
	v_add_f64_e32 v[12:13], 0, v[12:13]
	v_fmac_f64_e32 v[82:83], v[10:11], v[56:57]
	v_fma_f64 v[56:57], v[8:9], v[56:57], -v[58:59]
	ds_load_b128 v[8:11], v2 offset:592
	v_fmac_f64_e32 v[54:55], v[74:75], v[60:61]
	v_fma_f64 v[60:61], v[72:73], v[60:61], -v[62:63]
	v_add_f64_e32 v[4:5], v[4:5], v[52:53]
	v_add_f64_e32 v[12:13], v[12:13], v[80:81]
	s_wait_loadcnt_dscnt 0x100
	v_mul_f64_e32 v[52:53], v[8:9], v[66:67]
	v_mul_f64_e32 v[58:59], v[10:11], v[66:67]
	s_delay_alu instid0(VALU_DEP_4) | instskip(NEXT) | instid1(VALU_DEP_4)
	v_add_f64_e32 v[4:5], v[4:5], v[56:57]
	v_add_f64_e32 v[12:13], v[12:13], v[82:83]
	s_delay_alu instid0(VALU_DEP_4) | instskip(NEXT) | instid1(VALU_DEP_4)
	v_fmac_f64_e32 v[52:53], v[10:11], v[64:65]
	v_fma_f64 v[8:9], v[8:9], v[64:65], -v[58:59]
	s_delay_alu instid0(VALU_DEP_4) | instskip(NEXT) | instid1(VALU_DEP_4)
	v_add_f64_e32 v[4:5], v[4:5], v[60:61]
	v_add_f64_e32 v[10:11], v[12:13], v[54:55]
	s_delay_alu instid0(VALU_DEP_2) | instskip(NEXT) | instid1(VALU_DEP_2)
	v_add_f64_e32 v[4:5], v[4:5], v[8:9]
	v_add_f64_e32 v[10:11], v[10:11], v[52:53]
	s_wait_loadcnt 0x0
	s_delay_alu instid0(VALU_DEP_2) | instskip(NEXT) | instid1(VALU_DEP_2)
	v_add_f64_e64 v[8:9], v[68:69], -v[4:5]
	v_add_f64_e64 v[10:11], v[70:71], -v[10:11]
	scratch_store_b128 off, v[8:11], off offset:208
	s_wait_xcnt 0x0
	v_cmpx_lt_u32_e32 12, v1
	s_cbranch_execz .LBB18_103
; %bb.102:
	scratch_load_b128 v[8:11], off, s26
	v_dual_mov_b32 v3, v2 :: v_dual_mov_b32 v4, v2
	v_mov_b32_e32 v5, v2
	scratch_store_b128 off, v[2:5], off offset:192
	s_wait_loadcnt 0x0
	ds_store_b128 v6, v[8:11]
.LBB18_103:
	s_wait_xcnt 0x0
	s_or_b32 exec_lo, exec_lo, s2
	s_wait_storecnt_dscnt 0x0
	s_barrier_signal -1
	s_barrier_wait -1
	s_clause 0x6
	scratch_load_b128 v[8:11], off, off offset:208
	scratch_load_b128 v[52:55], off, off offset:224
	;; [unrolled: 1-line block ×7, first 2 shown]
	ds_load_b128 v[76:79], v2 offset:512
	ds_load_b128 v[80:83], v2 offset:528
	s_mov_b32 s2, exec_lo
	s_wait_loadcnt_dscnt 0x601
	v_mul_f64_e32 v[4:5], v[78:79], v[10:11]
	v_mul_f64_e32 v[12:13], v[76:77], v[10:11]
	s_wait_loadcnt_dscnt 0x500
	v_mul_f64_e32 v[84:85], v[80:81], v[54:55]
	v_mul_f64_e32 v[54:55], v[82:83], v[54:55]
	s_delay_alu instid0(VALU_DEP_4) | instskip(NEXT) | instid1(VALU_DEP_4)
	v_fma_f64 v[4:5], v[76:77], v[8:9], -v[4:5]
	v_fmac_f64_e32 v[12:13], v[78:79], v[8:9]
	ds_load_b128 v[8:11], v2 offset:544
	ds_load_b128 v[76:79], v2 offset:560
	v_fmac_f64_e32 v[84:85], v[82:83], v[52:53]
	v_fma_f64 v[52:53], v[80:81], v[52:53], -v[54:55]
	s_wait_loadcnt_dscnt 0x401
	v_mul_f64_e32 v[86:87], v[8:9], v[58:59]
	v_mul_f64_e32 v[58:59], v[10:11], v[58:59]
	s_wait_loadcnt_dscnt 0x300
	v_mul_f64_e32 v[54:55], v[76:77], v[62:63]
	v_mul_f64_e32 v[62:63], v[78:79], v[62:63]
	v_add_f64_e32 v[4:5], 0, v[4:5]
	v_add_f64_e32 v[12:13], 0, v[12:13]
	v_fmac_f64_e32 v[86:87], v[10:11], v[56:57]
	v_fma_f64 v[56:57], v[8:9], v[56:57], -v[58:59]
	v_fmac_f64_e32 v[54:55], v[78:79], v[60:61]
	v_fma_f64 v[60:61], v[76:77], v[60:61], -v[62:63]
	v_add_f64_e32 v[52:53], v[4:5], v[52:53]
	v_add_f64_e32 v[12:13], v[12:13], v[84:85]
	ds_load_b128 v[8:11], v2 offset:576
	ds_load_b128 v[2:5], v2 offset:592
	s_wait_loadcnt_dscnt 0x201
	v_mul_f64_e32 v[58:59], v[8:9], v[66:67]
	v_mul_f64_e32 v[66:67], v[10:11], v[66:67]
	s_wait_loadcnt_dscnt 0x100
	v_mul_f64_e32 v[62:63], v[4:5], v[70:71]
	v_add_f64_e32 v[52:53], v[52:53], v[56:57]
	v_add_f64_e32 v[12:13], v[12:13], v[86:87]
	v_mul_f64_e32 v[56:57], v[2:3], v[70:71]
	v_fmac_f64_e32 v[58:59], v[10:11], v[64:65]
	v_fma_f64 v[8:9], v[8:9], v[64:65], -v[66:67]
	v_fma_f64 v[2:3], v[2:3], v[68:69], -v[62:63]
	v_add_f64_e32 v[10:11], v[52:53], v[60:61]
	v_add_f64_e32 v[12:13], v[12:13], v[54:55]
	v_fmac_f64_e32 v[56:57], v[4:5], v[68:69]
	s_delay_alu instid0(VALU_DEP_3) | instskip(NEXT) | instid1(VALU_DEP_3)
	v_add_f64_e32 v[4:5], v[10:11], v[8:9]
	v_add_f64_e32 v[8:9], v[12:13], v[58:59]
	s_delay_alu instid0(VALU_DEP_2) | instskip(NEXT) | instid1(VALU_DEP_2)
	v_add_f64_e32 v[2:3], v[4:5], v[2:3]
	v_add_f64_e32 v[4:5], v[8:9], v[56:57]
	s_wait_loadcnt 0x0
	s_delay_alu instid0(VALU_DEP_2) | instskip(NEXT) | instid1(VALU_DEP_2)
	v_add_f64_e64 v[2:3], v[72:73], -v[2:3]
	v_add_f64_e64 v[4:5], v[74:75], -v[4:5]
	scratch_store_b128 off, v[2:5], off offset:192
	s_wait_xcnt 0x0
	v_cmpx_lt_u32_e32 11, v1
	s_cbranch_execz .LBB18_105
; %bb.104:
	scratch_load_b128 v[2:5], off, s22
	v_mov_b32_e32 v8, 0
	s_delay_alu instid0(VALU_DEP_1)
	v_dual_mov_b32 v9, v8 :: v_dual_mov_b32 v10, v8
	v_mov_b32_e32 v11, v8
	scratch_store_b128 off, v[8:11], off offset:176
	s_wait_loadcnt 0x0
	ds_store_b128 v6, v[2:5]
.LBB18_105:
	s_wait_xcnt 0x0
	s_or_b32 exec_lo, exec_lo, s2
	s_wait_storecnt_dscnt 0x0
	s_barrier_signal -1
	s_barrier_wait -1
	s_clause 0x7
	scratch_load_b128 v[8:11], off, off offset:192
	scratch_load_b128 v[52:55], off, off offset:208
	;; [unrolled: 1-line block ×8, first 2 shown]
	v_mov_b32_e32 v2, 0
	ds_load_b128 v[80:83], v2 offset:496
	ds_load_b128 v[84:87], v2 offset:512
	s_mov_b32 s2, exec_lo
	s_wait_loadcnt_dscnt 0x701
	v_mul_f64_e32 v[4:5], v[82:83], v[10:11]
	v_mul_f64_e32 v[12:13], v[80:81], v[10:11]
	s_wait_loadcnt_dscnt 0x600
	v_mul_f64_e32 v[88:89], v[84:85], v[54:55]
	v_mul_f64_e32 v[54:55], v[86:87], v[54:55]
	s_delay_alu instid0(VALU_DEP_4) | instskip(NEXT) | instid1(VALU_DEP_4)
	v_fma_f64 v[4:5], v[80:81], v[8:9], -v[4:5]
	v_fmac_f64_e32 v[12:13], v[82:83], v[8:9]
	ds_load_b128 v[8:11], v2 offset:528
	ds_load_b128 v[80:83], v2 offset:544
	v_fmac_f64_e32 v[88:89], v[86:87], v[52:53]
	v_fma_f64 v[52:53], v[84:85], v[52:53], -v[54:55]
	s_wait_loadcnt_dscnt 0x501
	v_mul_f64_e32 v[90:91], v[8:9], v[58:59]
	v_mul_f64_e32 v[58:59], v[10:11], v[58:59]
	s_wait_loadcnt_dscnt 0x400
	v_mul_f64_e32 v[84:85], v[80:81], v[62:63]
	v_mul_f64_e32 v[62:63], v[82:83], v[62:63]
	v_add_f64_e32 v[4:5], 0, v[4:5]
	v_add_f64_e32 v[12:13], 0, v[12:13]
	v_fmac_f64_e32 v[90:91], v[10:11], v[56:57]
	v_fma_f64 v[56:57], v[8:9], v[56:57], -v[58:59]
	v_fmac_f64_e32 v[84:85], v[82:83], v[60:61]
	v_fma_f64 v[60:61], v[80:81], v[60:61], -v[62:63]
	v_add_f64_e32 v[4:5], v[4:5], v[52:53]
	v_add_f64_e32 v[12:13], v[12:13], v[88:89]
	ds_load_b128 v[8:11], v2 offset:560
	ds_load_b128 v[52:55], v2 offset:576
	s_wait_loadcnt_dscnt 0x301
	v_mul_f64_e32 v[58:59], v[8:9], v[66:67]
	v_mul_f64_e32 v[66:67], v[10:11], v[66:67]
	s_wait_loadcnt_dscnt 0x200
	v_mul_f64_e32 v[62:63], v[54:55], v[70:71]
	v_add_f64_e32 v[4:5], v[4:5], v[56:57]
	v_add_f64_e32 v[12:13], v[12:13], v[90:91]
	v_mul_f64_e32 v[56:57], v[52:53], v[70:71]
	v_fmac_f64_e32 v[58:59], v[10:11], v[64:65]
	v_fma_f64 v[64:65], v[8:9], v[64:65], -v[66:67]
	ds_load_b128 v[8:11], v2 offset:592
	v_fma_f64 v[52:53], v[52:53], v[68:69], -v[62:63]
	v_add_f64_e32 v[4:5], v[4:5], v[60:61]
	v_add_f64_e32 v[12:13], v[12:13], v[84:85]
	v_fmac_f64_e32 v[56:57], v[54:55], v[68:69]
	s_wait_loadcnt_dscnt 0x100
	v_mul_f64_e32 v[60:61], v[8:9], v[74:75]
	v_mul_f64_e32 v[66:67], v[10:11], v[74:75]
	v_add_f64_e32 v[4:5], v[4:5], v[64:65]
	v_add_f64_e32 v[12:13], v[12:13], v[58:59]
	s_delay_alu instid0(VALU_DEP_4) | instskip(NEXT) | instid1(VALU_DEP_4)
	v_fmac_f64_e32 v[60:61], v[10:11], v[72:73]
	v_fma_f64 v[8:9], v[8:9], v[72:73], -v[66:67]
	s_delay_alu instid0(VALU_DEP_4) | instskip(NEXT) | instid1(VALU_DEP_4)
	v_add_f64_e32 v[4:5], v[4:5], v[52:53]
	v_add_f64_e32 v[10:11], v[12:13], v[56:57]
	s_delay_alu instid0(VALU_DEP_2) | instskip(NEXT) | instid1(VALU_DEP_2)
	v_add_f64_e32 v[4:5], v[4:5], v[8:9]
	v_add_f64_e32 v[10:11], v[10:11], v[60:61]
	s_wait_loadcnt 0x0
	s_delay_alu instid0(VALU_DEP_2) | instskip(NEXT) | instid1(VALU_DEP_2)
	v_add_f64_e64 v[8:9], v[76:77], -v[4:5]
	v_add_f64_e64 v[10:11], v[78:79], -v[10:11]
	scratch_store_b128 off, v[8:11], off offset:176
	s_wait_xcnt 0x0
	v_cmpx_lt_u32_e32 10, v1
	s_cbranch_execz .LBB18_107
; %bb.106:
	scratch_load_b128 v[8:11], off, s20
	v_dual_mov_b32 v3, v2 :: v_dual_mov_b32 v4, v2
	v_mov_b32_e32 v5, v2
	scratch_store_b128 off, v[2:5], off offset:160
	s_wait_loadcnt 0x0
	ds_store_b128 v6, v[8:11]
.LBB18_107:
	s_wait_xcnt 0x0
	s_or_b32 exec_lo, exec_lo, s2
	s_wait_storecnt_dscnt 0x0
	s_barrier_signal -1
	s_barrier_wait -1
	s_clause 0x7
	scratch_load_b128 v[8:11], off, off offset:176
	scratch_load_b128 v[52:55], off, off offset:192
	scratch_load_b128 v[56:59], off, off offset:208
	scratch_load_b128 v[60:63], off, off offset:224
	scratch_load_b128 v[64:67], off, off offset:240
	scratch_load_b128 v[68:71], off, off offset:256
	scratch_load_b128 v[72:75], off, off offset:272
	scratch_load_b128 v[76:79], off, off offset:288
	ds_load_b128 v[80:83], v2 offset:480
	ds_load_b128 v[84:87], v2 offset:496
	scratch_load_b128 v[88:91], off, off offset:160
	s_mov_b32 s2, exec_lo
	s_wait_loadcnt_dscnt 0x801
	v_mul_f64_e32 v[4:5], v[82:83], v[10:11]
	v_mul_f64_e32 v[12:13], v[80:81], v[10:11]
	s_wait_loadcnt_dscnt 0x700
	v_mul_f64_e32 v[92:93], v[84:85], v[54:55]
	v_mul_f64_e32 v[54:55], v[86:87], v[54:55]
	s_delay_alu instid0(VALU_DEP_4) | instskip(NEXT) | instid1(VALU_DEP_4)
	v_fma_f64 v[4:5], v[80:81], v[8:9], -v[4:5]
	v_fmac_f64_e32 v[12:13], v[82:83], v[8:9]
	ds_load_b128 v[8:11], v2 offset:512
	ds_load_b128 v[80:83], v2 offset:528
	v_fmac_f64_e32 v[92:93], v[86:87], v[52:53]
	v_fma_f64 v[52:53], v[84:85], v[52:53], -v[54:55]
	s_wait_loadcnt_dscnt 0x601
	v_mul_f64_e32 v[94:95], v[8:9], v[58:59]
	v_mul_f64_e32 v[58:59], v[10:11], v[58:59]
	s_wait_loadcnt_dscnt 0x500
	v_mul_f64_e32 v[84:85], v[80:81], v[62:63]
	v_mul_f64_e32 v[62:63], v[82:83], v[62:63]
	v_add_f64_e32 v[4:5], 0, v[4:5]
	v_add_f64_e32 v[12:13], 0, v[12:13]
	v_fmac_f64_e32 v[94:95], v[10:11], v[56:57]
	v_fma_f64 v[56:57], v[8:9], v[56:57], -v[58:59]
	v_fmac_f64_e32 v[84:85], v[82:83], v[60:61]
	v_fma_f64 v[60:61], v[80:81], v[60:61], -v[62:63]
	v_add_f64_e32 v[4:5], v[4:5], v[52:53]
	v_add_f64_e32 v[12:13], v[12:13], v[92:93]
	ds_load_b128 v[8:11], v2 offset:544
	ds_load_b128 v[52:55], v2 offset:560
	s_wait_loadcnt_dscnt 0x401
	v_mul_f64_e32 v[58:59], v[8:9], v[66:67]
	v_mul_f64_e32 v[66:67], v[10:11], v[66:67]
	s_wait_loadcnt_dscnt 0x300
	v_mul_f64_e32 v[62:63], v[54:55], v[70:71]
	v_add_f64_e32 v[4:5], v[4:5], v[56:57]
	v_add_f64_e32 v[12:13], v[12:13], v[94:95]
	v_mul_f64_e32 v[56:57], v[52:53], v[70:71]
	v_fmac_f64_e32 v[58:59], v[10:11], v[64:65]
	v_fma_f64 v[64:65], v[8:9], v[64:65], -v[66:67]
	v_fma_f64 v[52:53], v[52:53], v[68:69], -v[62:63]
	v_add_f64_e32 v[60:61], v[4:5], v[60:61]
	v_add_f64_e32 v[12:13], v[12:13], v[84:85]
	ds_load_b128 v[8:11], v2 offset:576
	ds_load_b128 v[2:5], v2 offset:592
	v_fmac_f64_e32 v[56:57], v[54:55], v[68:69]
	s_wait_loadcnt_dscnt 0x201
	v_mul_f64_e32 v[66:67], v[8:9], v[74:75]
	v_mul_f64_e32 v[70:71], v[10:11], v[74:75]
	v_add_f64_e32 v[54:55], v[60:61], v[64:65]
	v_add_f64_e32 v[12:13], v[12:13], v[58:59]
	s_wait_loadcnt_dscnt 0x100
	v_mul_f64_e32 v[58:59], v[2:3], v[78:79]
	v_mul_f64_e32 v[60:61], v[4:5], v[78:79]
	v_fmac_f64_e32 v[66:67], v[10:11], v[72:73]
	v_fma_f64 v[8:9], v[8:9], v[72:73], -v[70:71]
	v_add_f64_e32 v[10:11], v[54:55], v[52:53]
	v_add_f64_e32 v[12:13], v[12:13], v[56:57]
	v_fmac_f64_e32 v[58:59], v[4:5], v[76:77]
	v_fma_f64 v[2:3], v[2:3], v[76:77], -v[60:61]
	s_delay_alu instid0(VALU_DEP_4) | instskip(NEXT) | instid1(VALU_DEP_4)
	v_add_f64_e32 v[4:5], v[10:11], v[8:9]
	v_add_f64_e32 v[8:9], v[12:13], v[66:67]
	s_delay_alu instid0(VALU_DEP_2) | instskip(NEXT) | instid1(VALU_DEP_2)
	v_add_f64_e32 v[2:3], v[4:5], v[2:3]
	v_add_f64_e32 v[4:5], v[8:9], v[58:59]
	s_wait_loadcnt 0x0
	s_delay_alu instid0(VALU_DEP_2) | instskip(NEXT) | instid1(VALU_DEP_2)
	v_add_f64_e64 v[2:3], v[88:89], -v[2:3]
	v_add_f64_e64 v[4:5], v[90:91], -v[4:5]
	scratch_store_b128 off, v[2:5], off offset:160
	s_wait_xcnt 0x0
	v_cmpx_lt_u32_e32 9, v1
	s_cbranch_execz .LBB18_109
; %bb.108:
	scratch_load_b128 v[2:5], off, s15
	v_mov_b32_e32 v8, 0
	s_delay_alu instid0(VALU_DEP_1)
	v_dual_mov_b32 v9, v8 :: v_dual_mov_b32 v10, v8
	v_mov_b32_e32 v11, v8
	scratch_store_b128 off, v[8:11], off offset:144
	s_wait_loadcnt 0x0
	ds_store_b128 v6, v[2:5]
.LBB18_109:
	s_wait_xcnt 0x0
	s_or_b32 exec_lo, exec_lo, s2
	s_wait_storecnt_dscnt 0x0
	s_barrier_signal -1
	s_barrier_wait -1
	s_clause 0x8
	scratch_load_b128 v[8:11], off, off offset:160
	scratch_load_b128 v[52:55], off, off offset:176
	;; [unrolled: 1-line block ×9, first 2 shown]
	v_mov_b32_e32 v2, 0
	scratch_load_b128 v[88:91], off, off offset:144
	s_mov_b32 s2, exec_lo
	ds_load_b128 v[84:87], v2 offset:464
	ds_load_b128 v[92:95], v2 offset:480
	s_wait_loadcnt_dscnt 0x901
	v_mul_f64_e32 v[4:5], v[86:87], v[10:11]
	v_mul_f64_e32 v[12:13], v[84:85], v[10:11]
	s_wait_loadcnt_dscnt 0x800
	v_mul_f64_e32 v[96:97], v[92:93], v[54:55]
	v_mul_f64_e32 v[54:55], v[94:95], v[54:55]
	s_delay_alu instid0(VALU_DEP_4) | instskip(NEXT) | instid1(VALU_DEP_4)
	v_fma_f64 v[4:5], v[84:85], v[8:9], -v[4:5]
	v_fmac_f64_e32 v[12:13], v[86:87], v[8:9]
	ds_load_b128 v[8:11], v2 offset:496
	ds_load_b128 v[84:87], v2 offset:512
	v_fmac_f64_e32 v[96:97], v[94:95], v[52:53]
	v_fma_f64 v[52:53], v[92:93], v[52:53], -v[54:55]
	s_wait_loadcnt_dscnt 0x701
	v_mul_f64_e32 v[98:99], v[8:9], v[58:59]
	v_mul_f64_e32 v[58:59], v[10:11], v[58:59]
	s_wait_loadcnt_dscnt 0x600
	v_mul_f64_e32 v[92:93], v[84:85], v[62:63]
	v_mul_f64_e32 v[62:63], v[86:87], v[62:63]
	v_add_f64_e32 v[4:5], 0, v[4:5]
	v_add_f64_e32 v[12:13], 0, v[12:13]
	v_fmac_f64_e32 v[98:99], v[10:11], v[56:57]
	v_fma_f64 v[56:57], v[8:9], v[56:57], -v[58:59]
	v_fmac_f64_e32 v[92:93], v[86:87], v[60:61]
	v_fma_f64 v[60:61], v[84:85], v[60:61], -v[62:63]
	v_add_f64_e32 v[4:5], v[4:5], v[52:53]
	v_add_f64_e32 v[12:13], v[12:13], v[96:97]
	ds_load_b128 v[8:11], v2 offset:528
	ds_load_b128 v[52:55], v2 offset:544
	s_wait_loadcnt_dscnt 0x501
	v_mul_f64_e32 v[94:95], v[8:9], v[66:67]
	v_mul_f64_e32 v[58:59], v[10:11], v[66:67]
	s_wait_loadcnt_dscnt 0x400
	v_mul_f64_e32 v[62:63], v[52:53], v[70:71]
	v_mul_f64_e32 v[66:67], v[54:55], v[70:71]
	v_add_f64_e32 v[4:5], v[4:5], v[56:57]
	v_add_f64_e32 v[12:13], v[12:13], v[98:99]
	v_fmac_f64_e32 v[94:95], v[10:11], v[64:65]
	v_fma_f64 v[64:65], v[8:9], v[64:65], -v[58:59]
	ds_load_b128 v[8:11], v2 offset:560
	ds_load_b128 v[56:59], v2 offset:576
	v_fmac_f64_e32 v[62:63], v[54:55], v[68:69]
	v_fma_f64 v[52:53], v[52:53], v[68:69], -v[66:67]
	v_add_f64_e32 v[4:5], v[4:5], v[60:61]
	v_add_f64_e32 v[12:13], v[12:13], v[92:93]
	s_wait_loadcnt_dscnt 0x301
	v_mul_f64_e32 v[60:61], v[8:9], v[74:75]
	v_mul_f64_e32 v[70:71], v[10:11], v[74:75]
	s_wait_loadcnt_dscnt 0x200
	v_mul_f64_e32 v[54:55], v[56:57], v[78:79]
	v_add_f64_e32 v[4:5], v[4:5], v[64:65]
	v_add_f64_e32 v[12:13], v[12:13], v[94:95]
	v_mul_f64_e32 v[64:65], v[58:59], v[78:79]
	v_fmac_f64_e32 v[60:61], v[10:11], v[72:73]
	v_fma_f64 v[66:67], v[8:9], v[72:73], -v[70:71]
	ds_load_b128 v[8:11], v2 offset:592
	v_fmac_f64_e32 v[54:55], v[58:59], v[76:77]
	v_add_f64_e32 v[4:5], v[4:5], v[52:53]
	v_add_f64_e32 v[12:13], v[12:13], v[62:63]
	s_wait_loadcnt_dscnt 0x100
	v_mul_f64_e32 v[52:53], v[8:9], v[82:83]
	v_mul_f64_e32 v[62:63], v[10:11], v[82:83]
	v_fma_f64 v[56:57], v[56:57], v[76:77], -v[64:65]
	v_add_f64_e32 v[4:5], v[4:5], v[66:67]
	v_add_f64_e32 v[12:13], v[12:13], v[60:61]
	v_fmac_f64_e32 v[52:53], v[10:11], v[80:81]
	v_fma_f64 v[8:9], v[8:9], v[80:81], -v[62:63]
	s_delay_alu instid0(VALU_DEP_4) | instskip(NEXT) | instid1(VALU_DEP_4)
	v_add_f64_e32 v[4:5], v[4:5], v[56:57]
	v_add_f64_e32 v[10:11], v[12:13], v[54:55]
	s_delay_alu instid0(VALU_DEP_2) | instskip(NEXT) | instid1(VALU_DEP_2)
	v_add_f64_e32 v[4:5], v[4:5], v[8:9]
	v_add_f64_e32 v[10:11], v[10:11], v[52:53]
	s_wait_loadcnt 0x0
	s_delay_alu instid0(VALU_DEP_2) | instskip(NEXT) | instid1(VALU_DEP_2)
	v_add_f64_e64 v[8:9], v[88:89], -v[4:5]
	v_add_f64_e64 v[10:11], v[90:91], -v[10:11]
	scratch_store_b128 off, v[8:11], off offset:144
	s_wait_xcnt 0x0
	v_cmpx_lt_u32_e32 8, v1
	s_cbranch_execz .LBB18_111
; %bb.110:
	scratch_load_b128 v[8:11], off, s14
	v_dual_mov_b32 v3, v2 :: v_dual_mov_b32 v4, v2
	v_mov_b32_e32 v5, v2
	scratch_store_b128 off, v[2:5], off offset:128
	s_wait_loadcnt 0x0
	ds_store_b128 v6, v[8:11]
.LBB18_111:
	s_wait_xcnt 0x0
	s_or_b32 exec_lo, exec_lo, s2
	s_wait_storecnt_dscnt 0x0
	s_barrier_signal -1
	s_barrier_wait -1
	s_clause 0x9
	scratch_load_b128 v[8:11], off, off offset:144
	scratch_load_b128 v[52:55], off, off offset:160
	;; [unrolled: 1-line block ×10, first 2 shown]
	ds_load_b128 v[88:91], v2 offset:448
	ds_load_b128 v[92:95], v2 offset:464
	scratch_load_b128 v[96:99], off, off offset:128
	s_mov_b32 s2, exec_lo
	s_wait_loadcnt_dscnt 0xa01
	v_mul_f64_e32 v[4:5], v[90:91], v[10:11]
	v_mul_f64_e32 v[12:13], v[88:89], v[10:11]
	s_wait_loadcnt_dscnt 0x900
	v_mul_f64_e32 v[100:101], v[92:93], v[54:55]
	v_mul_f64_e32 v[54:55], v[94:95], v[54:55]
	s_delay_alu instid0(VALU_DEP_4) | instskip(NEXT) | instid1(VALU_DEP_4)
	v_fma_f64 v[4:5], v[88:89], v[8:9], -v[4:5]
	v_fmac_f64_e32 v[12:13], v[90:91], v[8:9]
	ds_load_b128 v[8:11], v2 offset:480
	ds_load_b128 v[88:91], v2 offset:496
	v_fmac_f64_e32 v[100:101], v[94:95], v[52:53]
	v_fma_f64 v[52:53], v[92:93], v[52:53], -v[54:55]
	s_wait_loadcnt_dscnt 0x801
	v_mul_f64_e32 v[102:103], v[8:9], v[58:59]
	v_mul_f64_e32 v[58:59], v[10:11], v[58:59]
	s_wait_loadcnt_dscnt 0x700
	v_mul_f64_e32 v[92:93], v[88:89], v[62:63]
	v_mul_f64_e32 v[62:63], v[90:91], v[62:63]
	v_add_f64_e32 v[4:5], 0, v[4:5]
	v_add_f64_e32 v[12:13], 0, v[12:13]
	v_fmac_f64_e32 v[102:103], v[10:11], v[56:57]
	v_fma_f64 v[56:57], v[8:9], v[56:57], -v[58:59]
	v_fmac_f64_e32 v[92:93], v[90:91], v[60:61]
	v_fma_f64 v[60:61], v[88:89], v[60:61], -v[62:63]
	v_add_f64_e32 v[4:5], v[4:5], v[52:53]
	v_add_f64_e32 v[12:13], v[12:13], v[100:101]
	ds_load_b128 v[8:11], v2 offset:512
	ds_load_b128 v[52:55], v2 offset:528
	s_wait_loadcnt_dscnt 0x601
	v_mul_f64_e32 v[94:95], v[8:9], v[66:67]
	v_mul_f64_e32 v[58:59], v[10:11], v[66:67]
	s_wait_loadcnt_dscnt 0x500
	v_mul_f64_e32 v[62:63], v[52:53], v[70:71]
	v_mul_f64_e32 v[66:67], v[54:55], v[70:71]
	v_add_f64_e32 v[4:5], v[4:5], v[56:57]
	v_add_f64_e32 v[12:13], v[12:13], v[102:103]
	v_fmac_f64_e32 v[94:95], v[10:11], v[64:65]
	v_fma_f64 v[64:65], v[8:9], v[64:65], -v[58:59]
	ds_load_b128 v[8:11], v2 offset:544
	ds_load_b128 v[56:59], v2 offset:560
	v_fmac_f64_e32 v[62:63], v[54:55], v[68:69]
	v_fma_f64 v[52:53], v[52:53], v[68:69], -v[66:67]
	v_add_f64_e32 v[4:5], v[4:5], v[60:61]
	v_add_f64_e32 v[12:13], v[12:13], v[92:93]
	s_wait_loadcnt_dscnt 0x401
	v_mul_f64_e32 v[60:61], v[8:9], v[74:75]
	v_mul_f64_e32 v[70:71], v[10:11], v[74:75]
	s_wait_loadcnt_dscnt 0x300
	v_mul_f64_e32 v[54:55], v[56:57], v[78:79]
	v_add_f64_e32 v[4:5], v[4:5], v[64:65]
	v_add_f64_e32 v[12:13], v[12:13], v[94:95]
	v_mul_f64_e32 v[64:65], v[58:59], v[78:79]
	v_fmac_f64_e32 v[60:61], v[10:11], v[72:73]
	v_fma_f64 v[66:67], v[8:9], v[72:73], -v[70:71]
	v_fmac_f64_e32 v[54:55], v[58:59], v[76:77]
	v_add_f64_e32 v[52:53], v[4:5], v[52:53]
	v_add_f64_e32 v[12:13], v[12:13], v[62:63]
	ds_load_b128 v[8:11], v2 offset:576
	ds_load_b128 v[2:5], v2 offset:592
	v_fma_f64 v[56:57], v[56:57], v[76:77], -v[64:65]
	s_wait_loadcnt_dscnt 0x201
	v_mul_f64_e32 v[62:63], v[8:9], v[82:83]
	v_mul_f64_e32 v[68:69], v[10:11], v[82:83]
	s_wait_loadcnt_dscnt 0x100
	v_mul_f64_e32 v[58:59], v[2:3], v[86:87]
	v_add_f64_e32 v[52:53], v[52:53], v[66:67]
	v_add_f64_e32 v[12:13], v[12:13], v[60:61]
	v_mul_f64_e32 v[60:61], v[4:5], v[86:87]
	v_fmac_f64_e32 v[62:63], v[10:11], v[80:81]
	v_fma_f64 v[8:9], v[8:9], v[80:81], -v[68:69]
	v_fmac_f64_e32 v[58:59], v[4:5], v[84:85]
	v_add_f64_e32 v[10:11], v[52:53], v[56:57]
	v_add_f64_e32 v[12:13], v[12:13], v[54:55]
	v_fma_f64 v[2:3], v[2:3], v[84:85], -v[60:61]
	s_delay_alu instid0(VALU_DEP_3) | instskip(NEXT) | instid1(VALU_DEP_3)
	v_add_f64_e32 v[4:5], v[10:11], v[8:9]
	v_add_f64_e32 v[8:9], v[12:13], v[62:63]
	s_delay_alu instid0(VALU_DEP_2) | instskip(NEXT) | instid1(VALU_DEP_2)
	v_add_f64_e32 v[2:3], v[4:5], v[2:3]
	v_add_f64_e32 v[4:5], v[8:9], v[58:59]
	s_wait_loadcnt 0x0
	s_delay_alu instid0(VALU_DEP_2) | instskip(NEXT) | instid1(VALU_DEP_2)
	v_add_f64_e64 v[2:3], v[96:97], -v[2:3]
	v_add_f64_e64 v[4:5], v[98:99], -v[4:5]
	scratch_store_b128 off, v[2:5], off offset:128
	s_wait_xcnt 0x0
	v_cmpx_lt_u32_e32 7, v1
	s_cbranch_execz .LBB18_113
; %bb.112:
	scratch_load_b128 v[2:5], off, s23
	v_mov_b32_e32 v8, 0
	s_delay_alu instid0(VALU_DEP_1)
	v_dual_mov_b32 v9, v8 :: v_dual_mov_b32 v10, v8
	v_mov_b32_e32 v11, v8
	scratch_store_b128 off, v[8:11], off offset:112
	s_wait_loadcnt 0x0
	ds_store_b128 v6, v[2:5]
.LBB18_113:
	s_wait_xcnt 0x0
	s_or_b32 exec_lo, exec_lo, s2
	s_wait_storecnt_dscnt 0x0
	s_barrier_signal -1
	s_barrier_wait -1
	s_clause 0x9
	scratch_load_b128 v[8:11], off, off offset:128
	scratch_load_b128 v[52:55], off, off offset:144
	;; [unrolled: 1-line block ×10, first 2 shown]
	v_mov_b32_e32 v2, 0
	s_mov_b32 s2, exec_lo
	ds_load_b128 v[88:91], v2 offset:432
	s_clause 0x1
	scratch_load_b128 v[92:95], off, off offset:288
	scratch_load_b128 v[96:99], off, off offset:112
	s_wait_loadcnt_dscnt 0xb00
	v_mul_f64_e32 v[4:5], v[90:91], v[10:11]
	v_mul_f64_e32 v[12:13], v[88:89], v[10:11]
	ds_load_b128 v[100:103], v2 offset:448
	s_wait_loadcnt_dscnt 0xa00
	v_mul_f64_e32 v[104:105], v[100:101], v[54:55]
	v_mul_f64_e32 v[54:55], v[102:103], v[54:55]
	v_fma_f64 v[4:5], v[88:89], v[8:9], -v[4:5]
	v_fmac_f64_e32 v[12:13], v[90:91], v[8:9]
	ds_load_b128 v[8:11], v2 offset:464
	ds_load_b128 v[88:91], v2 offset:480
	s_wait_loadcnt_dscnt 0x901
	v_mul_f64_e32 v[106:107], v[8:9], v[58:59]
	v_mul_f64_e32 v[58:59], v[10:11], v[58:59]
	v_fmac_f64_e32 v[104:105], v[102:103], v[52:53]
	v_fma_f64 v[52:53], v[100:101], v[52:53], -v[54:55]
	s_wait_loadcnt_dscnt 0x800
	v_mul_f64_e32 v[100:101], v[88:89], v[62:63]
	v_mul_f64_e32 v[62:63], v[90:91], v[62:63]
	v_add_f64_e32 v[4:5], 0, v[4:5]
	v_add_f64_e32 v[12:13], 0, v[12:13]
	v_fmac_f64_e32 v[106:107], v[10:11], v[56:57]
	v_fma_f64 v[56:57], v[8:9], v[56:57], -v[58:59]
	v_fmac_f64_e32 v[100:101], v[90:91], v[60:61]
	v_fma_f64 v[60:61], v[88:89], v[60:61], -v[62:63]
	v_add_f64_e32 v[4:5], v[4:5], v[52:53]
	v_add_f64_e32 v[12:13], v[12:13], v[104:105]
	ds_load_b128 v[8:11], v2 offset:496
	ds_load_b128 v[52:55], v2 offset:512
	s_wait_loadcnt_dscnt 0x701
	v_mul_f64_e32 v[102:103], v[8:9], v[66:67]
	v_mul_f64_e32 v[58:59], v[10:11], v[66:67]
	s_wait_loadcnt_dscnt 0x600
	v_mul_f64_e32 v[62:63], v[52:53], v[70:71]
	v_mul_f64_e32 v[66:67], v[54:55], v[70:71]
	v_add_f64_e32 v[4:5], v[4:5], v[56:57]
	v_add_f64_e32 v[12:13], v[12:13], v[106:107]
	v_fmac_f64_e32 v[102:103], v[10:11], v[64:65]
	v_fma_f64 v[64:65], v[8:9], v[64:65], -v[58:59]
	ds_load_b128 v[8:11], v2 offset:528
	ds_load_b128 v[56:59], v2 offset:544
	v_fmac_f64_e32 v[62:63], v[54:55], v[68:69]
	v_fma_f64 v[52:53], v[52:53], v[68:69], -v[66:67]
	v_add_f64_e32 v[4:5], v[4:5], v[60:61]
	v_add_f64_e32 v[12:13], v[12:13], v[100:101]
	s_wait_loadcnt_dscnt 0x501
	v_mul_f64_e32 v[60:61], v[8:9], v[74:75]
	v_mul_f64_e32 v[70:71], v[10:11], v[74:75]
	s_wait_loadcnt_dscnt 0x400
	v_mul_f64_e32 v[66:67], v[58:59], v[78:79]
	v_add_f64_e32 v[4:5], v[4:5], v[64:65]
	v_add_f64_e32 v[12:13], v[12:13], v[102:103]
	v_mul_f64_e32 v[64:65], v[56:57], v[78:79]
	v_fmac_f64_e32 v[60:61], v[10:11], v[72:73]
	v_fma_f64 v[68:69], v[8:9], v[72:73], -v[70:71]
	v_fma_f64 v[56:57], v[56:57], v[76:77], -v[66:67]
	v_add_f64_e32 v[4:5], v[4:5], v[52:53]
	v_add_f64_e32 v[12:13], v[12:13], v[62:63]
	ds_load_b128 v[8:11], v2 offset:560
	ds_load_b128 v[52:55], v2 offset:576
	v_fmac_f64_e32 v[64:65], v[58:59], v[76:77]
	s_wait_loadcnt_dscnt 0x301
	v_mul_f64_e32 v[62:63], v[8:9], v[82:83]
	v_mul_f64_e32 v[70:71], v[10:11], v[82:83]
	s_wait_loadcnt_dscnt 0x200
	v_mul_f64_e32 v[58:59], v[52:53], v[86:87]
	v_add_f64_e32 v[4:5], v[4:5], v[68:69]
	v_add_f64_e32 v[12:13], v[12:13], v[60:61]
	v_mul_f64_e32 v[60:61], v[54:55], v[86:87]
	v_fmac_f64_e32 v[62:63], v[10:11], v[80:81]
	v_fma_f64 v[66:67], v[8:9], v[80:81], -v[70:71]
	ds_load_b128 v[8:11], v2 offset:592
	v_fmac_f64_e32 v[58:59], v[54:55], v[84:85]
	v_add_f64_e32 v[4:5], v[4:5], v[56:57]
	v_add_f64_e32 v[12:13], v[12:13], v[64:65]
	v_fma_f64 v[52:53], v[52:53], v[84:85], -v[60:61]
	s_wait_loadcnt_dscnt 0x100
	v_mul_f64_e32 v[56:57], v[8:9], v[94:95]
	v_mul_f64_e32 v[64:65], v[10:11], v[94:95]
	v_add_f64_e32 v[4:5], v[4:5], v[66:67]
	v_add_f64_e32 v[12:13], v[12:13], v[62:63]
	s_delay_alu instid0(VALU_DEP_4) | instskip(NEXT) | instid1(VALU_DEP_4)
	v_fmac_f64_e32 v[56:57], v[10:11], v[92:93]
	v_fma_f64 v[8:9], v[8:9], v[92:93], -v[64:65]
	s_delay_alu instid0(VALU_DEP_4) | instskip(NEXT) | instid1(VALU_DEP_4)
	v_add_f64_e32 v[4:5], v[4:5], v[52:53]
	v_add_f64_e32 v[10:11], v[12:13], v[58:59]
	s_delay_alu instid0(VALU_DEP_2) | instskip(NEXT) | instid1(VALU_DEP_2)
	v_add_f64_e32 v[4:5], v[4:5], v[8:9]
	v_add_f64_e32 v[10:11], v[10:11], v[56:57]
	s_wait_loadcnt 0x0
	s_delay_alu instid0(VALU_DEP_2) | instskip(NEXT) | instid1(VALU_DEP_2)
	v_add_f64_e64 v[8:9], v[96:97], -v[4:5]
	v_add_f64_e64 v[10:11], v[98:99], -v[10:11]
	scratch_store_b128 off, v[8:11], off offset:112
	s_wait_xcnt 0x0
	v_cmpx_lt_u32_e32 6, v1
	s_cbranch_execz .LBB18_115
; %bb.114:
	scratch_load_b128 v[8:11], off, s13
	v_dual_mov_b32 v3, v2 :: v_dual_mov_b32 v4, v2
	v_mov_b32_e32 v5, v2
	scratch_store_b128 off, v[2:5], off offset:96
	s_wait_loadcnt 0x0
	ds_store_b128 v6, v[8:11]
.LBB18_115:
	s_wait_xcnt 0x0
	s_or_b32 exec_lo, exec_lo, s2
	s_wait_storecnt_dscnt 0x0
	s_barrier_signal -1
	s_barrier_wait -1
	s_clause 0x9
	scratch_load_b128 v[8:11], off, off offset:112
	scratch_load_b128 v[52:55], off, off offset:128
	;; [unrolled: 1-line block ×10, first 2 shown]
	ds_load_b128 v[88:91], v2 offset:416
	ds_load_b128 v[96:99], v2 offset:432
	s_clause 0x1
	scratch_load_b128 v[92:95], off, off offset:272
	scratch_load_b128 v[100:103], off, off offset:96
	s_mov_b32 s2, exec_lo
	s_wait_loadcnt_dscnt 0xb01
	v_mul_f64_e32 v[4:5], v[90:91], v[10:11]
	v_mul_f64_e32 v[108:109], v[88:89], v[10:11]
	scratch_load_b128 v[10:13], off, off offset:288
	s_wait_loadcnt_dscnt 0xb00
	v_mul_f64_e32 v[110:111], v[96:97], v[54:55]
	v_mul_f64_e32 v[54:55], v[98:99], v[54:55]
	v_fma_f64 v[4:5], v[88:89], v[8:9], -v[4:5]
	v_fmac_f64_e32 v[108:109], v[90:91], v[8:9]
	ds_load_b128 v[88:91], v2 offset:448
	ds_load_b128 v[104:107], v2 offset:464
	v_fmac_f64_e32 v[110:111], v[98:99], v[52:53]
	v_fma_f64 v[52:53], v[96:97], v[52:53], -v[54:55]
	s_wait_loadcnt_dscnt 0xa01
	v_mul_f64_e32 v[8:9], v[88:89], v[58:59]
	v_mul_f64_e32 v[58:59], v[90:91], v[58:59]
	s_wait_loadcnt_dscnt 0x900
	v_mul_f64_e32 v[96:97], v[104:105], v[62:63]
	v_mul_f64_e32 v[62:63], v[106:107], v[62:63]
	v_add_f64_e32 v[4:5], 0, v[4:5]
	v_add_f64_e32 v[54:55], 0, v[108:109]
	v_fmac_f64_e32 v[8:9], v[90:91], v[56:57]
	v_fma_f64 v[88:89], v[88:89], v[56:57], -v[58:59]
	v_fmac_f64_e32 v[96:97], v[106:107], v[60:61]
	v_fma_f64 v[60:61], v[104:105], v[60:61], -v[62:63]
	v_add_f64_e32 v[4:5], v[4:5], v[52:53]
	v_add_f64_e32 v[90:91], v[54:55], v[110:111]
	ds_load_b128 v[52:55], v2 offset:480
	ds_load_b128 v[56:59], v2 offset:496
	s_wait_loadcnt_dscnt 0x801
	v_mul_f64_e32 v[98:99], v[52:53], v[66:67]
	v_mul_f64_e32 v[66:67], v[54:55], v[66:67]
	v_add_f64_e32 v[4:5], v[4:5], v[88:89]
	v_add_f64_e32 v[8:9], v[90:91], v[8:9]
	s_wait_loadcnt_dscnt 0x700
	v_mul_f64_e32 v[88:89], v[56:57], v[70:71]
	v_mul_f64_e32 v[70:71], v[58:59], v[70:71]
	v_fmac_f64_e32 v[98:99], v[54:55], v[64:65]
	v_fma_f64 v[64:65], v[52:53], v[64:65], -v[66:67]
	v_add_f64_e32 v[4:5], v[4:5], v[60:61]
	v_add_f64_e32 v[8:9], v[8:9], v[96:97]
	ds_load_b128 v[52:55], v2 offset:512
	ds_load_b128 v[60:63], v2 offset:528
	v_fmac_f64_e32 v[88:89], v[58:59], v[68:69]
	v_fma_f64 v[56:57], v[56:57], v[68:69], -v[70:71]
	s_wait_loadcnt_dscnt 0x601
	v_mul_f64_e32 v[66:67], v[52:53], v[74:75]
	v_mul_f64_e32 v[74:75], v[54:55], v[74:75]
	s_wait_loadcnt_dscnt 0x500
	v_mul_f64_e32 v[68:69], v[62:63], v[78:79]
	v_add_f64_e32 v[4:5], v[4:5], v[64:65]
	v_add_f64_e32 v[8:9], v[8:9], v[98:99]
	v_mul_f64_e32 v[64:65], v[60:61], v[78:79]
	v_fmac_f64_e32 v[66:67], v[54:55], v[72:73]
	v_fma_f64 v[70:71], v[52:53], v[72:73], -v[74:75]
	v_fma_f64 v[60:61], v[60:61], v[76:77], -v[68:69]
	v_add_f64_e32 v[4:5], v[4:5], v[56:57]
	v_add_f64_e32 v[8:9], v[8:9], v[88:89]
	ds_load_b128 v[52:55], v2 offset:544
	ds_load_b128 v[56:59], v2 offset:560
	v_fmac_f64_e32 v[64:65], v[62:63], v[76:77]
	s_wait_loadcnt_dscnt 0x401
	v_mul_f64_e32 v[72:73], v[52:53], v[82:83]
	v_mul_f64_e32 v[74:75], v[54:55], v[82:83]
	s_wait_loadcnt_dscnt 0x300
	v_mul_f64_e32 v[62:63], v[56:57], v[86:87]
	v_add_f64_e32 v[4:5], v[4:5], v[70:71]
	v_add_f64_e32 v[8:9], v[8:9], v[66:67]
	v_mul_f64_e32 v[66:67], v[58:59], v[86:87]
	v_fmac_f64_e32 v[72:73], v[54:55], v[80:81]
	v_fma_f64 v[68:69], v[52:53], v[80:81], -v[74:75]
	v_fmac_f64_e32 v[62:63], v[58:59], v[84:85]
	v_add_f64_e32 v[60:61], v[4:5], v[60:61]
	v_add_f64_e32 v[8:9], v[8:9], v[64:65]
	ds_load_b128 v[52:55], v2 offset:576
	ds_load_b128 v[2:5], v2 offset:592
	v_fma_f64 v[56:57], v[56:57], v[84:85], -v[66:67]
	s_wait_loadcnt_dscnt 0x201
	v_mul_f64_e32 v[64:65], v[52:53], v[94:95]
	v_mul_f64_e32 v[70:71], v[54:55], v[94:95]
	v_add_f64_e32 v[58:59], v[60:61], v[68:69]
	v_add_f64_e32 v[8:9], v[8:9], v[72:73]
	s_wait_loadcnt_dscnt 0x0
	v_mul_f64_e32 v[60:61], v[2:3], v[12:13]
	v_mul_f64_e32 v[12:13], v[4:5], v[12:13]
	v_fmac_f64_e32 v[64:65], v[54:55], v[92:93]
	v_fma_f64 v[52:53], v[52:53], v[92:93], -v[70:71]
	v_add_f64_e32 v[54:55], v[58:59], v[56:57]
	v_add_f64_e32 v[8:9], v[8:9], v[62:63]
	v_fmac_f64_e32 v[60:61], v[4:5], v[10:11]
	v_fma_f64 v[2:3], v[2:3], v[10:11], -v[12:13]
	s_delay_alu instid0(VALU_DEP_4) | instskip(NEXT) | instid1(VALU_DEP_4)
	v_add_f64_e32 v[4:5], v[54:55], v[52:53]
	v_add_f64_e32 v[8:9], v[8:9], v[64:65]
	s_delay_alu instid0(VALU_DEP_2) | instskip(NEXT) | instid1(VALU_DEP_2)
	v_add_f64_e32 v[2:3], v[4:5], v[2:3]
	v_add_f64_e32 v[4:5], v[8:9], v[60:61]
	s_delay_alu instid0(VALU_DEP_2) | instskip(NEXT) | instid1(VALU_DEP_2)
	v_add_f64_e64 v[2:3], v[100:101], -v[2:3]
	v_add_f64_e64 v[4:5], v[102:103], -v[4:5]
	scratch_store_b128 off, v[2:5], off offset:96
	s_wait_xcnt 0x0
	v_cmpx_lt_u32_e32 5, v1
	s_cbranch_execz .LBB18_117
; %bb.116:
	scratch_load_b128 v[2:5], off, s12
	v_mov_b32_e32 v8, 0
	s_delay_alu instid0(VALU_DEP_1)
	v_dual_mov_b32 v9, v8 :: v_dual_mov_b32 v10, v8
	v_mov_b32_e32 v11, v8
	scratch_store_b128 off, v[8:11], off offset:80
	s_wait_loadcnt 0x0
	ds_store_b128 v6, v[2:5]
.LBB18_117:
	s_wait_xcnt 0x0
	s_or_b32 exec_lo, exec_lo, s2
	s_wait_storecnt_dscnt 0x0
	s_barrier_signal -1
	s_barrier_wait -1
	s_clause 0x9
	scratch_load_b128 v[8:11], off, off offset:96
	scratch_load_b128 v[52:55], off, off offset:112
	;; [unrolled: 1-line block ×10, first 2 shown]
	v_mov_b32_e32 v2, 0
	s_mov_b32 s2, exec_lo
	ds_load_b128 v[88:91], v2 offset:400
	s_clause 0x2
	scratch_load_b128 v[92:95], off, off offset:256
	scratch_load_b128 v[96:99], off, off offset:80
	;; [unrolled: 1-line block ×3, first 2 shown]
	s_wait_loadcnt_dscnt 0xc00
	v_mul_f64_e32 v[4:5], v[90:91], v[10:11]
	v_mul_f64_e32 v[112:113], v[88:89], v[10:11]
	ds_load_b128 v[100:103], v2 offset:416
	scratch_load_b128 v[10:13], off, off offset:272
	ds_load_b128 v[108:111], v2 offset:448
	v_fma_f64 v[4:5], v[88:89], v[8:9], -v[4:5]
	v_fmac_f64_e32 v[112:113], v[90:91], v[8:9]
	ds_load_b128 v[88:91], v2 offset:432
	s_wait_loadcnt_dscnt 0xc02
	v_mul_f64_e32 v[114:115], v[100:101], v[54:55]
	v_mul_f64_e32 v[54:55], v[102:103], v[54:55]
	s_wait_loadcnt_dscnt 0xb00
	v_mul_f64_e32 v[8:9], v[88:89], v[58:59]
	v_mul_f64_e32 v[58:59], v[90:91], v[58:59]
	v_add_f64_e32 v[4:5], 0, v[4:5]
	v_fmac_f64_e32 v[114:115], v[102:103], v[52:53]
	v_fma_f64 v[52:53], v[100:101], v[52:53], -v[54:55]
	v_add_f64_e32 v[54:55], 0, v[112:113]
	s_wait_loadcnt 0xa
	v_mul_f64_e32 v[100:101], v[108:109], v[62:63]
	v_mul_f64_e32 v[62:63], v[110:111], v[62:63]
	v_fmac_f64_e32 v[8:9], v[90:91], v[56:57]
	v_fma_f64 v[88:89], v[88:89], v[56:57], -v[58:59]
	v_add_f64_e32 v[4:5], v[4:5], v[52:53]
	v_add_f64_e32 v[90:91], v[54:55], v[114:115]
	ds_load_b128 v[52:55], v2 offset:464
	ds_load_b128 v[56:59], v2 offset:480
	v_fmac_f64_e32 v[100:101], v[110:111], v[60:61]
	v_fma_f64 v[60:61], v[108:109], v[60:61], -v[62:63]
	s_wait_loadcnt_dscnt 0x901
	v_mul_f64_e32 v[102:103], v[52:53], v[66:67]
	v_mul_f64_e32 v[66:67], v[54:55], v[66:67]
	v_add_f64_e32 v[4:5], v[4:5], v[88:89]
	v_add_f64_e32 v[8:9], v[90:91], v[8:9]
	s_wait_loadcnt_dscnt 0x800
	v_mul_f64_e32 v[88:89], v[56:57], v[70:71]
	v_mul_f64_e32 v[70:71], v[58:59], v[70:71]
	v_fmac_f64_e32 v[102:103], v[54:55], v[64:65]
	v_fma_f64 v[64:65], v[52:53], v[64:65], -v[66:67]
	v_add_f64_e32 v[4:5], v[4:5], v[60:61]
	v_add_f64_e32 v[8:9], v[8:9], v[100:101]
	ds_load_b128 v[52:55], v2 offset:496
	ds_load_b128 v[60:63], v2 offset:512
	v_fmac_f64_e32 v[88:89], v[58:59], v[68:69]
	v_fma_f64 v[56:57], v[56:57], v[68:69], -v[70:71]
	s_wait_loadcnt_dscnt 0x701
	v_mul_f64_e32 v[66:67], v[52:53], v[74:75]
	v_mul_f64_e32 v[74:75], v[54:55], v[74:75]
	s_wait_loadcnt_dscnt 0x600
	v_mul_f64_e32 v[68:69], v[62:63], v[78:79]
	v_add_f64_e32 v[4:5], v[4:5], v[64:65]
	v_add_f64_e32 v[8:9], v[8:9], v[102:103]
	v_mul_f64_e32 v[64:65], v[60:61], v[78:79]
	v_fmac_f64_e32 v[66:67], v[54:55], v[72:73]
	v_fma_f64 v[70:71], v[52:53], v[72:73], -v[74:75]
	v_fma_f64 v[60:61], v[60:61], v[76:77], -v[68:69]
	v_add_f64_e32 v[4:5], v[4:5], v[56:57]
	v_add_f64_e32 v[8:9], v[8:9], v[88:89]
	ds_load_b128 v[52:55], v2 offset:528
	ds_load_b128 v[56:59], v2 offset:544
	v_fmac_f64_e32 v[64:65], v[62:63], v[76:77]
	s_wait_loadcnt_dscnt 0x501
	v_mul_f64_e32 v[72:73], v[52:53], v[82:83]
	v_mul_f64_e32 v[74:75], v[54:55], v[82:83]
	s_wait_loadcnt_dscnt 0x400
	v_mul_f64_e32 v[68:69], v[58:59], v[86:87]
	v_add_f64_e32 v[4:5], v[4:5], v[70:71]
	v_add_f64_e32 v[8:9], v[8:9], v[66:67]
	v_mul_f64_e32 v[66:67], v[56:57], v[86:87]
	v_fmac_f64_e32 v[72:73], v[54:55], v[80:81]
	v_fma_f64 v[70:71], v[52:53], v[80:81], -v[74:75]
	v_fma_f64 v[56:57], v[56:57], v[84:85], -v[68:69]
	v_add_f64_e32 v[4:5], v[4:5], v[60:61]
	v_add_f64_e32 v[8:9], v[8:9], v[64:65]
	ds_load_b128 v[52:55], v2 offset:560
	ds_load_b128 v[60:63], v2 offset:576
	v_fmac_f64_e32 v[66:67], v[58:59], v[84:85]
	s_wait_loadcnt_dscnt 0x301
	v_mul_f64_e32 v[64:65], v[52:53], v[94:95]
	v_mul_f64_e32 v[74:75], v[54:55], v[94:95]
	s_wait_loadcnt_dscnt 0x0
	v_mul_f64_e32 v[58:59], v[60:61], v[12:13]
	v_add_f64_e32 v[4:5], v[4:5], v[70:71]
	v_add_f64_e32 v[8:9], v[8:9], v[72:73]
	v_mul_f64_e32 v[12:13], v[62:63], v[12:13]
	v_fmac_f64_e32 v[64:65], v[54:55], v[92:93]
	v_fma_f64 v[68:69], v[52:53], v[92:93], -v[74:75]
	ds_load_b128 v[52:55], v2 offset:592
	v_fmac_f64_e32 v[58:59], v[62:63], v[10:11]
	v_add_f64_e32 v[4:5], v[4:5], v[56:57]
	v_add_f64_e32 v[8:9], v[8:9], v[66:67]
	v_fma_f64 v[10:11], v[60:61], v[10:11], -v[12:13]
	s_wait_dscnt 0x0
	v_mul_f64_e32 v[56:57], v[52:53], v[106:107]
	v_mul_f64_e32 v[66:67], v[54:55], v[106:107]
	v_add_f64_e32 v[4:5], v[4:5], v[68:69]
	v_add_f64_e32 v[8:9], v[8:9], v[64:65]
	s_delay_alu instid0(VALU_DEP_4) | instskip(NEXT) | instid1(VALU_DEP_4)
	v_fmac_f64_e32 v[56:57], v[54:55], v[104:105]
	v_fma_f64 v[12:13], v[52:53], v[104:105], -v[66:67]
	s_delay_alu instid0(VALU_DEP_4) | instskip(NEXT) | instid1(VALU_DEP_4)
	v_add_f64_e32 v[4:5], v[4:5], v[10:11]
	v_add_f64_e32 v[8:9], v[8:9], v[58:59]
	s_delay_alu instid0(VALU_DEP_2) | instskip(NEXT) | instid1(VALU_DEP_2)
	v_add_f64_e32 v[4:5], v[4:5], v[12:13]
	v_add_f64_e32 v[10:11], v[8:9], v[56:57]
	s_delay_alu instid0(VALU_DEP_2) | instskip(NEXT) | instid1(VALU_DEP_2)
	v_add_f64_e64 v[8:9], v[96:97], -v[4:5]
	v_add_f64_e64 v[10:11], v[98:99], -v[10:11]
	scratch_store_b128 off, v[8:11], off offset:80
	s_wait_xcnt 0x0
	v_cmpx_lt_u32_e32 4, v1
	s_cbranch_execz .LBB18_119
; %bb.118:
	scratch_load_b128 v[8:11], off, s10
	v_dual_mov_b32 v3, v2 :: v_dual_mov_b32 v4, v2
	v_mov_b32_e32 v5, v2
	scratch_store_b128 off, v[2:5], off offset:64
	s_wait_loadcnt 0x0
	ds_store_b128 v6, v[8:11]
.LBB18_119:
	s_wait_xcnt 0x0
	s_or_b32 exec_lo, exec_lo, s2
	s_wait_storecnt_dscnt 0x0
	s_barrier_signal -1
	s_barrier_wait -1
	s_clause 0x9
	scratch_load_b128 v[8:11], off, off offset:80
	scratch_load_b128 v[52:55], off, off offset:96
	;; [unrolled: 1-line block ×10, first 2 shown]
	ds_load_b128 v[88:91], v2 offset:384
	ds_load_b128 v[96:99], v2 offset:400
	s_clause 0x1
	scratch_load_b128 v[92:95], off, off offset:240
	scratch_load_b128 v[100:103], off, off offset:64
	s_mov_b32 s2, exec_lo
	s_wait_loadcnt_dscnt 0xb01
	v_mul_f64_e32 v[4:5], v[90:91], v[10:11]
	v_mul_f64_e32 v[112:113], v[88:89], v[10:11]
	scratch_load_b128 v[10:13], off, off offset:256
	s_wait_loadcnt_dscnt 0xb00
	v_mul_f64_e32 v[114:115], v[96:97], v[54:55]
	v_mul_f64_e32 v[54:55], v[98:99], v[54:55]
	v_fma_f64 v[4:5], v[88:89], v[8:9], -v[4:5]
	v_fmac_f64_e32 v[112:113], v[90:91], v[8:9]
	ds_load_b128 v[88:91], v2 offset:416
	ds_load_b128 v[104:107], v2 offset:432
	scratch_load_b128 v[108:111], off, off offset:272
	v_fmac_f64_e32 v[114:115], v[98:99], v[52:53]
	v_fma_f64 v[96:97], v[96:97], v[52:53], -v[54:55]
	scratch_load_b128 v[52:55], off, off offset:288
	s_wait_loadcnt_dscnt 0xc01
	v_mul_f64_e32 v[8:9], v[88:89], v[58:59]
	v_mul_f64_e32 v[58:59], v[90:91], v[58:59]
	v_add_f64_e32 v[4:5], 0, v[4:5]
	v_add_f64_e32 v[98:99], 0, v[112:113]
	s_wait_loadcnt_dscnt 0xb00
	v_mul_f64_e32 v[112:113], v[104:105], v[62:63]
	v_mul_f64_e32 v[62:63], v[106:107], v[62:63]
	v_fmac_f64_e32 v[8:9], v[90:91], v[56:57]
	v_fma_f64 v[116:117], v[88:89], v[56:57], -v[58:59]
	ds_load_b128 v[56:59], v2 offset:448
	ds_load_b128 v[88:91], v2 offset:464
	v_add_f64_e32 v[4:5], v[4:5], v[96:97]
	v_add_f64_e32 v[96:97], v[98:99], v[114:115]
	v_fmac_f64_e32 v[112:113], v[106:107], v[60:61]
	v_fma_f64 v[60:61], v[104:105], v[60:61], -v[62:63]
	s_wait_loadcnt_dscnt 0xa01
	v_mul_f64_e32 v[98:99], v[56:57], v[66:67]
	v_mul_f64_e32 v[66:67], v[58:59], v[66:67]
	v_add_f64_e32 v[4:5], v[4:5], v[116:117]
	v_add_f64_e32 v[8:9], v[96:97], v[8:9]
	s_wait_loadcnt_dscnt 0x900
	v_mul_f64_e32 v[96:97], v[88:89], v[70:71]
	v_mul_f64_e32 v[70:71], v[90:91], v[70:71]
	v_fmac_f64_e32 v[98:99], v[58:59], v[64:65]
	v_fma_f64 v[64:65], v[56:57], v[64:65], -v[66:67]
	v_add_f64_e32 v[4:5], v[4:5], v[60:61]
	v_add_f64_e32 v[8:9], v[8:9], v[112:113]
	ds_load_b128 v[56:59], v2 offset:480
	ds_load_b128 v[60:63], v2 offset:496
	v_fmac_f64_e32 v[96:97], v[90:91], v[68:69]
	v_fma_f64 v[68:69], v[88:89], v[68:69], -v[70:71]
	s_wait_loadcnt_dscnt 0x801
	v_mul_f64_e32 v[104:105], v[56:57], v[74:75]
	v_mul_f64_e32 v[66:67], v[58:59], v[74:75]
	s_wait_loadcnt_dscnt 0x700
	v_mul_f64_e32 v[70:71], v[60:61], v[78:79]
	v_mul_f64_e32 v[74:75], v[62:63], v[78:79]
	v_add_f64_e32 v[4:5], v[4:5], v[64:65]
	v_add_f64_e32 v[8:9], v[8:9], v[98:99]
	v_fmac_f64_e32 v[104:105], v[58:59], v[72:73]
	v_fma_f64 v[72:73], v[56:57], v[72:73], -v[66:67]
	ds_load_b128 v[56:59], v2 offset:512
	ds_load_b128 v[64:67], v2 offset:528
	v_fmac_f64_e32 v[70:71], v[62:63], v[76:77]
	v_fma_f64 v[60:61], v[60:61], v[76:77], -v[74:75]
	v_add_f64_e32 v[4:5], v[4:5], v[68:69]
	v_add_f64_e32 v[8:9], v[8:9], v[96:97]
	s_wait_loadcnt_dscnt 0x601
	v_mul_f64_e32 v[68:69], v[56:57], v[82:83]
	v_mul_f64_e32 v[78:79], v[58:59], v[82:83]
	s_wait_loadcnt_dscnt 0x500
	v_mul_f64_e32 v[74:75], v[66:67], v[86:87]
	v_add_f64_e32 v[4:5], v[4:5], v[72:73]
	v_add_f64_e32 v[8:9], v[8:9], v[104:105]
	v_mul_f64_e32 v[72:73], v[64:65], v[86:87]
	v_fmac_f64_e32 v[68:69], v[58:59], v[80:81]
	v_fma_f64 v[76:77], v[56:57], v[80:81], -v[78:79]
	v_fma_f64 v[64:65], v[64:65], v[84:85], -v[74:75]
	v_add_f64_e32 v[4:5], v[4:5], v[60:61]
	v_add_f64_e32 v[8:9], v[8:9], v[70:71]
	ds_load_b128 v[56:59], v2 offset:544
	ds_load_b128 v[60:63], v2 offset:560
	v_fmac_f64_e32 v[72:73], v[66:67], v[84:85]
	s_wait_loadcnt_dscnt 0x401
	v_mul_f64_e32 v[70:71], v[56:57], v[94:95]
	v_mul_f64_e32 v[78:79], v[58:59], v[94:95]
	v_add_f64_e32 v[4:5], v[4:5], v[76:77]
	v_add_f64_e32 v[8:9], v[8:9], v[68:69]
	s_wait_loadcnt_dscnt 0x200
	v_mul_f64_e32 v[66:67], v[60:61], v[12:13]
	v_mul_f64_e32 v[12:13], v[62:63], v[12:13]
	v_fmac_f64_e32 v[70:71], v[58:59], v[92:93]
	v_fma_f64 v[68:69], v[56:57], v[92:93], -v[78:79]
	v_add_f64_e32 v[64:65], v[4:5], v[64:65]
	v_add_f64_e32 v[8:9], v[8:9], v[72:73]
	ds_load_b128 v[56:59], v2 offset:576
	ds_load_b128 v[2:5], v2 offset:592
	v_fmac_f64_e32 v[66:67], v[62:63], v[10:11]
	v_fma_f64 v[10:11], v[60:61], v[10:11], -v[12:13]
	s_wait_loadcnt_dscnt 0x101
	v_mul_f64_e32 v[72:73], v[56:57], v[110:111]
	v_mul_f64_e32 v[74:75], v[58:59], v[110:111]
	s_wait_loadcnt_dscnt 0x0
	v_mul_f64_e32 v[60:61], v[2:3], v[54:55]
	v_mul_f64_e32 v[54:55], v[4:5], v[54:55]
	v_add_f64_e32 v[12:13], v[64:65], v[68:69]
	v_add_f64_e32 v[8:9], v[8:9], v[70:71]
	v_fmac_f64_e32 v[72:73], v[58:59], v[108:109]
	v_fma_f64 v[56:57], v[56:57], v[108:109], -v[74:75]
	v_fmac_f64_e32 v[60:61], v[4:5], v[52:53]
	v_fma_f64 v[2:3], v[2:3], v[52:53], -v[54:55]
	v_add_f64_e32 v[10:11], v[12:13], v[10:11]
	v_add_f64_e32 v[8:9], v[8:9], v[66:67]
	s_delay_alu instid0(VALU_DEP_2) | instskip(NEXT) | instid1(VALU_DEP_2)
	v_add_f64_e32 v[4:5], v[10:11], v[56:57]
	v_add_f64_e32 v[8:9], v[8:9], v[72:73]
	s_delay_alu instid0(VALU_DEP_2) | instskip(NEXT) | instid1(VALU_DEP_2)
	;; [unrolled: 3-line block ×3, first 2 shown]
	v_add_f64_e64 v[2:3], v[100:101], -v[2:3]
	v_add_f64_e64 v[4:5], v[102:103], -v[4:5]
	scratch_store_b128 off, v[2:5], off offset:64
	s_wait_xcnt 0x0
	v_cmpx_lt_u32_e32 3, v1
	s_cbranch_execz .LBB18_121
; %bb.120:
	scratch_load_b128 v[2:5], off, s9
	v_mov_b32_e32 v8, 0
	s_delay_alu instid0(VALU_DEP_1)
	v_dual_mov_b32 v9, v8 :: v_dual_mov_b32 v10, v8
	v_mov_b32_e32 v11, v8
	scratch_store_b128 off, v[8:11], off offset:48
	s_wait_loadcnt 0x0
	ds_store_b128 v6, v[2:5]
.LBB18_121:
	s_wait_xcnt 0x0
	s_or_b32 exec_lo, exec_lo, s2
	s_wait_storecnt_dscnt 0x0
	s_barrier_signal -1
	s_barrier_wait -1
	s_clause 0x9
	scratch_load_b128 v[8:11], off, off offset:64
	scratch_load_b128 v[52:55], off, off offset:80
	;; [unrolled: 1-line block ×10, first 2 shown]
	v_mov_b32_e32 v2, 0
	s_mov_b32 s2, exec_lo
	ds_load_b128 v[88:91], v2 offset:368
	s_clause 0x2
	scratch_load_b128 v[92:95], off, off offset:224
	scratch_load_b128 v[96:99], off, off offset:48
	;; [unrolled: 1-line block ×3, first 2 shown]
	s_wait_loadcnt_dscnt 0xc00
	v_mul_f64_e32 v[4:5], v[90:91], v[10:11]
	v_mul_f64_e32 v[112:113], v[88:89], v[10:11]
	ds_load_b128 v[100:103], v2 offset:384
	scratch_load_b128 v[10:13], off, off offset:240
	ds_load_b128 v[108:111], v2 offset:416
	v_fma_f64 v[4:5], v[88:89], v[8:9], -v[4:5]
	v_fmac_f64_e32 v[112:113], v[90:91], v[8:9]
	ds_load_b128 v[88:91], v2 offset:400
	s_wait_loadcnt_dscnt 0xc02
	v_mul_f64_e32 v[114:115], v[100:101], v[54:55]
	v_mul_f64_e32 v[54:55], v[102:103], v[54:55]
	s_wait_loadcnt_dscnt 0xb00
	v_mul_f64_e32 v[8:9], v[88:89], v[58:59]
	v_mul_f64_e32 v[58:59], v[90:91], v[58:59]
	v_add_f64_e32 v[4:5], 0, v[4:5]
	v_fmac_f64_e32 v[114:115], v[102:103], v[52:53]
	v_fma_f64 v[100:101], v[100:101], v[52:53], -v[54:55]
	v_add_f64_e32 v[102:103], 0, v[112:113]
	scratch_load_b128 v[52:55], off, off offset:272
	v_fmac_f64_e32 v[8:9], v[90:91], v[56:57]
	v_fma_f64 v[116:117], v[88:89], v[56:57], -v[58:59]
	ds_load_b128 v[56:59], v2 offset:432
	s_wait_loadcnt 0xb
	v_mul_f64_e32 v[112:113], v[108:109], v[62:63]
	v_mul_f64_e32 v[62:63], v[110:111], v[62:63]
	scratch_load_b128 v[88:91], off, off offset:288
	v_add_f64_e32 v[4:5], v[4:5], v[100:101]
	v_add_f64_e32 v[114:115], v[102:103], v[114:115]
	ds_load_b128 v[100:103], v2 offset:448
	s_wait_loadcnt_dscnt 0xb01
	v_mul_f64_e32 v[118:119], v[56:57], v[66:67]
	v_mul_f64_e32 v[66:67], v[58:59], v[66:67]
	v_fmac_f64_e32 v[112:113], v[110:111], v[60:61]
	v_fma_f64 v[60:61], v[108:109], v[60:61], -v[62:63]
	s_wait_loadcnt_dscnt 0xa00
	v_mul_f64_e32 v[108:109], v[100:101], v[70:71]
	v_mul_f64_e32 v[70:71], v[102:103], v[70:71]
	v_add_f64_e32 v[4:5], v[4:5], v[116:117]
	v_add_f64_e32 v[8:9], v[114:115], v[8:9]
	v_fmac_f64_e32 v[118:119], v[58:59], v[64:65]
	v_fma_f64 v[64:65], v[56:57], v[64:65], -v[66:67]
	v_fmac_f64_e32 v[108:109], v[102:103], v[68:69]
	v_fma_f64 v[68:69], v[100:101], v[68:69], -v[70:71]
	v_add_f64_e32 v[4:5], v[4:5], v[60:61]
	v_add_f64_e32 v[8:9], v[8:9], v[112:113]
	ds_load_b128 v[56:59], v2 offset:464
	ds_load_b128 v[60:63], v2 offset:480
	s_wait_loadcnt_dscnt 0x901
	v_mul_f64_e32 v[110:111], v[56:57], v[74:75]
	v_mul_f64_e32 v[66:67], v[58:59], v[74:75]
	s_wait_loadcnt_dscnt 0x800
	v_mul_f64_e32 v[70:71], v[60:61], v[78:79]
	v_mul_f64_e32 v[74:75], v[62:63], v[78:79]
	v_add_f64_e32 v[4:5], v[4:5], v[64:65]
	v_add_f64_e32 v[8:9], v[8:9], v[118:119]
	v_fmac_f64_e32 v[110:111], v[58:59], v[72:73]
	v_fma_f64 v[72:73], v[56:57], v[72:73], -v[66:67]
	ds_load_b128 v[56:59], v2 offset:496
	ds_load_b128 v[64:67], v2 offset:512
	v_fmac_f64_e32 v[70:71], v[62:63], v[76:77]
	v_fma_f64 v[60:61], v[60:61], v[76:77], -v[74:75]
	v_add_f64_e32 v[4:5], v[4:5], v[68:69]
	v_add_f64_e32 v[8:9], v[8:9], v[108:109]
	s_wait_loadcnt_dscnt 0x701
	v_mul_f64_e32 v[68:69], v[56:57], v[82:83]
	v_mul_f64_e32 v[78:79], v[58:59], v[82:83]
	s_wait_loadcnt_dscnt 0x600
	v_mul_f64_e32 v[74:75], v[66:67], v[86:87]
	v_add_f64_e32 v[4:5], v[4:5], v[72:73]
	v_add_f64_e32 v[8:9], v[8:9], v[110:111]
	v_mul_f64_e32 v[72:73], v[64:65], v[86:87]
	v_fmac_f64_e32 v[68:69], v[58:59], v[80:81]
	v_fma_f64 v[76:77], v[56:57], v[80:81], -v[78:79]
	v_fma_f64 v[64:65], v[64:65], v[84:85], -v[74:75]
	v_add_f64_e32 v[4:5], v[4:5], v[60:61]
	v_add_f64_e32 v[8:9], v[8:9], v[70:71]
	ds_load_b128 v[56:59], v2 offset:528
	ds_load_b128 v[60:63], v2 offset:544
	v_fmac_f64_e32 v[72:73], v[66:67], v[84:85]
	s_wait_loadcnt_dscnt 0x501
	v_mul_f64_e32 v[70:71], v[56:57], v[94:95]
	v_mul_f64_e32 v[78:79], v[58:59], v[94:95]
	v_add_f64_e32 v[4:5], v[4:5], v[76:77]
	v_add_f64_e32 v[8:9], v[8:9], v[68:69]
	s_wait_loadcnt_dscnt 0x200
	v_mul_f64_e32 v[68:69], v[60:61], v[12:13]
	v_mul_f64_e32 v[12:13], v[62:63], v[12:13]
	v_fmac_f64_e32 v[70:71], v[58:59], v[92:93]
	v_fma_f64 v[74:75], v[56:57], v[92:93], -v[78:79]
	v_add_f64_e32 v[4:5], v[4:5], v[64:65]
	v_add_f64_e32 v[8:9], v[8:9], v[72:73]
	ds_load_b128 v[56:59], v2 offset:560
	ds_load_b128 v[64:67], v2 offset:576
	v_fmac_f64_e32 v[68:69], v[62:63], v[10:11]
	v_fma_f64 v[10:11], v[60:61], v[10:11], -v[12:13]
	s_wait_dscnt 0x1
	v_mul_f64_e32 v[72:73], v[56:57], v[106:107]
	v_mul_f64_e32 v[76:77], v[58:59], v[106:107]
	v_add_f64_e32 v[4:5], v[4:5], v[74:75]
	v_add_f64_e32 v[8:9], v[8:9], v[70:71]
	s_wait_loadcnt_dscnt 0x100
	v_mul_f64_e32 v[12:13], v[64:65], v[54:55]
	v_mul_f64_e32 v[54:55], v[66:67], v[54:55]
	v_fmac_f64_e32 v[72:73], v[58:59], v[104:105]
	v_fma_f64 v[56:57], v[56:57], v[104:105], -v[76:77]
	v_add_f64_e32 v[4:5], v[4:5], v[10:11]
	v_add_f64_e32 v[58:59], v[8:9], v[68:69]
	ds_load_b128 v[8:11], v2 offset:592
	v_fmac_f64_e32 v[12:13], v[66:67], v[52:53]
	v_fma_f64 v[52:53], v[64:65], v[52:53], -v[54:55]
	s_wait_loadcnt_dscnt 0x0
	v_mul_f64_e32 v[60:61], v[8:9], v[90:91]
	v_mul_f64_e32 v[62:63], v[10:11], v[90:91]
	v_add_f64_e32 v[4:5], v[4:5], v[56:57]
	v_add_f64_e32 v[54:55], v[58:59], v[72:73]
	s_delay_alu instid0(VALU_DEP_4) | instskip(NEXT) | instid1(VALU_DEP_4)
	v_fmac_f64_e32 v[60:61], v[10:11], v[88:89]
	v_fma_f64 v[8:9], v[8:9], v[88:89], -v[62:63]
	s_delay_alu instid0(VALU_DEP_4) | instskip(NEXT) | instid1(VALU_DEP_4)
	v_add_f64_e32 v[4:5], v[4:5], v[52:53]
	v_add_f64_e32 v[10:11], v[54:55], v[12:13]
	s_delay_alu instid0(VALU_DEP_2) | instskip(NEXT) | instid1(VALU_DEP_2)
	v_add_f64_e32 v[4:5], v[4:5], v[8:9]
	v_add_f64_e32 v[10:11], v[10:11], v[60:61]
	s_delay_alu instid0(VALU_DEP_2) | instskip(NEXT) | instid1(VALU_DEP_2)
	v_add_f64_e64 v[8:9], v[96:97], -v[4:5]
	v_add_f64_e64 v[10:11], v[98:99], -v[10:11]
	scratch_store_b128 off, v[8:11], off offset:48
	s_wait_xcnt 0x0
	v_cmpx_lt_u32_e32 2, v1
	s_cbranch_execz .LBB18_123
; %bb.122:
	scratch_load_b128 v[8:11], off, s8
	v_dual_mov_b32 v3, v2 :: v_dual_mov_b32 v4, v2
	v_mov_b32_e32 v5, v2
	scratch_store_b128 off, v[2:5], off offset:32
	s_wait_loadcnt 0x0
	ds_store_b128 v6, v[8:11]
.LBB18_123:
	s_wait_xcnt 0x0
	s_or_b32 exec_lo, exec_lo, s2
	s_wait_storecnt_dscnt 0x0
	s_barrier_signal -1
	s_barrier_wait -1
	s_clause 0x9
	scratch_load_b128 v[8:11], off, off offset:48
	scratch_load_b128 v[52:55], off, off offset:64
	;; [unrolled: 1-line block ×10, first 2 shown]
	ds_load_b128 v[88:91], v2 offset:352
	ds_load_b128 v[92:95], v2 offset:368
	scratch_load_b128 v[96:99], off, off offset:32
	s_mov_b32 s2, exec_lo
	v_ashrrev_i32_e32 v21, 31, v20
	v_ashrrev_i32_e32 v25, 31, v24
	v_ashrrev_i32_e32 v29, 31, v28
	v_dual_ashrrev_i32 v33, 31, v32 :: v_dual_ashrrev_i32 v19, 31, v18
	v_dual_ashrrev_i32 v23, 31, v22 :: v_dual_ashrrev_i32 v37, 31, v36
	v_ashrrev_i32_e32 v41, 31, v40
	v_ashrrev_i32_e32 v45, 31, v44
	v_dual_ashrrev_i32 v49, 31, v48 :: v_dual_ashrrev_i32 v27, 31, v26
	v_ashrrev_i32_e32 v31, 31, v30
	v_ashrrev_i32_e32 v35, 31, v34
	;; [unrolled: 1-line block ×6, first 2 shown]
	s_wait_loadcnt_dscnt 0xa01
	v_mul_f64_e32 v[4:5], v[88:89], v[10:11]
	v_mul_f64_e32 v[100:101], v[90:91], v[10:11]
	scratch_load_b128 v[10:13], off, off offset:208
	s_wait_loadcnt_dscnt 0xa00
	v_mul_f64_e32 v[108:109], v[92:93], v[54:55]
	v_mul_f64_e32 v[54:55], v[94:95], v[54:55]
	v_fmac_f64_e32 v[4:5], v[90:91], v[8:9]
	v_fma_f64 v[8:9], v[88:89], v[8:9], -v[100:101]
	scratch_load_b128 v[88:91], off, off offset:224
	ds_load_b128 v[100:103], v2 offset:384
	ds_load_b128 v[104:107], v2 offset:400
	v_fmac_f64_e32 v[108:109], v[94:95], v[52:53]
	v_fma_f64 v[92:93], v[92:93], v[52:53], -v[54:55]
	scratch_load_b128 v[52:55], off, off offset:240
	s_wait_loadcnt_dscnt 0xb01
	v_mul_f64_e32 v[110:111], v[100:101], v[58:59]
	v_mul_f64_e32 v[58:59], v[102:103], v[58:59]
	s_wait_loadcnt_dscnt 0xa00
	v_mul_f64_e32 v[112:113], v[104:105], v[62:63]
	v_mul_f64_e32 v[62:63], v[106:107], v[62:63]
	v_add_f64_e32 v[4:5], 0, v[4:5]
	v_add_f64_e32 v[8:9], 0, v[8:9]
	v_fmac_f64_e32 v[110:111], v[102:103], v[56:57]
	v_fma_f64 v[100:101], v[100:101], v[56:57], -v[58:59]
	scratch_load_b128 v[56:59], off, off offset:256
	v_fmac_f64_e32 v[112:113], v[106:107], v[60:61]
	v_fma_f64 v[104:105], v[104:105], v[60:61], -v[62:63]
	ds_load_b128 v[60:63], v2 offset:432
	v_add_f64_e32 v[4:5], v[4:5], v[108:109]
	v_add_f64_e32 v[8:9], v[8:9], v[92:93]
	ds_load_b128 v[92:95], v2 offset:416
	s_wait_loadcnt_dscnt 0xa00
	v_mul_f64_e32 v[106:107], v[92:93], v[66:67]
	v_mul_f64_e32 v[66:67], v[94:95], v[66:67]
	v_add_f64_e32 v[4:5], v[4:5], v[110:111]
	v_add_f64_e32 v[8:9], v[8:9], v[100:101]
	scratch_load_b128 v[100:103], off, off offset:272
	s_wait_loadcnt 0xa
	v_mul_f64_e32 v[110:111], v[60:61], v[70:71]
	v_mul_f64_e32 v[70:71], v[62:63], v[70:71]
	v_fmac_f64_e32 v[106:107], v[94:95], v[64:65]
	v_fma_f64 v[108:109], v[92:93], v[64:65], -v[66:67]
	scratch_load_b128 v[64:67], off, off offset:288
	ds_load_b128 v[92:95], v2 offset:448
	v_add_f64_e32 v[4:5], v[4:5], v[112:113]
	v_add_f64_e32 v[8:9], v[8:9], v[104:105]
	v_fmac_f64_e32 v[110:111], v[62:63], v[68:69]
	v_fma_f64 v[68:69], v[60:61], v[68:69], -v[70:71]
	ds_load_b128 v[60:63], v2 offset:464
	s_wait_loadcnt_dscnt 0xa01
	v_mul_f64_e32 v[104:105], v[92:93], v[74:75]
	v_mul_f64_e32 v[70:71], v[94:95], v[74:75]
	v_add_f64_e32 v[4:5], v[4:5], v[106:107]
	v_add_f64_e32 v[8:9], v[8:9], v[108:109]
	s_wait_loadcnt_dscnt 0x900
	v_mul_f64_e32 v[106:107], v[60:61], v[78:79]
	v_mul_f64_e32 v[78:79], v[62:63], v[78:79]
	v_fmac_f64_e32 v[104:105], v[94:95], v[72:73]
	v_fma_f64 v[92:93], v[92:93], v[72:73], -v[70:71]
	v_add_f64_e32 v[4:5], v[4:5], v[110:111]
	v_add_f64_e32 v[8:9], v[8:9], v[68:69]
	ds_load_b128 v[68:71], v2 offset:480
	ds_load_b128 v[72:75], v2 offset:496
	v_fmac_f64_e32 v[106:107], v[62:63], v[76:77]
	v_fma_f64 v[60:61], v[60:61], v[76:77], -v[78:79]
	s_wait_loadcnt_dscnt 0x801
	v_mul_f64_e32 v[94:95], v[68:69], v[82:83]
	v_mul_f64_e32 v[82:83], v[70:71], v[82:83]
	s_wait_loadcnt_dscnt 0x700
	v_mul_f64_e32 v[76:77], v[72:73], v[86:87]
	v_mul_f64_e32 v[78:79], v[74:75], v[86:87]
	v_add_f64_e32 v[4:5], v[4:5], v[104:105]
	v_add_f64_e32 v[8:9], v[8:9], v[92:93]
	v_fmac_f64_e32 v[94:95], v[70:71], v[80:81]
	v_fma_f64 v[80:81], v[68:69], v[80:81], -v[82:83]
	v_fmac_f64_e32 v[76:77], v[74:75], v[84:85]
	v_fma_f64 v[72:73], v[72:73], v[84:85], -v[78:79]
	v_add_f64_e32 v[4:5], v[4:5], v[106:107]
	v_add_f64_e32 v[8:9], v[8:9], v[60:61]
	ds_load_b128 v[60:63], v2 offset:512
	ds_load_b128 v[68:71], v2 offset:528
	v_add_f64_e32 v[4:5], v[4:5], v[94:95]
	v_add_f64_e32 v[8:9], v[8:9], v[80:81]
	s_wait_loadcnt_dscnt 0x501
	v_mul_f64_e32 v[82:83], v[60:61], v[12:13]
	v_mul_f64_e32 v[12:13], v[62:63], v[12:13]
	s_delay_alu instid0(VALU_DEP_4) | instskip(NEXT) | instid1(VALU_DEP_4)
	v_add_f64_e32 v[4:5], v[4:5], v[76:77]
	v_add_f64_e32 v[72:73], v[8:9], v[72:73]
	s_wait_loadcnt_dscnt 0x400
	v_mul_f64_e32 v[74:75], v[68:69], v[90:91]
	v_mul_f64_e32 v[78:79], v[70:71], v[90:91]
	v_fmac_f64_e32 v[82:83], v[62:63], v[10:11]
	v_fma_f64 v[12:13], v[60:61], v[10:11], -v[12:13]
	ds_load_b128 v[8:11], v2 offset:544
	ds_load_b128 v[60:63], v2 offset:560
	s_wait_loadcnt_dscnt 0x301
	v_mul_f64_e32 v[76:77], v[8:9], v[54:55]
	v_mul_f64_e32 v[54:55], v[10:11], v[54:55]
	v_fmac_f64_e32 v[74:75], v[70:71], v[88:89]
	v_fma_f64 v[68:69], v[68:69], v[88:89], -v[78:79]
	v_add_f64_e32 v[4:5], v[4:5], v[82:83]
	v_add_f64_e32 v[12:13], v[72:73], v[12:13]
	s_wait_loadcnt_dscnt 0x200
	v_mul_f64_e32 v[70:71], v[60:61], v[58:59]
	v_mul_f64_e32 v[58:59], v[62:63], v[58:59]
	v_fmac_f64_e32 v[76:77], v[10:11], v[52:53]
	v_fma_f64 v[52:53], v[8:9], v[52:53], -v[54:55]
	v_add_f64_e32 v[54:55], v[4:5], v[74:75]
	v_add_f64_e32 v[12:13], v[12:13], v[68:69]
	ds_load_b128 v[8:11], v2 offset:576
	ds_load_b128 v[2:5], v2 offset:592
	v_fmac_f64_e32 v[70:71], v[62:63], v[56:57]
	v_fma_f64 v[56:57], v[60:61], v[56:57], -v[58:59]
	s_wait_loadcnt_dscnt 0x101
	v_mul_f64_e32 v[68:69], v[8:9], v[102:103]
	v_mul_f64_e32 v[72:73], v[10:11], v[102:103]
	v_add_f64_e32 v[12:13], v[12:13], v[52:53]
	v_add_f64_e32 v[52:53], v[54:55], v[76:77]
	s_wait_loadcnt_dscnt 0x0
	v_mul_f64_e32 v[54:55], v[2:3], v[66:67]
	v_mul_f64_e32 v[58:59], v[4:5], v[66:67]
	v_fmac_f64_e32 v[68:69], v[10:11], v[100:101]
	v_fma_f64 v[8:9], v[8:9], v[100:101], -v[72:73]
	v_add_f64_e32 v[10:11], v[12:13], v[56:57]
	v_add_f64_e32 v[12:13], v[52:53], v[70:71]
	v_fmac_f64_e32 v[54:55], v[4:5], v[64:65]
	v_fma_f64 v[2:3], v[2:3], v[64:65], -v[58:59]
	s_delay_alu instid0(VALU_DEP_4) | instskip(NEXT) | instid1(VALU_DEP_4)
	v_add_f64_e32 v[4:5], v[10:11], v[8:9]
	v_add_f64_e32 v[8:9], v[12:13], v[68:69]
	s_delay_alu instid0(VALU_DEP_2) | instskip(NEXT) | instid1(VALU_DEP_2)
	v_add_f64_e32 v[2:3], v[4:5], v[2:3]
	v_add_f64_e32 v[4:5], v[8:9], v[54:55]
	s_delay_alu instid0(VALU_DEP_2) | instskip(NEXT) | instid1(VALU_DEP_2)
	v_add_f64_e64 v[2:3], v[96:97], -v[2:3]
	v_add_f64_e64 v[4:5], v[98:99], -v[4:5]
	scratch_store_b128 off, v[2:5], off offset:32
	s_wait_xcnt 0x0
	v_cmpx_lt_u32_e32 1, v1
	s_cbranch_execz .LBB18_125
; %bb.124:
	scratch_load_b128 v[2:5], off, s11
	v_mov_b32_e32 v8, 0
	s_delay_alu instid0(VALU_DEP_1)
	v_dual_mov_b32 v9, v8 :: v_dual_mov_b32 v10, v8
	v_mov_b32_e32 v11, v8
	scratch_store_b128 off, v[8:11], off offset:16
	s_wait_loadcnt 0x0
	ds_store_b128 v6, v[2:5]
.LBB18_125:
	s_wait_xcnt 0x0
	s_or_b32 exec_lo, exec_lo, s2
	s_wait_storecnt_dscnt 0x0
	s_barrier_signal -1
	s_barrier_wait -1
	s_clause 0x9
	scratch_load_b128 v[8:11], off, off offset:32
	scratch_load_b128 v[52:55], off, off offset:48
	;; [unrolled: 1-line block ×10, first 2 shown]
	v_mov_b32_e32 v2, 0
	s_clause 0x2
	scratch_load_b128 v[92:95], off, off offset:192
	scratch_load_b128 v[96:99], off, off offset:208
	;; [unrolled: 1-line block ×3, first 2 shown]
	s_mov_b32 s2, exec_lo
	ds_load_b128 v[88:91], v2 offset:336
	s_wait_loadcnt_dscnt 0xc00
	v_mul_f64_e32 v[4:5], v[90:91], v[10:11]
	v_mul_f64_e32 v[104:105], v[88:89], v[10:11]
	ds_load_b128 v[10:13], v2 offset:352
	v_fma_f64 v[4:5], v[88:89], v[8:9], -v[4:5]
	v_fmac_f64_e32 v[104:105], v[90:91], v[8:9]
	ds_load_b128 v[88:91], v2 offset:368
	s_wait_loadcnt_dscnt 0xb01
	v_mul_f64_e32 v[106:107], v[10:11], v[54:55]
	v_mul_f64_e32 v[54:55], v[12:13], v[54:55]
	s_wait_loadcnt_dscnt 0xa00
	v_mul_f64_e32 v[108:109], v[88:89], v[58:59]
	v_mul_f64_e32 v[58:59], v[90:91], v[58:59]
	v_add_f64_e32 v[4:5], 0, v[4:5]
	v_add_f64_e32 v[104:105], 0, v[104:105]
	v_fmac_f64_e32 v[106:107], v[12:13], v[52:53]
	v_fma_f64 v[12:13], v[10:11], v[52:53], -v[54:55]
	ds_load_b128 v[8:11], v2 offset:384
	scratch_load_b128 v[52:55], off, off offset:240
	v_fmac_f64_e32 v[108:109], v[90:91], v[56:57]
	v_fma_f64 v[112:113], v[88:89], v[56:57], -v[58:59]
	ds_load_b128 v[56:59], v2 offset:400
	s_wait_loadcnt_dscnt 0xa01
	v_mul_f64_e32 v[110:111], v[8:9], v[62:63]
	v_mul_f64_e32 v[62:63], v[10:11], v[62:63]
	scratch_load_b128 v[88:91], off, off offset:256
	v_add_f64_e32 v[4:5], v[4:5], v[12:13]
	v_add_f64_e32 v[12:13], v[104:105], v[106:107]
	s_wait_loadcnt_dscnt 0xa00
	v_mul_f64_e32 v[104:105], v[56:57], v[66:67]
	v_mul_f64_e32 v[66:67], v[58:59], v[66:67]
	v_fmac_f64_e32 v[110:111], v[10:11], v[60:61]
	v_fma_f64 v[106:107], v[8:9], v[60:61], -v[62:63]
	ds_load_b128 v[8:11], v2 offset:416
	scratch_load_b128 v[60:63], off, off offset:272
	v_add_f64_e32 v[4:5], v[4:5], v[112:113]
	v_add_f64_e32 v[12:13], v[12:13], v[108:109]
	v_fmac_f64_e32 v[104:105], v[58:59], v[64:65]
	v_fma_f64 v[112:113], v[56:57], v[64:65], -v[66:67]
	ds_load_b128 v[56:59], v2 offset:432
	s_wait_loadcnt_dscnt 0xa01
	v_mul_f64_e32 v[108:109], v[8:9], v[70:71]
	v_mul_f64_e32 v[70:71], v[10:11], v[70:71]
	scratch_load_b128 v[64:67], off, off offset:288
	v_add_f64_e32 v[4:5], v[4:5], v[106:107]
	v_add_f64_e32 v[12:13], v[12:13], v[110:111]
	s_wait_loadcnt_dscnt 0xa00
	v_mul_f64_e32 v[106:107], v[56:57], v[74:75]
	v_mul_f64_e32 v[74:75], v[58:59], v[74:75]
	v_fmac_f64_e32 v[108:109], v[10:11], v[68:69]
	v_fma_f64 v[68:69], v[8:9], v[68:69], -v[70:71]
	ds_load_b128 v[8:11], v2 offset:448
	v_add_f64_e32 v[4:5], v[4:5], v[112:113]
	v_add_f64_e32 v[12:13], v[12:13], v[104:105]
	v_fmac_f64_e32 v[106:107], v[58:59], v[72:73]
	v_fma_f64 v[72:73], v[56:57], v[72:73], -v[74:75]
	ds_load_b128 v[56:59], v2 offset:464
	s_wait_loadcnt_dscnt 0x901
	v_mul_f64_e32 v[104:105], v[8:9], v[78:79]
	v_mul_f64_e32 v[70:71], v[10:11], v[78:79]
	s_wait_loadcnt_dscnt 0x800
	v_mul_f64_e32 v[74:75], v[56:57], v[82:83]
	v_mul_f64_e32 v[78:79], v[58:59], v[82:83]
	v_add_f64_e32 v[4:5], v[4:5], v[68:69]
	v_add_f64_e32 v[12:13], v[12:13], v[108:109]
	v_fmac_f64_e32 v[104:105], v[10:11], v[76:77]
	v_fma_f64 v[76:77], v[8:9], v[76:77], -v[70:71]
	ds_load_b128 v[8:11], v2 offset:480
	scratch_load_b128 v[68:71], off, off offset:16
	v_fmac_f64_e32 v[74:75], v[58:59], v[80:81]
	v_fma_f64 v[78:79], v[56:57], v[80:81], -v[78:79]
	ds_load_b128 v[56:59], v2 offset:496
	s_wait_loadcnt_dscnt 0x801
	v_mul_f64_e32 v[82:83], v[10:11], v[86:87]
	v_add_f64_e32 v[4:5], v[4:5], v[72:73]
	v_add_f64_e32 v[12:13], v[12:13], v[106:107]
	v_mul_f64_e32 v[72:73], v[8:9], v[86:87]
	s_wait_loadcnt_dscnt 0x700
	v_mul_f64_e32 v[80:81], v[58:59], v[94:95]
	v_fma_f64 v[82:83], v[8:9], v[84:85], -v[82:83]
	v_add_f64_e32 v[4:5], v[4:5], v[76:77]
	v_add_f64_e32 v[12:13], v[12:13], v[104:105]
	v_mul_f64_e32 v[76:77], v[56:57], v[94:95]
	v_fmac_f64_e32 v[72:73], v[10:11], v[84:85]
	ds_load_b128 v[8:11], v2 offset:512
	v_fma_f64 v[80:81], v[56:57], v[92:93], -v[80:81]
	v_add_f64_e32 v[4:5], v[4:5], v[78:79]
	v_add_f64_e32 v[12:13], v[12:13], v[74:75]
	v_fmac_f64_e32 v[76:77], v[58:59], v[92:93]
	ds_load_b128 v[56:59], v2 offset:528
	s_wait_loadcnt_dscnt 0x601
	v_mul_f64_e32 v[74:75], v[8:9], v[98:99]
	v_mul_f64_e32 v[78:79], v[10:11], v[98:99]
	v_add_f64_e32 v[4:5], v[4:5], v[82:83]
	v_add_f64_e32 v[12:13], v[12:13], v[72:73]
	s_wait_loadcnt_dscnt 0x500
	v_mul_f64_e32 v[72:73], v[56:57], v[102:103]
	v_mul_f64_e32 v[82:83], v[58:59], v[102:103]
	v_fmac_f64_e32 v[74:75], v[10:11], v[96:97]
	v_fma_f64 v[78:79], v[8:9], v[96:97], -v[78:79]
	ds_load_b128 v[8:11], v2 offset:544
	v_add_f64_e32 v[4:5], v[4:5], v[80:81]
	v_add_f64_e32 v[12:13], v[12:13], v[76:77]
	s_wait_loadcnt_dscnt 0x400
	v_mul_f64_e32 v[76:77], v[8:9], v[54:55]
	v_mul_f64_e32 v[80:81], v[10:11], v[54:55]
	v_fmac_f64_e32 v[72:73], v[58:59], v[100:101]
	v_fma_f64 v[58:59], v[56:57], v[100:101], -v[82:83]
	ds_load_b128 v[54:57], v2 offset:560
	v_add_f64_e32 v[4:5], v[4:5], v[78:79]
	v_add_f64_e32 v[12:13], v[12:13], v[74:75]
	v_fmac_f64_e32 v[76:77], v[10:11], v[52:53]
	v_fma_f64 v[52:53], v[8:9], v[52:53], -v[80:81]
	ds_load_b128 v[8:11], v2 offset:576
	s_wait_loadcnt_dscnt 0x301
	v_mul_f64_e32 v[74:75], v[54:55], v[90:91]
	v_mul_f64_e32 v[78:79], v[56:57], v[90:91]
	v_add_f64_e32 v[4:5], v[4:5], v[58:59]
	v_add_f64_e32 v[12:13], v[12:13], v[72:73]
	s_wait_loadcnt_dscnt 0x200
	v_mul_f64_e32 v[58:59], v[8:9], v[62:63]
	v_mul_f64_e32 v[62:63], v[10:11], v[62:63]
	v_fmac_f64_e32 v[74:75], v[56:57], v[88:89]
	v_fma_f64 v[56:57], v[54:55], v[88:89], -v[78:79]
	v_add_f64_e32 v[4:5], v[4:5], v[52:53]
	v_add_f64_e32 v[12:13], v[12:13], v[76:77]
	ds_load_b128 v[52:55], v2 offset:592
	v_fmac_f64_e32 v[58:59], v[10:11], v[60:61]
	v_fma_f64 v[8:9], v[8:9], v[60:61], -v[62:63]
	s_wait_loadcnt_dscnt 0x100
	v_mul_f64_e32 v[72:73], v[52:53], v[66:67]
	v_mul_f64_e32 v[66:67], v[54:55], v[66:67]
	v_add_f64_e32 v[4:5], v[4:5], v[56:57]
	v_add_f64_e32 v[10:11], v[12:13], v[74:75]
	s_delay_alu instid0(VALU_DEP_4) | instskip(NEXT) | instid1(VALU_DEP_4)
	v_fmac_f64_e32 v[72:73], v[54:55], v[64:65]
	v_fma_f64 v[12:13], v[52:53], v[64:65], -v[66:67]
	s_delay_alu instid0(VALU_DEP_4) | instskip(NEXT) | instid1(VALU_DEP_4)
	v_add_f64_e32 v[4:5], v[4:5], v[8:9]
	v_add_f64_e32 v[8:9], v[10:11], v[58:59]
	s_delay_alu instid0(VALU_DEP_2) | instskip(NEXT) | instid1(VALU_DEP_2)
	v_add_f64_e32 v[4:5], v[4:5], v[12:13]
	v_add_f64_e32 v[10:11], v[8:9], v[72:73]
	s_wait_loadcnt 0x0
	s_delay_alu instid0(VALU_DEP_2) | instskip(NEXT) | instid1(VALU_DEP_2)
	v_add_f64_e64 v[8:9], v[68:69], -v[4:5]
	v_add_f64_e64 v[10:11], v[70:71], -v[10:11]
	scratch_store_b128 off, v[8:11], off offset:16
	s_wait_xcnt 0x0
	v_cmpx_ne_u32_e32 0, v1
	s_cbranch_execz .LBB18_127
; %bb.126:
	scratch_load_b128 v[8:11], off, off
	v_dual_mov_b32 v3, v2 :: v_dual_mov_b32 v4, v2
	v_mov_b32_e32 v5, v2
	scratch_store_b128 off, v[2:5], off
	s_wait_loadcnt 0x0
	ds_store_b128 v6, v[8:11]
.LBB18_127:
	s_wait_xcnt 0x0
	s_or_b32 exec_lo, exec_lo, s2
	s_wait_storecnt_dscnt 0x0
	s_barrier_signal -1
	s_barrier_wait -1
	s_clause 0x9
	scratch_load_b128 v[4:7], off, off offset:16
	scratch_load_b128 v[8:11], off, off offset:32
	;; [unrolled: 1-line block ×10, first 2 shown]
	ds_load_b128 v[84:87], v2 offset:320
	ds_load_b128 v[88:91], v2 offset:336
	s_clause 0x1
	scratch_load_b128 v[92:95], off, off
	scratch_load_b128 v[96:99], off, off offset:176
	s_and_b32 vcc_lo, exec_lo, s30
	s_wait_loadcnt_dscnt 0xb01
	v_mul_f64_e32 v[100:101], v[86:87], v[6:7]
	v_mul_f64_e32 v[102:103], v[84:85], v[6:7]
	s_wait_loadcnt_dscnt 0xa00
	v_mul_f64_e32 v[104:105], v[88:89], v[10:11]
	v_mul_f64_e32 v[106:107], v[90:91], v[10:11]
	ds_load_b128 v[10:13], v2 offset:352
	v_fma_f64 v[100:101], v[84:85], v[4:5], -v[100:101]
	v_fmac_f64_e32 v[102:103], v[86:87], v[4:5]
	scratch_load_b128 v[4:7], off, off offset:192
	ds_load_b128 v[84:87], v2 offset:368
	s_wait_loadcnt_dscnt 0xa01
	v_mul_f64_e32 v[108:109], v[10:11], v[54:55]
	v_fmac_f64_e32 v[104:105], v[90:91], v[8:9]
	v_fma_f64 v[8:9], v[88:89], v[8:9], -v[106:107]
	v_mul_f64_e32 v[54:55], v[12:13], v[54:55]
	scratch_load_b128 v[88:91], off, off offset:208
	s_wait_loadcnt_dscnt 0xa00
	v_mul_f64_e32 v[106:107], v[84:85], v[58:59]
	v_mul_f64_e32 v[58:59], v[86:87], v[58:59]
	v_add_f64_e32 v[100:101], 0, v[100:101]
	v_add_f64_e32 v[102:103], 0, v[102:103]
	v_fmac_f64_e32 v[108:109], v[12:13], v[52:53]
	v_fma_f64 v[12:13], v[10:11], v[52:53], -v[54:55]
	ds_load_b128 v[52:55], v2 offset:384
	v_fmac_f64_e32 v[106:107], v[86:87], v[56:57]
	v_add_f64_e32 v[100:101], v[100:101], v[8:9]
	scratch_load_b128 v[8:11], off, off offset:224
	v_add_f64_e32 v[102:103], v[102:103], v[104:105]
	v_fma_f64 v[104:105], v[84:85], v[56:57], -v[58:59]
	ds_load_b128 v[56:59], v2 offset:400
	s_wait_loadcnt_dscnt 0xa01
	v_mul_f64_e32 v[110:111], v[52:53], v[62:63]
	v_mul_f64_e32 v[62:63], v[54:55], v[62:63]
	scratch_load_b128 v[84:87], off, off offset:240
	v_add_f64_e32 v[12:13], v[100:101], v[12:13]
	v_add_f64_e32 v[100:101], v[102:103], v[108:109]
	s_wait_loadcnt_dscnt 0xa00
	v_mul_f64_e32 v[102:103], v[56:57], v[66:67]
	v_mul_f64_e32 v[66:67], v[58:59], v[66:67]
	v_fmac_f64_e32 v[110:111], v[54:55], v[60:61]
	v_fma_f64 v[108:109], v[52:53], v[60:61], -v[62:63]
	scratch_load_b128 v[52:55], off, off offset:256
	ds_load_b128 v[60:63], v2 offset:416
	v_add_f64_e32 v[12:13], v[12:13], v[104:105]
	v_add_f64_e32 v[100:101], v[100:101], v[106:107]
	v_fmac_f64_e32 v[102:103], v[58:59], v[64:65]
	v_fma_f64 v[104:105], v[56:57], v[64:65], -v[66:67]
	ds_load_b128 v[56:59], v2 offset:432
	s_wait_loadcnt_dscnt 0xa01
	v_mul_f64_e32 v[106:107], v[60:61], v[70:71]
	v_mul_f64_e32 v[70:71], v[62:63], v[70:71]
	scratch_load_b128 v[64:67], off, off offset:272
	v_add_f64_e32 v[12:13], v[12:13], v[108:109]
	v_add_f64_e32 v[100:101], v[100:101], v[110:111]
	s_wait_loadcnt_dscnt 0xa00
	v_mul_f64_e32 v[110:111], v[56:57], v[74:75]
	v_mul_f64_e32 v[74:75], v[58:59], v[74:75]
	v_fmac_f64_e32 v[106:107], v[62:63], v[68:69]
	v_fma_f64 v[108:109], v[60:61], v[68:69], -v[70:71]
	scratch_load_b128 v[60:63], off, off offset:288
	ds_load_b128 v[68:71], v2 offset:448
	v_add_f64_e32 v[12:13], v[12:13], v[104:105]
	v_add_f64_e32 v[100:101], v[100:101], v[102:103]
	v_fmac_f64_e32 v[110:111], v[58:59], v[72:73]
	v_fma_f64 v[72:73], v[56:57], v[72:73], -v[74:75]
	ds_load_b128 v[56:59], v2 offset:464
	s_wait_loadcnt_dscnt 0xa01
	v_mul_f64_e32 v[102:103], v[68:69], v[78:79]
	v_mul_f64_e32 v[74:75], v[70:71], v[78:79]
	v_add_f64_e32 v[12:13], v[12:13], v[108:109]
	v_add_f64_e32 v[78:79], v[100:101], v[106:107]
	s_wait_loadcnt_dscnt 0x900
	v_mul_f64_e32 v[100:101], v[56:57], v[82:83]
	v_mul_f64_e32 v[82:83], v[58:59], v[82:83]
	v_fmac_f64_e32 v[102:103], v[70:71], v[76:77]
	v_fma_f64 v[76:77], v[68:69], v[76:77], -v[74:75]
	v_add_f64_e32 v[12:13], v[12:13], v[72:73]
	ds_load_b128 v[68:71], v2 offset:480
	ds_load_b128 v[72:75], v2 offset:496
	v_add_f64_e32 v[78:79], v[78:79], v[110:111]
	v_fmac_f64_e32 v[100:101], v[58:59], v[80:81]
	v_fma_f64 v[56:57], v[56:57], v[80:81], -v[82:83]
	s_wait_loadcnt_dscnt 0x701
	v_mul_f64_e32 v[104:105], v[68:69], v[98:99]
	v_mul_f64_e32 v[98:99], v[70:71], v[98:99]
	v_add_f64_e32 v[12:13], v[12:13], v[76:77]
	v_add_f64_e32 v[58:59], v[78:79], v[102:103]
	s_delay_alu instid0(VALU_DEP_4) | instskip(NEXT) | instid1(VALU_DEP_4)
	v_fmac_f64_e32 v[104:105], v[70:71], v[96:97]
	v_fma_f64 v[78:79], v[68:69], v[96:97], -v[98:99]
	s_delay_alu instid0(VALU_DEP_4)
	v_add_f64_e32 v[12:13], v[12:13], v[56:57]
	s_wait_loadcnt_dscnt 0x600
	v_mul_f64_e32 v[76:77], v[72:73], v[6:7]
	v_mul_f64_e32 v[6:7], v[74:75], v[6:7]
	v_add_f64_e32 v[80:81], v[58:59], v[100:101]
	ds_load_b128 v[56:59], v2 offset:512
	ds_load_b128 v[68:71], v2 offset:528
	s_wait_loadcnt_dscnt 0x501
	v_mul_f64_e32 v[82:83], v[56:57], v[90:91]
	v_mul_f64_e32 v[90:91], v[58:59], v[90:91]
	v_fmac_f64_e32 v[76:77], v[74:75], v[4:5]
	v_fma_f64 v[4:5], v[72:73], v[4:5], -v[6:7]
	v_add_f64_e32 v[6:7], v[12:13], v[78:79]
	v_add_f64_e32 v[12:13], v[80:81], v[104:105]
	v_fmac_f64_e32 v[82:83], v[58:59], v[88:89]
	v_fma_f64 v[56:57], v[56:57], v[88:89], -v[90:91]
	s_wait_loadcnt_dscnt 0x400
	v_mul_f64_e32 v[72:73], v[68:69], v[10:11]
	v_mul_f64_e32 v[74:75], v[70:71], v[10:11]
	v_add_f64_e32 v[58:59], v[6:7], v[4:5]
	v_add_f64_e32 v[76:77], v[12:13], v[76:77]
	ds_load_b128 v[4:7], v2 offset:544
	ds_load_b128 v[10:13], v2 offset:560
	s_wait_loadcnt_dscnt 0x301
	v_mul_f64_e32 v[78:79], v[4:5], v[86:87]
	v_mul_f64_e32 v[80:81], v[6:7], v[86:87]
	v_fmac_f64_e32 v[72:73], v[70:71], v[8:9]
	v_fma_f64 v[8:9], v[68:69], v[8:9], -v[74:75]
	v_add_f64_e32 v[56:57], v[58:59], v[56:57]
	v_add_f64_e32 v[58:59], v[76:77], v[82:83]
	s_wait_loadcnt_dscnt 0x200
	v_mul_f64_e32 v[68:69], v[10:11], v[54:55]
	v_mul_f64_e32 v[70:71], v[12:13], v[54:55]
	v_fmac_f64_e32 v[78:79], v[6:7], v[84:85]
	v_fma_f64 v[74:75], v[4:5], v[84:85], -v[80:81]
	v_add_f64_e32 v[8:9], v[56:57], v[8:9]
	v_add_f64_e32 v[58:59], v[58:59], v[72:73]
	ds_load_b128 v[4:7], v2 offset:576
	ds_load_b128 v[54:57], v2 offset:592
	v_fmac_f64_e32 v[68:69], v[12:13], v[52:53]
	v_fma_f64 v[10:11], v[10:11], v[52:53], -v[70:71]
	s_wait_loadcnt_dscnt 0x101
	v_mul_f64_e32 v[2:3], v[4:5], v[66:67]
	v_mul_f64_e32 v[66:67], v[6:7], v[66:67]
	v_add_f64_e32 v[8:9], v[8:9], v[74:75]
	v_add_f64_e32 v[12:13], v[58:59], v[78:79]
	s_wait_loadcnt_dscnt 0x0
	v_mul_f64_e32 v[52:53], v[54:55], v[62:63]
	v_mul_f64_e32 v[58:59], v[56:57], v[62:63]
	v_fmac_f64_e32 v[2:3], v[6:7], v[64:65]
	v_fma_f64 v[4:5], v[4:5], v[64:65], -v[66:67]
	v_add_f64_e32 v[6:7], v[8:9], v[10:11]
	v_add_f64_e32 v[8:9], v[12:13], v[68:69]
	v_lshl_add_u64 v[12:13], v[28:29], 4, s[4:5]
	v_lshl_add_u64 v[28:29], v[40:41], 4, s[4:5]
	v_fmac_f64_e32 v[52:53], v[56:57], v[60:61]
	v_fma_f64 v[10:11], v[54:55], v[60:61], -v[58:59]
	v_add_f64_e32 v[4:5], v[6:7], v[4:5]
	v_add_f64_e32 v[2:3], v[8:9], v[2:3]
	v_lshl_add_u64 v[6:7], v[22:23], 4, s[4:5]
	v_lshl_add_u64 v[8:9], v[24:25], 4, s[4:5]
	;; [unrolled: 1-line block ×6, first 2 shown]
	v_add_f64_e32 v[4:5], v[4:5], v[10:11]
	v_add_f64_e32 v[2:3], v[2:3], v[52:53]
	v_lshl_add_u64 v[10:11], v[26:27], 4, s[4:5]
	v_lshl_add_u64 v[26:27], v[38:39], 4, s[4:5]
	;; [unrolled: 1-line block ×3, first 2 shown]
	v_add_f64_e64 v[52:53], v[92:93], -v[4:5]
	v_add_f64_e64 v[54:55], v[94:95], -v[2:3]
	v_lshl_add_u64 v[2:3], v[18:19], 4, s[4:5]
	v_lshl_add_u64 v[4:5], v[20:21], 4, s[4:5]
	;; [unrolled: 1-line block ×6, first 2 shown]
	scratch_store_b128 off, v[52:55], off
	s_cbranch_vccz .LBB18_164
; %bb.128:
	v_mov_b32_e32 v40, 0
	s_load_b64 s[2:3], s[0:1], 0x4
	v_bfe_u32 v42, v0, 10, 10
	v_bfe_u32 v0, v0, 20, 10
	global_load_b32 v41, v40, s[16:17] offset:68
	s_wait_kmcnt 0x0
	s_lshr_b32 s0, s2, 16
	v_mul_u32_u24_e32 v42, s3, v42
	s_mul_i32 s0, s0, s3
	s_delay_alu instid0(SALU_CYCLE_1) | instskip(NEXT) | instid1(VALU_DEP_1)
	v_mul_u32_u24_e32 v1, s0, v1
	v_add3_u32 v0, v1, v42, v0
	s_delay_alu instid0(VALU_DEP_1)
	v_lshl_add_u32 v0, v0, 4, 0x268
	s_wait_loadcnt 0x0
	v_cmp_ne_u32_e32 vcc_lo, 18, v41
	s_cbranch_vccz .LBB18_130
; %bb.129:
	v_lshlrev_b32_e32 v1, 4, v41
	s_clause 0x1
	scratch_load_b128 v[42:45], off, s21
	scratch_load_b128 v[46:49], v1, off offset:-16
	s_wait_loadcnt 0x1
	ds_store_2addr_b64 v0, v[42:43], v[44:45] offset1:1
	s_wait_loadcnt 0x0
	s_clause 0x1
	scratch_store_b128 off, v[46:49], s21
	scratch_store_b128 v1, v[42:45], off offset:-16
.LBB18_130:
	global_load_b32 v1, v40, s[16:17] offset:64
	s_wait_loadcnt 0x0
	v_cmp_eq_u32_e32 vcc_lo, 17, v1
	s_cbranch_vccnz .LBB18_132
; %bb.131:
	v_lshlrev_b32_e32 v1, 4, v1
	s_clause 0x1
	scratch_load_b128 v[40:43], off, s27
	scratch_load_b128 v[44:47], v1, off offset:-16
	s_wait_loadcnt 0x1
	ds_store_2addr_b64 v0, v[40:41], v[42:43] offset1:1
	s_wait_loadcnt 0x0
	s_clause 0x1
	scratch_store_b128 off, v[44:47], s27
	scratch_store_b128 v1, v[40:43], off offset:-16
.LBB18_132:
	s_wait_xcnt 0x0
	v_mov_b32_e32 v1, 0
	global_load_b32 v40, v1, s[16:17] offset:60
	s_wait_loadcnt 0x0
	v_cmp_eq_u32_e32 vcc_lo, 16, v40
	s_cbranch_vccnz .LBB18_134
; %bb.133:
	v_lshlrev_b32_e32 v40, 4, v40
	s_delay_alu instid0(VALU_DEP_1)
	v_mov_b32_e32 v48, v40
	s_clause 0x1
	scratch_load_b128 v[40:43], off, s24
	scratch_load_b128 v[44:47], v48, off offset:-16
	s_wait_loadcnt 0x1
	ds_store_2addr_b64 v0, v[40:41], v[42:43] offset1:1
	s_wait_loadcnt 0x0
	s_clause 0x1
	scratch_store_b128 off, v[44:47], s24
	scratch_store_b128 v48, v[40:43], off offset:-16
.LBB18_134:
	global_load_b32 v1, v1, s[16:17] offset:56
	s_wait_loadcnt 0x0
	v_cmp_eq_u32_e32 vcc_lo, 15, v1
	s_cbranch_vccnz .LBB18_136
; %bb.135:
	s_wait_xcnt 0x0
	v_lshlrev_b32_e32 v1, 4, v1
	s_clause 0x1
	scratch_load_b128 v[40:43], off, s29
	scratch_load_b128 v[44:47], v1, off offset:-16
	s_wait_loadcnt 0x1
	ds_store_2addr_b64 v0, v[40:41], v[42:43] offset1:1
	s_wait_loadcnt 0x0
	s_clause 0x1
	scratch_store_b128 off, v[44:47], s29
	scratch_store_b128 v1, v[40:43], off offset:-16
.LBB18_136:
	s_wait_xcnt 0x0
	v_mov_b32_e32 v1, 0
	global_load_b32 v40, v1, s[16:17] offset:52
	s_wait_loadcnt 0x0
	v_cmp_eq_u32_e32 vcc_lo, 14, v40
	s_cbranch_vccnz .LBB18_138
; %bb.137:
	v_lshlrev_b32_e32 v40, 4, v40
	s_delay_alu instid0(VALU_DEP_1)
	v_mov_b32_e32 v48, v40
	s_clause 0x1
	scratch_load_b128 v[40:43], off, s28
	scratch_load_b128 v[44:47], v48, off offset:-16
	s_wait_loadcnt 0x1
	ds_store_2addr_b64 v0, v[40:41], v[42:43] offset1:1
	s_wait_loadcnt 0x0
	s_clause 0x1
	scratch_store_b128 off, v[44:47], s28
	scratch_store_b128 v48, v[40:43], off offset:-16
.LBB18_138:
	global_load_b32 v1, v1, s[16:17] offset:48
	s_wait_loadcnt 0x0
	v_cmp_eq_u32_e32 vcc_lo, 13, v1
	s_cbranch_vccnz .LBB18_140
; %bb.139:
	s_wait_xcnt 0x0
	v_lshlrev_b32_e32 v1, 4, v1
	s_clause 0x1
	scratch_load_b128 v[40:43], off, s26
	scratch_load_b128 v[44:47], v1, off offset:-16
	s_wait_loadcnt 0x1
	ds_store_2addr_b64 v0, v[40:41], v[42:43] offset1:1
	s_wait_loadcnt 0x0
	s_clause 0x1
	scratch_store_b128 off, v[44:47], s26
	scratch_store_b128 v1, v[40:43], off offset:-16
.LBB18_140:
	;; [unrolled: 37-line block ×7, first 2 shown]
	s_wait_xcnt 0x0
	v_mov_b32_e32 v1, 0
	global_load_b32 v40, v1, s[16:17] offset:4
	s_wait_loadcnt 0x0
	v_cmp_eq_u32_e32 vcc_lo, 2, v40
	s_cbranch_vccnz .LBB18_162
; %bb.161:
	v_lshlrev_b32_e32 v40, 4, v40
	s_delay_alu instid0(VALU_DEP_1)
	v_mov_b32_e32 v48, v40
	s_clause 0x1
	scratch_load_b128 v[40:43], off, s11
	scratch_load_b128 v[44:47], v48, off offset:-16
	s_wait_loadcnt 0x1
	ds_store_2addr_b64 v0, v[40:41], v[42:43] offset1:1
	s_wait_loadcnt 0x0
	s_clause 0x1
	scratch_store_b128 off, v[44:47], s11
	scratch_store_b128 v48, v[40:43], off offset:-16
.LBB18_162:
	global_load_b32 v1, v1, s[16:17]
	s_wait_loadcnt 0x0
	v_cmp_eq_u32_e32 vcc_lo, 1, v1
	s_cbranch_vccnz .LBB18_164
; %bb.163:
	s_wait_xcnt 0x0
	v_lshlrev_b32_e32 v1, 4, v1
	scratch_load_b128 v[40:43], off, off
	scratch_load_b128 v[44:47], v1, off offset:-16
	s_wait_loadcnt 0x1
	ds_store_2addr_b64 v0, v[40:41], v[42:43] offset1:1
	s_wait_loadcnt 0x0
	scratch_store_b128 off, v[44:47], off
	scratch_store_b128 v1, v[40:43], off offset:-16
.LBB18_164:
	scratch_load_b128 v[40:43], off, off
	s_clause 0xf
	scratch_load_b128 v[44:47], off, s11
	scratch_load_b128 v[48:51], off, s8
	;; [unrolled: 1-line block ×15, first 2 shown]
	; meta instruction
	; meta instruction
	;; [unrolled: 1-line block ×15, first 2 shown]
	scratch_load_b128 v[104:107], off, s27
	s_wait_loadcnt 0x10
	global_store_b128 v[14:15], v[40:43], off
	s_clause 0x1
	scratch_load_b128 v[40:43], off, s21
	scratch_load_b128 v[108:111], off, s25
	s_wait_loadcnt 0x11
	global_store_b128 v[16:17], v[44:47], off
	s_wait_loadcnt 0x10
	global_store_b128 v[2:3], v[48:51], off
	;; [unrolled: 2-line block ×18, first 2 shown]
	s_sendmsg sendmsg(MSG_DEALLOC_VGPRS)
	s_endpgm
	.section	.rodata,"a",@progbits
	.p2align	6, 0x0
	.amdhsa_kernel _ZN9rocsolver6v33100L18getri_kernel_smallILi19E19rocblas_complex_numIdEPS3_EEvT1_iilPiilS6_bb
		.amdhsa_group_segment_fixed_size 1640
		.amdhsa_private_segment_fixed_size 320
		.amdhsa_kernarg_size 60
		.amdhsa_user_sgpr_count 4
		.amdhsa_user_sgpr_dispatch_ptr 1
		.amdhsa_user_sgpr_queue_ptr 0
		.amdhsa_user_sgpr_kernarg_segment_ptr 1
		.amdhsa_user_sgpr_dispatch_id 0
		.amdhsa_user_sgpr_kernarg_preload_length 0
		.amdhsa_user_sgpr_kernarg_preload_offset 0
		.amdhsa_user_sgpr_private_segment_size 0
		.amdhsa_wavefront_size32 1
		.amdhsa_uses_dynamic_stack 0
		.amdhsa_enable_private_segment 1
		.amdhsa_system_sgpr_workgroup_id_x 1
		.amdhsa_system_sgpr_workgroup_id_y 0
		.amdhsa_system_sgpr_workgroup_id_z 0
		.amdhsa_system_sgpr_workgroup_info 0
		.amdhsa_system_vgpr_workitem_id 2
		.amdhsa_next_free_vgpr 120
		.amdhsa_next_free_sgpr 36
		.amdhsa_named_barrier_count 0
		.amdhsa_reserve_vcc 1
		.amdhsa_float_round_mode_32 0
		.amdhsa_float_round_mode_16_64 0
		.amdhsa_float_denorm_mode_32 3
		.amdhsa_float_denorm_mode_16_64 3
		.amdhsa_fp16_overflow 0
		.amdhsa_memory_ordered 1
		.amdhsa_forward_progress 1
		.amdhsa_inst_pref_size 165
		.amdhsa_round_robin_scheduling 0
		.amdhsa_exception_fp_ieee_invalid_op 0
		.amdhsa_exception_fp_denorm_src 0
		.amdhsa_exception_fp_ieee_div_zero 0
		.amdhsa_exception_fp_ieee_overflow 0
		.amdhsa_exception_fp_ieee_underflow 0
		.amdhsa_exception_fp_ieee_inexact 0
		.amdhsa_exception_int_div_zero 0
	.end_amdhsa_kernel
	.section	.text._ZN9rocsolver6v33100L18getri_kernel_smallILi19E19rocblas_complex_numIdEPS3_EEvT1_iilPiilS6_bb,"axG",@progbits,_ZN9rocsolver6v33100L18getri_kernel_smallILi19E19rocblas_complex_numIdEPS3_EEvT1_iilPiilS6_bb,comdat
.Lfunc_end18:
	.size	_ZN9rocsolver6v33100L18getri_kernel_smallILi19E19rocblas_complex_numIdEPS3_EEvT1_iilPiilS6_bb, .Lfunc_end18-_ZN9rocsolver6v33100L18getri_kernel_smallILi19E19rocblas_complex_numIdEPS3_EEvT1_iilPiilS6_bb
                                        ; -- End function
	.set _ZN9rocsolver6v33100L18getri_kernel_smallILi19E19rocblas_complex_numIdEPS3_EEvT1_iilPiilS6_bb.num_vgpr, 120
	.set _ZN9rocsolver6v33100L18getri_kernel_smallILi19E19rocblas_complex_numIdEPS3_EEvT1_iilPiilS6_bb.num_agpr, 0
	.set _ZN9rocsolver6v33100L18getri_kernel_smallILi19E19rocblas_complex_numIdEPS3_EEvT1_iilPiilS6_bb.numbered_sgpr, 36
	.set _ZN9rocsolver6v33100L18getri_kernel_smallILi19E19rocblas_complex_numIdEPS3_EEvT1_iilPiilS6_bb.num_named_barrier, 0
	.set _ZN9rocsolver6v33100L18getri_kernel_smallILi19E19rocblas_complex_numIdEPS3_EEvT1_iilPiilS6_bb.private_seg_size, 320
	.set _ZN9rocsolver6v33100L18getri_kernel_smallILi19E19rocblas_complex_numIdEPS3_EEvT1_iilPiilS6_bb.uses_vcc, 1
	.set _ZN9rocsolver6v33100L18getri_kernel_smallILi19E19rocblas_complex_numIdEPS3_EEvT1_iilPiilS6_bb.uses_flat_scratch, 1
	.set _ZN9rocsolver6v33100L18getri_kernel_smallILi19E19rocblas_complex_numIdEPS3_EEvT1_iilPiilS6_bb.has_dyn_sized_stack, 0
	.set _ZN9rocsolver6v33100L18getri_kernel_smallILi19E19rocblas_complex_numIdEPS3_EEvT1_iilPiilS6_bb.has_recursion, 0
	.set _ZN9rocsolver6v33100L18getri_kernel_smallILi19E19rocblas_complex_numIdEPS3_EEvT1_iilPiilS6_bb.has_indirect_call, 0
	.section	.AMDGPU.csdata,"",@progbits
; Kernel info:
; codeLenInByte = 21040
; TotalNumSgprs: 38
; NumVgprs: 120
; ScratchSize: 320
; MemoryBound: 0
; FloatMode: 240
; IeeeMode: 1
; LDSByteSize: 1640 bytes/workgroup (compile time only)
; SGPRBlocks: 0
; VGPRBlocks: 7
; NumSGPRsForWavesPerEU: 38
; NumVGPRsForWavesPerEU: 120
; NamedBarCnt: 0
; Occupancy: 8
; WaveLimiterHint : 1
; COMPUTE_PGM_RSRC2:SCRATCH_EN: 1
; COMPUTE_PGM_RSRC2:USER_SGPR: 4
; COMPUTE_PGM_RSRC2:TRAP_HANDLER: 0
; COMPUTE_PGM_RSRC2:TGID_X_EN: 1
; COMPUTE_PGM_RSRC2:TGID_Y_EN: 0
; COMPUTE_PGM_RSRC2:TGID_Z_EN: 0
; COMPUTE_PGM_RSRC2:TIDIG_COMP_CNT: 2
	.section	.text._ZN9rocsolver6v33100L18getri_kernel_smallILi20E19rocblas_complex_numIdEPS3_EEvT1_iilPiilS6_bb,"axG",@progbits,_ZN9rocsolver6v33100L18getri_kernel_smallILi20E19rocblas_complex_numIdEPS3_EEvT1_iilPiilS6_bb,comdat
	.globl	_ZN9rocsolver6v33100L18getri_kernel_smallILi20E19rocblas_complex_numIdEPS3_EEvT1_iilPiilS6_bb ; -- Begin function _ZN9rocsolver6v33100L18getri_kernel_smallILi20E19rocblas_complex_numIdEPS3_EEvT1_iilPiilS6_bb
	.p2align	8
	.type	_ZN9rocsolver6v33100L18getri_kernel_smallILi20E19rocblas_complex_numIdEPS3_EEvT1_iilPiilS6_bb,@function
_ZN9rocsolver6v33100L18getri_kernel_smallILi20E19rocblas_complex_numIdEPS3_EEvT1_iilPiilS6_bb: ; @_ZN9rocsolver6v33100L18getri_kernel_smallILi20E19rocblas_complex_numIdEPS3_EEvT1_iilPiilS6_bb
; %bb.0:
	v_and_b32_e32 v1, 0x3ff, v0
	s_mov_b32 s4, exec_lo
	s_delay_alu instid0(VALU_DEP_1)
	v_cmpx_gt_u32_e32 20, v1
	s_cbranch_execz .LBB19_94
; %bb.1:
	s_clause 0x2
	s_load_b32 s8, s[2:3], 0x38
	s_load_b128 s[12:15], s[2:3], 0x10
	s_load_b128 s[4:7], s[2:3], 0x28
	s_getreg_b32 s11, hwreg(HW_REG_IB_STS2, 6, 4)
                                        ; implicit-def: $sgpr16_sgpr17
	s_wait_kmcnt 0x0
	s_bitcmp1_b32 s8, 8
	s_cselect_b32 s31, -1, 0
	s_bfe_u32 s9, ttmp6, 0x4000c
	s_and_b32 s10, ttmp6, 15
	s_add_co_i32 s9, s9, 1
	s_delay_alu instid0(SALU_CYCLE_1) | instskip(NEXT) | instid1(SALU_CYCLE_1)
	s_mul_i32 s9, ttmp9, s9
	s_add_co_i32 s10, s10, s9
	s_cmp_eq_u32 s11, 0
	s_cselect_b32 s18, ttmp9, s10
	s_bfe_u32 s8, s8, 0x10008
	s_ashr_i32 s19, s18, 31
	s_cmp_eq_u32 s8, 0
	s_cbranch_scc1 .LBB19_3
; %bb.2:
	s_load_b32 s8, s[2:3], 0x20
	s_mul_u64 s[4:5], s[4:5], s[18:19]
	s_delay_alu instid0(SALU_CYCLE_1) | instskip(NEXT) | instid1(SALU_CYCLE_1)
	s_lshl_b64 s[4:5], s[4:5], 2
	s_add_nc_u64 s[4:5], s[14:15], s[4:5]
	s_wait_kmcnt 0x0
	s_ashr_i32 s9, s8, 31
	s_delay_alu instid0(SALU_CYCLE_1) | instskip(NEXT) | instid1(SALU_CYCLE_1)
	s_lshl_b64 s[8:9], s[8:9], 2
	s_add_nc_u64 s[16:17], s[4:5], s[8:9]
.LBB19_3:
	s_clause 0x1
	s_load_b128 s[8:11], s[2:3], 0x0
	s_load_b32 s33, s[2:3], 0x38
	s_wait_xcnt 0x0
	s_mul_u64 s[2:3], s[12:13], s[18:19]
	v_dual_mov_b32 v55, 0 :: v_dual_lshlrev_b32 v54, 4, v1
	s_lshl_b64 s[2:3], s[2:3], 4
	s_movk_i32 s13, 0x80
	s_movk_i32 s15, 0x90
	;; [unrolled: 1-line block ×8, first 2 shown]
	s_mov_b32 s12, s13
	s_mov_b32 s13, s15
	;; [unrolled: 1-line block ×4, first 2 shown]
	s_movk_i32 s29, 0xd0
	s_movk_i32 s30, 0xe0
	s_wait_kmcnt 0x0
	v_add3_u32 v18, s11, s11, v1
	s_ashr_i32 s5, s10, 31
	s_mov_b32 s4, s10
	s_add_nc_u64 s[2:3], s[8:9], s[2:3]
	s_lshl_b64 s[4:5], s[4:5], 4
	v_add_nc_u32_e32 v20, s11, v18
	s_add_nc_u64 s[4:5], s[2:3], s[4:5]
	s_ashr_i32 s3, s11, 31
	v_add_nc_u64_e32 v[14:15], s[4:5], v[54:55]
	s_mov_b32 s2, s11
	v_add_nc_u32_e32 v22, s11, v20
	s_mov_b32 s8, 32
	s_mov_b32 s9, 48
	s_mov_b32 s10, 64
	s_movk_i32 s27, 0xf0
	v_add_nc_u32_e32 v24, s11, v22
	v_lshl_add_u64 v[16:17], s[2:3], 4, v[14:15]
	s_movk_i32 s23, 0x100
	s_movk_i32 s24, 0x110
	;; [unrolled: 1-line block ×3, first 2 shown]
	v_add_nc_u32_e32 v26, s11, v24
	s_clause 0x1
	global_load_b128 v[2:5], v18, s[4:5] scale_offset
	global_load_b128 v[6:9], v20, s[4:5] scale_offset
	s_movk_i32 s26, 0x130
	s_mov_b32 s3, -1
	s_bitcmp0_b32 s33, 0
	v_add_nc_u32_e32 v28, s11, v26
	s_delay_alu instid0(VALU_DEP_1)
	v_add_nc_u32_e32 v30, s11, v28
	s_clause 0x3
	global_load_b128 v[10:13], v1, s[4:5] scale_offset
	global_load_b128 v[56:59], v[16:17], off
	global_load_b128 v[60:63], v22, s[4:5] scale_offset
	global_load_b128 v[64:67], v24, s[4:5] scale_offset
	v_add_nc_u32_e32 v32, s11, v30
	s_delay_alu instid0(VALU_DEP_1) | instskip(NEXT) | instid1(VALU_DEP_1)
	v_add_nc_u32_e32 v34, s11, v32
	v_add_nc_u32_e32 v36, s11, v34
	s_delay_alu instid0(VALU_DEP_1)
	v_add_nc_u32_e32 v38, s11, v36
	s_clause 0x3
	global_load_b128 v[68:71], v26, s[4:5] scale_offset
	global_load_b128 v[72:75], v28, s[4:5] scale_offset
	;; [unrolled: 1-line block ×4, first 2 shown]
	v_add_nc_u32_e32 v40, s11, v38
	s_delay_alu instid0(VALU_DEP_1) | instskip(NEXT) | instid1(VALU_DEP_1)
	v_add_nc_u32_e32 v42, s11, v40
	v_add_nc_u32_e32 v44, s11, v42
	s_delay_alu instid0(VALU_DEP_1) | instskip(NEXT) | instid1(VALU_DEP_1)
	v_add_nc_u32_e32 v46, s11, v44
	v_add_nc_u32_e32 v48, s11, v46
	s_delay_alu instid0(VALU_DEP_1)
	v_add_nc_u32_e32 v50, s11, v48
	s_clause 0x5
	global_load_b128 v[84:87], v34, s[4:5] scale_offset
	global_load_b128 v[88:91], v36, s[4:5] scale_offset
	global_load_b128 v[92:95], v38, s[4:5] scale_offset
	global_load_b128 v[96:99], v40, s[4:5] scale_offset
	global_load_b128 v[100:103], v42, s[4:5] scale_offset
	global_load_b128 v[104:107], v44, s[4:5] scale_offset
	v_add_nc_u32_e32 v52, s11, v50
	s_clause 0x1
	global_load_b128 v[108:111], v46, s[4:5] scale_offset
	global_load_b128 v[112:115], v48, s[4:5] scale_offset
	s_mov_b32 s11, 16
	s_clause 0x1
	global_load_b128 v[116:119], v50, s[4:5] scale_offset
	global_load_b128 v[120:123], v52, s[4:5] scale_offset
	s_wait_loadcnt 0x13
	scratch_store_b128 off, v[2:5], off offset:32
	s_wait_loadcnt 0x12
	scratch_store_b128 off, v[6:9], off offset:48
	s_wait_loadcnt 0x11
	scratch_store_b128 off, v[10:13], off
	s_wait_loadcnt 0x10
	scratch_store_b128 off, v[56:59], off offset:16
	s_wait_loadcnt 0xf
	scratch_store_b128 off, v[60:63], off offset:64
	;; [unrolled: 2-line block ×17, first 2 shown]
	s_cbranch_scc1 .LBB19_92
; %bb.4:
	v_cmp_eq_u32_e64 s2, 0, v1
	s_wait_xcnt 0x0
	s_and_saveexec_b32 s3, s2
; %bb.5:
	v_mov_b32_e32 v2, 0
	ds_store_b32 v2, v2 offset:640
; %bb.6:
	s_or_b32 exec_lo, exec_lo, s3
	s_wait_storecnt_dscnt 0x0
	s_barrier_signal -1
	s_barrier_wait -1
	scratch_load_b128 v[2:5], v1, off scale_offset
	s_wait_loadcnt 0x0
	v_cmp_eq_f64_e32 vcc_lo, 0, v[2:3]
	v_cmp_eq_f64_e64 s3, 0, v[4:5]
	s_and_b32 s3, vcc_lo, s3
	s_delay_alu instid0(SALU_CYCLE_1)
	s_and_saveexec_b32 s33, s3
	s_cbranch_execz .LBB19_10
; %bb.7:
	v_mov_b32_e32 v2, 0
	s_mov_b32 s34, 0
	ds_load_b32 v3, v2 offset:640
	s_wait_dscnt 0x0
	v_readfirstlane_b32 s3, v3
	v_add_nc_u32_e32 v3, 1, v1
	s_cmp_eq_u32 s3, 0
	s_delay_alu instid0(VALU_DEP_1) | instskip(SKIP_1) | instid1(SALU_CYCLE_1)
	v_cmp_gt_i32_e32 vcc_lo, s3, v3
	s_cselect_b32 s35, -1, 0
	s_or_b32 s35, s35, vcc_lo
	s_delay_alu instid0(SALU_CYCLE_1)
	s_and_b32 exec_lo, exec_lo, s35
	s_cbranch_execz .LBB19_10
; %bb.8:
	v_mov_b32_e32 v4, s3
.LBB19_9:                               ; =>This Inner Loop Header: Depth=1
	ds_cmpstore_rtn_b32 v4, v2, v3, v4 offset:640
	s_wait_dscnt 0x0
	v_cmp_ne_u32_e32 vcc_lo, 0, v4
	v_cmp_le_i32_e64 s3, v4, v3
	s_and_b32 s3, vcc_lo, s3
	s_delay_alu instid0(SALU_CYCLE_1) | instskip(NEXT) | instid1(SALU_CYCLE_1)
	s_and_b32 s3, exec_lo, s3
	s_or_b32 s34, s3, s34
	s_delay_alu instid0(SALU_CYCLE_1)
	s_and_not1_b32 exec_lo, exec_lo, s34
	s_cbranch_execnz .LBB19_9
.LBB19_10:
	s_or_b32 exec_lo, exec_lo, s33
	v_mov_b32_e32 v2, 0
	s_barrier_signal -1
	s_barrier_wait -1
	ds_load_b32 v3, v2 offset:640
	s_and_saveexec_b32 s3, s2
	s_cbranch_execz .LBB19_12
; %bb.11:
	s_lshl_b64 s[34:35], s[18:19], 2
	s_delay_alu instid0(SALU_CYCLE_1)
	s_add_nc_u64 s[34:35], s[6:7], s[34:35]
	s_wait_dscnt 0x0
	global_store_b32 v2, v3, s[34:35]
.LBB19_12:
	s_wait_xcnt 0x0
	s_or_b32 exec_lo, exec_lo, s3
	s_wait_dscnt 0x0
	v_cmp_ne_u32_e32 vcc_lo, 0, v3
	s_mov_b32 s3, 0
	s_cbranch_vccnz .LBB19_92
; %bb.13:
	v_lshl_add_u32 v19, v1, 4, 0
                                        ; implicit-def: $vgpr6_vgpr7
                                        ; implicit-def: $vgpr10_vgpr11
	scratch_load_b128 v[2:5], v19, off
	s_wait_loadcnt 0x0
	v_cmp_ngt_f64_e64 s3, |v[2:3]|, |v[4:5]|
	s_wait_xcnt 0x0
	s_and_saveexec_b32 s33, s3
	s_delay_alu instid0(SALU_CYCLE_1)
	s_xor_b32 s3, exec_lo, s33
	s_cbranch_execz .LBB19_15
; %bb.14:
	v_div_scale_f64 v[6:7], null, v[4:5], v[4:5], v[2:3]
	v_div_scale_f64 v[12:13], vcc_lo, v[2:3], v[4:5], v[2:3]
	s_delay_alu instid0(VALU_DEP_2) | instskip(SKIP_1) | instid1(TRANS32_DEP_1)
	v_rcp_f64_e32 v[8:9], v[6:7]
	v_nop
	v_fma_f64 v[10:11], -v[6:7], v[8:9], 1.0
	s_delay_alu instid0(VALU_DEP_1) | instskip(NEXT) | instid1(VALU_DEP_1)
	v_fmac_f64_e32 v[8:9], v[8:9], v[10:11]
	v_fma_f64 v[10:11], -v[6:7], v[8:9], 1.0
	s_delay_alu instid0(VALU_DEP_1) | instskip(NEXT) | instid1(VALU_DEP_1)
	v_fmac_f64_e32 v[8:9], v[8:9], v[10:11]
	v_mul_f64_e32 v[10:11], v[12:13], v[8:9]
	s_delay_alu instid0(VALU_DEP_1) | instskip(NEXT) | instid1(VALU_DEP_1)
	v_fma_f64 v[6:7], -v[6:7], v[10:11], v[12:13]
	v_div_fmas_f64 v[6:7], v[6:7], v[8:9], v[10:11]
	s_delay_alu instid0(VALU_DEP_1) | instskip(NEXT) | instid1(VALU_DEP_1)
	v_div_fixup_f64 v[6:7], v[6:7], v[4:5], v[2:3]
	v_fmac_f64_e32 v[4:5], v[2:3], v[6:7]
	s_delay_alu instid0(VALU_DEP_1) | instskip(SKIP_1) | instid1(VALU_DEP_2)
	v_div_scale_f64 v[2:3], null, v[4:5], v[4:5], 1.0
	v_div_scale_f64 v[12:13], vcc_lo, 1.0, v[4:5], 1.0
	v_rcp_f64_e32 v[8:9], v[2:3]
	v_nop
	s_delay_alu instid0(TRANS32_DEP_1) | instskip(NEXT) | instid1(VALU_DEP_1)
	v_fma_f64 v[10:11], -v[2:3], v[8:9], 1.0
	v_fmac_f64_e32 v[8:9], v[8:9], v[10:11]
	s_delay_alu instid0(VALU_DEP_1) | instskip(NEXT) | instid1(VALU_DEP_1)
	v_fma_f64 v[10:11], -v[2:3], v[8:9], 1.0
	v_fmac_f64_e32 v[8:9], v[8:9], v[10:11]
	s_delay_alu instid0(VALU_DEP_1) | instskip(NEXT) | instid1(VALU_DEP_1)
	v_mul_f64_e32 v[10:11], v[12:13], v[8:9]
	v_fma_f64 v[2:3], -v[2:3], v[10:11], v[12:13]
	s_delay_alu instid0(VALU_DEP_1) | instskip(NEXT) | instid1(VALU_DEP_1)
	v_div_fmas_f64 v[2:3], v[2:3], v[8:9], v[10:11]
	v_div_fixup_f64 v[8:9], v[2:3], v[4:5], 1.0
                                        ; implicit-def: $vgpr2_vgpr3
	s_delay_alu instid0(VALU_DEP_1) | instskip(SKIP_1) | instid1(VALU_DEP_2)
	v_mul_f64_e32 v[6:7], v[6:7], v[8:9]
	v_xor_b32_e32 v9, 0x80000000, v9
	v_xor_b32_e32 v11, 0x80000000, v7
	s_delay_alu instid0(VALU_DEP_3)
	v_mov_b32_e32 v10, v6
.LBB19_15:
	s_and_not1_saveexec_b32 s3, s3
	s_cbranch_execz .LBB19_17
; %bb.16:
	v_div_scale_f64 v[6:7], null, v[2:3], v[2:3], v[4:5]
	v_div_scale_f64 v[12:13], vcc_lo, v[4:5], v[2:3], v[4:5]
	s_delay_alu instid0(VALU_DEP_2) | instskip(SKIP_1) | instid1(TRANS32_DEP_1)
	v_rcp_f64_e32 v[8:9], v[6:7]
	v_nop
	v_fma_f64 v[10:11], -v[6:7], v[8:9], 1.0
	s_delay_alu instid0(VALU_DEP_1) | instskip(NEXT) | instid1(VALU_DEP_1)
	v_fmac_f64_e32 v[8:9], v[8:9], v[10:11]
	v_fma_f64 v[10:11], -v[6:7], v[8:9], 1.0
	s_delay_alu instid0(VALU_DEP_1) | instskip(NEXT) | instid1(VALU_DEP_1)
	v_fmac_f64_e32 v[8:9], v[8:9], v[10:11]
	v_mul_f64_e32 v[10:11], v[12:13], v[8:9]
	s_delay_alu instid0(VALU_DEP_1) | instskip(NEXT) | instid1(VALU_DEP_1)
	v_fma_f64 v[6:7], -v[6:7], v[10:11], v[12:13]
	v_div_fmas_f64 v[6:7], v[6:7], v[8:9], v[10:11]
	s_delay_alu instid0(VALU_DEP_1) | instskip(NEXT) | instid1(VALU_DEP_1)
	v_div_fixup_f64 v[8:9], v[6:7], v[2:3], v[4:5]
	v_fmac_f64_e32 v[2:3], v[4:5], v[8:9]
	s_delay_alu instid0(VALU_DEP_1) | instskip(NEXT) | instid1(VALU_DEP_1)
	v_div_scale_f64 v[4:5], null, v[2:3], v[2:3], 1.0
	v_rcp_f64_e32 v[6:7], v[4:5]
	v_nop
	s_delay_alu instid0(TRANS32_DEP_1) | instskip(NEXT) | instid1(VALU_DEP_1)
	v_fma_f64 v[10:11], -v[4:5], v[6:7], 1.0
	v_fmac_f64_e32 v[6:7], v[6:7], v[10:11]
	s_delay_alu instid0(VALU_DEP_1) | instskip(NEXT) | instid1(VALU_DEP_1)
	v_fma_f64 v[10:11], -v[4:5], v[6:7], 1.0
	v_fmac_f64_e32 v[6:7], v[6:7], v[10:11]
	v_div_scale_f64 v[10:11], vcc_lo, 1.0, v[2:3], 1.0
	s_delay_alu instid0(VALU_DEP_1) | instskip(NEXT) | instid1(VALU_DEP_1)
	v_mul_f64_e32 v[12:13], v[10:11], v[6:7]
	v_fma_f64 v[4:5], -v[4:5], v[12:13], v[10:11]
	s_delay_alu instid0(VALU_DEP_1) | instskip(NEXT) | instid1(VALU_DEP_1)
	v_div_fmas_f64 v[4:5], v[4:5], v[6:7], v[12:13]
	v_div_fixup_f64 v[6:7], v[4:5], v[2:3], 1.0
	s_delay_alu instid0(VALU_DEP_1)
	v_mul_f64_e64 v[8:9], v[8:9], -v[6:7]
	v_xor_b32_e32 v11, 0x80000000, v7
	v_mov_b32_e32 v10, v6
.LBB19_17:
	s_or_b32 exec_lo, exec_lo, s3
	s_clause 0x1
	scratch_store_b128 v19, v[6:9], off
	scratch_load_b128 v[2:5], off, s11
	v_xor_b32_e32 v13, 0x80000000, v9
	v_mov_b32_e32 v12, v8
	s_wait_xcnt 0x1
	v_add_nc_u32_e32 v6, 0x140, v54
	ds_store_b128 v54, v[10:13]
	s_wait_loadcnt 0x0
	ds_store_b128 v54, v[2:5] offset:320
	s_wait_storecnt_dscnt 0x0
	s_barrier_signal -1
	s_barrier_wait -1
	s_wait_xcnt 0x0
	s_and_saveexec_b32 s3, s2
	s_cbranch_execz .LBB19_19
; %bb.18:
	scratch_load_b128 v[2:5], v19, off
	ds_load_b128 v[8:11], v6
	v_mov_b32_e32 v7, 0
	ds_load_b128 v[56:59], v7 offset:16
	s_wait_loadcnt_dscnt 0x1
	v_mul_f64_e32 v[12:13], v[8:9], v[4:5]
	v_mul_f64_e32 v[4:5], v[10:11], v[4:5]
	s_delay_alu instid0(VALU_DEP_2) | instskip(NEXT) | instid1(VALU_DEP_2)
	v_fmac_f64_e32 v[12:13], v[10:11], v[2:3]
	v_fma_f64 v[2:3], v[8:9], v[2:3], -v[4:5]
	s_delay_alu instid0(VALU_DEP_2) | instskip(NEXT) | instid1(VALU_DEP_2)
	v_add_f64_e32 v[8:9], 0, v[12:13]
	v_add_f64_e32 v[2:3], 0, v[2:3]
	s_wait_dscnt 0x0
	s_delay_alu instid0(VALU_DEP_2) | instskip(NEXT) | instid1(VALU_DEP_2)
	v_mul_f64_e32 v[10:11], v[8:9], v[58:59]
	v_mul_f64_e32 v[4:5], v[2:3], v[58:59]
	s_delay_alu instid0(VALU_DEP_2) | instskip(NEXT) | instid1(VALU_DEP_2)
	v_fma_f64 v[2:3], v[2:3], v[56:57], -v[10:11]
	v_fmac_f64_e32 v[4:5], v[8:9], v[56:57]
	scratch_store_b128 off, v[2:5], off offset:16
.LBB19_19:
	s_wait_xcnt 0x0
	s_or_b32 exec_lo, exec_lo, s3
	s_wait_storecnt 0x0
	s_barrier_signal -1
	s_barrier_wait -1
	scratch_load_b128 v[2:5], off, s8
	s_mov_b32 s3, exec_lo
	s_wait_loadcnt 0x0
	ds_store_b128 v6, v[2:5]
	s_wait_dscnt 0x0
	s_barrier_signal -1
	s_barrier_wait -1
	v_cmpx_gt_u32_e32 2, v1
	s_cbranch_execz .LBB19_23
; %bb.20:
	scratch_load_b128 v[2:5], v19, off
	ds_load_b128 v[8:11], v6
	s_wait_loadcnt_dscnt 0x0
	v_mul_f64_e32 v[12:13], v[10:11], v[4:5]
	v_mul_f64_e32 v[56:57], v[8:9], v[4:5]
	s_delay_alu instid0(VALU_DEP_2) | instskip(NEXT) | instid1(VALU_DEP_2)
	v_fma_f64 v[4:5], v[8:9], v[2:3], -v[12:13]
	v_fmac_f64_e32 v[56:57], v[10:11], v[2:3]
	s_delay_alu instid0(VALU_DEP_2) | instskip(NEXT) | instid1(VALU_DEP_2)
	v_add_f64_e32 v[4:5], 0, v[4:5]
	v_add_f64_e32 v[2:3], 0, v[56:57]
	s_and_saveexec_b32 s33, s2
	s_cbranch_execz .LBB19_22
; %bb.21:
	scratch_load_b128 v[8:11], off, off offset:16
	v_mov_b32_e32 v7, 0
	ds_load_b128 v[56:59], v7 offset:336
	s_wait_loadcnt_dscnt 0x0
	v_mul_f64_e32 v[12:13], v[56:57], v[10:11]
	v_mul_f64_e32 v[10:11], v[58:59], v[10:11]
	s_delay_alu instid0(VALU_DEP_2) | instskip(NEXT) | instid1(VALU_DEP_2)
	v_fmac_f64_e32 v[12:13], v[58:59], v[8:9]
	v_fma_f64 v[8:9], v[56:57], v[8:9], -v[10:11]
	s_delay_alu instid0(VALU_DEP_2) | instskip(NEXT) | instid1(VALU_DEP_2)
	v_add_f64_e32 v[2:3], v[2:3], v[12:13]
	v_add_f64_e32 v[4:5], v[4:5], v[8:9]
.LBB19_22:
	s_or_b32 exec_lo, exec_lo, s33
	v_mov_b32_e32 v7, 0
	ds_load_b128 v[8:11], v7 offset:32
	s_wait_dscnt 0x0
	v_mul_f64_e32 v[56:57], v[2:3], v[10:11]
	v_mul_f64_e32 v[12:13], v[4:5], v[10:11]
	s_delay_alu instid0(VALU_DEP_2) | instskip(NEXT) | instid1(VALU_DEP_2)
	v_fma_f64 v[10:11], v[4:5], v[8:9], -v[56:57]
	v_fmac_f64_e32 v[12:13], v[2:3], v[8:9]
	scratch_store_b128 off, v[10:13], off offset:32
.LBB19_23:
	s_wait_xcnt 0x0
	s_or_b32 exec_lo, exec_lo, s3
	s_wait_storecnt 0x0
	s_barrier_signal -1
	s_barrier_wait -1
	scratch_load_b128 v[2:5], off, s9
	v_add_nc_u32_e32 v7, -1, v1
	s_mov_b32 s2, exec_lo
	s_wait_loadcnt 0x0
	ds_store_b128 v6, v[2:5]
	s_wait_dscnt 0x0
	s_barrier_signal -1
	s_barrier_wait -1
	v_cmpx_gt_u32_e32 3, v1
	s_cbranch_execz .LBB19_27
; %bb.24:
	v_dual_mov_b32 v10, v54 :: v_dual_add_nc_u32 v8, -1, v1
	v_mov_b64_e32 v[2:3], 0
	v_mov_b64_e32 v[4:5], 0
	v_add_nc_u32_e32 v9, 0x140, v54
	s_delay_alu instid0(VALU_DEP_4)
	v_or_b32_e32 v10, 8, v10
	s_mov_b32 s3, 0
.LBB19_25:                              ; =>This Inner Loop Header: Depth=1
	scratch_load_b128 v[56:59], v10, off offset:-8
	ds_load_b128 v[60:63], v9
	v_dual_add_nc_u32 v8, 1, v8 :: v_dual_add_nc_u32 v9, 16, v9
	s_wait_xcnt 0x0
	v_add_nc_u32_e32 v10, 16, v10
	s_delay_alu instid0(VALU_DEP_2) | instskip(SKIP_4) | instid1(VALU_DEP_2)
	v_cmp_lt_u32_e32 vcc_lo, 1, v8
	s_or_b32 s3, vcc_lo, s3
	s_wait_loadcnt_dscnt 0x0
	v_mul_f64_e32 v[12:13], v[62:63], v[58:59]
	v_mul_f64_e32 v[58:59], v[60:61], v[58:59]
	v_fma_f64 v[12:13], v[60:61], v[56:57], -v[12:13]
	s_delay_alu instid0(VALU_DEP_2) | instskip(NEXT) | instid1(VALU_DEP_2)
	v_fmac_f64_e32 v[58:59], v[62:63], v[56:57]
	v_add_f64_e32 v[4:5], v[4:5], v[12:13]
	s_delay_alu instid0(VALU_DEP_2)
	v_add_f64_e32 v[2:3], v[2:3], v[58:59]
	s_and_not1_b32 exec_lo, exec_lo, s3
	s_cbranch_execnz .LBB19_25
; %bb.26:
	s_or_b32 exec_lo, exec_lo, s3
	v_mov_b32_e32 v8, 0
	ds_load_b128 v[8:11], v8 offset:48
	s_wait_dscnt 0x0
	v_mul_f64_e32 v[56:57], v[2:3], v[10:11]
	v_mul_f64_e32 v[12:13], v[4:5], v[10:11]
	s_delay_alu instid0(VALU_DEP_2) | instskip(NEXT) | instid1(VALU_DEP_2)
	v_fma_f64 v[10:11], v[4:5], v[8:9], -v[56:57]
	v_fmac_f64_e32 v[12:13], v[2:3], v[8:9]
	scratch_store_b128 off, v[10:13], off offset:48
.LBB19_27:
	s_wait_xcnt 0x0
	s_or_b32 exec_lo, exec_lo, s2
	s_wait_storecnt 0x0
	s_barrier_signal -1
	s_barrier_wait -1
	scratch_load_b128 v[2:5], off, s10
	s_mov_b32 s2, exec_lo
	s_wait_loadcnt 0x0
	ds_store_b128 v6, v[2:5]
	s_wait_dscnt 0x0
	s_barrier_signal -1
	s_barrier_wait -1
	v_cmpx_gt_u32_e32 4, v1
	s_cbranch_execz .LBB19_31
; %bb.28:
	v_dual_mov_b32 v10, v54 :: v_dual_add_nc_u32 v8, -1, v1
	v_mov_b64_e32 v[2:3], 0
	v_mov_b64_e32 v[4:5], 0
	v_add_nc_u32_e32 v9, 0x140, v54
	s_delay_alu instid0(VALU_DEP_4)
	v_or_b32_e32 v10, 8, v10
	s_mov_b32 s3, 0
.LBB19_29:                              ; =>This Inner Loop Header: Depth=1
	scratch_load_b128 v[56:59], v10, off offset:-8
	ds_load_b128 v[60:63], v9
	v_dual_add_nc_u32 v8, 1, v8 :: v_dual_add_nc_u32 v9, 16, v9
	s_wait_xcnt 0x0
	v_add_nc_u32_e32 v10, 16, v10
	s_delay_alu instid0(VALU_DEP_2) | instskip(SKIP_4) | instid1(VALU_DEP_2)
	v_cmp_lt_u32_e32 vcc_lo, 2, v8
	s_or_b32 s3, vcc_lo, s3
	s_wait_loadcnt_dscnt 0x0
	v_mul_f64_e32 v[12:13], v[62:63], v[58:59]
	v_mul_f64_e32 v[58:59], v[60:61], v[58:59]
	v_fma_f64 v[12:13], v[60:61], v[56:57], -v[12:13]
	s_delay_alu instid0(VALU_DEP_2) | instskip(NEXT) | instid1(VALU_DEP_2)
	v_fmac_f64_e32 v[58:59], v[62:63], v[56:57]
	v_add_f64_e32 v[4:5], v[4:5], v[12:13]
	s_delay_alu instid0(VALU_DEP_2)
	v_add_f64_e32 v[2:3], v[2:3], v[58:59]
	s_and_not1_b32 exec_lo, exec_lo, s3
	s_cbranch_execnz .LBB19_29
; %bb.30:
	s_or_b32 exec_lo, exec_lo, s3
	v_mov_b32_e32 v8, 0
	ds_load_b128 v[8:11], v8 offset:64
	s_wait_dscnt 0x0
	v_mul_f64_e32 v[56:57], v[2:3], v[10:11]
	v_mul_f64_e32 v[12:13], v[4:5], v[10:11]
	s_delay_alu instid0(VALU_DEP_2) | instskip(NEXT) | instid1(VALU_DEP_2)
	v_fma_f64 v[10:11], v[4:5], v[8:9], -v[56:57]
	v_fmac_f64_e32 v[12:13], v[2:3], v[8:9]
	scratch_store_b128 off, v[10:13], off offset:64
.LBB19_31:
	s_wait_xcnt 0x0
	s_or_b32 exec_lo, exec_lo, s2
	s_wait_storecnt 0x0
	s_barrier_signal -1
	s_barrier_wait -1
	scratch_load_b128 v[2:5], off, s14
	;; [unrolled: 54-line block ×16, first 2 shown]
	s_mov_b32 s2, exec_lo
	s_wait_loadcnt 0x0
	ds_store_b128 v6, v[2:5]
	s_wait_dscnt 0x0
	s_barrier_signal -1
	s_barrier_wait -1
	v_cmpx_ne_u32_e32 19, v1
	s_cbranch_execz .LBB19_91
; %bb.88:
	v_mov_b32_e32 v8, v54
	v_mov_b64_e32 v[2:3], 0
	v_mov_b64_e32 v[4:5], 0
	s_mov_b32 s3, 0
	s_delay_alu instid0(VALU_DEP_3)
	v_or_b32_e32 v8, 8, v8
.LBB19_89:                              ; =>This Inner Loop Header: Depth=1
	scratch_load_b128 v[10:13], v8, off offset:-8
	ds_load_b128 v[54:57], v6
	v_dual_add_nc_u32 v7, 1, v7 :: v_dual_add_nc_u32 v6, 16, v6
	s_wait_xcnt 0x0
	v_add_nc_u32_e32 v8, 16, v8
	s_delay_alu instid0(VALU_DEP_2) | instskip(SKIP_4) | instid1(VALU_DEP_2)
	v_cmp_lt_u32_e32 vcc_lo, 17, v7
	s_or_b32 s3, vcc_lo, s3
	s_wait_loadcnt_dscnt 0x0
	v_mul_f64_e32 v[58:59], v[56:57], v[12:13]
	v_mul_f64_e32 v[12:13], v[54:55], v[12:13]
	v_fma_f64 v[54:55], v[54:55], v[10:11], -v[58:59]
	s_delay_alu instid0(VALU_DEP_2) | instskip(NEXT) | instid1(VALU_DEP_2)
	v_fmac_f64_e32 v[12:13], v[56:57], v[10:11]
	v_add_f64_e32 v[4:5], v[4:5], v[54:55]
	s_delay_alu instid0(VALU_DEP_2)
	v_add_f64_e32 v[2:3], v[2:3], v[12:13]
	s_and_not1_b32 exec_lo, exec_lo, s3
	s_cbranch_execnz .LBB19_89
; %bb.90:
	s_or_b32 exec_lo, exec_lo, s3
	v_mov_b32_e32 v6, 0
	ds_load_b128 v[6:9], v6 offset:304
	s_wait_dscnt 0x0
	v_mul_f64_e32 v[12:13], v[2:3], v[8:9]
	v_mul_f64_e32 v[10:11], v[4:5], v[8:9]
	s_delay_alu instid0(VALU_DEP_2) | instskip(NEXT) | instid1(VALU_DEP_2)
	v_fma_f64 v[8:9], v[4:5], v[6:7], -v[12:13]
	v_fmac_f64_e32 v[10:11], v[2:3], v[6:7]
	scratch_store_b128 off, v[8:11], off offset:304
.LBB19_91:
	s_wait_xcnt 0x0
	s_or_b32 exec_lo, exec_lo, s2
	s_mov_b32 s3, -1
	s_wait_storecnt 0x0
	s_barrier_signal -1
	s_barrier_wait -1
.LBB19_92:
	s_and_b32 vcc_lo, exec_lo, s3
	s_cbranch_vccz .LBB19_94
; %bb.93:
	s_wait_xcnt 0x13
	v_mov_b32_e32 v2, 0
	s_lshl_b64 s[2:3], s[18:19], 2
	s_delay_alu instid0(SALU_CYCLE_1)
	s_add_nc_u64 s[2:3], s[6:7], s[2:3]
	global_load_b32 v2, v2, s[2:3]
	s_wait_loadcnt 0x0
	v_cmp_ne_u32_e32 vcc_lo, 0, v2
	s_cbranch_vccz .LBB19_95
.LBB19_94:
	s_sendmsg sendmsg(MSG_DEALLOC_VGPRS)
	s_endpgm
.LBB19_95:
	s_wait_xcnt 0x13
	v_lshl_add_u32 v6, v1, 4, 0x140
	s_wait_xcnt 0x0
	s_mov_b32 s2, exec_lo
	v_cmpx_eq_u32_e32 19, v1
	s_cbranch_execz .LBB19_97
; %bb.96:
	scratch_load_b128 v[2:5], off, s25
	v_mov_b32_e32 v8, 0
	s_delay_alu instid0(VALU_DEP_1)
	v_dual_mov_b32 v9, v8 :: v_dual_mov_b32 v10, v8
	v_mov_b32_e32 v11, v8
	scratch_store_b128 off, v[8:11], off offset:288
	s_wait_loadcnt 0x0
	ds_store_b128 v6, v[2:5]
.LBB19_97:
	s_wait_xcnt 0x0
	s_or_b32 exec_lo, exec_lo, s2
	s_wait_storecnt_dscnt 0x0
	s_barrier_signal -1
	s_barrier_wait -1
	s_clause 0x1
	scratch_load_b128 v[8:11], off, off offset:304
	scratch_load_b128 v[54:57], off, off offset:288
	v_mov_b32_e32 v2, 0
	s_mov_b32 s2, exec_lo
	ds_load_b128 v[58:61], v2 offset:624
	s_wait_loadcnt_dscnt 0x100
	v_mul_f64_e32 v[4:5], v[60:61], v[10:11]
	v_mul_f64_e32 v[10:11], v[58:59], v[10:11]
	s_delay_alu instid0(VALU_DEP_2) | instskip(NEXT) | instid1(VALU_DEP_2)
	v_fma_f64 v[4:5], v[58:59], v[8:9], -v[4:5]
	v_fmac_f64_e32 v[10:11], v[60:61], v[8:9]
	s_delay_alu instid0(VALU_DEP_2) | instskip(NEXT) | instid1(VALU_DEP_2)
	v_add_f64_e32 v[4:5], 0, v[4:5]
	v_add_f64_e32 v[10:11], 0, v[10:11]
	s_wait_loadcnt 0x0
	s_delay_alu instid0(VALU_DEP_2) | instskip(NEXT) | instid1(VALU_DEP_2)
	v_add_f64_e64 v[8:9], v[54:55], -v[4:5]
	v_add_f64_e64 v[10:11], v[56:57], -v[10:11]
	scratch_store_b128 off, v[8:11], off offset:288
	s_wait_xcnt 0x0
	v_cmpx_lt_u32_e32 17, v1
	s_cbranch_execz .LBB19_99
; %bb.98:
	scratch_load_b128 v[8:11], off, s24
	v_dual_mov_b32 v3, v2 :: v_dual_mov_b32 v4, v2
	v_mov_b32_e32 v5, v2
	scratch_store_b128 off, v[2:5], off offset:272
	s_wait_loadcnt 0x0
	ds_store_b128 v6, v[8:11]
.LBB19_99:
	s_wait_xcnt 0x0
	s_or_b32 exec_lo, exec_lo, s2
	s_wait_storecnt_dscnt 0x0
	s_barrier_signal -1
	s_barrier_wait -1
	s_clause 0x2
	scratch_load_b128 v[8:11], off, off offset:288
	scratch_load_b128 v[54:57], off, off offset:304
	;; [unrolled: 1-line block ×3, first 2 shown]
	ds_load_b128 v[62:65], v2 offset:608
	ds_load_b128 v[2:5], v2 offset:624
	s_mov_b32 s2, exec_lo
	s_wait_loadcnt_dscnt 0x201
	v_mul_f64_e32 v[12:13], v[64:65], v[10:11]
	v_mul_f64_e32 v[10:11], v[62:63], v[10:11]
	s_wait_loadcnt_dscnt 0x100
	v_mul_f64_e32 v[66:67], v[2:3], v[56:57]
	v_mul_f64_e32 v[56:57], v[4:5], v[56:57]
	s_delay_alu instid0(VALU_DEP_4) | instskip(NEXT) | instid1(VALU_DEP_4)
	v_fma_f64 v[12:13], v[62:63], v[8:9], -v[12:13]
	v_fmac_f64_e32 v[10:11], v[64:65], v[8:9]
	s_delay_alu instid0(VALU_DEP_4) | instskip(NEXT) | instid1(VALU_DEP_4)
	v_fmac_f64_e32 v[66:67], v[4:5], v[54:55]
	v_fma_f64 v[2:3], v[2:3], v[54:55], -v[56:57]
	s_delay_alu instid0(VALU_DEP_4) | instskip(NEXT) | instid1(VALU_DEP_4)
	v_add_f64_e32 v[4:5], 0, v[12:13]
	v_add_f64_e32 v[8:9], 0, v[10:11]
	s_delay_alu instid0(VALU_DEP_2) | instskip(NEXT) | instid1(VALU_DEP_2)
	v_add_f64_e32 v[2:3], v[4:5], v[2:3]
	v_add_f64_e32 v[4:5], v[8:9], v[66:67]
	s_wait_loadcnt 0x0
	s_delay_alu instid0(VALU_DEP_2) | instskip(NEXT) | instid1(VALU_DEP_2)
	v_add_f64_e64 v[2:3], v[58:59], -v[2:3]
	v_add_f64_e64 v[4:5], v[60:61], -v[4:5]
	scratch_store_b128 off, v[2:5], off offset:272
	s_wait_xcnt 0x0
	v_cmpx_lt_u32_e32 16, v1
	s_cbranch_execz .LBB19_101
; %bb.100:
	scratch_load_b128 v[2:5], off, s23
	v_mov_b32_e32 v8, 0
	s_delay_alu instid0(VALU_DEP_1)
	v_dual_mov_b32 v9, v8 :: v_dual_mov_b32 v10, v8
	v_mov_b32_e32 v11, v8
	scratch_store_b128 off, v[8:11], off offset:256
	s_wait_loadcnt 0x0
	ds_store_b128 v6, v[2:5]
.LBB19_101:
	s_wait_xcnt 0x0
	s_or_b32 exec_lo, exec_lo, s2
	s_wait_storecnt_dscnt 0x0
	s_barrier_signal -1
	s_barrier_wait -1
	s_clause 0x3
	scratch_load_b128 v[8:11], off, off offset:272
	scratch_load_b128 v[54:57], off, off offset:288
	;; [unrolled: 1-line block ×4, first 2 shown]
	v_mov_b32_e32 v2, 0
	ds_load_b128 v[66:69], v2 offset:592
	ds_load_b128 v[70:73], v2 offset:608
	s_mov_b32 s2, exec_lo
	s_wait_loadcnt_dscnt 0x301
	v_mul_f64_e32 v[4:5], v[68:69], v[10:11]
	v_mul_f64_e32 v[12:13], v[66:67], v[10:11]
	s_wait_loadcnt_dscnt 0x200
	v_mul_f64_e32 v[74:75], v[70:71], v[56:57]
	v_mul_f64_e32 v[56:57], v[72:73], v[56:57]
	s_delay_alu instid0(VALU_DEP_4) | instskip(NEXT) | instid1(VALU_DEP_4)
	v_fma_f64 v[4:5], v[66:67], v[8:9], -v[4:5]
	v_fmac_f64_e32 v[12:13], v[68:69], v[8:9]
	ds_load_b128 v[8:11], v2 offset:624
	v_fmac_f64_e32 v[74:75], v[72:73], v[54:55]
	v_fma_f64 v[54:55], v[70:71], v[54:55], -v[56:57]
	s_wait_loadcnt_dscnt 0x100
	v_mul_f64_e32 v[66:67], v[8:9], v[60:61]
	v_mul_f64_e32 v[60:61], v[10:11], v[60:61]
	v_add_f64_e32 v[4:5], 0, v[4:5]
	v_add_f64_e32 v[12:13], 0, v[12:13]
	s_delay_alu instid0(VALU_DEP_4) | instskip(NEXT) | instid1(VALU_DEP_4)
	v_fmac_f64_e32 v[66:67], v[10:11], v[58:59]
	v_fma_f64 v[8:9], v[8:9], v[58:59], -v[60:61]
	s_delay_alu instid0(VALU_DEP_4) | instskip(NEXT) | instid1(VALU_DEP_4)
	v_add_f64_e32 v[4:5], v[4:5], v[54:55]
	v_add_f64_e32 v[10:11], v[12:13], v[74:75]
	s_delay_alu instid0(VALU_DEP_2) | instskip(NEXT) | instid1(VALU_DEP_2)
	v_add_f64_e32 v[4:5], v[4:5], v[8:9]
	v_add_f64_e32 v[10:11], v[10:11], v[66:67]
	s_wait_loadcnt 0x0
	s_delay_alu instid0(VALU_DEP_2) | instskip(NEXT) | instid1(VALU_DEP_2)
	v_add_f64_e64 v[8:9], v[62:63], -v[4:5]
	v_add_f64_e64 v[10:11], v[64:65], -v[10:11]
	scratch_store_b128 off, v[8:11], off offset:256
	s_wait_xcnt 0x0
	v_cmpx_lt_u32_e32 15, v1
	s_cbranch_execz .LBB19_103
; %bb.102:
	scratch_load_b128 v[8:11], off, s27
	v_dual_mov_b32 v3, v2 :: v_dual_mov_b32 v4, v2
	v_mov_b32_e32 v5, v2
	scratch_store_b128 off, v[2:5], off offset:240
	s_wait_loadcnt 0x0
	ds_store_b128 v6, v[8:11]
.LBB19_103:
	s_wait_xcnt 0x0
	s_or_b32 exec_lo, exec_lo, s2
	s_wait_storecnt_dscnt 0x0
	s_barrier_signal -1
	s_barrier_wait -1
	s_clause 0x4
	scratch_load_b128 v[8:11], off, off offset:256
	scratch_load_b128 v[54:57], off, off offset:272
	;; [unrolled: 1-line block ×5, first 2 shown]
	ds_load_b128 v[70:73], v2 offset:576
	ds_load_b128 v[74:77], v2 offset:592
	s_mov_b32 s2, exec_lo
	s_wait_loadcnt_dscnt 0x401
	v_mul_f64_e32 v[4:5], v[72:73], v[10:11]
	v_mul_f64_e32 v[12:13], v[70:71], v[10:11]
	s_wait_loadcnt_dscnt 0x300
	v_mul_f64_e32 v[78:79], v[74:75], v[56:57]
	v_mul_f64_e32 v[56:57], v[76:77], v[56:57]
	s_delay_alu instid0(VALU_DEP_4) | instskip(NEXT) | instid1(VALU_DEP_4)
	v_fma_f64 v[70:71], v[70:71], v[8:9], -v[4:5]
	v_fmac_f64_e32 v[12:13], v[72:73], v[8:9]
	ds_load_b128 v[8:11], v2 offset:608
	ds_load_b128 v[2:5], v2 offset:624
	v_fmac_f64_e32 v[78:79], v[76:77], v[54:55]
	v_fma_f64 v[54:55], v[74:75], v[54:55], -v[56:57]
	s_wait_loadcnt_dscnt 0x201
	v_mul_f64_e32 v[72:73], v[8:9], v[60:61]
	v_mul_f64_e32 v[60:61], v[10:11], v[60:61]
	v_add_f64_e32 v[56:57], 0, v[70:71]
	v_add_f64_e32 v[12:13], 0, v[12:13]
	s_wait_loadcnt_dscnt 0x100
	v_mul_f64_e32 v[70:71], v[2:3], v[64:65]
	v_mul_f64_e32 v[64:65], v[4:5], v[64:65]
	v_fmac_f64_e32 v[72:73], v[10:11], v[58:59]
	v_fma_f64 v[8:9], v[8:9], v[58:59], -v[60:61]
	v_add_f64_e32 v[10:11], v[56:57], v[54:55]
	v_add_f64_e32 v[12:13], v[12:13], v[78:79]
	v_fmac_f64_e32 v[70:71], v[4:5], v[62:63]
	v_fma_f64 v[2:3], v[2:3], v[62:63], -v[64:65]
	s_delay_alu instid0(VALU_DEP_4) | instskip(NEXT) | instid1(VALU_DEP_4)
	v_add_f64_e32 v[4:5], v[10:11], v[8:9]
	v_add_f64_e32 v[8:9], v[12:13], v[72:73]
	s_delay_alu instid0(VALU_DEP_2) | instskip(NEXT) | instid1(VALU_DEP_2)
	v_add_f64_e32 v[2:3], v[4:5], v[2:3]
	v_add_f64_e32 v[4:5], v[8:9], v[70:71]
	s_wait_loadcnt 0x0
	s_delay_alu instid0(VALU_DEP_2) | instskip(NEXT) | instid1(VALU_DEP_2)
	v_add_f64_e64 v[2:3], v[66:67], -v[2:3]
	v_add_f64_e64 v[4:5], v[68:69], -v[4:5]
	scratch_store_b128 off, v[2:5], off offset:240
	s_wait_xcnt 0x0
	v_cmpx_lt_u32_e32 14, v1
	s_cbranch_execz .LBB19_105
; %bb.104:
	scratch_load_b128 v[2:5], off, s30
	v_mov_b32_e32 v8, 0
	s_delay_alu instid0(VALU_DEP_1)
	v_dual_mov_b32 v9, v8 :: v_dual_mov_b32 v10, v8
	v_mov_b32_e32 v11, v8
	scratch_store_b128 off, v[8:11], off offset:224
	s_wait_loadcnt 0x0
	ds_store_b128 v6, v[2:5]
.LBB19_105:
	s_wait_xcnt 0x0
	s_or_b32 exec_lo, exec_lo, s2
	s_wait_storecnt_dscnt 0x0
	s_barrier_signal -1
	s_barrier_wait -1
	s_clause 0x5
	scratch_load_b128 v[8:11], off, off offset:240
	scratch_load_b128 v[54:57], off, off offset:256
	;; [unrolled: 1-line block ×6, first 2 shown]
	v_mov_b32_e32 v2, 0
	ds_load_b128 v[74:77], v2 offset:560
	ds_load_b128 v[78:81], v2 offset:576
	s_mov_b32 s2, exec_lo
	s_wait_loadcnt_dscnt 0x501
	v_mul_f64_e32 v[4:5], v[76:77], v[10:11]
	v_mul_f64_e32 v[12:13], v[74:75], v[10:11]
	s_wait_loadcnt_dscnt 0x400
	v_mul_f64_e32 v[82:83], v[78:79], v[56:57]
	v_mul_f64_e32 v[56:57], v[80:81], v[56:57]
	s_delay_alu instid0(VALU_DEP_4) | instskip(NEXT) | instid1(VALU_DEP_4)
	v_fma_f64 v[4:5], v[74:75], v[8:9], -v[4:5]
	v_fmac_f64_e32 v[12:13], v[76:77], v[8:9]
	ds_load_b128 v[8:11], v2 offset:592
	ds_load_b128 v[74:77], v2 offset:608
	v_fmac_f64_e32 v[82:83], v[80:81], v[54:55]
	v_fma_f64 v[54:55], v[78:79], v[54:55], -v[56:57]
	s_wait_loadcnt_dscnt 0x301
	v_mul_f64_e32 v[84:85], v[8:9], v[60:61]
	v_mul_f64_e32 v[60:61], v[10:11], v[60:61]
	s_wait_loadcnt_dscnt 0x200
	v_mul_f64_e32 v[56:57], v[74:75], v[64:65]
	v_mul_f64_e32 v[64:65], v[76:77], v[64:65]
	v_add_f64_e32 v[4:5], 0, v[4:5]
	v_add_f64_e32 v[12:13], 0, v[12:13]
	v_fmac_f64_e32 v[84:85], v[10:11], v[58:59]
	v_fma_f64 v[58:59], v[8:9], v[58:59], -v[60:61]
	ds_load_b128 v[8:11], v2 offset:624
	v_fmac_f64_e32 v[56:57], v[76:77], v[62:63]
	v_fma_f64 v[62:63], v[74:75], v[62:63], -v[64:65]
	v_add_f64_e32 v[4:5], v[4:5], v[54:55]
	v_add_f64_e32 v[12:13], v[12:13], v[82:83]
	s_wait_loadcnt_dscnt 0x100
	v_mul_f64_e32 v[54:55], v[8:9], v[68:69]
	v_mul_f64_e32 v[60:61], v[10:11], v[68:69]
	s_delay_alu instid0(VALU_DEP_4) | instskip(NEXT) | instid1(VALU_DEP_4)
	v_add_f64_e32 v[4:5], v[4:5], v[58:59]
	v_add_f64_e32 v[12:13], v[12:13], v[84:85]
	s_delay_alu instid0(VALU_DEP_4) | instskip(NEXT) | instid1(VALU_DEP_4)
	v_fmac_f64_e32 v[54:55], v[10:11], v[66:67]
	v_fma_f64 v[8:9], v[8:9], v[66:67], -v[60:61]
	s_delay_alu instid0(VALU_DEP_4) | instskip(NEXT) | instid1(VALU_DEP_4)
	v_add_f64_e32 v[4:5], v[4:5], v[62:63]
	v_add_f64_e32 v[10:11], v[12:13], v[56:57]
	s_delay_alu instid0(VALU_DEP_2) | instskip(NEXT) | instid1(VALU_DEP_2)
	v_add_f64_e32 v[4:5], v[4:5], v[8:9]
	v_add_f64_e32 v[10:11], v[10:11], v[54:55]
	s_wait_loadcnt 0x0
	s_delay_alu instid0(VALU_DEP_2) | instskip(NEXT) | instid1(VALU_DEP_2)
	v_add_f64_e64 v[8:9], v[70:71], -v[4:5]
	v_add_f64_e64 v[10:11], v[72:73], -v[10:11]
	scratch_store_b128 off, v[8:11], off offset:224
	s_wait_xcnt 0x0
	v_cmpx_lt_u32_e32 13, v1
	s_cbranch_execz .LBB19_107
; %bb.106:
	scratch_load_b128 v[8:11], off, s29
	v_dual_mov_b32 v3, v2 :: v_dual_mov_b32 v4, v2
	v_mov_b32_e32 v5, v2
	scratch_store_b128 off, v[2:5], off offset:208
	s_wait_loadcnt 0x0
	ds_store_b128 v6, v[8:11]
.LBB19_107:
	s_wait_xcnt 0x0
	s_or_b32 exec_lo, exec_lo, s2
	s_wait_storecnt_dscnt 0x0
	s_barrier_signal -1
	s_barrier_wait -1
	s_clause 0x6
	scratch_load_b128 v[8:11], off, off offset:224
	scratch_load_b128 v[54:57], off, off offset:240
	;; [unrolled: 1-line block ×7, first 2 shown]
	ds_load_b128 v[78:81], v2 offset:544
	ds_load_b128 v[82:85], v2 offset:560
	s_mov_b32 s2, exec_lo
	s_wait_loadcnt_dscnt 0x601
	v_mul_f64_e32 v[4:5], v[80:81], v[10:11]
	v_mul_f64_e32 v[12:13], v[78:79], v[10:11]
	s_wait_loadcnt_dscnt 0x500
	v_mul_f64_e32 v[86:87], v[82:83], v[56:57]
	v_mul_f64_e32 v[56:57], v[84:85], v[56:57]
	s_delay_alu instid0(VALU_DEP_4) | instskip(NEXT) | instid1(VALU_DEP_4)
	v_fma_f64 v[4:5], v[78:79], v[8:9], -v[4:5]
	v_fmac_f64_e32 v[12:13], v[80:81], v[8:9]
	ds_load_b128 v[8:11], v2 offset:576
	ds_load_b128 v[78:81], v2 offset:592
	v_fmac_f64_e32 v[86:87], v[84:85], v[54:55]
	v_fma_f64 v[54:55], v[82:83], v[54:55], -v[56:57]
	s_wait_loadcnt_dscnt 0x401
	v_mul_f64_e32 v[88:89], v[8:9], v[60:61]
	v_mul_f64_e32 v[60:61], v[10:11], v[60:61]
	s_wait_loadcnt_dscnt 0x300
	v_mul_f64_e32 v[56:57], v[78:79], v[64:65]
	v_mul_f64_e32 v[64:65], v[80:81], v[64:65]
	v_add_f64_e32 v[4:5], 0, v[4:5]
	v_add_f64_e32 v[12:13], 0, v[12:13]
	v_fmac_f64_e32 v[88:89], v[10:11], v[58:59]
	v_fma_f64 v[58:59], v[8:9], v[58:59], -v[60:61]
	v_fmac_f64_e32 v[56:57], v[80:81], v[62:63]
	v_fma_f64 v[62:63], v[78:79], v[62:63], -v[64:65]
	v_add_f64_e32 v[54:55], v[4:5], v[54:55]
	v_add_f64_e32 v[12:13], v[12:13], v[86:87]
	ds_load_b128 v[8:11], v2 offset:608
	ds_load_b128 v[2:5], v2 offset:624
	s_wait_loadcnt_dscnt 0x201
	v_mul_f64_e32 v[60:61], v[8:9], v[68:69]
	v_mul_f64_e32 v[68:69], v[10:11], v[68:69]
	s_wait_loadcnt_dscnt 0x100
	v_mul_f64_e32 v[64:65], v[4:5], v[72:73]
	v_add_f64_e32 v[54:55], v[54:55], v[58:59]
	v_add_f64_e32 v[12:13], v[12:13], v[88:89]
	v_mul_f64_e32 v[58:59], v[2:3], v[72:73]
	v_fmac_f64_e32 v[60:61], v[10:11], v[66:67]
	v_fma_f64 v[8:9], v[8:9], v[66:67], -v[68:69]
	v_fma_f64 v[2:3], v[2:3], v[70:71], -v[64:65]
	v_add_f64_e32 v[10:11], v[54:55], v[62:63]
	v_add_f64_e32 v[12:13], v[12:13], v[56:57]
	v_fmac_f64_e32 v[58:59], v[4:5], v[70:71]
	s_delay_alu instid0(VALU_DEP_3) | instskip(NEXT) | instid1(VALU_DEP_3)
	v_add_f64_e32 v[4:5], v[10:11], v[8:9]
	v_add_f64_e32 v[8:9], v[12:13], v[60:61]
	s_delay_alu instid0(VALU_DEP_2) | instskip(NEXT) | instid1(VALU_DEP_2)
	v_add_f64_e32 v[2:3], v[4:5], v[2:3]
	v_add_f64_e32 v[4:5], v[8:9], v[58:59]
	s_wait_loadcnt 0x0
	s_delay_alu instid0(VALU_DEP_2) | instskip(NEXT) | instid1(VALU_DEP_2)
	v_add_f64_e64 v[2:3], v[74:75], -v[2:3]
	v_add_f64_e64 v[4:5], v[76:77], -v[4:5]
	scratch_store_b128 off, v[2:5], off offset:208
	s_wait_xcnt 0x0
	v_cmpx_lt_u32_e32 12, v1
	s_cbranch_execz .LBB19_109
; %bb.108:
	scratch_load_b128 v[2:5], off, s28
	v_mov_b32_e32 v8, 0
	s_delay_alu instid0(VALU_DEP_1)
	v_dual_mov_b32 v9, v8 :: v_dual_mov_b32 v10, v8
	v_mov_b32_e32 v11, v8
	scratch_store_b128 off, v[8:11], off offset:192
	s_wait_loadcnt 0x0
	ds_store_b128 v6, v[2:5]
.LBB19_109:
	s_wait_xcnt 0x0
	s_or_b32 exec_lo, exec_lo, s2
	s_wait_storecnt_dscnt 0x0
	s_barrier_signal -1
	s_barrier_wait -1
	s_clause 0x7
	scratch_load_b128 v[8:11], off, off offset:208
	scratch_load_b128 v[54:57], off, off offset:224
	;; [unrolled: 1-line block ×8, first 2 shown]
	v_mov_b32_e32 v2, 0
	ds_load_b128 v[82:85], v2 offset:528
	ds_load_b128 v[86:89], v2 offset:544
	s_mov_b32 s2, exec_lo
	s_wait_loadcnt_dscnt 0x701
	v_mul_f64_e32 v[4:5], v[84:85], v[10:11]
	v_mul_f64_e32 v[12:13], v[82:83], v[10:11]
	s_wait_loadcnt_dscnt 0x600
	v_mul_f64_e32 v[90:91], v[86:87], v[56:57]
	v_mul_f64_e32 v[56:57], v[88:89], v[56:57]
	s_delay_alu instid0(VALU_DEP_4) | instskip(NEXT) | instid1(VALU_DEP_4)
	v_fma_f64 v[4:5], v[82:83], v[8:9], -v[4:5]
	v_fmac_f64_e32 v[12:13], v[84:85], v[8:9]
	ds_load_b128 v[8:11], v2 offset:560
	ds_load_b128 v[82:85], v2 offset:576
	v_fmac_f64_e32 v[90:91], v[88:89], v[54:55]
	v_fma_f64 v[54:55], v[86:87], v[54:55], -v[56:57]
	s_wait_loadcnt_dscnt 0x501
	v_mul_f64_e32 v[92:93], v[8:9], v[60:61]
	v_mul_f64_e32 v[60:61], v[10:11], v[60:61]
	s_wait_loadcnt_dscnt 0x400
	v_mul_f64_e32 v[86:87], v[82:83], v[64:65]
	v_mul_f64_e32 v[64:65], v[84:85], v[64:65]
	v_add_f64_e32 v[4:5], 0, v[4:5]
	v_add_f64_e32 v[12:13], 0, v[12:13]
	v_fmac_f64_e32 v[92:93], v[10:11], v[58:59]
	v_fma_f64 v[58:59], v[8:9], v[58:59], -v[60:61]
	v_fmac_f64_e32 v[86:87], v[84:85], v[62:63]
	v_fma_f64 v[62:63], v[82:83], v[62:63], -v[64:65]
	v_add_f64_e32 v[4:5], v[4:5], v[54:55]
	v_add_f64_e32 v[12:13], v[12:13], v[90:91]
	ds_load_b128 v[8:11], v2 offset:592
	ds_load_b128 v[54:57], v2 offset:608
	s_wait_loadcnt_dscnt 0x301
	v_mul_f64_e32 v[60:61], v[8:9], v[68:69]
	v_mul_f64_e32 v[68:69], v[10:11], v[68:69]
	s_wait_loadcnt_dscnt 0x200
	v_mul_f64_e32 v[64:65], v[56:57], v[72:73]
	v_add_f64_e32 v[4:5], v[4:5], v[58:59]
	v_add_f64_e32 v[12:13], v[12:13], v[92:93]
	v_mul_f64_e32 v[58:59], v[54:55], v[72:73]
	v_fmac_f64_e32 v[60:61], v[10:11], v[66:67]
	v_fma_f64 v[66:67], v[8:9], v[66:67], -v[68:69]
	ds_load_b128 v[8:11], v2 offset:624
	v_fma_f64 v[54:55], v[54:55], v[70:71], -v[64:65]
	v_add_f64_e32 v[4:5], v[4:5], v[62:63]
	v_add_f64_e32 v[12:13], v[12:13], v[86:87]
	v_fmac_f64_e32 v[58:59], v[56:57], v[70:71]
	s_wait_loadcnt_dscnt 0x100
	v_mul_f64_e32 v[62:63], v[8:9], v[76:77]
	v_mul_f64_e32 v[68:69], v[10:11], v[76:77]
	v_add_f64_e32 v[4:5], v[4:5], v[66:67]
	v_add_f64_e32 v[12:13], v[12:13], v[60:61]
	s_delay_alu instid0(VALU_DEP_4) | instskip(NEXT) | instid1(VALU_DEP_4)
	v_fmac_f64_e32 v[62:63], v[10:11], v[74:75]
	v_fma_f64 v[8:9], v[8:9], v[74:75], -v[68:69]
	s_delay_alu instid0(VALU_DEP_4) | instskip(NEXT) | instid1(VALU_DEP_4)
	v_add_f64_e32 v[4:5], v[4:5], v[54:55]
	v_add_f64_e32 v[10:11], v[12:13], v[58:59]
	s_delay_alu instid0(VALU_DEP_2) | instskip(NEXT) | instid1(VALU_DEP_2)
	v_add_f64_e32 v[4:5], v[4:5], v[8:9]
	v_add_f64_e32 v[10:11], v[10:11], v[62:63]
	s_wait_loadcnt 0x0
	s_delay_alu instid0(VALU_DEP_2) | instskip(NEXT) | instid1(VALU_DEP_2)
	v_add_f64_e64 v[8:9], v[78:79], -v[4:5]
	v_add_f64_e64 v[10:11], v[80:81], -v[10:11]
	scratch_store_b128 off, v[8:11], off offset:192
	s_wait_xcnt 0x0
	v_cmpx_lt_u32_e32 11, v1
	s_cbranch_execz .LBB19_111
; %bb.110:
	scratch_load_b128 v[8:11], off, s21
	v_dual_mov_b32 v3, v2 :: v_dual_mov_b32 v4, v2
	v_mov_b32_e32 v5, v2
	scratch_store_b128 off, v[2:5], off offset:176
	s_wait_loadcnt 0x0
	ds_store_b128 v6, v[8:11]
.LBB19_111:
	s_wait_xcnt 0x0
	s_or_b32 exec_lo, exec_lo, s2
	s_wait_storecnt_dscnt 0x0
	s_barrier_signal -1
	s_barrier_wait -1
	s_clause 0x7
	scratch_load_b128 v[8:11], off, off offset:192
	scratch_load_b128 v[54:57], off, off offset:208
	;; [unrolled: 1-line block ×8, first 2 shown]
	ds_load_b128 v[82:85], v2 offset:512
	ds_load_b128 v[86:89], v2 offset:528
	scratch_load_b128 v[90:93], off, off offset:176
	s_mov_b32 s2, exec_lo
	s_wait_loadcnt_dscnt 0x801
	v_mul_f64_e32 v[4:5], v[84:85], v[10:11]
	v_mul_f64_e32 v[12:13], v[82:83], v[10:11]
	s_wait_loadcnt_dscnt 0x700
	v_mul_f64_e32 v[94:95], v[86:87], v[56:57]
	v_mul_f64_e32 v[56:57], v[88:89], v[56:57]
	s_delay_alu instid0(VALU_DEP_4) | instskip(NEXT) | instid1(VALU_DEP_4)
	v_fma_f64 v[4:5], v[82:83], v[8:9], -v[4:5]
	v_fmac_f64_e32 v[12:13], v[84:85], v[8:9]
	ds_load_b128 v[8:11], v2 offset:544
	ds_load_b128 v[82:85], v2 offset:560
	v_fmac_f64_e32 v[94:95], v[88:89], v[54:55]
	v_fma_f64 v[54:55], v[86:87], v[54:55], -v[56:57]
	s_wait_loadcnt_dscnt 0x601
	v_mul_f64_e32 v[96:97], v[8:9], v[60:61]
	v_mul_f64_e32 v[60:61], v[10:11], v[60:61]
	s_wait_loadcnt_dscnt 0x500
	v_mul_f64_e32 v[86:87], v[82:83], v[64:65]
	v_mul_f64_e32 v[64:65], v[84:85], v[64:65]
	v_add_f64_e32 v[4:5], 0, v[4:5]
	v_add_f64_e32 v[12:13], 0, v[12:13]
	v_fmac_f64_e32 v[96:97], v[10:11], v[58:59]
	v_fma_f64 v[58:59], v[8:9], v[58:59], -v[60:61]
	v_fmac_f64_e32 v[86:87], v[84:85], v[62:63]
	v_fma_f64 v[62:63], v[82:83], v[62:63], -v[64:65]
	v_add_f64_e32 v[4:5], v[4:5], v[54:55]
	v_add_f64_e32 v[12:13], v[12:13], v[94:95]
	ds_load_b128 v[8:11], v2 offset:576
	ds_load_b128 v[54:57], v2 offset:592
	s_wait_loadcnt_dscnt 0x401
	v_mul_f64_e32 v[60:61], v[8:9], v[68:69]
	v_mul_f64_e32 v[68:69], v[10:11], v[68:69]
	s_wait_loadcnt_dscnt 0x300
	v_mul_f64_e32 v[64:65], v[56:57], v[72:73]
	v_add_f64_e32 v[4:5], v[4:5], v[58:59]
	v_add_f64_e32 v[12:13], v[12:13], v[96:97]
	v_mul_f64_e32 v[58:59], v[54:55], v[72:73]
	v_fmac_f64_e32 v[60:61], v[10:11], v[66:67]
	v_fma_f64 v[66:67], v[8:9], v[66:67], -v[68:69]
	v_fma_f64 v[54:55], v[54:55], v[70:71], -v[64:65]
	v_add_f64_e32 v[62:63], v[4:5], v[62:63]
	v_add_f64_e32 v[12:13], v[12:13], v[86:87]
	ds_load_b128 v[8:11], v2 offset:608
	ds_load_b128 v[2:5], v2 offset:624
	v_fmac_f64_e32 v[58:59], v[56:57], v[70:71]
	s_wait_loadcnt_dscnt 0x201
	v_mul_f64_e32 v[68:69], v[8:9], v[76:77]
	v_mul_f64_e32 v[72:73], v[10:11], v[76:77]
	v_add_f64_e32 v[56:57], v[62:63], v[66:67]
	v_add_f64_e32 v[12:13], v[12:13], v[60:61]
	s_wait_loadcnt_dscnt 0x100
	v_mul_f64_e32 v[60:61], v[2:3], v[80:81]
	v_mul_f64_e32 v[62:63], v[4:5], v[80:81]
	v_fmac_f64_e32 v[68:69], v[10:11], v[74:75]
	v_fma_f64 v[8:9], v[8:9], v[74:75], -v[72:73]
	v_add_f64_e32 v[10:11], v[56:57], v[54:55]
	v_add_f64_e32 v[12:13], v[12:13], v[58:59]
	v_fmac_f64_e32 v[60:61], v[4:5], v[78:79]
	v_fma_f64 v[2:3], v[2:3], v[78:79], -v[62:63]
	s_delay_alu instid0(VALU_DEP_4) | instskip(NEXT) | instid1(VALU_DEP_4)
	v_add_f64_e32 v[4:5], v[10:11], v[8:9]
	v_add_f64_e32 v[8:9], v[12:13], v[68:69]
	s_delay_alu instid0(VALU_DEP_2) | instskip(NEXT) | instid1(VALU_DEP_2)
	v_add_f64_e32 v[2:3], v[4:5], v[2:3]
	v_add_f64_e32 v[4:5], v[8:9], v[60:61]
	s_wait_loadcnt 0x0
	s_delay_alu instid0(VALU_DEP_2) | instskip(NEXT) | instid1(VALU_DEP_2)
	v_add_f64_e64 v[2:3], v[90:91], -v[2:3]
	v_add_f64_e64 v[4:5], v[92:93], -v[4:5]
	scratch_store_b128 off, v[2:5], off offset:176
	s_wait_xcnt 0x0
	v_cmpx_lt_u32_e32 10, v1
	s_cbranch_execz .LBB19_113
; %bb.112:
	scratch_load_b128 v[2:5], off, s15
	v_mov_b32_e32 v8, 0
	s_delay_alu instid0(VALU_DEP_1)
	v_dual_mov_b32 v9, v8 :: v_dual_mov_b32 v10, v8
	v_mov_b32_e32 v11, v8
	scratch_store_b128 off, v[8:11], off offset:160
	s_wait_loadcnt 0x0
	ds_store_b128 v6, v[2:5]
.LBB19_113:
	s_wait_xcnt 0x0
	s_or_b32 exec_lo, exec_lo, s2
	s_wait_storecnt_dscnt 0x0
	s_barrier_signal -1
	s_barrier_wait -1
	s_clause 0x8
	scratch_load_b128 v[8:11], off, off offset:176
	scratch_load_b128 v[54:57], off, off offset:192
	;; [unrolled: 1-line block ×9, first 2 shown]
	v_mov_b32_e32 v2, 0
	scratch_load_b128 v[90:93], off, off offset:160
	s_mov_b32 s2, exec_lo
	ds_load_b128 v[86:89], v2 offset:496
	ds_load_b128 v[94:97], v2 offset:512
	s_wait_loadcnt_dscnt 0x901
	v_mul_f64_e32 v[4:5], v[88:89], v[10:11]
	v_mul_f64_e32 v[12:13], v[86:87], v[10:11]
	s_wait_loadcnt_dscnt 0x800
	v_mul_f64_e32 v[98:99], v[94:95], v[56:57]
	v_mul_f64_e32 v[56:57], v[96:97], v[56:57]
	s_delay_alu instid0(VALU_DEP_4) | instskip(NEXT) | instid1(VALU_DEP_4)
	v_fma_f64 v[4:5], v[86:87], v[8:9], -v[4:5]
	v_fmac_f64_e32 v[12:13], v[88:89], v[8:9]
	ds_load_b128 v[8:11], v2 offset:528
	ds_load_b128 v[86:89], v2 offset:544
	v_fmac_f64_e32 v[98:99], v[96:97], v[54:55]
	v_fma_f64 v[54:55], v[94:95], v[54:55], -v[56:57]
	s_wait_loadcnt_dscnt 0x701
	v_mul_f64_e32 v[100:101], v[8:9], v[60:61]
	v_mul_f64_e32 v[60:61], v[10:11], v[60:61]
	s_wait_loadcnt_dscnt 0x600
	v_mul_f64_e32 v[94:95], v[86:87], v[64:65]
	v_mul_f64_e32 v[64:65], v[88:89], v[64:65]
	v_add_f64_e32 v[4:5], 0, v[4:5]
	v_add_f64_e32 v[12:13], 0, v[12:13]
	v_fmac_f64_e32 v[100:101], v[10:11], v[58:59]
	v_fma_f64 v[58:59], v[8:9], v[58:59], -v[60:61]
	v_fmac_f64_e32 v[94:95], v[88:89], v[62:63]
	v_fma_f64 v[62:63], v[86:87], v[62:63], -v[64:65]
	v_add_f64_e32 v[4:5], v[4:5], v[54:55]
	v_add_f64_e32 v[12:13], v[12:13], v[98:99]
	ds_load_b128 v[8:11], v2 offset:560
	ds_load_b128 v[54:57], v2 offset:576
	s_wait_loadcnt_dscnt 0x501
	v_mul_f64_e32 v[96:97], v[8:9], v[68:69]
	v_mul_f64_e32 v[60:61], v[10:11], v[68:69]
	s_wait_loadcnt_dscnt 0x400
	v_mul_f64_e32 v[64:65], v[54:55], v[72:73]
	v_mul_f64_e32 v[68:69], v[56:57], v[72:73]
	v_add_f64_e32 v[4:5], v[4:5], v[58:59]
	v_add_f64_e32 v[12:13], v[12:13], v[100:101]
	v_fmac_f64_e32 v[96:97], v[10:11], v[66:67]
	v_fma_f64 v[66:67], v[8:9], v[66:67], -v[60:61]
	ds_load_b128 v[8:11], v2 offset:592
	ds_load_b128 v[58:61], v2 offset:608
	v_fmac_f64_e32 v[64:65], v[56:57], v[70:71]
	v_fma_f64 v[54:55], v[54:55], v[70:71], -v[68:69]
	v_add_f64_e32 v[4:5], v[4:5], v[62:63]
	v_add_f64_e32 v[12:13], v[12:13], v[94:95]
	s_wait_loadcnt_dscnt 0x301
	v_mul_f64_e32 v[62:63], v[8:9], v[76:77]
	v_mul_f64_e32 v[72:73], v[10:11], v[76:77]
	s_wait_loadcnt_dscnt 0x200
	v_mul_f64_e32 v[56:57], v[58:59], v[80:81]
	v_add_f64_e32 v[4:5], v[4:5], v[66:67]
	v_add_f64_e32 v[12:13], v[12:13], v[96:97]
	v_mul_f64_e32 v[66:67], v[60:61], v[80:81]
	v_fmac_f64_e32 v[62:63], v[10:11], v[74:75]
	v_fma_f64 v[68:69], v[8:9], v[74:75], -v[72:73]
	ds_load_b128 v[8:11], v2 offset:624
	v_fmac_f64_e32 v[56:57], v[60:61], v[78:79]
	v_add_f64_e32 v[4:5], v[4:5], v[54:55]
	v_add_f64_e32 v[12:13], v[12:13], v[64:65]
	s_wait_loadcnt_dscnt 0x100
	v_mul_f64_e32 v[54:55], v[8:9], v[84:85]
	v_mul_f64_e32 v[64:65], v[10:11], v[84:85]
	v_fma_f64 v[58:59], v[58:59], v[78:79], -v[66:67]
	v_add_f64_e32 v[4:5], v[4:5], v[68:69]
	v_add_f64_e32 v[12:13], v[12:13], v[62:63]
	v_fmac_f64_e32 v[54:55], v[10:11], v[82:83]
	v_fma_f64 v[8:9], v[8:9], v[82:83], -v[64:65]
	s_delay_alu instid0(VALU_DEP_4) | instskip(NEXT) | instid1(VALU_DEP_4)
	v_add_f64_e32 v[4:5], v[4:5], v[58:59]
	v_add_f64_e32 v[10:11], v[12:13], v[56:57]
	s_delay_alu instid0(VALU_DEP_2) | instskip(NEXT) | instid1(VALU_DEP_2)
	v_add_f64_e32 v[4:5], v[4:5], v[8:9]
	v_add_f64_e32 v[10:11], v[10:11], v[54:55]
	s_wait_loadcnt 0x0
	s_delay_alu instid0(VALU_DEP_2) | instskip(NEXT) | instid1(VALU_DEP_2)
	v_add_f64_e64 v[8:9], v[90:91], -v[4:5]
	v_add_f64_e64 v[10:11], v[92:93], -v[10:11]
	scratch_store_b128 off, v[8:11], off offset:160
	s_wait_xcnt 0x0
	v_cmpx_lt_u32_e32 9, v1
	s_cbranch_execz .LBB19_115
; %bb.114:
	scratch_load_b128 v[8:11], off, s13
	v_dual_mov_b32 v3, v2 :: v_dual_mov_b32 v4, v2
	v_mov_b32_e32 v5, v2
	scratch_store_b128 off, v[2:5], off offset:144
	s_wait_loadcnt 0x0
	ds_store_b128 v6, v[8:11]
.LBB19_115:
	s_wait_xcnt 0x0
	s_or_b32 exec_lo, exec_lo, s2
	s_wait_storecnt_dscnt 0x0
	s_barrier_signal -1
	s_barrier_wait -1
	s_clause 0x9
	scratch_load_b128 v[8:11], off, off offset:160
	scratch_load_b128 v[54:57], off, off offset:176
	;; [unrolled: 1-line block ×10, first 2 shown]
	ds_load_b128 v[90:93], v2 offset:480
	ds_load_b128 v[94:97], v2 offset:496
	scratch_load_b128 v[98:101], off, off offset:144
	s_mov_b32 s2, exec_lo
	s_wait_loadcnt_dscnt 0xa01
	v_mul_f64_e32 v[4:5], v[92:93], v[10:11]
	v_mul_f64_e32 v[12:13], v[90:91], v[10:11]
	s_wait_loadcnt_dscnt 0x900
	v_mul_f64_e32 v[102:103], v[94:95], v[56:57]
	v_mul_f64_e32 v[56:57], v[96:97], v[56:57]
	s_delay_alu instid0(VALU_DEP_4) | instskip(NEXT) | instid1(VALU_DEP_4)
	v_fma_f64 v[4:5], v[90:91], v[8:9], -v[4:5]
	v_fmac_f64_e32 v[12:13], v[92:93], v[8:9]
	ds_load_b128 v[8:11], v2 offset:512
	ds_load_b128 v[90:93], v2 offset:528
	v_fmac_f64_e32 v[102:103], v[96:97], v[54:55]
	v_fma_f64 v[54:55], v[94:95], v[54:55], -v[56:57]
	s_wait_loadcnt_dscnt 0x801
	v_mul_f64_e32 v[104:105], v[8:9], v[60:61]
	v_mul_f64_e32 v[60:61], v[10:11], v[60:61]
	s_wait_loadcnt_dscnt 0x700
	v_mul_f64_e32 v[94:95], v[90:91], v[64:65]
	v_mul_f64_e32 v[64:65], v[92:93], v[64:65]
	v_add_f64_e32 v[4:5], 0, v[4:5]
	v_add_f64_e32 v[12:13], 0, v[12:13]
	v_fmac_f64_e32 v[104:105], v[10:11], v[58:59]
	v_fma_f64 v[58:59], v[8:9], v[58:59], -v[60:61]
	v_fmac_f64_e32 v[94:95], v[92:93], v[62:63]
	v_fma_f64 v[62:63], v[90:91], v[62:63], -v[64:65]
	v_add_f64_e32 v[4:5], v[4:5], v[54:55]
	v_add_f64_e32 v[12:13], v[12:13], v[102:103]
	ds_load_b128 v[8:11], v2 offset:544
	ds_load_b128 v[54:57], v2 offset:560
	s_wait_loadcnt_dscnt 0x601
	v_mul_f64_e32 v[96:97], v[8:9], v[68:69]
	v_mul_f64_e32 v[60:61], v[10:11], v[68:69]
	s_wait_loadcnt_dscnt 0x500
	v_mul_f64_e32 v[64:65], v[54:55], v[72:73]
	v_mul_f64_e32 v[68:69], v[56:57], v[72:73]
	v_add_f64_e32 v[4:5], v[4:5], v[58:59]
	v_add_f64_e32 v[12:13], v[12:13], v[104:105]
	v_fmac_f64_e32 v[96:97], v[10:11], v[66:67]
	v_fma_f64 v[66:67], v[8:9], v[66:67], -v[60:61]
	ds_load_b128 v[8:11], v2 offset:576
	ds_load_b128 v[58:61], v2 offset:592
	v_fmac_f64_e32 v[64:65], v[56:57], v[70:71]
	v_fma_f64 v[54:55], v[54:55], v[70:71], -v[68:69]
	v_add_f64_e32 v[4:5], v[4:5], v[62:63]
	v_add_f64_e32 v[12:13], v[12:13], v[94:95]
	s_wait_loadcnt_dscnt 0x401
	v_mul_f64_e32 v[62:63], v[8:9], v[76:77]
	v_mul_f64_e32 v[72:73], v[10:11], v[76:77]
	s_wait_loadcnt_dscnt 0x300
	v_mul_f64_e32 v[56:57], v[58:59], v[80:81]
	v_add_f64_e32 v[4:5], v[4:5], v[66:67]
	v_add_f64_e32 v[12:13], v[12:13], v[96:97]
	v_mul_f64_e32 v[66:67], v[60:61], v[80:81]
	v_fmac_f64_e32 v[62:63], v[10:11], v[74:75]
	v_fma_f64 v[68:69], v[8:9], v[74:75], -v[72:73]
	v_fmac_f64_e32 v[56:57], v[60:61], v[78:79]
	v_add_f64_e32 v[54:55], v[4:5], v[54:55]
	v_add_f64_e32 v[12:13], v[12:13], v[64:65]
	ds_load_b128 v[8:11], v2 offset:608
	ds_load_b128 v[2:5], v2 offset:624
	v_fma_f64 v[58:59], v[58:59], v[78:79], -v[66:67]
	s_wait_loadcnt_dscnt 0x201
	v_mul_f64_e32 v[64:65], v[8:9], v[84:85]
	v_mul_f64_e32 v[70:71], v[10:11], v[84:85]
	s_wait_loadcnt_dscnt 0x100
	v_mul_f64_e32 v[60:61], v[2:3], v[88:89]
	v_add_f64_e32 v[54:55], v[54:55], v[68:69]
	v_add_f64_e32 v[12:13], v[12:13], v[62:63]
	v_mul_f64_e32 v[62:63], v[4:5], v[88:89]
	v_fmac_f64_e32 v[64:65], v[10:11], v[82:83]
	v_fma_f64 v[8:9], v[8:9], v[82:83], -v[70:71]
	v_fmac_f64_e32 v[60:61], v[4:5], v[86:87]
	v_add_f64_e32 v[10:11], v[54:55], v[58:59]
	v_add_f64_e32 v[12:13], v[12:13], v[56:57]
	v_fma_f64 v[2:3], v[2:3], v[86:87], -v[62:63]
	s_delay_alu instid0(VALU_DEP_3) | instskip(NEXT) | instid1(VALU_DEP_3)
	v_add_f64_e32 v[4:5], v[10:11], v[8:9]
	v_add_f64_e32 v[8:9], v[12:13], v[64:65]
	s_delay_alu instid0(VALU_DEP_2) | instskip(NEXT) | instid1(VALU_DEP_2)
	v_add_f64_e32 v[2:3], v[4:5], v[2:3]
	v_add_f64_e32 v[4:5], v[8:9], v[60:61]
	s_wait_loadcnt 0x0
	s_delay_alu instid0(VALU_DEP_2) | instskip(NEXT) | instid1(VALU_DEP_2)
	v_add_f64_e64 v[2:3], v[98:99], -v[2:3]
	v_add_f64_e64 v[4:5], v[100:101], -v[4:5]
	scratch_store_b128 off, v[2:5], off offset:144
	s_wait_xcnt 0x0
	v_cmpx_lt_u32_e32 8, v1
	s_cbranch_execz .LBB19_117
; %bb.116:
	scratch_load_b128 v[2:5], off, s12
	v_mov_b32_e32 v8, 0
	s_delay_alu instid0(VALU_DEP_1)
	v_dual_mov_b32 v9, v8 :: v_dual_mov_b32 v10, v8
	v_mov_b32_e32 v11, v8
	scratch_store_b128 off, v[8:11], off offset:128
	s_wait_loadcnt 0x0
	ds_store_b128 v6, v[2:5]
.LBB19_117:
	s_wait_xcnt 0x0
	s_or_b32 exec_lo, exec_lo, s2
	s_wait_storecnt_dscnt 0x0
	s_barrier_signal -1
	s_barrier_wait -1
	s_clause 0x9
	scratch_load_b128 v[8:11], off, off offset:144
	scratch_load_b128 v[54:57], off, off offset:160
	;; [unrolled: 1-line block ×10, first 2 shown]
	v_mov_b32_e32 v2, 0
	s_mov_b32 s2, exec_lo
	ds_load_b128 v[90:93], v2 offset:464
	s_clause 0x1
	scratch_load_b128 v[94:97], off, off offset:304
	scratch_load_b128 v[98:101], off, off offset:128
	s_wait_loadcnt_dscnt 0xb00
	v_mul_f64_e32 v[4:5], v[92:93], v[10:11]
	v_mul_f64_e32 v[12:13], v[90:91], v[10:11]
	ds_load_b128 v[102:105], v2 offset:480
	s_wait_loadcnt_dscnt 0xa00
	v_mul_f64_e32 v[106:107], v[102:103], v[56:57]
	v_mul_f64_e32 v[56:57], v[104:105], v[56:57]
	v_fma_f64 v[4:5], v[90:91], v[8:9], -v[4:5]
	v_fmac_f64_e32 v[12:13], v[92:93], v[8:9]
	ds_load_b128 v[8:11], v2 offset:496
	ds_load_b128 v[90:93], v2 offset:512
	s_wait_loadcnt_dscnt 0x901
	v_mul_f64_e32 v[108:109], v[8:9], v[60:61]
	v_mul_f64_e32 v[60:61], v[10:11], v[60:61]
	v_fmac_f64_e32 v[106:107], v[104:105], v[54:55]
	v_fma_f64 v[54:55], v[102:103], v[54:55], -v[56:57]
	s_wait_loadcnt_dscnt 0x800
	v_mul_f64_e32 v[102:103], v[90:91], v[64:65]
	v_mul_f64_e32 v[64:65], v[92:93], v[64:65]
	v_add_f64_e32 v[4:5], 0, v[4:5]
	v_add_f64_e32 v[12:13], 0, v[12:13]
	v_fmac_f64_e32 v[108:109], v[10:11], v[58:59]
	v_fma_f64 v[58:59], v[8:9], v[58:59], -v[60:61]
	v_fmac_f64_e32 v[102:103], v[92:93], v[62:63]
	v_fma_f64 v[62:63], v[90:91], v[62:63], -v[64:65]
	v_add_f64_e32 v[4:5], v[4:5], v[54:55]
	v_add_f64_e32 v[12:13], v[12:13], v[106:107]
	ds_load_b128 v[8:11], v2 offset:528
	ds_load_b128 v[54:57], v2 offset:544
	s_wait_loadcnt_dscnt 0x701
	v_mul_f64_e32 v[104:105], v[8:9], v[68:69]
	v_mul_f64_e32 v[60:61], v[10:11], v[68:69]
	s_wait_loadcnt_dscnt 0x600
	v_mul_f64_e32 v[64:65], v[54:55], v[72:73]
	v_mul_f64_e32 v[68:69], v[56:57], v[72:73]
	v_add_f64_e32 v[4:5], v[4:5], v[58:59]
	v_add_f64_e32 v[12:13], v[12:13], v[108:109]
	v_fmac_f64_e32 v[104:105], v[10:11], v[66:67]
	v_fma_f64 v[66:67], v[8:9], v[66:67], -v[60:61]
	ds_load_b128 v[8:11], v2 offset:560
	ds_load_b128 v[58:61], v2 offset:576
	v_fmac_f64_e32 v[64:65], v[56:57], v[70:71]
	v_fma_f64 v[54:55], v[54:55], v[70:71], -v[68:69]
	v_add_f64_e32 v[4:5], v[4:5], v[62:63]
	v_add_f64_e32 v[12:13], v[12:13], v[102:103]
	s_wait_loadcnt_dscnt 0x501
	v_mul_f64_e32 v[62:63], v[8:9], v[76:77]
	v_mul_f64_e32 v[72:73], v[10:11], v[76:77]
	s_wait_loadcnt_dscnt 0x400
	v_mul_f64_e32 v[68:69], v[60:61], v[80:81]
	v_add_f64_e32 v[4:5], v[4:5], v[66:67]
	v_add_f64_e32 v[12:13], v[12:13], v[104:105]
	v_mul_f64_e32 v[66:67], v[58:59], v[80:81]
	v_fmac_f64_e32 v[62:63], v[10:11], v[74:75]
	v_fma_f64 v[70:71], v[8:9], v[74:75], -v[72:73]
	v_fma_f64 v[58:59], v[58:59], v[78:79], -v[68:69]
	v_add_f64_e32 v[4:5], v[4:5], v[54:55]
	v_add_f64_e32 v[12:13], v[12:13], v[64:65]
	ds_load_b128 v[8:11], v2 offset:592
	ds_load_b128 v[54:57], v2 offset:608
	v_fmac_f64_e32 v[66:67], v[60:61], v[78:79]
	s_wait_loadcnt_dscnt 0x301
	v_mul_f64_e32 v[64:65], v[8:9], v[84:85]
	v_mul_f64_e32 v[72:73], v[10:11], v[84:85]
	s_wait_loadcnt_dscnt 0x200
	v_mul_f64_e32 v[60:61], v[54:55], v[88:89]
	v_add_f64_e32 v[4:5], v[4:5], v[70:71]
	v_add_f64_e32 v[12:13], v[12:13], v[62:63]
	v_mul_f64_e32 v[62:63], v[56:57], v[88:89]
	v_fmac_f64_e32 v[64:65], v[10:11], v[82:83]
	v_fma_f64 v[68:69], v[8:9], v[82:83], -v[72:73]
	ds_load_b128 v[8:11], v2 offset:624
	v_fmac_f64_e32 v[60:61], v[56:57], v[86:87]
	v_add_f64_e32 v[4:5], v[4:5], v[58:59]
	v_add_f64_e32 v[12:13], v[12:13], v[66:67]
	v_fma_f64 v[54:55], v[54:55], v[86:87], -v[62:63]
	s_wait_loadcnt_dscnt 0x100
	v_mul_f64_e32 v[58:59], v[8:9], v[96:97]
	v_mul_f64_e32 v[66:67], v[10:11], v[96:97]
	v_add_f64_e32 v[4:5], v[4:5], v[68:69]
	v_add_f64_e32 v[12:13], v[12:13], v[64:65]
	s_delay_alu instid0(VALU_DEP_4) | instskip(NEXT) | instid1(VALU_DEP_4)
	v_fmac_f64_e32 v[58:59], v[10:11], v[94:95]
	v_fma_f64 v[8:9], v[8:9], v[94:95], -v[66:67]
	s_delay_alu instid0(VALU_DEP_4) | instskip(NEXT) | instid1(VALU_DEP_4)
	v_add_f64_e32 v[4:5], v[4:5], v[54:55]
	v_add_f64_e32 v[10:11], v[12:13], v[60:61]
	s_delay_alu instid0(VALU_DEP_2) | instskip(NEXT) | instid1(VALU_DEP_2)
	v_add_f64_e32 v[4:5], v[4:5], v[8:9]
	v_add_f64_e32 v[10:11], v[10:11], v[58:59]
	s_wait_loadcnt 0x0
	s_delay_alu instid0(VALU_DEP_2) | instskip(NEXT) | instid1(VALU_DEP_2)
	v_add_f64_e64 v[8:9], v[98:99], -v[4:5]
	v_add_f64_e64 v[10:11], v[100:101], -v[10:11]
	scratch_store_b128 off, v[8:11], off offset:128
	s_wait_xcnt 0x0
	v_cmpx_lt_u32_e32 7, v1
	s_cbranch_execz .LBB19_119
; %bb.118:
	scratch_load_b128 v[8:11], off, s22
	v_dual_mov_b32 v3, v2 :: v_dual_mov_b32 v4, v2
	v_mov_b32_e32 v5, v2
	scratch_store_b128 off, v[2:5], off offset:112
	s_wait_loadcnt 0x0
	ds_store_b128 v6, v[8:11]
.LBB19_119:
	s_wait_xcnt 0x0
	s_or_b32 exec_lo, exec_lo, s2
	s_wait_storecnt_dscnt 0x0
	s_barrier_signal -1
	s_barrier_wait -1
	s_clause 0x9
	scratch_load_b128 v[8:11], off, off offset:128
	scratch_load_b128 v[54:57], off, off offset:144
	;; [unrolled: 1-line block ×10, first 2 shown]
	ds_load_b128 v[90:93], v2 offset:448
	ds_load_b128 v[98:101], v2 offset:464
	s_clause 0x1
	scratch_load_b128 v[94:97], off, off offset:288
	scratch_load_b128 v[102:105], off, off offset:112
	s_mov_b32 s2, exec_lo
	s_wait_loadcnt_dscnt 0xb01
	v_mul_f64_e32 v[4:5], v[92:93], v[10:11]
	v_mul_f64_e32 v[110:111], v[90:91], v[10:11]
	scratch_load_b128 v[10:13], off, off offset:304
	s_wait_loadcnt_dscnt 0xb00
	v_mul_f64_e32 v[112:113], v[98:99], v[56:57]
	v_mul_f64_e32 v[56:57], v[100:101], v[56:57]
	v_fma_f64 v[4:5], v[90:91], v[8:9], -v[4:5]
	v_fmac_f64_e32 v[110:111], v[92:93], v[8:9]
	ds_load_b128 v[90:93], v2 offset:480
	ds_load_b128 v[106:109], v2 offset:496
	v_fmac_f64_e32 v[112:113], v[100:101], v[54:55]
	v_fma_f64 v[54:55], v[98:99], v[54:55], -v[56:57]
	s_wait_loadcnt_dscnt 0xa01
	v_mul_f64_e32 v[8:9], v[90:91], v[60:61]
	v_mul_f64_e32 v[60:61], v[92:93], v[60:61]
	s_wait_loadcnt_dscnt 0x900
	v_mul_f64_e32 v[98:99], v[106:107], v[64:65]
	v_mul_f64_e32 v[64:65], v[108:109], v[64:65]
	v_add_f64_e32 v[4:5], 0, v[4:5]
	v_add_f64_e32 v[56:57], 0, v[110:111]
	v_fmac_f64_e32 v[8:9], v[92:93], v[58:59]
	v_fma_f64 v[90:91], v[90:91], v[58:59], -v[60:61]
	v_fmac_f64_e32 v[98:99], v[108:109], v[62:63]
	v_fma_f64 v[62:63], v[106:107], v[62:63], -v[64:65]
	v_add_f64_e32 v[4:5], v[4:5], v[54:55]
	v_add_f64_e32 v[92:93], v[56:57], v[112:113]
	ds_load_b128 v[54:57], v2 offset:512
	ds_load_b128 v[58:61], v2 offset:528
	s_wait_loadcnt_dscnt 0x801
	v_mul_f64_e32 v[100:101], v[54:55], v[68:69]
	v_mul_f64_e32 v[68:69], v[56:57], v[68:69]
	v_add_f64_e32 v[4:5], v[4:5], v[90:91]
	v_add_f64_e32 v[8:9], v[92:93], v[8:9]
	s_wait_loadcnt_dscnt 0x700
	v_mul_f64_e32 v[90:91], v[58:59], v[72:73]
	v_mul_f64_e32 v[72:73], v[60:61], v[72:73]
	v_fmac_f64_e32 v[100:101], v[56:57], v[66:67]
	v_fma_f64 v[66:67], v[54:55], v[66:67], -v[68:69]
	v_add_f64_e32 v[4:5], v[4:5], v[62:63]
	v_add_f64_e32 v[8:9], v[8:9], v[98:99]
	ds_load_b128 v[54:57], v2 offset:544
	ds_load_b128 v[62:65], v2 offset:560
	v_fmac_f64_e32 v[90:91], v[60:61], v[70:71]
	v_fma_f64 v[58:59], v[58:59], v[70:71], -v[72:73]
	s_wait_loadcnt_dscnt 0x601
	v_mul_f64_e32 v[68:69], v[54:55], v[76:77]
	v_mul_f64_e32 v[76:77], v[56:57], v[76:77]
	s_wait_loadcnt_dscnt 0x500
	v_mul_f64_e32 v[70:71], v[64:65], v[80:81]
	v_add_f64_e32 v[4:5], v[4:5], v[66:67]
	v_add_f64_e32 v[8:9], v[8:9], v[100:101]
	v_mul_f64_e32 v[66:67], v[62:63], v[80:81]
	v_fmac_f64_e32 v[68:69], v[56:57], v[74:75]
	v_fma_f64 v[72:73], v[54:55], v[74:75], -v[76:77]
	v_fma_f64 v[62:63], v[62:63], v[78:79], -v[70:71]
	v_add_f64_e32 v[4:5], v[4:5], v[58:59]
	v_add_f64_e32 v[8:9], v[8:9], v[90:91]
	ds_load_b128 v[54:57], v2 offset:576
	ds_load_b128 v[58:61], v2 offset:592
	v_fmac_f64_e32 v[66:67], v[64:65], v[78:79]
	s_wait_loadcnt_dscnt 0x401
	v_mul_f64_e32 v[74:75], v[54:55], v[84:85]
	v_mul_f64_e32 v[76:77], v[56:57], v[84:85]
	s_wait_loadcnt_dscnt 0x300
	v_mul_f64_e32 v[64:65], v[58:59], v[88:89]
	v_add_f64_e32 v[4:5], v[4:5], v[72:73]
	v_add_f64_e32 v[8:9], v[8:9], v[68:69]
	v_mul_f64_e32 v[68:69], v[60:61], v[88:89]
	v_fmac_f64_e32 v[74:75], v[56:57], v[82:83]
	v_fma_f64 v[70:71], v[54:55], v[82:83], -v[76:77]
	v_fmac_f64_e32 v[64:65], v[60:61], v[86:87]
	v_add_f64_e32 v[62:63], v[4:5], v[62:63]
	v_add_f64_e32 v[8:9], v[8:9], v[66:67]
	ds_load_b128 v[54:57], v2 offset:608
	ds_load_b128 v[2:5], v2 offset:624
	v_fma_f64 v[58:59], v[58:59], v[86:87], -v[68:69]
	s_wait_loadcnt_dscnt 0x201
	v_mul_f64_e32 v[66:67], v[54:55], v[96:97]
	v_mul_f64_e32 v[72:73], v[56:57], v[96:97]
	v_add_f64_e32 v[60:61], v[62:63], v[70:71]
	v_add_f64_e32 v[8:9], v[8:9], v[74:75]
	s_wait_loadcnt_dscnt 0x0
	v_mul_f64_e32 v[62:63], v[2:3], v[12:13]
	v_mul_f64_e32 v[12:13], v[4:5], v[12:13]
	v_fmac_f64_e32 v[66:67], v[56:57], v[94:95]
	v_fma_f64 v[54:55], v[54:55], v[94:95], -v[72:73]
	v_add_f64_e32 v[56:57], v[60:61], v[58:59]
	v_add_f64_e32 v[8:9], v[8:9], v[64:65]
	v_fmac_f64_e32 v[62:63], v[4:5], v[10:11]
	v_fma_f64 v[2:3], v[2:3], v[10:11], -v[12:13]
	s_delay_alu instid0(VALU_DEP_4) | instskip(NEXT) | instid1(VALU_DEP_4)
	v_add_f64_e32 v[4:5], v[56:57], v[54:55]
	v_add_f64_e32 v[8:9], v[8:9], v[66:67]
	s_delay_alu instid0(VALU_DEP_2) | instskip(NEXT) | instid1(VALU_DEP_2)
	v_add_f64_e32 v[2:3], v[4:5], v[2:3]
	v_add_f64_e32 v[4:5], v[8:9], v[62:63]
	s_delay_alu instid0(VALU_DEP_2) | instskip(NEXT) | instid1(VALU_DEP_2)
	v_add_f64_e64 v[2:3], v[102:103], -v[2:3]
	v_add_f64_e64 v[4:5], v[104:105], -v[4:5]
	scratch_store_b128 off, v[2:5], off offset:112
	s_wait_xcnt 0x0
	v_cmpx_lt_u32_e32 6, v1
	s_cbranch_execz .LBB19_121
; %bb.120:
	scratch_load_b128 v[2:5], off, s20
	v_mov_b32_e32 v8, 0
	s_delay_alu instid0(VALU_DEP_1)
	v_dual_mov_b32 v9, v8 :: v_dual_mov_b32 v10, v8
	v_mov_b32_e32 v11, v8
	scratch_store_b128 off, v[8:11], off offset:96
	s_wait_loadcnt 0x0
	ds_store_b128 v6, v[2:5]
.LBB19_121:
	s_wait_xcnt 0x0
	s_or_b32 exec_lo, exec_lo, s2
	s_wait_storecnt_dscnt 0x0
	s_barrier_signal -1
	s_barrier_wait -1
	s_clause 0x9
	scratch_load_b128 v[8:11], off, off offset:112
	scratch_load_b128 v[54:57], off, off offset:128
	;; [unrolled: 1-line block ×10, first 2 shown]
	v_mov_b32_e32 v2, 0
	s_mov_b32 s2, exec_lo
	ds_load_b128 v[90:93], v2 offset:432
	s_clause 0x2
	scratch_load_b128 v[94:97], off, off offset:272
	scratch_load_b128 v[98:101], off, off offset:96
	;; [unrolled: 1-line block ×3, first 2 shown]
	s_wait_loadcnt_dscnt 0xc00
	v_mul_f64_e32 v[4:5], v[92:93], v[10:11]
	v_mul_f64_e32 v[114:115], v[90:91], v[10:11]
	ds_load_b128 v[102:105], v2 offset:448
	scratch_load_b128 v[10:13], off, off offset:288
	ds_load_b128 v[110:113], v2 offset:480
	v_fma_f64 v[4:5], v[90:91], v[8:9], -v[4:5]
	v_fmac_f64_e32 v[114:115], v[92:93], v[8:9]
	ds_load_b128 v[90:93], v2 offset:464
	s_wait_loadcnt_dscnt 0xc02
	v_mul_f64_e32 v[116:117], v[102:103], v[56:57]
	v_mul_f64_e32 v[56:57], v[104:105], v[56:57]
	s_wait_loadcnt_dscnt 0xb00
	v_mul_f64_e32 v[8:9], v[90:91], v[60:61]
	v_mul_f64_e32 v[60:61], v[92:93], v[60:61]
	v_add_f64_e32 v[4:5], 0, v[4:5]
	v_fmac_f64_e32 v[116:117], v[104:105], v[54:55]
	v_fma_f64 v[54:55], v[102:103], v[54:55], -v[56:57]
	v_add_f64_e32 v[56:57], 0, v[114:115]
	s_wait_loadcnt 0xa
	v_mul_f64_e32 v[102:103], v[110:111], v[64:65]
	v_mul_f64_e32 v[64:65], v[112:113], v[64:65]
	v_fmac_f64_e32 v[8:9], v[92:93], v[58:59]
	v_fma_f64 v[90:91], v[90:91], v[58:59], -v[60:61]
	v_add_f64_e32 v[4:5], v[4:5], v[54:55]
	v_add_f64_e32 v[92:93], v[56:57], v[116:117]
	ds_load_b128 v[54:57], v2 offset:496
	ds_load_b128 v[58:61], v2 offset:512
	v_fmac_f64_e32 v[102:103], v[112:113], v[62:63]
	v_fma_f64 v[62:63], v[110:111], v[62:63], -v[64:65]
	s_wait_loadcnt_dscnt 0x901
	v_mul_f64_e32 v[104:105], v[54:55], v[68:69]
	v_mul_f64_e32 v[68:69], v[56:57], v[68:69]
	v_add_f64_e32 v[4:5], v[4:5], v[90:91]
	v_add_f64_e32 v[8:9], v[92:93], v[8:9]
	s_wait_loadcnt_dscnt 0x800
	v_mul_f64_e32 v[90:91], v[58:59], v[72:73]
	v_mul_f64_e32 v[72:73], v[60:61], v[72:73]
	v_fmac_f64_e32 v[104:105], v[56:57], v[66:67]
	v_fma_f64 v[66:67], v[54:55], v[66:67], -v[68:69]
	v_add_f64_e32 v[4:5], v[4:5], v[62:63]
	v_add_f64_e32 v[8:9], v[8:9], v[102:103]
	ds_load_b128 v[54:57], v2 offset:528
	ds_load_b128 v[62:65], v2 offset:544
	v_fmac_f64_e32 v[90:91], v[60:61], v[70:71]
	v_fma_f64 v[58:59], v[58:59], v[70:71], -v[72:73]
	s_wait_loadcnt_dscnt 0x701
	v_mul_f64_e32 v[68:69], v[54:55], v[76:77]
	v_mul_f64_e32 v[76:77], v[56:57], v[76:77]
	s_wait_loadcnt_dscnt 0x600
	v_mul_f64_e32 v[70:71], v[64:65], v[80:81]
	v_add_f64_e32 v[4:5], v[4:5], v[66:67]
	v_add_f64_e32 v[8:9], v[8:9], v[104:105]
	v_mul_f64_e32 v[66:67], v[62:63], v[80:81]
	v_fmac_f64_e32 v[68:69], v[56:57], v[74:75]
	v_fma_f64 v[72:73], v[54:55], v[74:75], -v[76:77]
	v_fma_f64 v[62:63], v[62:63], v[78:79], -v[70:71]
	v_add_f64_e32 v[4:5], v[4:5], v[58:59]
	v_add_f64_e32 v[8:9], v[8:9], v[90:91]
	ds_load_b128 v[54:57], v2 offset:560
	ds_load_b128 v[58:61], v2 offset:576
	v_fmac_f64_e32 v[66:67], v[64:65], v[78:79]
	s_wait_loadcnt_dscnt 0x501
	v_mul_f64_e32 v[74:75], v[54:55], v[84:85]
	v_mul_f64_e32 v[76:77], v[56:57], v[84:85]
	s_wait_loadcnt_dscnt 0x400
	v_mul_f64_e32 v[70:71], v[60:61], v[88:89]
	v_add_f64_e32 v[4:5], v[4:5], v[72:73]
	v_add_f64_e32 v[8:9], v[8:9], v[68:69]
	v_mul_f64_e32 v[68:69], v[58:59], v[88:89]
	v_fmac_f64_e32 v[74:75], v[56:57], v[82:83]
	v_fma_f64 v[72:73], v[54:55], v[82:83], -v[76:77]
	v_fma_f64 v[58:59], v[58:59], v[86:87], -v[70:71]
	v_add_f64_e32 v[4:5], v[4:5], v[62:63]
	v_add_f64_e32 v[8:9], v[8:9], v[66:67]
	ds_load_b128 v[54:57], v2 offset:592
	ds_load_b128 v[62:65], v2 offset:608
	v_fmac_f64_e32 v[68:69], v[60:61], v[86:87]
	s_wait_loadcnt_dscnt 0x301
	v_mul_f64_e32 v[66:67], v[54:55], v[96:97]
	v_mul_f64_e32 v[76:77], v[56:57], v[96:97]
	s_wait_loadcnt_dscnt 0x0
	v_mul_f64_e32 v[60:61], v[62:63], v[12:13]
	v_add_f64_e32 v[4:5], v[4:5], v[72:73]
	v_add_f64_e32 v[8:9], v[8:9], v[74:75]
	v_mul_f64_e32 v[12:13], v[64:65], v[12:13]
	v_fmac_f64_e32 v[66:67], v[56:57], v[94:95]
	v_fma_f64 v[70:71], v[54:55], v[94:95], -v[76:77]
	ds_load_b128 v[54:57], v2 offset:624
	v_fmac_f64_e32 v[60:61], v[64:65], v[10:11]
	v_add_f64_e32 v[4:5], v[4:5], v[58:59]
	v_add_f64_e32 v[8:9], v[8:9], v[68:69]
	v_fma_f64 v[10:11], v[62:63], v[10:11], -v[12:13]
	s_wait_dscnt 0x0
	v_mul_f64_e32 v[58:59], v[54:55], v[108:109]
	v_mul_f64_e32 v[68:69], v[56:57], v[108:109]
	v_add_f64_e32 v[4:5], v[4:5], v[70:71]
	v_add_f64_e32 v[8:9], v[8:9], v[66:67]
	s_delay_alu instid0(VALU_DEP_4) | instskip(NEXT) | instid1(VALU_DEP_4)
	v_fmac_f64_e32 v[58:59], v[56:57], v[106:107]
	v_fma_f64 v[12:13], v[54:55], v[106:107], -v[68:69]
	s_delay_alu instid0(VALU_DEP_4) | instskip(NEXT) | instid1(VALU_DEP_4)
	v_add_f64_e32 v[4:5], v[4:5], v[10:11]
	v_add_f64_e32 v[8:9], v[8:9], v[60:61]
	s_delay_alu instid0(VALU_DEP_2) | instskip(NEXT) | instid1(VALU_DEP_2)
	v_add_f64_e32 v[4:5], v[4:5], v[12:13]
	v_add_f64_e32 v[10:11], v[8:9], v[58:59]
	s_delay_alu instid0(VALU_DEP_2) | instskip(NEXT) | instid1(VALU_DEP_2)
	v_add_f64_e64 v[8:9], v[98:99], -v[4:5]
	v_add_f64_e64 v[10:11], v[100:101], -v[10:11]
	scratch_store_b128 off, v[8:11], off offset:96
	s_wait_xcnt 0x0
	v_cmpx_lt_u32_e32 5, v1
	s_cbranch_execz .LBB19_123
; %bb.122:
	scratch_load_b128 v[8:11], off, s14
	v_dual_mov_b32 v3, v2 :: v_dual_mov_b32 v4, v2
	v_mov_b32_e32 v5, v2
	scratch_store_b128 off, v[2:5], off offset:80
	s_wait_loadcnt 0x0
	ds_store_b128 v6, v[8:11]
.LBB19_123:
	s_wait_xcnt 0x0
	s_or_b32 exec_lo, exec_lo, s2
	s_wait_storecnt_dscnt 0x0
	s_barrier_signal -1
	s_barrier_wait -1
	s_clause 0x9
	scratch_load_b128 v[8:11], off, off offset:96
	scratch_load_b128 v[54:57], off, off offset:112
	;; [unrolled: 1-line block ×10, first 2 shown]
	ds_load_b128 v[90:93], v2 offset:416
	ds_load_b128 v[98:101], v2 offset:432
	s_clause 0x1
	scratch_load_b128 v[94:97], off, off offset:256
	scratch_load_b128 v[102:105], off, off offset:80
	s_mov_b32 s2, exec_lo
	s_wait_loadcnt_dscnt 0xb01
	v_mul_f64_e32 v[4:5], v[92:93], v[10:11]
	v_mul_f64_e32 v[114:115], v[90:91], v[10:11]
	scratch_load_b128 v[10:13], off, off offset:272
	s_wait_loadcnt_dscnt 0xb00
	v_mul_f64_e32 v[116:117], v[98:99], v[56:57]
	v_mul_f64_e32 v[56:57], v[100:101], v[56:57]
	v_fma_f64 v[4:5], v[90:91], v[8:9], -v[4:5]
	v_fmac_f64_e32 v[114:115], v[92:93], v[8:9]
	ds_load_b128 v[90:93], v2 offset:448
	ds_load_b128 v[106:109], v2 offset:464
	scratch_load_b128 v[110:113], off, off offset:288
	v_fmac_f64_e32 v[116:117], v[100:101], v[54:55]
	v_fma_f64 v[98:99], v[98:99], v[54:55], -v[56:57]
	scratch_load_b128 v[54:57], off, off offset:304
	s_wait_loadcnt_dscnt 0xc01
	v_mul_f64_e32 v[8:9], v[90:91], v[60:61]
	v_mul_f64_e32 v[60:61], v[92:93], v[60:61]
	v_add_f64_e32 v[4:5], 0, v[4:5]
	v_add_f64_e32 v[100:101], 0, v[114:115]
	s_wait_loadcnt_dscnt 0xb00
	v_mul_f64_e32 v[114:115], v[106:107], v[64:65]
	v_mul_f64_e32 v[64:65], v[108:109], v[64:65]
	v_fmac_f64_e32 v[8:9], v[92:93], v[58:59]
	v_fma_f64 v[118:119], v[90:91], v[58:59], -v[60:61]
	ds_load_b128 v[58:61], v2 offset:480
	ds_load_b128 v[90:93], v2 offset:496
	v_add_f64_e32 v[4:5], v[4:5], v[98:99]
	v_add_f64_e32 v[98:99], v[100:101], v[116:117]
	v_fmac_f64_e32 v[114:115], v[108:109], v[62:63]
	v_fma_f64 v[62:63], v[106:107], v[62:63], -v[64:65]
	s_wait_loadcnt_dscnt 0xa01
	v_mul_f64_e32 v[100:101], v[58:59], v[68:69]
	v_mul_f64_e32 v[68:69], v[60:61], v[68:69]
	v_add_f64_e32 v[4:5], v[4:5], v[118:119]
	v_add_f64_e32 v[8:9], v[98:99], v[8:9]
	s_wait_loadcnt_dscnt 0x900
	v_mul_f64_e32 v[98:99], v[90:91], v[72:73]
	v_mul_f64_e32 v[72:73], v[92:93], v[72:73]
	v_fmac_f64_e32 v[100:101], v[60:61], v[66:67]
	v_fma_f64 v[66:67], v[58:59], v[66:67], -v[68:69]
	v_add_f64_e32 v[4:5], v[4:5], v[62:63]
	v_add_f64_e32 v[8:9], v[8:9], v[114:115]
	ds_load_b128 v[58:61], v2 offset:512
	ds_load_b128 v[62:65], v2 offset:528
	v_fmac_f64_e32 v[98:99], v[92:93], v[70:71]
	v_fma_f64 v[70:71], v[90:91], v[70:71], -v[72:73]
	s_wait_loadcnt_dscnt 0x801
	v_mul_f64_e32 v[106:107], v[58:59], v[76:77]
	v_mul_f64_e32 v[68:69], v[60:61], v[76:77]
	s_wait_loadcnt_dscnt 0x700
	v_mul_f64_e32 v[72:73], v[62:63], v[80:81]
	v_mul_f64_e32 v[76:77], v[64:65], v[80:81]
	v_add_f64_e32 v[4:5], v[4:5], v[66:67]
	v_add_f64_e32 v[8:9], v[8:9], v[100:101]
	v_fmac_f64_e32 v[106:107], v[60:61], v[74:75]
	v_fma_f64 v[74:75], v[58:59], v[74:75], -v[68:69]
	ds_load_b128 v[58:61], v2 offset:544
	ds_load_b128 v[66:69], v2 offset:560
	v_fmac_f64_e32 v[72:73], v[64:65], v[78:79]
	v_fma_f64 v[62:63], v[62:63], v[78:79], -v[76:77]
	v_add_f64_e32 v[4:5], v[4:5], v[70:71]
	v_add_f64_e32 v[8:9], v[8:9], v[98:99]
	s_wait_loadcnt_dscnt 0x601
	v_mul_f64_e32 v[70:71], v[58:59], v[84:85]
	v_mul_f64_e32 v[80:81], v[60:61], v[84:85]
	s_wait_loadcnt_dscnt 0x500
	v_mul_f64_e32 v[76:77], v[68:69], v[88:89]
	v_add_f64_e32 v[4:5], v[4:5], v[74:75]
	v_add_f64_e32 v[8:9], v[8:9], v[106:107]
	v_mul_f64_e32 v[74:75], v[66:67], v[88:89]
	v_fmac_f64_e32 v[70:71], v[60:61], v[82:83]
	v_fma_f64 v[78:79], v[58:59], v[82:83], -v[80:81]
	v_fma_f64 v[66:67], v[66:67], v[86:87], -v[76:77]
	v_add_f64_e32 v[4:5], v[4:5], v[62:63]
	v_add_f64_e32 v[8:9], v[8:9], v[72:73]
	ds_load_b128 v[58:61], v2 offset:576
	ds_load_b128 v[62:65], v2 offset:592
	v_fmac_f64_e32 v[74:75], v[68:69], v[86:87]
	s_wait_loadcnt_dscnt 0x401
	v_mul_f64_e32 v[72:73], v[58:59], v[96:97]
	v_mul_f64_e32 v[80:81], v[60:61], v[96:97]
	v_add_f64_e32 v[4:5], v[4:5], v[78:79]
	v_add_f64_e32 v[8:9], v[8:9], v[70:71]
	s_wait_loadcnt_dscnt 0x200
	v_mul_f64_e32 v[68:69], v[62:63], v[12:13]
	v_mul_f64_e32 v[12:13], v[64:65], v[12:13]
	v_fmac_f64_e32 v[72:73], v[60:61], v[94:95]
	v_fma_f64 v[70:71], v[58:59], v[94:95], -v[80:81]
	v_add_f64_e32 v[66:67], v[4:5], v[66:67]
	v_add_f64_e32 v[8:9], v[8:9], v[74:75]
	ds_load_b128 v[58:61], v2 offset:608
	ds_load_b128 v[2:5], v2 offset:624
	v_fmac_f64_e32 v[68:69], v[64:65], v[10:11]
	v_fma_f64 v[10:11], v[62:63], v[10:11], -v[12:13]
	s_wait_loadcnt_dscnt 0x101
	v_mul_f64_e32 v[74:75], v[58:59], v[112:113]
	v_mul_f64_e32 v[76:77], v[60:61], v[112:113]
	s_wait_loadcnt_dscnt 0x0
	v_mul_f64_e32 v[62:63], v[2:3], v[56:57]
	v_mul_f64_e32 v[56:57], v[4:5], v[56:57]
	v_add_f64_e32 v[12:13], v[66:67], v[70:71]
	v_add_f64_e32 v[8:9], v[8:9], v[72:73]
	v_fmac_f64_e32 v[74:75], v[60:61], v[110:111]
	v_fma_f64 v[58:59], v[58:59], v[110:111], -v[76:77]
	v_fmac_f64_e32 v[62:63], v[4:5], v[54:55]
	v_fma_f64 v[2:3], v[2:3], v[54:55], -v[56:57]
	v_add_f64_e32 v[10:11], v[12:13], v[10:11]
	v_add_f64_e32 v[8:9], v[8:9], v[68:69]
	s_delay_alu instid0(VALU_DEP_2) | instskip(NEXT) | instid1(VALU_DEP_2)
	v_add_f64_e32 v[4:5], v[10:11], v[58:59]
	v_add_f64_e32 v[8:9], v[8:9], v[74:75]
	s_delay_alu instid0(VALU_DEP_2) | instskip(NEXT) | instid1(VALU_DEP_2)
	v_add_f64_e32 v[2:3], v[4:5], v[2:3]
	v_add_f64_e32 v[4:5], v[8:9], v[62:63]
	s_delay_alu instid0(VALU_DEP_2) | instskip(NEXT) | instid1(VALU_DEP_2)
	v_add_f64_e64 v[2:3], v[102:103], -v[2:3]
	v_add_f64_e64 v[4:5], v[104:105], -v[4:5]
	scratch_store_b128 off, v[2:5], off offset:80
	s_wait_xcnt 0x0
	v_cmpx_lt_u32_e32 4, v1
	s_cbranch_execz .LBB19_125
; %bb.124:
	scratch_load_b128 v[2:5], off, s10
	v_mov_b32_e32 v8, 0
	s_delay_alu instid0(VALU_DEP_1)
	v_dual_mov_b32 v9, v8 :: v_dual_mov_b32 v10, v8
	v_mov_b32_e32 v11, v8
	scratch_store_b128 off, v[8:11], off offset:64
	s_wait_loadcnt 0x0
	ds_store_b128 v6, v[2:5]
.LBB19_125:
	s_wait_xcnt 0x0
	s_or_b32 exec_lo, exec_lo, s2
	s_wait_storecnt_dscnt 0x0
	s_barrier_signal -1
	s_barrier_wait -1
	s_clause 0x9
	scratch_load_b128 v[8:11], off, off offset:80
	scratch_load_b128 v[54:57], off, off offset:96
	;; [unrolled: 1-line block ×10, first 2 shown]
	v_mov_b32_e32 v2, 0
	s_mov_b32 s2, exec_lo
	ds_load_b128 v[90:93], v2 offset:400
	s_clause 0x2
	scratch_load_b128 v[94:97], off, off offset:240
	scratch_load_b128 v[98:101], off, off offset:64
	;; [unrolled: 1-line block ×3, first 2 shown]
	s_wait_loadcnt_dscnt 0xc00
	v_mul_f64_e32 v[4:5], v[92:93], v[10:11]
	v_mul_f64_e32 v[114:115], v[90:91], v[10:11]
	ds_load_b128 v[102:105], v2 offset:416
	scratch_load_b128 v[10:13], off, off offset:256
	ds_load_b128 v[110:113], v2 offset:448
	v_fma_f64 v[4:5], v[90:91], v[8:9], -v[4:5]
	v_fmac_f64_e32 v[114:115], v[92:93], v[8:9]
	ds_load_b128 v[90:93], v2 offset:432
	s_wait_loadcnt_dscnt 0xc02
	v_mul_f64_e32 v[116:117], v[102:103], v[56:57]
	v_mul_f64_e32 v[56:57], v[104:105], v[56:57]
	s_wait_loadcnt_dscnt 0xb00
	v_mul_f64_e32 v[8:9], v[90:91], v[60:61]
	v_mul_f64_e32 v[60:61], v[92:93], v[60:61]
	v_add_f64_e32 v[4:5], 0, v[4:5]
	v_fmac_f64_e32 v[116:117], v[104:105], v[54:55]
	v_fma_f64 v[102:103], v[102:103], v[54:55], -v[56:57]
	v_add_f64_e32 v[104:105], 0, v[114:115]
	scratch_load_b128 v[54:57], off, off offset:288
	v_fmac_f64_e32 v[8:9], v[92:93], v[58:59]
	v_fma_f64 v[118:119], v[90:91], v[58:59], -v[60:61]
	ds_load_b128 v[58:61], v2 offset:464
	s_wait_loadcnt 0xb
	v_mul_f64_e32 v[114:115], v[110:111], v[64:65]
	v_mul_f64_e32 v[64:65], v[112:113], v[64:65]
	scratch_load_b128 v[90:93], off, off offset:304
	v_add_f64_e32 v[4:5], v[4:5], v[102:103]
	v_add_f64_e32 v[116:117], v[104:105], v[116:117]
	ds_load_b128 v[102:105], v2 offset:480
	s_wait_loadcnt_dscnt 0xb01
	v_mul_f64_e32 v[120:121], v[58:59], v[68:69]
	v_mul_f64_e32 v[68:69], v[60:61], v[68:69]
	v_fmac_f64_e32 v[114:115], v[112:113], v[62:63]
	v_fma_f64 v[62:63], v[110:111], v[62:63], -v[64:65]
	s_wait_loadcnt_dscnt 0xa00
	v_mul_f64_e32 v[110:111], v[102:103], v[72:73]
	v_mul_f64_e32 v[72:73], v[104:105], v[72:73]
	v_add_f64_e32 v[4:5], v[4:5], v[118:119]
	v_add_f64_e32 v[8:9], v[116:117], v[8:9]
	v_fmac_f64_e32 v[120:121], v[60:61], v[66:67]
	v_fma_f64 v[66:67], v[58:59], v[66:67], -v[68:69]
	v_fmac_f64_e32 v[110:111], v[104:105], v[70:71]
	v_fma_f64 v[70:71], v[102:103], v[70:71], -v[72:73]
	v_add_f64_e32 v[4:5], v[4:5], v[62:63]
	v_add_f64_e32 v[8:9], v[8:9], v[114:115]
	ds_load_b128 v[58:61], v2 offset:496
	ds_load_b128 v[62:65], v2 offset:512
	s_wait_loadcnt_dscnt 0x901
	v_mul_f64_e32 v[112:113], v[58:59], v[76:77]
	v_mul_f64_e32 v[68:69], v[60:61], v[76:77]
	s_wait_loadcnt_dscnt 0x800
	v_mul_f64_e32 v[72:73], v[62:63], v[80:81]
	v_mul_f64_e32 v[76:77], v[64:65], v[80:81]
	v_add_f64_e32 v[4:5], v[4:5], v[66:67]
	v_add_f64_e32 v[8:9], v[8:9], v[120:121]
	v_fmac_f64_e32 v[112:113], v[60:61], v[74:75]
	v_fma_f64 v[74:75], v[58:59], v[74:75], -v[68:69]
	ds_load_b128 v[58:61], v2 offset:528
	ds_load_b128 v[66:69], v2 offset:544
	v_fmac_f64_e32 v[72:73], v[64:65], v[78:79]
	v_fma_f64 v[62:63], v[62:63], v[78:79], -v[76:77]
	v_add_f64_e32 v[4:5], v[4:5], v[70:71]
	v_add_f64_e32 v[8:9], v[8:9], v[110:111]
	s_wait_loadcnt_dscnt 0x701
	v_mul_f64_e32 v[70:71], v[58:59], v[84:85]
	v_mul_f64_e32 v[80:81], v[60:61], v[84:85]
	s_wait_loadcnt_dscnt 0x600
	v_mul_f64_e32 v[76:77], v[68:69], v[88:89]
	v_add_f64_e32 v[4:5], v[4:5], v[74:75]
	v_add_f64_e32 v[8:9], v[8:9], v[112:113]
	v_mul_f64_e32 v[74:75], v[66:67], v[88:89]
	v_fmac_f64_e32 v[70:71], v[60:61], v[82:83]
	v_fma_f64 v[78:79], v[58:59], v[82:83], -v[80:81]
	v_fma_f64 v[66:67], v[66:67], v[86:87], -v[76:77]
	v_add_f64_e32 v[4:5], v[4:5], v[62:63]
	v_add_f64_e32 v[8:9], v[8:9], v[72:73]
	ds_load_b128 v[58:61], v2 offset:560
	ds_load_b128 v[62:65], v2 offset:576
	v_fmac_f64_e32 v[74:75], v[68:69], v[86:87]
	s_wait_loadcnt_dscnt 0x501
	v_mul_f64_e32 v[72:73], v[58:59], v[96:97]
	v_mul_f64_e32 v[80:81], v[60:61], v[96:97]
	v_add_f64_e32 v[4:5], v[4:5], v[78:79]
	v_add_f64_e32 v[8:9], v[8:9], v[70:71]
	s_wait_loadcnt_dscnt 0x200
	v_mul_f64_e32 v[70:71], v[62:63], v[12:13]
	v_mul_f64_e32 v[12:13], v[64:65], v[12:13]
	v_fmac_f64_e32 v[72:73], v[60:61], v[94:95]
	v_fma_f64 v[76:77], v[58:59], v[94:95], -v[80:81]
	v_add_f64_e32 v[4:5], v[4:5], v[66:67]
	v_add_f64_e32 v[8:9], v[8:9], v[74:75]
	ds_load_b128 v[58:61], v2 offset:592
	ds_load_b128 v[66:69], v2 offset:608
	v_fmac_f64_e32 v[70:71], v[64:65], v[10:11]
	v_fma_f64 v[10:11], v[62:63], v[10:11], -v[12:13]
	s_wait_dscnt 0x1
	v_mul_f64_e32 v[74:75], v[58:59], v[108:109]
	v_mul_f64_e32 v[78:79], v[60:61], v[108:109]
	v_add_f64_e32 v[4:5], v[4:5], v[76:77]
	v_add_f64_e32 v[8:9], v[8:9], v[72:73]
	s_wait_loadcnt_dscnt 0x100
	v_mul_f64_e32 v[12:13], v[66:67], v[56:57]
	v_mul_f64_e32 v[56:57], v[68:69], v[56:57]
	v_fmac_f64_e32 v[74:75], v[60:61], v[106:107]
	v_fma_f64 v[58:59], v[58:59], v[106:107], -v[78:79]
	v_add_f64_e32 v[4:5], v[4:5], v[10:11]
	v_add_f64_e32 v[60:61], v[8:9], v[70:71]
	ds_load_b128 v[8:11], v2 offset:624
	v_fmac_f64_e32 v[12:13], v[68:69], v[54:55]
	v_fma_f64 v[54:55], v[66:67], v[54:55], -v[56:57]
	s_wait_loadcnt_dscnt 0x0
	v_mul_f64_e32 v[62:63], v[8:9], v[92:93]
	v_mul_f64_e32 v[64:65], v[10:11], v[92:93]
	v_add_f64_e32 v[4:5], v[4:5], v[58:59]
	v_add_f64_e32 v[56:57], v[60:61], v[74:75]
	s_delay_alu instid0(VALU_DEP_4) | instskip(NEXT) | instid1(VALU_DEP_4)
	v_fmac_f64_e32 v[62:63], v[10:11], v[90:91]
	v_fma_f64 v[8:9], v[8:9], v[90:91], -v[64:65]
	s_delay_alu instid0(VALU_DEP_4) | instskip(NEXT) | instid1(VALU_DEP_4)
	v_add_f64_e32 v[4:5], v[4:5], v[54:55]
	v_add_f64_e32 v[10:11], v[56:57], v[12:13]
	s_delay_alu instid0(VALU_DEP_2) | instskip(NEXT) | instid1(VALU_DEP_2)
	v_add_f64_e32 v[4:5], v[4:5], v[8:9]
	v_add_f64_e32 v[10:11], v[10:11], v[62:63]
	s_delay_alu instid0(VALU_DEP_2) | instskip(NEXT) | instid1(VALU_DEP_2)
	v_add_f64_e64 v[8:9], v[98:99], -v[4:5]
	v_add_f64_e64 v[10:11], v[100:101], -v[10:11]
	scratch_store_b128 off, v[8:11], off offset:64
	s_wait_xcnt 0x0
	v_cmpx_lt_u32_e32 3, v1
	s_cbranch_execz .LBB19_127
; %bb.126:
	scratch_load_b128 v[8:11], off, s9
	v_dual_mov_b32 v3, v2 :: v_dual_mov_b32 v4, v2
	v_mov_b32_e32 v5, v2
	scratch_store_b128 off, v[2:5], off offset:48
	s_wait_loadcnt 0x0
	ds_store_b128 v6, v[8:11]
.LBB19_127:
	s_wait_xcnt 0x0
	s_or_b32 exec_lo, exec_lo, s2
	s_wait_storecnt_dscnt 0x0
	s_barrier_signal -1
	s_barrier_wait -1
	s_clause 0x9
	scratch_load_b128 v[8:11], off, off offset:64
	scratch_load_b128 v[54:57], off, off offset:80
	;; [unrolled: 1-line block ×10, first 2 shown]
	ds_load_b128 v[90:93], v2 offset:384
	ds_load_b128 v[98:101], v2 offset:400
	s_clause 0x1
	scratch_load_b128 v[94:97], off, off offset:224
	scratch_load_b128 v[102:105], off, off offset:48
	s_mov_b32 s2, exec_lo
	s_wait_loadcnt_dscnt 0xb01
	v_mul_f64_e32 v[4:5], v[92:93], v[10:11]
	v_mul_f64_e32 v[114:115], v[90:91], v[10:11]
	scratch_load_b128 v[10:13], off, off offset:240
	s_wait_loadcnt_dscnt 0xb00
	v_mul_f64_e32 v[116:117], v[98:99], v[56:57]
	v_mul_f64_e32 v[56:57], v[100:101], v[56:57]
	v_fma_f64 v[4:5], v[90:91], v[8:9], -v[4:5]
	v_fmac_f64_e32 v[114:115], v[92:93], v[8:9]
	ds_load_b128 v[90:93], v2 offset:416
	ds_load_b128 v[106:109], v2 offset:432
	scratch_load_b128 v[110:113], off, off offset:256
	v_fmac_f64_e32 v[116:117], v[100:101], v[54:55]
	v_fma_f64 v[98:99], v[98:99], v[54:55], -v[56:57]
	scratch_load_b128 v[54:57], off, off offset:272
	s_wait_loadcnt_dscnt 0xc01
	v_mul_f64_e32 v[8:9], v[90:91], v[60:61]
	v_mul_f64_e32 v[60:61], v[92:93], v[60:61]
	v_add_f64_e32 v[4:5], 0, v[4:5]
	v_add_f64_e32 v[100:101], 0, v[114:115]
	s_wait_loadcnt_dscnt 0xb00
	v_mul_f64_e32 v[114:115], v[106:107], v[64:65]
	v_mul_f64_e32 v[64:65], v[108:109], v[64:65]
	v_fmac_f64_e32 v[8:9], v[92:93], v[58:59]
	v_fma_f64 v[118:119], v[90:91], v[58:59], -v[60:61]
	ds_load_b128 v[58:61], v2 offset:448
	ds_load_b128 v[90:93], v2 offset:464
	v_add_f64_e32 v[4:5], v[4:5], v[98:99]
	v_add_f64_e32 v[116:117], v[100:101], v[116:117]
	scratch_load_b128 v[98:101], off, off offset:288
	v_fmac_f64_e32 v[114:115], v[108:109], v[62:63]
	v_fma_f64 v[106:107], v[106:107], v[62:63], -v[64:65]
	scratch_load_b128 v[62:65], off, off offset:304
	s_wait_loadcnt_dscnt 0xc01
	v_mul_f64_e32 v[120:121], v[58:59], v[68:69]
	v_mul_f64_e32 v[68:69], v[60:61], v[68:69]
	s_wait_loadcnt_dscnt 0xb00
	v_mul_f64_e32 v[108:109], v[90:91], v[72:73]
	v_mul_f64_e32 v[72:73], v[92:93], v[72:73]
	v_add_f64_e32 v[4:5], v[4:5], v[118:119]
	v_add_f64_e32 v[8:9], v[116:117], v[8:9]
	v_fmac_f64_e32 v[120:121], v[60:61], v[66:67]
	v_fma_f64 v[116:117], v[58:59], v[66:67], -v[68:69]
	ds_load_b128 v[58:61], v2 offset:480
	ds_load_b128 v[66:69], v2 offset:496
	v_fmac_f64_e32 v[108:109], v[92:93], v[70:71]
	v_fma_f64 v[70:71], v[90:91], v[70:71], -v[72:73]
	s_wait_loadcnt_dscnt 0x900
	v_mul_f64_e32 v[90:91], v[66:67], v[80:81]
	v_add_f64_e32 v[4:5], v[4:5], v[106:107]
	v_add_f64_e32 v[8:9], v[8:9], v[114:115]
	v_mul_f64_e32 v[106:107], v[58:59], v[76:77]
	v_mul_f64_e32 v[76:77], v[60:61], v[76:77]
	v_mul_f64_e32 v[80:81], v[68:69], v[80:81]
	v_fmac_f64_e32 v[90:91], v[68:69], v[78:79]
	v_add_f64_e32 v[4:5], v[4:5], v[116:117]
	v_add_f64_e32 v[8:9], v[8:9], v[120:121]
	v_fmac_f64_e32 v[106:107], v[60:61], v[74:75]
	v_fma_f64 v[74:75], v[58:59], v[74:75], -v[76:77]
	v_fma_f64 v[66:67], v[66:67], v[78:79], -v[80:81]
	v_add_f64_e32 v[4:5], v[4:5], v[70:71]
	v_add_f64_e32 v[8:9], v[8:9], v[108:109]
	ds_load_b128 v[58:61], v2 offset:512
	ds_load_b128 v[70:73], v2 offset:528
	s_wait_loadcnt_dscnt 0x801
	v_mul_f64_e32 v[76:77], v[58:59], v[84:85]
	v_mul_f64_e32 v[84:85], v[60:61], v[84:85]
	s_wait_loadcnt_dscnt 0x700
	v_mul_f64_e32 v[78:79], v[72:73], v[88:89]
	v_add_f64_e32 v[4:5], v[4:5], v[74:75]
	v_add_f64_e32 v[8:9], v[8:9], v[106:107]
	v_mul_f64_e32 v[74:75], v[70:71], v[88:89]
	v_fmac_f64_e32 v[76:77], v[60:61], v[82:83]
	v_fma_f64 v[80:81], v[58:59], v[82:83], -v[84:85]
	v_fma_f64 v[70:71], v[70:71], v[86:87], -v[78:79]
	v_add_f64_e32 v[4:5], v[4:5], v[66:67]
	v_add_f64_e32 v[8:9], v[8:9], v[90:91]
	ds_load_b128 v[58:61], v2 offset:544
	ds_load_b128 v[66:69], v2 offset:560
	v_fmac_f64_e32 v[74:75], v[72:73], v[86:87]
	s_wait_loadcnt_dscnt 0x601
	v_mul_f64_e32 v[82:83], v[58:59], v[96:97]
	v_mul_f64_e32 v[84:85], v[60:61], v[96:97]
	v_add_f64_e32 v[4:5], v[4:5], v[80:81]
	v_add_f64_e32 v[8:9], v[8:9], v[76:77]
	s_wait_loadcnt_dscnt 0x400
	v_mul_f64_e32 v[76:77], v[66:67], v[12:13]
	v_mul_f64_e32 v[12:13], v[68:69], v[12:13]
	v_fmac_f64_e32 v[82:83], v[60:61], v[94:95]
	v_fma_f64 v[78:79], v[58:59], v[94:95], -v[84:85]
	v_add_f64_e32 v[4:5], v[4:5], v[70:71]
	v_add_f64_e32 v[8:9], v[8:9], v[74:75]
	ds_load_b128 v[58:61], v2 offset:576
	ds_load_b128 v[70:73], v2 offset:592
	v_fmac_f64_e32 v[76:77], v[68:69], v[10:11]
	v_fma_f64 v[10:11], v[66:67], v[10:11], -v[12:13]
	s_wait_loadcnt_dscnt 0x301
	v_mul_f64_e32 v[74:75], v[58:59], v[112:113]
	v_mul_f64_e32 v[80:81], v[60:61], v[112:113]
	s_wait_loadcnt_dscnt 0x200
	v_mul_f64_e32 v[12:13], v[70:71], v[56:57]
	v_mul_f64_e32 v[56:57], v[72:73], v[56:57]
	v_add_f64_e32 v[4:5], v[4:5], v[78:79]
	v_add_f64_e32 v[8:9], v[8:9], v[82:83]
	v_fmac_f64_e32 v[74:75], v[60:61], v[110:111]
	v_fma_f64 v[58:59], v[58:59], v[110:111], -v[80:81]
	v_fmac_f64_e32 v[12:13], v[72:73], v[54:55]
	v_fma_f64 v[54:55], v[70:71], v[54:55], -v[56:57]
	v_add_f64_e32 v[60:61], v[4:5], v[10:11]
	v_add_f64_e32 v[66:67], v[8:9], v[76:77]
	ds_load_b128 v[8:11], v2 offset:608
	ds_load_b128 v[2:5], v2 offset:624
	s_wait_loadcnt_dscnt 0x101
	v_mul_f64_e32 v[68:69], v[8:9], v[100:101]
	v_mul_f64_e32 v[76:77], v[10:11], v[100:101]
	v_add_f64_e32 v[56:57], v[60:61], v[58:59]
	v_add_f64_e32 v[58:59], v[66:67], v[74:75]
	s_wait_loadcnt_dscnt 0x0
	v_mul_f64_e32 v[60:61], v[2:3], v[64:65]
	v_mul_f64_e32 v[64:65], v[4:5], v[64:65]
	v_fmac_f64_e32 v[68:69], v[10:11], v[98:99]
	v_fma_f64 v[8:9], v[8:9], v[98:99], -v[76:77]
	v_add_f64_e32 v[10:11], v[56:57], v[54:55]
	v_add_f64_e32 v[12:13], v[58:59], v[12:13]
	v_fmac_f64_e32 v[60:61], v[4:5], v[62:63]
	v_fma_f64 v[2:3], v[2:3], v[62:63], -v[64:65]
	s_delay_alu instid0(VALU_DEP_4) | instskip(NEXT) | instid1(VALU_DEP_4)
	v_add_f64_e32 v[4:5], v[10:11], v[8:9]
	v_add_f64_e32 v[8:9], v[12:13], v[68:69]
	s_delay_alu instid0(VALU_DEP_2) | instskip(NEXT) | instid1(VALU_DEP_2)
	v_add_f64_e32 v[2:3], v[4:5], v[2:3]
	v_add_f64_e32 v[4:5], v[8:9], v[60:61]
	s_delay_alu instid0(VALU_DEP_2) | instskip(NEXT) | instid1(VALU_DEP_2)
	v_add_f64_e64 v[2:3], v[102:103], -v[2:3]
	v_add_f64_e64 v[4:5], v[104:105], -v[4:5]
	scratch_store_b128 off, v[2:5], off offset:48
	s_wait_xcnt 0x0
	v_cmpx_lt_u32_e32 2, v1
	s_cbranch_execz .LBB19_129
; %bb.128:
	scratch_load_b128 v[2:5], off, s8
	v_mov_b32_e32 v8, 0
	s_delay_alu instid0(VALU_DEP_1)
	v_dual_mov_b32 v9, v8 :: v_dual_mov_b32 v10, v8
	v_mov_b32_e32 v11, v8
	scratch_store_b128 off, v[8:11], off offset:32
	s_wait_loadcnt 0x0
	ds_store_b128 v6, v[2:5]
.LBB19_129:
	s_wait_xcnt 0x0
	s_or_b32 exec_lo, exec_lo, s2
	s_wait_storecnt_dscnt 0x0
	s_barrier_signal -1
	s_barrier_wait -1
	s_clause 0x9
	scratch_load_b128 v[8:11], off, off offset:48
	scratch_load_b128 v[54:57], off, off offset:64
	;; [unrolled: 1-line block ×10, first 2 shown]
	v_mov_b32_e32 v2, 0
	s_mov_b32 s2, exec_lo
	v_dual_ashrrev_i32 v21, 31, v20 :: v_dual_ashrrev_i32 v19, 31, v18
	v_ashrrev_i32_e32 v23, 31, v22
	ds_load_b128 v[90:93], v2 offset:368
	s_clause 0x2
	scratch_load_b128 v[94:97], off, off offset:208
	scratch_load_b128 v[98:101], off, off offset:32
	;; [unrolled: 1-line block ×3, first 2 shown]
	v_ashrrev_i32_e32 v27, 31, v26
	v_ashrrev_i32_e32 v31, 31, v30
	v_dual_ashrrev_i32 v35, 31, v34 :: v_dual_ashrrev_i32 v25, 31, v24
	v_dual_ashrrev_i32 v29, 31, v28 :: v_dual_ashrrev_i32 v39, 31, v38
	;; [unrolled: 1-line block ×5, first 2 shown]
	v_ashrrev_i32_e32 v45, 31, v44
	v_ashrrev_i32_e32 v49, 31, v48
	s_wait_loadcnt_dscnt 0xc00
	v_dual_mul_f64 v[4:5], v[92:93], v[10:11] :: v_dual_ashrrev_i32 v53, 31, v52
	v_mul_f64_e32 v[114:115], v[90:91], v[10:11]
	ds_load_b128 v[102:105], v2 offset:384
	scratch_load_b128 v[10:13], off, off offset:224
	ds_load_b128 v[110:113], v2 offset:416
	v_fma_f64 v[4:5], v[90:91], v[8:9], -v[4:5]
	v_fmac_f64_e32 v[114:115], v[92:93], v[8:9]
	ds_load_b128 v[90:93], v2 offset:400
	s_wait_loadcnt_dscnt 0xc02
	v_mul_f64_e32 v[116:117], v[102:103], v[56:57]
	v_mul_f64_e32 v[56:57], v[104:105], v[56:57]
	s_wait_loadcnt_dscnt 0xb00
	v_mul_f64_e32 v[8:9], v[90:91], v[60:61]
	v_mul_f64_e32 v[60:61], v[92:93], v[60:61]
	v_add_f64_e32 v[4:5], 0, v[4:5]
	v_fmac_f64_e32 v[116:117], v[104:105], v[54:55]
	v_fma_f64 v[102:103], v[102:103], v[54:55], -v[56:57]
	v_add_f64_e32 v[104:105], 0, v[114:115]
	scratch_load_b128 v[54:57], off, off offset:256
	v_fmac_f64_e32 v[8:9], v[92:93], v[58:59]
	v_fma_f64 v[118:119], v[90:91], v[58:59], -v[60:61]
	ds_load_b128 v[58:61], v2 offset:432
	s_wait_loadcnt 0xb
	v_mul_f64_e32 v[114:115], v[110:111], v[64:65]
	v_mul_f64_e32 v[64:65], v[112:113], v[64:65]
	scratch_load_b128 v[90:93], off, off offset:272
	v_add_f64_e32 v[4:5], v[4:5], v[102:103]
	v_add_f64_e32 v[116:117], v[104:105], v[116:117]
	ds_load_b128 v[102:105], v2 offset:448
	s_wait_loadcnt_dscnt 0xb01
	v_mul_f64_e32 v[120:121], v[58:59], v[68:69]
	v_mul_f64_e32 v[68:69], v[60:61], v[68:69]
	v_fmac_f64_e32 v[114:115], v[112:113], v[62:63]
	v_fma_f64 v[110:111], v[110:111], v[62:63], -v[64:65]
	scratch_load_b128 v[62:65], off, off offset:288
	v_add_f64_e32 v[4:5], v[4:5], v[118:119]
	v_add_f64_e32 v[8:9], v[116:117], v[8:9]
	v_fmac_f64_e32 v[120:121], v[60:61], v[66:67]
	v_fma_f64 v[118:119], v[58:59], v[66:67], -v[68:69]
	ds_load_b128 v[58:61], v2 offset:464
	s_wait_loadcnt_dscnt 0xb01
	v_mul_f64_e32 v[116:117], v[102:103], v[72:73]
	v_mul_f64_e32 v[72:73], v[104:105], v[72:73]
	scratch_load_b128 v[66:69], off, off offset:304
	v_add_f64_e32 v[4:5], v[4:5], v[110:111]
	v_add_f64_e32 v[8:9], v[8:9], v[114:115]
	s_wait_loadcnt_dscnt 0xb00
	v_mul_f64_e32 v[114:115], v[58:59], v[76:77]
	v_mul_f64_e32 v[76:77], v[60:61], v[76:77]
	ds_load_b128 v[110:113], v2 offset:480
	v_fmac_f64_e32 v[116:117], v[104:105], v[70:71]
	v_fma_f64 v[70:71], v[102:103], v[70:71], -v[72:73]
	s_wait_loadcnt_dscnt 0xa00
	v_mul_f64_e32 v[102:103], v[110:111], v[80:81]
	v_mul_f64_e32 v[80:81], v[112:113], v[80:81]
	v_add_f64_e32 v[4:5], v[4:5], v[118:119]
	v_add_f64_e32 v[8:9], v[8:9], v[120:121]
	v_fmac_f64_e32 v[114:115], v[60:61], v[74:75]
	v_fma_f64 v[74:75], v[58:59], v[74:75], -v[76:77]
	v_fmac_f64_e32 v[102:103], v[112:113], v[78:79]
	v_fma_f64 v[78:79], v[110:111], v[78:79], -v[80:81]
	v_add_f64_e32 v[4:5], v[4:5], v[70:71]
	v_add_f64_e32 v[8:9], v[8:9], v[116:117]
	ds_load_b128 v[58:61], v2 offset:496
	ds_load_b128 v[70:73], v2 offset:512
	s_wait_loadcnt_dscnt 0x901
	v_mul_f64_e32 v[104:105], v[58:59], v[84:85]
	v_mul_f64_e32 v[76:77], v[60:61], v[84:85]
	s_wait_loadcnt_dscnt 0x800
	v_mul_f64_e32 v[80:81], v[70:71], v[88:89]
	v_mul_f64_e32 v[84:85], v[72:73], v[88:89]
	v_add_f64_e32 v[4:5], v[4:5], v[74:75]
	v_add_f64_e32 v[8:9], v[8:9], v[114:115]
	v_fmac_f64_e32 v[104:105], v[60:61], v[82:83]
	v_fma_f64 v[82:83], v[58:59], v[82:83], -v[76:77]
	ds_load_b128 v[58:61], v2 offset:528
	ds_load_b128 v[74:77], v2 offset:544
	v_fmac_f64_e32 v[80:81], v[72:73], v[86:87]
	v_fma_f64 v[70:71], v[70:71], v[86:87], -v[84:85]
	v_add_f64_e32 v[4:5], v[4:5], v[78:79]
	v_add_f64_e32 v[8:9], v[8:9], v[102:103]
	s_wait_loadcnt_dscnt 0x701
	v_mul_f64_e32 v[78:79], v[58:59], v[96:97]
	v_mul_f64_e32 v[88:89], v[60:61], v[96:97]
	s_delay_alu instid0(VALU_DEP_4) | instskip(NEXT) | instid1(VALU_DEP_4)
	v_add_f64_e32 v[4:5], v[4:5], v[82:83]
	v_add_f64_e32 v[8:9], v[8:9], v[104:105]
	s_wait_loadcnt_dscnt 0x400
	v_mul_f64_e32 v[82:83], v[74:75], v[12:13]
	v_mul_f64_e32 v[12:13], v[76:77], v[12:13]
	v_fmac_f64_e32 v[78:79], v[60:61], v[94:95]
	v_fma_f64 v[84:85], v[58:59], v[94:95], -v[88:89]
	v_add_f64_e32 v[4:5], v[4:5], v[70:71]
	v_add_f64_e32 v[8:9], v[8:9], v[80:81]
	ds_load_b128 v[58:61], v2 offset:560
	ds_load_b128 v[70:73], v2 offset:576
	v_fmac_f64_e32 v[82:83], v[76:77], v[10:11]
	v_fma_f64 v[10:11], v[74:75], v[10:11], -v[12:13]
	s_wait_dscnt 0x1
	v_mul_f64_e32 v[80:81], v[58:59], v[108:109]
	v_mul_f64_e32 v[86:87], v[60:61], v[108:109]
	v_add_f64_e32 v[4:5], v[4:5], v[84:85]
	v_add_f64_e32 v[8:9], v[8:9], v[78:79]
	s_wait_loadcnt_dscnt 0x300
	v_mul_f64_e32 v[12:13], v[70:71], v[56:57]
	v_mul_f64_e32 v[74:75], v[72:73], v[56:57]
	v_fmac_f64_e32 v[80:81], v[60:61], v[106:107]
	v_fma_f64 v[60:61], v[58:59], v[106:107], -v[86:87]
	v_add_f64_e32 v[4:5], v[4:5], v[10:11]
	v_add_f64_e32 v[76:77], v[8:9], v[82:83]
	ds_load_b128 v[8:11], v2 offset:592
	ds_load_b128 v[56:59], v2 offset:608
	v_fmac_f64_e32 v[12:13], v[72:73], v[54:55]
	v_fma_f64 v[54:55], v[70:71], v[54:55], -v[74:75]
	s_wait_loadcnt_dscnt 0x201
	v_mul_f64_e32 v[78:79], v[8:9], v[92:93]
	v_mul_f64_e32 v[82:83], v[10:11], v[92:93]
	s_wait_loadcnt_dscnt 0x100
	v_mul_f64_e32 v[70:71], v[56:57], v[64:65]
	v_mul_f64_e32 v[64:65], v[58:59], v[64:65]
	v_add_f64_e32 v[4:5], v[4:5], v[60:61]
	v_add_f64_e32 v[60:61], v[76:77], v[80:81]
	v_fmac_f64_e32 v[78:79], v[10:11], v[90:91]
	v_fma_f64 v[72:73], v[8:9], v[90:91], -v[82:83]
	ds_load_b128 v[8:11], v2 offset:624
	v_fmac_f64_e32 v[70:71], v[58:59], v[62:63]
	v_fma_f64 v[56:57], v[56:57], v[62:63], -v[64:65]
	v_add_f64_e32 v[4:5], v[4:5], v[54:55]
	v_add_f64_e32 v[12:13], v[60:61], v[12:13]
	s_wait_loadcnt_dscnt 0x0
	v_mul_f64_e32 v[54:55], v[8:9], v[68:69]
	v_mul_f64_e32 v[60:61], v[10:11], v[68:69]
	s_delay_alu instid0(VALU_DEP_4) | instskip(NEXT) | instid1(VALU_DEP_4)
	v_add_f64_e32 v[4:5], v[4:5], v[72:73]
	v_add_f64_e32 v[12:13], v[12:13], v[78:79]
	s_delay_alu instid0(VALU_DEP_4) | instskip(NEXT) | instid1(VALU_DEP_4)
	v_fmac_f64_e32 v[54:55], v[10:11], v[66:67]
	v_fma_f64 v[8:9], v[8:9], v[66:67], -v[60:61]
	s_delay_alu instid0(VALU_DEP_4) | instskip(NEXT) | instid1(VALU_DEP_4)
	v_add_f64_e32 v[4:5], v[4:5], v[56:57]
	v_add_f64_e32 v[10:11], v[12:13], v[70:71]
	s_delay_alu instid0(VALU_DEP_2) | instskip(NEXT) | instid1(VALU_DEP_2)
	v_add_f64_e32 v[4:5], v[4:5], v[8:9]
	v_add_f64_e32 v[10:11], v[10:11], v[54:55]
	s_delay_alu instid0(VALU_DEP_2) | instskip(NEXT) | instid1(VALU_DEP_2)
	v_add_f64_e64 v[8:9], v[98:99], -v[4:5]
	v_add_f64_e64 v[10:11], v[100:101], -v[10:11]
	scratch_store_b128 off, v[8:11], off offset:32
	s_wait_xcnt 0x0
	v_cmpx_lt_u32_e32 1, v1
	s_cbranch_execz .LBB19_131
; %bb.130:
	scratch_load_b128 v[8:11], off, s11
	v_dual_mov_b32 v3, v2 :: v_dual_mov_b32 v4, v2
	v_mov_b32_e32 v5, v2
	scratch_store_b128 off, v[2:5], off offset:16
	s_wait_loadcnt 0x0
	ds_store_b128 v6, v[8:11]
.LBB19_131:
	s_wait_xcnt 0x0
	s_or_b32 exec_lo, exec_lo, s2
	s_wait_storecnt_dscnt 0x0
	s_barrier_signal -1
	s_barrier_wait -1
	s_clause 0x9
	scratch_load_b128 v[8:11], off, off offset:32
	scratch_load_b128 v[54:57], off, off offset:48
	;; [unrolled: 1-line block ×10, first 2 shown]
	ds_load_b128 v[90:93], v2 offset:352
	s_clause 0x2
	scratch_load_b128 v[94:97], off, off offset:192
	scratch_load_b128 v[98:101], off, off offset:208
	;; [unrolled: 1-line block ×3, first 2 shown]
	s_mov_b32 s2, exec_lo
	s_wait_loadcnt_dscnt 0xc00
	v_mul_f64_e32 v[4:5], v[92:93], v[10:11]
	v_mul_f64_e32 v[106:107], v[90:91], v[10:11]
	ds_load_b128 v[10:13], v2 offset:368
	v_fma_f64 v[4:5], v[90:91], v[8:9], -v[4:5]
	v_fmac_f64_e32 v[106:107], v[92:93], v[8:9]
	ds_load_b128 v[90:93], v2 offset:384
	s_wait_loadcnt_dscnt 0xb01
	v_mul_f64_e32 v[108:109], v[10:11], v[56:57]
	v_mul_f64_e32 v[56:57], v[12:13], v[56:57]
	s_wait_loadcnt_dscnt 0xa00
	v_mul_f64_e32 v[110:111], v[90:91], v[60:61]
	v_mul_f64_e32 v[60:61], v[92:93], v[60:61]
	v_add_f64_e32 v[4:5], 0, v[4:5]
	v_add_f64_e32 v[106:107], 0, v[106:107]
	v_fmac_f64_e32 v[108:109], v[12:13], v[54:55]
	v_fma_f64 v[12:13], v[10:11], v[54:55], -v[56:57]
	ds_load_b128 v[8:11], v2 offset:400
	scratch_load_b128 v[54:57], off, off offset:240
	v_fmac_f64_e32 v[110:111], v[92:93], v[58:59]
	v_fma_f64 v[114:115], v[90:91], v[58:59], -v[60:61]
	ds_load_b128 v[58:61], v2 offset:416
	s_wait_loadcnt_dscnt 0xa01
	v_mul_f64_e32 v[112:113], v[8:9], v[64:65]
	v_mul_f64_e32 v[64:65], v[10:11], v[64:65]
	scratch_load_b128 v[90:93], off, off offset:256
	v_add_f64_e32 v[4:5], v[4:5], v[12:13]
	v_add_f64_e32 v[12:13], v[106:107], v[108:109]
	s_wait_loadcnt_dscnt 0xa00
	v_mul_f64_e32 v[106:107], v[58:59], v[68:69]
	v_mul_f64_e32 v[68:69], v[60:61], v[68:69]
	v_fmac_f64_e32 v[112:113], v[10:11], v[62:63]
	v_fma_f64 v[108:109], v[8:9], v[62:63], -v[64:65]
	ds_load_b128 v[8:11], v2 offset:432
	scratch_load_b128 v[62:65], off, off offset:272
	v_add_f64_e32 v[4:5], v[4:5], v[114:115]
	v_add_f64_e32 v[12:13], v[12:13], v[110:111]
	v_fmac_f64_e32 v[106:107], v[60:61], v[66:67]
	v_fma_f64 v[114:115], v[58:59], v[66:67], -v[68:69]
	ds_load_b128 v[58:61], v2 offset:448
	s_wait_loadcnt_dscnt 0xa01
	v_mul_f64_e32 v[110:111], v[8:9], v[72:73]
	v_mul_f64_e32 v[72:73], v[10:11], v[72:73]
	scratch_load_b128 v[66:69], off, off offset:288
	v_add_f64_e32 v[4:5], v[4:5], v[108:109]
	v_add_f64_e32 v[12:13], v[12:13], v[112:113]
	s_wait_loadcnt_dscnt 0xa00
	v_mul_f64_e32 v[108:109], v[58:59], v[76:77]
	v_mul_f64_e32 v[76:77], v[60:61], v[76:77]
	v_fmac_f64_e32 v[110:111], v[10:11], v[70:71]
	v_fma_f64 v[112:113], v[8:9], v[70:71], -v[72:73]
	ds_load_b128 v[8:11], v2 offset:464
	scratch_load_b128 v[70:73], off, off offset:304
	v_add_f64_e32 v[4:5], v[4:5], v[114:115]
	v_add_f64_e32 v[12:13], v[12:13], v[106:107]
	v_fmac_f64_e32 v[108:109], v[60:61], v[74:75]
	v_fma_f64 v[74:75], v[58:59], v[74:75], -v[76:77]
	ds_load_b128 v[58:61], v2 offset:480
	s_wait_loadcnt_dscnt 0xa01
	v_mul_f64_e32 v[106:107], v[8:9], v[80:81]
	v_mul_f64_e32 v[80:81], v[10:11], v[80:81]
	s_wait_loadcnt_dscnt 0x900
	v_mul_f64_e32 v[76:77], v[60:61], v[84:85]
	v_add_f64_e32 v[4:5], v[4:5], v[112:113]
	v_add_f64_e32 v[12:13], v[12:13], v[110:111]
	v_mul_f64_e32 v[110:111], v[58:59], v[84:85]
	v_fmac_f64_e32 v[106:107], v[10:11], v[78:79]
	v_fma_f64 v[78:79], v[8:9], v[78:79], -v[80:81]
	ds_load_b128 v[8:11], v2 offset:496
	v_add_f64_e32 v[4:5], v[4:5], v[74:75]
	v_add_f64_e32 v[12:13], v[12:13], v[108:109]
	v_fmac_f64_e32 v[110:111], v[60:61], v[82:83]
	v_fma_f64 v[82:83], v[58:59], v[82:83], -v[76:77]
	ds_load_b128 v[58:61], v2 offset:512
	s_wait_loadcnt_dscnt 0x801
	v_mul_f64_e32 v[80:81], v[8:9], v[88:89]
	v_mul_f64_e32 v[84:85], v[10:11], v[88:89]
	scratch_load_b128 v[74:77], off, off offset:16
	s_wait_loadcnt_dscnt 0x800
	v_mul_f64_e32 v[88:89], v[60:61], v[96:97]
	v_add_f64_e32 v[4:5], v[4:5], v[78:79]
	v_add_f64_e32 v[12:13], v[12:13], v[106:107]
	v_mul_f64_e32 v[78:79], v[58:59], v[96:97]
	v_fmac_f64_e32 v[80:81], v[10:11], v[86:87]
	v_fma_f64 v[84:85], v[8:9], v[86:87], -v[84:85]
	ds_load_b128 v[8:11], v2 offset:528
	v_fma_f64 v[88:89], v[58:59], v[94:95], -v[88:89]
	v_add_f64_e32 v[4:5], v[4:5], v[82:83]
	v_add_f64_e32 v[12:13], v[12:13], v[110:111]
	v_fmac_f64_e32 v[78:79], v[60:61], v[94:95]
	ds_load_b128 v[58:61], v2 offset:544
	s_wait_loadcnt_dscnt 0x701
	v_mul_f64_e32 v[82:83], v[8:9], v[100:101]
	v_mul_f64_e32 v[86:87], v[10:11], v[100:101]
	v_add_f64_e32 v[4:5], v[4:5], v[84:85]
	v_add_f64_e32 v[12:13], v[12:13], v[80:81]
	s_wait_loadcnt_dscnt 0x600
	v_mul_f64_e32 v[80:81], v[58:59], v[104:105]
	v_mul_f64_e32 v[84:85], v[60:61], v[104:105]
	v_fmac_f64_e32 v[82:83], v[10:11], v[98:99]
	v_fma_f64 v[86:87], v[8:9], v[98:99], -v[86:87]
	ds_load_b128 v[8:11], v2 offset:560
	v_add_f64_e32 v[4:5], v[4:5], v[88:89]
	v_add_f64_e32 v[12:13], v[12:13], v[78:79]
	s_wait_loadcnt_dscnt 0x500
	v_mul_f64_e32 v[78:79], v[8:9], v[56:57]
	v_mul_f64_e32 v[88:89], v[10:11], v[56:57]
	v_fmac_f64_e32 v[80:81], v[60:61], v[102:103]
	v_fma_f64 v[60:61], v[58:59], v[102:103], -v[84:85]
	ds_load_b128 v[56:59], v2 offset:576
	v_add_f64_e32 v[4:5], v[4:5], v[86:87]
	v_add_f64_e32 v[12:13], v[12:13], v[82:83]
	v_fmac_f64_e32 v[78:79], v[10:11], v[54:55]
	v_fma_f64 v[54:55], v[8:9], v[54:55], -v[88:89]
	ds_load_b128 v[8:11], v2 offset:592
	s_wait_loadcnt_dscnt 0x401
	v_mul_f64_e32 v[82:83], v[56:57], v[92:93]
	v_mul_f64_e32 v[84:85], v[58:59], v[92:93]
	v_add_f64_e32 v[4:5], v[4:5], v[60:61]
	v_add_f64_e32 v[12:13], v[12:13], v[80:81]
	s_wait_loadcnt_dscnt 0x300
	v_mul_f64_e32 v[60:61], v[8:9], v[64:65]
	v_mul_f64_e32 v[64:65], v[10:11], v[64:65]
	v_fmac_f64_e32 v[82:83], v[58:59], v[90:91]
	v_fma_f64 v[58:59], v[56:57], v[90:91], -v[84:85]
	v_add_f64_e32 v[4:5], v[4:5], v[54:55]
	v_add_f64_e32 v[12:13], v[12:13], v[78:79]
	ds_load_b128 v[54:57], v2 offset:608
	v_fmac_f64_e32 v[60:61], v[10:11], v[62:63]
	v_fma_f64 v[8:9], v[8:9], v[62:63], -v[64:65]
	s_wait_loadcnt_dscnt 0x200
	v_mul_f64_e32 v[78:79], v[54:55], v[68:69]
	v_mul_f64_e32 v[68:69], v[56:57], v[68:69]
	v_add_f64_e32 v[10:11], v[4:5], v[58:59]
	v_add_f64_e32 v[12:13], v[12:13], v[82:83]
	ds_load_b128 v[2:5], v2 offset:624
	s_wait_loadcnt_dscnt 0x100
	v_mul_f64_e32 v[58:59], v[2:3], v[72:73]
	v_mul_f64_e32 v[62:63], v[4:5], v[72:73]
	v_fmac_f64_e32 v[78:79], v[56:57], v[66:67]
	v_fma_f64 v[54:55], v[54:55], v[66:67], -v[68:69]
	v_add_f64_e32 v[8:9], v[10:11], v[8:9]
	v_add_f64_e32 v[10:11], v[12:13], v[60:61]
	v_fmac_f64_e32 v[58:59], v[4:5], v[70:71]
	v_fma_f64 v[2:3], v[2:3], v[70:71], -v[62:63]
	s_delay_alu instid0(VALU_DEP_4) | instskip(NEXT) | instid1(VALU_DEP_4)
	v_add_f64_e32 v[4:5], v[8:9], v[54:55]
	v_add_f64_e32 v[8:9], v[10:11], v[78:79]
	s_delay_alu instid0(VALU_DEP_2) | instskip(NEXT) | instid1(VALU_DEP_2)
	v_add_f64_e32 v[2:3], v[4:5], v[2:3]
	v_add_f64_e32 v[4:5], v[8:9], v[58:59]
	s_wait_loadcnt 0x0
	s_delay_alu instid0(VALU_DEP_2) | instskip(NEXT) | instid1(VALU_DEP_2)
	v_add_f64_e64 v[2:3], v[74:75], -v[2:3]
	v_add_f64_e64 v[4:5], v[76:77], -v[4:5]
	scratch_store_b128 off, v[2:5], off offset:16
	s_wait_xcnt 0x0
	v_cmpx_ne_u32_e32 0, v1
	s_cbranch_execz .LBB19_133
; %bb.132:
	scratch_load_b128 v[2:5], off, off
	v_mov_b32_e32 v8, 0
	s_delay_alu instid0(VALU_DEP_1)
	v_dual_mov_b32 v9, v8 :: v_dual_mov_b32 v10, v8
	v_mov_b32_e32 v11, v8
	scratch_store_b128 off, v[8:11], off
	s_wait_loadcnt 0x0
	ds_store_b128 v6, v[2:5]
.LBB19_133:
	s_wait_xcnt 0x0
	s_or_b32 exec_lo, exec_lo, s2
	s_wait_storecnt_dscnt 0x0
	s_barrier_signal -1
	s_barrier_wait -1
	s_clause 0x9
	scratch_load_b128 v[2:5], off, off offset:16
	scratch_load_b128 v[6:9], off, off offset:32
	;; [unrolled: 1-line block ×10, first 2 shown]
	v_mov_b32_e32 v54, 0
	s_and_b32 vcc_lo, exec_lo, s31
	ds_load_b128 v[84:87], v54 offset:336
	s_clause 0x2
	scratch_load_b128 v[88:91], off, off offset:176
	scratch_load_b128 v[92:95], off, off
	scratch_load_b128 v[100:103], off, off offset:192
	s_wait_loadcnt_dscnt 0xc00
	v_mul_f64_e32 v[104:105], v[86:87], v[4:5]
	v_mul_f64_e32 v[108:109], v[84:85], v[4:5]
	ds_load_b128 v[96:99], v54 offset:352
	v_fma_f64 v[112:113], v[84:85], v[2:3], -v[104:105]
	v_fmac_f64_e32 v[108:109], v[86:87], v[2:3]
	ds_load_b128 v[2:5], v54 offset:368
	s_wait_loadcnt_dscnt 0xb01
	v_mul_f64_e32 v[110:111], v[96:97], v[8:9]
	v_mul_f64_e32 v[8:9], v[98:99], v[8:9]
	scratch_load_b128 v[84:87], off, off offset:208
	ds_load_b128 v[104:107], v54 offset:384
	s_wait_loadcnt_dscnt 0xb01
	v_mul_f64_e32 v[114:115], v[2:3], v[12:13]
	v_mul_f64_e32 v[12:13], v[4:5], v[12:13]
	v_add_f64_e32 v[108:109], 0, v[108:109]
	v_fmac_f64_e32 v[110:111], v[98:99], v[6:7]
	v_fma_f64 v[96:97], v[96:97], v[6:7], -v[8:9]
	v_add_f64_e32 v[98:99], 0, v[112:113]
	scratch_load_b128 v[6:9], off, off offset:224
	v_fmac_f64_e32 v[114:115], v[4:5], v[10:11]
	v_fma_f64 v[116:117], v[2:3], v[10:11], -v[12:13]
	ds_load_b128 v[2:5], v54 offset:400
	s_wait_loadcnt_dscnt 0xb01
	v_mul_f64_e32 v[112:113], v[104:105], v[58:59]
	v_mul_f64_e32 v[58:59], v[106:107], v[58:59]
	scratch_load_b128 v[10:13], off, off offset:240
	v_add_f64_e32 v[108:109], v[108:109], v[110:111]
	v_add_f64_e32 v[118:119], v[98:99], v[96:97]
	ds_load_b128 v[96:99], v54 offset:416
	s_wait_loadcnt_dscnt 0xb01
	v_mul_f64_e32 v[110:111], v[2:3], v[62:63]
	v_mul_f64_e32 v[62:63], v[4:5], v[62:63]
	v_fmac_f64_e32 v[112:113], v[106:107], v[56:57]
	v_fma_f64 v[104:105], v[104:105], v[56:57], -v[58:59]
	scratch_load_b128 v[56:59], off, off offset:256
	v_add_f64_e32 v[108:109], v[108:109], v[114:115]
	v_add_f64_e32 v[106:107], v[118:119], v[116:117]
	v_fmac_f64_e32 v[110:111], v[4:5], v[60:61]
	v_fma_f64 v[116:117], v[2:3], v[60:61], -v[62:63]
	ds_load_b128 v[2:5], v54 offset:432
	s_wait_loadcnt_dscnt 0xb01
	v_mul_f64_e32 v[114:115], v[96:97], v[66:67]
	v_mul_f64_e32 v[66:67], v[98:99], v[66:67]
	scratch_load_b128 v[60:63], off, off offset:272
	v_add_f64_e32 v[108:109], v[108:109], v[112:113]
	s_wait_loadcnt_dscnt 0xb00
	v_mul_f64_e32 v[112:113], v[2:3], v[70:71]
	v_add_f64_e32 v[118:119], v[106:107], v[104:105]
	v_mul_f64_e32 v[70:71], v[4:5], v[70:71]
	ds_load_b128 v[104:107], v54 offset:448
	v_fmac_f64_e32 v[114:115], v[98:99], v[64:65]
	v_fma_f64 v[96:97], v[96:97], v[64:65], -v[66:67]
	scratch_load_b128 v[64:67], off, off offset:288
	v_add_f64_e32 v[108:109], v[108:109], v[110:111]
	v_fmac_f64_e32 v[112:113], v[4:5], v[68:69]
	v_add_f64_e32 v[98:99], v[118:119], v[116:117]
	v_fma_f64 v[116:117], v[2:3], v[68:69], -v[70:71]
	ds_load_b128 v[2:5], v54 offset:464
	s_wait_loadcnt_dscnt 0xb01
	v_mul_f64_e32 v[110:111], v[104:105], v[74:75]
	v_mul_f64_e32 v[74:75], v[106:107], v[74:75]
	scratch_load_b128 v[68:71], off, off offset:304
	v_add_f64_e32 v[108:109], v[108:109], v[114:115]
	s_wait_loadcnt_dscnt 0xb00
	v_mul_f64_e32 v[114:115], v[2:3], v[78:79]
	v_add_f64_e32 v[118:119], v[98:99], v[96:97]
	v_mul_f64_e32 v[78:79], v[4:5], v[78:79]
	ds_load_b128 v[96:99], v54 offset:480
	v_fmac_f64_e32 v[110:111], v[106:107], v[72:73]
	v_fma_f64 v[72:73], v[104:105], v[72:73], -v[74:75]
	s_wait_loadcnt_dscnt 0xa00
	v_mul_f64_e32 v[106:107], v[96:97], v[82:83]
	v_mul_f64_e32 v[82:83], v[98:99], v[82:83]
	v_add_f64_e32 v[104:105], v[108:109], v[112:113]
	v_fmac_f64_e32 v[114:115], v[4:5], v[76:77]
	v_add_f64_e32 v[74:75], v[118:119], v[116:117]
	v_fma_f64 v[76:77], v[2:3], v[76:77], -v[78:79]
	v_fmac_f64_e32 v[106:107], v[98:99], v[80:81]
	v_fma_f64 v[80:81], v[96:97], v[80:81], -v[82:83]
	v_add_f64_e32 v[104:105], v[104:105], v[110:111]
	v_add_f64_e32 v[78:79], v[74:75], v[72:73]
	ds_load_b128 v[2:5], v54 offset:496
	ds_load_b128 v[72:75], v54 offset:512
	s_wait_loadcnt_dscnt 0x901
	v_mul_f64_e32 v[108:109], v[2:3], v[90:91]
	v_mul_f64_e32 v[90:91], v[4:5], v[90:91]
	s_wait_loadcnt_dscnt 0x700
	v_mul_f64_e32 v[82:83], v[72:73], v[102:103]
	v_mul_f64_e32 v[96:97], v[74:75], v[102:103]
	v_add_f64_e32 v[76:77], v[78:79], v[76:77]
	v_add_f64_e32 v[78:79], v[104:105], v[114:115]
	v_fmac_f64_e32 v[108:109], v[4:5], v[88:89]
	v_fma_f64 v[88:89], v[2:3], v[88:89], -v[90:91]
	v_fmac_f64_e32 v[82:83], v[74:75], v[100:101]
	v_fma_f64 v[72:73], v[72:73], v[100:101], -v[96:97]
	v_add_f64_e32 v[80:81], v[76:77], v[80:81]
	v_add_f64_e32 v[90:91], v[78:79], v[106:107]
	ds_load_b128 v[2:5], v54 offset:528
	ds_load_b128 v[76:79], v54 offset:544
	s_wait_loadcnt_dscnt 0x601
	v_mul_f64_e32 v[98:99], v[2:3], v[86:87]
	v_mul_f64_e32 v[86:87], v[4:5], v[86:87]
	v_add_f64_e32 v[74:75], v[80:81], v[88:89]
	v_add_f64_e32 v[80:81], v[90:91], v[108:109]
	s_wait_loadcnt_dscnt 0x500
	v_mul_f64_e32 v[88:89], v[76:77], v[8:9]
	v_mul_f64_e32 v[8:9], v[78:79], v[8:9]
	v_fmac_f64_e32 v[98:99], v[4:5], v[84:85]
	v_fma_f64 v[84:85], v[2:3], v[84:85], -v[86:87]
	v_add_f64_e32 v[86:87], v[74:75], v[72:73]
	v_add_f64_e32 v[80:81], v[80:81], v[82:83]
	ds_load_b128 v[2:5], v54 offset:560
	ds_load_b128 v[72:75], v54 offset:576
	v_fmac_f64_e32 v[88:89], v[78:79], v[6:7]
	v_fma_f64 v[6:7], v[76:77], v[6:7], -v[8:9]
	s_wait_loadcnt_dscnt 0x401
	v_mul_f64_e32 v[82:83], v[2:3], v[12:13]
	v_mul_f64_e32 v[12:13], v[4:5], v[12:13]
	s_wait_loadcnt_dscnt 0x300
	v_mul_f64_e32 v[78:79], v[72:73], v[58:59]
	v_mul_f64_e32 v[58:59], v[74:75], v[58:59]
	v_add_f64_e32 v[8:9], v[86:87], v[84:85]
	v_add_f64_e32 v[76:77], v[80:81], v[98:99]
	v_fmac_f64_e32 v[82:83], v[4:5], v[10:11]
	v_fma_f64 v[10:11], v[2:3], v[10:11], -v[12:13]
	v_fmac_f64_e32 v[78:79], v[74:75], v[56:57]
	v_fma_f64 v[56:57], v[72:73], v[56:57], -v[58:59]
	v_add_f64_e32 v[12:13], v[8:9], v[6:7]
	v_add_f64_e32 v[76:77], v[76:77], v[88:89]
	ds_load_b128 v[2:5], v54 offset:592
	ds_load_b128 v[6:9], v54 offset:608
	s_wait_loadcnt_dscnt 0x201
	v_mul_f64_e32 v[80:81], v[2:3], v[62:63]
	v_mul_f64_e32 v[62:63], v[4:5], v[62:63]
	s_wait_loadcnt_dscnt 0x100
	v_mul_f64_e32 v[58:59], v[6:7], v[66:67]
	v_mul_f64_e32 v[66:67], v[8:9], v[66:67]
	v_add_f64_e32 v[10:11], v[12:13], v[10:11]
	v_add_f64_e32 v[12:13], v[76:77], v[82:83]
	v_fmac_f64_e32 v[80:81], v[4:5], v[60:61]
	v_fma_f64 v[60:61], v[2:3], v[60:61], -v[62:63]
	ds_load_b128 v[2:5], v54 offset:624
	v_fmac_f64_e32 v[58:59], v[8:9], v[64:65]
	v_fma_f64 v[6:7], v[6:7], v[64:65], -v[66:67]
	v_add_f64_e32 v[10:11], v[10:11], v[56:57]
	v_add_f64_e32 v[12:13], v[12:13], v[78:79]
	s_wait_loadcnt_dscnt 0x0
	v_mul_f64_e32 v[56:57], v[2:3], v[70:71]
	v_mul_f64_e32 v[62:63], v[4:5], v[70:71]
	s_delay_alu instid0(VALU_DEP_4) | instskip(NEXT) | instid1(VALU_DEP_4)
	v_add_f64_e32 v[8:9], v[10:11], v[60:61]
	v_add_f64_e32 v[10:11], v[12:13], v[80:81]
	v_lshl_add_u64 v[12:13], v[28:29], 4, s[4:5]
	v_lshl_add_u64 v[28:29], v[40:41], 4, s[4:5]
	v_lshl_add_u64 v[40:41], v[52:53], 4, s[4:5]
	v_fmac_f64_e32 v[56:57], v[4:5], v[68:69]
	v_fma_f64 v[2:3], v[2:3], v[68:69], -v[62:63]
	v_add_f64_e32 v[4:5], v[8:9], v[6:7]
	v_add_f64_e32 v[6:7], v[10:11], v[58:59]
	v_lshl_add_u64 v[8:9], v[24:25], 4, s[4:5]
	v_lshl_add_u64 v[10:11], v[26:27], 4, s[4:5]
	v_lshl_add_u64 v[24:25], v[36:37], 4, s[4:5]
	v_lshl_add_u64 v[26:27], v[38:39], 4, s[4:5]
	v_lshl_add_u64 v[36:37], v[48:49], 4, s[4:5]
	v_lshl_add_u64 v[38:39], v[50:51], 4, s[4:5]
	v_add_f64_e32 v[2:3], v[4:5], v[2:3]
	v_add_f64_e32 v[4:5], v[6:7], v[56:57]
	v_lshl_add_u64 v[6:7], v[22:23], 4, s[4:5]
	v_lshl_add_u64 v[22:23], v[34:35], 4, s[4:5]
	;; [unrolled: 1-line block ×3, first 2 shown]
	v_add_f64_e64 v[56:57], v[92:93], -v[2:3]
	v_add_f64_e64 v[58:59], v[94:95], -v[4:5]
	v_lshl_add_u64 v[2:3], v[18:19], 4, s[4:5]
	v_lshl_add_u64 v[4:5], v[20:21], 4, s[4:5]
	;; [unrolled: 1-line block ×6, first 2 shown]
	scratch_store_b128 off, v[56:59], off
	s_cbranch_vccz .LBB19_172
; %bb.134:
	global_load_b32 v42, v54, s[16:17] offset:72
	s_load_b64 s[2:3], s[0:1], 0x4
	v_bfe_u32 v43, v0, 10, 10
	v_bfe_u32 v0, v0, 20, 10
	s_wait_kmcnt 0x0
	s_lshr_b32 s0, s2, 16
	s_delay_alu instid0(VALU_DEP_2) | instskip(SKIP_1) | instid1(SALU_CYCLE_1)
	v_mul_u32_u24_e32 v43, s3, v43
	s_mul_i32 s0, s0, s3
	v_mul_u32_u24_e32 v1, s0, v1
	s_delay_alu instid0(VALU_DEP_1) | instskip(NEXT) | instid1(VALU_DEP_1)
	v_add3_u32 v0, v1, v43, v0
	v_lshl_add_u32 v0, v0, 4, 0x288
	s_wait_loadcnt 0x0
	v_cmp_ne_u32_e32 vcc_lo, 19, v42
	s_cbranch_vccz .LBB19_136
; %bb.135:
	v_lshlrev_b32_e32 v1, 4, v42
	s_clause 0x1
	scratch_load_b128 v[42:45], off, s25
	scratch_load_b128 v[46:49], v1, off offset:-16
	s_wait_loadcnt 0x1
	ds_store_2addr_b64 v0, v[42:43], v[44:45] offset1:1
	s_wait_loadcnt 0x0
	s_clause 0x1
	scratch_store_b128 off, v[46:49], s25
	scratch_store_b128 v1, v[42:45], off offset:-16
.LBB19_136:
	s_wait_xcnt 0x0
	v_mov_b32_e32 v1, 0
	global_load_b32 v42, v1, s[16:17] offset:68
	s_wait_loadcnt 0x0
	v_cmp_eq_u32_e32 vcc_lo, 18, v42
	s_cbranch_vccnz .LBB19_138
; %bb.137:
	v_lshlrev_b32_e32 v42, 4, v42
	s_delay_alu instid0(VALU_DEP_1)
	v_mov_b32_e32 v50, v42
	s_clause 0x1
	scratch_load_b128 v[42:45], off, s24
	scratch_load_b128 v[46:49], v50, off offset:-16
	s_wait_loadcnt 0x1
	ds_store_2addr_b64 v0, v[42:43], v[44:45] offset1:1
	s_wait_loadcnt 0x0
	s_clause 0x1
	scratch_store_b128 off, v[46:49], s24
	scratch_store_b128 v50, v[42:45], off offset:-16
.LBB19_138:
	global_load_b32 v1, v1, s[16:17] offset:64
	s_wait_loadcnt 0x0
	v_cmp_eq_u32_e32 vcc_lo, 17, v1
	s_cbranch_vccnz .LBB19_140
; %bb.139:
	s_wait_xcnt 0x0
	v_lshlrev_b32_e32 v1, 4, v1
	s_clause 0x1
	scratch_load_b128 v[42:45], off, s23
	scratch_load_b128 v[46:49], v1, off offset:-16
	s_wait_loadcnt 0x1
	ds_store_2addr_b64 v0, v[42:43], v[44:45] offset1:1
	s_wait_loadcnt 0x0
	s_clause 0x1
	scratch_store_b128 off, v[46:49], s23
	scratch_store_b128 v1, v[42:45], off offset:-16
.LBB19_140:
	s_wait_xcnt 0x0
	v_mov_b32_e32 v1, 0
	global_load_b32 v42, v1, s[16:17] offset:60
	s_wait_loadcnt 0x0
	v_cmp_eq_u32_e32 vcc_lo, 16, v42
	s_cbranch_vccnz .LBB19_142
; %bb.141:
	v_lshlrev_b32_e32 v42, 4, v42
	s_delay_alu instid0(VALU_DEP_1)
	v_mov_b32_e32 v50, v42
	s_clause 0x1
	scratch_load_b128 v[42:45], off, s27
	scratch_load_b128 v[46:49], v50, off offset:-16
	s_wait_loadcnt 0x1
	ds_store_2addr_b64 v0, v[42:43], v[44:45] offset1:1
	s_wait_loadcnt 0x0
	s_clause 0x1
	scratch_store_b128 off, v[46:49], s27
	scratch_store_b128 v50, v[42:45], off offset:-16
.LBB19_142:
	global_load_b32 v1, v1, s[16:17] offset:56
	s_wait_loadcnt 0x0
	v_cmp_eq_u32_e32 vcc_lo, 15, v1
	s_cbranch_vccnz .LBB19_144
; %bb.143:
	s_wait_xcnt 0x0
	v_lshlrev_b32_e32 v1, 4, v1
	s_clause 0x1
	scratch_load_b128 v[42:45], off, s30
	scratch_load_b128 v[46:49], v1, off offset:-16
	s_wait_loadcnt 0x1
	ds_store_2addr_b64 v0, v[42:43], v[44:45] offset1:1
	s_wait_loadcnt 0x0
	s_clause 0x1
	scratch_store_b128 off, v[46:49], s30
	scratch_store_b128 v1, v[42:45], off offset:-16
.LBB19_144:
	;; [unrolled: 37-line block ×8, first 2 shown]
	s_wait_xcnt 0x0
	v_mov_b32_e32 v1, 0
	global_load_b32 v42, v1, s[16:17] offset:4
	s_wait_loadcnt 0x0
	v_cmp_eq_u32_e32 vcc_lo, 2, v42
	s_cbranch_vccnz .LBB19_170
; %bb.169:
	v_lshlrev_b32_e32 v42, 4, v42
	s_delay_alu instid0(VALU_DEP_1)
	v_mov_b32_e32 v50, v42
	s_clause 0x1
	scratch_load_b128 v[42:45], off, s11
	scratch_load_b128 v[46:49], v50, off offset:-16
	s_wait_loadcnt 0x1
	ds_store_2addr_b64 v0, v[42:43], v[44:45] offset1:1
	s_wait_loadcnt 0x0
	s_clause 0x1
	scratch_store_b128 off, v[46:49], s11
	scratch_store_b128 v50, v[42:45], off offset:-16
.LBB19_170:
	global_load_b32 v1, v1, s[16:17]
	s_wait_loadcnt 0x0
	v_cmp_eq_u32_e32 vcc_lo, 1, v1
	s_cbranch_vccnz .LBB19_172
; %bb.171:
	s_wait_xcnt 0x0
	v_lshlrev_b32_e32 v1, 4, v1
	scratch_load_b128 v[42:45], off, off
	scratch_load_b128 v[46:49], v1, off offset:-16
	s_wait_loadcnt 0x1
	ds_store_2addr_b64 v0, v[42:43], v[44:45] offset1:1
	s_wait_loadcnt 0x0
	scratch_store_b128 off, v[46:49], off
	scratch_store_b128 v1, v[42:45], off offset:-16
.LBB19_172:
	scratch_load_b128 v[42:45], off, off
	s_clause 0x12
	scratch_load_b128 v[46:49], off, s11
	scratch_load_b128 v[50:53], off, s8
	;; [unrolled: 1-line block ×15, first 2 shown]
	; meta instruction
	; meta instruction
	;; [unrolled: 1-line block ×15, first 2 shown]
	scratch_load_b128 v[106:109], off, s23
	scratch_load_b128 v[110:113], off, s24
	;; [unrolled: 1-line block ×4, first 2 shown]
	s_wait_loadcnt 0x13
	global_store_b128 v[14:15], v[42:45], off
	s_wait_loadcnt 0x12
	global_store_b128 v[16:17], v[46:49], off
	;; [unrolled: 2-line block ×20, first 2 shown]
	s_sendmsg sendmsg(MSG_DEALLOC_VGPRS)
	s_endpgm
	.section	.rodata,"a",@progbits
	.p2align	6, 0x0
	.amdhsa_kernel _ZN9rocsolver6v33100L18getri_kernel_smallILi20E19rocblas_complex_numIdEPS3_EEvT1_iilPiilS6_bb
		.amdhsa_group_segment_fixed_size 1672
		.amdhsa_private_segment_fixed_size 336
		.amdhsa_kernarg_size 60
		.amdhsa_user_sgpr_count 4
		.amdhsa_user_sgpr_dispatch_ptr 1
		.amdhsa_user_sgpr_queue_ptr 0
		.amdhsa_user_sgpr_kernarg_segment_ptr 1
		.amdhsa_user_sgpr_dispatch_id 0
		.amdhsa_user_sgpr_kernarg_preload_length 0
		.amdhsa_user_sgpr_kernarg_preload_offset 0
		.amdhsa_user_sgpr_private_segment_size 0
		.amdhsa_wavefront_size32 1
		.amdhsa_uses_dynamic_stack 0
		.amdhsa_enable_private_segment 1
		.amdhsa_system_sgpr_workgroup_id_x 1
		.amdhsa_system_sgpr_workgroup_id_y 0
		.amdhsa_system_sgpr_workgroup_id_z 0
		.amdhsa_system_sgpr_workgroup_info 0
		.amdhsa_system_vgpr_workitem_id 2
		.amdhsa_next_free_vgpr 124
		.amdhsa_next_free_sgpr 36
		.amdhsa_named_barrier_count 0
		.amdhsa_reserve_vcc 1
		.amdhsa_float_round_mode_32 0
		.amdhsa_float_round_mode_16_64 0
		.amdhsa_float_denorm_mode_32 3
		.amdhsa_float_denorm_mode_16_64 3
		.amdhsa_fp16_overflow 0
		.amdhsa_memory_ordered 1
		.amdhsa_forward_progress 1
		.amdhsa_inst_pref_size 178
		.amdhsa_round_robin_scheduling 0
		.amdhsa_exception_fp_ieee_invalid_op 0
		.amdhsa_exception_fp_denorm_src 0
		.amdhsa_exception_fp_ieee_div_zero 0
		.amdhsa_exception_fp_ieee_overflow 0
		.amdhsa_exception_fp_ieee_underflow 0
		.amdhsa_exception_fp_ieee_inexact 0
		.amdhsa_exception_int_div_zero 0
	.end_amdhsa_kernel
	.section	.text._ZN9rocsolver6v33100L18getri_kernel_smallILi20E19rocblas_complex_numIdEPS3_EEvT1_iilPiilS6_bb,"axG",@progbits,_ZN9rocsolver6v33100L18getri_kernel_smallILi20E19rocblas_complex_numIdEPS3_EEvT1_iilPiilS6_bb,comdat
.Lfunc_end19:
	.size	_ZN9rocsolver6v33100L18getri_kernel_smallILi20E19rocblas_complex_numIdEPS3_EEvT1_iilPiilS6_bb, .Lfunc_end19-_ZN9rocsolver6v33100L18getri_kernel_smallILi20E19rocblas_complex_numIdEPS3_EEvT1_iilPiilS6_bb
                                        ; -- End function
	.set _ZN9rocsolver6v33100L18getri_kernel_smallILi20E19rocblas_complex_numIdEPS3_EEvT1_iilPiilS6_bb.num_vgpr, 124
	.set _ZN9rocsolver6v33100L18getri_kernel_smallILi20E19rocblas_complex_numIdEPS3_EEvT1_iilPiilS6_bb.num_agpr, 0
	.set _ZN9rocsolver6v33100L18getri_kernel_smallILi20E19rocblas_complex_numIdEPS3_EEvT1_iilPiilS6_bb.numbered_sgpr, 36
	.set _ZN9rocsolver6v33100L18getri_kernel_smallILi20E19rocblas_complex_numIdEPS3_EEvT1_iilPiilS6_bb.num_named_barrier, 0
	.set _ZN9rocsolver6v33100L18getri_kernel_smallILi20E19rocblas_complex_numIdEPS3_EEvT1_iilPiilS6_bb.private_seg_size, 336
	.set _ZN9rocsolver6v33100L18getri_kernel_smallILi20E19rocblas_complex_numIdEPS3_EEvT1_iilPiilS6_bb.uses_vcc, 1
	.set _ZN9rocsolver6v33100L18getri_kernel_smallILi20E19rocblas_complex_numIdEPS3_EEvT1_iilPiilS6_bb.uses_flat_scratch, 1
	.set _ZN9rocsolver6v33100L18getri_kernel_smallILi20E19rocblas_complex_numIdEPS3_EEvT1_iilPiilS6_bb.has_dyn_sized_stack, 0
	.set _ZN9rocsolver6v33100L18getri_kernel_smallILi20E19rocblas_complex_numIdEPS3_EEvT1_iilPiilS6_bb.has_recursion, 0
	.set _ZN9rocsolver6v33100L18getri_kernel_smallILi20E19rocblas_complex_numIdEPS3_EEvT1_iilPiilS6_bb.has_indirect_call, 0
	.section	.AMDGPU.csdata,"",@progbits
; Kernel info:
; codeLenInByte = 22664
; TotalNumSgprs: 38
; NumVgprs: 124
; ScratchSize: 336
; MemoryBound: 0
; FloatMode: 240
; IeeeMode: 1
; LDSByteSize: 1672 bytes/workgroup (compile time only)
; SGPRBlocks: 0
; VGPRBlocks: 7
; NumSGPRsForWavesPerEU: 38
; NumVGPRsForWavesPerEU: 124
; NamedBarCnt: 0
; Occupancy: 8
; WaveLimiterHint : 1
; COMPUTE_PGM_RSRC2:SCRATCH_EN: 1
; COMPUTE_PGM_RSRC2:USER_SGPR: 4
; COMPUTE_PGM_RSRC2:TRAP_HANDLER: 0
; COMPUTE_PGM_RSRC2:TGID_X_EN: 1
; COMPUTE_PGM_RSRC2:TGID_Y_EN: 0
; COMPUTE_PGM_RSRC2:TGID_Z_EN: 0
; COMPUTE_PGM_RSRC2:TIDIG_COMP_CNT: 2
	.section	.text._ZN9rocsolver6v33100L18getri_kernel_smallILi21E19rocblas_complex_numIdEPS3_EEvT1_iilPiilS6_bb,"axG",@progbits,_ZN9rocsolver6v33100L18getri_kernel_smallILi21E19rocblas_complex_numIdEPS3_EEvT1_iilPiilS6_bb,comdat
	.globl	_ZN9rocsolver6v33100L18getri_kernel_smallILi21E19rocblas_complex_numIdEPS3_EEvT1_iilPiilS6_bb ; -- Begin function _ZN9rocsolver6v33100L18getri_kernel_smallILi21E19rocblas_complex_numIdEPS3_EEvT1_iilPiilS6_bb
	.p2align	8
	.type	_ZN9rocsolver6v33100L18getri_kernel_smallILi21E19rocblas_complex_numIdEPS3_EEvT1_iilPiilS6_bb,@function
_ZN9rocsolver6v33100L18getri_kernel_smallILi21E19rocblas_complex_numIdEPS3_EEvT1_iilPiilS6_bb: ; @_ZN9rocsolver6v33100L18getri_kernel_smallILi21E19rocblas_complex_numIdEPS3_EEvT1_iilPiilS6_bb
; %bb.0:
	v_and_b32_e32 v1, 0x3ff, v0
	s_mov_b32 s4, exec_lo
	s_delay_alu instid0(VALU_DEP_1)
	v_cmpx_gt_u32_e32 21, v1
	s_cbranch_execz .LBB20_98
; %bb.1:
	s_clause 0x2
	s_load_b32 s8, s[2:3], 0x38
	s_load_b128 s[12:15], s[2:3], 0x10
	s_load_b128 s[4:7], s[2:3], 0x28
	s_getreg_b32 s11, hwreg(HW_REG_IB_STS2, 6, 4)
                                        ; implicit-def: $sgpr16_sgpr17
	s_wait_kmcnt 0x0
	s_bitcmp1_b32 s8, 8
	s_cselect_b32 s33, -1, 0
	s_bfe_u32 s9, ttmp6, 0x4000c
	s_and_b32 s10, ttmp6, 15
	s_add_co_i32 s9, s9, 1
	s_delay_alu instid0(SALU_CYCLE_1) | instskip(NEXT) | instid1(SALU_CYCLE_1)
	s_mul_i32 s9, ttmp9, s9
	s_add_co_i32 s10, s10, s9
	s_cmp_eq_u32 s11, 0
	s_cselect_b32 s18, ttmp9, s10
	s_bfe_u32 s8, s8, 0x10008
	s_ashr_i32 s19, s18, 31
	s_cmp_eq_u32 s8, 0
	s_cbranch_scc1 .LBB20_3
; %bb.2:
	s_load_b32 s8, s[2:3], 0x20
	s_mul_u64 s[4:5], s[4:5], s[18:19]
	s_delay_alu instid0(SALU_CYCLE_1) | instskip(NEXT) | instid1(SALU_CYCLE_1)
	s_lshl_b64 s[4:5], s[4:5], 2
	s_add_nc_u64 s[4:5], s[14:15], s[4:5]
	s_wait_kmcnt 0x0
	s_ashr_i32 s9, s8, 31
	s_delay_alu instid0(SALU_CYCLE_1) | instskip(NEXT) | instid1(SALU_CYCLE_1)
	s_lshl_b64 s[8:9], s[8:9], 2
	s_add_nc_u64 s[16:17], s[4:5], s[8:9]
.LBB20_3:
	s_load_b128 s[8:11], s[2:3], 0x0
	s_mul_u64 s[4:5], s[12:13], s[18:19]
	s_wait_xcnt 0x0
	s_load_b32 s2, s[2:3], 0x38
	s_lshl_b64 s[4:5], s[4:5], 4
	s_movk_i32 s15, 0x80
	s_movk_i32 s21, 0x90
	;; [unrolled: 1-line block ×14, first 2 shown]
	s_wait_xcnt 0x0
	s_mov_b32 s3, -1
	v_lshlrev_b32_e32 v56, 4, v1
	s_wait_kmcnt 0x0
	v_add3_u32 v18, s11, s11, v1
	s_ashr_i32 s13, s10, 31
	s_mov_b32 s12, s10
	s_add_nc_u64 s[4:5], s[8:9], s[4:5]
	s_lshl_b64 s[8:9], s[12:13], 4
	v_add_nc_u32_e32 v20, s11, v18
	s_add_nc_u64 s[4:5], s[4:5], s[8:9]
	s_ashr_i32 s9, s11, 31
	s_mov_b32 s8, s11
	s_mov_b32 s10, 64
	v_add_nc_u32_e32 v22, s11, v20
	s_mov_b32 s12, s15
	s_mov_b32 s13, s21
	;; [unrolled: 1-line block ×4, first 2 shown]
	v_add_nc_u32_e32 v24, s11, v22
	s_mov_b32 s23, s25
	s_mov_b32 s25, s26
	s_movk_i32 s26, 0x100
	s_movk_i32 s24, 0x130
	v_add_nc_u32_e32 v26, s11, v24
	s_clause 0x1
	global_load_b128 v[2:5], v18, s[4:5] scale_offset
	global_load_b128 v[6:9], v20, s[4:5] scale_offset
	s_bitcmp0_b32 s2, 0
	v_dual_mov_b32 v57, 0 :: v_dual_add_nc_u32 v28, s11, v26
	s_delay_alu instid0(VALU_DEP_1) | instskip(NEXT) | instid1(VALU_DEP_2)
	v_add_nc_u64_e32 v[14:15], s[4:5], v[56:57]
	v_add_nc_u32_e32 v30, s11, v28
	s_delay_alu instid0(VALU_DEP_1) | instskip(NEXT) | instid1(VALU_DEP_3)
	v_add_nc_u32_e32 v32, s11, v30
	v_lshl_add_u64 v[16:17], s[8:9], 4, v[14:15]
	s_mov_b32 s8, 32
	s_mov_b32 s9, 48
	s_clause 0x1
	global_load_b128 v[10:13], v1, s[4:5] scale_offset
	global_load_b128 v[58:61], v[16:17], off
	v_add_nc_u32_e32 v34, s11, v32
	s_clause 0x3
	global_load_b128 v[62:65], v22, s[4:5] scale_offset
	global_load_b128 v[66:69], v24, s[4:5] scale_offset
	;; [unrolled: 1-line block ×4, first 2 shown]
	v_add_nc_u32_e32 v36, s11, v34
	s_delay_alu instid0(VALU_DEP_1) | instskip(NEXT) | instid1(VALU_DEP_1)
	v_add_nc_u32_e32 v38, s11, v36
	v_add_nc_u32_e32 v40, s11, v38
	s_delay_alu instid0(VALU_DEP_1)
	v_add_nc_u32_e32 v42, s11, v40
	s_clause 0x3
	global_load_b128 v[78:81], v30, s[4:5] scale_offset
	global_load_b128 v[82:85], v32, s[4:5] scale_offset
	;; [unrolled: 1-line block ×4, first 2 shown]
	v_add_nc_u32_e32 v44, s11, v42
	s_delay_alu instid0(VALU_DEP_1)
	v_add_nc_u32_e32 v46, s11, v44
	s_clause 0x3
	global_load_b128 v[94:97], v38, s[4:5] scale_offset
	global_load_b128 v[98:101], v40, s[4:5] scale_offset
	;; [unrolled: 1-line block ×4, first 2 shown]
	v_add_nc_u32_e32 v48, s11, v46
	s_delay_alu instid0(VALU_DEP_1) | instskip(NEXT) | instid1(VALU_DEP_1)
	v_add_nc_u32_e32 v50, s11, v48
	v_add_nc_u32_e32 v52, s11, v50
	s_delay_alu instid0(VALU_DEP_1)
	v_add_nc_u32_e32 v54, s11, v52
	s_clause 0x1
	global_load_b128 v[110:113], v46, s[4:5] scale_offset
	global_load_b128 v[114:117], v48, s[4:5] scale_offset
	s_mov_b32 s11, 16
	s_wait_loadcnt 0x11
	scratch_store_b128 off, v[2:5], off offset:32
	s_clause 0x1
	global_load_b128 v[2:5], v50, s[4:5] scale_offset
	global_load_b128 v[118:121], v52, s[4:5] scale_offset
	s_wait_loadcnt 0x12
	scratch_store_b128 off, v[6:9], off offset:48
	global_load_b128 v[6:9], v54, s[4:5] scale_offset
	s_wait_loadcnt 0x12
	scratch_store_b128 off, v[10:13], off
	s_wait_loadcnt 0x11
	scratch_store_b128 off, v[58:61], off offset:16
	s_wait_loadcnt 0x10
	scratch_store_b128 off, v[62:65], off offset:64
	;; [unrolled: 2-line block ×18, first 2 shown]
	s_cbranch_scc1 .LBB20_96
; %bb.4:
	v_cmp_eq_u32_e64 s2, 0, v1
	s_wait_xcnt 0x0
	s_and_saveexec_b32 s3, s2
; %bb.5:
	v_mov_b32_e32 v2, 0
	ds_store_b32 v2, v2 offset:672
; %bb.6:
	s_or_b32 exec_lo, exec_lo, s3
	s_wait_storecnt_dscnt 0x0
	s_barrier_signal -1
	s_barrier_wait -1
	scratch_load_b128 v[2:5], v1, off scale_offset
	s_wait_loadcnt 0x0
	v_cmp_eq_f64_e32 vcc_lo, 0, v[2:3]
	v_cmp_eq_f64_e64 s3, 0, v[4:5]
	s_and_b32 s3, vcc_lo, s3
	s_delay_alu instid0(SALU_CYCLE_1)
	s_and_saveexec_b32 s34, s3
	s_cbranch_execz .LBB20_10
; %bb.7:
	v_mov_b32_e32 v2, 0
	s_mov_b32 s35, 0
	ds_load_b32 v3, v2 offset:672
	s_wait_dscnt 0x0
	v_readfirstlane_b32 s3, v3
	v_add_nc_u32_e32 v3, 1, v1
	s_cmp_eq_u32 s3, 0
	s_delay_alu instid0(VALU_DEP_1) | instskip(SKIP_1) | instid1(SALU_CYCLE_1)
	v_cmp_gt_i32_e32 vcc_lo, s3, v3
	s_cselect_b32 s36, -1, 0
	s_or_b32 s36, s36, vcc_lo
	s_delay_alu instid0(SALU_CYCLE_1)
	s_and_b32 exec_lo, exec_lo, s36
	s_cbranch_execz .LBB20_10
; %bb.8:
	v_mov_b32_e32 v4, s3
.LBB20_9:                               ; =>This Inner Loop Header: Depth=1
	ds_cmpstore_rtn_b32 v4, v2, v3, v4 offset:672
	s_wait_dscnt 0x0
	v_cmp_ne_u32_e32 vcc_lo, 0, v4
	v_cmp_le_i32_e64 s3, v4, v3
	s_and_b32 s3, vcc_lo, s3
	s_delay_alu instid0(SALU_CYCLE_1) | instskip(NEXT) | instid1(SALU_CYCLE_1)
	s_and_b32 s3, exec_lo, s3
	s_or_b32 s35, s3, s35
	s_delay_alu instid0(SALU_CYCLE_1)
	s_and_not1_b32 exec_lo, exec_lo, s35
	s_cbranch_execnz .LBB20_9
.LBB20_10:
	s_or_b32 exec_lo, exec_lo, s34
	v_mov_b32_e32 v2, 0
	s_barrier_signal -1
	s_barrier_wait -1
	ds_load_b32 v3, v2 offset:672
	s_and_saveexec_b32 s3, s2
	s_cbranch_execz .LBB20_12
; %bb.11:
	s_lshl_b64 s[34:35], s[18:19], 2
	s_delay_alu instid0(SALU_CYCLE_1)
	s_add_nc_u64 s[34:35], s[6:7], s[34:35]
	s_wait_dscnt 0x0
	global_store_b32 v2, v3, s[34:35]
.LBB20_12:
	s_wait_xcnt 0x0
	s_or_b32 exec_lo, exec_lo, s3
	s_wait_dscnt 0x0
	v_cmp_ne_u32_e32 vcc_lo, 0, v3
	s_mov_b32 s3, 0
	s_cbranch_vccnz .LBB20_96
; %bb.13:
	v_lshl_add_u32 v19, v1, 4, 0
                                        ; implicit-def: $vgpr6_vgpr7
                                        ; implicit-def: $vgpr10_vgpr11
	scratch_load_b128 v[2:5], v19, off
	s_wait_loadcnt 0x0
	v_cmp_ngt_f64_e64 s3, |v[2:3]|, |v[4:5]|
	s_wait_xcnt 0x0
	s_and_saveexec_b32 s34, s3
	s_delay_alu instid0(SALU_CYCLE_1)
	s_xor_b32 s3, exec_lo, s34
	s_cbranch_execz .LBB20_15
; %bb.14:
	v_div_scale_f64 v[6:7], null, v[4:5], v[4:5], v[2:3]
	v_div_scale_f64 v[12:13], vcc_lo, v[2:3], v[4:5], v[2:3]
	s_delay_alu instid0(VALU_DEP_2) | instskip(SKIP_1) | instid1(TRANS32_DEP_1)
	v_rcp_f64_e32 v[8:9], v[6:7]
	v_nop
	v_fma_f64 v[10:11], -v[6:7], v[8:9], 1.0
	s_delay_alu instid0(VALU_DEP_1) | instskip(NEXT) | instid1(VALU_DEP_1)
	v_fmac_f64_e32 v[8:9], v[8:9], v[10:11]
	v_fma_f64 v[10:11], -v[6:7], v[8:9], 1.0
	s_delay_alu instid0(VALU_DEP_1) | instskip(NEXT) | instid1(VALU_DEP_1)
	v_fmac_f64_e32 v[8:9], v[8:9], v[10:11]
	v_mul_f64_e32 v[10:11], v[12:13], v[8:9]
	s_delay_alu instid0(VALU_DEP_1) | instskip(NEXT) | instid1(VALU_DEP_1)
	v_fma_f64 v[6:7], -v[6:7], v[10:11], v[12:13]
	v_div_fmas_f64 v[6:7], v[6:7], v[8:9], v[10:11]
	s_delay_alu instid0(VALU_DEP_1) | instskip(NEXT) | instid1(VALU_DEP_1)
	v_div_fixup_f64 v[6:7], v[6:7], v[4:5], v[2:3]
	v_fmac_f64_e32 v[4:5], v[2:3], v[6:7]
	s_delay_alu instid0(VALU_DEP_1) | instskip(SKIP_1) | instid1(VALU_DEP_2)
	v_div_scale_f64 v[2:3], null, v[4:5], v[4:5], 1.0
	v_div_scale_f64 v[12:13], vcc_lo, 1.0, v[4:5], 1.0
	v_rcp_f64_e32 v[8:9], v[2:3]
	v_nop
	s_delay_alu instid0(TRANS32_DEP_1) | instskip(NEXT) | instid1(VALU_DEP_1)
	v_fma_f64 v[10:11], -v[2:3], v[8:9], 1.0
	v_fmac_f64_e32 v[8:9], v[8:9], v[10:11]
	s_delay_alu instid0(VALU_DEP_1) | instskip(NEXT) | instid1(VALU_DEP_1)
	v_fma_f64 v[10:11], -v[2:3], v[8:9], 1.0
	v_fmac_f64_e32 v[8:9], v[8:9], v[10:11]
	s_delay_alu instid0(VALU_DEP_1) | instskip(NEXT) | instid1(VALU_DEP_1)
	v_mul_f64_e32 v[10:11], v[12:13], v[8:9]
	v_fma_f64 v[2:3], -v[2:3], v[10:11], v[12:13]
	s_delay_alu instid0(VALU_DEP_1) | instskip(NEXT) | instid1(VALU_DEP_1)
	v_div_fmas_f64 v[2:3], v[2:3], v[8:9], v[10:11]
	v_div_fixup_f64 v[8:9], v[2:3], v[4:5], 1.0
                                        ; implicit-def: $vgpr2_vgpr3
	s_delay_alu instid0(VALU_DEP_1) | instskip(SKIP_1) | instid1(VALU_DEP_2)
	v_mul_f64_e32 v[6:7], v[6:7], v[8:9]
	v_xor_b32_e32 v9, 0x80000000, v9
	v_xor_b32_e32 v11, 0x80000000, v7
	s_delay_alu instid0(VALU_DEP_3)
	v_mov_b32_e32 v10, v6
.LBB20_15:
	s_and_not1_saveexec_b32 s3, s3
	s_cbranch_execz .LBB20_17
; %bb.16:
	v_div_scale_f64 v[6:7], null, v[2:3], v[2:3], v[4:5]
	v_div_scale_f64 v[12:13], vcc_lo, v[4:5], v[2:3], v[4:5]
	s_delay_alu instid0(VALU_DEP_2) | instskip(SKIP_1) | instid1(TRANS32_DEP_1)
	v_rcp_f64_e32 v[8:9], v[6:7]
	v_nop
	v_fma_f64 v[10:11], -v[6:7], v[8:9], 1.0
	s_delay_alu instid0(VALU_DEP_1) | instskip(NEXT) | instid1(VALU_DEP_1)
	v_fmac_f64_e32 v[8:9], v[8:9], v[10:11]
	v_fma_f64 v[10:11], -v[6:7], v[8:9], 1.0
	s_delay_alu instid0(VALU_DEP_1) | instskip(NEXT) | instid1(VALU_DEP_1)
	v_fmac_f64_e32 v[8:9], v[8:9], v[10:11]
	v_mul_f64_e32 v[10:11], v[12:13], v[8:9]
	s_delay_alu instid0(VALU_DEP_1) | instskip(NEXT) | instid1(VALU_DEP_1)
	v_fma_f64 v[6:7], -v[6:7], v[10:11], v[12:13]
	v_div_fmas_f64 v[6:7], v[6:7], v[8:9], v[10:11]
	s_delay_alu instid0(VALU_DEP_1) | instskip(NEXT) | instid1(VALU_DEP_1)
	v_div_fixup_f64 v[8:9], v[6:7], v[2:3], v[4:5]
	v_fmac_f64_e32 v[2:3], v[4:5], v[8:9]
	s_delay_alu instid0(VALU_DEP_1) | instskip(NEXT) | instid1(VALU_DEP_1)
	v_div_scale_f64 v[4:5], null, v[2:3], v[2:3], 1.0
	v_rcp_f64_e32 v[6:7], v[4:5]
	v_nop
	s_delay_alu instid0(TRANS32_DEP_1) | instskip(NEXT) | instid1(VALU_DEP_1)
	v_fma_f64 v[10:11], -v[4:5], v[6:7], 1.0
	v_fmac_f64_e32 v[6:7], v[6:7], v[10:11]
	s_delay_alu instid0(VALU_DEP_1) | instskip(NEXT) | instid1(VALU_DEP_1)
	v_fma_f64 v[10:11], -v[4:5], v[6:7], 1.0
	v_fmac_f64_e32 v[6:7], v[6:7], v[10:11]
	v_div_scale_f64 v[10:11], vcc_lo, 1.0, v[2:3], 1.0
	s_delay_alu instid0(VALU_DEP_1) | instskip(NEXT) | instid1(VALU_DEP_1)
	v_mul_f64_e32 v[12:13], v[10:11], v[6:7]
	v_fma_f64 v[4:5], -v[4:5], v[12:13], v[10:11]
	s_delay_alu instid0(VALU_DEP_1) | instskip(NEXT) | instid1(VALU_DEP_1)
	v_div_fmas_f64 v[4:5], v[4:5], v[6:7], v[12:13]
	v_div_fixup_f64 v[6:7], v[4:5], v[2:3], 1.0
	s_delay_alu instid0(VALU_DEP_1)
	v_mul_f64_e64 v[8:9], v[8:9], -v[6:7]
	v_xor_b32_e32 v11, 0x80000000, v7
	v_mov_b32_e32 v10, v6
.LBB20_17:
	s_or_b32 exec_lo, exec_lo, s3
	s_clause 0x1
	scratch_store_b128 v19, v[6:9], off
	scratch_load_b128 v[2:5], off, s11
	v_xor_b32_e32 v13, 0x80000000, v9
	v_mov_b32_e32 v12, v8
	s_wait_xcnt 0x1
	v_add_nc_u32_e32 v6, 0x150, v56
	ds_store_b128 v56, v[10:13]
	s_wait_loadcnt 0x0
	ds_store_b128 v56, v[2:5] offset:336
	s_wait_storecnt_dscnt 0x0
	s_barrier_signal -1
	s_barrier_wait -1
	s_wait_xcnt 0x0
	s_and_saveexec_b32 s3, s2
	s_cbranch_execz .LBB20_19
; %bb.18:
	scratch_load_b128 v[2:5], v19, off
	ds_load_b128 v[8:11], v6
	v_mov_b32_e32 v7, 0
	ds_load_b128 v[58:61], v7 offset:16
	s_wait_loadcnt_dscnt 0x1
	v_mul_f64_e32 v[12:13], v[8:9], v[4:5]
	v_mul_f64_e32 v[4:5], v[10:11], v[4:5]
	s_delay_alu instid0(VALU_DEP_2) | instskip(NEXT) | instid1(VALU_DEP_2)
	v_fmac_f64_e32 v[12:13], v[10:11], v[2:3]
	v_fma_f64 v[2:3], v[8:9], v[2:3], -v[4:5]
	s_delay_alu instid0(VALU_DEP_2) | instskip(NEXT) | instid1(VALU_DEP_2)
	v_add_f64_e32 v[8:9], 0, v[12:13]
	v_add_f64_e32 v[2:3], 0, v[2:3]
	s_wait_dscnt 0x0
	s_delay_alu instid0(VALU_DEP_2) | instskip(NEXT) | instid1(VALU_DEP_2)
	v_mul_f64_e32 v[10:11], v[8:9], v[60:61]
	v_mul_f64_e32 v[4:5], v[2:3], v[60:61]
	s_delay_alu instid0(VALU_DEP_2) | instskip(NEXT) | instid1(VALU_DEP_2)
	v_fma_f64 v[2:3], v[2:3], v[58:59], -v[10:11]
	v_fmac_f64_e32 v[4:5], v[8:9], v[58:59]
	scratch_store_b128 off, v[2:5], off offset:16
.LBB20_19:
	s_wait_xcnt 0x0
	s_or_b32 exec_lo, exec_lo, s3
	s_wait_storecnt 0x0
	s_barrier_signal -1
	s_barrier_wait -1
	scratch_load_b128 v[2:5], off, s8
	s_mov_b32 s3, exec_lo
	s_wait_loadcnt 0x0
	ds_store_b128 v6, v[2:5]
	s_wait_dscnt 0x0
	s_barrier_signal -1
	s_barrier_wait -1
	v_cmpx_gt_u32_e32 2, v1
	s_cbranch_execz .LBB20_23
; %bb.20:
	scratch_load_b128 v[2:5], v19, off
	ds_load_b128 v[8:11], v6
	s_wait_loadcnt_dscnt 0x0
	v_mul_f64_e32 v[12:13], v[10:11], v[4:5]
	v_mul_f64_e32 v[58:59], v[8:9], v[4:5]
	s_delay_alu instid0(VALU_DEP_2) | instskip(NEXT) | instid1(VALU_DEP_2)
	v_fma_f64 v[4:5], v[8:9], v[2:3], -v[12:13]
	v_fmac_f64_e32 v[58:59], v[10:11], v[2:3]
	s_delay_alu instid0(VALU_DEP_2) | instskip(NEXT) | instid1(VALU_DEP_2)
	v_add_f64_e32 v[4:5], 0, v[4:5]
	v_add_f64_e32 v[2:3], 0, v[58:59]
	s_and_saveexec_b32 s34, s2
	s_cbranch_execz .LBB20_22
; %bb.21:
	scratch_load_b128 v[8:11], off, off offset:16
	v_mov_b32_e32 v7, 0
	ds_load_b128 v[58:61], v7 offset:352
	s_wait_loadcnt_dscnt 0x0
	v_mul_f64_e32 v[12:13], v[58:59], v[10:11]
	v_mul_f64_e32 v[10:11], v[60:61], v[10:11]
	s_delay_alu instid0(VALU_DEP_2) | instskip(NEXT) | instid1(VALU_DEP_2)
	v_fmac_f64_e32 v[12:13], v[60:61], v[8:9]
	v_fma_f64 v[8:9], v[58:59], v[8:9], -v[10:11]
	s_delay_alu instid0(VALU_DEP_2) | instskip(NEXT) | instid1(VALU_DEP_2)
	v_add_f64_e32 v[2:3], v[2:3], v[12:13]
	v_add_f64_e32 v[4:5], v[4:5], v[8:9]
.LBB20_22:
	s_or_b32 exec_lo, exec_lo, s34
	v_mov_b32_e32 v7, 0
	ds_load_b128 v[8:11], v7 offset:32
	s_wait_dscnt 0x0
	v_mul_f64_e32 v[58:59], v[2:3], v[10:11]
	v_mul_f64_e32 v[12:13], v[4:5], v[10:11]
	s_delay_alu instid0(VALU_DEP_2) | instskip(NEXT) | instid1(VALU_DEP_2)
	v_fma_f64 v[10:11], v[4:5], v[8:9], -v[58:59]
	v_fmac_f64_e32 v[12:13], v[2:3], v[8:9]
	scratch_store_b128 off, v[10:13], off offset:32
.LBB20_23:
	s_wait_xcnt 0x0
	s_or_b32 exec_lo, exec_lo, s3
	s_wait_storecnt 0x0
	s_barrier_signal -1
	s_barrier_wait -1
	scratch_load_b128 v[2:5], off, s9
	v_add_nc_u32_e32 v7, -1, v1
	s_mov_b32 s2, exec_lo
	s_wait_loadcnt 0x0
	ds_store_b128 v6, v[2:5]
	s_wait_dscnt 0x0
	s_barrier_signal -1
	s_barrier_wait -1
	v_cmpx_gt_u32_e32 3, v1
	s_cbranch_execz .LBB20_27
; %bb.24:
	v_dual_mov_b32 v10, v56 :: v_dual_add_nc_u32 v8, -1, v1
	v_mov_b64_e32 v[2:3], 0
	v_mov_b64_e32 v[4:5], 0
	v_add_nc_u32_e32 v9, 0x150, v56
	s_delay_alu instid0(VALU_DEP_4)
	v_or_b32_e32 v10, 8, v10
	s_mov_b32 s3, 0
.LBB20_25:                              ; =>This Inner Loop Header: Depth=1
	scratch_load_b128 v[58:61], v10, off offset:-8
	ds_load_b128 v[62:65], v9
	s_wait_xcnt 0x0
	v_dual_add_nc_u32 v9, 16, v9 :: v_dual_add_nc_u32 v10, 16, v10
	v_add_nc_u32_e32 v8, 1, v8
	s_delay_alu instid0(VALU_DEP_1) | instskip(SKIP_4) | instid1(VALU_DEP_2)
	v_cmp_lt_u32_e32 vcc_lo, 1, v8
	s_or_b32 s3, vcc_lo, s3
	s_wait_loadcnt_dscnt 0x0
	v_mul_f64_e32 v[12:13], v[64:65], v[60:61]
	v_mul_f64_e32 v[60:61], v[62:63], v[60:61]
	v_fma_f64 v[12:13], v[62:63], v[58:59], -v[12:13]
	s_delay_alu instid0(VALU_DEP_2) | instskip(NEXT) | instid1(VALU_DEP_2)
	v_fmac_f64_e32 v[60:61], v[64:65], v[58:59]
	v_add_f64_e32 v[4:5], v[4:5], v[12:13]
	s_delay_alu instid0(VALU_DEP_2)
	v_add_f64_e32 v[2:3], v[2:3], v[60:61]
	s_and_not1_b32 exec_lo, exec_lo, s3
	s_cbranch_execnz .LBB20_25
; %bb.26:
	s_or_b32 exec_lo, exec_lo, s3
	v_mov_b32_e32 v8, 0
	ds_load_b128 v[8:11], v8 offset:48
	s_wait_dscnt 0x0
	v_mul_f64_e32 v[58:59], v[2:3], v[10:11]
	v_mul_f64_e32 v[12:13], v[4:5], v[10:11]
	s_delay_alu instid0(VALU_DEP_2) | instskip(NEXT) | instid1(VALU_DEP_2)
	v_fma_f64 v[10:11], v[4:5], v[8:9], -v[58:59]
	v_fmac_f64_e32 v[12:13], v[2:3], v[8:9]
	scratch_store_b128 off, v[10:13], off offset:48
.LBB20_27:
	s_wait_xcnt 0x0
	s_or_b32 exec_lo, exec_lo, s2
	s_wait_storecnt 0x0
	s_barrier_signal -1
	s_barrier_wait -1
	scratch_load_b128 v[2:5], off, s10
	s_mov_b32 s2, exec_lo
	s_wait_loadcnt 0x0
	ds_store_b128 v6, v[2:5]
	s_wait_dscnt 0x0
	s_barrier_signal -1
	s_barrier_wait -1
	v_cmpx_gt_u32_e32 4, v1
	s_cbranch_execz .LBB20_31
; %bb.28:
	v_dual_mov_b32 v10, v56 :: v_dual_add_nc_u32 v8, -1, v1
	v_mov_b64_e32 v[2:3], 0
	v_mov_b64_e32 v[4:5], 0
	v_add_nc_u32_e32 v9, 0x150, v56
	s_delay_alu instid0(VALU_DEP_4)
	v_or_b32_e32 v10, 8, v10
	s_mov_b32 s3, 0
.LBB20_29:                              ; =>This Inner Loop Header: Depth=1
	scratch_load_b128 v[58:61], v10, off offset:-8
	ds_load_b128 v[62:65], v9
	s_wait_xcnt 0x0
	v_dual_add_nc_u32 v9, 16, v9 :: v_dual_add_nc_u32 v10, 16, v10
	v_add_nc_u32_e32 v8, 1, v8
	s_delay_alu instid0(VALU_DEP_1) | instskip(SKIP_4) | instid1(VALU_DEP_2)
	v_cmp_lt_u32_e32 vcc_lo, 2, v8
	s_or_b32 s3, vcc_lo, s3
	s_wait_loadcnt_dscnt 0x0
	v_mul_f64_e32 v[12:13], v[64:65], v[60:61]
	v_mul_f64_e32 v[60:61], v[62:63], v[60:61]
	v_fma_f64 v[12:13], v[62:63], v[58:59], -v[12:13]
	s_delay_alu instid0(VALU_DEP_2) | instskip(NEXT) | instid1(VALU_DEP_2)
	v_fmac_f64_e32 v[60:61], v[64:65], v[58:59]
	v_add_f64_e32 v[4:5], v[4:5], v[12:13]
	s_delay_alu instid0(VALU_DEP_2)
	v_add_f64_e32 v[2:3], v[2:3], v[60:61]
	s_and_not1_b32 exec_lo, exec_lo, s3
	s_cbranch_execnz .LBB20_29
; %bb.30:
	s_or_b32 exec_lo, exec_lo, s3
	v_mov_b32_e32 v8, 0
	ds_load_b128 v[8:11], v8 offset:64
	s_wait_dscnt 0x0
	v_mul_f64_e32 v[58:59], v[2:3], v[10:11]
	v_mul_f64_e32 v[12:13], v[4:5], v[10:11]
	s_delay_alu instid0(VALU_DEP_2) | instskip(NEXT) | instid1(VALU_DEP_2)
	v_fma_f64 v[10:11], v[4:5], v[8:9], -v[58:59]
	v_fmac_f64_e32 v[12:13], v[2:3], v[8:9]
	scratch_store_b128 off, v[10:13], off offset:64
.LBB20_31:
	s_wait_xcnt 0x0
	s_or_b32 exec_lo, exec_lo, s2
	s_wait_storecnt 0x0
	s_barrier_signal -1
	s_barrier_wait -1
	scratch_load_b128 v[2:5], off, s14
	;; [unrolled: 54-line block ×17, first 2 shown]
	s_mov_b32 s2, exec_lo
	s_wait_loadcnt 0x0
	ds_store_b128 v6, v[2:5]
	s_wait_dscnt 0x0
	s_barrier_signal -1
	s_barrier_wait -1
	v_cmpx_ne_u32_e32 20, v1
	s_cbranch_execz .LBB20_95
; %bb.92:
	v_mov_b32_e32 v8, v56
	v_mov_b64_e32 v[2:3], 0
	v_mov_b64_e32 v[4:5], 0
	s_mov_b32 s3, 0
	s_delay_alu instid0(VALU_DEP_3)
	v_or_b32_e32 v8, 8, v8
.LBB20_93:                              ; =>This Inner Loop Header: Depth=1
	scratch_load_b128 v[10:13], v8, off offset:-8
	ds_load_b128 v[56:59], v6
	v_dual_add_nc_u32 v7, 1, v7 :: v_dual_add_nc_u32 v6, 16, v6
	s_wait_xcnt 0x0
	v_add_nc_u32_e32 v8, 16, v8
	s_delay_alu instid0(VALU_DEP_2) | instskip(SKIP_4) | instid1(VALU_DEP_2)
	v_cmp_lt_u32_e32 vcc_lo, 18, v7
	s_or_b32 s3, vcc_lo, s3
	s_wait_loadcnt_dscnt 0x0
	v_mul_f64_e32 v[60:61], v[58:59], v[12:13]
	v_mul_f64_e32 v[12:13], v[56:57], v[12:13]
	v_fma_f64 v[56:57], v[56:57], v[10:11], -v[60:61]
	s_delay_alu instid0(VALU_DEP_2) | instskip(NEXT) | instid1(VALU_DEP_2)
	v_fmac_f64_e32 v[12:13], v[58:59], v[10:11]
	v_add_f64_e32 v[4:5], v[4:5], v[56:57]
	s_delay_alu instid0(VALU_DEP_2)
	v_add_f64_e32 v[2:3], v[2:3], v[12:13]
	s_and_not1_b32 exec_lo, exec_lo, s3
	s_cbranch_execnz .LBB20_93
; %bb.94:
	s_or_b32 exec_lo, exec_lo, s3
	v_mov_b32_e32 v6, 0
	ds_load_b128 v[6:9], v6 offset:320
	s_wait_dscnt 0x0
	v_mul_f64_e32 v[12:13], v[2:3], v[8:9]
	v_mul_f64_e32 v[10:11], v[4:5], v[8:9]
	s_delay_alu instid0(VALU_DEP_2) | instskip(NEXT) | instid1(VALU_DEP_2)
	v_fma_f64 v[8:9], v[4:5], v[6:7], -v[12:13]
	v_fmac_f64_e32 v[10:11], v[2:3], v[6:7]
	scratch_store_b128 off, v[8:11], off offset:320
.LBB20_95:
	s_wait_xcnt 0x0
	s_or_b32 exec_lo, exec_lo, s2
	s_mov_b32 s3, -1
	s_wait_storecnt 0x0
	s_barrier_signal -1
	s_barrier_wait -1
.LBB20_96:
	s_and_b32 vcc_lo, exec_lo, s3
	s_cbranch_vccz .LBB20_98
; %bb.97:
	s_wait_xcnt 0x2
	v_mov_b32_e32 v2, 0
	s_lshl_b64 s[2:3], s[18:19], 2
	s_delay_alu instid0(SALU_CYCLE_1)
	s_add_nc_u64 s[2:3], s[6:7], s[2:3]
	global_load_b32 v2, v2, s[2:3]
	s_wait_loadcnt 0x0
	v_cmp_ne_u32_e32 vcc_lo, 0, v2
	s_cbranch_vccz .LBB20_99
.LBB20_98:
	s_sendmsg sendmsg(MSG_DEALLOC_VGPRS)
	s_endpgm
.LBB20_99:
	s_wait_xcnt 0x1
	v_lshl_add_u32 v6, v1, 4, 0x150
	s_wait_xcnt 0x0
	s_mov_b32 s2, exec_lo
	v_cmpx_eq_u32_e32 20, v1
	s_cbranch_execz .LBB20_101
; %bb.100:
	scratch_load_b128 v[2:5], off, s24
	v_mov_b32_e32 v8, 0
	s_delay_alu instid0(VALU_DEP_1)
	v_dual_mov_b32 v9, v8 :: v_dual_mov_b32 v10, v8
	v_mov_b32_e32 v11, v8
	scratch_store_b128 off, v[8:11], off offset:304
	s_wait_loadcnt 0x0
	ds_store_b128 v6, v[2:5]
.LBB20_101:
	s_wait_xcnt 0x0
	s_or_b32 exec_lo, exec_lo, s2
	s_wait_storecnt_dscnt 0x0
	s_barrier_signal -1
	s_barrier_wait -1
	s_clause 0x1
	scratch_load_b128 v[8:11], off, off offset:320
	scratch_load_b128 v[56:59], off, off offset:304
	v_mov_b32_e32 v2, 0
	s_mov_b32 s2, exec_lo
	ds_load_b128 v[60:63], v2 offset:656
	s_wait_loadcnt_dscnt 0x100
	v_mul_f64_e32 v[4:5], v[62:63], v[10:11]
	v_mul_f64_e32 v[10:11], v[60:61], v[10:11]
	s_delay_alu instid0(VALU_DEP_2) | instskip(NEXT) | instid1(VALU_DEP_2)
	v_fma_f64 v[4:5], v[60:61], v[8:9], -v[4:5]
	v_fmac_f64_e32 v[10:11], v[62:63], v[8:9]
	s_delay_alu instid0(VALU_DEP_2) | instskip(NEXT) | instid1(VALU_DEP_2)
	v_add_f64_e32 v[4:5], 0, v[4:5]
	v_add_f64_e32 v[10:11], 0, v[10:11]
	s_wait_loadcnt 0x0
	s_delay_alu instid0(VALU_DEP_2) | instskip(NEXT) | instid1(VALU_DEP_2)
	v_add_f64_e64 v[8:9], v[56:57], -v[4:5]
	v_add_f64_e64 v[10:11], v[58:59], -v[10:11]
	scratch_store_b128 off, v[8:11], off offset:304
	s_wait_xcnt 0x0
	v_cmpx_lt_u32_e32 18, v1
	s_cbranch_execz .LBB20_103
; %bb.102:
	scratch_load_b128 v[8:11], off, s30
	v_dual_mov_b32 v3, v2 :: v_dual_mov_b32 v4, v2
	v_mov_b32_e32 v5, v2
	scratch_store_b128 off, v[2:5], off offset:288
	s_wait_loadcnt 0x0
	ds_store_b128 v6, v[8:11]
.LBB20_103:
	s_wait_xcnt 0x0
	s_or_b32 exec_lo, exec_lo, s2
	s_wait_storecnt_dscnt 0x0
	s_barrier_signal -1
	s_barrier_wait -1
	s_clause 0x2
	scratch_load_b128 v[8:11], off, off offset:304
	scratch_load_b128 v[56:59], off, off offset:320
	;; [unrolled: 1-line block ×3, first 2 shown]
	ds_load_b128 v[64:67], v2 offset:640
	ds_load_b128 v[2:5], v2 offset:656
	s_mov_b32 s2, exec_lo
	s_wait_loadcnt_dscnt 0x201
	v_mul_f64_e32 v[12:13], v[66:67], v[10:11]
	v_mul_f64_e32 v[10:11], v[64:65], v[10:11]
	s_wait_loadcnt_dscnt 0x100
	v_mul_f64_e32 v[68:69], v[2:3], v[58:59]
	v_mul_f64_e32 v[58:59], v[4:5], v[58:59]
	s_delay_alu instid0(VALU_DEP_4) | instskip(NEXT) | instid1(VALU_DEP_4)
	v_fma_f64 v[12:13], v[64:65], v[8:9], -v[12:13]
	v_fmac_f64_e32 v[10:11], v[66:67], v[8:9]
	s_delay_alu instid0(VALU_DEP_4) | instskip(NEXT) | instid1(VALU_DEP_4)
	v_fmac_f64_e32 v[68:69], v[4:5], v[56:57]
	v_fma_f64 v[2:3], v[2:3], v[56:57], -v[58:59]
	s_delay_alu instid0(VALU_DEP_4) | instskip(NEXT) | instid1(VALU_DEP_4)
	v_add_f64_e32 v[4:5], 0, v[12:13]
	v_add_f64_e32 v[8:9], 0, v[10:11]
	s_delay_alu instid0(VALU_DEP_2) | instskip(NEXT) | instid1(VALU_DEP_2)
	v_add_f64_e32 v[2:3], v[4:5], v[2:3]
	v_add_f64_e32 v[4:5], v[8:9], v[68:69]
	s_wait_loadcnt 0x0
	s_delay_alu instid0(VALU_DEP_2) | instskip(NEXT) | instid1(VALU_DEP_2)
	v_add_f64_e64 v[2:3], v[60:61], -v[2:3]
	v_add_f64_e64 v[4:5], v[62:63], -v[4:5]
	scratch_store_b128 off, v[2:5], off offset:288
	s_wait_xcnt 0x0
	v_cmpx_lt_u32_e32 17, v1
	s_cbranch_execz .LBB20_105
; %bb.104:
	scratch_load_b128 v[2:5], off, s27
	v_mov_b32_e32 v8, 0
	s_delay_alu instid0(VALU_DEP_1)
	v_dual_mov_b32 v9, v8 :: v_dual_mov_b32 v10, v8
	v_mov_b32_e32 v11, v8
	scratch_store_b128 off, v[8:11], off offset:272
	s_wait_loadcnt 0x0
	ds_store_b128 v6, v[2:5]
.LBB20_105:
	s_wait_xcnt 0x0
	s_or_b32 exec_lo, exec_lo, s2
	s_wait_storecnt_dscnt 0x0
	s_barrier_signal -1
	s_barrier_wait -1
	s_clause 0x3
	scratch_load_b128 v[8:11], off, off offset:288
	scratch_load_b128 v[56:59], off, off offset:304
	;; [unrolled: 1-line block ×4, first 2 shown]
	v_mov_b32_e32 v2, 0
	ds_load_b128 v[68:71], v2 offset:624
	ds_load_b128 v[72:75], v2 offset:640
	s_mov_b32 s2, exec_lo
	s_wait_loadcnt_dscnt 0x301
	v_mul_f64_e32 v[4:5], v[70:71], v[10:11]
	v_mul_f64_e32 v[12:13], v[68:69], v[10:11]
	s_wait_loadcnt_dscnt 0x200
	v_mul_f64_e32 v[76:77], v[72:73], v[58:59]
	v_mul_f64_e32 v[58:59], v[74:75], v[58:59]
	s_delay_alu instid0(VALU_DEP_4) | instskip(NEXT) | instid1(VALU_DEP_4)
	v_fma_f64 v[4:5], v[68:69], v[8:9], -v[4:5]
	v_fmac_f64_e32 v[12:13], v[70:71], v[8:9]
	ds_load_b128 v[8:11], v2 offset:656
	v_fmac_f64_e32 v[76:77], v[74:75], v[56:57]
	v_fma_f64 v[56:57], v[72:73], v[56:57], -v[58:59]
	s_wait_loadcnt_dscnt 0x100
	v_mul_f64_e32 v[68:69], v[8:9], v[62:63]
	v_mul_f64_e32 v[62:63], v[10:11], v[62:63]
	v_add_f64_e32 v[4:5], 0, v[4:5]
	v_add_f64_e32 v[12:13], 0, v[12:13]
	s_delay_alu instid0(VALU_DEP_4) | instskip(NEXT) | instid1(VALU_DEP_4)
	v_fmac_f64_e32 v[68:69], v[10:11], v[60:61]
	v_fma_f64 v[8:9], v[8:9], v[60:61], -v[62:63]
	s_delay_alu instid0(VALU_DEP_4) | instskip(NEXT) | instid1(VALU_DEP_4)
	v_add_f64_e32 v[4:5], v[4:5], v[56:57]
	v_add_f64_e32 v[10:11], v[12:13], v[76:77]
	s_delay_alu instid0(VALU_DEP_2) | instskip(NEXT) | instid1(VALU_DEP_2)
	v_add_f64_e32 v[4:5], v[4:5], v[8:9]
	v_add_f64_e32 v[10:11], v[10:11], v[68:69]
	s_wait_loadcnt 0x0
	s_delay_alu instid0(VALU_DEP_2) | instskip(NEXT) | instid1(VALU_DEP_2)
	v_add_f64_e64 v[8:9], v[64:65], -v[4:5]
	v_add_f64_e64 v[10:11], v[66:67], -v[10:11]
	scratch_store_b128 off, v[8:11], off offset:272
	s_wait_xcnt 0x0
	v_cmpx_lt_u32_e32 16, v1
	s_cbranch_execz .LBB20_107
; %bb.106:
	scratch_load_b128 v[8:11], off, s26
	v_dual_mov_b32 v3, v2 :: v_dual_mov_b32 v4, v2
	v_mov_b32_e32 v5, v2
	scratch_store_b128 off, v[2:5], off offset:256
	s_wait_loadcnt 0x0
	ds_store_b128 v6, v[8:11]
.LBB20_107:
	s_wait_xcnt 0x0
	s_or_b32 exec_lo, exec_lo, s2
	s_wait_storecnt_dscnt 0x0
	s_barrier_signal -1
	s_barrier_wait -1
	s_clause 0x4
	scratch_load_b128 v[8:11], off, off offset:272
	scratch_load_b128 v[56:59], off, off offset:288
	;; [unrolled: 1-line block ×5, first 2 shown]
	ds_load_b128 v[72:75], v2 offset:608
	ds_load_b128 v[76:79], v2 offset:624
	s_mov_b32 s2, exec_lo
	s_wait_loadcnt_dscnt 0x401
	v_mul_f64_e32 v[4:5], v[74:75], v[10:11]
	v_mul_f64_e32 v[12:13], v[72:73], v[10:11]
	s_wait_loadcnt_dscnt 0x300
	v_mul_f64_e32 v[80:81], v[76:77], v[58:59]
	v_mul_f64_e32 v[58:59], v[78:79], v[58:59]
	s_delay_alu instid0(VALU_DEP_4) | instskip(NEXT) | instid1(VALU_DEP_4)
	v_fma_f64 v[72:73], v[72:73], v[8:9], -v[4:5]
	v_fmac_f64_e32 v[12:13], v[74:75], v[8:9]
	ds_load_b128 v[8:11], v2 offset:640
	ds_load_b128 v[2:5], v2 offset:656
	v_fmac_f64_e32 v[80:81], v[78:79], v[56:57]
	v_fma_f64 v[56:57], v[76:77], v[56:57], -v[58:59]
	s_wait_loadcnt_dscnt 0x201
	v_mul_f64_e32 v[74:75], v[8:9], v[62:63]
	v_mul_f64_e32 v[62:63], v[10:11], v[62:63]
	v_add_f64_e32 v[58:59], 0, v[72:73]
	v_add_f64_e32 v[12:13], 0, v[12:13]
	s_wait_loadcnt_dscnt 0x100
	v_mul_f64_e32 v[72:73], v[2:3], v[66:67]
	v_mul_f64_e32 v[66:67], v[4:5], v[66:67]
	v_fmac_f64_e32 v[74:75], v[10:11], v[60:61]
	v_fma_f64 v[8:9], v[8:9], v[60:61], -v[62:63]
	v_add_f64_e32 v[10:11], v[58:59], v[56:57]
	v_add_f64_e32 v[12:13], v[12:13], v[80:81]
	v_fmac_f64_e32 v[72:73], v[4:5], v[64:65]
	v_fma_f64 v[2:3], v[2:3], v[64:65], -v[66:67]
	s_delay_alu instid0(VALU_DEP_4) | instskip(NEXT) | instid1(VALU_DEP_4)
	v_add_f64_e32 v[4:5], v[10:11], v[8:9]
	v_add_f64_e32 v[8:9], v[12:13], v[74:75]
	s_delay_alu instid0(VALU_DEP_2) | instskip(NEXT) | instid1(VALU_DEP_2)
	v_add_f64_e32 v[2:3], v[4:5], v[2:3]
	v_add_f64_e32 v[4:5], v[8:9], v[72:73]
	s_wait_loadcnt 0x0
	s_delay_alu instid0(VALU_DEP_2) | instskip(NEXT) | instid1(VALU_DEP_2)
	v_add_f64_e64 v[2:3], v[68:69], -v[2:3]
	v_add_f64_e64 v[4:5], v[70:71], -v[4:5]
	scratch_store_b128 off, v[2:5], off offset:256
	s_wait_xcnt 0x0
	v_cmpx_lt_u32_e32 15, v1
	s_cbranch_execz .LBB20_109
; %bb.108:
	scratch_load_b128 v[2:5], off, s31
	v_mov_b32_e32 v8, 0
	s_delay_alu instid0(VALU_DEP_1)
	v_dual_mov_b32 v9, v8 :: v_dual_mov_b32 v10, v8
	v_mov_b32_e32 v11, v8
	scratch_store_b128 off, v[8:11], off offset:240
	s_wait_loadcnt 0x0
	ds_store_b128 v6, v[2:5]
.LBB20_109:
	s_wait_xcnt 0x0
	s_or_b32 exec_lo, exec_lo, s2
	s_wait_storecnt_dscnt 0x0
	s_barrier_signal -1
	s_barrier_wait -1
	s_clause 0x5
	scratch_load_b128 v[8:11], off, off offset:256
	scratch_load_b128 v[56:59], off, off offset:272
	;; [unrolled: 1-line block ×6, first 2 shown]
	v_mov_b32_e32 v2, 0
	ds_load_b128 v[76:79], v2 offset:592
	ds_load_b128 v[80:83], v2 offset:608
	s_mov_b32 s2, exec_lo
	s_wait_loadcnt_dscnt 0x501
	v_mul_f64_e32 v[4:5], v[78:79], v[10:11]
	v_mul_f64_e32 v[12:13], v[76:77], v[10:11]
	s_wait_loadcnt_dscnt 0x400
	v_mul_f64_e32 v[84:85], v[80:81], v[58:59]
	v_mul_f64_e32 v[58:59], v[82:83], v[58:59]
	s_delay_alu instid0(VALU_DEP_4) | instskip(NEXT) | instid1(VALU_DEP_4)
	v_fma_f64 v[4:5], v[76:77], v[8:9], -v[4:5]
	v_fmac_f64_e32 v[12:13], v[78:79], v[8:9]
	ds_load_b128 v[8:11], v2 offset:624
	ds_load_b128 v[76:79], v2 offset:640
	v_fmac_f64_e32 v[84:85], v[82:83], v[56:57]
	v_fma_f64 v[56:57], v[80:81], v[56:57], -v[58:59]
	s_wait_loadcnt_dscnt 0x301
	v_mul_f64_e32 v[86:87], v[8:9], v[62:63]
	v_mul_f64_e32 v[62:63], v[10:11], v[62:63]
	s_wait_loadcnt_dscnt 0x200
	v_mul_f64_e32 v[58:59], v[76:77], v[66:67]
	v_mul_f64_e32 v[66:67], v[78:79], v[66:67]
	v_add_f64_e32 v[4:5], 0, v[4:5]
	v_add_f64_e32 v[12:13], 0, v[12:13]
	v_fmac_f64_e32 v[86:87], v[10:11], v[60:61]
	v_fma_f64 v[60:61], v[8:9], v[60:61], -v[62:63]
	ds_load_b128 v[8:11], v2 offset:656
	v_fmac_f64_e32 v[58:59], v[78:79], v[64:65]
	v_fma_f64 v[64:65], v[76:77], v[64:65], -v[66:67]
	v_add_f64_e32 v[4:5], v[4:5], v[56:57]
	v_add_f64_e32 v[12:13], v[12:13], v[84:85]
	s_wait_loadcnt_dscnt 0x100
	v_mul_f64_e32 v[56:57], v[8:9], v[70:71]
	v_mul_f64_e32 v[62:63], v[10:11], v[70:71]
	s_delay_alu instid0(VALU_DEP_4) | instskip(NEXT) | instid1(VALU_DEP_4)
	v_add_f64_e32 v[4:5], v[4:5], v[60:61]
	v_add_f64_e32 v[12:13], v[12:13], v[86:87]
	s_delay_alu instid0(VALU_DEP_4) | instskip(NEXT) | instid1(VALU_DEP_4)
	v_fmac_f64_e32 v[56:57], v[10:11], v[68:69]
	v_fma_f64 v[8:9], v[8:9], v[68:69], -v[62:63]
	s_delay_alu instid0(VALU_DEP_4) | instskip(NEXT) | instid1(VALU_DEP_4)
	v_add_f64_e32 v[4:5], v[4:5], v[64:65]
	v_add_f64_e32 v[10:11], v[12:13], v[58:59]
	s_delay_alu instid0(VALU_DEP_2) | instskip(NEXT) | instid1(VALU_DEP_2)
	v_add_f64_e32 v[4:5], v[4:5], v[8:9]
	v_add_f64_e32 v[10:11], v[10:11], v[56:57]
	s_wait_loadcnt 0x0
	s_delay_alu instid0(VALU_DEP_2) | instskip(NEXT) | instid1(VALU_DEP_2)
	v_add_f64_e64 v[8:9], v[72:73], -v[4:5]
	v_add_f64_e64 v[10:11], v[74:75], -v[10:11]
	scratch_store_b128 off, v[8:11], off offset:240
	s_wait_xcnt 0x0
	v_cmpx_lt_u32_e32 14, v1
	s_cbranch_execz .LBB20_111
; %bb.110:
	scratch_load_b128 v[8:11], off, s28
	v_dual_mov_b32 v3, v2 :: v_dual_mov_b32 v4, v2
	v_mov_b32_e32 v5, v2
	scratch_store_b128 off, v[2:5], off offset:224
	s_wait_loadcnt 0x0
	ds_store_b128 v6, v[8:11]
.LBB20_111:
	s_wait_xcnt 0x0
	s_or_b32 exec_lo, exec_lo, s2
	s_wait_storecnt_dscnt 0x0
	s_barrier_signal -1
	s_barrier_wait -1
	s_clause 0x6
	scratch_load_b128 v[8:11], off, off offset:240
	scratch_load_b128 v[56:59], off, off offset:256
	;; [unrolled: 1-line block ×7, first 2 shown]
	ds_load_b128 v[80:83], v2 offset:576
	ds_load_b128 v[84:87], v2 offset:592
	s_mov_b32 s2, exec_lo
	s_wait_loadcnt_dscnt 0x601
	v_mul_f64_e32 v[4:5], v[82:83], v[10:11]
	v_mul_f64_e32 v[12:13], v[80:81], v[10:11]
	s_wait_loadcnt_dscnt 0x500
	v_mul_f64_e32 v[88:89], v[84:85], v[58:59]
	v_mul_f64_e32 v[58:59], v[86:87], v[58:59]
	s_delay_alu instid0(VALU_DEP_4) | instskip(NEXT) | instid1(VALU_DEP_4)
	v_fma_f64 v[4:5], v[80:81], v[8:9], -v[4:5]
	v_fmac_f64_e32 v[12:13], v[82:83], v[8:9]
	ds_load_b128 v[8:11], v2 offset:608
	ds_load_b128 v[80:83], v2 offset:624
	v_fmac_f64_e32 v[88:89], v[86:87], v[56:57]
	v_fma_f64 v[56:57], v[84:85], v[56:57], -v[58:59]
	s_wait_loadcnt_dscnt 0x401
	v_mul_f64_e32 v[90:91], v[8:9], v[62:63]
	v_mul_f64_e32 v[62:63], v[10:11], v[62:63]
	s_wait_loadcnt_dscnt 0x300
	v_mul_f64_e32 v[58:59], v[80:81], v[66:67]
	v_mul_f64_e32 v[66:67], v[82:83], v[66:67]
	v_add_f64_e32 v[4:5], 0, v[4:5]
	v_add_f64_e32 v[12:13], 0, v[12:13]
	v_fmac_f64_e32 v[90:91], v[10:11], v[60:61]
	v_fma_f64 v[60:61], v[8:9], v[60:61], -v[62:63]
	v_fmac_f64_e32 v[58:59], v[82:83], v[64:65]
	v_fma_f64 v[64:65], v[80:81], v[64:65], -v[66:67]
	v_add_f64_e32 v[56:57], v[4:5], v[56:57]
	v_add_f64_e32 v[12:13], v[12:13], v[88:89]
	ds_load_b128 v[8:11], v2 offset:640
	ds_load_b128 v[2:5], v2 offset:656
	s_wait_loadcnt_dscnt 0x201
	v_mul_f64_e32 v[62:63], v[8:9], v[70:71]
	v_mul_f64_e32 v[70:71], v[10:11], v[70:71]
	s_wait_loadcnt_dscnt 0x100
	v_mul_f64_e32 v[66:67], v[4:5], v[74:75]
	v_add_f64_e32 v[56:57], v[56:57], v[60:61]
	v_add_f64_e32 v[12:13], v[12:13], v[90:91]
	v_mul_f64_e32 v[60:61], v[2:3], v[74:75]
	v_fmac_f64_e32 v[62:63], v[10:11], v[68:69]
	v_fma_f64 v[8:9], v[8:9], v[68:69], -v[70:71]
	v_fma_f64 v[2:3], v[2:3], v[72:73], -v[66:67]
	v_add_f64_e32 v[10:11], v[56:57], v[64:65]
	v_add_f64_e32 v[12:13], v[12:13], v[58:59]
	v_fmac_f64_e32 v[60:61], v[4:5], v[72:73]
	s_delay_alu instid0(VALU_DEP_3) | instskip(NEXT) | instid1(VALU_DEP_3)
	v_add_f64_e32 v[4:5], v[10:11], v[8:9]
	v_add_f64_e32 v[8:9], v[12:13], v[62:63]
	s_delay_alu instid0(VALU_DEP_2) | instskip(NEXT) | instid1(VALU_DEP_2)
	v_add_f64_e32 v[2:3], v[4:5], v[2:3]
	v_add_f64_e32 v[4:5], v[8:9], v[60:61]
	s_wait_loadcnt 0x0
	s_delay_alu instid0(VALU_DEP_2) | instskip(NEXT) | instid1(VALU_DEP_2)
	v_add_f64_e64 v[2:3], v[76:77], -v[2:3]
	v_add_f64_e64 v[4:5], v[78:79], -v[4:5]
	scratch_store_b128 off, v[2:5], off offset:224
	s_wait_xcnt 0x0
	v_cmpx_lt_u32_e32 13, v1
	s_cbranch_execz .LBB20_113
; %bb.112:
	scratch_load_b128 v[2:5], off, s25
	v_mov_b32_e32 v8, 0
	s_delay_alu instid0(VALU_DEP_1)
	v_dual_mov_b32 v9, v8 :: v_dual_mov_b32 v10, v8
	v_mov_b32_e32 v11, v8
	scratch_store_b128 off, v[8:11], off offset:208
	s_wait_loadcnt 0x0
	ds_store_b128 v6, v[2:5]
.LBB20_113:
	s_wait_xcnt 0x0
	s_or_b32 exec_lo, exec_lo, s2
	s_wait_storecnt_dscnt 0x0
	s_barrier_signal -1
	s_barrier_wait -1
	s_clause 0x7
	scratch_load_b128 v[8:11], off, off offset:224
	scratch_load_b128 v[56:59], off, off offset:240
	;; [unrolled: 1-line block ×8, first 2 shown]
	v_mov_b32_e32 v2, 0
	ds_load_b128 v[84:87], v2 offset:560
	ds_load_b128 v[88:91], v2 offset:576
	s_mov_b32 s2, exec_lo
	s_wait_loadcnt_dscnt 0x701
	v_mul_f64_e32 v[4:5], v[86:87], v[10:11]
	v_mul_f64_e32 v[12:13], v[84:85], v[10:11]
	s_wait_loadcnt_dscnt 0x600
	v_mul_f64_e32 v[92:93], v[88:89], v[58:59]
	v_mul_f64_e32 v[58:59], v[90:91], v[58:59]
	s_delay_alu instid0(VALU_DEP_4) | instskip(NEXT) | instid1(VALU_DEP_4)
	v_fma_f64 v[4:5], v[84:85], v[8:9], -v[4:5]
	v_fmac_f64_e32 v[12:13], v[86:87], v[8:9]
	ds_load_b128 v[8:11], v2 offset:592
	ds_load_b128 v[84:87], v2 offset:608
	v_fmac_f64_e32 v[92:93], v[90:91], v[56:57]
	v_fma_f64 v[56:57], v[88:89], v[56:57], -v[58:59]
	s_wait_loadcnt_dscnt 0x501
	v_mul_f64_e32 v[94:95], v[8:9], v[62:63]
	v_mul_f64_e32 v[62:63], v[10:11], v[62:63]
	s_wait_loadcnt_dscnt 0x400
	v_mul_f64_e32 v[88:89], v[84:85], v[66:67]
	v_mul_f64_e32 v[66:67], v[86:87], v[66:67]
	v_add_f64_e32 v[4:5], 0, v[4:5]
	v_add_f64_e32 v[12:13], 0, v[12:13]
	v_fmac_f64_e32 v[94:95], v[10:11], v[60:61]
	v_fma_f64 v[60:61], v[8:9], v[60:61], -v[62:63]
	v_fmac_f64_e32 v[88:89], v[86:87], v[64:65]
	v_fma_f64 v[64:65], v[84:85], v[64:65], -v[66:67]
	v_add_f64_e32 v[4:5], v[4:5], v[56:57]
	v_add_f64_e32 v[12:13], v[12:13], v[92:93]
	ds_load_b128 v[8:11], v2 offset:624
	ds_load_b128 v[56:59], v2 offset:640
	s_wait_loadcnt_dscnt 0x301
	v_mul_f64_e32 v[62:63], v[8:9], v[70:71]
	v_mul_f64_e32 v[70:71], v[10:11], v[70:71]
	s_wait_loadcnt_dscnt 0x200
	v_mul_f64_e32 v[66:67], v[58:59], v[74:75]
	v_add_f64_e32 v[4:5], v[4:5], v[60:61]
	v_add_f64_e32 v[12:13], v[12:13], v[94:95]
	v_mul_f64_e32 v[60:61], v[56:57], v[74:75]
	v_fmac_f64_e32 v[62:63], v[10:11], v[68:69]
	v_fma_f64 v[68:69], v[8:9], v[68:69], -v[70:71]
	ds_load_b128 v[8:11], v2 offset:656
	v_fma_f64 v[56:57], v[56:57], v[72:73], -v[66:67]
	v_add_f64_e32 v[4:5], v[4:5], v[64:65]
	v_add_f64_e32 v[12:13], v[12:13], v[88:89]
	v_fmac_f64_e32 v[60:61], v[58:59], v[72:73]
	s_wait_loadcnt_dscnt 0x100
	v_mul_f64_e32 v[64:65], v[8:9], v[78:79]
	v_mul_f64_e32 v[70:71], v[10:11], v[78:79]
	v_add_f64_e32 v[4:5], v[4:5], v[68:69]
	v_add_f64_e32 v[12:13], v[12:13], v[62:63]
	s_delay_alu instid0(VALU_DEP_4) | instskip(NEXT) | instid1(VALU_DEP_4)
	v_fmac_f64_e32 v[64:65], v[10:11], v[76:77]
	v_fma_f64 v[8:9], v[8:9], v[76:77], -v[70:71]
	s_delay_alu instid0(VALU_DEP_4) | instskip(NEXT) | instid1(VALU_DEP_4)
	v_add_f64_e32 v[4:5], v[4:5], v[56:57]
	v_add_f64_e32 v[10:11], v[12:13], v[60:61]
	s_delay_alu instid0(VALU_DEP_2) | instskip(NEXT) | instid1(VALU_DEP_2)
	v_add_f64_e32 v[4:5], v[4:5], v[8:9]
	v_add_f64_e32 v[10:11], v[10:11], v[64:65]
	s_wait_loadcnt 0x0
	s_delay_alu instid0(VALU_DEP_2) | instskip(NEXT) | instid1(VALU_DEP_2)
	v_add_f64_e64 v[8:9], v[80:81], -v[4:5]
	v_add_f64_e64 v[10:11], v[82:83], -v[10:11]
	scratch_store_b128 off, v[8:11], off offset:208
	s_wait_xcnt 0x0
	v_cmpx_lt_u32_e32 12, v1
	s_cbranch_execz .LBB20_115
; %bb.114:
	scratch_load_b128 v[8:11], off, s23
	v_dual_mov_b32 v3, v2 :: v_dual_mov_b32 v4, v2
	v_mov_b32_e32 v5, v2
	scratch_store_b128 off, v[2:5], off offset:192
	s_wait_loadcnt 0x0
	ds_store_b128 v6, v[8:11]
.LBB20_115:
	s_wait_xcnt 0x0
	s_or_b32 exec_lo, exec_lo, s2
	s_wait_storecnt_dscnt 0x0
	s_barrier_signal -1
	s_barrier_wait -1
	s_clause 0x7
	scratch_load_b128 v[8:11], off, off offset:208
	scratch_load_b128 v[56:59], off, off offset:224
	;; [unrolled: 1-line block ×8, first 2 shown]
	ds_load_b128 v[84:87], v2 offset:544
	ds_load_b128 v[88:91], v2 offset:560
	scratch_load_b128 v[92:95], off, off offset:192
	s_mov_b32 s2, exec_lo
	s_wait_loadcnt_dscnt 0x801
	v_mul_f64_e32 v[4:5], v[86:87], v[10:11]
	v_mul_f64_e32 v[12:13], v[84:85], v[10:11]
	s_wait_loadcnt_dscnt 0x700
	v_mul_f64_e32 v[96:97], v[88:89], v[58:59]
	v_mul_f64_e32 v[58:59], v[90:91], v[58:59]
	s_delay_alu instid0(VALU_DEP_4) | instskip(NEXT) | instid1(VALU_DEP_4)
	v_fma_f64 v[4:5], v[84:85], v[8:9], -v[4:5]
	v_fmac_f64_e32 v[12:13], v[86:87], v[8:9]
	ds_load_b128 v[8:11], v2 offset:576
	ds_load_b128 v[84:87], v2 offset:592
	v_fmac_f64_e32 v[96:97], v[90:91], v[56:57]
	v_fma_f64 v[56:57], v[88:89], v[56:57], -v[58:59]
	s_wait_loadcnt_dscnt 0x601
	v_mul_f64_e32 v[98:99], v[8:9], v[62:63]
	v_mul_f64_e32 v[62:63], v[10:11], v[62:63]
	s_wait_loadcnt_dscnt 0x500
	v_mul_f64_e32 v[88:89], v[84:85], v[66:67]
	v_mul_f64_e32 v[66:67], v[86:87], v[66:67]
	v_add_f64_e32 v[4:5], 0, v[4:5]
	v_add_f64_e32 v[12:13], 0, v[12:13]
	v_fmac_f64_e32 v[98:99], v[10:11], v[60:61]
	v_fma_f64 v[60:61], v[8:9], v[60:61], -v[62:63]
	v_fmac_f64_e32 v[88:89], v[86:87], v[64:65]
	v_fma_f64 v[64:65], v[84:85], v[64:65], -v[66:67]
	v_add_f64_e32 v[4:5], v[4:5], v[56:57]
	v_add_f64_e32 v[12:13], v[12:13], v[96:97]
	ds_load_b128 v[8:11], v2 offset:608
	ds_load_b128 v[56:59], v2 offset:624
	s_wait_loadcnt_dscnt 0x401
	v_mul_f64_e32 v[62:63], v[8:9], v[70:71]
	v_mul_f64_e32 v[70:71], v[10:11], v[70:71]
	s_wait_loadcnt_dscnt 0x300
	v_mul_f64_e32 v[66:67], v[58:59], v[74:75]
	v_add_f64_e32 v[4:5], v[4:5], v[60:61]
	v_add_f64_e32 v[12:13], v[12:13], v[98:99]
	v_mul_f64_e32 v[60:61], v[56:57], v[74:75]
	v_fmac_f64_e32 v[62:63], v[10:11], v[68:69]
	v_fma_f64 v[68:69], v[8:9], v[68:69], -v[70:71]
	v_fma_f64 v[56:57], v[56:57], v[72:73], -v[66:67]
	v_add_f64_e32 v[64:65], v[4:5], v[64:65]
	v_add_f64_e32 v[12:13], v[12:13], v[88:89]
	ds_load_b128 v[8:11], v2 offset:640
	ds_load_b128 v[2:5], v2 offset:656
	v_fmac_f64_e32 v[60:61], v[58:59], v[72:73]
	s_wait_loadcnt_dscnt 0x201
	v_mul_f64_e32 v[70:71], v[8:9], v[78:79]
	v_mul_f64_e32 v[74:75], v[10:11], v[78:79]
	v_add_f64_e32 v[58:59], v[64:65], v[68:69]
	v_add_f64_e32 v[12:13], v[12:13], v[62:63]
	s_wait_loadcnt_dscnt 0x100
	v_mul_f64_e32 v[62:63], v[2:3], v[82:83]
	v_mul_f64_e32 v[64:65], v[4:5], v[82:83]
	v_fmac_f64_e32 v[70:71], v[10:11], v[76:77]
	v_fma_f64 v[8:9], v[8:9], v[76:77], -v[74:75]
	v_add_f64_e32 v[10:11], v[58:59], v[56:57]
	v_add_f64_e32 v[12:13], v[12:13], v[60:61]
	v_fmac_f64_e32 v[62:63], v[4:5], v[80:81]
	v_fma_f64 v[2:3], v[2:3], v[80:81], -v[64:65]
	s_delay_alu instid0(VALU_DEP_4) | instskip(NEXT) | instid1(VALU_DEP_4)
	v_add_f64_e32 v[4:5], v[10:11], v[8:9]
	v_add_f64_e32 v[8:9], v[12:13], v[70:71]
	s_delay_alu instid0(VALU_DEP_2) | instskip(NEXT) | instid1(VALU_DEP_2)
	v_add_f64_e32 v[2:3], v[4:5], v[2:3]
	v_add_f64_e32 v[4:5], v[8:9], v[62:63]
	s_wait_loadcnt 0x0
	s_delay_alu instid0(VALU_DEP_2) | instskip(NEXT) | instid1(VALU_DEP_2)
	v_add_f64_e64 v[2:3], v[92:93], -v[2:3]
	v_add_f64_e64 v[4:5], v[94:95], -v[4:5]
	scratch_store_b128 off, v[2:5], off offset:192
	s_wait_xcnt 0x0
	v_cmpx_lt_u32_e32 11, v1
	s_cbranch_execz .LBB20_117
; %bb.116:
	scratch_load_b128 v[2:5], off, s21
	v_mov_b32_e32 v8, 0
	s_delay_alu instid0(VALU_DEP_1)
	v_dual_mov_b32 v9, v8 :: v_dual_mov_b32 v10, v8
	v_mov_b32_e32 v11, v8
	scratch_store_b128 off, v[8:11], off offset:176
	s_wait_loadcnt 0x0
	ds_store_b128 v6, v[2:5]
.LBB20_117:
	s_wait_xcnt 0x0
	s_or_b32 exec_lo, exec_lo, s2
	s_wait_storecnt_dscnt 0x0
	s_barrier_signal -1
	s_barrier_wait -1
	s_clause 0x8
	scratch_load_b128 v[8:11], off, off offset:192
	scratch_load_b128 v[56:59], off, off offset:208
	;; [unrolled: 1-line block ×9, first 2 shown]
	v_mov_b32_e32 v2, 0
	scratch_load_b128 v[92:95], off, off offset:176
	s_mov_b32 s2, exec_lo
	ds_load_b128 v[88:91], v2 offset:528
	ds_load_b128 v[96:99], v2 offset:544
	s_wait_loadcnt_dscnt 0x901
	v_mul_f64_e32 v[4:5], v[90:91], v[10:11]
	v_mul_f64_e32 v[12:13], v[88:89], v[10:11]
	s_wait_loadcnt_dscnt 0x800
	v_mul_f64_e32 v[100:101], v[96:97], v[58:59]
	v_mul_f64_e32 v[58:59], v[98:99], v[58:59]
	s_delay_alu instid0(VALU_DEP_4) | instskip(NEXT) | instid1(VALU_DEP_4)
	v_fma_f64 v[4:5], v[88:89], v[8:9], -v[4:5]
	v_fmac_f64_e32 v[12:13], v[90:91], v[8:9]
	ds_load_b128 v[8:11], v2 offset:560
	ds_load_b128 v[88:91], v2 offset:576
	v_fmac_f64_e32 v[100:101], v[98:99], v[56:57]
	v_fma_f64 v[56:57], v[96:97], v[56:57], -v[58:59]
	s_wait_loadcnt_dscnt 0x701
	v_mul_f64_e32 v[102:103], v[8:9], v[62:63]
	v_mul_f64_e32 v[62:63], v[10:11], v[62:63]
	s_wait_loadcnt_dscnt 0x600
	v_mul_f64_e32 v[96:97], v[88:89], v[66:67]
	v_mul_f64_e32 v[66:67], v[90:91], v[66:67]
	v_add_f64_e32 v[4:5], 0, v[4:5]
	v_add_f64_e32 v[12:13], 0, v[12:13]
	v_fmac_f64_e32 v[102:103], v[10:11], v[60:61]
	v_fma_f64 v[60:61], v[8:9], v[60:61], -v[62:63]
	v_fmac_f64_e32 v[96:97], v[90:91], v[64:65]
	v_fma_f64 v[64:65], v[88:89], v[64:65], -v[66:67]
	v_add_f64_e32 v[4:5], v[4:5], v[56:57]
	v_add_f64_e32 v[12:13], v[12:13], v[100:101]
	ds_load_b128 v[8:11], v2 offset:592
	ds_load_b128 v[56:59], v2 offset:608
	s_wait_loadcnt_dscnt 0x501
	v_mul_f64_e32 v[98:99], v[8:9], v[70:71]
	v_mul_f64_e32 v[62:63], v[10:11], v[70:71]
	s_wait_loadcnt_dscnt 0x400
	v_mul_f64_e32 v[66:67], v[56:57], v[74:75]
	v_mul_f64_e32 v[70:71], v[58:59], v[74:75]
	v_add_f64_e32 v[4:5], v[4:5], v[60:61]
	v_add_f64_e32 v[12:13], v[12:13], v[102:103]
	v_fmac_f64_e32 v[98:99], v[10:11], v[68:69]
	v_fma_f64 v[68:69], v[8:9], v[68:69], -v[62:63]
	ds_load_b128 v[8:11], v2 offset:624
	ds_load_b128 v[60:63], v2 offset:640
	v_fmac_f64_e32 v[66:67], v[58:59], v[72:73]
	v_fma_f64 v[56:57], v[56:57], v[72:73], -v[70:71]
	v_add_f64_e32 v[4:5], v[4:5], v[64:65]
	v_add_f64_e32 v[12:13], v[12:13], v[96:97]
	s_wait_loadcnt_dscnt 0x301
	v_mul_f64_e32 v[64:65], v[8:9], v[78:79]
	v_mul_f64_e32 v[74:75], v[10:11], v[78:79]
	s_wait_loadcnt_dscnt 0x200
	v_mul_f64_e32 v[58:59], v[60:61], v[82:83]
	v_add_f64_e32 v[4:5], v[4:5], v[68:69]
	v_add_f64_e32 v[12:13], v[12:13], v[98:99]
	v_mul_f64_e32 v[68:69], v[62:63], v[82:83]
	v_fmac_f64_e32 v[64:65], v[10:11], v[76:77]
	v_fma_f64 v[70:71], v[8:9], v[76:77], -v[74:75]
	ds_load_b128 v[8:11], v2 offset:656
	v_fmac_f64_e32 v[58:59], v[62:63], v[80:81]
	v_add_f64_e32 v[4:5], v[4:5], v[56:57]
	v_add_f64_e32 v[12:13], v[12:13], v[66:67]
	s_wait_loadcnt_dscnt 0x100
	v_mul_f64_e32 v[56:57], v[8:9], v[86:87]
	v_mul_f64_e32 v[66:67], v[10:11], v[86:87]
	v_fma_f64 v[60:61], v[60:61], v[80:81], -v[68:69]
	v_add_f64_e32 v[4:5], v[4:5], v[70:71]
	v_add_f64_e32 v[12:13], v[12:13], v[64:65]
	v_fmac_f64_e32 v[56:57], v[10:11], v[84:85]
	v_fma_f64 v[8:9], v[8:9], v[84:85], -v[66:67]
	s_delay_alu instid0(VALU_DEP_4) | instskip(NEXT) | instid1(VALU_DEP_4)
	v_add_f64_e32 v[4:5], v[4:5], v[60:61]
	v_add_f64_e32 v[10:11], v[12:13], v[58:59]
	s_delay_alu instid0(VALU_DEP_2) | instskip(NEXT) | instid1(VALU_DEP_2)
	v_add_f64_e32 v[4:5], v[4:5], v[8:9]
	v_add_f64_e32 v[10:11], v[10:11], v[56:57]
	s_wait_loadcnt 0x0
	s_delay_alu instid0(VALU_DEP_2) | instskip(NEXT) | instid1(VALU_DEP_2)
	v_add_f64_e64 v[8:9], v[92:93], -v[4:5]
	v_add_f64_e64 v[10:11], v[94:95], -v[10:11]
	scratch_store_b128 off, v[8:11], off offset:176
	s_wait_xcnt 0x0
	v_cmpx_lt_u32_e32 10, v1
	s_cbranch_execz .LBB20_119
; %bb.118:
	scratch_load_b128 v[8:11], off, s15
	v_dual_mov_b32 v3, v2 :: v_dual_mov_b32 v4, v2
	v_mov_b32_e32 v5, v2
	scratch_store_b128 off, v[2:5], off offset:160
	s_wait_loadcnt 0x0
	ds_store_b128 v6, v[8:11]
.LBB20_119:
	s_wait_xcnt 0x0
	s_or_b32 exec_lo, exec_lo, s2
	s_wait_storecnt_dscnt 0x0
	s_barrier_signal -1
	s_barrier_wait -1
	s_clause 0x9
	scratch_load_b128 v[8:11], off, off offset:176
	scratch_load_b128 v[56:59], off, off offset:192
	;; [unrolled: 1-line block ×10, first 2 shown]
	ds_load_b128 v[92:95], v2 offset:512
	ds_load_b128 v[96:99], v2 offset:528
	scratch_load_b128 v[100:103], off, off offset:160
	s_mov_b32 s2, exec_lo
	s_wait_loadcnt_dscnt 0xa01
	v_mul_f64_e32 v[4:5], v[94:95], v[10:11]
	v_mul_f64_e32 v[12:13], v[92:93], v[10:11]
	s_wait_loadcnt_dscnt 0x900
	v_mul_f64_e32 v[104:105], v[96:97], v[58:59]
	v_mul_f64_e32 v[58:59], v[98:99], v[58:59]
	s_delay_alu instid0(VALU_DEP_4) | instskip(NEXT) | instid1(VALU_DEP_4)
	v_fma_f64 v[4:5], v[92:93], v[8:9], -v[4:5]
	v_fmac_f64_e32 v[12:13], v[94:95], v[8:9]
	ds_load_b128 v[8:11], v2 offset:544
	ds_load_b128 v[92:95], v2 offset:560
	v_fmac_f64_e32 v[104:105], v[98:99], v[56:57]
	v_fma_f64 v[56:57], v[96:97], v[56:57], -v[58:59]
	s_wait_loadcnt_dscnt 0x801
	v_mul_f64_e32 v[106:107], v[8:9], v[62:63]
	v_mul_f64_e32 v[62:63], v[10:11], v[62:63]
	s_wait_loadcnt_dscnt 0x700
	v_mul_f64_e32 v[96:97], v[92:93], v[66:67]
	v_mul_f64_e32 v[66:67], v[94:95], v[66:67]
	v_add_f64_e32 v[4:5], 0, v[4:5]
	v_add_f64_e32 v[12:13], 0, v[12:13]
	v_fmac_f64_e32 v[106:107], v[10:11], v[60:61]
	v_fma_f64 v[60:61], v[8:9], v[60:61], -v[62:63]
	v_fmac_f64_e32 v[96:97], v[94:95], v[64:65]
	v_fma_f64 v[64:65], v[92:93], v[64:65], -v[66:67]
	v_add_f64_e32 v[4:5], v[4:5], v[56:57]
	v_add_f64_e32 v[12:13], v[12:13], v[104:105]
	ds_load_b128 v[8:11], v2 offset:576
	ds_load_b128 v[56:59], v2 offset:592
	s_wait_loadcnt_dscnt 0x601
	v_mul_f64_e32 v[98:99], v[8:9], v[70:71]
	v_mul_f64_e32 v[62:63], v[10:11], v[70:71]
	s_wait_loadcnt_dscnt 0x500
	v_mul_f64_e32 v[66:67], v[56:57], v[74:75]
	v_mul_f64_e32 v[70:71], v[58:59], v[74:75]
	v_add_f64_e32 v[4:5], v[4:5], v[60:61]
	v_add_f64_e32 v[12:13], v[12:13], v[106:107]
	v_fmac_f64_e32 v[98:99], v[10:11], v[68:69]
	v_fma_f64 v[68:69], v[8:9], v[68:69], -v[62:63]
	ds_load_b128 v[8:11], v2 offset:608
	ds_load_b128 v[60:63], v2 offset:624
	v_fmac_f64_e32 v[66:67], v[58:59], v[72:73]
	v_fma_f64 v[56:57], v[56:57], v[72:73], -v[70:71]
	v_add_f64_e32 v[4:5], v[4:5], v[64:65]
	v_add_f64_e32 v[12:13], v[12:13], v[96:97]
	s_wait_loadcnt_dscnt 0x401
	v_mul_f64_e32 v[64:65], v[8:9], v[78:79]
	v_mul_f64_e32 v[74:75], v[10:11], v[78:79]
	s_wait_loadcnt_dscnt 0x300
	v_mul_f64_e32 v[58:59], v[60:61], v[82:83]
	v_add_f64_e32 v[4:5], v[4:5], v[68:69]
	v_add_f64_e32 v[12:13], v[12:13], v[98:99]
	v_mul_f64_e32 v[68:69], v[62:63], v[82:83]
	v_fmac_f64_e32 v[64:65], v[10:11], v[76:77]
	v_fma_f64 v[70:71], v[8:9], v[76:77], -v[74:75]
	v_fmac_f64_e32 v[58:59], v[62:63], v[80:81]
	v_add_f64_e32 v[56:57], v[4:5], v[56:57]
	v_add_f64_e32 v[12:13], v[12:13], v[66:67]
	ds_load_b128 v[8:11], v2 offset:640
	ds_load_b128 v[2:5], v2 offset:656
	v_fma_f64 v[60:61], v[60:61], v[80:81], -v[68:69]
	s_wait_loadcnt_dscnt 0x201
	v_mul_f64_e32 v[66:67], v[8:9], v[86:87]
	v_mul_f64_e32 v[72:73], v[10:11], v[86:87]
	s_wait_loadcnt_dscnt 0x100
	v_mul_f64_e32 v[62:63], v[2:3], v[90:91]
	v_add_f64_e32 v[56:57], v[56:57], v[70:71]
	v_add_f64_e32 v[12:13], v[12:13], v[64:65]
	v_mul_f64_e32 v[64:65], v[4:5], v[90:91]
	v_fmac_f64_e32 v[66:67], v[10:11], v[84:85]
	v_fma_f64 v[8:9], v[8:9], v[84:85], -v[72:73]
	v_fmac_f64_e32 v[62:63], v[4:5], v[88:89]
	v_add_f64_e32 v[10:11], v[56:57], v[60:61]
	v_add_f64_e32 v[12:13], v[12:13], v[58:59]
	v_fma_f64 v[2:3], v[2:3], v[88:89], -v[64:65]
	s_delay_alu instid0(VALU_DEP_3) | instskip(NEXT) | instid1(VALU_DEP_3)
	v_add_f64_e32 v[4:5], v[10:11], v[8:9]
	v_add_f64_e32 v[8:9], v[12:13], v[66:67]
	s_delay_alu instid0(VALU_DEP_2) | instskip(NEXT) | instid1(VALU_DEP_2)
	v_add_f64_e32 v[2:3], v[4:5], v[2:3]
	v_add_f64_e32 v[4:5], v[8:9], v[62:63]
	s_wait_loadcnt 0x0
	s_delay_alu instid0(VALU_DEP_2) | instskip(NEXT) | instid1(VALU_DEP_2)
	v_add_f64_e64 v[2:3], v[100:101], -v[2:3]
	v_add_f64_e64 v[4:5], v[102:103], -v[4:5]
	scratch_store_b128 off, v[2:5], off offset:160
	s_wait_xcnt 0x0
	v_cmpx_lt_u32_e32 9, v1
	s_cbranch_execz .LBB20_121
; %bb.120:
	scratch_load_b128 v[2:5], off, s13
	v_mov_b32_e32 v8, 0
	s_delay_alu instid0(VALU_DEP_1)
	v_dual_mov_b32 v9, v8 :: v_dual_mov_b32 v10, v8
	v_mov_b32_e32 v11, v8
	scratch_store_b128 off, v[8:11], off offset:144
	s_wait_loadcnt 0x0
	ds_store_b128 v6, v[2:5]
.LBB20_121:
	s_wait_xcnt 0x0
	s_or_b32 exec_lo, exec_lo, s2
	s_wait_storecnt_dscnt 0x0
	s_barrier_signal -1
	s_barrier_wait -1
	s_clause 0x9
	scratch_load_b128 v[8:11], off, off offset:160
	scratch_load_b128 v[56:59], off, off offset:176
	;; [unrolled: 1-line block ×10, first 2 shown]
	v_mov_b32_e32 v2, 0
	s_mov_b32 s2, exec_lo
	ds_load_b128 v[92:95], v2 offset:496
	s_clause 0x1
	scratch_load_b128 v[96:99], off, off offset:320
	scratch_load_b128 v[100:103], off, off offset:144
	s_wait_loadcnt_dscnt 0xb00
	v_mul_f64_e32 v[4:5], v[94:95], v[10:11]
	v_mul_f64_e32 v[12:13], v[92:93], v[10:11]
	ds_load_b128 v[104:107], v2 offset:512
	s_wait_loadcnt_dscnt 0xa00
	v_mul_f64_e32 v[108:109], v[104:105], v[58:59]
	v_mul_f64_e32 v[58:59], v[106:107], v[58:59]
	v_fma_f64 v[4:5], v[92:93], v[8:9], -v[4:5]
	v_fmac_f64_e32 v[12:13], v[94:95], v[8:9]
	ds_load_b128 v[8:11], v2 offset:528
	ds_load_b128 v[92:95], v2 offset:544
	s_wait_loadcnt_dscnt 0x901
	v_mul_f64_e32 v[110:111], v[8:9], v[62:63]
	v_mul_f64_e32 v[62:63], v[10:11], v[62:63]
	v_fmac_f64_e32 v[108:109], v[106:107], v[56:57]
	v_fma_f64 v[56:57], v[104:105], v[56:57], -v[58:59]
	s_wait_loadcnt_dscnt 0x800
	v_mul_f64_e32 v[104:105], v[92:93], v[66:67]
	v_mul_f64_e32 v[66:67], v[94:95], v[66:67]
	v_add_f64_e32 v[4:5], 0, v[4:5]
	v_add_f64_e32 v[12:13], 0, v[12:13]
	v_fmac_f64_e32 v[110:111], v[10:11], v[60:61]
	v_fma_f64 v[60:61], v[8:9], v[60:61], -v[62:63]
	v_fmac_f64_e32 v[104:105], v[94:95], v[64:65]
	v_fma_f64 v[64:65], v[92:93], v[64:65], -v[66:67]
	v_add_f64_e32 v[4:5], v[4:5], v[56:57]
	v_add_f64_e32 v[12:13], v[12:13], v[108:109]
	ds_load_b128 v[8:11], v2 offset:560
	ds_load_b128 v[56:59], v2 offset:576
	s_wait_loadcnt_dscnt 0x701
	v_mul_f64_e32 v[106:107], v[8:9], v[70:71]
	v_mul_f64_e32 v[62:63], v[10:11], v[70:71]
	s_wait_loadcnt_dscnt 0x600
	v_mul_f64_e32 v[66:67], v[56:57], v[74:75]
	v_mul_f64_e32 v[70:71], v[58:59], v[74:75]
	v_add_f64_e32 v[4:5], v[4:5], v[60:61]
	v_add_f64_e32 v[12:13], v[12:13], v[110:111]
	v_fmac_f64_e32 v[106:107], v[10:11], v[68:69]
	v_fma_f64 v[68:69], v[8:9], v[68:69], -v[62:63]
	ds_load_b128 v[8:11], v2 offset:592
	ds_load_b128 v[60:63], v2 offset:608
	v_fmac_f64_e32 v[66:67], v[58:59], v[72:73]
	v_fma_f64 v[56:57], v[56:57], v[72:73], -v[70:71]
	v_add_f64_e32 v[4:5], v[4:5], v[64:65]
	v_add_f64_e32 v[12:13], v[12:13], v[104:105]
	s_wait_loadcnt_dscnt 0x501
	v_mul_f64_e32 v[64:65], v[8:9], v[78:79]
	v_mul_f64_e32 v[74:75], v[10:11], v[78:79]
	s_wait_loadcnt_dscnt 0x400
	v_mul_f64_e32 v[70:71], v[62:63], v[82:83]
	v_add_f64_e32 v[4:5], v[4:5], v[68:69]
	v_add_f64_e32 v[12:13], v[12:13], v[106:107]
	v_mul_f64_e32 v[68:69], v[60:61], v[82:83]
	v_fmac_f64_e32 v[64:65], v[10:11], v[76:77]
	v_fma_f64 v[72:73], v[8:9], v[76:77], -v[74:75]
	v_fma_f64 v[60:61], v[60:61], v[80:81], -v[70:71]
	v_add_f64_e32 v[4:5], v[4:5], v[56:57]
	v_add_f64_e32 v[12:13], v[12:13], v[66:67]
	ds_load_b128 v[8:11], v2 offset:624
	ds_load_b128 v[56:59], v2 offset:640
	v_fmac_f64_e32 v[68:69], v[62:63], v[80:81]
	s_wait_loadcnt_dscnt 0x301
	v_mul_f64_e32 v[66:67], v[8:9], v[86:87]
	v_mul_f64_e32 v[74:75], v[10:11], v[86:87]
	s_wait_loadcnt_dscnt 0x200
	v_mul_f64_e32 v[62:63], v[56:57], v[90:91]
	v_add_f64_e32 v[4:5], v[4:5], v[72:73]
	v_add_f64_e32 v[12:13], v[12:13], v[64:65]
	v_mul_f64_e32 v[64:65], v[58:59], v[90:91]
	v_fmac_f64_e32 v[66:67], v[10:11], v[84:85]
	v_fma_f64 v[70:71], v[8:9], v[84:85], -v[74:75]
	ds_load_b128 v[8:11], v2 offset:656
	v_fmac_f64_e32 v[62:63], v[58:59], v[88:89]
	v_add_f64_e32 v[4:5], v[4:5], v[60:61]
	v_add_f64_e32 v[12:13], v[12:13], v[68:69]
	v_fma_f64 v[56:57], v[56:57], v[88:89], -v[64:65]
	s_wait_loadcnt_dscnt 0x100
	v_mul_f64_e32 v[60:61], v[8:9], v[98:99]
	v_mul_f64_e32 v[68:69], v[10:11], v[98:99]
	v_add_f64_e32 v[4:5], v[4:5], v[70:71]
	v_add_f64_e32 v[12:13], v[12:13], v[66:67]
	s_delay_alu instid0(VALU_DEP_4) | instskip(NEXT) | instid1(VALU_DEP_4)
	v_fmac_f64_e32 v[60:61], v[10:11], v[96:97]
	v_fma_f64 v[8:9], v[8:9], v[96:97], -v[68:69]
	s_delay_alu instid0(VALU_DEP_4) | instskip(NEXT) | instid1(VALU_DEP_4)
	v_add_f64_e32 v[4:5], v[4:5], v[56:57]
	v_add_f64_e32 v[10:11], v[12:13], v[62:63]
	s_delay_alu instid0(VALU_DEP_2) | instskip(NEXT) | instid1(VALU_DEP_2)
	v_add_f64_e32 v[4:5], v[4:5], v[8:9]
	v_add_f64_e32 v[10:11], v[10:11], v[60:61]
	s_wait_loadcnt 0x0
	s_delay_alu instid0(VALU_DEP_2) | instskip(NEXT) | instid1(VALU_DEP_2)
	v_add_f64_e64 v[8:9], v[100:101], -v[4:5]
	v_add_f64_e64 v[10:11], v[102:103], -v[10:11]
	scratch_store_b128 off, v[8:11], off offset:144
	s_wait_xcnt 0x0
	v_cmpx_lt_u32_e32 8, v1
	s_cbranch_execz .LBB20_123
; %bb.122:
	scratch_load_b128 v[8:11], off, s12
	v_dual_mov_b32 v3, v2 :: v_dual_mov_b32 v4, v2
	v_mov_b32_e32 v5, v2
	scratch_store_b128 off, v[2:5], off offset:128
	s_wait_loadcnt 0x0
	ds_store_b128 v6, v[8:11]
.LBB20_123:
	s_wait_xcnt 0x0
	s_or_b32 exec_lo, exec_lo, s2
	s_wait_storecnt_dscnt 0x0
	s_barrier_signal -1
	s_barrier_wait -1
	s_clause 0x9
	scratch_load_b128 v[8:11], off, off offset:144
	scratch_load_b128 v[56:59], off, off offset:160
	;; [unrolled: 1-line block ×10, first 2 shown]
	ds_load_b128 v[92:95], v2 offset:480
	ds_load_b128 v[100:103], v2 offset:496
	s_clause 0x1
	scratch_load_b128 v[96:99], off, off offset:304
	scratch_load_b128 v[104:107], off, off offset:128
	s_mov_b32 s2, exec_lo
	s_wait_loadcnt_dscnt 0xb01
	v_mul_f64_e32 v[4:5], v[94:95], v[10:11]
	v_mul_f64_e32 v[112:113], v[92:93], v[10:11]
	scratch_load_b128 v[10:13], off, off offset:320
	s_wait_loadcnt_dscnt 0xb00
	v_mul_f64_e32 v[114:115], v[100:101], v[58:59]
	v_mul_f64_e32 v[58:59], v[102:103], v[58:59]
	v_fma_f64 v[4:5], v[92:93], v[8:9], -v[4:5]
	v_fmac_f64_e32 v[112:113], v[94:95], v[8:9]
	ds_load_b128 v[92:95], v2 offset:512
	ds_load_b128 v[108:111], v2 offset:528
	v_fmac_f64_e32 v[114:115], v[102:103], v[56:57]
	v_fma_f64 v[56:57], v[100:101], v[56:57], -v[58:59]
	s_wait_loadcnt_dscnt 0xa01
	v_mul_f64_e32 v[8:9], v[92:93], v[62:63]
	v_mul_f64_e32 v[62:63], v[94:95], v[62:63]
	s_wait_loadcnt_dscnt 0x900
	v_mul_f64_e32 v[100:101], v[108:109], v[66:67]
	v_mul_f64_e32 v[66:67], v[110:111], v[66:67]
	v_add_f64_e32 v[4:5], 0, v[4:5]
	v_add_f64_e32 v[58:59], 0, v[112:113]
	v_fmac_f64_e32 v[8:9], v[94:95], v[60:61]
	v_fma_f64 v[92:93], v[92:93], v[60:61], -v[62:63]
	v_fmac_f64_e32 v[100:101], v[110:111], v[64:65]
	v_fma_f64 v[64:65], v[108:109], v[64:65], -v[66:67]
	v_add_f64_e32 v[4:5], v[4:5], v[56:57]
	v_add_f64_e32 v[94:95], v[58:59], v[114:115]
	ds_load_b128 v[56:59], v2 offset:544
	ds_load_b128 v[60:63], v2 offset:560
	s_wait_loadcnt_dscnt 0x801
	v_mul_f64_e32 v[102:103], v[56:57], v[70:71]
	v_mul_f64_e32 v[70:71], v[58:59], v[70:71]
	v_add_f64_e32 v[4:5], v[4:5], v[92:93]
	v_add_f64_e32 v[8:9], v[94:95], v[8:9]
	s_wait_loadcnt_dscnt 0x700
	v_mul_f64_e32 v[92:93], v[60:61], v[74:75]
	v_mul_f64_e32 v[74:75], v[62:63], v[74:75]
	v_fmac_f64_e32 v[102:103], v[58:59], v[68:69]
	v_fma_f64 v[68:69], v[56:57], v[68:69], -v[70:71]
	v_add_f64_e32 v[4:5], v[4:5], v[64:65]
	v_add_f64_e32 v[8:9], v[8:9], v[100:101]
	ds_load_b128 v[56:59], v2 offset:576
	ds_load_b128 v[64:67], v2 offset:592
	v_fmac_f64_e32 v[92:93], v[62:63], v[72:73]
	v_fma_f64 v[60:61], v[60:61], v[72:73], -v[74:75]
	s_wait_loadcnt_dscnt 0x601
	v_mul_f64_e32 v[70:71], v[56:57], v[78:79]
	v_mul_f64_e32 v[78:79], v[58:59], v[78:79]
	s_wait_loadcnt_dscnt 0x500
	v_mul_f64_e32 v[72:73], v[66:67], v[82:83]
	v_add_f64_e32 v[4:5], v[4:5], v[68:69]
	v_add_f64_e32 v[8:9], v[8:9], v[102:103]
	v_mul_f64_e32 v[68:69], v[64:65], v[82:83]
	v_fmac_f64_e32 v[70:71], v[58:59], v[76:77]
	v_fma_f64 v[74:75], v[56:57], v[76:77], -v[78:79]
	v_fma_f64 v[64:65], v[64:65], v[80:81], -v[72:73]
	v_add_f64_e32 v[4:5], v[4:5], v[60:61]
	v_add_f64_e32 v[8:9], v[8:9], v[92:93]
	ds_load_b128 v[56:59], v2 offset:608
	ds_load_b128 v[60:63], v2 offset:624
	v_fmac_f64_e32 v[68:69], v[66:67], v[80:81]
	s_wait_loadcnt_dscnt 0x401
	v_mul_f64_e32 v[76:77], v[56:57], v[86:87]
	v_mul_f64_e32 v[78:79], v[58:59], v[86:87]
	s_wait_loadcnt_dscnt 0x300
	v_mul_f64_e32 v[66:67], v[60:61], v[90:91]
	v_add_f64_e32 v[4:5], v[4:5], v[74:75]
	v_add_f64_e32 v[8:9], v[8:9], v[70:71]
	v_mul_f64_e32 v[70:71], v[62:63], v[90:91]
	v_fmac_f64_e32 v[76:77], v[58:59], v[84:85]
	v_fma_f64 v[72:73], v[56:57], v[84:85], -v[78:79]
	v_fmac_f64_e32 v[66:67], v[62:63], v[88:89]
	v_add_f64_e32 v[64:65], v[4:5], v[64:65]
	v_add_f64_e32 v[8:9], v[8:9], v[68:69]
	ds_load_b128 v[56:59], v2 offset:640
	ds_load_b128 v[2:5], v2 offset:656
	v_fma_f64 v[60:61], v[60:61], v[88:89], -v[70:71]
	s_wait_loadcnt_dscnt 0x201
	v_mul_f64_e32 v[68:69], v[56:57], v[98:99]
	v_mul_f64_e32 v[74:75], v[58:59], v[98:99]
	v_add_f64_e32 v[62:63], v[64:65], v[72:73]
	v_add_f64_e32 v[8:9], v[8:9], v[76:77]
	s_wait_loadcnt_dscnt 0x0
	v_mul_f64_e32 v[64:65], v[2:3], v[12:13]
	v_mul_f64_e32 v[12:13], v[4:5], v[12:13]
	v_fmac_f64_e32 v[68:69], v[58:59], v[96:97]
	v_fma_f64 v[56:57], v[56:57], v[96:97], -v[74:75]
	v_add_f64_e32 v[58:59], v[62:63], v[60:61]
	v_add_f64_e32 v[8:9], v[8:9], v[66:67]
	v_fmac_f64_e32 v[64:65], v[4:5], v[10:11]
	v_fma_f64 v[2:3], v[2:3], v[10:11], -v[12:13]
	s_delay_alu instid0(VALU_DEP_4) | instskip(NEXT) | instid1(VALU_DEP_4)
	v_add_f64_e32 v[4:5], v[58:59], v[56:57]
	v_add_f64_e32 v[8:9], v[8:9], v[68:69]
	s_delay_alu instid0(VALU_DEP_2) | instskip(NEXT) | instid1(VALU_DEP_2)
	v_add_f64_e32 v[2:3], v[4:5], v[2:3]
	v_add_f64_e32 v[4:5], v[8:9], v[64:65]
	s_delay_alu instid0(VALU_DEP_2) | instskip(NEXT) | instid1(VALU_DEP_2)
	v_add_f64_e64 v[2:3], v[104:105], -v[2:3]
	v_add_f64_e64 v[4:5], v[106:107], -v[4:5]
	scratch_store_b128 off, v[2:5], off offset:128
	s_wait_xcnt 0x0
	v_cmpx_lt_u32_e32 7, v1
	s_cbranch_execz .LBB20_125
; %bb.124:
	scratch_load_b128 v[2:5], off, s22
	v_mov_b32_e32 v8, 0
	s_delay_alu instid0(VALU_DEP_1)
	v_dual_mov_b32 v9, v8 :: v_dual_mov_b32 v10, v8
	v_mov_b32_e32 v11, v8
	scratch_store_b128 off, v[8:11], off offset:112
	s_wait_loadcnt 0x0
	ds_store_b128 v6, v[2:5]
.LBB20_125:
	s_wait_xcnt 0x0
	s_or_b32 exec_lo, exec_lo, s2
	s_wait_storecnt_dscnt 0x0
	s_barrier_signal -1
	s_barrier_wait -1
	s_clause 0x9
	scratch_load_b128 v[8:11], off, off offset:128
	scratch_load_b128 v[56:59], off, off offset:144
	;; [unrolled: 1-line block ×10, first 2 shown]
	v_mov_b32_e32 v2, 0
	s_mov_b32 s2, exec_lo
	ds_load_b128 v[92:95], v2 offset:464
	s_clause 0x2
	scratch_load_b128 v[96:99], off, off offset:288
	scratch_load_b128 v[100:103], off, off offset:112
	;; [unrolled: 1-line block ×3, first 2 shown]
	s_wait_loadcnt_dscnt 0xc00
	v_mul_f64_e32 v[4:5], v[94:95], v[10:11]
	v_mul_f64_e32 v[116:117], v[92:93], v[10:11]
	ds_load_b128 v[104:107], v2 offset:480
	scratch_load_b128 v[10:13], off, off offset:304
	ds_load_b128 v[112:115], v2 offset:512
	v_fma_f64 v[4:5], v[92:93], v[8:9], -v[4:5]
	v_fmac_f64_e32 v[116:117], v[94:95], v[8:9]
	ds_load_b128 v[92:95], v2 offset:496
	s_wait_loadcnt_dscnt 0xc02
	v_mul_f64_e32 v[118:119], v[104:105], v[58:59]
	v_mul_f64_e32 v[58:59], v[106:107], v[58:59]
	s_wait_loadcnt_dscnt 0xb00
	v_mul_f64_e32 v[8:9], v[92:93], v[62:63]
	v_mul_f64_e32 v[62:63], v[94:95], v[62:63]
	v_add_f64_e32 v[4:5], 0, v[4:5]
	v_fmac_f64_e32 v[118:119], v[106:107], v[56:57]
	v_fma_f64 v[56:57], v[104:105], v[56:57], -v[58:59]
	v_add_f64_e32 v[58:59], 0, v[116:117]
	s_wait_loadcnt 0xa
	v_mul_f64_e32 v[104:105], v[112:113], v[66:67]
	v_mul_f64_e32 v[66:67], v[114:115], v[66:67]
	v_fmac_f64_e32 v[8:9], v[94:95], v[60:61]
	v_fma_f64 v[92:93], v[92:93], v[60:61], -v[62:63]
	v_add_f64_e32 v[4:5], v[4:5], v[56:57]
	v_add_f64_e32 v[94:95], v[58:59], v[118:119]
	ds_load_b128 v[56:59], v2 offset:528
	ds_load_b128 v[60:63], v2 offset:544
	v_fmac_f64_e32 v[104:105], v[114:115], v[64:65]
	v_fma_f64 v[64:65], v[112:113], v[64:65], -v[66:67]
	s_wait_loadcnt_dscnt 0x901
	v_mul_f64_e32 v[106:107], v[56:57], v[70:71]
	v_mul_f64_e32 v[70:71], v[58:59], v[70:71]
	v_add_f64_e32 v[4:5], v[4:5], v[92:93]
	v_add_f64_e32 v[8:9], v[94:95], v[8:9]
	s_wait_loadcnt_dscnt 0x800
	v_mul_f64_e32 v[92:93], v[60:61], v[74:75]
	v_mul_f64_e32 v[74:75], v[62:63], v[74:75]
	v_fmac_f64_e32 v[106:107], v[58:59], v[68:69]
	v_fma_f64 v[68:69], v[56:57], v[68:69], -v[70:71]
	v_add_f64_e32 v[4:5], v[4:5], v[64:65]
	v_add_f64_e32 v[8:9], v[8:9], v[104:105]
	ds_load_b128 v[56:59], v2 offset:560
	ds_load_b128 v[64:67], v2 offset:576
	v_fmac_f64_e32 v[92:93], v[62:63], v[72:73]
	v_fma_f64 v[60:61], v[60:61], v[72:73], -v[74:75]
	s_wait_loadcnt_dscnt 0x701
	v_mul_f64_e32 v[70:71], v[56:57], v[78:79]
	v_mul_f64_e32 v[78:79], v[58:59], v[78:79]
	s_wait_loadcnt_dscnt 0x600
	v_mul_f64_e32 v[72:73], v[66:67], v[82:83]
	v_add_f64_e32 v[4:5], v[4:5], v[68:69]
	v_add_f64_e32 v[8:9], v[8:9], v[106:107]
	v_mul_f64_e32 v[68:69], v[64:65], v[82:83]
	v_fmac_f64_e32 v[70:71], v[58:59], v[76:77]
	v_fma_f64 v[74:75], v[56:57], v[76:77], -v[78:79]
	v_fma_f64 v[64:65], v[64:65], v[80:81], -v[72:73]
	v_add_f64_e32 v[4:5], v[4:5], v[60:61]
	v_add_f64_e32 v[8:9], v[8:9], v[92:93]
	ds_load_b128 v[56:59], v2 offset:592
	ds_load_b128 v[60:63], v2 offset:608
	v_fmac_f64_e32 v[68:69], v[66:67], v[80:81]
	s_wait_loadcnt_dscnt 0x501
	v_mul_f64_e32 v[76:77], v[56:57], v[86:87]
	v_mul_f64_e32 v[78:79], v[58:59], v[86:87]
	s_wait_loadcnt_dscnt 0x400
	v_mul_f64_e32 v[72:73], v[62:63], v[90:91]
	v_add_f64_e32 v[4:5], v[4:5], v[74:75]
	v_add_f64_e32 v[8:9], v[8:9], v[70:71]
	v_mul_f64_e32 v[70:71], v[60:61], v[90:91]
	v_fmac_f64_e32 v[76:77], v[58:59], v[84:85]
	v_fma_f64 v[74:75], v[56:57], v[84:85], -v[78:79]
	v_fma_f64 v[60:61], v[60:61], v[88:89], -v[72:73]
	v_add_f64_e32 v[4:5], v[4:5], v[64:65]
	v_add_f64_e32 v[8:9], v[8:9], v[68:69]
	ds_load_b128 v[56:59], v2 offset:624
	ds_load_b128 v[64:67], v2 offset:640
	v_fmac_f64_e32 v[70:71], v[62:63], v[88:89]
	s_wait_loadcnt_dscnt 0x301
	v_mul_f64_e32 v[68:69], v[56:57], v[98:99]
	v_mul_f64_e32 v[78:79], v[58:59], v[98:99]
	s_wait_loadcnt_dscnt 0x0
	v_mul_f64_e32 v[62:63], v[64:65], v[12:13]
	v_add_f64_e32 v[4:5], v[4:5], v[74:75]
	v_add_f64_e32 v[8:9], v[8:9], v[76:77]
	v_mul_f64_e32 v[12:13], v[66:67], v[12:13]
	v_fmac_f64_e32 v[68:69], v[58:59], v[96:97]
	v_fma_f64 v[72:73], v[56:57], v[96:97], -v[78:79]
	ds_load_b128 v[56:59], v2 offset:656
	v_fmac_f64_e32 v[62:63], v[66:67], v[10:11]
	v_add_f64_e32 v[4:5], v[4:5], v[60:61]
	v_add_f64_e32 v[8:9], v[8:9], v[70:71]
	v_fma_f64 v[10:11], v[64:65], v[10:11], -v[12:13]
	s_wait_dscnt 0x0
	v_mul_f64_e32 v[60:61], v[56:57], v[110:111]
	v_mul_f64_e32 v[70:71], v[58:59], v[110:111]
	v_add_f64_e32 v[4:5], v[4:5], v[72:73]
	v_add_f64_e32 v[8:9], v[8:9], v[68:69]
	s_delay_alu instid0(VALU_DEP_4) | instskip(NEXT) | instid1(VALU_DEP_4)
	v_fmac_f64_e32 v[60:61], v[58:59], v[108:109]
	v_fma_f64 v[12:13], v[56:57], v[108:109], -v[70:71]
	s_delay_alu instid0(VALU_DEP_4) | instskip(NEXT) | instid1(VALU_DEP_4)
	v_add_f64_e32 v[4:5], v[4:5], v[10:11]
	v_add_f64_e32 v[8:9], v[8:9], v[62:63]
	s_delay_alu instid0(VALU_DEP_2) | instskip(NEXT) | instid1(VALU_DEP_2)
	v_add_f64_e32 v[4:5], v[4:5], v[12:13]
	v_add_f64_e32 v[10:11], v[8:9], v[60:61]
	s_delay_alu instid0(VALU_DEP_2) | instskip(NEXT) | instid1(VALU_DEP_2)
	v_add_f64_e64 v[8:9], v[100:101], -v[4:5]
	v_add_f64_e64 v[10:11], v[102:103], -v[10:11]
	scratch_store_b128 off, v[8:11], off offset:112
	s_wait_xcnt 0x0
	v_cmpx_lt_u32_e32 6, v1
	s_cbranch_execz .LBB20_127
; %bb.126:
	scratch_load_b128 v[8:11], off, s20
	v_dual_mov_b32 v3, v2 :: v_dual_mov_b32 v4, v2
	v_mov_b32_e32 v5, v2
	scratch_store_b128 off, v[2:5], off offset:96
	s_wait_loadcnt 0x0
	ds_store_b128 v6, v[8:11]
.LBB20_127:
	s_wait_xcnt 0x0
	s_or_b32 exec_lo, exec_lo, s2
	s_wait_storecnt_dscnt 0x0
	s_barrier_signal -1
	s_barrier_wait -1
	s_clause 0x9
	scratch_load_b128 v[8:11], off, off offset:112
	scratch_load_b128 v[56:59], off, off offset:128
	;; [unrolled: 1-line block ×10, first 2 shown]
	ds_load_b128 v[92:95], v2 offset:448
	ds_load_b128 v[100:103], v2 offset:464
	s_clause 0x1
	scratch_load_b128 v[96:99], off, off offset:272
	scratch_load_b128 v[104:107], off, off offset:96
	s_mov_b32 s2, exec_lo
	s_wait_loadcnt_dscnt 0xb01
	v_mul_f64_e32 v[4:5], v[94:95], v[10:11]
	v_mul_f64_e32 v[116:117], v[92:93], v[10:11]
	scratch_load_b128 v[10:13], off, off offset:288
	s_wait_loadcnt_dscnt 0xb00
	v_mul_f64_e32 v[118:119], v[100:101], v[58:59]
	v_mul_f64_e32 v[58:59], v[102:103], v[58:59]
	v_fma_f64 v[4:5], v[92:93], v[8:9], -v[4:5]
	v_fmac_f64_e32 v[116:117], v[94:95], v[8:9]
	ds_load_b128 v[92:95], v2 offset:480
	ds_load_b128 v[108:111], v2 offset:496
	scratch_load_b128 v[112:115], off, off offset:304
	v_fmac_f64_e32 v[118:119], v[102:103], v[56:57]
	v_fma_f64 v[100:101], v[100:101], v[56:57], -v[58:59]
	scratch_load_b128 v[56:59], off, off offset:320
	s_wait_loadcnt_dscnt 0xc01
	v_mul_f64_e32 v[8:9], v[92:93], v[62:63]
	v_mul_f64_e32 v[62:63], v[94:95], v[62:63]
	v_add_f64_e32 v[4:5], 0, v[4:5]
	v_add_f64_e32 v[102:103], 0, v[116:117]
	s_wait_loadcnt_dscnt 0xb00
	v_mul_f64_e32 v[116:117], v[108:109], v[66:67]
	v_mul_f64_e32 v[66:67], v[110:111], v[66:67]
	v_fmac_f64_e32 v[8:9], v[94:95], v[60:61]
	v_fma_f64 v[120:121], v[92:93], v[60:61], -v[62:63]
	ds_load_b128 v[60:63], v2 offset:512
	ds_load_b128 v[92:95], v2 offset:528
	v_add_f64_e32 v[4:5], v[4:5], v[100:101]
	v_add_f64_e32 v[100:101], v[102:103], v[118:119]
	v_fmac_f64_e32 v[116:117], v[110:111], v[64:65]
	v_fma_f64 v[64:65], v[108:109], v[64:65], -v[66:67]
	s_wait_loadcnt_dscnt 0xa01
	v_mul_f64_e32 v[102:103], v[60:61], v[70:71]
	v_mul_f64_e32 v[70:71], v[62:63], v[70:71]
	v_add_f64_e32 v[4:5], v[4:5], v[120:121]
	v_add_f64_e32 v[8:9], v[100:101], v[8:9]
	s_wait_loadcnt_dscnt 0x900
	v_mul_f64_e32 v[100:101], v[92:93], v[74:75]
	v_mul_f64_e32 v[74:75], v[94:95], v[74:75]
	v_fmac_f64_e32 v[102:103], v[62:63], v[68:69]
	v_fma_f64 v[68:69], v[60:61], v[68:69], -v[70:71]
	v_add_f64_e32 v[4:5], v[4:5], v[64:65]
	v_add_f64_e32 v[8:9], v[8:9], v[116:117]
	ds_load_b128 v[60:63], v2 offset:544
	ds_load_b128 v[64:67], v2 offset:560
	v_fmac_f64_e32 v[100:101], v[94:95], v[72:73]
	v_fma_f64 v[72:73], v[92:93], v[72:73], -v[74:75]
	s_wait_loadcnt_dscnt 0x801
	v_mul_f64_e32 v[108:109], v[60:61], v[78:79]
	v_mul_f64_e32 v[70:71], v[62:63], v[78:79]
	s_wait_loadcnt_dscnt 0x700
	v_mul_f64_e32 v[74:75], v[64:65], v[82:83]
	v_mul_f64_e32 v[78:79], v[66:67], v[82:83]
	v_add_f64_e32 v[4:5], v[4:5], v[68:69]
	v_add_f64_e32 v[8:9], v[8:9], v[102:103]
	v_fmac_f64_e32 v[108:109], v[62:63], v[76:77]
	v_fma_f64 v[76:77], v[60:61], v[76:77], -v[70:71]
	ds_load_b128 v[60:63], v2 offset:576
	ds_load_b128 v[68:71], v2 offset:592
	v_fmac_f64_e32 v[74:75], v[66:67], v[80:81]
	v_fma_f64 v[64:65], v[64:65], v[80:81], -v[78:79]
	v_add_f64_e32 v[4:5], v[4:5], v[72:73]
	v_add_f64_e32 v[8:9], v[8:9], v[100:101]
	s_wait_loadcnt_dscnt 0x601
	v_mul_f64_e32 v[72:73], v[60:61], v[86:87]
	v_mul_f64_e32 v[82:83], v[62:63], v[86:87]
	s_wait_loadcnt_dscnt 0x500
	v_mul_f64_e32 v[78:79], v[70:71], v[90:91]
	v_add_f64_e32 v[4:5], v[4:5], v[76:77]
	v_add_f64_e32 v[8:9], v[8:9], v[108:109]
	v_mul_f64_e32 v[76:77], v[68:69], v[90:91]
	v_fmac_f64_e32 v[72:73], v[62:63], v[84:85]
	v_fma_f64 v[80:81], v[60:61], v[84:85], -v[82:83]
	v_fma_f64 v[68:69], v[68:69], v[88:89], -v[78:79]
	v_add_f64_e32 v[4:5], v[4:5], v[64:65]
	v_add_f64_e32 v[8:9], v[8:9], v[74:75]
	ds_load_b128 v[60:63], v2 offset:608
	ds_load_b128 v[64:67], v2 offset:624
	v_fmac_f64_e32 v[76:77], v[70:71], v[88:89]
	s_wait_loadcnt_dscnt 0x401
	v_mul_f64_e32 v[74:75], v[60:61], v[98:99]
	v_mul_f64_e32 v[82:83], v[62:63], v[98:99]
	v_add_f64_e32 v[4:5], v[4:5], v[80:81]
	v_add_f64_e32 v[8:9], v[8:9], v[72:73]
	s_wait_loadcnt_dscnt 0x200
	v_mul_f64_e32 v[70:71], v[64:65], v[12:13]
	v_mul_f64_e32 v[12:13], v[66:67], v[12:13]
	v_fmac_f64_e32 v[74:75], v[62:63], v[96:97]
	v_fma_f64 v[72:73], v[60:61], v[96:97], -v[82:83]
	v_add_f64_e32 v[68:69], v[4:5], v[68:69]
	v_add_f64_e32 v[8:9], v[8:9], v[76:77]
	ds_load_b128 v[60:63], v2 offset:640
	ds_load_b128 v[2:5], v2 offset:656
	v_fmac_f64_e32 v[70:71], v[66:67], v[10:11]
	v_fma_f64 v[10:11], v[64:65], v[10:11], -v[12:13]
	s_wait_loadcnt_dscnt 0x101
	v_mul_f64_e32 v[76:77], v[60:61], v[114:115]
	v_mul_f64_e32 v[78:79], v[62:63], v[114:115]
	s_wait_loadcnt_dscnt 0x0
	v_mul_f64_e32 v[64:65], v[2:3], v[58:59]
	v_mul_f64_e32 v[58:59], v[4:5], v[58:59]
	v_add_f64_e32 v[12:13], v[68:69], v[72:73]
	v_add_f64_e32 v[8:9], v[8:9], v[74:75]
	v_fmac_f64_e32 v[76:77], v[62:63], v[112:113]
	v_fma_f64 v[60:61], v[60:61], v[112:113], -v[78:79]
	v_fmac_f64_e32 v[64:65], v[4:5], v[56:57]
	v_fma_f64 v[2:3], v[2:3], v[56:57], -v[58:59]
	v_add_f64_e32 v[10:11], v[12:13], v[10:11]
	v_add_f64_e32 v[8:9], v[8:9], v[70:71]
	s_delay_alu instid0(VALU_DEP_2) | instskip(NEXT) | instid1(VALU_DEP_2)
	v_add_f64_e32 v[4:5], v[10:11], v[60:61]
	v_add_f64_e32 v[8:9], v[8:9], v[76:77]
	s_delay_alu instid0(VALU_DEP_2) | instskip(NEXT) | instid1(VALU_DEP_2)
	;; [unrolled: 3-line block ×3, first 2 shown]
	v_add_f64_e64 v[2:3], v[104:105], -v[2:3]
	v_add_f64_e64 v[4:5], v[106:107], -v[4:5]
	scratch_store_b128 off, v[2:5], off offset:96
	s_wait_xcnt 0x0
	v_cmpx_lt_u32_e32 5, v1
	s_cbranch_execz .LBB20_129
; %bb.128:
	scratch_load_b128 v[2:5], off, s14
	v_mov_b32_e32 v8, 0
	s_delay_alu instid0(VALU_DEP_1)
	v_dual_mov_b32 v9, v8 :: v_dual_mov_b32 v10, v8
	v_mov_b32_e32 v11, v8
	scratch_store_b128 off, v[8:11], off offset:80
	s_wait_loadcnt 0x0
	ds_store_b128 v6, v[2:5]
.LBB20_129:
	s_wait_xcnt 0x0
	s_or_b32 exec_lo, exec_lo, s2
	s_wait_storecnt_dscnt 0x0
	s_barrier_signal -1
	s_barrier_wait -1
	s_clause 0x9
	scratch_load_b128 v[8:11], off, off offset:96
	scratch_load_b128 v[56:59], off, off offset:112
	;; [unrolled: 1-line block ×10, first 2 shown]
	v_mov_b32_e32 v2, 0
	s_mov_b32 s2, exec_lo
	ds_load_b128 v[92:95], v2 offset:432
	s_clause 0x2
	scratch_load_b128 v[96:99], off, off offset:256
	scratch_load_b128 v[100:103], off, off offset:80
	;; [unrolled: 1-line block ×3, first 2 shown]
	s_wait_loadcnt_dscnt 0xc00
	v_mul_f64_e32 v[4:5], v[94:95], v[10:11]
	v_mul_f64_e32 v[116:117], v[92:93], v[10:11]
	ds_load_b128 v[104:107], v2 offset:448
	scratch_load_b128 v[10:13], off, off offset:272
	ds_load_b128 v[112:115], v2 offset:480
	v_fma_f64 v[4:5], v[92:93], v[8:9], -v[4:5]
	v_fmac_f64_e32 v[116:117], v[94:95], v[8:9]
	ds_load_b128 v[92:95], v2 offset:464
	s_wait_loadcnt_dscnt 0xc02
	v_mul_f64_e32 v[118:119], v[104:105], v[58:59]
	v_mul_f64_e32 v[58:59], v[106:107], v[58:59]
	s_wait_loadcnt_dscnt 0xb00
	v_mul_f64_e32 v[8:9], v[92:93], v[62:63]
	v_mul_f64_e32 v[62:63], v[94:95], v[62:63]
	v_add_f64_e32 v[4:5], 0, v[4:5]
	v_fmac_f64_e32 v[118:119], v[106:107], v[56:57]
	v_fma_f64 v[104:105], v[104:105], v[56:57], -v[58:59]
	v_add_f64_e32 v[106:107], 0, v[116:117]
	scratch_load_b128 v[56:59], off, off offset:304
	v_fmac_f64_e32 v[8:9], v[94:95], v[60:61]
	v_fma_f64 v[120:121], v[92:93], v[60:61], -v[62:63]
	ds_load_b128 v[60:63], v2 offset:496
	s_wait_loadcnt 0xb
	v_mul_f64_e32 v[116:117], v[112:113], v[66:67]
	v_mul_f64_e32 v[66:67], v[114:115], v[66:67]
	scratch_load_b128 v[92:95], off, off offset:320
	v_add_f64_e32 v[4:5], v[4:5], v[104:105]
	v_add_f64_e32 v[118:119], v[106:107], v[118:119]
	ds_load_b128 v[104:107], v2 offset:512
	s_wait_loadcnt_dscnt 0xb01
	v_mul_f64_e32 v[122:123], v[60:61], v[70:71]
	v_mul_f64_e32 v[70:71], v[62:63], v[70:71]
	v_fmac_f64_e32 v[116:117], v[114:115], v[64:65]
	v_fma_f64 v[64:65], v[112:113], v[64:65], -v[66:67]
	s_wait_loadcnt_dscnt 0xa00
	v_mul_f64_e32 v[112:113], v[104:105], v[74:75]
	v_mul_f64_e32 v[74:75], v[106:107], v[74:75]
	v_add_f64_e32 v[4:5], v[4:5], v[120:121]
	v_add_f64_e32 v[8:9], v[118:119], v[8:9]
	v_fmac_f64_e32 v[122:123], v[62:63], v[68:69]
	v_fma_f64 v[68:69], v[60:61], v[68:69], -v[70:71]
	v_fmac_f64_e32 v[112:113], v[106:107], v[72:73]
	v_fma_f64 v[72:73], v[104:105], v[72:73], -v[74:75]
	v_add_f64_e32 v[4:5], v[4:5], v[64:65]
	v_add_f64_e32 v[8:9], v[8:9], v[116:117]
	ds_load_b128 v[60:63], v2 offset:528
	ds_load_b128 v[64:67], v2 offset:544
	s_wait_loadcnt_dscnt 0x901
	v_mul_f64_e32 v[114:115], v[60:61], v[78:79]
	v_mul_f64_e32 v[70:71], v[62:63], v[78:79]
	s_wait_loadcnt_dscnt 0x800
	v_mul_f64_e32 v[74:75], v[64:65], v[82:83]
	v_mul_f64_e32 v[78:79], v[66:67], v[82:83]
	v_add_f64_e32 v[4:5], v[4:5], v[68:69]
	v_add_f64_e32 v[8:9], v[8:9], v[122:123]
	v_fmac_f64_e32 v[114:115], v[62:63], v[76:77]
	v_fma_f64 v[76:77], v[60:61], v[76:77], -v[70:71]
	ds_load_b128 v[60:63], v2 offset:560
	ds_load_b128 v[68:71], v2 offset:576
	v_fmac_f64_e32 v[74:75], v[66:67], v[80:81]
	v_fma_f64 v[64:65], v[64:65], v[80:81], -v[78:79]
	v_add_f64_e32 v[4:5], v[4:5], v[72:73]
	v_add_f64_e32 v[8:9], v[8:9], v[112:113]
	s_wait_loadcnt_dscnt 0x701
	v_mul_f64_e32 v[72:73], v[60:61], v[86:87]
	v_mul_f64_e32 v[82:83], v[62:63], v[86:87]
	s_wait_loadcnt_dscnt 0x600
	v_mul_f64_e32 v[78:79], v[70:71], v[90:91]
	v_add_f64_e32 v[4:5], v[4:5], v[76:77]
	v_add_f64_e32 v[8:9], v[8:9], v[114:115]
	v_mul_f64_e32 v[76:77], v[68:69], v[90:91]
	v_fmac_f64_e32 v[72:73], v[62:63], v[84:85]
	v_fma_f64 v[80:81], v[60:61], v[84:85], -v[82:83]
	v_fma_f64 v[68:69], v[68:69], v[88:89], -v[78:79]
	v_add_f64_e32 v[4:5], v[4:5], v[64:65]
	v_add_f64_e32 v[8:9], v[8:9], v[74:75]
	ds_load_b128 v[60:63], v2 offset:592
	ds_load_b128 v[64:67], v2 offset:608
	v_fmac_f64_e32 v[76:77], v[70:71], v[88:89]
	s_wait_loadcnt_dscnt 0x501
	v_mul_f64_e32 v[74:75], v[60:61], v[98:99]
	v_mul_f64_e32 v[82:83], v[62:63], v[98:99]
	v_add_f64_e32 v[4:5], v[4:5], v[80:81]
	v_add_f64_e32 v[8:9], v[8:9], v[72:73]
	s_wait_loadcnt_dscnt 0x200
	v_mul_f64_e32 v[72:73], v[64:65], v[12:13]
	v_mul_f64_e32 v[12:13], v[66:67], v[12:13]
	v_fmac_f64_e32 v[74:75], v[62:63], v[96:97]
	v_fma_f64 v[78:79], v[60:61], v[96:97], -v[82:83]
	v_add_f64_e32 v[4:5], v[4:5], v[68:69]
	v_add_f64_e32 v[8:9], v[8:9], v[76:77]
	ds_load_b128 v[60:63], v2 offset:624
	ds_load_b128 v[68:71], v2 offset:640
	v_fmac_f64_e32 v[72:73], v[66:67], v[10:11]
	v_fma_f64 v[10:11], v[64:65], v[10:11], -v[12:13]
	s_wait_dscnt 0x1
	v_mul_f64_e32 v[76:77], v[60:61], v[110:111]
	v_mul_f64_e32 v[80:81], v[62:63], v[110:111]
	v_add_f64_e32 v[4:5], v[4:5], v[78:79]
	v_add_f64_e32 v[8:9], v[8:9], v[74:75]
	s_wait_loadcnt_dscnt 0x100
	v_mul_f64_e32 v[12:13], v[68:69], v[58:59]
	v_mul_f64_e32 v[58:59], v[70:71], v[58:59]
	v_fmac_f64_e32 v[76:77], v[62:63], v[108:109]
	v_fma_f64 v[60:61], v[60:61], v[108:109], -v[80:81]
	v_add_f64_e32 v[4:5], v[4:5], v[10:11]
	v_add_f64_e32 v[62:63], v[8:9], v[72:73]
	ds_load_b128 v[8:11], v2 offset:656
	v_fmac_f64_e32 v[12:13], v[70:71], v[56:57]
	v_fma_f64 v[56:57], v[68:69], v[56:57], -v[58:59]
	s_wait_loadcnt_dscnt 0x0
	v_mul_f64_e32 v[64:65], v[8:9], v[94:95]
	v_mul_f64_e32 v[66:67], v[10:11], v[94:95]
	v_add_f64_e32 v[4:5], v[4:5], v[60:61]
	v_add_f64_e32 v[58:59], v[62:63], v[76:77]
	s_delay_alu instid0(VALU_DEP_4) | instskip(NEXT) | instid1(VALU_DEP_4)
	v_fmac_f64_e32 v[64:65], v[10:11], v[92:93]
	v_fma_f64 v[8:9], v[8:9], v[92:93], -v[66:67]
	s_delay_alu instid0(VALU_DEP_4) | instskip(NEXT) | instid1(VALU_DEP_4)
	v_add_f64_e32 v[4:5], v[4:5], v[56:57]
	v_add_f64_e32 v[10:11], v[58:59], v[12:13]
	s_delay_alu instid0(VALU_DEP_2) | instskip(NEXT) | instid1(VALU_DEP_2)
	v_add_f64_e32 v[4:5], v[4:5], v[8:9]
	v_add_f64_e32 v[10:11], v[10:11], v[64:65]
	s_delay_alu instid0(VALU_DEP_2) | instskip(NEXT) | instid1(VALU_DEP_2)
	v_add_f64_e64 v[8:9], v[100:101], -v[4:5]
	v_add_f64_e64 v[10:11], v[102:103], -v[10:11]
	scratch_store_b128 off, v[8:11], off offset:80
	s_wait_xcnt 0x0
	v_cmpx_lt_u32_e32 4, v1
	s_cbranch_execz .LBB20_131
; %bb.130:
	scratch_load_b128 v[8:11], off, s10
	v_dual_mov_b32 v3, v2 :: v_dual_mov_b32 v4, v2
	v_mov_b32_e32 v5, v2
	scratch_store_b128 off, v[2:5], off offset:64
	s_wait_loadcnt 0x0
	ds_store_b128 v6, v[8:11]
.LBB20_131:
	s_wait_xcnt 0x0
	s_or_b32 exec_lo, exec_lo, s2
	s_wait_storecnt_dscnt 0x0
	s_barrier_signal -1
	s_barrier_wait -1
	s_clause 0x9
	scratch_load_b128 v[8:11], off, off offset:80
	scratch_load_b128 v[56:59], off, off offset:96
	;; [unrolled: 1-line block ×10, first 2 shown]
	ds_load_b128 v[92:95], v2 offset:416
	ds_load_b128 v[100:103], v2 offset:432
	s_clause 0x1
	scratch_load_b128 v[96:99], off, off offset:240
	scratch_load_b128 v[104:107], off, off offset:64
	s_mov_b32 s2, exec_lo
	s_wait_loadcnt_dscnt 0xb01
	v_mul_f64_e32 v[4:5], v[94:95], v[10:11]
	v_mul_f64_e32 v[116:117], v[92:93], v[10:11]
	scratch_load_b128 v[10:13], off, off offset:256
	s_wait_loadcnt_dscnt 0xb00
	v_mul_f64_e32 v[118:119], v[100:101], v[58:59]
	v_mul_f64_e32 v[58:59], v[102:103], v[58:59]
	v_fma_f64 v[4:5], v[92:93], v[8:9], -v[4:5]
	v_fmac_f64_e32 v[116:117], v[94:95], v[8:9]
	ds_load_b128 v[92:95], v2 offset:448
	ds_load_b128 v[108:111], v2 offset:464
	scratch_load_b128 v[112:115], off, off offset:272
	v_fmac_f64_e32 v[118:119], v[102:103], v[56:57]
	v_fma_f64 v[100:101], v[100:101], v[56:57], -v[58:59]
	scratch_load_b128 v[56:59], off, off offset:288
	s_wait_loadcnt_dscnt 0xc01
	v_mul_f64_e32 v[8:9], v[92:93], v[62:63]
	v_mul_f64_e32 v[62:63], v[94:95], v[62:63]
	v_add_f64_e32 v[4:5], 0, v[4:5]
	v_add_f64_e32 v[102:103], 0, v[116:117]
	s_wait_loadcnt_dscnt 0xb00
	v_mul_f64_e32 v[116:117], v[108:109], v[66:67]
	v_mul_f64_e32 v[66:67], v[110:111], v[66:67]
	v_fmac_f64_e32 v[8:9], v[94:95], v[60:61]
	v_fma_f64 v[120:121], v[92:93], v[60:61], -v[62:63]
	ds_load_b128 v[60:63], v2 offset:480
	ds_load_b128 v[92:95], v2 offset:496
	v_add_f64_e32 v[4:5], v[4:5], v[100:101]
	v_add_f64_e32 v[118:119], v[102:103], v[118:119]
	scratch_load_b128 v[100:103], off, off offset:304
	v_fmac_f64_e32 v[116:117], v[110:111], v[64:65]
	v_fma_f64 v[108:109], v[108:109], v[64:65], -v[66:67]
	scratch_load_b128 v[64:67], off, off offset:320
	s_wait_loadcnt_dscnt 0xc01
	v_mul_f64_e32 v[122:123], v[60:61], v[70:71]
	v_mul_f64_e32 v[70:71], v[62:63], v[70:71]
	s_wait_loadcnt_dscnt 0xb00
	v_mul_f64_e32 v[110:111], v[92:93], v[74:75]
	v_mul_f64_e32 v[74:75], v[94:95], v[74:75]
	v_add_f64_e32 v[4:5], v[4:5], v[120:121]
	v_add_f64_e32 v[8:9], v[118:119], v[8:9]
	v_fmac_f64_e32 v[122:123], v[62:63], v[68:69]
	v_fma_f64 v[118:119], v[60:61], v[68:69], -v[70:71]
	ds_load_b128 v[60:63], v2 offset:512
	ds_load_b128 v[68:71], v2 offset:528
	v_fmac_f64_e32 v[110:111], v[94:95], v[72:73]
	v_fma_f64 v[72:73], v[92:93], v[72:73], -v[74:75]
	s_wait_loadcnt_dscnt 0x900
	v_mul_f64_e32 v[92:93], v[68:69], v[82:83]
	v_add_f64_e32 v[4:5], v[4:5], v[108:109]
	v_add_f64_e32 v[8:9], v[8:9], v[116:117]
	v_mul_f64_e32 v[108:109], v[60:61], v[78:79]
	v_mul_f64_e32 v[78:79], v[62:63], v[78:79]
	;; [unrolled: 1-line block ×3, first 2 shown]
	v_fmac_f64_e32 v[92:93], v[70:71], v[80:81]
	v_add_f64_e32 v[4:5], v[4:5], v[118:119]
	v_add_f64_e32 v[8:9], v[8:9], v[122:123]
	v_fmac_f64_e32 v[108:109], v[62:63], v[76:77]
	v_fma_f64 v[76:77], v[60:61], v[76:77], -v[78:79]
	v_fma_f64 v[68:69], v[68:69], v[80:81], -v[82:83]
	v_add_f64_e32 v[4:5], v[4:5], v[72:73]
	v_add_f64_e32 v[8:9], v[8:9], v[110:111]
	ds_load_b128 v[60:63], v2 offset:544
	ds_load_b128 v[72:75], v2 offset:560
	s_wait_loadcnt_dscnt 0x801
	v_mul_f64_e32 v[78:79], v[60:61], v[86:87]
	v_mul_f64_e32 v[86:87], v[62:63], v[86:87]
	s_wait_loadcnt_dscnt 0x700
	v_mul_f64_e32 v[80:81], v[74:75], v[90:91]
	v_add_f64_e32 v[4:5], v[4:5], v[76:77]
	v_add_f64_e32 v[8:9], v[8:9], v[108:109]
	v_mul_f64_e32 v[76:77], v[72:73], v[90:91]
	v_fmac_f64_e32 v[78:79], v[62:63], v[84:85]
	v_fma_f64 v[82:83], v[60:61], v[84:85], -v[86:87]
	v_fma_f64 v[72:73], v[72:73], v[88:89], -v[80:81]
	v_add_f64_e32 v[4:5], v[4:5], v[68:69]
	v_add_f64_e32 v[8:9], v[8:9], v[92:93]
	ds_load_b128 v[60:63], v2 offset:576
	ds_load_b128 v[68:71], v2 offset:592
	v_fmac_f64_e32 v[76:77], v[74:75], v[88:89]
	s_wait_loadcnt_dscnt 0x601
	v_mul_f64_e32 v[84:85], v[60:61], v[98:99]
	v_mul_f64_e32 v[86:87], v[62:63], v[98:99]
	v_add_f64_e32 v[4:5], v[4:5], v[82:83]
	v_add_f64_e32 v[8:9], v[8:9], v[78:79]
	s_wait_loadcnt_dscnt 0x400
	v_mul_f64_e32 v[78:79], v[68:69], v[12:13]
	v_mul_f64_e32 v[12:13], v[70:71], v[12:13]
	v_fmac_f64_e32 v[84:85], v[62:63], v[96:97]
	v_fma_f64 v[80:81], v[60:61], v[96:97], -v[86:87]
	v_add_f64_e32 v[4:5], v[4:5], v[72:73]
	v_add_f64_e32 v[8:9], v[8:9], v[76:77]
	ds_load_b128 v[60:63], v2 offset:608
	ds_load_b128 v[72:75], v2 offset:624
	v_fmac_f64_e32 v[78:79], v[70:71], v[10:11]
	v_fma_f64 v[10:11], v[68:69], v[10:11], -v[12:13]
	s_wait_loadcnt_dscnt 0x301
	v_mul_f64_e32 v[76:77], v[60:61], v[114:115]
	v_mul_f64_e32 v[82:83], v[62:63], v[114:115]
	s_wait_loadcnt_dscnt 0x200
	v_mul_f64_e32 v[12:13], v[72:73], v[58:59]
	v_mul_f64_e32 v[58:59], v[74:75], v[58:59]
	v_add_f64_e32 v[4:5], v[4:5], v[80:81]
	v_add_f64_e32 v[8:9], v[8:9], v[84:85]
	v_fmac_f64_e32 v[76:77], v[62:63], v[112:113]
	v_fma_f64 v[60:61], v[60:61], v[112:113], -v[82:83]
	v_fmac_f64_e32 v[12:13], v[74:75], v[56:57]
	v_fma_f64 v[56:57], v[72:73], v[56:57], -v[58:59]
	v_add_f64_e32 v[62:63], v[4:5], v[10:11]
	v_add_f64_e32 v[68:69], v[8:9], v[78:79]
	ds_load_b128 v[8:11], v2 offset:640
	ds_load_b128 v[2:5], v2 offset:656
	s_wait_loadcnt_dscnt 0x101
	v_mul_f64_e32 v[70:71], v[8:9], v[102:103]
	v_mul_f64_e32 v[78:79], v[10:11], v[102:103]
	v_add_f64_e32 v[58:59], v[62:63], v[60:61]
	v_add_f64_e32 v[60:61], v[68:69], v[76:77]
	s_wait_loadcnt_dscnt 0x0
	v_mul_f64_e32 v[62:63], v[2:3], v[66:67]
	v_mul_f64_e32 v[66:67], v[4:5], v[66:67]
	v_fmac_f64_e32 v[70:71], v[10:11], v[100:101]
	v_fma_f64 v[8:9], v[8:9], v[100:101], -v[78:79]
	v_add_f64_e32 v[10:11], v[58:59], v[56:57]
	v_add_f64_e32 v[12:13], v[60:61], v[12:13]
	v_fmac_f64_e32 v[62:63], v[4:5], v[64:65]
	v_fma_f64 v[2:3], v[2:3], v[64:65], -v[66:67]
	s_delay_alu instid0(VALU_DEP_4) | instskip(NEXT) | instid1(VALU_DEP_4)
	v_add_f64_e32 v[4:5], v[10:11], v[8:9]
	v_add_f64_e32 v[8:9], v[12:13], v[70:71]
	s_delay_alu instid0(VALU_DEP_2) | instskip(NEXT) | instid1(VALU_DEP_2)
	v_add_f64_e32 v[2:3], v[4:5], v[2:3]
	v_add_f64_e32 v[4:5], v[8:9], v[62:63]
	s_delay_alu instid0(VALU_DEP_2) | instskip(NEXT) | instid1(VALU_DEP_2)
	v_add_f64_e64 v[2:3], v[104:105], -v[2:3]
	v_add_f64_e64 v[4:5], v[106:107], -v[4:5]
	scratch_store_b128 off, v[2:5], off offset:64
	s_wait_xcnt 0x0
	v_cmpx_lt_u32_e32 3, v1
	s_cbranch_execz .LBB20_133
; %bb.132:
	scratch_load_b128 v[2:5], off, s9
	v_mov_b32_e32 v8, 0
	s_delay_alu instid0(VALU_DEP_1)
	v_dual_mov_b32 v9, v8 :: v_dual_mov_b32 v10, v8
	v_mov_b32_e32 v11, v8
	scratch_store_b128 off, v[8:11], off offset:48
	s_wait_loadcnt 0x0
	ds_store_b128 v6, v[2:5]
.LBB20_133:
	s_wait_xcnt 0x0
	s_or_b32 exec_lo, exec_lo, s2
	s_wait_storecnt_dscnt 0x0
	s_barrier_signal -1
	s_barrier_wait -1
	s_clause 0x9
	scratch_load_b128 v[8:11], off, off offset:64
	scratch_load_b128 v[56:59], off, off offset:80
	;; [unrolled: 1-line block ×10, first 2 shown]
	v_mov_b32_e32 v2, 0
	s_mov_b32 s2, exec_lo
	ds_load_b128 v[92:95], v2 offset:400
	s_clause 0x2
	scratch_load_b128 v[96:99], off, off offset:224
	scratch_load_b128 v[100:103], off, off offset:48
	;; [unrolled: 1-line block ×3, first 2 shown]
	s_wait_loadcnt_dscnt 0xc00
	v_mul_f64_e32 v[4:5], v[94:95], v[10:11]
	v_mul_f64_e32 v[116:117], v[92:93], v[10:11]
	ds_load_b128 v[104:107], v2 offset:416
	scratch_load_b128 v[10:13], off, off offset:240
	ds_load_b128 v[112:115], v2 offset:448
	v_fma_f64 v[4:5], v[92:93], v[8:9], -v[4:5]
	v_fmac_f64_e32 v[116:117], v[94:95], v[8:9]
	ds_load_b128 v[92:95], v2 offset:432
	s_wait_loadcnt_dscnt 0xc02
	v_mul_f64_e32 v[118:119], v[104:105], v[58:59]
	v_mul_f64_e32 v[58:59], v[106:107], v[58:59]
	s_wait_loadcnt_dscnt 0xb00
	v_mul_f64_e32 v[8:9], v[92:93], v[62:63]
	v_mul_f64_e32 v[62:63], v[94:95], v[62:63]
	v_add_f64_e32 v[4:5], 0, v[4:5]
	v_fmac_f64_e32 v[118:119], v[106:107], v[56:57]
	v_fma_f64 v[104:105], v[104:105], v[56:57], -v[58:59]
	v_add_f64_e32 v[106:107], 0, v[116:117]
	scratch_load_b128 v[56:59], off, off offset:272
	v_fmac_f64_e32 v[8:9], v[94:95], v[60:61]
	v_fma_f64 v[120:121], v[92:93], v[60:61], -v[62:63]
	ds_load_b128 v[60:63], v2 offset:464
	s_wait_loadcnt 0xb
	v_mul_f64_e32 v[116:117], v[112:113], v[66:67]
	v_mul_f64_e32 v[66:67], v[114:115], v[66:67]
	scratch_load_b128 v[92:95], off, off offset:288
	v_add_f64_e32 v[4:5], v[4:5], v[104:105]
	v_add_f64_e32 v[118:119], v[106:107], v[118:119]
	ds_load_b128 v[104:107], v2 offset:480
	s_wait_loadcnt_dscnt 0xb01
	v_mul_f64_e32 v[122:123], v[60:61], v[70:71]
	v_mul_f64_e32 v[70:71], v[62:63], v[70:71]
	v_fmac_f64_e32 v[116:117], v[114:115], v[64:65]
	v_fma_f64 v[112:113], v[112:113], v[64:65], -v[66:67]
	scratch_load_b128 v[64:67], off, off offset:304
	v_add_f64_e32 v[4:5], v[4:5], v[120:121]
	v_add_f64_e32 v[8:9], v[118:119], v[8:9]
	v_fmac_f64_e32 v[122:123], v[62:63], v[68:69]
	v_fma_f64 v[120:121], v[60:61], v[68:69], -v[70:71]
	ds_load_b128 v[60:63], v2 offset:496
	s_wait_loadcnt_dscnt 0xb01
	v_mul_f64_e32 v[118:119], v[104:105], v[74:75]
	v_mul_f64_e32 v[74:75], v[106:107], v[74:75]
	scratch_load_b128 v[68:71], off, off offset:320
	v_add_f64_e32 v[4:5], v[4:5], v[112:113]
	v_add_f64_e32 v[8:9], v[8:9], v[116:117]
	s_wait_loadcnt_dscnt 0xb00
	v_mul_f64_e32 v[116:117], v[60:61], v[78:79]
	v_mul_f64_e32 v[78:79], v[62:63], v[78:79]
	ds_load_b128 v[112:115], v2 offset:512
	v_fmac_f64_e32 v[118:119], v[106:107], v[72:73]
	v_fma_f64 v[72:73], v[104:105], v[72:73], -v[74:75]
	s_wait_loadcnt_dscnt 0xa00
	v_mul_f64_e32 v[104:105], v[112:113], v[82:83]
	v_mul_f64_e32 v[82:83], v[114:115], v[82:83]
	v_add_f64_e32 v[4:5], v[4:5], v[120:121]
	v_add_f64_e32 v[8:9], v[8:9], v[122:123]
	v_fmac_f64_e32 v[116:117], v[62:63], v[76:77]
	v_fma_f64 v[76:77], v[60:61], v[76:77], -v[78:79]
	v_fmac_f64_e32 v[104:105], v[114:115], v[80:81]
	v_fma_f64 v[80:81], v[112:113], v[80:81], -v[82:83]
	v_add_f64_e32 v[4:5], v[4:5], v[72:73]
	v_add_f64_e32 v[8:9], v[8:9], v[118:119]
	ds_load_b128 v[60:63], v2 offset:528
	ds_load_b128 v[72:75], v2 offset:544
	s_wait_loadcnt_dscnt 0x901
	v_mul_f64_e32 v[106:107], v[60:61], v[86:87]
	v_mul_f64_e32 v[78:79], v[62:63], v[86:87]
	s_wait_loadcnt_dscnt 0x800
	v_mul_f64_e32 v[82:83], v[72:73], v[90:91]
	v_mul_f64_e32 v[86:87], v[74:75], v[90:91]
	v_add_f64_e32 v[4:5], v[4:5], v[76:77]
	v_add_f64_e32 v[8:9], v[8:9], v[116:117]
	v_fmac_f64_e32 v[106:107], v[62:63], v[84:85]
	v_fma_f64 v[84:85], v[60:61], v[84:85], -v[78:79]
	ds_load_b128 v[60:63], v2 offset:560
	ds_load_b128 v[76:79], v2 offset:576
	v_fmac_f64_e32 v[82:83], v[74:75], v[88:89]
	v_fma_f64 v[72:73], v[72:73], v[88:89], -v[86:87]
	v_add_f64_e32 v[4:5], v[4:5], v[80:81]
	v_add_f64_e32 v[8:9], v[8:9], v[104:105]
	s_wait_loadcnt_dscnt 0x701
	v_mul_f64_e32 v[80:81], v[60:61], v[98:99]
	v_mul_f64_e32 v[90:91], v[62:63], v[98:99]
	s_delay_alu instid0(VALU_DEP_4) | instskip(NEXT) | instid1(VALU_DEP_4)
	v_add_f64_e32 v[4:5], v[4:5], v[84:85]
	v_add_f64_e32 v[8:9], v[8:9], v[106:107]
	s_wait_loadcnt_dscnt 0x400
	v_mul_f64_e32 v[84:85], v[76:77], v[12:13]
	v_mul_f64_e32 v[12:13], v[78:79], v[12:13]
	v_fmac_f64_e32 v[80:81], v[62:63], v[96:97]
	v_fma_f64 v[86:87], v[60:61], v[96:97], -v[90:91]
	v_add_f64_e32 v[4:5], v[4:5], v[72:73]
	v_add_f64_e32 v[8:9], v[8:9], v[82:83]
	ds_load_b128 v[60:63], v2 offset:592
	ds_load_b128 v[72:75], v2 offset:608
	v_fmac_f64_e32 v[84:85], v[78:79], v[10:11]
	v_fma_f64 v[10:11], v[76:77], v[10:11], -v[12:13]
	s_wait_dscnt 0x1
	v_mul_f64_e32 v[82:83], v[60:61], v[110:111]
	v_mul_f64_e32 v[88:89], v[62:63], v[110:111]
	v_add_f64_e32 v[4:5], v[4:5], v[86:87]
	v_add_f64_e32 v[8:9], v[8:9], v[80:81]
	s_wait_loadcnt_dscnt 0x300
	v_mul_f64_e32 v[12:13], v[72:73], v[58:59]
	v_mul_f64_e32 v[76:77], v[74:75], v[58:59]
	v_fmac_f64_e32 v[82:83], v[62:63], v[108:109]
	v_fma_f64 v[62:63], v[60:61], v[108:109], -v[88:89]
	v_add_f64_e32 v[4:5], v[4:5], v[10:11]
	v_add_f64_e32 v[78:79], v[8:9], v[84:85]
	ds_load_b128 v[8:11], v2 offset:624
	ds_load_b128 v[58:61], v2 offset:640
	v_fmac_f64_e32 v[12:13], v[74:75], v[56:57]
	v_fma_f64 v[56:57], v[72:73], v[56:57], -v[76:77]
	s_wait_loadcnt_dscnt 0x201
	v_mul_f64_e32 v[80:81], v[8:9], v[94:95]
	v_mul_f64_e32 v[84:85], v[10:11], v[94:95]
	s_wait_loadcnt_dscnt 0x100
	v_mul_f64_e32 v[72:73], v[58:59], v[66:67]
	v_mul_f64_e32 v[66:67], v[60:61], v[66:67]
	v_add_f64_e32 v[4:5], v[4:5], v[62:63]
	v_add_f64_e32 v[62:63], v[78:79], v[82:83]
	v_fmac_f64_e32 v[80:81], v[10:11], v[92:93]
	v_fma_f64 v[74:75], v[8:9], v[92:93], -v[84:85]
	ds_load_b128 v[8:11], v2 offset:656
	v_fmac_f64_e32 v[72:73], v[60:61], v[64:65]
	v_fma_f64 v[58:59], v[58:59], v[64:65], -v[66:67]
	v_add_f64_e32 v[4:5], v[4:5], v[56:57]
	v_add_f64_e32 v[12:13], v[62:63], v[12:13]
	s_wait_loadcnt_dscnt 0x0
	v_mul_f64_e32 v[56:57], v[8:9], v[70:71]
	v_mul_f64_e32 v[62:63], v[10:11], v[70:71]
	s_delay_alu instid0(VALU_DEP_4) | instskip(NEXT) | instid1(VALU_DEP_4)
	v_add_f64_e32 v[4:5], v[4:5], v[74:75]
	v_add_f64_e32 v[12:13], v[12:13], v[80:81]
	s_delay_alu instid0(VALU_DEP_4) | instskip(NEXT) | instid1(VALU_DEP_4)
	v_fmac_f64_e32 v[56:57], v[10:11], v[68:69]
	v_fma_f64 v[8:9], v[8:9], v[68:69], -v[62:63]
	s_delay_alu instid0(VALU_DEP_4) | instskip(NEXT) | instid1(VALU_DEP_4)
	v_add_f64_e32 v[4:5], v[4:5], v[58:59]
	v_add_f64_e32 v[10:11], v[12:13], v[72:73]
	s_delay_alu instid0(VALU_DEP_2) | instskip(NEXT) | instid1(VALU_DEP_2)
	v_add_f64_e32 v[4:5], v[4:5], v[8:9]
	v_add_f64_e32 v[10:11], v[10:11], v[56:57]
	s_delay_alu instid0(VALU_DEP_2) | instskip(NEXT) | instid1(VALU_DEP_2)
	v_add_f64_e64 v[8:9], v[100:101], -v[4:5]
	v_add_f64_e64 v[10:11], v[102:103], -v[10:11]
	scratch_store_b128 off, v[8:11], off offset:48
	s_wait_xcnt 0x0
	v_cmpx_lt_u32_e32 2, v1
	s_cbranch_execz .LBB20_135
; %bb.134:
	scratch_load_b128 v[8:11], off, s8
	v_dual_mov_b32 v3, v2 :: v_dual_mov_b32 v4, v2
	v_mov_b32_e32 v5, v2
	scratch_store_b128 off, v[2:5], off offset:32
	s_wait_loadcnt 0x0
	ds_store_b128 v6, v[8:11]
.LBB20_135:
	s_wait_xcnt 0x0
	s_or_b32 exec_lo, exec_lo, s2
	s_wait_storecnt_dscnt 0x0
	s_barrier_signal -1
	s_barrier_wait -1
	s_clause 0x9
	scratch_load_b128 v[8:11], off, off offset:48
	scratch_load_b128 v[56:59], off, off offset:64
	;; [unrolled: 1-line block ×10, first 2 shown]
	ds_load_b128 v[92:95], v2 offset:384
	ds_load_b128 v[100:103], v2 offset:400
	s_clause 0x1
	scratch_load_b128 v[96:99], off, off offset:208
	scratch_load_b128 v[104:107], off, off offset:32
	s_mov_b32 s2, exec_lo
	v_ashrrev_i32_e32 v21, 31, v20
	v_ashrrev_i32_e32 v25, 31, v24
	;; [unrolled: 1-line block ×3, first 2 shown]
	v_dual_ashrrev_i32 v33, 31, v32 :: v_dual_ashrrev_i32 v19, 31, v18
	v_dual_ashrrev_i32 v23, 31, v22 :: v_dual_ashrrev_i32 v37, 31, v36
	;; [unrolled: 1-line block ×6, first 2 shown]
	v_ashrrev_i32_e32 v43, 31, v42
	v_ashrrev_i32_e32 v47, 31, v46
	;; [unrolled: 1-line block ×4, first 2 shown]
	s_wait_loadcnt_dscnt 0xb01
	v_mul_f64_e32 v[4:5], v[94:95], v[10:11]
	v_mul_f64_e32 v[116:117], v[92:93], v[10:11]
	scratch_load_b128 v[10:13], off, off offset:224
	s_wait_loadcnt_dscnt 0xb00
	v_mul_f64_e32 v[118:119], v[100:101], v[58:59]
	v_mul_f64_e32 v[58:59], v[102:103], v[58:59]
	v_fma_f64 v[4:5], v[92:93], v[8:9], -v[4:5]
	v_fmac_f64_e32 v[116:117], v[94:95], v[8:9]
	ds_load_b128 v[92:95], v2 offset:416
	ds_load_b128 v[108:111], v2 offset:432
	scratch_load_b128 v[112:115], off, off offset:240
	v_fmac_f64_e32 v[118:119], v[102:103], v[56:57]
	v_fma_f64 v[100:101], v[100:101], v[56:57], -v[58:59]
	scratch_load_b128 v[56:59], off, off offset:256
	s_wait_loadcnt_dscnt 0xc01
	v_mul_f64_e32 v[8:9], v[92:93], v[62:63]
	v_mul_f64_e32 v[62:63], v[94:95], v[62:63]
	v_add_f64_e32 v[4:5], 0, v[4:5]
	v_add_f64_e32 v[102:103], 0, v[116:117]
	s_wait_loadcnt_dscnt 0xb00
	v_mul_f64_e32 v[116:117], v[108:109], v[66:67]
	v_mul_f64_e32 v[66:67], v[110:111], v[66:67]
	v_fmac_f64_e32 v[8:9], v[94:95], v[60:61]
	v_fma_f64 v[120:121], v[92:93], v[60:61], -v[62:63]
	ds_load_b128 v[60:63], v2 offset:448
	ds_load_b128 v[92:95], v2 offset:464
	v_add_f64_e32 v[4:5], v[4:5], v[100:101]
	v_add_f64_e32 v[118:119], v[102:103], v[118:119]
	scratch_load_b128 v[100:103], off, off offset:272
	v_fmac_f64_e32 v[116:117], v[110:111], v[64:65]
	v_fma_f64 v[108:109], v[108:109], v[64:65], -v[66:67]
	scratch_load_b128 v[64:67], off, off offset:288
	s_wait_loadcnt_dscnt 0xc01
	v_mul_f64_e32 v[122:123], v[60:61], v[70:71]
	v_mul_f64_e32 v[70:71], v[62:63], v[70:71]
	v_add_f64_e32 v[4:5], v[4:5], v[120:121]
	v_add_f64_e32 v[8:9], v[118:119], v[8:9]
	s_wait_loadcnt_dscnt 0xb00
	v_mul_f64_e32 v[118:119], v[92:93], v[74:75]
	v_mul_f64_e32 v[74:75], v[94:95], v[74:75]
	v_fmac_f64_e32 v[122:123], v[62:63], v[68:69]
	v_fma_f64 v[120:121], v[60:61], v[68:69], -v[70:71]
	ds_load_b128 v[60:63], v2 offset:480
	ds_load_b128 v[68:71], v2 offset:496
	v_add_f64_e32 v[4:5], v[4:5], v[108:109]
	v_add_f64_e32 v[8:9], v[8:9], v[116:117]
	scratch_load_b128 v[108:111], off, off offset:304
	s_wait_loadcnt_dscnt 0xb01
	v_mul_f64_e32 v[116:117], v[60:61], v[78:79]
	v_mul_f64_e32 v[78:79], v[62:63], v[78:79]
	v_fmac_f64_e32 v[118:119], v[94:95], v[72:73]
	v_fma_f64 v[92:93], v[92:93], v[72:73], -v[74:75]
	scratch_load_b128 v[72:75], off, off offset:320
	s_wait_loadcnt_dscnt 0xb00
	v_mul_f64_e32 v[94:95], v[68:69], v[82:83]
	v_mul_f64_e32 v[82:83], v[70:71], v[82:83]
	v_add_f64_e32 v[4:5], v[4:5], v[120:121]
	v_add_f64_e32 v[8:9], v[8:9], v[122:123]
	v_fmac_f64_e32 v[116:117], v[62:63], v[76:77]
	v_fma_f64 v[120:121], v[60:61], v[76:77], -v[78:79]
	ds_load_b128 v[60:63], v2 offset:512
	ds_load_b128 v[76:79], v2 offset:528
	v_fmac_f64_e32 v[94:95], v[70:71], v[80:81]
	v_fma_f64 v[68:69], v[68:69], v[80:81], -v[82:83]
	s_wait_loadcnt_dscnt 0x900
	v_mul_f64_e32 v[80:81], v[76:77], v[90:91]
	v_mul_f64_e32 v[82:83], v[78:79], v[90:91]
	v_add_f64_e32 v[4:5], v[4:5], v[92:93]
	v_add_f64_e32 v[8:9], v[8:9], v[118:119]
	v_mul_f64_e32 v[92:93], v[60:61], v[86:87]
	v_mul_f64_e32 v[86:87], v[62:63], v[86:87]
	v_fmac_f64_e32 v[80:81], v[78:79], v[88:89]
	v_fma_f64 v[76:77], v[76:77], v[88:89], -v[82:83]
	v_add_f64_e32 v[4:5], v[4:5], v[120:121]
	v_add_f64_e32 v[8:9], v[8:9], v[116:117]
	v_fmac_f64_e32 v[92:93], v[62:63], v[84:85]
	v_fma_f64 v[84:85], v[60:61], v[84:85], -v[86:87]
	s_delay_alu instid0(VALU_DEP_4) | instskip(NEXT) | instid1(VALU_DEP_4)
	v_add_f64_e32 v[4:5], v[4:5], v[68:69]
	v_add_f64_e32 v[8:9], v[8:9], v[94:95]
	ds_load_b128 v[60:63], v2 offset:544
	ds_load_b128 v[68:71], v2 offset:560
	s_wait_loadcnt_dscnt 0x801
	v_mul_f64_e32 v[86:87], v[60:61], v[98:99]
	v_mul_f64_e32 v[90:91], v[62:63], v[98:99]
	v_add_f64_e32 v[4:5], v[4:5], v[84:85]
	v_add_f64_e32 v[8:9], v[8:9], v[92:93]
	s_wait_loadcnt_dscnt 0x600
	v_mul_f64_e32 v[82:83], v[68:69], v[12:13]
	v_mul_f64_e32 v[12:13], v[70:71], v[12:13]
	v_fmac_f64_e32 v[86:87], v[62:63], v[96:97]
	v_fma_f64 v[84:85], v[60:61], v[96:97], -v[90:91]
	v_add_f64_e32 v[4:5], v[4:5], v[76:77]
	v_add_f64_e32 v[8:9], v[8:9], v[80:81]
	ds_load_b128 v[60:63], v2 offset:576
	ds_load_b128 v[76:79], v2 offset:592
	v_fmac_f64_e32 v[82:83], v[70:71], v[10:11]
	v_fma_f64 v[10:11], v[68:69], v[10:11], -v[12:13]
	s_wait_loadcnt_dscnt 0x501
	v_mul_f64_e32 v[80:81], v[60:61], v[114:115]
	v_mul_f64_e32 v[88:89], v[62:63], v[114:115]
	s_wait_loadcnt_dscnt 0x400
	v_mul_f64_e32 v[12:13], v[76:77], v[58:59]
	v_mul_f64_e32 v[68:69], v[78:79], v[58:59]
	v_add_f64_e32 v[4:5], v[4:5], v[84:85]
	v_add_f64_e32 v[8:9], v[8:9], v[86:87]
	v_fmac_f64_e32 v[80:81], v[62:63], v[112:113]
	v_fma_f64 v[62:63], v[60:61], v[112:113], -v[88:89]
	v_fmac_f64_e32 v[12:13], v[78:79], v[56:57]
	v_fma_f64 v[56:57], v[76:77], v[56:57], -v[68:69]
	v_add_f64_e32 v[4:5], v[4:5], v[10:11]
	v_add_f64_e32 v[70:71], v[8:9], v[82:83]
	ds_load_b128 v[8:11], v2 offset:608
	ds_load_b128 v[58:61], v2 offset:624
	s_wait_loadcnt_dscnt 0x301
	v_mul_f64_e32 v[82:83], v[8:9], v[102:103]
	v_mul_f64_e32 v[84:85], v[10:11], v[102:103]
	s_wait_loadcnt_dscnt 0x200
	v_mul_f64_e32 v[68:69], v[58:59], v[66:67]
	v_mul_f64_e32 v[66:67], v[60:61], v[66:67]
	v_add_f64_e32 v[4:5], v[4:5], v[62:63]
	v_add_f64_e32 v[62:63], v[70:71], v[80:81]
	v_fmac_f64_e32 v[82:83], v[10:11], v[100:101]
	v_fma_f64 v[70:71], v[8:9], v[100:101], -v[84:85]
	v_fmac_f64_e32 v[68:69], v[60:61], v[64:65]
	v_fma_f64 v[58:59], v[58:59], v[64:65], -v[66:67]
	v_add_f64_e32 v[56:57], v[4:5], v[56:57]
	v_add_f64_e32 v[12:13], v[62:63], v[12:13]
	ds_load_b128 v[8:11], v2 offset:640
	ds_load_b128 v[2:5], v2 offset:656
	s_wait_loadcnt_dscnt 0x101
	v_mul_f64_e32 v[62:63], v[8:9], v[110:111]
	v_mul_f64_e32 v[76:77], v[10:11], v[110:111]
	s_wait_loadcnt_dscnt 0x0
	v_mul_f64_e32 v[60:61], v[2:3], v[74:75]
	v_mul_f64_e32 v[64:65], v[4:5], v[74:75]
	v_add_f64_e32 v[56:57], v[56:57], v[70:71]
	v_add_f64_e32 v[12:13], v[12:13], v[82:83]
	v_fmac_f64_e32 v[62:63], v[10:11], v[108:109]
	v_fma_f64 v[8:9], v[8:9], v[108:109], -v[76:77]
	v_fmac_f64_e32 v[60:61], v[4:5], v[72:73]
	v_fma_f64 v[2:3], v[2:3], v[72:73], -v[64:65]
	v_add_f64_e32 v[10:11], v[56:57], v[58:59]
	v_add_f64_e32 v[12:13], v[12:13], v[68:69]
	s_delay_alu instid0(VALU_DEP_2) | instskip(NEXT) | instid1(VALU_DEP_2)
	v_add_f64_e32 v[4:5], v[10:11], v[8:9]
	v_add_f64_e32 v[8:9], v[12:13], v[62:63]
	s_delay_alu instid0(VALU_DEP_2) | instskip(NEXT) | instid1(VALU_DEP_2)
	;; [unrolled: 3-line block ×3, first 2 shown]
	v_add_f64_e64 v[2:3], v[104:105], -v[2:3]
	v_add_f64_e64 v[4:5], v[106:107], -v[4:5]
	scratch_store_b128 off, v[2:5], off offset:32
	s_wait_xcnt 0x0
	v_cmpx_lt_u32_e32 1, v1
	s_cbranch_execz .LBB20_137
; %bb.136:
	scratch_load_b128 v[2:5], off, s11
	v_mov_b32_e32 v8, 0
	s_delay_alu instid0(VALU_DEP_1)
	v_dual_mov_b32 v9, v8 :: v_dual_mov_b32 v10, v8
	v_mov_b32_e32 v11, v8
	scratch_store_b128 off, v[8:11], off offset:16
	s_wait_loadcnt 0x0
	ds_store_b128 v6, v[2:5]
.LBB20_137:
	s_wait_xcnt 0x0
	s_or_b32 exec_lo, exec_lo, s2
	s_wait_storecnt_dscnt 0x0
	s_barrier_signal -1
	s_barrier_wait -1
	s_clause 0x9
	scratch_load_b128 v[8:11], off, off offset:32
	scratch_load_b128 v[56:59], off, off offset:48
	;; [unrolled: 1-line block ×10, first 2 shown]
	v_mov_b32_e32 v2, 0
	s_clause 0x2
	scratch_load_b128 v[96:99], off, off offset:192
	scratch_load_b128 v[100:103], off, off offset:208
	;; [unrolled: 1-line block ×3, first 2 shown]
	s_mov_b32 s2, exec_lo
	ds_load_b128 v[92:95], v2 offset:368
	s_wait_loadcnt_dscnt 0xc00
	v_mul_f64_e32 v[4:5], v[94:95], v[10:11]
	v_mul_f64_e32 v[108:109], v[92:93], v[10:11]
	ds_load_b128 v[10:13], v2 offset:384
	v_fma_f64 v[4:5], v[92:93], v[8:9], -v[4:5]
	v_fmac_f64_e32 v[108:109], v[94:95], v[8:9]
	ds_load_b128 v[92:95], v2 offset:400
	s_wait_loadcnt_dscnt 0xb01
	v_mul_f64_e32 v[110:111], v[10:11], v[58:59]
	v_mul_f64_e32 v[58:59], v[12:13], v[58:59]
	s_wait_loadcnt_dscnt 0xa00
	v_mul_f64_e32 v[112:113], v[92:93], v[62:63]
	v_mul_f64_e32 v[62:63], v[94:95], v[62:63]
	v_add_f64_e32 v[4:5], 0, v[4:5]
	v_add_f64_e32 v[108:109], 0, v[108:109]
	v_fmac_f64_e32 v[110:111], v[12:13], v[56:57]
	v_fma_f64 v[12:13], v[10:11], v[56:57], -v[58:59]
	ds_load_b128 v[8:11], v2 offset:416
	scratch_load_b128 v[56:59], off, off offset:240
	v_fmac_f64_e32 v[112:113], v[94:95], v[60:61]
	v_fma_f64 v[116:117], v[92:93], v[60:61], -v[62:63]
	ds_load_b128 v[60:63], v2 offset:432
	s_wait_loadcnt_dscnt 0xa01
	v_mul_f64_e32 v[114:115], v[8:9], v[66:67]
	v_mul_f64_e32 v[66:67], v[10:11], v[66:67]
	scratch_load_b128 v[92:95], off, off offset:256
	v_add_f64_e32 v[4:5], v[4:5], v[12:13]
	v_add_f64_e32 v[12:13], v[108:109], v[110:111]
	s_wait_loadcnt_dscnt 0xa00
	v_mul_f64_e32 v[108:109], v[60:61], v[70:71]
	v_mul_f64_e32 v[70:71], v[62:63], v[70:71]
	v_fmac_f64_e32 v[114:115], v[10:11], v[64:65]
	v_fma_f64 v[110:111], v[8:9], v[64:65], -v[66:67]
	ds_load_b128 v[8:11], v2 offset:448
	scratch_load_b128 v[64:67], off, off offset:272
	v_add_f64_e32 v[4:5], v[4:5], v[116:117]
	v_add_f64_e32 v[12:13], v[12:13], v[112:113]
	v_fmac_f64_e32 v[108:109], v[62:63], v[68:69]
	v_fma_f64 v[116:117], v[60:61], v[68:69], -v[70:71]
	ds_load_b128 v[60:63], v2 offset:464
	s_wait_loadcnt_dscnt 0xa01
	v_mul_f64_e32 v[112:113], v[8:9], v[74:75]
	v_mul_f64_e32 v[74:75], v[10:11], v[74:75]
	scratch_load_b128 v[68:71], off, off offset:288
	v_add_f64_e32 v[4:5], v[4:5], v[110:111]
	v_add_f64_e32 v[12:13], v[12:13], v[114:115]
	s_wait_loadcnt_dscnt 0xa00
	v_mul_f64_e32 v[110:111], v[60:61], v[78:79]
	v_mul_f64_e32 v[78:79], v[62:63], v[78:79]
	v_fmac_f64_e32 v[112:113], v[10:11], v[72:73]
	v_fma_f64 v[114:115], v[8:9], v[72:73], -v[74:75]
	ds_load_b128 v[8:11], v2 offset:480
	scratch_load_b128 v[72:75], off, off offset:304
	v_add_f64_e32 v[4:5], v[4:5], v[116:117]
	v_add_f64_e32 v[12:13], v[12:13], v[108:109]
	v_fmac_f64_e32 v[110:111], v[62:63], v[76:77]
	v_fma_f64 v[116:117], v[60:61], v[76:77], -v[78:79]
	ds_load_b128 v[60:63], v2 offset:496
	s_wait_loadcnt_dscnt 0xa01
	v_mul_f64_e32 v[108:109], v[8:9], v[82:83]
	v_mul_f64_e32 v[82:83], v[10:11], v[82:83]
	scratch_load_b128 v[76:79], off, off offset:320
	v_add_f64_e32 v[4:5], v[4:5], v[114:115]
	v_add_f64_e32 v[12:13], v[12:13], v[112:113]
	s_wait_loadcnt_dscnt 0xa00
	v_mul_f64_e32 v[112:113], v[60:61], v[86:87]
	v_mul_f64_e32 v[86:87], v[62:63], v[86:87]
	v_fmac_f64_e32 v[108:109], v[10:11], v[80:81]
	v_fma_f64 v[80:81], v[8:9], v[80:81], -v[82:83]
	ds_load_b128 v[8:11], v2 offset:512
	v_add_f64_e32 v[4:5], v[4:5], v[116:117]
	v_add_f64_e32 v[12:13], v[12:13], v[110:111]
	v_fmac_f64_e32 v[112:113], v[62:63], v[84:85]
	v_fma_f64 v[84:85], v[60:61], v[84:85], -v[86:87]
	ds_load_b128 v[60:63], v2 offset:528
	s_wait_loadcnt_dscnt 0x901
	v_mul_f64_e32 v[110:111], v[8:9], v[90:91]
	v_mul_f64_e32 v[82:83], v[10:11], v[90:91]
	v_add_f64_e32 v[4:5], v[4:5], v[80:81]
	v_add_f64_e32 v[12:13], v[12:13], v[108:109]
	s_delay_alu instid0(VALU_DEP_4) | instskip(NEXT) | instid1(VALU_DEP_4)
	v_fmac_f64_e32 v[110:111], v[10:11], v[88:89]
	v_fma_f64 v[88:89], v[8:9], v[88:89], -v[82:83]
	scratch_load_b128 v[80:83], off, off offset:16
	s_wait_loadcnt_dscnt 0x900
	v_mul_f64_e32 v[86:87], v[60:61], v[98:99]
	v_mul_f64_e32 v[90:91], v[62:63], v[98:99]
	ds_load_b128 v[8:11], v2 offset:544
	v_add_f64_e32 v[4:5], v[4:5], v[84:85]
	v_add_f64_e32 v[12:13], v[12:13], v[112:113]
	v_fmac_f64_e32 v[86:87], v[62:63], v[96:97]
	v_fma_f64 v[90:91], v[60:61], v[96:97], -v[90:91]
	ds_load_b128 v[60:63], v2 offset:560
	s_wait_loadcnt_dscnt 0x801
	v_mul_f64_e32 v[84:85], v[8:9], v[102:103]
	v_mul_f64_e32 v[98:99], v[10:11], v[102:103]
	s_wait_loadcnt_dscnt 0x700
	v_mul_f64_e32 v[96:97], v[62:63], v[106:107]
	v_add_f64_e32 v[4:5], v[4:5], v[88:89]
	v_add_f64_e32 v[12:13], v[12:13], v[110:111]
	v_mul_f64_e32 v[88:89], v[60:61], v[106:107]
	v_fmac_f64_e32 v[84:85], v[10:11], v[100:101]
	v_fma_f64 v[98:99], v[8:9], v[100:101], -v[98:99]
	ds_load_b128 v[8:11], v2 offset:576
	v_add_f64_e32 v[4:5], v[4:5], v[90:91]
	v_add_f64_e32 v[12:13], v[12:13], v[86:87]
	s_wait_loadcnt_dscnt 0x600
	v_mul_f64_e32 v[86:87], v[8:9], v[58:59]
	v_mul_f64_e32 v[90:91], v[10:11], v[58:59]
	v_fmac_f64_e32 v[88:89], v[62:63], v[104:105]
	v_fma_f64 v[62:63], v[60:61], v[104:105], -v[96:97]
	ds_load_b128 v[58:61], v2 offset:592
	v_add_f64_e32 v[4:5], v[4:5], v[98:99]
	v_add_f64_e32 v[12:13], v[12:13], v[84:85]
	v_fmac_f64_e32 v[86:87], v[10:11], v[56:57]
	v_fma_f64 v[56:57], v[8:9], v[56:57], -v[90:91]
	ds_load_b128 v[8:11], v2 offset:608
	s_wait_loadcnt_dscnt 0x501
	v_mul_f64_e32 v[84:85], v[58:59], v[94:95]
	v_mul_f64_e32 v[94:95], v[60:61], v[94:95]
	v_add_f64_e32 v[4:5], v[4:5], v[62:63]
	v_add_f64_e32 v[12:13], v[12:13], v[88:89]
	s_wait_loadcnt_dscnt 0x400
	v_mul_f64_e32 v[62:63], v[8:9], v[66:67]
	v_mul_f64_e32 v[66:67], v[10:11], v[66:67]
	v_fmac_f64_e32 v[84:85], v[60:61], v[92:93]
	v_fma_f64 v[60:61], v[58:59], v[92:93], -v[94:95]
	v_add_f64_e32 v[4:5], v[4:5], v[56:57]
	v_add_f64_e32 v[12:13], v[12:13], v[86:87]
	ds_load_b128 v[56:59], v2 offset:624
	v_fmac_f64_e32 v[62:63], v[10:11], v[64:65]
	v_fma_f64 v[64:65], v[8:9], v[64:65], -v[66:67]
	ds_load_b128 v[8:11], v2 offset:640
	s_wait_loadcnt_dscnt 0x301
	v_mul_f64_e32 v[86:87], v[56:57], v[70:71]
	v_mul_f64_e32 v[70:71], v[58:59], v[70:71]
	s_wait_loadcnt_dscnt 0x200
	v_mul_f64_e32 v[66:67], v[10:11], v[74:75]
	v_add_f64_e32 v[4:5], v[4:5], v[60:61]
	v_add_f64_e32 v[12:13], v[12:13], v[84:85]
	v_mul_f64_e32 v[60:61], v[8:9], v[74:75]
	v_fmac_f64_e32 v[86:87], v[58:59], v[68:69]
	v_fma_f64 v[68:69], v[56:57], v[68:69], -v[70:71]
	ds_load_b128 v[56:59], v2 offset:656
	v_fma_f64 v[8:9], v[8:9], v[72:73], -v[66:67]
	v_add_f64_e32 v[4:5], v[4:5], v[64:65]
	v_add_f64_e32 v[12:13], v[12:13], v[62:63]
	v_fmac_f64_e32 v[60:61], v[10:11], v[72:73]
	s_wait_loadcnt_dscnt 0x100
	v_mul_f64_e32 v[62:63], v[56:57], v[78:79]
	v_mul_f64_e32 v[64:65], v[58:59], v[78:79]
	v_add_f64_e32 v[4:5], v[4:5], v[68:69]
	v_add_f64_e32 v[10:11], v[12:13], v[86:87]
	s_delay_alu instid0(VALU_DEP_4) | instskip(NEXT) | instid1(VALU_DEP_4)
	v_fmac_f64_e32 v[62:63], v[58:59], v[76:77]
	v_fma_f64 v[12:13], v[56:57], v[76:77], -v[64:65]
	s_delay_alu instid0(VALU_DEP_4) | instskip(NEXT) | instid1(VALU_DEP_4)
	v_add_f64_e32 v[4:5], v[4:5], v[8:9]
	v_add_f64_e32 v[8:9], v[10:11], v[60:61]
	s_delay_alu instid0(VALU_DEP_2) | instskip(NEXT) | instid1(VALU_DEP_2)
	v_add_f64_e32 v[4:5], v[4:5], v[12:13]
	v_add_f64_e32 v[10:11], v[8:9], v[62:63]
	s_wait_loadcnt 0x0
	s_delay_alu instid0(VALU_DEP_2) | instskip(NEXT) | instid1(VALU_DEP_2)
	v_add_f64_e64 v[8:9], v[80:81], -v[4:5]
	v_add_f64_e64 v[10:11], v[82:83], -v[10:11]
	scratch_store_b128 off, v[8:11], off offset:16
	s_wait_xcnt 0x0
	v_cmpx_ne_u32_e32 0, v1
	s_cbranch_execz .LBB20_139
; %bb.138:
	scratch_load_b128 v[8:11], off, off
	v_dual_mov_b32 v3, v2 :: v_dual_mov_b32 v4, v2
	v_mov_b32_e32 v5, v2
	scratch_store_b128 off, v[2:5], off
	s_wait_loadcnt 0x0
	ds_store_b128 v6, v[8:11]
.LBB20_139:
	s_wait_xcnt 0x0
	s_or_b32 exec_lo, exec_lo, s2
	s_wait_storecnt_dscnt 0x0
	s_barrier_signal -1
	s_barrier_wait -1
	s_clause 0x9
	scratch_load_b128 v[4:7], off, off offset:16
	scratch_load_b128 v[8:11], off, off offset:32
	;; [unrolled: 1-line block ×10, first 2 shown]
	ds_load_b128 v[88:91], v2 offset:352
	ds_load_b128 v[96:99], v2 offset:368
	s_clause 0x2
	scratch_load_b128 v[92:95], off, off offset:176
	scratch_load_b128 v[100:103], off, off
	scratch_load_b128 v[104:107], off, off offset:192
	s_and_b32 vcc_lo, exec_lo, s33
	s_wait_loadcnt_dscnt 0xc01
	v_mul_f64_e32 v[12:13], v[90:91], v[6:7]
	v_mul_f64_e32 v[108:109], v[88:89], v[6:7]
	s_wait_loadcnt_dscnt 0xb00
	v_mul_f64_e32 v[110:111], v[96:97], v[10:11]
	v_mul_f64_e32 v[112:113], v[98:99], v[10:11]
	s_delay_alu instid0(VALU_DEP_4) | instskip(NEXT) | instid1(VALU_DEP_4)
	v_fma_f64 v[114:115], v[88:89], v[4:5], -v[12:13]
	v_fmac_f64_e32 v[108:109], v[90:91], v[4:5]
	ds_load_b128 v[4:7], v2 offset:384
	ds_load_b128 v[10:13], v2 offset:400
	scratch_load_b128 v[88:91], off, off offset:208
	v_fmac_f64_e32 v[110:111], v[98:99], v[8:9]
	v_fma_f64 v[8:9], v[96:97], v[8:9], -v[112:113]
	scratch_load_b128 v[96:99], off, off offset:224
	s_wait_loadcnt_dscnt 0xc01
	v_mul_f64_e32 v[116:117], v[4:5], v[58:59]
	v_mul_f64_e32 v[58:59], v[6:7], v[58:59]
	v_add_f64_e32 v[112:113], 0, v[114:115]
	v_add_f64_e32 v[108:109], 0, v[108:109]
	s_wait_loadcnt_dscnt 0xb00
	v_mul_f64_e32 v[114:115], v[10:11], v[62:63]
	v_mul_f64_e32 v[62:63], v[12:13], v[62:63]
	v_fmac_f64_e32 v[116:117], v[6:7], v[56:57]
	v_fma_f64 v[118:119], v[4:5], v[56:57], -v[58:59]
	ds_load_b128 v[4:7], v2 offset:416
	ds_load_b128 v[56:59], v2 offset:432
	v_add_f64_e32 v[8:9], v[112:113], v[8:9]
	v_add_f64_e32 v[112:113], v[108:109], v[110:111]
	scratch_load_b128 v[108:111], off, off offset:240
	v_fmac_f64_e32 v[114:115], v[12:13], v[60:61]
	v_fma_f64 v[12:13], v[10:11], v[60:61], -v[62:63]
	s_wait_loadcnt_dscnt 0xb01
	v_mul_f64_e32 v[120:121], v[4:5], v[66:67]
	v_mul_f64_e32 v[66:67], v[6:7], v[66:67]
	v_add_f64_e32 v[60:61], v[8:9], v[118:119]
	v_add_f64_e32 v[62:63], v[112:113], v[116:117]
	scratch_load_b128 v[8:11], off, off offset:256
	s_wait_loadcnt_dscnt 0xb00
	v_mul_f64_e32 v[112:113], v[56:57], v[70:71]
	v_mul_f64_e32 v[70:71], v[58:59], v[70:71]
	v_fmac_f64_e32 v[120:121], v[6:7], v[64:65]
	v_fma_f64 v[116:117], v[4:5], v[64:65], -v[66:67]
	v_add_f64_e32 v[12:13], v[60:61], v[12:13]
	v_add_f64_e32 v[114:115], v[62:63], v[114:115]
	ds_load_b128 v[4:7], v2 offset:448
	ds_load_b128 v[60:63], v2 offset:464
	scratch_load_b128 v[64:67], off, off offset:272
	v_fmac_f64_e32 v[112:113], v[58:59], v[68:69]
	v_fma_f64 v[68:69], v[56:57], v[68:69], -v[70:71]
	scratch_load_b128 v[56:59], off, off offset:288
	s_wait_loadcnt_dscnt 0xc01
	v_mul_f64_e32 v[118:119], v[4:5], v[74:75]
	v_mul_f64_e32 v[74:75], v[6:7], v[74:75]
	v_add_f64_e32 v[12:13], v[12:13], v[116:117]
	v_add_f64_e32 v[70:71], v[114:115], v[120:121]
	s_wait_loadcnt_dscnt 0xb00
	v_mul_f64_e32 v[114:115], v[60:61], v[78:79]
	v_mul_f64_e32 v[78:79], v[62:63], v[78:79]
	v_fmac_f64_e32 v[118:119], v[6:7], v[72:73]
	v_fma_f64 v[116:117], v[4:5], v[72:73], -v[74:75]
	v_add_f64_e32 v[12:13], v[12:13], v[68:69]
	v_add_f64_e32 v[112:113], v[70:71], v[112:113]
	ds_load_b128 v[4:7], v2 offset:480
	ds_load_b128 v[68:71], v2 offset:496
	scratch_load_b128 v[72:75], off, off offset:304
	v_fmac_f64_e32 v[114:115], v[62:63], v[76:77]
	v_fma_f64 v[76:77], v[60:61], v[76:77], -v[78:79]
	scratch_load_b128 v[60:63], off, off offset:320
	s_wait_loadcnt_dscnt 0xc01
	v_mul_f64_e32 v[120:121], v[4:5], v[82:83]
	v_mul_f64_e32 v[82:83], v[6:7], v[82:83]
	v_add_f64_e32 v[12:13], v[12:13], v[116:117]
	v_add_f64_e32 v[78:79], v[112:113], v[118:119]
	s_wait_loadcnt_dscnt 0xb00
	v_mul_f64_e32 v[112:113], v[68:69], v[86:87]
	v_mul_f64_e32 v[86:87], v[70:71], v[86:87]
	v_fmac_f64_e32 v[120:121], v[6:7], v[80:81]
	v_fma_f64 v[80:81], v[4:5], v[80:81], -v[82:83]
	v_add_f64_e32 v[12:13], v[12:13], v[76:77]
	v_add_f64_e32 v[82:83], v[78:79], v[114:115]
	ds_load_b128 v[4:7], v2 offset:512
	ds_load_b128 v[76:79], v2 offset:528
	v_fmac_f64_e32 v[112:113], v[70:71], v[84:85]
	v_fma_f64 v[68:69], v[68:69], v[84:85], -v[86:87]
	s_wait_loadcnt_dscnt 0xa01
	v_mul_f64_e32 v[114:115], v[4:5], v[94:95]
	v_mul_f64_e32 v[94:95], v[6:7], v[94:95]
	v_add_f64_e32 v[12:13], v[12:13], v[80:81]
	v_add_f64_e32 v[70:71], v[82:83], v[120:121]
	s_wait_loadcnt_dscnt 0x800
	v_mul_f64_e32 v[80:81], v[76:77], v[106:107]
	v_mul_f64_e32 v[82:83], v[78:79], v[106:107]
	v_fmac_f64_e32 v[114:115], v[6:7], v[92:93]
	v_fma_f64 v[84:85], v[4:5], v[92:93], -v[94:95]
	v_add_f64_e32 v[12:13], v[12:13], v[68:69]
	v_add_f64_e32 v[86:87], v[70:71], v[112:113]
	ds_load_b128 v[4:7], v2 offset:544
	ds_load_b128 v[68:71], v2 offset:560
	v_fmac_f64_e32 v[80:81], v[78:79], v[104:105]
	v_fma_f64 v[76:77], v[76:77], v[104:105], -v[82:83]
	s_wait_loadcnt_dscnt 0x701
	v_mul_f64_e32 v[92:93], v[4:5], v[90:91]
	v_mul_f64_e32 v[90:91], v[6:7], v[90:91]
	s_wait_loadcnt_dscnt 0x600
	v_mul_f64_e32 v[82:83], v[68:69], v[98:99]
	v_add_f64_e32 v[12:13], v[12:13], v[84:85]
	v_add_f64_e32 v[78:79], v[86:87], v[114:115]
	v_mul_f64_e32 v[84:85], v[70:71], v[98:99]
	v_fmac_f64_e32 v[92:93], v[6:7], v[88:89]
	v_fma_f64 v[86:87], v[4:5], v[88:89], -v[90:91]
	v_fmac_f64_e32 v[82:83], v[70:71], v[96:97]
	v_add_f64_e32 v[12:13], v[12:13], v[76:77]
	v_add_f64_e32 v[80:81], v[78:79], v[80:81]
	ds_load_b128 v[4:7], v2 offset:576
	ds_load_b128 v[76:79], v2 offset:592
	v_fma_f64 v[68:69], v[68:69], v[96:97], -v[84:85]
	s_wait_loadcnt_dscnt 0x501
	v_mul_f64_e32 v[88:89], v[4:5], v[110:111]
	v_mul_f64_e32 v[90:91], v[6:7], v[110:111]
	v_add_f64_e32 v[12:13], v[12:13], v[86:87]
	v_add_f64_e32 v[70:71], v[80:81], v[92:93]
	s_wait_loadcnt_dscnt 0x400
	v_mul_f64_e32 v[80:81], v[76:77], v[10:11]
	v_mul_f64_e32 v[84:85], v[78:79], v[10:11]
	v_fmac_f64_e32 v[88:89], v[6:7], v[108:109]
	v_fma_f64 v[86:87], v[4:5], v[108:109], -v[90:91]
	v_add_f64_e32 v[68:69], v[12:13], v[68:69]
	v_add_f64_e32 v[70:71], v[70:71], v[82:83]
	ds_load_b128 v[4:7], v2 offset:608
	ds_load_b128 v[10:13], v2 offset:624
	v_fmac_f64_e32 v[80:81], v[78:79], v[8:9]
	v_fma_f64 v[8:9], v[76:77], v[8:9], -v[84:85]
	s_wait_loadcnt_dscnt 0x301
	v_mul_f64_e32 v[82:83], v[4:5], v[66:67]
	v_mul_f64_e32 v[66:67], v[6:7], v[66:67]
	s_wait_loadcnt_dscnt 0x200
	v_mul_f64_e32 v[76:77], v[10:11], v[58:59]
	v_mul_f64_e32 v[58:59], v[12:13], v[58:59]
	v_add_f64_e32 v[68:69], v[68:69], v[86:87]
	v_add_f64_e32 v[70:71], v[70:71], v[88:89]
	v_fmac_f64_e32 v[82:83], v[6:7], v[64:65]
	v_fma_f64 v[78:79], v[4:5], v[64:65], -v[66:67]
	ds_load_b128 v[4:7], v2 offset:640
	ds_load_b128 v[64:67], v2 offset:656
	v_fmac_f64_e32 v[76:77], v[12:13], v[56:57]
	v_fma_f64 v[10:11], v[10:11], v[56:57], -v[58:59]
	v_add_f64_e32 v[8:9], v[68:69], v[8:9]
	v_add_f64_e32 v[68:69], v[70:71], v[80:81]
	s_wait_loadcnt_dscnt 0x101
	v_mul_f64_e32 v[2:3], v[4:5], v[74:75]
	v_mul_f64_e32 v[70:71], v[6:7], v[74:75]
	s_wait_loadcnt_dscnt 0x0
	v_mul_f64_e32 v[56:57], v[64:65], v[62:63]
	v_mul_f64_e32 v[58:59], v[66:67], v[62:63]
	v_add_f64_e32 v[8:9], v[8:9], v[78:79]
	v_add_f64_e32 v[12:13], v[68:69], v[82:83]
	v_fmac_f64_e32 v[2:3], v[6:7], v[72:73]
	v_fma_f64 v[4:5], v[4:5], v[72:73], -v[70:71]
	v_fmac_f64_e32 v[56:57], v[66:67], v[60:61]
	v_add_f64_e32 v[6:7], v[8:9], v[10:11]
	v_add_f64_e32 v[8:9], v[12:13], v[76:77]
	v_fma_f64 v[10:11], v[64:65], v[60:61], -v[58:59]
	v_lshl_add_u64 v[12:13], v[28:29], 4, s[4:5]
	v_lshl_add_u64 v[28:29], v[40:41], 4, s[4:5]
	;; [unrolled: 1-line block ×3, first 2 shown]
	v_add_f64_e32 v[4:5], v[6:7], v[4:5]
	v_add_f64_e32 v[2:3], v[8:9], v[2:3]
	v_lshl_add_u64 v[6:7], v[22:23], 4, s[4:5]
	v_lshl_add_u64 v[8:9], v[24:25], 4, s[4:5]
	v_lshl_add_u64 v[22:23], v[34:35], 4, s[4:5]
	v_lshl_add_u64 v[24:25], v[36:37], 4, s[4:5]
	v_lshl_add_u64 v[34:35], v[46:47], 4, s[4:5]
	v_lshl_add_u64 v[36:37], v[48:49], 4, s[4:5]
	v_add_f64_e32 v[4:5], v[4:5], v[10:11]
	v_add_f64_e32 v[2:3], v[2:3], v[56:57]
	v_lshl_add_u64 v[10:11], v[26:27], 4, s[4:5]
	v_lshl_add_u64 v[26:27], v[38:39], 4, s[4:5]
	;; [unrolled: 1-line block ×3, first 2 shown]
	v_add_f64_e64 v[56:57], v[100:101], -v[4:5]
	v_add_f64_e64 v[58:59], v[102:103], -v[2:3]
	v_lshl_add_u64 v[2:3], v[18:19], 4, s[4:5]
	v_lshl_add_u64 v[4:5], v[20:21], 4, s[4:5]
	v_lshl_add_u64 v[18:19], v[30:31], 4, s[4:5]
	v_lshl_add_u64 v[20:21], v[32:33], 4, s[4:5]
	v_lshl_add_u64 v[30:31], v[42:43], 4, s[4:5]
	v_lshl_add_u64 v[32:33], v[44:45], 4, s[4:5]
	v_lshl_add_u64 v[42:43], v[54:55], 4, s[4:5]
	scratch_store_b128 off, v[56:59], off
	s_cbranch_vccz .LBB20_180
; %bb.140:
	v_mov_b32_e32 v44, 0
	s_load_b64 s[2:3], s[0:1], 0x4
	v_bfe_u32 v46, v0, 10, 10
	v_bfe_u32 v0, v0, 20, 10
	global_load_b32 v45, v44, s[16:17] offset:76
	s_wait_kmcnt 0x0
	s_lshr_b32 s0, s2, 16
	v_mul_u32_u24_e32 v46, s3, v46
	s_mul_i32 s0, s0, s3
	s_delay_alu instid0(SALU_CYCLE_1) | instskip(NEXT) | instid1(VALU_DEP_1)
	v_mul_u32_u24_e32 v1, s0, v1
	v_add3_u32 v0, v1, v46, v0
	s_delay_alu instid0(VALU_DEP_1)
	v_lshl_add_u32 v0, v0, 4, 0x2a8
	s_wait_loadcnt 0x0
	v_cmp_ne_u32_e32 vcc_lo, 20, v45
	s_cbranch_vccz .LBB20_142
; %bb.141:
	v_lshlrev_b32_e32 v1, 4, v45
	s_clause 0x1
	scratch_load_b128 v[46:49], off, s24
	scratch_load_b128 v[50:53], v1, off offset:-16
	s_wait_loadcnt 0x1
	ds_store_2addr_b64 v0, v[46:47], v[48:49] offset1:1
	s_wait_loadcnt 0x0
	s_clause 0x1
	scratch_store_b128 off, v[50:53], s24
	scratch_store_b128 v1, v[46:49], off offset:-16
.LBB20_142:
	global_load_b32 v1, v44, s[16:17] offset:72
	s_wait_loadcnt 0x0
	v_cmp_eq_u32_e32 vcc_lo, 19, v1
	s_cbranch_vccnz .LBB20_144
; %bb.143:
	v_lshlrev_b32_e32 v1, 4, v1
	s_clause 0x1
	scratch_load_b128 v[44:47], off, s30
	scratch_load_b128 v[48:51], v1, off offset:-16
	s_wait_loadcnt 0x1
	ds_store_2addr_b64 v0, v[44:45], v[46:47] offset1:1
	s_wait_loadcnt 0x0
	s_clause 0x1
	scratch_store_b128 off, v[48:51], s30
	scratch_store_b128 v1, v[44:47], off offset:-16
.LBB20_144:
	s_wait_xcnt 0x0
	v_mov_b32_e32 v1, 0
	global_load_b32 v44, v1, s[16:17] offset:68
	s_wait_loadcnt 0x0
	v_cmp_eq_u32_e32 vcc_lo, 18, v44
	s_cbranch_vccnz .LBB20_146
; %bb.145:
	v_lshlrev_b32_e32 v44, 4, v44
	s_delay_alu instid0(VALU_DEP_1)
	v_mov_b32_e32 v52, v44
	s_clause 0x1
	scratch_load_b128 v[44:47], off, s27
	scratch_load_b128 v[48:51], v52, off offset:-16
	s_wait_loadcnt 0x1
	ds_store_2addr_b64 v0, v[44:45], v[46:47] offset1:1
	s_wait_loadcnt 0x0
	s_clause 0x1
	scratch_store_b128 off, v[48:51], s27
	scratch_store_b128 v52, v[44:47], off offset:-16
.LBB20_146:
	global_load_b32 v1, v1, s[16:17] offset:64
	s_wait_loadcnt 0x0
	v_cmp_eq_u32_e32 vcc_lo, 17, v1
	s_cbranch_vccnz .LBB20_148
; %bb.147:
	s_wait_xcnt 0x0
	v_lshlrev_b32_e32 v1, 4, v1
	s_clause 0x1
	scratch_load_b128 v[44:47], off, s26
	scratch_load_b128 v[48:51], v1, off offset:-16
	s_wait_loadcnt 0x1
	ds_store_2addr_b64 v0, v[44:45], v[46:47] offset1:1
	s_wait_loadcnt 0x0
	s_clause 0x1
	scratch_store_b128 off, v[48:51], s26
	scratch_store_b128 v1, v[44:47], off offset:-16
.LBB20_148:
	s_wait_xcnt 0x0
	v_mov_b32_e32 v1, 0
	global_load_b32 v44, v1, s[16:17] offset:60
	s_wait_loadcnt 0x0
	v_cmp_eq_u32_e32 vcc_lo, 16, v44
	s_cbranch_vccnz .LBB20_150
; %bb.149:
	v_lshlrev_b32_e32 v44, 4, v44
	s_delay_alu instid0(VALU_DEP_1)
	v_mov_b32_e32 v52, v44
	s_clause 0x1
	scratch_load_b128 v[44:47], off, s31
	scratch_load_b128 v[48:51], v52, off offset:-16
	s_wait_loadcnt 0x1
	ds_store_2addr_b64 v0, v[44:45], v[46:47] offset1:1
	s_wait_loadcnt 0x0
	s_clause 0x1
	scratch_store_b128 off, v[48:51], s31
	scratch_store_b128 v52, v[44:47], off offset:-16
.LBB20_150:
	global_load_b32 v1, v1, s[16:17] offset:56
	s_wait_loadcnt 0x0
	v_cmp_eq_u32_e32 vcc_lo, 15, v1
	s_cbranch_vccnz .LBB20_152
; %bb.151:
	s_wait_xcnt 0x0
	v_lshlrev_b32_e32 v1, 4, v1
	s_clause 0x1
	scratch_load_b128 v[44:47], off, s28
	scratch_load_b128 v[48:51], v1, off offset:-16
	s_wait_loadcnt 0x1
	ds_store_2addr_b64 v0, v[44:45], v[46:47] offset1:1
	s_wait_loadcnt 0x0
	s_clause 0x1
	scratch_store_b128 off, v[48:51], s28
	scratch_store_b128 v1, v[44:47], off offset:-16
.LBB20_152:
	;; [unrolled: 37-line block ×8, first 2 shown]
	s_wait_xcnt 0x0
	v_mov_b32_e32 v1, 0
	global_load_b32 v44, v1, s[16:17] offset:4
	s_wait_loadcnt 0x0
	v_cmp_eq_u32_e32 vcc_lo, 2, v44
	s_cbranch_vccnz .LBB20_178
; %bb.177:
	v_lshlrev_b32_e32 v44, 4, v44
	s_delay_alu instid0(VALU_DEP_1)
	v_mov_b32_e32 v52, v44
	s_clause 0x1
	scratch_load_b128 v[44:47], off, s11
	scratch_load_b128 v[48:51], v52, off offset:-16
	s_wait_loadcnt 0x1
	ds_store_2addr_b64 v0, v[44:45], v[46:47] offset1:1
	s_wait_loadcnt 0x0
	s_clause 0x1
	scratch_store_b128 off, v[48:51], s11
	scratch_store_b128 v52, v[44:47], off offset:-16
.LBB20_178:
	global_load_b32 v1, v1, s[16:17]
	s_wait_loadcnt 0x0
	v_cmp_eq_u32_e32 vcc_lo, 1, v1
	s_cbranch_vccnz .LBB20_180
; %bb.179:
	s_wait_xcnt 0x0
	v_lshlrev_b32_e32 v1, 4, v1
	scratch_load_b128 v[44:47], off, off
	scratch_load_b128 v[48:51], v1, off offset:-16
	s_wait_loadcnt 0x1
	ds_store_2addr_b64 v0, v[44:45], v[46:47] offset1:1
	s_wait_loadcnt 0x0
	scratch_store_b128 off, v[48:51], off
	scratch_store_b128 v1, v[44:47], off offset:-16
.LBB20_180:
	scratch_load_b128 v[44:47], off, off
	s_clause 0x11
	scratch_load_b128 v[48:51], off, s11
	scratch_load_b128 v[52:55], off, s8
	;; [unrolled: 1-line block ×15, first 2 shown]
	; meta instruction
	; meta instruction
	;; [unrolled: 1-line block ×15, first 2 shown]
	scratch_load_b128 v[108:111], off, s26
	scratch_load_b128 v[112:115], off, s27
	;; [unrolled: 1-line block ×3, first 2 shown]
	s_wait_loadcnt 0x12
	global_store_b128 v[14:15], v[44:47], off
	s_clause 0x1
	scratch_load_b128 v[44:47], off, s24
	scratch_load_b128 v[120:123], off, s29
	s_wait_loadcnt 0x13
	global_store_b128 v[16:17], v[48:51], off
	s_wait_loadcnt 0x12
	global_store_b128 v[2:3], v[52:55], off
	;; [unrolled: 2-line block ×20, first 2 shown]
	s_sendmsg sendmsg(MSG_DEALLOC_VGPRS)
	s_endpgm
	.section	.rodata,"a",@progbits
	.p2align	6, 0x0
	.amdhsa_kernel _ZN9rocsolver6v33100L18getri_kernel_smallILi21E19rocblas_complex_numIdEPS3_EEvT1_iilPiilS6_bb
		.amdhsa_group_segment_fixed_size 1704
		.amdhsa_private_segment_fixed_size 352
		.amdhsa_kernarg_size 60
		.amdhsa_user_sgpr_count 4
		.amdhsa_user_sgpr_dispatch_ptr 1
		.amdhsa_user_sgpr_queue_ptr 0
		.amdhsa_user_sgpr_kernarg_segment_ptr 1
		.amdhsa_user_sgpr_dispatch_id 0
		.amdhsa_user_sgpr_kernarg_preload_length 0
		.amdhsa_user_sgpr_kernarg_preload_offset 0
		.amdhsa_user_sgpr_private_segment_size 0
		.amdhsa_wavefront_size32 1
		.amdhsa_uses_dynamic_stack 0
		.amdhsa_enable_private_segment 1
		.amdhsa_system_sgpr_workgroup_id_x 1
		.amdhsa_system_sgpr_workgroup_id_y 0
		.amdhsa_system_sgpr_workgroup_id_z 0
		.amdhsa_system_sgpr_workgroup_info 0
		.amdhsa_system_vgpr_workitem_id 2
		.amdhsa_next_free_vgpr 124
		.amdhsa_next_free_sgpr 37
		.amdhsa_named_barrier_count 0
		.amdhsa_reserve_vcc 1
		.amdhsa_float_round_mode_32 0
		.amdhsa_float_round_mode_16_64 0
		.amdhsa_float_denorm_mode_32 3
		.amdhsa_float_denorm_mode_16_64 3
		.amdhsa_fp16_overflow 0
		.amdhsa_memory_ordered 1
		.amdhsa_forward_progress 1
		.amdhsa_inst_pref_size 190
		.amdhsa_round_robin_scheduling 0
		.amdhsa_exception_fp_ieee_invalid_op 0
		.amdhsa_exception_fp_denorm_src 0
		.amdhsa_exception_fp_ieee_div_zero 0
		.amdhsa_exception_fp_ieee_overflow 0
		.amdhsa_exception_fp_ieee_underflow 0
		.amdhsa_exception_fp_ieee_inexact 0
		.amdhsa_exception_int_div_zero 0
	.end_amdhsa_kernel
	.section	.text._ZN9rocsolver6v33100L18getri_kernel_smallILi21E19rocblas_complex_numIdEPS3_EEvT1_iilPiilS6_bb,"axG",@progbits,_ZN9rocsolver6v33100L18getri_kernel_smallILi21E19rocblas_complex_numIdEPS3_EEvT1_iilPiilS6_bb,comdat
.Lfunc_end20:
	.size	_ZN9rocsolver6v33100L18getri_kernel_smallILi21E19rocblas_complex_numIdEPS3_EEvT1_iilPiilS6_bb, .Lfunc_end20-_ZN9rocsolver6v33100L18getri_kernel_smallILi21E19rocblas_complex_numIdEPS3_EEvT1_iilPiilS6_bb
                                        ; -- End function
	.set _ZN9rocsolver6v33100L18getri_kernel_smallILi21E19rocblas_complex_numIdEPS3_EEvT1_iilPiilS6_bb.num_vgpr, 124
	.set _ZN9rocsolver6v33100L18getri_kernel_smallILi21E19rocblas_complex_numIdEPS3_EEvT1_iilPiilS6_bb.num_agpr, 0
	.set _ZN9rocsolver6v33100L18getri_kernel_smallILi21E19rocblas_complex_numIdEPS3_EEvT1_iilPiilS6_bb.numbered_sgpr, 37
	.set _ZN9rocsolver6v33100L18getri_kernel_smallILi21E19rocblas_complex_numIdEPS3_EEvT1_iilPiilS6_bb.num_named_barrier, 0
	.set _ZN9rocsolver6v33100L18getri_kernel_smallILi21E19rocblas_complex_numIdEPS3_EEvT1_iilPiilS6_bb.private_seg_size, 352
	.set _ZN9rocsolver6v33100L18getri_kernel_smallILi21E19rocblas_complex_numIdEPS3_EEvT1_iilPiilS6_bb.uses_vcc, 1
	.set _ZN9rocsolver6v33100L18getri_kernel_smallILi21E19rocblas_complex_numIdEPS3_EEvT1_iilPiilS6_bb.uses_flat_scratch, 1
	.set _ZN9rocsolver6v33100L18getri_kernel_smallILi21E19rocblas_complex_numIdEPS3_EEvT1_iilPiilS6_bb.has_dyn_sized_stack, 0
	.set _ZN9rocsolver6v33100L18getri_kernel_smallILi21E19rocblas_complex_numIdEPS3_EEvT1_iilPiilS6_bb.has_recursion, 0
	.set _ZN9rocsolver6v33100L18getri_kernel_smallILi21E19rocblas_complex_numIdEPS3_EEvT1_iilPiilS6_bb.has_indirect_call, 0
	.section	.AMDGPU.csdata,"",@progbits
; Kernel info:
; codeLenInByte = 24316
; TotalNumSgprs: 39
; NumVgprs: 124
; ScratchSize: 352
; MemoryBound: 0
; FloatMode: 240
; IeeeMode: 1
; LDSByteSize: 1704 bytes/workgroup (compile time only)
; SGPRBlocks: 0
; VGPRBlocks: 7
; NumSGPRsForWavesPerEU: 39
; NumVGPRsForWavesPerEU: 124
; NamedBarCnt: 0
; Occupancy: 8
; WaveLimiterHint : 1
; COMPUTE_PGM_RSRC2:SCRATCH_EN: 1
; COMPUTE_PGM_RSRC2:USER_SGPR: 4
; COMPUTE_PGM_RSRC2:TRAP_HANDLER: 0
; COMPUTE_PGM_RSRC2:TGID_X_EN: 1
; COMPUTE_PGM_RSRC2:TGID_Y_EN: 0
; COMPUTE_PGM_RSRC2:TGID_Z_EN: 0
; COMPUTE_PGM_RSRC2:TIDIG_COMP_CNT: 2
	.section	.text._ZN9rocsolver6v33100L18getri_kernel_smallILi22E19rocblas_complex_numIdEPS3_EEvT1_iilPiilS6_bb,"axG",@progbits,_ZN9rocsolver6v33100L18getri_kernel_smallILi22E19rocblas_complex_numIdEPS3_EEvT1_iilPiilS6_bb,comdat
	.globl	_ZN9rocsolver6v33100L18getri_kernel_smallILi22E19rocblas_complex_numIdEPS3_EEvT1_iilPiilS6_bb ; -- Begin function _ZN9rocsolver6v33100L18getri_kernel_smallILi22E19rocblas_complex_numIdEPS3_EEvT1_iilPiilS6_bb
	.p2align	8
	.type	_ZN9rocsolver6v33100L18getri_kernel_smallILi22E19rocblas_complex_numIdEPS3_EEvT1_iilPiilS6_bb,@function
_ZN9rocsolver6v33100L18getri_kernel_smallILi22E19rocblas_complex_numIdEPS3_EEvT1_iilPiilS6_bb: ; @_ZN9rocsolver6v33100L18getri_kernel_smallILi22E19rocblas_complex_numIdEPS3_EEvT1_iilPiilS6_bb
; %bb.0:
	v_and_b32_e32 v1, 0x3ff, v0
	s_mov_b32 s4, exec_lo
	s_delay_alu instid0(VALU_DEP_1)
	v_cmpx_gt_u32_e32 22, v1
	s_cbranch_execz .LBB21_102
; %bb.1:
	s_clause 0x2
	s_load_b32 s8, s[2:3], 0x38
	s_load_b128 s[12:15], s[2:3], 0x10
	s_load_b128 s[4:7], s[2:3], 0x28
	s_getreg_b32 s11, hwreg(HW_REG_IB_STS2, 6, 4)
                                        ; implicit-def: $sgpr16_sgpr17
	s_wait_kmcnt 0x0
	s_bitcmp1_b32 s8, 8
	s_cselect_b32 s34, -1, 0
	s_bfe_u32 s9, ttmp6, 0x4000c
	s_and_b32 s10, ttmp6, 15
	s_add_co_i32 s9, s9, 1
	s_delay_alu instid0(SALU_CYCLE_1) | instskip(NEXT) | instid1(SALU_CYCLE_1)
	s_mul_i32 s9, ttmp9, s9
	s_add_co_i32 s10, s10, s9
	s_cmp_eq_u32 s11, 0
	s_cselect_b32 s18, ttmp9, s10
	s_bfe_u32 s8, s8, 0x10008
	s_ashr_i32 s19, s18, 31
	s_cmp_eq_u32 s8, 0
	s_cbranch_scc1 .LBB21_3
; %bb.2:
	s_load_b32 s8, s[2:3], 0x20
	s_mul_u64 s[4:5], s[4:5], s[18:19]
	s_delay_alu instid0(SALU_CYCLE_1) | instskip(NEXT) | instid1(SALU_CYCLE_1)
	s_lshl_b64 s[4:5], s[4:5], 2
	s_add_nc_u64 s[4:5], s[14:15], s[4:5]
	s_wait_kmcnt 0x0
	s_ashr_i32 s9, s8, 31
	s_delay_alu instid0(SALU_CYCLE_1) | instskip(NEXT) | instid1(SALU_CYCLE_1)
	s_lshl_b64 s[8:9], s[8:9], 2
	s_add_nc_u64 s[16:17], s[4:5], s[8:9]
.LBB21_3:
	s_load_b128 s[8:11], s[2:3], 0x0
	s_mul_u64 s[4:5], s[12:13], s[18:19]
	s_wait_xcnt 0x0
	s_load_b32 s2, s[2:3], 0x38
	s_lshl_b64 s[4:5], s[4:5], 4
	s_movk_i32 s15, 0x80
	s_movk_i32 s20, 0x90
	;; [unrolled: 1-line block ×16, first 2 shown]
	s_wait_kmcnt 0x0
	v_add3_u32 v18, s11, s11, v1
	s_ashr_i32 s13, s10, 31
	s_mov_b32 s12, s10
	s_add_nc_u64 s[4:5], s[8:9], s[4:5]
	s_lshl_b64 s[8:9], s[12:13], 4
	v_add_nc_u32_e32 v20, s11, v18
	s_add_nc_u64 s[4:5], s[4:5], s[8:9]
	s_ashr_i32 s9, s11, 31
	global_load_b128 v[2:5], v1, s[4:5] scale_offset
	s_mov_b32 s8, s11
	v_add_nc_u32_e32 v22, s11, v20
	s_mov_b32 s10, 64
	s_mov_b32 s12, s15
	;; [unrolled: 1-line block ×4, first 2 shown]
	v_add_nc_u32_e32 v24, s11, v22
	s_mov_b32 s22, s35
	s_movk_i32 s20, 0x130
	s_mov_b32 s3, -1
	s_bitcmp0_b32 s2, 0
	v_add_nc_u32_e32 v26, s11, v24
	s_clause 0x1
	global_load_b128 v[6:9], v18, s[4:5] scale_offset
	global_load_b128 v[10:13], v20, s[4:5] scale_offset
	v_dual_mov_b32 v59, 0 :: v_dual_lshlrev_b32 v58, 4, v1
	v_add_nc_u32_e32 v28, s11, v26
	s_delay_alu instid0(VALU_DEP_2) | instskip(NEXT) | instid1(VALU_DEP_2)
	v_add_nc_u64_e32 v[14:15], s[4:5], v[58:59]
	v_add_nc_u32_e32 v30, s11, v28
	s_delay_alu instid0(VALU_DEP_1) | instskip(NEXT) | instid1(VALU_DEP_3)
	v_add_nc_u32_e32 v32, s11, v30
	v_lshl_add_u64 v[16:17], s[8:9], 4, v[14:15]
	s_mov_b32 s8, 32
	s_mov_b32 s9, 48
	s_delay_alu instid0(VALU_DEP_2)
	v_add_nc_u32_e32 v34, s11, v32
	s_clause 0x4
	global_load_b128 v[60:63], v[16:17], off
	global_load_b128 v[64:67], v22, s[4:5] scale_offset
	global_load_b128 v[68:71], v24, s[4:5] scale_offset
	;; [unrolled: 1-line block ×4, first 2 shown]
	v_add_nc_u32_e32 v36, s11, v34
	s_delay_alu instid0(VALU_DEP_1) | instskip(NEXT) | instid1(VALU_DEP_1)
	v_add_nc_u32_e32 v38, s11, v36
	v_add_nc_u32_e32 v40, s11, v38
	s_delay_alu instid0(VALU_DEP_1)
	v_add_nc_u32_e32 v42, s11, v40
	s_clause 0x3
	global_load_b128 v[80:83], v30, s[4:5] scale_offset
	global_load_b128 v[84:87], v32, s[4:5] scale_offset
	;; [unrolled: 1-line block ×4, first 2 shown]
	v_add_nc_u32_e32 v44, s11, v42
	s_delay_alu instid0(VALU_DEP_1)
	v_add_nc_u32_e32 v46, s11, v44
	s_clause 0x3
	global_load_b128 v[96:99], v38, s[4:5] scale_offset
	global_load_b128 v[100:103], v40, s[4:5] scale_offset
	;; [unrolled: 1-line block ×4, first 2 shown]
	v_add_nc_u32_e32 v48, s11, v46
	s_delay_alu instid0(VALU_DEP_1) | instskip(NEXT) | instid1(VALU_DEP_1)
	v_add_nc_u32_e32 v50, s11, v48
	v_add_nc_u32_e32 v52, s11, v50
	s_delay_alu instid0(VALU_DEP_1)
	v_add_nc_u32_e32 v54, s11, v52
	s_clause 0x1
	global_load_b128 v[112:115], v46, s[4:5] scale_offset
	global_load_b128 v[116:119], v48, s[4:5] scale_offset
	v_add_nc_u32_e32 v56, s11, v54
	s_mov_b32 s11, 16
	s_wait_loadcnt 0x11
	scratch_store_b128 off, v[2:5], off
	s_clause 0x1
	global_load_b128 v[2:5], v50, s[4:5] scale_offset
	global_load_b128 v[120:123], v52, s[4:5] scale_offset
	s_wait_loadcnt 0x12
	scratch_store_b128 off, v[6:9], off offset:32
	s_wait_loadcnt 0x11
	scratch_store_b128 off, v[10:13], off offset:48
	s_clause 0x1
	global_load_b128 v[6:9], v54, s[4:5] scale_offset
	global_load_b128 v[10:13], v56, s[4:5] scale_offset
	s_wait_loadcnt 0x12
	scratch_store_b128 off, v[60:63], off offset:16
	s_wait_loadcnt 0x11
	scratch_store_b128 off, v[64:67], off offset:64
	;; [unrolled: 2-line block ×19, first 2 shown]
	s_cbranch_scc1 .LBB21_100
; %bb.4:
	v_cmp_eq_u32_e64 s2, 0, v1
	s_wait_xcnt 0x0
	s_and_saveexec_b32 s3, s2
; %bb.5:
	v_mov_b32_e32 v2, 0
	ds_store_b32 v2, v2 offset:704
; %bb.6:
	s_or_b32 exec_lo, exec_lo, s3
	s_wait_storecnt_dscnt 0x0
	s_barrier_signal -1
	s_barrier_wait -1
	scratch_load_b128 v[2:5], v1, off scale_offset
	s_wait_loadcnt 0x0
	v_cmp_eq_f64_e32 vcc_lo, 0, v[2:3]
	v_cmp_eq_f64_e64 s3, 0, v[4:5]
	s_and_b32 s3, vcc_lo, s3
	s_delay_alu instid0(SALU_CYCLE_1)
	s_and_saveexec_b32 s35, s3
	s_cbranch_execz .LBB21_10
; %bb.7:
	v_mov_b32_e32 v2, 0
	s_mov_b32 s36, 0
	ds_load_b32 v3, v2 offset:704
	s_wait_dscnt 0x0
	v_readfirstlane_b32 s3, v3
	v_add_nc_u32_e32 v3, 1, v1
	s_cmp_eq_u32 s3, 0
	s_delay_alu instid0(VALU_DEP_1) | instskip(SKIP_1) | instid1(SALU_CYCLE_1)
	v_cmp_gt_i32_e32 vcc_lo, s3, v3
	s_cselect_b32 s37, -1, 0
	s_or_b32 s37, s37, vcc_lo
	s_delay_alu instid0(SALU_CYCLE_1)
	s_and_b32 exec_lo, exec_lo, s37
	s_cbranch_execz .LBB21_10
; %bb.8:
	v_mov_b32_e32 v4, s3
.LBB21_9:                               ; =>This Inner Loop Header: Depth=1
	ds_cmpstore_rtn_b32 v4, v2, v3, v4 offset:704
	s_wait_dscnt 0x0
	v_cmp_ne_u32_e32 vcc_lo, 0, v4
	v_cmp_le_i32_e64 s3, v4, v3
	s_and_b32 s3, vcc_lo, s3
	s_delay_alu instid0(SALU_CYCLE_1) | instskip(NEXT) | instid1(SALU_CYCLE_1)
	s_and_b32 s3, exec_lo, s3
	s_or_b32 s36, s3, s36
	s_delay_alu instid0(SALU_CYCLE_1)
	s_and_not1_b32 exec_lo, exec_lo, s36
	s_cbranch_execnz .LBB21_9
.LBB21_10:
	s_or_b32 exec_lo, exec_lo, s35
	v_mov_b32_e32 v2, 0
	s_barrier_signal -1
	s_barrier_wait -1
	ds_load_b32 v3, v2 offset:704
	s_and_saveexec_b32 s3, s2
	s_cbranch_execz .LBB21_12
; %bb.11:
	s_lshl_b64 s[36:37], s[18:19], 2
	s_delay_alu instid0(SALU_CYCLE_1)
	s_add_nc_u64 s[36:37], s[6:7], s[36:37]
	s_wait_dscnt 0x0
	global_store_b32 v2, v3, s[36:37]
.LBB21_12:
	s_wait_xcnt 0x0
	s_or_b32 exec_lo, exec_lo, s3
	s_wait_dscnt 0x0
	v_cmp_ne_u32_e32 vcc_lo, 0, v3
	s_mov_b32 s3, 0
	s_cbranch_vccnz .LBB21_100
; %bb.13:
	v_lshl_add_u32 v19, v1, 4, 0
                                        ; implicit-def: $vgpr6_vgpr7
                                        ; implicit-def: $vgpr10_vgpr11
	scratch_load_b128 v[2:5], v19, off
	s_wait_loadcnt 0x0
	v_cmp_ngt_f64_e64 s3, |v[2:3]|, |v[4:5]|
	s_wait_xcnt 0x0
	s_and_saveexec_b32 s35, s3
	s_delay_alu instid0(SALU_CYCLE_1)
	s_xor_b32 s3, exec_lo, s35
	s_cbranch_execz .LBB21_15
; %bb.14:
	v_div_scale_f64 v[6:7], null, v[4:5], v[4:5], v[2:3]
	v_div_scale_f64 v[12:13], vcc_lo, v[2:3], v[4:5], v[2:3]
	s_delay_alu instid0(VALU_DEP_2) | instskip(SKIP_1) | instid1(TRANS32_DEP_1)
	v_rcp_f64_e32 v[8:9], v[6:7]
	v_nop
	v_fma_f64 v[10:11], -v[6:7], v[8:9], 1.0
	s_delay_alu instid0(VALU_DEP_1) | instskip(NEXT) | instid1(VALU_DEP_1)
	v_fmac_f64_e32 v[8:9], v[8:9], v[10:11]
	v_fma_f64 v[10:11], -v[6:7], v[8:9], 1.0
	s_delay_alu instid0(VALU_DEP_1) | instskip(NEXT) | instid1(VALU_DEP_1)
	v_fmac_f64_e32 v[8:9], v[8:9], v[10:11]
	v_mul_f64_e32 v[10:11], v[12:13], v[8:9]
	s_delay_alu instid0(VALU_DEP_1) | instskip(NEXT) | instid1(VALU_DEP_1)
	v_fma_f64 v[6:7], -v[6:7], v[10:11], v[12:13]
	v_div_fmas_f64 v[6:7], v[6:7], v[8:9], v[10:11]
	s_delay_alu instid0(VALU_DEP_1) | instskip(NEXT) | instid1(VALU_DEP_1)
	v_div_fixup_f64 v[6:7], v[6:7], v[4:5], v[2:3]
	v_fmac_f64_e32 v[4:5], v[2:3], v[6:7]
	s_delay_alu instid0(VALU_DEP_1) | instskip(SKIP_1) | instid1(VALU_DEP_2)
	v_div_scale_f64 v[2:3], null, v[4:5], v[4:5], 1.0
	v_div_scale_f64 v[12:13], vcc_lo, 1.0, v[4:5], 1.0
	v_rcp_f64_e32 v[8:9], v[2:3]
	v_nop
	s_delay_alu instid0(TRANS32_DEP_1) | instskip(NEXT) | instid1(VALU_DEP_1)
	v_fma_f64 v[10:11], -v[2:3], v[8:9], 1.0
	v_fmac_f64_e32 v[8:9], v[8:9], v[10:11]
	s_delay_alu instid0(VALU_DEP_1) | instskip(NEXT) | instid1(VALU_DEP_1)
	v_fma_f64 v[10:11], -v[2:3], v[8:9], 1.0
	v_fmac_f64_e32 v[8:9], v[8:9], v[10:11]
	s_delay_alu instid0(VALU_DEP_1) | instskip(NEXT) | instid1(VALU_DEP_1)
	v_mul_f64_e32 v[10:11], v[12:13], v[8:9]
	v_fma_f64 v[2:3], -v[2:3], v[10:11], v[12:13]
	s_delay_alu instid0(VALU_DEP_1) | instskip(NEXT) | instid1(VALU_DEP_1)
	v_div_fmas_f64 v[2:3], v[2:3], v[8:9], v[10:11]
	v_div_fixup_f64 v[8:9], v[2:3], v[4:5], 1.0
                                        ; implicit-def: $vgpr2_vgpr3
	s_delay_alu instid0(VALU_DEP_1) | instskip(SKIP_1) | instid1(VALU_DEP_2)
	v_mul_f64_e32 v[6:7], v[6:7], v[8:9]
	v_xor_b32_e32 v9, 0x80000000, v9
	v_xor_b32_e32 v11, 0x80000000, v7
	s_delay_alu instid0(VALU_DEP_3)
	v_mov_b32_e32 v10, v6
.LBB21_15:
	s_and_not1_saveexec_b32 s3, s3
	s_cbranch_execz .LBB21_17
; %bb.16:
	v_div_scale_f64 v[6:7], null, v[2:3], v[2:3], v[4:5]
	v_div_scale_f64 v[12:13], vcc_lo, v[4:5], v[2:3], v[4:5]
	s_delay_alu instid0(VALU_DEP_2) | instskip(SKIP_1) | instid1(TRANS32_DEP_1)
	v_rcp_f64_e32 v[8:9], v[6:7]
	v_nop
	v_fma_f64 v[10:11], -v[6:7], v[8:9], 1.0
	s_delay_alu instid0(VALU_DEP_1) | instskip(NEXT) | instid1(VALU_DEP_1)
	v_fmac_f64_e32 v[8:9], v[8:9], v[10:11]
	v_fma_f64 v[10:11], -v[6:7], v[8:9], 1.0
	s_delay_alu instid0(VALU_DEP_1) | instskip(NEXT) | instid1(VALU_DEP_1)
	v_fmac_f64_e32 v[8:9], v[8:9], v[10:11]
	v_mul_f64_e32 v[10:11], v[12:13], v[8:9]
	s_delay_alu instid0(VALU_DEP_1) | instskip(NEXT) | instid1(VALU_DEP_1)
	v_fma_f64 v[6:7], -v[6:7], v[10:11], v[12:13]
	v_div_fmas_f64 v[6:7], v[6:7], v[8:9], v[10:11]
	s_delay_alu instid0(VALU_DEP_1) | instskip(NEXT) | instid1(VALU_DEP_1)
	v_div_fixup_f64 v[8:9], v[6:7], v[2:3], v[4:5]
	v_fmac_f64_e32 v[2:3], v[4:5], v[8:9]
	s_delay_alu instid0(VALU_DEP_1) | instskip(NEXT) | instid1(VALU_DEP_1)
	v_div_scale_f64 v[4:5], null, v[2:3], v[2:3], 1.0
	v_rcp_f64_e32 v[6:7], v[4:5]
	v_nop
	s_delay_alu instid0(TRANS32_DEP_1) | instskip(NEXT) | instid1(VALU_DEP_1)
	v_fma_f64 v[10:11], -v[4:5], v[6:7], 1.0
	v_fmac_f64_e32 v[6:7], v[6:7], v[10:11]
	s_delay_alu instid0(VALU_DEP_1) | instskip(NEXT) | instid1(VALU_DEP_1)
	v_fma_f64 v[10:11], -v[4:5], v[6:7], 1.0
	v_fmac_f64_e32 v[6:7], v[6:7], v[10:11]
	v_div_scale_f64 v[10:11], vcc_lo, 1.0, v[2:3], 1.0
	s_delay_alu instid0(VALU_DEP_1) | instskip(NEXT) | instid1(VALU_DEP_1)
	v_mul_f64_e32 v[12:13], v[10:11], v[6:7]
	v_fma_f64 v[4:5], -v[4:5], v[12:13], v[10:11]
	s_delay_alu instid0(VALU_DEP_1) | instskip(NEXT) | instid1(VALU_DEP_1)
	v_div_fmas_f64 v[4:5], v[4:5], v[6:7], v[12:13]
	v_div_fixup_f64 v[6:7], v[4:5], v[2:3], 1.0
	s_delay_alu instid0(VALU_DEP_1)
	v_mul_f64_e64 v[8:9], v[8:9], -v[6:7]
	v_xor_b32_e32 v11, 0x80000000, v7
	v_mov_b32_e32 v10, v6
.LBB21_17:
	s_or_b32 exec_lo, exec_lo, s3
	s_clause 0x1
	scratch_store_b128 v19, v[6:9], off
	scratch_load_b128 v[2:5], off, s11
	v_xor_b32_e32 v13, 0x80000000, v9
	v_mov_b32_e32 v12, v8
	s_wait_xcnt 0x1
	v_add_nc_u32_e32 v6, 0x160, v58
	ds_store_b128 v58, v[10:13]
	s_wait_loadcnt 0x0
	ds_store_b128 v58, v[2:5] offset:352
	s_wait_storecnt_dscnt 0x0
	s_barrier_signal -1
	s_barrier_wait -1
	s_wait_xcnt 0x0
	s_and_saveexec_b32 s3, s2
	s_cbranch_execz .LBB21_19
; %bb.18:
	scratch_load_b128 v[2:5], v19, off
	ds_load_b128 v[8:11], v6
	v_mov_b32_e32 v7, 0
	ds_load_b128 v[60:63], v7 offset:16
	s_wait_loadcnt_dscnt 0x1
	v_mul_f64_e32 v[12:13], v[8:9], v[4:5]
	v_mul_f64_e32 v[4:5], v[10:11], v[4:5]
	s_delay_alu instid0(VALU_DEP_2) | instskip(NEXT) | instid1(VALU_DEP_2)
	v_fmac_f64_e32 v[12:13], v[10:11], v[2:3]
	v_fma_f64 v[2:3], v[8:9], v[2:3], -v[4:5]
	s_delay_alu instid0(VALU_DEP_2) | instskip(NEXT) | instid1(VALU_DEP_2)
	v_add_f64_e32 v[8:9], 0, v[12:13]
	v_add_f64_e32 v[2:3], 0, v[2:3]
	s_wait_dscnt 0x0
	s_delay_alu instid0(VALU_DEP_2) | instskip(NEXT) | instid1(VALU_DEP_2)
	v_mul_f64_e32 v[10:11], v[8:9], v[62:63]
	v_mul_f64_e32 v[4:5], v[2:3], v[62:63]
	s_delay_alu instid0(VALU_DEP_2) | instskip(NEXT) | instid1(VALU_DEP_2)
	v_fma_f64 v[2:3], v[2:3], v[60:61], -v[10:11]
	v_fmac_f64_e32 v[4:5], v[8:9], v[60:61]
	scratch_store_b128 off, v[2:5], off offset:16
.LBB21_19:
	s_wait_xcnt 0x0
	s_or_b32 exec_lo, exec_lo, s3
	s_wait_storecnt 0x0
	s_barrier_signal -1
	s_barrier_wait -1
	scratch_load_b128 v[2:5], off, s8
	s_mov_b32 s3, exec_lo
	s_wait_loadcnt 0x0
	ds_store_b128 v6, v[2:5]
	s_wait_dscnt 0x0
	s_barrier_signal -1
	s_barrier_wait -1
	v_cmpx_gt_u32_e32 2, v1
	s_cbranch_execz .LBB21_23
; %bb.20:
	scratch_load_b128 v[2:5], v19, off
	ds_load_b128 v[8:11], v6
	s_wait_loadcnt_dscnt 0x0
	v_mul_f64_e32 v[12:13], v[10:11], v[4:5]
	v_mul_f64_e32 v[60:61], v[8:9], v[4:5]
	s_delay_alu instid0(VALU_DEP_2) | instskip(NEXT) | instid1(VALU_DEP_2)
	v_fma_f64 v[4:5], v[8:9], v[2:3], -v[12:13]
	v_fmac_f64_e32 v[60:61], v[10:11], v[2:3]
	s_delay_alu instid0(VALU_DEP_2) | instskip(NEXT) | instid1(VALU_DEP_2)
	v_add_f64_e32 v[4:5], 0, v[4:5]
	v_add_f64_e32 v[2:3], 0, v[60:61]
	s_and_saveexec_b32 s35, s2
	s_cbranch_execz .LBB21_22
; %bb.21:
	scratch_load_b128 v[8:11], off, off offset:16
	v_mov_b32_e32 v7, 0
	ds_load_b128 v[60:63], v7 offset:368
	s_wait_loadcnt_dscnt 0x0
	v_mul_f64_e32 v[12:13], v[60:61], v[10:11]
	v_mul_f64_e32 v[10:11], v[62:63], v[10:11]
	s_delay_alu instid0(VALU_DEP_2) | instskip(NEXT) | instid1(VALU_DEP_2)
	v_fmac_f64_e32 v[12:13], v[62:63], v[8:9]
	v_fma_f64 v[8:9], v[60:61], v[8:9], -v[10:11]
	s_delay_alu instid0(VALU_DEP_2) | instskip(NEXT) | instid1(VALU_DEP_2)
	v_add_f64_e32 v[2:3], v[2:3], v[12:13]
	v_add_f64_e32 v[4:5], v[4:5], v[8:9]
.LBB21_22:
	s_or_b32 exec_lo, exec_lo, s35
	v_mov_b32_e32 v7, 0
	ds_load_b128 v[8:11], v7 offset:32
	s_wait_dscnt 0x0
	v_mul_f64_e32 v[60:61], v[2:3], v[10:11]
	v_mul_f64_e32 v[12:13], v[4:5], v[10:11]
	s_delay_alu instid0(VALU_DEP_2) | instskip(NEXT) | instid1(VALU_DEP_2)
	v_fma_f64 v[10:11], v[4:5], v[8:9], -v[60:61]
	v_fmac_f64_e32 v[12:13], v[2:3], v[8:9]
	scratch_store_b128 off, v[10:13], off offset:32
.LBB21_23:
	s_wait_xcnt 0x0
	s_or_b32 exec_lo, exec_lo, s3
	s_wait_storecnt 0x0
	s_barrier_signal -1
	s_barrier_wait -1
	scratch_load_b128 v[2:5], off, s9
	v_add_nc_u32_e32 v7, -1, v1
	s_mov_b32 s2, exec_lo
	s_wait_loadcnt 0x0
	ds_store_b128 v6, v[2:5]
	s_wait_dscnt 0x0
	s_barrier_signal -1
	s_barrier_wait -1
	v_cmpx_gt_u32_e32 3, v1
	s_cbranch_execz .LBB21_27
; %bb.24:
	v_dual_mov_b32 v10, v58 :: v_dual_add_nc_u32 v8, -1, v1
	v_mov_b64_e32 v[2:3], 0
	v_mov_b64_e32 v[4:5], 0
	v_add_nc_u32_e32 v9, 0x160, v58
	s_delay_alu instid0(VALU_DEP_4)
	v_or_b32_e32 v10, 8, v10
	s_mov_b32 s3, 0
.LBB21_25:                              ; =>This Inner Loop Header: Depth=1
	scratch_load_b128 v[60:63], v10, off offset:-8
	ds_load_b128 v[64:67], v9
	v_dual_add_nc_u32 v8, 1, v8 :: v_dual_add_nc_u32 v9, 16, v9
	s_wait_xcnt 0x0
	v_add_nc_u32_e32 v10, 16, v10
	s_delay_alu instid0(VALU_DEP_2) | instskip(SKIP_4) | instid1(VALU_DEP_2)
	v_cmp_lt_u32_e32 vcc_lo, 1, v8
	s_or_b32 s3, vcc_lo, s3
	s_wait_loadcnt_dscnt 0x0
	v_mul_f64_e32 v[12:13], v[66:67], v[62:63]
	v_mul_f64_e32 v[62:63], v[64:65], v[62:63]
	v_fma_f64 v[12:13], v[64:65], v[60:61], -v[12:13]
	s_delay_alu instid0(VALU_DEP_2) | instskip(NEXT) | instid1(VALU_DEP_2)
	v_fmac_f64_e32 v[62:63], v[66:67], v[60:61]
	v_add_f64_e32 v[4:5], v[4:5], v[12:13]
	s_delay_alu instid0(VALU_DEP_2)
	v_add_f64_e32 v[2:3], v[2:3], v[62:63]
	s_and_not1_b32 exec_lo, exec_lo, s3
	s_cbranch_execnz .LBB21_25
; %bb.26:
	s_or_b32 exec_lo, exec_lo, s3
	v_mov_b32_e32 v8, 0
	ds_load_b128 v[8:11], v8 offset:48
	s_wait_dscnt 0x0
	v_mul_f64_e32 v[60:61], v[2:3], v[10:11]
	v_mul_f64_e32 v[12:13], v[4:5], v[10:11]
	s_delay_alu instid0(VALU_DEP_2) | instskip(NEXT) | instid1(VALU_DEP_2)
	v_fma_f64 v[10:11], v[4:5], v[8:9], -v[60:61]
	v_fmac_f64_e32 v[12:13], v[2:3], v[8:9]
	scratch_store_b128 off, v[10:13], off offset:48
.LBB21_27:
	s_wait_xcnt 0x0
	s_or_b32 exec_lo, exec_lo, s2
	s_wait_storecnt 0x0
	s_barrier_signal -1
	s_barrier_wait -1
	scratch_load_b128 v[2:5], off, s10
	s_mov_b32 s2, exec_lo
	s_wait_loadcnt 0x0
	ds_store_b128 v6, v[2:5]
	s_wait_dscnt 0x0
	s_barrier_signal -1
	s_barrier_wait -1
	v_cmpx_gt_u32_e32 4, v1
	s_cbranch_execz .LBB21_31
; %bb.28:
	v_dual_mov_b32 v10, v58 :: v_dual_add_nc_u32 v8, -1, v1
	v_mov_b64_e32 v[2:3], 0
	v_mov_b64_e32 v[4:5], 0
	v_add_nc_u32_e32 v9, 0x160, v58
	s_delay_alu instid0(VALU_DEP_4)
	v_or_b32_e32 v10, 8, v10
	s_mov_b32 s3, 0
.LBB21_29:                              ; =>This Inner Loop Header: Depth=1
	scratch_load_b128 v[60:63], v10, off offset:-8
	ds_load_b128 v[64:67], v9
	v_dual_add_nc_u32 v8, 1, v8 :: v_dual_add_nc_u32 v9, 16, v9
	s_wait_xcnt 0x0
	v_add_nc_u32_e32 v10, 16, v10
	s_delay_alu instid0(VALU_DEP_2) | instskip(SKIP_4) | instid1(VALU_DEP_2)
	v_cmp_lt_u32_e32 vcc_lo, 2, v8
	s_or_b32 s3, vcc_lo, s3
	s_wait_loadcnt_dscnt 0x0
	v_mul_f64_e32 v[12:13], v[66:67], v[62:63]
	v_mul_f64_e32 v[62:63], v[64:65], v[62:63]
	v_fma_f64 v[12:13], v[64:65], v[60:61], -v[12:13]
	s_delay_alu instid0(VALU_DEP_2) | instskip(NEXT) | instid1(VALU_DEP_2)
	v_fmac_f64_e32 v[62:63], v[66:67], v[60:61]
	v_add_f64_e32 v[4:5], v[4:5], v[12:13]
	s_delay_alu instid0(VALU_DEP_2)
	v_add_f64_e32 v[2:3], v[2:3], v[62:63]
	s_and_not1_b32 exec_lo, exec_lo, s3
	s_cbranch_execnz .LBB21_29
; %bb.30:
	s_or_b32 exec_lo, exec_lo, s3
	v_mov_b32_e32 v8, 0
	ds_load_b128 v[8:11], v8 offset:64
	s_wait_dscnt 0x0
	v_mul_f64_e32 v[60:61], v[2:3], v[10:11]
	v_mul_f64_e32 v[12:13], v[4:5], v[10:11]
	s_delay_alu instid0(VALU_DEP_2) | instskip(NEXT) | instid1(VALU_DEP_2)
	v_fma_f64 v[10:11], v[4:5], v[8:9], -v[60:61]
	v_fmac_f64_e32 v[12:13], v[2:3], v[8:9]
	scratch_store_b128 off, v[10:13], off offset:64
.LBB21_31:
	s_wait_xcnt 0x0
	s_or_b32 exec_lo, exec_lo, s2
	s_wait_storecnt 0x0
	s_barrier_signal -1
	s_barrier_wait -1
	scratch_load_b128 v[2:5], off, s14
	;; [unrolled: 54-line block ×18, first 2 shown]
	s_mov_b32 s2, exec_lo
	s_wait_loadcnt 0x0
	ds_store_b128 v6, v[2:5]
	s_wait_dscnt 0x0
	s_barrier_signal -1
	s_barrier_wait -1
	v_cmpx_ne_u32_e32 21, v1
	s_cbranch_execz .LBB21_99
; %bb.96:
	v_mov_b32_e32 v8, v58
	v_mov_b64_e32 v[2:3], 0
	v_mov_b64_e32 v[4:5], 0
	s_mov_b32 s3, 0
	s_delay_alu instid0(VALU_DEP_3)
	v_or_b32_e32 v8, 8, v8
.LBB21_97:                              ; =>This Inner Loop Header: Depth=1
	scratch_load_b128 v[10:13], v8, off offset:-8
	ds_load_b128 v[58:61], v6
	v_dual_add_nc_u32 v7, 1, v7 :: v_dual_add_nc_u32 v6, 16, v6
	s_wait_xcnt 0x0
	v_add_nc_u32_e32 v8, 16, v8
	s_delay_alu instid0(VALU_DEP_2) | instskip(SKIP_4) | instid1(VALU_DEP_2)
	v_cmp_lt_u32_e32 vcc_lo, 19, v7
	s_or_b32 s3, vcc_lo, s3
	s_wait_loadcnt_dscnt 0x0
	v_mul_f64_e32 v[62:63], v[60:61], v[12:13]
	v_mul_f64_e32 v[12:13], v[58:59], v[12:13]
	v_fma_f64 v[58:59], v[58:59], v[10:11], -v[62:63]
	s_delay_alu instid0(VALU_DEP_2) | instskip(NEXT) | instid1(VALU_DEP_2)
	v_fmac_f64_e32 v[12:13], v[60:61], v[10:11]
	v_add_f64_e32 v[4:5], v[4:5], v[58:59]
	s_delay_alu instid0(VALU_DEP_2)
	v_add_f64_e32 v[2:3], v[2:3], v[12:13]
	s_and_not1_b32 exec_lo, exec_lo, s3
	s_cbranch_execnz .LBB21_97
; %bb.98:
	s_or_b32 exec_lo, exec_lo, s3
	v_mov_b32_e32 v6, 0
	ds_load_b128 v[6:9], v6 offset:336
	s_wait_dscnt 0x0
	v_mul_f64_e32 v[12:13], v[2:3], v[8:9]
	v_mul_f64_e32 v[10:11], v[4:5], v[8:9]
	s_delay_alu instid0(VALU_DEP_2) | instskip(NEXT) | instid1(VALU_DEP_2)
	v_fma_f64 v[8:9], v[4:5], v[6:7], -v[12:13]
	v_fmac_f64_e32 v[10:11], v[2:3], v[6:7]
	scratch_store_b128 off, v[8:11], off offset:336
.LBB21_99:
	s_wait_xcnt 0x0
	s_or_b32 exec_lo, exec_lo, s2
	s_mov_b32 s3, -1
	s_wait_storecnt 0x0
	s_barrier_signal -1
	s_barrier_wait -1
.LBB21_100:
	s_and_b32 vcc_lo, exec_lo, s3
	s_cbranch_vccz .LBB21_102
; %bb.101:
	s_wait_xcnt 0x3
	v_mov_b32_e32 v2, 0
	s_lshl_b64 s[2:3], s[18:19], 2
	s_delay_alu instid0(SALU_CYCLE_1)
	s_add_nc_u64 s[2:3], s[6:7], s[2:3]
	global_load_b32 v2, v2, s[2:3]
	s_wait_loadcnt 0x0
	v_cmp_ne_u32_e32 vcc_lo, 0, v2
	s_cbranch_vccz .LBB21_103
.LBB21_102:
	s_sendmsg sendmsg(MSG_DEALLOC_VGPRS)
	s_endpgm
.LBB21_103:
	s_wait_xcnt 0x2
	v_lshl_add_u32 v6, v1, 4, 0x160
	s_wait_xcnt 0x0
	s_mov_b32 s2, exec_lo
	v_cmpx_eq_u32_e32 21, v1
	s_cbranch_execz .LBB21_105
; %bb.104:
	scratch_load_b128 v[2:5], off, s26
	v_mov_b32_e32 v8, 0
	s_delay_alu instid0(VALU_DEP_1)
	v_dual_mov_b32 v9, v8 :: v_dual_mov_b32 v10, v8
	v_mov_b32_e32 v11, v8
	scratch_store_b128 off, v[8:11], off offset:320
	s_wait_loadcnt 0x0
	ds_store_b128 v6, v[2:5]
.LBB21_105:
	s_wait_xcnt 0x0
	s_or_b32 exec_lo, exec_lo, s2
	s_wait_storecnt_dscnt 0x0
	s_barrier_signal -1
	s_barrier_wait -1
	s_clause 0x1
	scratch_load_b128 v[8:11], off, off offset:336
	scratch_load_b128 v[58:61], off, off offset:320
	v_mov_b32_e32 v2, 0
	s_mov_b32 s2, exec_lo
	ds_load_b128 v[62:65], v2 offset:688
	s_wait_loadcnt_dscnt 0x100
	v_mul_f64_e32 v[4:5], v[64:65], v[10:11]
	v_mul_f64_e32 v[10:11], v[62:63], v[10:11]
	s_delay_alu instid0(VALU_DEP_2) | instskip(NEXT) | instid1(VALU_DEP_2)
	v_fma_f64 v[4:5], v[62:63], v[8:9], -v[4:5]
	v_fmac_f64_e32 v[10:11], v[64:65], v[8:9]
	s_delay_alu instid0(VALU_DEP_2) | instskip(NEXT) | instid1(VALU_DEP_2)
	v_add_f64_e32 v[4:5], 0, v[4:5]
	v_add_f64_e32 v[10:11], 0, v[10:11]
	s_wait_loadcnt 0x0
	s_delay_alu instid0(VALU_DEP_2) | instskip(NEXT) | instid1(VALU_DEP_2)
	v_add_f64_e64 v[8:9], v[58:59], -v[4:5]
	v_add_f64_e64 v[10:11], v[60:61], -v[10:11]
	scratch_store_b128 off, v[8:11], off offset:320
	s_wait_xcnt 0x0
	v_cmpx_lt_u32_e32 19, v1
	s_cbranch_execz .LBB21_107
; %bb.106:
	scratch_load_b128 v[8:11], off, s20
	v_dual_mov_b32 v3, v2 :: v_dual_mov_b32 v4, v2
	v_mov_b32_e32 v5, v2
	scratch_store_b128 off, v[2:5], off offset:304
	s_wait_loadcnt 0x0
	ds_store_b128 v6, v[8:11]
.LBB21_107:
	s_wait_xcnt 0x0
	s_or_b32 exec_lo, exec_lo, s2
	s_wait_storecnt_dscnt 0x0
	s_barrier_signal -1
	s_barrier_wait -1
	s_clause 0x2
	scratch_load_b128 v[8:11], off, off offset:320
	scratch_load_b128 v[58:61], off, off offset:336
	;; [unrolled: 1-line block ×3, first 2 shown]
	ds_load_b128 v[66:69], v2 offset:672
	ds_load_b128 v[2:5], v2 offset:688
	s_mov_b32 s2, exec_lo
	s_wait_loadcnt_dscnt 0x201
	v_mul_f64_e32 v[12:13], v[68:69], v[10:11]
	v_mul_f64_e32 v[10:11], v[66:67], v[10:11]
	s_wait_loadcnt_dscnt 0x100
	v_mul_f64_e32 v[70:71], v[2:3], v[60:61]
	v_mul_f64_e32 v[60:61], v[4:5], v[60:61]
	s_delay_alu instid0(VALU_DEP_4) | instskip(NEXT) | instid1(VALU_DEP_4)
	v_fma_f64 v[12:13], v[66:67], v[8:9], -v[12:13]
	v_fmac_f64_e32 v[10:11], v[68:69], v[8:9]
	s_delay_alu instid0(VALU_DEP_4) | instskip(NEXT) | instid1(VALU_DEP_4)
	v_fmac_f64_e32 v[70:71], v[4:5], v[58:59]
	v_fma_f64 v[2:3], v[2:3], v[58:59], -v[60:61]
	s_delay_alu instid0(VALU_DEP_4) | instskip(NEXT) | instid1(VALU_DEP_4)
	v_add_f64_e32 v[4:5], 0, v[12:13]
	v_add_f64_e32 v[8:9], 0, v[10:11]
	s_delay_alu instid0(VALU_DEP_2) | instskip(NEXT) | instid1(VALU_DEP_2)
	v_add_f64_e32 v[2:3], v[4:5], v[2:3]
	v_add_f64_e32 v[4:5], v[8:9], v[70:71]
	s_wait_loadcnt 0x0
	s_delay_alu instid0(VALU_DEP_2) | instskip(NEXT) | instid1(VALU_DEP_2)
	v_add_f64_e64 v[2:3], v[62:63], -v[2:3]
	v_add_f64_e64 v[4:5], v[64:65], -v[4:5]
	scratch_store_b128 off, v[2:5], off offset:304
	s_wait_xcnt 0x0
	v_cmpx_lt_u32_e32 18, v1
	s_cbranch_execz .LBB21_109
; %bb.108:
	scratch_load_b128 v[2:5], off, s27
	v_mov_b32_e32 v8, 0
	s_delay_alu instid0(VALU_DEP_1)
	v_dual_mov_b32 v9, v8 :: v_dual_mov_b32 v10, v8
	v_mov_b32_e32 v11, v8
	scratch_store_b128 off, v[8:11], off offset:288
	s_wait_loadcnt 0x0
	ds_store_b128 v6, v[2:5]
.LBB21_109:
	s_wait_xcnt 0x0
	s_or_b32 exec_lo, exec_lo, s2
	s_wait_storecnt_dscnt 0x0
	s_barrier_signal -1
	s_barrier_wait -1
	s_clause 0x3
	scratch_load_b128 v[8:11], off, off offset:304
	scratch_load_b128 v[58:61], off, off offset:320
	;; [unrolled: 1-line block ×4, first 2 shown]
	v_mov_b32_e32 v2, 0
	ds_load_b128 v[70:73], v2 offset:656
	ds_load_b128 v[74:77], v2 offset:672
	s_mov_b32 s2, exec_lo
	s_wait_loadcnt_dscnt 0x301
	v_mul_f64_e32 v[4:5], v[72:73], v[10:11]
	v_mul_f64_e32 v[12:13], v[70:71], v[10:11]
	s_wait_loadcnt_dscnt 0x200
	v_mul_f64_e32 v[78:79], v[74:75], v[60:61]
	v_mul_f64_e32 v[60:61], v[76:77], v[60:61]
	s_delay_alu instid0(VALU_DEP_4) | instskip(NEXT) | instid1(VALU_DEP_4)
	v_fma_f64 v[4:5], v[70:71], v[8:9], -v[4:5]
	v_fmac_f64_e32 v[12:13], v[72:73], v[8:9]
	ds_load_b128 v[8:11], v2 offset:688
	v_fmac_f64_e32 v[78:79], v[76:77], v[58:59]
	v_fma_f64 v[58:59], v[74:75], v[58:59], -v[60:61]
	s_wait_loadcnt_dscnt 0x100
	v_mul_f64_e32 v[70:71], v[8:9], v[64:65]
	v_mul_f64_e32 v[64:65], v[10:11], v[64:65]
	v_add_f64_e32 v[4:5], 0, v[4:5]
	v_add_f64_e32 v[12:13], 0, v[12:13]
	s_delay_alu instid0(VALU_DEP_4) | instskip(NEXT) | instid1(VALU_DEP_4)
	v_fmac_f64_e32 v[70:71], v[10:11], v[62:63]
	v_fma_f64 v[8:9], v[8:9], v[62:63], -v[64:65]
	s_delay_alu instid0(VALU_DEP_4) | instskip(NEXT) | instid1(VALU_DEP_4)
	v_add_f64_e32 v[4:5], v[4:5], v[58:59]
	v_add_f64_e32 v[10:11], v[12:13], v[78:79]
	s_delay_alu instid0(VALU_DEP_2) | instskip(NEXT) | instid1(VALU_DEP_2)
	v_add_f64_e32 v[4:5], v[4:5], v[8:9]
	v_add_f64_e32 v[10:11], v[10:11], v[70:71]
	s_wait_loadcnt 0x0
	s_delay_alu instid0(VALU_DEP_2) | instskip(NEXT) | instid1(VALU_DEP_2)
	v_add_f64_e64 v[8:9], v[66:67], -v[4:5]
	v_add_f64_e64 v[10:11], v[68:69], -v[10:11]
	scratch_store_b128 off, v[8:11], off offset:288
	s_wait_xcnt 0x0
	v_cmpx_lt_u32_e32 17, v1
	s_cbranch_execz .LBB21_111
; %bb.110:
	scratch_load_b128 v[8:11], off, s25
	v_dual_mov_b32 v3, v2 :: v_dual_mov_b32 v4, v2
	v_mov_b32_e32 v5, v2
	scratch_store_b128 off, v[2:5], off offset:272
	s_wait_loadcnt 0x0
	ds_store_b128 v6, v[8:11]
.LBB21_111:
	s_wait_xcnt 0x0
	s_or_b32 exec_lo, exec_lo, s2
	s_wait_storecnt_dscnt 0x0
	s_barrier_signal -1
	s_barrier_wait -1
	s_clause 0x4
	scratch_load_b128 v[8:11], off, off offset:288
	scratch_load_b128 v[58:61], off, off offset:304
	;; [unrolled: 1-line block ×5, first 2 shown]
	ds_load_b128 v[74:77], v2 offset:640
	ds_load_b128 v[78:81], v2 offset:656
	s_mov_b32 s2, exec_lo
	s_wait_loadcnt_dscnt 0x401
	v_mul_f64_e32 v[4:5], v[76:77], v[10:11]
	v_mul_f64_e32 v[12:13], v[74:75], v[10:11]
	s_wait_loadcnt_dscnt 0x300
	v_mul_f64_e32 v[82:83], v[78:79], v[60:61]
	v_mul_f64_e32 v[60:61], v[80:81], v[60:61]
	s_delay_alu instid0(VALU_DEP_4) | instskip(NEXT) | instid1(VALU_DEP_4)
	v_fma_f64 v[74:75], v[74:75], v[8:9], -v[4:5]
	v_fmac_f64_e32 v[12:13], v[76:77], v[8:9]
	ds_load_b128 v[8:11], v2 offset:672
	ds_load_b128 v[2:5], v2 offset:688
	v_fmac_f64_e32 v[82:83], v[80:81], v[58:59]
	v_fma_f64 v[58:59], v[78:79], v[58:59], -v[60:61]
	s_wait_loadcnt_dscnt 0x201
	v_mul_f64_e32 v[76:77], v[8:9], v[64:65]
	v_mul_f64_e32 v[64:65], v[10:11], v[64:65]
	v_add_f64_e32 v[60:61], 0, v[74:75]
	v_add_f64_e32 v[12:13], 0, v[12:13]
	s_wait_loadcnt_dscnt 0x100
	v_mul_f64_e32 v[74:75], v[2:3], v[68:69]
	v_mul_f64_e32 v[68:69], v[4:5], v[68:69]
	v_fmac_f64_e32 v[76:77], v[10:11], v[62:63]
	v_fma_f64 v[8:9], v[8:9], v[62:63], -v[64:65]
	v_add_f64_e32 v[10:11], v[60:61], v[58:59]
	v_add_f64_e32 v[12:13], v[12:13], v[82:83]
	v_fmac_f64_e32 v[74:75], v[4:5], v[66:67]
	v_fma_f64 v[2:3], v[2:3], v[66:67], -v[68:69]
	s_delay_alu instid0(VALU_DEP_4) | instskip(NEXT) | instid1(VALU_DEP_4)
	v_add_f64_e32 v[4:5], v[10:11], v[8:9]
	v_add_f64_e32 v[8:9], v[12:13], v[76:77]
	s_delay_alu instid0(VALU_DEP_2) | instskip(NEXT) | instid1(VALU_DEP_2)
	v_add_f64_e32 v[2:3], v[4:5], v[2:3]
	v_add_f64_e32 v[4:5], v[8:9], v[74:75]
	s_wait_loadcnt 0x0
	s_delay_alu instid0(VALU_DEP_2) | instskip(NEXT) | instid1(VALU_DEP_2)
	v_add_f64_e64 v[2:3], v[70:71], -v[2:3]
	v_add_f64_e64 v[4:5], v[72:73], -v[4:5]
	scratch_store_b128 off, v[2:5], off offset:272
	s_wait_xcnt 0x0
	v_cmpx_lt_u32_e32 16, v1
	s_cbranch_execz .LBB21_113
; %bb.112:
	scratch_load_b128 v[2:5], off, s22
	v_mov_b32_e32 v8, 0
	s_delay_alu instid0(VALU_DEP_1)
	v_dual_mov_b32 v9, v8 :: v_dual_mov_b32 v10, v8
	v_mov_b32_e32 v11, v8
	scratch_store_b128 off, v[8:11], off offset:256
	s_wait_loadcnt 0x0
	ds_store_b128 v6, v[2:5]
.LBB21_113:
	s_wait_xcnt 0x0
	s_or_b32 exec_lo, exec_lo, s2
	s_wait_storecnt_dscnt 0x0
	s_barrier_signal -1
	s_barrier_wait -1
	s_clause 0x5
	scratch_load_b128 v[8:11], off, off offset:272
	scratch_load_b128 v[58:61], off, off offset:288
	;; [unrolled: 1-line block ×6, first 2 shown]
	v_mov_b32_e32 v2, 0
	ds_load_b128 v[78:81], v2 offset:624
	ds_load_b128 v[82:85], v2 offset:640
	s_mov_b32 s2, exec_lo
	s_wait_loadcnt_dscnt 0x501
	v_mul_f64_e32 v[4:5], v[80:81], v[10:11]
	v_mul_f64_e32 v[12:13], v[78:79], v[10:11]
	s_wait_loadcnt_dscnt 0x400
	v_mul_f64_e32 v[86:87], v[82:83], v[60:61]
	v_mul_f64_e32 v[60:61], v[84:85], v[60:61]
	s_delay_alu instid0(VALU_DEP_4) | instskip(NEXT) | instid1(VALU_DEP_4)
	v_fma_f64 v[4:5], v[78:79], v[8:9], -v[4:5]
	v_fmac_f64_e32 v[12:13], v[80:81], v[8:9]
	ds_load_b128 v[8:11], v2 offset:656
	ds_load_b128 v[78:81], v2 offset:672
	v_fmac_f64_e32 v[86:87], v[84:85], v[58:59]
	v_fma_f64 v[58:59], v[82:83], v[58:59], -v[60:61]
	s_wait_loadcnt_dscnt 0x301
	v_mul_f64_e32 v[88:89], v[8:9], v[64:65]
	v_mul_f64_e32 v[64:65], v[10:11], v[64:65]
	s_wait_loadcnt_dscnt 0x200
	v_mul_f64_e32 v[60:61], v[78:79], v[68:69]
	v_mul_f64_e32 v[68:69], v[80:81], v[68:69]
	v_add_f64_e32 v[4:5], 0, v[4:5]
	v_add_f64_e32 v[12:13], 0, v[12:13]
	v_fmac_f64_e32 v[88:89], v[10:11], v[62:63]
	v_fma_f64 v[62:63], v[8:9], v[62:63], -v[64:65]
	ds_load_b128 v[8:11], v2 offset:688
	v_fmac_f64_e32 v[60:61], v[80:81], v[66:67]
	v_fma_f64 v[66:67], v[78:79], v[66:67], -v[68:69]
	v_add_f64_e32 v[4:5], v[4:5], v[58:59]
	v_add_f64_e32 v[12:13], v[12:13], v[86:87]
	s_wait_loadcnt_dscnt 0x100
	v_mul_f64_e32 v[58:59], v[8:9], v[72:73]
	v_mul_f64_e32 v[64:65], v[10:11], v[72:73]
	s_delay_alu instid0(VALU_DEP_4) | instskip(NEXT) | instid1(VALU_DEP_4)
	v_add_f64_e32 v[4:5], v[4:5], v[62:63]
	v_add_f64_e32 v[12:13], v[12:13], v[88:89]
	s_delay_alu instid0(VALU_DEP_4) | instskip(NEXT) | instid1(VALU_DEP_4)
	v_fmac_f64_e32 v[58:59], v[10:11], v[70:71]
	v_fma_f64 v[8:9], v[8:9], v[70:71], -v[64:65]
	s_delay_alu instid0(VALU_DEP_4) | instskip(NEXT) | instid1(VALU_DEP_4)
	v_add_f64_e32 v[4:5], v[4:5], v[66:67]
	v_add_f64_e32 v[10:11], v[12:13], v[60:61]
	s_delay_alu instid0(VALU_DEP_2) | instskip(NEXT) | instid1(VALU_DEP_2)
	v_add_f64_e32 v[4:5], v[4:5], v[8:9]
	v_add_f64_e32 v[10:11], v[10:11], v[58:59]
	s_wait_loadcnt 0x0
	s_delay_alu instid0(VALU_DEP_2) | instskip(NEXT) | instid1(VALU_DEP_2)
	v_add_f64_e64 v[8:9], v[74:75], -v[4:5]
	v_add_f64_e64 v[10:11], v[76:77], -v[10:11]
	scratch_store_b128 off, v[8:11], off offset:256
	s_wait_xcnt 0x0
	v_cmpx_lt_u32_e32 15, v1
	s_cbranch_execz .LBB21_115
; %bb.114:
	scratch_load_b128 v[8:11], off, s29
	v_dual_mov_b32 v3, v2 :: v_dual_mov_b32 v4, v2
	v_mov_b32_e32 v5, v2
	scratch_store_b128 off, v[2:5], off offset:240
	s_wait_loadcnt 0x0
	ds_store_b128 v6, v[8:11]
.LBB21_115:
	s_wait_xcnt 0x0
	s_or_b32 exec_lo, exec_lo, s2
	s_wait_storecnt_dscnt 0x0
	s_barrier_signal -1
	s_barrier_wait -1
	s_clause 0x6
	scratch_load_b128 v[8:11], off, off offset:256
	scratch_load_b128 v[58:61], off, off offset:272
	;; [unrolled: 1-line block ×7, first 2 shown]
	ds_load_b128 v[82:85], v2 offset:608
	ds_load_b128 v[86:89], v2 offset:624
	s_mov_b32 s2, exec_lo
	s_wait_loadcnt_dscnt 0x601
	v_mul_f64_e32 v[4:5], v[84:85], v[10:11]
	v_mul_f64_e32 v[12:13], v[82:83], v[10:11]
	s_wait_loadcnt_dscnt 0x500
	v_mul_f64_e32 v[90:91], v[86:87], v[60:61]
	v_mul_f64_e32 v[60:61], v[88:89], v[60:61]
	s_delay_alu instid0(VALU_DEP_4) | instskip(NEXT) | instid1(VALU_DEP_4)
	v_fma_f64 v[4:5], v[82:83], v[8:9], -v[4:5]
	v_fmac_f64_e32 v[12:13], v[84:85], v[8:9]
	ds_load_b128 v[8:11], v2 offset:640
	ds_load_b128 v[82:85], v2 offset:656
	v_fmac_f64_e32 v[90:91], v[88:89], v[58:59]
	v_fma_f64 v[58:59], v[86:87], v[58:59], -v[60:61]
	s_wait_loadcnt_dscnt 0x401
	v_mul_f64_e32 v[92:93], v[8:9], v[64:65]
	v_mul_f64_e32 v[64:65], v[10:11], v[64:65]
	s_wait_loadcnt_dscnt 0x300
	v_mul_f64_e32 v[60:61], v[82:83], v[68:69]
	v_mul_f64_e32 v[68:69], v[84:85], v[68:69]
	v_add_f64_e32 v[4:5], 0, v[4:5]
	v_add_f64_e32 v[12:13], 0, v[12:13]
	v_fmac_f64_e32 v[92:93], v[10:11], v[62:63]
	v_fma_f64 v[62:63], v[8:9], v[62:63], -v[64:65]
	v_fmac_f64_e32 v[60:61], v[84:85], v[66:67]
	v_fma_f64 v[66:67], v[82:83], v[66:67], -v[68:69]
	v_add_f64_e32 v[58:59], v[4:5], v[58:59]
	v_add_f64_e32 v[12:13], v[12:13], v[90:91]
	ds_load_b128 v[8:11], v2 offset:672
	ds_load_b128 v[2:5], v2 offset:688
	s_wait_loadcnt_dscnt 0x201
	v_mul_f64_e32 v[64:65], v[8:9], v[72:73]
	v_mul_f64_e32 v[72:73], v[10:11], v[72:73]
	s_wait_loadcnt_dscnt 0x100
	v_mul_f64_e32 v[68:69], v[4:5], v[76:77]
	v_add_f64_e32 v[58:59], v[58:59], v[62:63]
	v_add_f64_e32 v[12:13], v[12:13], v[92:93]
	v_mul_f64_e32 v[62:63], v[2:3], v[76:77]
	v_fmac_f64_e32 v[64:65], v[10:11], v[70:71]
	v_fma_f64 v[8:9], v[8:9], v[70:71], -v[72:73]
	v_fma_f64 v[2:3], v[2:3], v[74:75], -v[68:69]
	v_add_f64_e32 v[10:11], v[58:59], v[66:67]
	v_add_f64_e32 v[12:13], v[12:13], v[60:61]
	v_fmac_f64_e32 v[62:63], v[4:5], v[74:75]
	s_delay_alu instid0(VALU_DEP_3) | instskip(NEXT) | instid1(VALU_DEP_3)
	v_add_f64_e32 v[4:5], v[10:11], v[8:9]
	v_add_f64_e32 v[8:9], v[12:13], v[64:65]
	s_delay_alu instid0(VALU_DEP_2) | instskip(NEXT) | instid1(VALU_DEP_2)
	v_add_f64_e32 v[2:3], v[4:5], v[2:3]
	v_add_f64_e32 v[4:5], v[8:9], v[62:63]
	s_wait_loadcnt 0x0
	s_delay_alu instid0(VALU_DEP_2) | instskip(NEXT) | instid1(VALU_DEP_2)
	v_add_f64_e64 v[2:3], v[78:79], -v[2:3]
	v_add_f64_e64 v[4:5], v[80:81], -v[4:5]
	scratch_store_b128 off, v[2:5], off offset:240
	s_wait_xcnt 0x0
	v_cmpx_lt_u32_e32 14, v1
	s_cbranch_execz .LBB21_117
; %bb.116:
	scratch_load_b128 v[2:5], off, s33
	v_mov_b32_e32 v8, 0
	s_delay_alu instid0(VALU_DEP_1)
	v_dual_mov_b32 v9, v8 :: v_dual_mov_b32 v10, v8
	v_mov_b32_e32 v11, v8
	scratch_store_b128 off, v[8:11], off offset:224
	s_wait_loadcnt 0x0
	ds_store_b128 v6, v[2:5]
.LBB21_117:
	s_wait_xcnt 0x0
	s_or_b32 exec_lo, exec_lo, s2
	s_wait_storecnt_dscnt 0x0
	s_barrier_signal -1
	s_barrier_wait -1
	s_clause 0x7
	scratch_load_b128 v[8:11], off, off offset:240
	scratch_load_b128 v[58:61], off, off offset:256
	;; [unrolled: 1-line block ×8, first 2 shown]
	v_mov_b32_e32 v2, 0
	ds_load_b128 v[86:89], v2 offset:592
	ds_load_b128 v[90:93], v2 offset:608
	s_mov_b32 s2, exec_lo
	s_wait_loadcnt_dscnt 0x701
	v_mul_f64_e32 v[4:5], v[88:89], v[10:11]
	v_mul_f64_e32 v[12:13], v[86:87], v[10:11]
	s_wait_loadcnt_dscnt 0x600
	v_mul_f64_e32 v[94:95], v[90:91], v[60:61]
	v_mul_f64_e32 v[60:61], v[92:93], v[60:61]
	s_delay_alu instid0(VALU_DEP_4) | instskip(NEXT) | instid1(VALU_DEP_4)
	v_fma_f64 v[4:5], v[86:87], v[8:9], -v[4:5]
	v_fmac_f64_e32 v[12:13], v[88:89], v[8:9]
	ds_load_b128 v[8:11], v2 offset:624
	ds_load_b128 v[86:89], v2 offset:640
	v_fmac_f64_e32 v[94:95], v[92:93], v[58:59]
	v_fma_f64 v[58:59], v[90:91], v[58:59], -v[60:61]
	s_wait_loadcnt_dscnt 0x501
	v_mul_f64_e32 v[96:97], v[8:9], v[64:65]
	v_mul_f64_e32 v[64:65], v[10:11], v[64:65]
	s_wait_loadcnt_dscnt 0x400
	v_mul_f64_e32 v[90:91], v[86:87], v[68:69]
	v_mul_f64_e32 v[68:69], v[88:89], v[68:69]
	v_add_f64_e32 v[4:5], 0, v[4:5]
	v_add_f64_e32 v[12:13], 0, v[12:13]
	v_fmac_f64_e32 v[96:97], v[10:11], v[62:63]
	v_fma_f64 v[62:63], v[8:9], v[62:63], -v[64:65]
	v_fmac_f64_e32 v[90:91], v[88:89], v[66:67]
	v_fma_f64 v[66:67], v[86:87], v[66:67], -v[68:69]
	v_add_f64_e32 v[4:5], v[4:5], v[58:59]
	v_add_f64_e32 v[12:13], v[12:13], v[94:95]
	ds_load_b128 v[8:11], v2 offset:656
	ds_load_b128 v[58:61], v2 offset:672
	s_wait_loadcnt_dscnt 0x301
	v_mul_f64_e32 v[64:65], v[8:9], v[72:73]
	v_mul_f64_e32 v[72:73], v[10:11], v[72:73]
	s_wait_loadcnt_dscnt 0x200
	v_mul_f64_e32 v[68:69], v[60:61], v[76:77]
	v_add_f64_e32 v[4:5], v[4:5], v[62:63]
	v_add_f64_e32 v[12:13], v[12:13], v[96:97]
	v_mul_f64_e32 v[62:63], v[58:59], v[76:77]
	v_fmac_f64_e32 v[64:65], v[10:11], v[70:71]
	v_fma_f64 v[70:71], v[8:9], v[70:71], -v[72:73]
	ds_load_b128 v[8:11], v2 offset:688
	v_fma_f64 v[58:59], v[58:59], v[74:75], -v[68:69]
	v_add_f64_e32 v[4:5], v[4:5], v[66:67]
	v_add_f64_e32 v[12:13], v[12:13], v[90:91]
	v_fmac_f64_e32 v[62:63], v[60:61], v[74:75]
	s_wait_loadcnt_dscnt 0x100
	v_mul_f64_e32 v[66:67], v[8:9], v[80:81]
	v_mul_f64_e32 v[72:73], v[10:11], v[80:81]
	v_add_f64_e32 v[4:5], v[4:5], v[70:71]
	v_add_f64_e32 v[12:13], v[12:13], v[64:65]
	s_delay_alu instid0(VALU_DEP_4) | instskip(NEXT) | instid1(VALU_DEP_4)
	v_fmac_f64_e32 v[66:67], v[10:11], v[78:79]
	v_fma_f64 v[8:9], v[8:9], v[78:79], -v[72:73]
	s_delay_alu instid0(VALU_DEP_4) | instskip(NEXT) | instid1(VALU_DEP_4)
	v_add_f64_e32 v[4:5], v[4:5], v[58:59]
	v_add_f64_e32 v[10:11], v[12:13], v[62:63]
	s_delay_alu instid0(VALU_DEP_2) | instskip(NEXT) | instid1(VALU_DEP_2)
	v_add_f64_e32 v[4:5], v[4:5], v[8:9]
	v_add_f64_e32 v[10:11], v[10:11], v[66:67]
	s_wait_loadcnt 0x0
	s_delay_alu instid0(VALU_DEP_2) | instskip(NEXT) | instid1(VALU_DEP_2)
	v_add_f64_e64 v[8:9], v[82:83], -v[4:5]
	v_add_f64_e64 v[10:11], v[84:85], -v[10:11]
	scratch_store_b128 off, v[8:11], off offset:224
	s_wait_xcnt 0x0
	v_cmpx_lt_u32_e32 13, v1
	s_cbranch_execz .LBB21_119
; %bb.118:
	scratch_load_b128 v[8:11], off, s31
	v_dual_mov_b32 v3, v2 :: v_dual_mov_b32 v4, v2
	v_mov_b32_e32 v5, v2
	scratch_store_b128 off, v[2:5], off offset:208
	s_wait_loadcnt 0x0
	ds_store_b128 v6, v[8:11]
.LBB21_119:
	s_wait_xcnt 0x0
	s_or_b32 exec_lo, exec_lo, s2
	s_wait_storecnt_dscnt 0x0
	s_barrier_signal -1
	s_barrier_wait -1
	s_clause 0x7
	scratch_load_b128 v[8:11], off, off offset:224
	scratch_load_b128 v[58:61], off, off offset:240
	scratch_load_b128 v[62:65], off, off offset:256
	scratch_load_b128 v[66:69], off, off offset:272
	scratch_load_b128 v[70:73], off, off offset:288
	scratch_load_b128 v[74:77], off, off offset:304
	scratch_load_b128 v[78:81], off, off offset:320
	scratch_load_b128 v[82:85], off, off offset:336
	ds_load_b128 v[86:89], v2 offset:576
	ds_load_b128 v[90:93], v2 offset:592
	scratch_load_b128 v[94:97], off, off offset:208
	s_mov_b32 s2, exec_lo
	s_wait_loadcnt_dscnt 0x801
	v_mul_f64_e32 v[4:5], v[88:89], v[10:11]
	v_mul_f64_e32 v[12:13], v[86:87], v[10:11]
	s_wait_loadcnt_dscnt 0x700
	v_mul_f64_e32 v[98:99], v[90:91], v[60:61]
	v_mul_f64_e32 v[60:61], v[92:93], v[60:61]
	s_delay_alu instid0(VALU_DEP_4) | instskip(NEXT) | instid1(VALU_DEP_4)
	v_fma_f64 v[4:5], v[86:87], v[8:9], -v[4:5]
	v_fmac_f64_e32 v[12:13], v[88:89], v[8:9]
	ds_load_b128 v[8:11], v2 offset:608
	ds_load_b128 v[86:89], v2 offset:624
	v_fmac_f64_e32 v[98:99], v[92:93], v[58:59]
	v_fma_f64 v[58:59], v[90:91], v[58:59], -v[60:61]
	s_wait_loadcnt_dscnt 0x601
	v_mul_f64_e32 v[100:101], v[8:9], v[64:65]
	v_mul_f64_e32 v[64:65], v[10:11], v[64:65]
	s_wait_loadcnt_dscnt 0x500
	v_mul_f64_e32 v[90:91], v[86:87], v[68:69]
	v_mul_f64_e32 v[68:69], v[88:89], v[68:69]
	v_add_f64_e32 v[4:5], 0, v[4:5]
	v_add_f64_e32 v[12:13], 0, v[12:13]
	v_fmac_f64_e32 v[100:101], v[10:11], v[62:63]
	v_fma_f64 v[62:63], v[8:9], v[62:63], -v[64:65]
	v_fmac_f64_e32 v[90:91], v[88:89], v[66:67]
	v_fma_f64 v[66:67], v[86:87], v[66:67], -v[68:69]
	v_add_f64_e32 v[4:5], v[4:5], v[58:59]
	v_add_f64_e32 v[12:13], v[12:13], v[98:99]
	ds_load_b128 v[8:11], v2 offset:640
	ds_load_b128 v[58:61], v2 offset:656
	s_wait_loadcnt_dscnt 0x401
	v_mul_f64_e32 v[64:65], v[8:9], v[72:73]
	v_mul_f64_e32 v[72:73], v[10:11], v[72:73]
	s_wait_loadcnt_dscnt 0x300
	v_mul_f64_e32 v[68:69], v[60:61], v[76:77]
	v_add_f64_e32 v[4:5], v[4:5], v[62:63]
	v_add_f64_e32 v[12:13], v[12:13], v[100:101]
	v_mul_f64_e32 v[62:63], v[58:59], v[76:77]
	v_fmac_f64_e32 v[64:65], v[10:11], v[70:71]
	v_fma_f64 v[70:71], v[8:9], v[70:71], -v[72:73]
	v_fma_f64 v[58:59], v[58:59], v[74:75], -v[68:69]
	v_add_f64_e32 v[66:67], v[4:5], v[66:67]
	v_add_f64_e32 v[12:13], v[12:13], v[90:91]
	ds_load_b128 v[8:11], v2 offset:672
	ds_load_b128 v[2:5], v2 offset:688
	v_fmac_f64_e32 v[62:63], v[60:61], v[74:75]
	s_wait_loadcnt_dscnt 0x201
	v_mul_f64_e32 v[72:73], v[8:9], v[80:81]
	v_mul_f64_e32 v[76:77], v[10:11], v[80:81]
	v_add_f64_e32 v[60:61], v[66:67], v[70:71]
	v_add_f64_e32 v[12:13], v[12:13], v[64:65]
	s_wait_loadcnt_dscnt 0x100
	v_mul_f64_e32 v[64:65], v[2:3], v[84:85]
	v_mul_f64_e32 v[66:67], v[4:5], v[84:85]
	v_fmac_f64_e32 v[72:73], v[10:11], v[78:79]
	v_fma_f64 v[8:9], v[8:9], v[78:79], -v[76:77]
	v_add_f64_e32 v[10:11], v[60:61], v[58:59]
	v_add_f64_e32 v[12:13], v[12:13], v[62:63]
	v_fmac_f64_e32 v[64:65], v[4:5], v[82:83]
	v_fma_f64 v[2:3], v[2:3], v[82:83], -v[66:67]
	s_delay_alu instid0(VALU_DEP_4) | instskip(NEXT) | instid1(VALU_DEP_4)
	v_add_f64_e32 v[4:5], v[10:11], v[8:9]
	v_add_f64_e32 v[8:9], v[12:13], v[72:73]
	s_delay_alu instid0(VALU_DEP_2) | instskip(NEXT) | instid1(VALU_DEP_2)
	v_add_f64_e32 v[2:3], v[4:5], v[2:3]
	v_add_f64_e32 v[4:5], v[8:9], v[64:65]
	s_wait_loadcnt 0x0
	s_delay_alu instid0(VALU_DEP_2) | instskip(NEXT) | instid1(VALU_DEP_2)
	v_add_f64_e64 v[2:3], v[94:95], -v[2:3]
	v_add_f64_e64 v[4:5], v[96:97], -v[4:5]
	scratch_store_b128 off, v[2:5], off offset:208
	s_wait_xcnt 0x0
	v_cmpx_lt_u32_e32 12, v1
	s_cbranch_execz .LBB21_121
; %bb.120:
	scratch_load_b128 v[2:5], off, s30
	v_mov_b32_e32 v8, 0
	s_delay_alu instid0(VALU_DEP_1)
	v_dual_mov_b32 v9, v8 :: v_dual_mov_b32 v10, v8
	v_mov_b32_e32 v11, v8
	scratch_store_b128 off, v[8:11], off offset:192
	s_wait_loadcnt 0x0
	ds_store_b128 v6, v[2:5]
.LBB21_121:
	s_wait_xcnt 0x0
	s_or_b32 exec_lo, exec_lo, s2
	s_wait_storecnt_dscnt 0x0
	s_barrier_signal -1
	s_barrier_wait -1
	s_clause 0x8
	scratch_load_b128 v[8:11], off, off offset:208
	scratch_load_b128 v[58:61], off, off offset:224
	;; [unrolled: 1-line block ×9, first 2 shown]
	v_mov_b32_e32 v2, 0
	scratch_load_b128 v[94:97], off, off offset:192
	s_mov_b32 s2, exec_lo
	ds_load_b128 v[90:93], v2 offset:560
	ds_load_b128 v[98:101], v2 offset:576
	s_wait_loadcnt_dscnt 0x901
	v_mul_f64_e32 v[4:5], v[92:93], v[10:11]
	v_mul_f64_e32 v[12:13], v[90:91], v[10:11]
	s_wait_loadcnt_dscnt 0x800
	v_mul_f64_e32 v[102:103], v[98:99], v[60:61]
	v_mul_f64_e32 v[60:61], v[100:101], v[60:61]
	s_delay_alu instid0(VALU_DEP_4) | instskip(NEXT) | instid1(VALU_DEP_4)
	v_fma_f64 v[4:5], v[90:91], v[8:9], -v[4:5]
	v_fmac_f64_e32 v[12:13], v[92:93], v[8:9]
	ds_load_b128 v[8:11], v2 offset:592
	ds_load_b128 v[90:93], v2 offset:608
	v_fmac_f64_e32 v[102:103], v[100:101], v[58:59]
	v_fma_f64 v[58:59], v[98:99], v[58:59], -v[60:61]
	s_wait_loadcnt_dscnt 0x701
	v_mul_f64_e32 v[104:105], v[8:9], v[64:65]
	v_mul_f64_e32 v[64:65], v[10:11], v[64:65]
	s_wait_loadcnt_dscnt 0x600
	v_mul_f64_e32 v[98:99], v[90:91], v[68:69]
	v_mul_f64_e32 v[68:69], v[92:93], v[68:69]
	v_add_f64_e32 v[4:5], 0, v[4:5]
	v_add_f64_e32 v[12:13], 0, v[12:13]
	v_fmac_f64_e32 v[104:105], v[10:11], v[62:63]
	v_fma_f64 v[62:63], v[8:9], v[62:63], -v[64:65]
	v_fmac_f64_e32 v[98:99], v[92:93], v[66:67]
	v_fma_f64 v[66:67], v[90:91], v[66:67], -v[68:69]
	v_add_f64_e32 v[4:5], v[4:5], v[58:59]
	v_add_f64_e32 v[12:13], v[12:13], v[102:103]
	ds_load_b128 v[8:11], v2 offset:624
	ds_load_b128 v[58:61], v2 offset:640
	s_wait_loadcnt_dscnt 0x501
	v_mul_f64_e32 v[100:101], v[8:9], v[72:73]
	v_mul_f64_e32 v[64:65], v[10:11], v[72:73]
	s_wait_loadcnt_dscnt 0x400
	v_mul_f64_e32 v[68:69], v[58:59], v[76:77]
	v_mul_f64_e32 v[72:73], v[60:61], v[76:77]
	v_add_f64_e32 v[4:5], v[4:5], v[62:63]
	v_add_f64_e32 v[12:13], v[12:13], v[104:105]
	v_fmac_f64_e32 v[100:101], v[10:11], v[70:71]
	v_fma_f64 v[70:71], v[8:9], v[70:71], -v[64:65]
	ds_load_b128 v[8:11], v2 offset:656
	ds_load_b128 v[62:65], v2 offset:672
	v_fmac_f64_e32 v[68:69], v[60:61], v[74:75]
	v_fma_f64 v[58:59], v[58:59], v[74:75], -v[72:73]
	v_add_f64_e32 v[4:5], v[4:5], v[66:67]
	v_add_f64_e32 v[12:13], v[12:13], v[98:99]
	s_wait_loadcnt_dscnt 0x301
	v_mul_f64_e32 v[66:67], v[8:9], v[80:81]
	v_mul_f64_e32 v[76:77], v[10:11], v[80:81]
	s_wait_loadcnt_dscnt 0x200
	v_mul_f64_e32 v[60:61], v[62:63], v[84:85]
	v_add_f64_e32 v[4:5], v[4:5], v[70:71]
	v_add_f64_e32 v[12:13], v[12:13], v[100:101]
	v_mul_f64_e32 v[70:71], v[64:65], v[84:85]
	v_fmac_f64_e32 v[66:67], v[10:11], v[78:79]
	v_fma_f64 v[72:73], v[8:9], v[78:79], -v[76:77]
	ds_load_b128 v[8:11], v2 offset:688
	v_fmac_f64_e32 v[60:61], v[64:65], v[82:83]
	v_add_f64_e32 v[4:5], v[4:5], v[58:59]
	v_add_f64_e32 v[12:13], v[12:13], v[68:69]
	s_wait_loadcnt_dscnt 0x100
	v_mul_f64_e32 v[58:59], v[8:9], v[88:89]
	v_mul_f64_e32 v[68:69], v[10:11], v[88:89]
	v_fma_f64 v[62:63], v[62:63], v[82:83], -v[70:71]
	v_add_f64_e32 v[4:5], v[4:5], v[72:73]
	v_add_f64_e32 v[12:13], v[12:13], v[66:67]
	v_fmac_f64_e32 v[58:59], v[10:11], v[86:87]
	v_fma_f64 v[8:9], v[8:9], v[86:87], -v[68:69]
	s_delay_alu instid0(VALU_DEP_4) | instskip(NEXT) | instid1(VALU_DEP_4)
	v_add_f64_e32 v[4:5], v[4:5], v[62:63]
	v_add_f64_e32 v[10:11], v[12:13], v[60:61]
	s_delay_alu instid0(VALU_DEP_2) | instskip(NEXT) | instid1(VALU_DEP_2)
	v_add_f64_e32 v[4:5], v[4:5], v[8:9]
	v_add_f64_e32 v[10:11], v[10:11], v[58:59]
	s_wait_loadcnt 0x0
	s_delay_alu instid0(VALU_DEP_2) | instskip(NEXT) | instid1(VALU_DEP_2)
	v_add_f64_e64 v[8:9], v[94:95], -v[4:5]
	v_add_f64_e64 v[10:11], v[96:97], -v[10:11]
	scratch_store_b128 off, v[8:11], off offset:192
	s_wait_xcnt 0x0
	v_cmpx_lt_u32_e32 11, v1
	s_cbranch_execz .LBB21_123
; %bb.122:
	scratch_load_b128 v[8:11], off, s23
	v_dual_mov_b32 v3, v2 :: v_dual_mov_b32 v4, v2
	v_mov_b32_e32 v5, v2
	scratch_store_b128 off, v[2:5], off offset:176
	s_wait_loadcnt 0x0
	ds_store_b128 v6, v[8:11]
.LBB21_123:
	s_wait_xcnt 0x0
	s_or_b32 exec_lo, exec_lo, s2
	s_wait_storecnt_dscnt 0x0
	s_barrier_signal -1
	s_barrier_wait -1
	s_clause 0x9
	scratch_load_b128 v[8:11], off, off offset:192
	scratch_load_b128 v[58:61], off, off offset:208
	;; [unrolled: 1-line block ×10, first 2 shown]
	ds_load_b128 v[94:97], v2 offset:544
	ds_load_b128 v[98:101], v2 offset:560
	scratch_load_b128 v[102:105], off, off offset:176
	s_mov_b32 s2, exec_lo
	s_wait_loadcnt_dscnt 0xa01
	v_mul_f64_e32 v[4:5], v[96:97], v[10:11]
	v_mul_f64_e32 v[12:13], v[94:95], v[10:11]
	s_wait_loadcnt_dscnt 0x900
	v_mul_f64_e32 v[106:107], v[98:99], v[60:61]
	v_mul_f64_e32 v[60:61], v[100:101], v[60:61]
	s_delay_alu instid0(VALU_DEP_4) | instskip(NEXT) | instid1(VALU_DEP_4)
	v_fma_f64 v[4:5], v[94:95], v[8:9], -v[4:5]
	v_fmac_f64_e32 v[12:13], v[96:97], v[8:9]
	ds_load_b128 v[8:11], v2 offset:576
	ds_load_b128 v[94:97], v2 offset:592
	v_fmac_f64_e32 v[106:107], v[100:101], v[58:59]
	v_fma_f64 v[58:59], v[98:99], v[58:59], -v[60:61]
	s_wait_loadcnt_dscnt 0x801
	v_mul_f64_e32 v[108:109], v[8:9], v[64:65]
	v_mul_f64_e32 v[64:65], v[10:11], v[64:65]
	s_wait_loadcnt_dscnt 0x700
	v_mul_f64_e32 v[98:99], v[94:95], v[68:69]
	v_mul_f64_e32 v[68:69], v[96:97], v[68:69]
	v_add_f64_e32 v[4:5], 0, v[4:5]
	v_add_f64_e32 v[12:13], 0, v[12:13]
	v_fmac_f64_e32 v[108:109], v[10:11], v[62:63]
	v_fma_f64 v[62:63], v[8:9], v[62:63], -v[64:65]
	v_fmac_f64_e32 v[98:99], v[96:97], v[66:67]
	v_fma_f64 v[66:67], v[94:95], v[66:67], -v[68:69]
	v_add_f64_e32 v[4:5], v[4:5], v[58:59]
	v_add_f64_e32 v[12:13], v[12:13], v[106:107]
	ds_load_b128 v[8:11], v2 offset:608
	ds_load_b128 v[58:61], v2 offset:624
	s_wait_loadcnt_dscnt 0x601
	v_mul_f64_e32 v[100:101], v[8:9], v[72:73]
	v_mul_f64_e32 v[64:65], v[10:11], v[72:73]
	s_wait_loadcnt_dscnt 0x500
	v_mul_f64_e32 v[68:69], v[58:59], v[76:77]
	v_mul_f64_e32 v[72:73], v[60:61], v[76:77]
	v_add_f64_e32 v[4:5], v[4:5], v[62:63]
	v_add_f64_e32 v[12:13], v[12:13], v[108:109]
	v_fmac_f64_e32 v[100:101], v[10:11], v[70:71]
	v_fma_f64 v[70:71], v[8:9], v[70:71], -v[64:65]
	ds_load_b128 v[8:11], v2 offset:640
	ds_load_b128 v[62:65], v2 offset:656
	v_fmac_f64_e32 v[68:69], v[60:61], v[74:75]
	v_fma_f64 v[58:59], v[58:59], v[74:75], -v[72:73]
	v_add_f64_e32 v[4:5], v[4:5], v[66:67]
	v_add_f64_e32 v[12:13], v[12:13], v[98:99]
	s_wait_loadcnt_dscnt 0x401
	v_mul_f64_e32 v[66:67], v[8:9], v[80:81]
	v_mul_f64_e32 v[76:77], v[10:11], v[80:81]
	s_wait_loadcnt_dscnt 0x300
	v_mul_f64_e32 v[60:61], v[62:63], v[84:85]
	v_add_f64_e32 v[4:5], v[4:5], v[70:71]
	v_add_f64_e32 v[12:13], v[12:13], v[100:101]
	v_mul_f64_e32 v[70:71], v[64:65], v[84:85]
	v_fmac_f64_e32 v[66:67], v[10:11], v[78:79]
	v_fma_f64 v[72:73], v[8:9], v[78:79], -v[76:77]
	v_fmac_f64_e32 v[60:61], v[64:65], v[82:83]
	v_add_f64_e32 v[58:59], v[4:5], v[58:59]
	v_add_f64_e32 v[12:13], v[12:13], v[68:69]
	ds_load_b128 v[8:11], v2 offset:672
	ds_load_b128 v[2:5], v2 offset:688
	v_fma_f64 v[62:63], v[62:63], v[82:83], -v[70:71]
	s_wait_loadcnt_dscnt 0x201
	v_mul_f64_e32 v[68:69], v[8:9], v[88:89]
	v_mul_f64_e32 v[74:75], v[10:11], v[88:89]
	s_wait_loadcnt_dscnt 0x100
	v_mul_f64_e32 v[64:65], v[2:3], v[92:93]
	v_add_f64_e32 v[58:59], v[58:59], v[72:73]
	v_add_f64_e32 v[12:13], v[12:13], v[66:67]
	v_mul_f64_e32 v[66:67], v[4:5], v[92:93]
	v_fmac_f64_e32 v[68:69], v[10:11], v[86:87]
	v_fma_f64 v[8:9], v[8:9], v[86:87], -v[74:75]
	v_fmac_f64_e32 v[64:65], v[4:5], v[90:91]
	v_add_f64_e32 v[10:11], v[58:59], v[62:63]
	v_add_f64_e32 v[12:13], v[12:13], v[60:61]
	v_fma_f64 v[2:3], v[2:3], v[90:91], -v[66:67]
	s_delay_alu instid0(VALU_DEP_3) | instskip(NEXT) | instid1(VALU_DEP_3)
	v_add_f64_e32 v[4:5], v[10:11], v[8:9]
	v_add_f64_e32 v[8:9], v[12:13], v[68:69]
	s_delay_alu instid0(VALU_DEP_2) | instskip(NEXT) | instid1(VALU_DEP_2)
	v_add_f64_e32 v[2:3], v[4:5], v[2:3]
	v_add_f64_e32 v[4:5], v[8:9], v[64:65]
	s_wait_loadcnt 0x0
	s_delay_alu instid0(VALU_DEP_2) | instskip(NEXT) | instid1(VALU_DEP_2)
	v_add_f64_e64 v[2:3], v[102:103], -v[2:3]
	v_add_f64_e64 v[4:5], v[104:105], -v[4:5]
	scratch_store_b128 off, v[2:5], off offset:176
	s_wait_xcnt 0x0
	v_cmpx_lt_u32_e32 10, v1
	s_cbranch_execz .LBB21_125
; %bb.124:
	scratch_load_b128 v[2:5], off, s15
	v_mov_b32_e32 v8, 0
	s_delay_alu instid0(VALU_DEP_1)
	v_dual_mov_b32 v9, v8 :: v_dual_mov_b32 v10, v8
	v_mov_b32_e32 v11, v8
	scratch_store_b128 off, v[8:11], off offset:160
	s_wait_loadcnt 0x0
	ds_store_b128 v6, v[2:5]
.LBB21_125:
	s_wait_xcnt 0x0
	s_or_b32 exec_lo, exec_lo, s2
	s_wait_storecnt_dscnt 0x0
	s_barrier_signal -1
	s_barrier_wait -1
	s_clause 0x9
	scratch_load_b128 v[8:11], off, off offset:176
	scratch_load_b128 v[58:61], off, off offset:192
	;; [unrolled: 1-line block ×10, first 2 shown]
	v_mov_b32_e32 v2, 0
	s_mov_b32 s2, exec_lo
	ds_load_b128 v[94:97], v2 offset:528
	s_clause 0x1
	scratch_load_b128 v[98:101], off, off offset:336
	scratch_load_b128 v[102:105], off, off offset:160
	s_wait_loadcnt_dscnt 0xb00
	v_mul_f64_e32 v[4:5], v[96:97], v[10:11]
	v_mul_f64_e32 v[12:13], v[94:95], v[10:11]
	ds_load_b128 v[106:109], v2 offset:544
	s_wait_loadcnt_dscnt 0xa00
	v_mul_f64_e32 v[110:111], v[106:107], v[60:61]
	v_mul_f64_e32 v[60:61], v[108:109], v[60:61]
	v_fma_f64 v[4:5], v[94:95], v[8:9], -v[4:5]
	v_fmac_f64_e32 v[12:13], v[96:97], v[8:9]
	ds_load_b128 v[8:11], v2 offset:560
	ds_load_b128 v[94:97], v2 offset:576
	s_wait_loadcnt_dscnt 0x901
	v_mul_f64_e32 v[112:113], v[8:9], v[64:65]
	v_mul_f64_e32 v[64:65], v[10:11], v[64:65]
	v_fmac_f64_e32 v[110:111], v[108:109], v[58:59]
	v_fma_f64 v[58:59], v[106:107], v[58:59], -v[60:61]
	s_wait_loadcnt_dscnt 0x800
	v_mul_f64_e32 v[106:107], v[94:95], v[68:69]
	v_mul_f64_e32 v[68:69], v[96:97], v[68:69]
	v_add_f64_e32 v[4:5], 0, v[4:5]
	v_add_f64_e32 v[12:13], 0, v[12:13]
	v_fmac_f64_e32 v[112:113], v[10:11], v[62:63]
	v_fma_f64 v[62:63], v[8:9], v[62:63], -v[64:65]
	v_fmac_f64_e32 v[106:107], v[96:97], v[66:67]
	v_fma_f64 v[66:67], v[94:95], v[66:67], -v[68:69]
	v_add_f64_e32 v[4:5], v[4:5], v[58:59]
	v_add_f64_e32 v[12:13], v[12:13], v[110:111]
	ds_load_b128 v[8:11], v2 offset:592
	ds_load_b128 v[58:61], v2 offset:608
	s_wait_loadcnt_dscnt 0x701
	v_mul_f64_e32 v[108:109], v[8:9], v[72:73]
	v_mul_f64_e32 v[64:65], v[10:11], v[72:73]
	s_wait_loadcnt_dscnt 0x600
	v_mul_f64_e32 v[68:69], v[58:59], v[76:77]
	v_mul_f64_e32 v[72:73], v[60:61], v[76:77]
	v_add_f64_e32 v[4:5], v[4:5], v[62:63]
	v_add_f64_e32 v[12:13], v[12:13], v[112:113]
	v_fmac_f64_e32 v[108:109], v[10:11], v[70:71]
	v_fma_f64 v[70:71], v[8:9], v[70:71], -v[64:65]
	ds_load_b128 v[8:11], v2 offset:624
	ds_load_b128 v[62:65], v2 offset:640
	v_fmac_f64_e32 v[68:69], v[60:61], v[74:75]
	v_fma_f64 v[58:59], v[58:59], v[74:75], -v[72:73]
	v_add_f64_e32 v[4:5], v[4:5], v[66:67]
	v_add_f64_e32 v[12:13], v[12:13], v[106:107]
	s_wait_loadcnt_dscnt 0x501
	v_mul_f64_e32 v[66:67], v[8:9], v[80:81]
	v_mul_f64_e32 v[76:77], v[10:11], v[80:81]
	s_wait_loadcnt_dscnt 0x400
	v_mul_f64_e32 v[72:73], v[64:65], v[84:85]
	v_add_f64_e32 v[4:5], v[4:5], v[70:71]
	v_add_f64_e32 v[12:13], v[12:13], v[108:109]
	v_mul_f64_e32 v[70:71], v[62:63], v[84:85]
	v_fmac_f64_e32 v[66:67], v[10:11], v[78:79]
	v_fma_f64 v[74:75], v[8:9], v[78:79], -v[76:77]
	v_fma_f64 v[62:63], v[62:63], v[82:83], -v[72:73]
	v_add_f64_e32 v[4:5], v[4:5], v[58:59]
	v_add_f64_e32 v[12:13], v[12:13], v[68:69]
	ds_load_b128 v[8:11], v2 offset:656
	ds_load_b128 v[58:61], v2 offset:672
	v_fmac_f64_e32 v[70:71], v[64:65], v[82:83]
	s_wait_loadcnt_dscnt 0x301
	v_mul_f64_e32 v[68:69], v[8:9], v[88:89]
	v_mul_f64_e32 v[76:77], v[10:11], v[88:89]
	s_wait_loadcnt_dscnt 0x200
	v_mul_f64_e32 v[64:65], v[58:59], v[92:93]
	v_add_f64_e32 v[4:5], v[4:5], v[74:75]
	v_add_f64_e32 v[12:13], v[12:13], v[66:67]
	v_mul_f64_e32 v[66:67], v[60:61], v[92:93]
	v_fmac_f64_e32 v[68:69], v[10:11], v[86:87]
	v_fma_f64 v[72:73], v[8:9], v[86:87], -v[76:77]
	ds_load_b128 v[8:11], v2 offset:688
	v_fmac_f64_e32 v[64:65], v[60:61], v[90:91]
	v_add_f64_e32 v[4:5], v[4:5], v[62:63]
	v_add_f64_e32 v[12:13], v[12:13], v[70:71]
	v_fma_f64 v[58:59], v[58:59], v[90:91], -v[66:67]
	s_wait_loadcnt_dscnt 0x100
	v_mul_f64_e32 v[62:63], v[8:9], v[100:101]
	v_mul_f64_e32 v[70:71], v[10:11], v[100:101]
	v_add_f64_e32 v[4:5], v[4:5], v[72:73]
	v_add_f64_e32 v[12:13], v[12:13], v[68:69]
	s_delay_alu instid0(VALU_DEP_4) | instskip(NEXT) | instid1(VALU_DEP_4)
	v_fmac_f64_e32 v[62:63], v[10:11], v[98:99]
	v_fma_f64 v[8:9], v[8:9], v[98:99], -v[70:71]
	s_delay_alu instid0(VALU_DEP_4) | instskip(NEXT) | instid1(VALU_DEP_4)
	v_add_f64_e32 v[4:5], v[4:5], v[58:59]
	v_add_f64_e32 v[10:11], v[12:13], v[64:65]
	s_delay_alu instid0(VALU_DEP_2) | instskip(NEXT) | instid1(VALU_DEP_2)
	v_add_f64_e32 v[4:5], v[4:5], v[8:9]
	v_add_f64_e32 v[10:11], v[10:11], v[62:63]
	s_wait_loadcnt 0x0
	s_delay_alu instid0(VALU_DEP_2) | instskip(NEXT) | instid1(VALU_DEP_2)
	v_add_f64_e64 v[8:9], v[102:103], -v[4:5]
	v_add_f64_e64 v[10:11], v[104:105], -v[10:11]
	scratch_store_b128 off, v[8:11], off offset:160
	s_wait_xcnt 0x0
	v_cmpx_lt_u32_e32 9, v1
	s_cbranch_execz .LBB21_127
; %bb.126:
	scratch_load_b128 v[8:11], off, s13
	v_dual_mov_b32 v3, v2 :: v_dual_mov_b32 v4, v2
	v_mov_b32_e32 v5, v2
	scratch_store_b128 off, v[2:5], off offset:144
	s_wait_loadcnt 0x0
	ds_store_b128 v6, v[8:11]
.LBB21_127:
	s_wait_xcnt 0x0
	s_or_b32 exec_lo, exec_lo, s2
	s_wait_storecnt_dscnt 0x0
	s_barrier_signal -1
	s_barrier_wait -1
	s_clause 0x9
	scratch_load_b128 v[8:11], off, off offset:160
	scratch_load_b128 v[58:61], off, off offset:176
	;; [unrolled: 1-line block ×10, first 2 shown]
	ds_load_b128 v[94:97], v2 offset:512
	ds_load_b128 v[102:105], v2 offset:528
	s_clause 0x1
	scratch_load_b128 v[98:101], off, off offset:320
	scratch_load_b128 v[106:109], off, off offset:144
	s_mov_b32 s2, exec_lo
	s_wait_loadcnt_dscnt 0xb01
	v_mul_f64_e32 v[4:5], v[96:97], v[10:11]
	v_mul_f64_e32 v[114:115], v[94:95], v[10:11]
	scratch_load_b128 v[10:13], off, off offset:336
	s_wait_loadcnt_dscnt 0xb00
	v_mul_f64_e32 v[116:117], v[102:103], v[60:61]
	v_mul_f64_e32 v[60:61], v[104:105], v[60:61]
	v_fma_f64 v[4:5], v[94:95], v[8:9], -v[4:5]
	v_fmac_f64_e32 v[114:115], v[96:97], v[8:9]
	ds_load_b128 v[94:97], v2 offset:544
	ds_load_b128 v[110:113], v2 offset:560
	v_fmac_f64_e32 v[116:117], v[104:105], v[58:59]
	v_fma_f64 v[58:59], v[102:103], v[58:59], -v[60:61]
	s_wait_loadcnt_dscnt 0xa01
	v_mul_f64_e32 v[8:9], v[94:95], v[64:65]
	v_mul_f64_e32 v[64:65], v[96:97], v[64:65]
	s_wait_loadcnt_dscnt 0x900
	v_mul_f64_e32 v[102:103], v[110:111], v[68:69]
	v_mul_f64_e32 v[68:69], v[112:113], v[68:69]
	v_add_f64_e32 v[4:5], 0, v[4:5]
	v_add_f64_e32 v[60:61], 0, v[114:115]
	v_fmac_f64_e32 v[8:9], v[96:97], v[62:63]
	v_fma_f64 v[94:95], v[94:95], v[62:63], -v[64:65]
	v_fmac_f64_e32 v[102:103], v[112:113], v[66:67]
	v_fma_f64 v[66:67], v[110:111], v[66:67], -v[68:69]
	v_add_f64_e32 v[4:5], v[4:5], v[58:59]
	v_add_f64_e32 v[96:97], v[60:61], v[116:117]
	ds_load_b128 v[58:61], v2 offset:576
	ds_load_b128 v[62:65], v2 offset:592
	s_wait_loadcnt_dscnt 0x801
	v_mul_f64_e32 v[104:105], v[58:59], v[72:73]
	v_mul_f64_e32 v[72:73], v[60:61], v[72:73]
	v_add_f64_e32 v[4:5], v[4:5], v[94:95]
	v_add_f64_e32 v[8:9], v[96:97], v[8:9]
	s_wait_loadcnt_dscnt 0x700
	v_mul_f64_e32 v[94:95], v[62:63], v[76:77]
	v_mul_f64_e32 v[76:77], v[64:65], v[76:77]
	v_fmac_f64_e32 v[104:105], v[60:61], v[70:71]
	v_fma_f64 v[70:71], v[58:59], v[70:71], -v[72:73]
	v_add_f64_e32 v[4:5], v[4:5], v[66:67]
	v_add_f64_e32 v[8:9], v[8:9], v[102:103]
	ds_load_b128 v[58:61], v2 offset:608
	ds_load_b128 v[66:69], v2 offset:624
	v_fmac_f64_e32 v[94:95], v[64:65], v[74:75]
	v_fma_f64 v[62:63], v[62:63], v[74:75], -v[76:77]
	s_wait_loadcnt_dscnt 0x601
	v_mul_f64_e32 v[72:73], v[58:59], v[80:81]
	v_mul_f64_e32 v[80:81], v[60:61], v[80:81]
	s_wait_loadcnt_dscnt 0x500
	v_mul_f64_e32 v[74:75], v[68:69], v[84:85]
	v_add_f64_e32 v[4:5], v[4:5], v[70:71]
	v_add_f64_e32 v[8:9], v[8:9], v[104:105]
	v_mul_f64_e32 v[70:71], v[66:67], v[84:85]
	v_fmac_f64_e32 v[72:73], v[60:61], v[78:79]
	v_fma_f64 v[76:77], v[58:59], v[78:79], -v[80:81]
	v_fma_f64 v[66:67], v[66:67], v[82:83], -v[74:75]
	v_add_f64_e32 v[4:5], v[4:5], v[62:63]
	v_add_f64_e32 v[8:9], v[8:9], v[94:95]
	ds_load_b128 v[58:61], v2 offset:640
	ds_load_b128 v[62:65], v2 offset:656
	v_fmac_f64_e32 v[70:71], v[68:69], v[82:83]
	s_wait_loadcnt_dscnt 0x401
	v_mul_f64_e32 v[78:79], v[58:59], v[88:89]
	v_mul_f64_e32 v[80:81], v[60:61], v[88:89]
	s_wait_loadcnt_dscnt 0x300
	v_mul_f64_e32 v[68:69], v[62:63], v[92:93]
	v_add_f64_e32 v[4:5], v[4:5], v[76:77]
	v_add_f64_e32 v[8:9], v[8:9], v[72:73]
	v_mul_f64_e32 v[72:73], v[64:65], v[92:93]
	v_fmac_f64_e32 v[78:79], v[60:61], v[86:87]
	v_fma_f64 v[74:75], v[58:59], v[86:87], -v[80:81]
	v_fmac_f64_e32 v[68:69], v[64:65], v[90:91]
	v_add_f64_e32 v[66:67], v[4:5], v[66:67]
	v_add_f64_e32 v[8:9], v[8:9], v[70:71]
	ds_load_b128 v[58:61], v2 offset:672
	ds_load_b128 v[2:5], v2 offset:688
	v_fma_f64 v[62:63], v[62:63], v[90:91], -v[72:73]
	s_wait_loadcnt_dscnt 0x201
	v_mul_f64_e32 v[70:71], v[58:59], v[100:101]
	v_mul_f64_e32 v[76:77], v[60:61], v[100:101]
	v_add_f64_e32 v[64:65], v[66:67], v[74:75]
	v_add_f64_e32 v[8:9], v[8:9], v[78:79]
	s_wait_loadcnt_dscnt 0x0
	v_mul_f64_e32 v[66:67], v[2:3], v[12:13]
	v_mul_f64_e32 v[12:13], v[4:5], v[12:13]
	v_fmac_f64_e32 v[70:71], v[60:61], v[98:99]
	v_fma_f64 v[58:59], v[58:59], v[98:99], -v[76:77]
	v_add_f64_e32 v[60:61], v[64:65], v[62:63]
	v_add_f64_e32 v[8:9], v[8:9], v[68:69]
	v_fmac_f64_e32 v[66:67], v[4:5], v[10:11]
	v_fma_f64 v[2:3], v[2:3], v[10:11], -v[12:13]
	s_delay_alu instid0(VALU_DEP_4) | instskip(NEXT) | instid1(VALU_DEP_4)
	v_add_f64_e32 v[4:5], v[60:61], v[58:59]
	v_add_f64_e32 v[8:9], v[8:9], v[70:71]
	s_delay_alu instid0(VALU_DEP_2) | instskip(NEXT) | instid1(VALU_DEP_2)
	v_add_f64_e32 v[2:3], v[4:5], v[2:3]
	v_add_f64_e32 v[4:5], v[8:9], v[66:67]
	s_delay_alu instid0(VALU_DEP_2) | instskip(NEXT) | instid1(VALU_DEP_2)
	v_add_f64_e64 v[2:3], v[106:107], -v[2:3]
	v_add_f64_e64 v[4:5], v[108:109], -v[4:5]
	scratch_store_b128 off, v[2:5], off offset:144
	s_wait_xcnt 0x0
	v_cmpx_lt_u32_e32 8, v1
	s_cbranch_execz .LBB21_129
; %bb.128:
	scratch_load_b128 v[2:5], off, s12
	v_mov_b32_e32 v8, 0
	s_delay_alu instid0(VALU_DEP_1)
	v_dual_mov_b32 v9, v8 :: v_dual_mov_b32 v10, v8
	v_mov_b32_e32 v11, v8
	scratch_store_b128 off, v[8:11], off offset:128
	s_wait_loadcnt 0x0
	ds_store_b128 v6, v[2:5]
.LBB21_129:
	s_wait_xcnt 0x0
	s_or_b32 exec_lo, exec_lo, s2
	s_wait_storecnt_dscnt 0x0
	s_barrier_signal -1
	s_barrier_wait -1
	s_clause 0x9
	scratch_load_b128 v[8:11], off, off offset:144
	scratch_load_b128 v[58:61], off, off offset:160
	;; [unrolled: 1-line block ×10, first 2 shown]
	v_mov_b32_e32 v2, 0
	s_mov_b32 s2, exec_lo
	ds_load_b128 v[94:97], v2 offset:496
	s_clause 0x2
	scratch_load_b128 v[98:101], off, off offset:304
	scratch_load_b128 v[102:105], off, off offset:128
	;; [unrolled: 1-line block ×3, first 2 shown]
	s_wait_loadcnt_dscnt 0xc00
	v_mul_f64_e32 v[4:5], v[96:97], v[10:11]
	v_mul_f64_e32 v[118:119], v[94:95], v[10:11]
	ds_load_b128 v[106:109], v2 offset:512
	scratch_load_b128 v[10:13], off, off offset:320
	ds_load_b128 v[114:117], v2 offset:544
	v_fma_f64 v[4:5], v[94:95], v[8:9], -v[4:5]
	v_fmac_f64_e32 v[118:119], v[96:97], v[8:9]
	ds_load_b128 v[94:97], v2 offset:528
	s_wait_loadcnt_dscnt 0xc02
	v_mul_f64_e32 v[120:121], v[106:107], v[60:61]
	v_mul_f64_e32 v[60:61], v[108:109], v[60:61]
	s_wait_loadcnt_dscnt 0xb00
	v_mul_f64_e32 v[8:9], v[94:95], v[64:65]
	v_mul_f64_e32 v[64:65], v[96:97], v[64:65]
	v_add_f64_e32 v[4:5], 0, v[4:5]
	v_fmac_f64_e32 v[120:121], v[108:109], v[58:59]
	v_fma_f64 v[58:59], v[106:107], v[58:59], -v[60:61]
	v_add_f64_e32 v[60:61], 0, v[118:119]
	s_wait_loadcnt 0xa
	v_mul_f64_e32 v[106:107], v[114:115], v[68:69]
	v_mul_f64_e32 v[68:69], v[116:117], v[68:69]
	v_fmac_f64_e32 v[8:9], v[96:97], v[62:63]
	v_fma_f64 v[94:95], v[94:95], v[62:63], -v[64:65]
	v_add_f64_e32 v[4:5], v[4:5], v[58:59]
	v_add_f64_e32 v[96:97], v[60:61], v[120:121]
	ds_load_b128 v[58:61], v2 offset:560
	ds_load_b128 v[62:65], v2 offset:576
	v_fmac_f64_e32 v[106:107], v[116:117], v[66:67]
	v_fma_f64 v[66:67], v[114:115], v[66:67], -v[68:69]
	s_wait_loadcnt_dscnt 0x901
	v_mul_f64_e32 v[108:109], v[58:59], v[72:73]
	v_mul_f64_e32 v[72:73], v[60:61], v[72:73]
	v_add_f64_e32 v[4:5], v[4:5], v[94:95]
	v_add_f64_e32 v[8:9], v[96:97], v[8:9]
	s_wait_loadcnt_dscnt 0x800
	v_mul_f64_e32 v[94:95], v[62:63], v[76:77]
	v_mul_f64_e32 v[76:77], v[64:65], v[76:77]
	v_fmac_f64_e32 v[108:109], v[60:61], v[70:71]
	v_fma_f64 v[70:71], v[58:59], v[70:71], -v[72:73]
	v_add_f64_e32 v[4:5], v[4:5], v[66:67]
	v_add_f64_e32 v[8:9], v[8:9], v[106:107]
	ds_load_b128 v[58:61], v2 offset:592
	ds_load_b128 v[66:69], v2 offset:608
	v_fmac_f64_e32 v[94:95], v[64:65], v[74:75]
	v_fma_f64 v[62:63], v[62:63], v[74:75], -v[76:77]
	s_wait_loadcnt_dscnt 0x701
	v_mul_f64_e32 v[72:73], v[58:59], v[80:81]
	v_mul_f64_e32 v[80:81], v[60:61], v[80:81]
	s_wait_loadcnt_dscnt 0x600
	v_mul_f64_e32 v[74:75], v[68:69], v[84:85]
	v_add_f64_e32 v[4:5], v[4:5], v[70:71]
	v_add_f64_e32 v[8:9], v[8:9], v[108:109]
	v_mul_f64_e32 v[70:71], v[66:67], v[84:85]
	v_fmac_f64_e32 v[72:73], v[60:61], v[78:79]
	v_fma_f64 v[76:77], v[58:59], v[78:79], -v[80:81]
	v_fma_f64 v[66:67], v[66:67], v[82:83], -v[74:75]
	v_add_f64_e32 v[4:5], v[4:5], v[62:63]
	v_add_f64_e32 v[8:9], v[8:9], v[94:95]
	ds_load_b128 v[58:61], v2 offset:624
	ds_load_b128 v[62:65], v2 offset:640
	v_fmac_f64_e32 v[70:71], v[68:69], v[82:83]
	s_wait_loadcnt_dscnt 0x501
	v_mul_f64_e32 v[78:79], v[58:59], v[88:89]
	v_mul_f64_e32 v[80:81], v[60:61], v[88:89]
	s_wait_loadcnt_dscnt 0x400
	v_mul_f64_e32 v[74:75], v[64:65], v[92:93]
	v_add_f64_e32 v[4:5], v[4:5], v[76:77]
	v_add_f64_e32 v[8:9], v[8:9], v[72:73]
	v_mul_f64_e32 v[72:73], v[62:63], v[92:93]
	v_fmac_f64_e32 v[78:79], v[60:61], v[86:87]
	v_fma_f64 v[76:77], v[58:59], v[86:87], -v[80:81]
	v_fma_f64 v[62:63], v[62:63], v[90:91], -v[74:75]
	v_add_f64_e32 v[4:5], v[4:5], v[66:67]
	v_add_f64_e32 v[8:9], v[8:9], v[70:71]
	ds_load_b128 v[58:61], v2 offset:656
	ds_load_b128 v[66:69], v2 offset:672
	v_fmac_f64_e32 v[72:73], v[64:65], v[90:91]
	s_wait_loadcnt_dscnt 0x301
	v_mul_f64_e32 v[70:71], v[58:59], v[100:101]
	v_mul_f64_e32 v[80:81], v[60:61], v[100:101]
	s_wait_loadcnt_dscnt 0x0
	v_mul_f64_e32 v[64:65], v[66:67], v[12:13]
	v_add_f64_e32 v[4:5], v[4:5], v[76:77]
	v_add_f64_e32 v[8:9], v[8:9], v[78:79]
	v_mul_f64_e32 v[12:13], v[68:69], v[12:13]
	v_fmac_f64_e32 v[70:71], v[60:61], v[98:99]
	v_fma_f64 v[74:75], v[58:59], v[98:99], -v[80:81]
	ds_load_b128 v[58:61], v2 offset:688
	v_fmac_f64_e32 v[64:65], v[68:69], v[10:11]
	v_add_f64_e32 v[4:5], v[4:5], v[62:63]
	v_add_f64_e32 v[8:9], v[8:9], v[72:73]
	v_fma_f64 v[10:11], v[66:67], v[10:11], -v[12:13]
	s_wait_dscnt 0x0
	v_mul_f64_e32 v[62:63], v[58:59], v[112:113]
	v_mul_f64_e32 v[72:73], v[60:61], v[112:113]
	v_add_f64_e32 v[4:5], v[4:5], v[74:75]
	v_add_f64_e32 v[8:9], v[8:9], v[70:71]
	s_delay_alu instid0(VALU_DEP_4) | instskip(NEXT) | instid1(VALU_DEP_4)
	v_fmac_f64_e32 v[62:63], v[60:61], v[110:111]
	v_fma_f64 v[12:13], v[58:59], v[110:111], -v[72:73]
	s_delay_alu instid0(VALU_DEP_4) | instskip(NEXT) | instid1(VALU_DEP_4)
	v_add_f64_e32 v[4:5], v[4:5], v[10:11]
	v_add_f64_e32 v[8:9], v[8:9], v[64:65]
	s_delay_alu instid0(VALU_DEP_2) | instskip(NEXT) | instid1(VALU_DEP_2)
	v_add_f64_e32 v[4:5], v[4:5], v[12:13]
	v_add_f64_e32 v[10:11], v[8:9], v[62:63]
	s_delay_alu instid0(VALU_DEP_2) | instskip(NEXT) | instid1(VALU_DEP_2)
	v_add_f64_e64 v[8:9], v[102:103], -v[4:5]
	v_add_f64_e64 v[10:11], v[104:105], -v[10:11]
	scratch_store_b128 off, v[8:11], off offset:128
	s_wait_xcnt 0x0
	v_cmpx_lt_u32_e32 7, v1
	s_cbranch_execz .LBB21_131
; %bb.130:
	scratch_load_b128 v[8:11], off, s24
	v_dual_mov_b32 v3, v2 :: v_dual_mov_b32 v4, v2
	v_mov_b32_e32 v5, v2
	scratch_store_b128 off, v[2:5], off offset:112
	s_wait_loadcnt 0x0
	ds_store_b128 v6, v[8:11]
.LBB21_131:
	s_wait_xcnt 0x0
	s_or_b32 exec_lo, exec_lo, s2
	s_wait_storecnt_dscnt 0x0
	s_barrier_signal -1
	s_barrier_wait -1
	s_clause 0x9
	scratch_load_b128 v[8:11], off, off offset:128
	scratch_load_b128 v[58:61], off, off offset:144
	;; [unrolled: 1-line block ×10, first 2 shown]
	ds_load_b128 v[94:97], v2 offset:480
	ds_load_b128 v[102:105], v2 offset:496
	s_clause 0x1
	scratch_load_b128 v[98:101], off, off offset:288
	scratch_load_b128 v[106:109], off, off offset:112
	s_mov_b32 s2, exec_lo
	s_wait_loadcnt_dscnt 0xb01
	v_mul_f64_e32 v[4:5], v[96:97], v[10:11]
	v_mul_f64_e32 v[118:119], v[94:95], v[10:11]
	scratch_load_b128 v[10:13], off, off offset:304
	s_wait_loadcnt_dscnt 0xb00
	v_mul_f64_e32 v[120:121], v[102:103], v[60:61]
	v_mul_f64_e32 v[60:61], v[104:105], v[60:61]
	v_fma_f64 v[4:5], v[94:95], v[8:9], -v[4:5]
	v_fmac_f64_e32 v[118:119], v[96:97], v[8:9]
	ds_load_b128 v[94:97], v2 offset:512
	ds_load_b128 v[110:113], v2 offset:528
	scratch_load_b128 v[114:117], off, off offset:320
	v_fmac_f64_e32 v[120:121], v[104:105], v[58:59]
	v_fma_f64 v[102:103], v[102:103], v[58:59], -v[60:61]
	scratch_load_b128 v[58:61], off, off offset:336
	s_wait_loadcnt_dscnt 0xc01
	v_mul_f64_e32 v[8:9], v[94:95], v[64:65]
	v_mul_f64_e32 v[64:65], v[96:97], v[64:65]
	v_add_f64_e32 v[4:5], 0, v[4:5]
	v_add_f64_e32 v[104:105], 0, v[118:119]
	s_wait_loadcnt_dscnt 0xb00
	v_mul_f64_e32 v[118:119], v[110:111], v[68:69]
	v_mul_f64_e32 v[68:69], v[112:113], v[68:69]
	v_fmac_f64_e32 v[8:9], v[96:97], v[62:63]
	v_fma_f64 v[122:123], v[94:95], v[62:63], -v[64:65]
	ds_load_b128 v[62:65], v2 offset:544
	ds_load_b128 v[94:97], v2 offset:560
	v_add_f64_e32 v[4:5], v[4:5], v[102:103]
	v_add_f64_e32 v[102:103], v[104:105], v[120:121]
	v_fmac_f64_e32 v[118:119], v[112:113], v[66:67]
	v_fma_f64 v[66:67], v[110:111], v[66:67], -v[68:69]
	s_wait_loadcnt_dscnt 0xa01
	v_mul_f64_e32 v[104:105], v[62:63], v[72:73]
	v_mul_f64_e32 v[72:73], v[64:65], v[72:73]
	v_add_f64_e32 v[4:5], v[4:5], v[122:123]
	v_add_f64_e32 v[8:9], v[102:103], v[8:9]
	s_wait_loadcnt_dscnt 0x900
	v_mul_f64_e32 v[102:103], v[94:95], v[76:77]
	v_mul_f64_e32 v[76:77], v[96:97], v[76:77]
	v_fmac_f64_e32 v[104:105], v[64:65], v[70:71]
	v_fma_f64 v[70:71], v[62:63], v[70:71], -v[72:73]
	v_add_f64_e32 v[4:5], v[4:5], v[66:67]
	v_add_f64_e32 v[8:9], v[8:9], v[118:119]
	ds_load_b128 v[62:65], v2 offset:576
	ds_load_b128 v[66:69], v2 offset:592
	v_fmac_f64_e32 v[102:103], v[96:97], v[74:75]
	v_fma_f64 v[74:75], v[94:95], v[74:75], -v[76:77]
	s_wait_loadcnt_dscnt 0x801
	v_mul_f64_e32 v[110:111], v[62:63], v[80:81]
	v_mul_f64_e32 v[72:73], v[64:65], v[80:81]
	s_wait_loadcnt_dscnt 0x700
	v_mul_f64_e32 v[76:77], v[66:67], v[84:85]
	v_mul_f64_e32 v[80:81], v[68:69], v[84:85]
	v_add_f64_e32 v[4:5], v[4:5], v[70:71]
	v_add_f64_e32 v[8:9], v[8:9], v[104:105]
	v_fmac_f64_e32 v[110:111], v[64:65], v[78:79]
	v_fma_f64 v[78:79], v[62:63], v[78:79], -v[72:73]
	ds_load_b128 v[62:65], v2 offset:608
	ds_load_b128 v[70:73], v2 offset:624
	v_fmac_f64_e32 v[76:77], v[68:69], v[82:83]
	v_fma_f64 v[66:67], v[66:67], v[82:83], -v[80:81]
	v_add_f64_e32 v[4:5], v[4:5], v[74:75]
	v_add_f64_e32 v[8:9], v[8:9], v[102:103]
	s_wait_loadcnt_dscnt 0x601
	v_mul_f64_e32 v[74:75], v[62:63], v[88:89]
	v_mul_f64_e32 v[84:85], v[64:65], v[88:89]
	s_wait_loadcnt_dscnt 0x500
	v_mul_f64_e32 v[80:81], v[72:73], v[92:93]
	v_add_f64_e32 v[4:5], v[4:5], v[78:79]
	v_add_f64_e32 v[8:9], v[8:9], v[110:111]
	v_mul_f64_e32 v[78:79], v[70:71], v[92:93]
	v_fmac_f64_e32 v[74:75], v[64:65], v[86:87]
	v_fma_f64 v[82:83], v[62:63], v[86:87], -v[84:85]
	v_fma_f64 v[70:71], v[70:71], v[90:91], -v[80:81]
	v_add_f64_e32 v[4:5], v[4:5], v[66:67]
	v_add_f64_e32 v[8:9], v[8:9], v[76:77]
	ds_load_b128 v[62:65], v2 offset:640
	ds_load_b128 v[66:69], v2 offset:656
	v_fmac_f64_e32 v[78:79], v[72:73], v[90:91]
	s_wait_loadcnt_dscnt 0x401
	v_mul_f64_e32 v[76:77], v[62:63], v[100:101]
	v_mul_f64_e32 v[84:85], v[64:65], v[100:101]
	v_add_f64_e32 v[4:5], v[4:5], v[82:83]
	v_add_f64_e32 v[8:9], v[8:9], v[74:75]
	s_wait_loadcnt_dscnt 0x200
	v_mul_f64_e32 v[72:73], v[66:67], v[12:13]
	v_mul_f64_e32 v[12:13], v[68:69], v[12:13]
	v_fmac_f64_e32 v[76:77], v[64:65], v[98:99]
	v_fma_f64 v[74:75], v[62:63], v[98:99], -v[84:85]
	v_add_f64_e32 v[70:71], v[4:5], v[70:71]
	v_add_f64_e32 v[8:9], v[8:9], v[78:79]
	ds_load_b128 v[62:65], v2 offset:672
	ds_load_b128 v[2:5], v2 offset:688
	v_fmac_f64_e32 v[72:73], v[68:69], v[10:11]
	v_fma_f64 v[10:11], v[66:67], v[10:11], -v[12:13]
	s_wait_loadcnt_dscnt 0x101
	v_mul_f64_e32 v[78:79], v[62:63], v[116:117]
	v_mul_f64_e32 v[80:81], v[64:65], v[116:117]
	s_wait_loadcnt_dscnt 0x0
	v_mul_f64_e32 v[66:67], v[2:3], v[60:61]
	v_mul_f64_e32 v[60:61], v[4:5], v[60:61]
	v_add_f64_e32 v[12:13], v[70:71], v[74:75]
	v_add_f64_e32 v[8:9], v[8:9], v[76:77]
	v_fmac_f64_e32 v[78:79], v[64:65], v[114:115]
	v_fma_f64 v[62:63], v[62:63], v[114:115], -v[80:81]
	v_fmac_f64_e32 v[66:67], v[4:5], v[58:59]
	v_fma_f64 v[2:3], v[2:3], v[58:59], -v[60:61]
	v_add_f64_e32 v[10:11], v[12:13], v[10:11]
	v_add_f64_e32 v[8:9], v[8:9], v[72:73]
	s_delay_alu instid0(VALU_DEP_2) | instskip(NEXT) | instid1(VALU_DEP_2)
	v_add_f64_e32 v[4:5], v[10:11], v[62:63]
	v_add_f64_e32 v[8:9], v[8:9], v[78:79]
	s_delay_alu instid0(VALU_DEP_2) | instskip(NEXT) | instid1(VALU_DEP_2)
	;; [unrolled: 3-line block ×3, first 2 shown]
	v_add_f64_e64 v[2:3], v[106:107], -v[2:3]
	v_add_f64_e64 v[4:5], v[108:109], -v[4:5]
	scratch_store_b128 off, v[2:5], off offset:112
	s_wait_xcnt 0x0
	v_cmpx_lt_u32_e32 6, v1
	s_cbranch_execz .LBB21_133
; %bb.132:
	scratch_load_b128 v[2:5], off, s21
	v_mov_b32_e32 v8, 0
	s_delay_alu instid0(VALU_DEP_1)
	v_dual_mov_b32 v9, v8 :: v_dual_mov_b32 v10, v8
	v_mov_b32_e32 v11, v8
	scratch_store_b128 off, v[8:11], off offset:96
	s_wait_loadcnt 0x0
	ds_store_b128 v6, v[2:5]
.LBB21_133:
	s_wait_xcnt 0x0
	s_or_b32 exec_lo, exec_lo, s2
	s_wait_storecnt_dscnt 0x0
	s_barrier_signal -1
	s_barrier_wait -1
	s_clause 0x9
	scratch_load_b128 v[8:11], off, off offset:112
	scratch_load_b128 v[58:61], off, off offset:128
	;; [unrolled: 1-line block ×10, first 2 shown]
	v_mov_b32_e32 v2, 0
	s_mov_b32 s2, exec_lo
	ds_load_b128 v[94:97], v2 offset:464
	s_clause 0x2
	scratch_load_b128 v[98:101], off, off offset:272
	scratch_load_b128 v[102:105], off, off offset:96
	;; [unrolled: 1-line block ×3, first 2 shown]
	s_wait_loadcnt_dscnt 0xc00
	v_mul_f64_e32 v[4:5], v[96:97], v[10:11]
	v_mul_f64_e32 v[118:119], v[94:95], v[10:11]
	ds_load_b128 v[106:109], v2 offset:480
	scratch_load_b128 v[10:13], off, off offset:288
	ds_load_b128 v[114:117], v2 offset:512
	v_fma_f64 v[4:5], v[94:95], v[8:9], -v[4:5]
	v_fmac_f64_e32 v[118:119], v[96:97], v[8:9]
	ds_load_b128 v[94:97], v2 offset:496
	s_wait_loadcnt_dscnt 0xc02
	v_mul_f64_e32 v[120:121], v[106:107], v[60:61]
	v_mul_f64_e32 v[60:61], v[108:109], v[60:61]
	s_wait_loadcnt_dscnt 0xb00
	v_mul_f64_e32 v[8:9], v[94:95], v[64:65]
	v_mul_f64_e32 v[64:65], v[96:97], v[64:65]
	v_add_f64_e32 v[4:5], 0, v[4:5]
	v_fmac_f64_e32 v[120:121], v[108:109], v[58:59]
	v_fma_f64 v[106:107], v[106:107], v[58:59], -v[60:61]
	v_add_f64_e32 v[108:109], 0, v[118:119]
	scratch_load_b128 v[58:61], off, off offset:320
	v_fmac_f64_e32 v[8:9], v[96:97], v[62:63]
	v_fma_f64 v[122:123], v[94:95], v[62:63], -v[64:65]
	ds_load_b128 v[62:65], v2 offset:528
	s_wait_loadcnt 0xb
	v_mul_f64_e32 v[118:119], v[114:115], v[68:69]
	v_mul_f64_e32 v[68:69], v[116:117], v[68:69]
	scratch_load_b128 v[94:97], off, off offset:336
	v_add_f64_e32 v[4:5], v[4:5], v[106:107]
	v_add_f64_e32 v[120:121], v[108:109], v[120:121]
	ds_load_b128 v[106:109], v2 offset:544
	s_wait_loadcnt_dscnt 0xb01
	v_mul_f64_e32 v[124:125], v[62:63], v[72:73]
	v_mul_f64_e32 v[72:73], v[64:65], v[72:73]
	v_fmac_f64_e32 v[118:119], v[116:117], v[66:67]
	v_fma_f64 v[66:67], v[114:115], v[66:67], -v[68:69]
	s_wait_loadcnt_dscnt 0xa00
	v_mul_f64_e32 v[114:115], v[106:107], v[76:77]
	v_mul_f64_e32 v[76:77], v[108:109], v[76:77]
	v_add_f64_e32 v[4:5], v[4:5], v[122:123]
	v_add_f64_e32 v[8:9], v[120:121], v[8:9]
	v_fmac_f64_e32 v[124:125], v[64:65], v[70:71]
	v_fma_f64 v[70:71], v[62:63], v[70:71], -v[72:73]
	v_fmac_f64_e32 v[114:115], v[108:109], v[74:75]
	v_fma_f64 v[74:75], v[106:107], v[74:75], -v[76:77]
	v_add_f64_e32 v[4:5], v[4:5], v[66:67]
	v_add_f64_e32 v[8:9], v[8:9], v[118:119]
	ds_load_b128 v[62:65], v2 offset:560
	ds_load_b128 v[66:69], v2 offset:576
	s_wait_loadcnt_dscnt 0x901
	v_mul_f64_e32 v[116:117], v[62:63], v[80:81]
	v_mul_f64_e32 v[72:73], v[64:65], v[80:81]
	s_wait_loadcnt_dscnt 0x800
	v_mul_f64_e32 v[76:77], v[66:67], v[84:85]
	v_mul_f64_e32 v[80:81], v[68:69], v[84:85]
	v_add_f64_e32 v[4:5], v[4:5], v[70:71]
	v_add_f64_e32 v[8:9], v[8:9], v[124:125]
	v_fmac_f64_e32 v[116:117], v[64:65], v[78:79]
	v_fma_f64 v[78:79], v[62:63], v[78:79], -v[72:73]
	ds_load_b128 v[62:65], v2 offset:592
	ds_load_b128 v[70:73], v2 offset:608
	v_fmac_f64_e32 v[76:77], v[68:69], v[82:83]
	v_fma_f64 v[66:67], v[66:67], v[82:83], -v[80:81]
	v_add_f64_e32 v[4:5], v[4:5], v[74:75]
	v_add_f64_e32 v[8:9], v[8:9], v[114:115]
	s_wait_loadcnt_dscnt 0x701
	v_mul_f64_e32 v[74:75], v[62:63], v[88:89]
	v_mul_f64_e32 v[84:85], v[64:65], v[88:89]
	s_wait_loadcnt_dscnt 0x600
	v_mul_f64_e32 v[80:81], v[72:73], v[92:93]
	v_add_f64_e32 v[4:5], v[4:5], v[78:79]
	v_add_f64_e32 v[8:9], v[8:9], v[116:117]
	v_mul_f64_e32 v[78:79], v[70:71], v[92:93]
	v_fmac_f64_e32 v[74:75], v[64:65], v[86:87]
	v_fma_f64 v[82:83], v[62:63], v[86:87], -v[84:85]
	v_fma_f64 v[70:71], v[70:71], v[90:91], -v[80:81]
	v_add_f64_e32 v[4:5], v[4:5], v[66:67]
	v_add_f64_e32 v[8:9], v[8:9], v[76:77]
	ds_load_b128 v[62:65], v2 offset:624
	ds_load_b128 v[66:69], v2 offset:640
	v_fmac_f64_e32 v[78:79], v[72:73], v[90:91]
	s_wait_loadcnt_dscnt 0x501
	v_mul_f64_e32 v[76:77], v[62:63], v[100:101]
	v_mul_f64_e32 v[84:85], v[64:65], v[100:101]
	v_add_f64_e32 v[4:5], v[4:5], v[82:83]
	v_add_f64_e32 v[8:9], v[8:9], v[74:75]
	s_wait_loadcnt_dscnt 0x200
	v_mul_f64_e32 v[74:75], v[66:67], v[12:13]
	v_mul_f64_e32 v[12:13], v[68:69], v[12:13]
	v_fmac_f64_e32 v[76:77], v[64:65], v[98:99]
	v_fma_f64 v[80:81], v[62:63], v[98:99], -v[84:85]
	v_add_f64_e32 v[4:5], v[4:5], v[70:71]
	v_add_f64_e32 v[8:9], v[8:9], v[78:79]
	ds_load_b128 v[62:65], v2 offset:656
	ds_load_b128 v[70:73], v2 offset:672
	v_fmac_f64_e32 v[74:75], v[68:69], v[10:11]
	v_fma_f64 v[10:11], v[66:67], v[10:11], -v[12:13]
	s_wait_dscnt 0x1
	v_mul_f64_e32 v[78:79], v[62:63], v[112:113]
	v_mul_f64_e32 v[82:83], v[64:65], v[112:113]
	v_add_f64_e32 v[4:5], v[4:5], v[80:81]
	v_add_f64_e32 v[8:9], v[8:9], v[76:77]
	s_wait_loadcnt_dscnt 0x100
	v_mul_f64_e32 v[12:13], v[70:71], v[60:61]
	v_mul_f64_e32 v[60:61], v[72:73], v[60:61]
	v_fmac_f64_e32 v[78:79], v[64:65], v[110:111]
	v_fma_f64 v[62:63], v[62:63], v[110:111], -v[82:83]
	v_add_f64_e32 v[4:5], v[4:5], v[10:11]
	v_add_f64_e32 v[64:65], v[8:9], v[74:75]
	ds_load_b128 v[8:11], v2 offset:688
	v_fmac_f64_e32 v[12:13], v[72:73], v[58:59]
	v_fma_f64 v[58:59], v[70:71], v[58:59], -v[60:61]
	s_wait_loadcnt_dscnt 0x0
	v_mul_f64_e32 v[66:67], v[8:9], v[96:97]
	v_mul_f64_e32 v[68:69], v[10:11], v[96:97]
	v_add_f64_e32 v[4:5], v[4:5], v[62:63]
	v_add_f64_e32 v[60:61], v[64:65], v[78:79]
	s_delay_alu instid0(VALU_DEP_4) | instskip(NEXT) | instid1(VALU_DEP_4)
	v_fmac_f64_e32 v[66:67], v[10:11], v[94:95]
	v_fma_f64 v[8:9], v[8:9], v[94:95], -v[68:69]
	s_delay_alu instid0(VALU_DEP_4) | instskip(NEXT) | instid1(VALU_DEP_4)
	v_add_f64_e32 v[4:5], v[4:5], v[58:59]
	v_add_f64_e32 v[10:11], v[60:61], v[12:13]
	s_delay_alu instid0(VALU_DEP_2) | instskip(NEXT) | instid1(VALU_DEP_2)
	v_add_f64_e32 v[4:5], v[4:5], v[8:9]
	v_add_f64_e32 v[10:11], v[10:11], v[66:67]
	s_delay_alu instid0(VALU_DEP_2) | instskip(NEXT) | instid1(VALU_DEP_2)
	v_add_f64_e64 v[8:9], v[102:103], -v[4:5]
	v_add_f64_e64 v[10:11], v[104:105], -v[10:11]
	scratch_store_b128 off, v[8:11], off offset:96
	s_wait_xcnt 0x0
	v_cmpx_lt_u32_e32 5, v1
	s_cbranch_execz .LBB21_135
; %bb.134:
	scratch_load_b128 v[8:11], off, s14
	v_dual_mov_b32 v3, v2 :: v_dual_mov_b32 v4, v2
	v_mov_b32_e32 v5, v2
	scratch_store_b128 off, v[2:5], off offset:80
	s_wait_loadcnt 0x0
	ds_store_b128 v6, v[8:11]
.LBB21_135:
	s_wait_xcnt 0x0
	s_or_b32 exec_lo, exec_lo, s2
	s_wait_storecnt_dscnt 0x0
	s_barrier_signal -1
	s_barrier_wait -1
	s_clause 0x9
	scratch_load_b128 v[8:11], off, off offset:96
	scratch_load_b128 v[58:61], off, off offset:112
	;; [unrolled: 1-line block ×10, first 2 shown]
	ds_load_b128 v[94:97], v2 offset:448
	ds_load_b128 v[102:105], v2 offset:464
	s_clause 0x1
	scratch_load_b128 v[98:101], off, off offset:256
	scratch_load_b128 v[106:109], off, off offset:80
	s_mov_b32 s2, exec_lo
	s_wait_loadcnt_dscnt 0xb01
	v_mul_f64_e32 v[4:5], v[96:97], v[10:11]
	v_mul_f64_e32 v[118:119], v[94:95], v[10:11]
	scratch_load_b128 v[10:13], off, off offset:272
	s_wait_loadcnt_dscnt 0xb00
	v_mul_f64_e32 v[120:121], v[102:103], v[60:61]
	v_mul_f64_e32 v[60:61], v[104:105], v[60:61]
	v_fma_f64 v[4:5], v[94:95], v[8:9], -v[4:5]
	v_fmac_f64_e32 v[118:119], v[96:97], v[8:9]
	ds_load_b128 v[94:97], v2 offset:480
	ds_load_b128 v[110:113], v2 offset:496
	scratch_load_b128 v[114:117], off, off offset:288
	v_fmac_f64_e32 v[120:121], v[104:105], v[58:59]
	v_fma_f64 v[102:103], v[102:103], v[58:59], -v[60:61]
	scratch_load_b128 v[58:61], off, off offset:304
	s_wait_loadcnt_dscnt 0xc01
	v_mul_f64_e32 v[8:9], v[94:95], v[64:65]
	v_mul_f64_e32 v[64:65], v[96:97], v[64:65]
	v_add_f64_e32 v[4:5], 0, v[4:5]
	v_add_f64_e32 v[104:105], 0, v[118:119]
	s_wait_loadcnt_dscnt 0xb00
	v_mul_f64_e32 v[118:119], v[110:111], v[68:69]
	v_mul_f64_e32 v[68:69], v[112:113], v[68:69]
	v_fmac_f64_e32 v[8:9], v[96:97], v[62:63]
	v_fma_f64 v[122:123], v[94:95], v[62:63], -v[64:65]
	ds_load_b128 v[62:65], v2 offset:512
	ds_load_b128 v[94:97], v2 offset:528
	v_add_f64_e32 v[4:5], v[4:5], v[102:103]
	v_add_f64_e32 v[120:121], v[104:105], v[120:121]
	scratch_load_b128 v[102:105], off, off offset:320
	v_fmac_f64_e32 v[118:119], v[112:113], v[66:67]
	v_fma_f64 v[110:111], v[110:111], v[66:67], -v[68:69]
	scratch_load_b128 v[66:69], off, off offset:336
	s_wait_loadcnt_dscnt 0xc01
	v_mul_f64_e32 v[124:125], v[62:63], v[72:73]
	v_mul_f64_e32 v[72:73], v[64:65], v[72:73]
	s_wait_loadcnt_dscnt 0xb00
	v_mul_f64_e32 v[112:113], v[94:95], v[76:77]
	v_mul_f64_e32 v[76:77], v[96:97], v[76:77]
	v_add_f64_e32 v[4:5], v[4:5], v[122:123]
	v_add_f64_e32 v[8:9], v[120:121], v[8:9]
	v_fmac_f64_e32 v[124:125], v[64:65], v[70:71]
	v_fma_f64 v[120:121], v[62:63], v[70:71], -v[72:73]
	ds_load_b128 v[62:65], v2 offset:544
	ds_load_b128 v[70:73], v2 offset:560
	v_fmac_f64_e32 v[112:113], v[96:97], v[74:75]
	v_fma_f64 v[74:75], v[94:95], v[74:75], -v[76:77]
	s_wait_loadcnt_dscnt 0x900
	v_mul_f64_e32 v[94:95], v[70:71], v[84:85]
	v_add_f64_e32 v[4:5], v[4:5], v[110:111]
	v_add_f64_e32 v[8:9], v[8:9], v[118:119]
	v_mul_f64_e32 v[110:111], v[62:63], v[80:81]
	v_mul_f64_e32 v[80:81], v[64:65], v[80:81]
	;; [unrolled: 1-line block ×3, first 2 shown]
	v_fmac_f64_e32 v[94:95], v[72:73], v[82:83]
	v_add_f64_e32 v[4:5], v[4:5], v[120:121]
	v_add_f64_e32 v[8:9], v[8:9], v[124:125]
	v_fmac_f64_e32 v[110:111], v[64:65], v[78:79]
	v_fma_f64 v[78:79], v[62:63], v[78:79], -v[80:81]
	v_fma_f64 v[70:71], v[70:71], v[82:83], -v[84:85]
	v_add_f64_e32 v[4:5], v[4:5], v[74:75]
	v_add_f64_e32 v[8:9], v[8:9], v[112:113]
	ds_load_b128 v[62:65], v2 offset:576
	ds_load_b128 v[74:77], v2 offset:592
	s_wait_loadcnt_dscnt 0x801
	v_mul_f64_e32 v[80:81], v[62:63], v[88:89]
	v_mul_f64_e32 v[88:89], v[64:65], v[88:89]
	s_wait_loadcnt_dscnt 0x700
	v_mul_f64_e32 v[82:83], v[76:77], v[92:93]
	v_add_f64_e32 v[4:5], v[4:5], v[78:79]
	v_add_f64_e32 v[8:9], v[8:9], v[110:111]
	v_mul_f64_e32 v[78:79], v[74:75], v[92:93]
	v_fmac_f64_e32 v[80:81], v[64:65], v[86:87]
	v_fma_f64 v[84:85], v[62:63], v[86:87], -v[88:89]
	v_fma_f64 v[74:75], v[74:75], v[90:91], -v[82:83]
	v_add_f64_e32 v[4:5], v[4:5], v[70:71]
	v_add_f64_e32 v[8:9], v[8:9], v[94:95]
	ds_load_b128 v[62:65], v2 offset:608
	ds_load_b128 v[70:73], v2 offset:624
	v_fmac_f64_e32 v[78:79], v[76:77], v[90:91]
	s_wait_loadcnt_dscnt 0x601
	v_mul_f64_e32 v[86:87], v[62:63], v[100:101]
	v_mul_f64_e32 v[88:89], v[64:65], v[100:101]
	v_add_f64_e32 v[4:5], v[4:5], v[84:85]
	v_add_f64_e32 v[8:9], v[8:9], v[80:81]
	s_wait_loadcnt_dscnt 0x400
	v_mul_f64_e32 v[80:81], v[70:71], v[12:13]
	v_mul_f64_e32 v[12:13], v[72:73], v[12:13]
	v_fmac_f64_e32 v[86:87], v[64:65], v[98:99]
	v_fma_f64 v[82:83], v[62:63], v[98:99], -v[88:89]
	v_add_f64_e32 v[4:5], v[4:5], v[74:75]
	v_add_f64_e32 v[8:9], v[8:9], v[78:79]
	ds_load_b128 v[62:65], v2 offset:640
	ds_load_b128 v[74:77], v2 offset:656
	v_fmac_f64_e32 v[80:81], v[72:73], v[10:11]
	v_fma_f64 v[10:11], v[70:71], v[10:11], -v[12:13]
	s_wait_loadcnt_dscnt 0x301
	v_mul_f64_e32 v[78:79], v[62:63], v[116:117]
	v_mul_f64_e32 v[84:85], v[64:65], v[116:117]
	s_wait_loadcnt_dscnt 0x200
	v_mul_f64_e32 v[12:13], v[74:75], v[60:61]
	v_mul_f64_e32 v[60:61], v[76:77], v[60:61]
	v_add_f64_e32 v[4:5], v[4:5], v[82:83]
	v_add_f64_e32 v[8:9], v[8:9], v[86:87]
	v_fmac_f64_e32 v[78:79], v[64:65], v[114:115]
	v_fma_f64 v[62:63], v[62:63], v[114:115], -v[84:85]
	v_fmac_f64_e32 v[12:13], v[76:77], v[58:59]
	v_fma_f64 v[58:59], v[74:75], v[58:59], -v[60:61]
	v_add_f64_e32 v[64:65], v[4:5], v[10:11]
	v_add_f64_e32 v[70:71], v[8:9], v[80:81]
	ds_load_b128 v[8:11], v2 offset:672
	ds_load_b128 v[2:5], v2 offset:688
	s_wait_loadcnt_dscnt 0x101
	v_mul_f64_e32 v[72:73], v[8:9], v[104:105]
	v_mul_f64_e32 v[80:81], v[10:11], v[104:105]
	v_add_f64_e32 v[60:61], v[64:65], v[62:63]
	v_add_f64_e32 v[62:63], v[70:71], v[78:79]
	s_wait_loadcnt_dscnt 0x0
	v_mul_f64_e32 v[64:65], v[2:3], v[68:69]
	v_mul_f64_e32 v[68:69], v[4:5], v[68:69]
	v_fmac_f64_e32 v[72:73], v[10:11], v[102:103]
	v_fma_f64 v[8:9], v[8:9], v[102:103], -v[80:81]
	v_add_f64_e32 v[10:11], v[60:61], v[58:59]
	v_add_f64_e32 v[12:13], v[62:63], v[12:13]
	v_fmac_f64_e32 v[64:65], v[4:5], v[66:67]
	v_fma_f64 v[2:3], v[2:3], v[66:67], -v[68:69]
	s_delay_alu instid0(VALU_DEP_4) | instskip(NEXT) | instid1(VALU_DEP_4)
	v_add_f64_e32 v[4:5], v[10:11], v[8:9]
	v_add_f64_e32 v[8:9], v[12:13], v[72:73]
	s_delay_alu instid0(VALU_DEP_2) | instskip(NEXT) | instid1(VALU_DEP_2)
	v_add_f64_e32 v[2:3], v[4:5], v[2:3]
	v_add_f64_e32 v[4:5], v[8:9], v[64:65]
	s_delay_alu instid0(VALU_DEP_2) | instskip(NEXT) | instid1(VALU_DEP_2)
	v_add_f64_e64 v[2:3], v[106:107], -v[2:3]
	v_add_f64_e64 v[4:5], v[108:109], -v[4:5]
	scratch_store_b128 off, v[2:5], off offset:80
	s_wait_xcnt 0x0
	v_cmpx_lt_u32_e32 4, v1
	s_cbranch_execz .LBB21_137
; %bb.136:
	scratch_load_b128 v[2:5], off, s10
	v_mov_b32_e32 v8, 0
	s_delay_alu instid0(VALU_DEP_1)
	v_dual_mov_b32 v9, v8 :: v_dual_mov_b32 v10, v8
	v_mov_b32_e32 v11, v8
	scratch_store_b128 off, v[8:11], off offset:64
	s_wait_loadcnt 0x0
	ds_store_b128 v6, v[2:5]
.LBB21_137:
	s_wait_xcnt 0x0
	s_or_b32 exec_lo, exec_lo, s2
	s_wait_storecnt_dscnt 0x0
	s_barrier_signal -1
	s_barrier_wait -1
	s_clause 0x9
	scratch_load_b128 v[8:11], off, off offset:80
	scratch_load_b128 v[58:61], off, off offset:96
	;; [unrolled: 1-line block ×10, first 2 shown]
	v_mov_b32_e32 v2, 0
	s_mov_b32 s2, exec_lo
	ds_load_b128 v[94:97], v2 offset:432
	s_clause 0x2
	scratch_load_b128 v[98:101], off, off offset:240
	scratch_load_b128 v[102:105], off, off offset:64
	;; [unrolled: 1-line block ×3, first 2 shown]
	s_wait_loadcnt_dscnt 0xc00
	v_mul_f64_e32 v[4:5], v[96:97], v[10:11]
	v_mul_f64_e32 v[118:119], v[94:95], v[10:11]
	ds_load_b128 v[106:109], v2 offset:448
	scratch_load_b128 v[10:13], off, off offset:256
	ds_load_b128 v[114:117], v2 offset:480
	v_fma_f64 v[4:5], v[94:95], v[8:9], -v[4:5]
	v_fmac_f64_e32 v[118:119], v[96:97], v[8:9]
	ds_load_b128 v[94:97], v2 offset:464
	s_wait_loadcnt_dscnt 0xc02
	v_mul_f64_e32 v[120:121], v[106:107], v[60:61]
	v_mul_f64_e32 v[60:61], v[108:109], v[60:61]
	s_wait_loadcnt_dscnt 0xb00
	v_mul_f64_e32 v[8:9], v[94:95], v[64:65]
	v_mul_f64_e32 v[64:65], v[96:97], v[64:65]
	v_add_f64_e32 v[4:5], 0, v[4:5]
	v_fmac_f64_e32 v[120:121], v[108:109], v[58:59]
	v_fma_f64 v[106:107], v[106:107], v[58:59], -v[60:61]
	v_add_f64_e32 v[108:109], 0, v[118:119]
	scratch_load_b128 v[58:61], off, off offset:288
	v_fmac_f64_e32 v[8:9], v[96:97], v[62:63]
	v_fma_f64 v[122:123], v[94:95], v[62:63], -v[64:65]
	ds_load_b128 v[62:65], v2 offset:496
	s_wait_loadcnt 0xb
	v_mul_f64_e32 v[118:119], v[114:115], v[68:69]
	v_mul_f64_e32 v[68:69], v[116:117], v[68:69]
	scratch_load_b128 v[94:97], off, off offset:304
	v_add_f64_e32 v[4:5], v[4:5], v[106:107]
	v_add_f64_e32 v[120:121], v[108:109], v[120:121]
	ds_load_b128 v[106:109], v2 offset:512
	s_wait_loadcnt_dscnt 0xb01
	v_mul_f64_e32 v[124:125], v[62:63], v[72:73]
	v_mul_f64_e32 v[72:73], v[64:65], v[72:73]
	v_fmac_f64_e32 v[118:119], v[116:117], v[66:67]
	v_fma_f64 v[114:115], v[114:115], v[66:67], -v[68:69]
	scratch_load_b128 v[66:69], off, off offset:320
	v_add_f64_e32 v[4:5], v[4:5], v[122:123]
	v_add_f64_e32 v[8:9], v[120:121], v[8:9]
	v_fmac_f64_e32 v[124:125], v[64:65], v[70:71]
	v_fma_f64 v[122:123], v[62:63], v[70:71], -v[72:73]
	ds_load_b128 v[62:65], v2 offset:528
	s_wait_loadcnt_dscnt 0xb01
	v_mul_f64_e32 v[120:121], v[106:107], v[76:77]
	v_mul_f64_e32 v[76:77], v[108:109], v[76:77]
	scratch_load_b128 v[70:73], off, off offset:336
	v_add_f64_e32 v[4:5], v[4:5], v[114:115]
	v_add_f64_e32 v[8:9], v[8:9], v[118:119]
	s_wait_loadcnt_dscnt 0xb00
	v_mul_f64_e32 v[118:119], v[62:63], v[80:81]
	v_mul_f64_e32 v[80:81], v[64:65], v[80:81]
	ds_load_b128 v[114:117], v2 offset:544
	v_fmac_f64_e32 v[120:121], v[108:109], v[74:75]
	v_fma_f64 v[74:75], v[106:107], v[74:75], -v[76:77]
	s_wait_loadcnt_dscnt 0xa00
	v_mul_f64_e32 v[106:107], v[114:115], v[84:85]
	v_mul_f64_e32 v[84:85], v[116:117], v[84:85]
	v_add_f64_e32 v[4:5], v[4:5], v[122:123]
	v_add_f64_e32 v[8:9], v[8:9], v[124:125]
	v_fmac_f64_e32 v[118:119], v[64:65], v[78:79]
	v_fma_f64 v[78:79], v[62:63], v[78:79], -v[80:81]
	v_fmac_f64_e32 v[106:107], v[116:117], v[82:83]
	v_fma_f64 v[82:83], v[114:115], v[82:83], -v[84:85]
	v_add_f64_e32 v[4:5], v[4:5], v[74:75]
	v_add_f64_e32 v[8:9], v[8:9], v[120:121]
	ds_load_b128 v[62:65], v2 offset:560
	ds_load_b128 v[74:77], v2 offset:576
	s_wait_loadcnt_dscnt 0x901
	v_mul_f64_e32 v[108:109], v[62:63], v[88:89]
	v_mul_f64_e32 v[80:81], v[64:65], v[88:89]
	s_wait_loadcnt_dscnt 0x800
	v_mul_f64_e32 v[84:85], v[74:75], v[92:93]
	v_mul_f64_e32 v[88:89], v[76:77], v[92:93]
	v_add_f64_e32 v[4:5], v[4:5], v[78:79]
	v_add_f64_e32 v[8:9], v[8:9], v[118:119]
	v_fmac_f64_e32 v[108:109], v[64:65], v[86:87]
	v_fma_f64 v[86:87], v[62:63], v[86:87], -v[80:81]
	ds_load_b128 v[62:65], v2 offset:592
	ds_load_b128 v[78:81], v2 offset:608
	v_fmac_f64_e32 v[84:85], v[76:77], v[90:91]
	v_fma_f64 v[74:75], v[74:75], v[90:91], -v[88:89]
	v_add_f64_e32 v[4:5], v[4:5], v[82:83]
	v_add_f64_e32 v[8:9], v[8:9], v[106:107]
	s_wait_loadcnt_dscnt 0x701
	v_mul_f64_e32 v[82:83], v[62:63], v[100:101]
	v_mul_f64_e32 v[92:93], v[64:65], v[100:101]
	s_delay_alu instid0(VALU_DEP_4) | instskip(NEXT) | instid1(VALU_DEP_4)
	v_add_f64_e32 v[4:5], v[4:5], v[86:87]
	v_add_f64_e32 v[8:9], v[8:9], v[108:109]
	s_wait_loadcnt_dscnt 0x400
	v_mul_f64_e32 v[86:87], v[78:79], v[12:13]
	v_mul_f64_e32 v[12:13], v[80:81], v[12:13]
	v_fmac_f64_e32 v[82:83], v[64:65], v[98:99]
	v_fma_f64 v[88:89], v[62:63], v[98:99], -v[92:93]
	v_add_f64_e32 v[4:5], v[4:5], v[74:75]
	v_add_f64_e32 v[8:9], v[8:9], v[84:85]
	ds_load_b128 v[62:65], v2 offset:624
	ds_load_b128 v[74:77], v2 offset:640
	v_fmac_f64_e32 v[86:87], v[80:81], v[10:11]
	v_fma_f64 v[10:11], v[78:79], v[10:11], -v[12:13]
	s_wait_dscnt 0x1
	v_mul_f64_e32 v[84:85], v[62:63], v[112:113]
	v_mul_f64_e32 v[90:91], v[64:65], v[112:113]
	v_add_f64_e32 v[4:5], v[4:5], v[88:89]
	v_add_f64_e32 v[8:9], v[8:9], v[82:83]
	s_wait_loadcnt_dscnt 0x300
	v_mul_f64_e32 v[12:13], v[74:75], v[60:61]
	v_mul_f64_e32 v[78:79], v[76:77], v[60:61]
	v_fmac_f64_e32 v[84:85], v[64:65], v[110:111]
	v_fma_f64 v[64:65], v[62:63], v[110:111], -v[90:91]
	v_add_f64_e32 v[4:5], v[4:5], v[10:11]
	v_add_f64_e32 v[80:81], v[8:9], v[86:87]
	ds_load_b128 v[8:11], v2 offset:656
	ds_load_b128 v[60:63], v2 offset:672
	v_fmac_f64_e32 v[12:13], v[76:77], v[58:59]
	v_fma_f64 v[58:59], v[74:75], v[58:59], -v[78:79]
	s_wait_loadcnt_dscnt 0x201
	v_mul_f64_e32 v[82:83], v[8:9], v[96:97]
	v_mul_f64_e32 v[86:87], v[10:11], v[96:97]
	s_wait_loadcnt_dscnt 0x100
	v_mul_f64_e32 v[74:75], v[60:61], v[68:69]
	v_mul_f64_e32 v[68:69], v[62:63], v[68:69]
	v_add_f64_e32 v[4:5], v[4:5], v[64:65]
	v_add_f64_e32 v[64:65], v[80:81], v[84:85]
	v_fmac_f64_e32 v[82:83], v[10:11], v[94:95]
	v_fma_f64 v[76:77], v[8:9], v[94:95], -v[86:87]
	ds_load_b128 v[8:11], v2 offset:688
	v_fmac_f64_e32 v[74:75], v[62:63], v[66:67]
	v_fma_f64 v[60:61], v[60:61], v[66:67], -v[68:69]
	v_add_f64_e32 v[4:5], v[4:5], v[58:59]
	v_add_f64_e32 v[12:13], v[64:65], v[12:13]
	s_wait_loadcnt_dscnt 0x0
	v_mul_f64_e32 v[58:59], v[8:9], v[72:73]
	v_mul_f64_e32 v[64:65], v[10:11], v[72:73]
	s_delay_alu instid0(VALU_DEP_4) | instskip(NEXT) | instid1(VALU_DEP_4)
	v_add_f64_e32 v[4:5], v[4:5], v[76:77]
	v_add_f64_e32 v[12:13], v[12:13], v[82:83]
	s_delay_alu instid0(VALU_DEP_4) | instskip(NEXT) | instid1(VALU_DEP_4)
	v_fmac_f64_e32 v[58:59], v[10:11], v[70:71]
	v_fma_f64 v[8:9], v[8:9], v[70:71], -v[64:65]
	s_delay_alu instid0(VALU_DEP_4) | instskip(NEXT) | instid1(VALU_DEP_4)
	v_add_f64_e32 v[4:5], v[4:5], v[60:61]
	v_add_f64_e32 v[10:11], v[12:13], v[74:75]
	s_delay_alu instid0(VALU_DEP_2) | instskip(NEXT) | instid1(VALU_DEP_2)
	v_add_f64_e32 v[4:5], v[4:5], v[8:9]
	v_add_f64_e32 v[10:11], v[10:11], v[58:59]
	s_delay_alu instid0(VALU_DEP_2) | instskip(NEXT) | instid1(VALU_DEP_2)
	v_add_f64_e64 v[8:9], v[102:103], -v[4:5]
	v_add_f64_e64 v[10:11], v[104:105], -v[10:11]
	scratch_store_b128 off, v[8:11], off offset:64
	s_wait_xcnt 0x0
	v_cmpx_lt_u32_e32 3, v1
	s_cbranch_execz .LBB21_139
; %bb.138:
	scratch_load_b128 v[8:11], off, s9
	v_dual_mov_b32 v3, v2 :: v_dual_mov_b32 v4, v2
	v_mov_b32_e32 v5, v2
	scratch_store_b128 off, v[2:5], off offset:48
	s_wait_loadcnt 0x0
	ds_store_b128 v6, v[8:11]
.LBB21_139:
	s_wait_xcnt 0x0
	s_or_b32 exec_lo, exec_lo, s2
	s_wait_storecnt_dscnt 0x0
	s_barrier_signal -1
	s_barrier_wait -1
	s_clause 0x9
	scratch_load_b128 v[8:11], off, off offset:64
	scratch_load_b128 v[58:61], off, off offset:80
	;; [unrolled: 1-line block ×10, first 2 shown]
	ds_load_b128 v[94:97], v2 offset:416
	ds_load_b128 v[102:105], v2 offset:432
	s_clause 0x1
	scratch_load_b128 v[98:101], off, off offset:224
	scratch_load_b128 v[106:109], off, off offset:48
	s_mov_b32 s2, exec_lo
	s_wait_loadcnt_dscnt 0xb01
	v_mul_f64_e32 v[4:5], v[96:97], v[10:11]
	v_mul_f64_e32 v[118:119], v[94:95], v[10:11]
	scratch_load_b128 v[10:13], off, off offset:240
	s_wait_loadcnt_dscnt 0xb00
	v_mul_f64_e32 v[120:121], v[102:103], v[60:61]
	v_mul_f64_e32 v[60:61], v[104:105], v[60:61]
	v_fma_f64 v[4:5], v[94:95], v[8:9], -v[4:5]
	v_fmac_f64_e32 v[118:119], v[96:97], v[8:9]
	ds_load_b128 v[94:97], v2 offset:448
	ds_load_b128 v[110:113], v2 offset:464
	scratch_load_b128 v[114:117], off, off offset:256
	v_fmac_f64_e32 v[120:121], v[104:105], v[58:59]
	v_fma_f64 v[102:103], v[102:103], v[58:59], -v[60:61]
	scratch_load_b128 v[58:61], off, off offset:272
	s_wait_loadcnt_dscnt 0xc01
	v_mul_f64_e32 v[8:9], v[94:95], v[64:65]
	v_mul_f64_e32 v[64:65], v[96:97], v[64:65]
	v_add_f64_e32 v[4:5], 0, v[4:5]
	v_add_f64_e32 v[104:105], 0, v[118:119]
	s_wait_loadcnt_dscnt 0xb00
	v_mul_f64_e32 v[118:119], v[110:111], v[68:69]
	v_mul_f64_e32 v[68:69], v[112:113], v[68:69]
	v_fmac_f64_e32 v[8:9], v[96:97], v[62:63]
	v_fma_f64 v[122:123], v[94:95], v[62:63], -v[64:65]
	ds_load_b128 v[62:65], v2 offset:480
	ds_load_b128 v[94:97], v2 offset:496
	v_add_f64_e32 v[4:5], v[4:5], v[102:103]
	v_add_f64_e32 v[120:121], v[104:105], v[120:121]
	scratch_load_b128 v[102:105], off, off offset:288
	v_fmac_f64_e32 v[118:119], v[112:113], v[66:67]
	v_fma_f64 v[110:111], v[110:111], v[66:67], -v[68:69]
	scratch_load_b128 v[66:69], off, off offset:304
	s_wait_loadcnt_dscnt 0xc01
	v_mul_f64_e32 v[124:125], v[62:63], v[72:73]
	v_mul_f64_e32 v[72:73], v[64:65], v[72:73]
	v_add_f64_e32 v[4:5], v[4:5], v[122:123]
	v_add_f64_e32 v[8:9], v[120:121], v[8:9]
	s_wait_loadcnt_dscnt 0xb00
	v_mul_f64_e32 v[120:121], v[94:95], v[76:77]
	v_mul_f64_e32 v[76:77], v[96:97], v[76:77]
	v_fmac_f64_e32 v[124:125], v[64:65], v[70:71]
	v_fma_f64 v[122:123], v[62:63], v[70:71], -v[72:73]
	ds_load_b128 v[62:65], v2 offset:512
	ds_load_b128 v[70:73], v2 offset:528
	v_add_f64_e32 v[4:5], v[4:5], v[110:111]
	v_add_f64_e32 v[8:9], v[8:9], v[118:119]
	scratch_load_b128 v[110:113], off, off offset:320
	s_wait_loadcnt_dscnt 0xb01
	v_mul_f64_e32 v[118:119], v[62:63], v[80:81]
	v_mul_f64_e32 v[80:81], v[64:65], v[80:81]
	v_fmac_f64_e32 v[120:121], v[96:97], v[74:75]
	v_fma_f64 v[94:95], v[94:95], v[74:75], -v[76:77]
	scratch_load_b128 v[74:77], off, off offset:336
	s_wait_loadcnt_dscnt 0xb00
	v_mul_f64_e32 v[96:97], v[70:71], v[84:85]
	v_mul_f64_e32 v[84:85], v[72:73], v[84:85]
	v_add_f64_e32 v[4:5], v[4:5], v[122:123]
	v_add_f64_e32 v[8:9], v[8:9], v[124:125]
	v_fmac_f64_e32 v[118:119], v[64:65], v[78:79]
	v_fma_f64 v[122:123], v[62:63], v[78:79], -v[80:81]
	ds_load_b128 v[62:65], v2 offset:544
	ds_load_b128 v[78:81], v2 offset:560
	v_fmac_f64_e32 v[96:97], v[72:73], v[82:83]
	v_fma_f64 v[70:71], v[70:71], v[82:83], -v[84:85]
	s_wait_loadcnt_dscnt 0x900
	v_mul_f64_e32 v[82:83], v[78:79], v[92:93]
	v_mul_f64_e32 v[84:85], v[80:81], v[92:93]
	v_add_f64_e32 v[4:5], v[4:5], v[94:95]
	v_add_f64_e32 v[8:9], v[8:9], v[120:121]
	v_mul_f64_e32 v[94:95], v[62:63], v[88:89]
	v_mul_f64_e32 v[88:89], v[64:65], v[88:89]
	v_fmac_f64_e32 v[82:83], v[80:81], v[90:91]
	v_fma_f64 v[78:79], v[78:79], v[90:91], -v[84:85]
	v_add_f64_e32 v[4:5], v[4:5], v[122:123]
	v_add_f64_e32 v[8:9], v[8:9], v[118:119]
	v_fmac_f64_e32 v[94:95], v[64:65], v[86:87]
	v_fma_f64 v[86:87], v[62:63], v[86:87], -v[88:89]
	s_delay_alu instid0(VALU_DEP_4) | instskip(NEXT) | instid1(VALU_DEP_4)
	v_add_f64_e32 v[4:5], v[4:5], v[70:71]
	v_add_f64_e32 v[8:9], v[8:9], v[96:97]
	ds_load_b128 v[62:65], v2 offset:576
	ds_load_b128 v[70:73], v2 offset:592
	s_wait_loadcnt_dscnt 0x801
	v_mul_f64_e32 v[88:89], v[62:63], v[100:101]
	v_mul_f64_e32 v[92:93], v[64:65], v[100:101]
	v_add_f64_e32 v[4:5], v[4:5], v[86:87]
	v_add_f64_e32 v[8:9], v[8:9], v[94:95]
	s_wait_loadcnt_dscnt 0x600
	v_mul_f64_e32 v[84:85], v[70:71], v[12:13]
	v_mul_f64_e32 v[12:13], v[72:73], v[12:13]
	v_fmac_f64_e32 v[88:89], v[64:65], v[98:99]
	v_fma_f64 v[86:87], v[62:63], v[98:99], -v[92:93]
	v_add_f64_e32 v[4:5], v[4:5], v[78:79]
	v_add_f64_e32 v[8:9], v[8:9], v[82:83]
	ds_load_b128 v[62:65], v2 offset:608
	ds_load_b128 v[78:81], v2 offset:624
	v_fmac_f64_e32 v[84:85], v[72:73], v[10:11]
	v_fma_f64 v[10:11], v[70:71], v[10:11], -v[12:13]
	s_wait_loadcnt_dscnt 0x501
	v_mul_f64_e32 v[82:83], v[62:63], v[116:117]
	v_mul_f64_e32 v[90:91], v[64:65], v[116:117]
	s_wait_loadcnt_dscnt 0x400
	v_mul_f64_e32 v[12:13], v[78:79], v[60:61]
	v_mul_f64_e32 v[70:71], v[80:81], v[60:61]
	v_add_f64_e32 v[4:5], v[4:5], v[86:87]
	v_add_f64_e32 v[8:9], v[8:9], v[88:89]
	v_fmac_f64_e32 v[82:83], v[64:65], v[114:115]
	v_fma_f64 v[64:65], v[62:63], v[114:115], -v[90:91]
	v_fmac_f64_e32 v[12:13], v[80:81], v[58:59]
	v_fma_f64 v[58:59], v[78:79], v[58:59], -v[70:71]
	v_add_f64_e32 v[4:5], v[4:5], v[10:11]
	v_add_f64_e32 v[72:73], v[8:9], v[84:85]
	ds_load_b128 v[8:11], v2 offset:640
	ds_load_b128 v[60:63], v2 offset:656
	s_wait_loadcnt_dscnt 0x301
	v_mul_f64_e32 v[84:85], v[8:9], v[104:105]
	v_mul_f64_e32 v[86:87], v[10:11], v[104:105]
	s_wait_loadcnt_dscnt 0x200
	v_mul_f64_e32 v[70:71], v[60:61], v[68:69]
	v_mul_f64_e32 v[68:69], v[62:63], v[68:69]
	v_add_f64_e32 v[4:5], v[4:5], v[64:65]
	v_add_f64_e32 v[64:65], v[72:73], v[82:83]
	v_fmac_f64_e32 v[84:85], v[10:11], v[102:103]
	v_fma_f64 v[72:73], v[8:9], v[102:103], -v[86:87]
	v_fmac_f64_e32 v[70:71], v[62:63], v[66:67]
	v_fma_f64 v[60:61], v[60:61], v[66:67], -v[68:69]
	v_add_f64_e32 v[58:59], v[4:5], v[58:59]
	v_add_f64_e32 v[12:13], v[64:65], v[12:13]
	ds_load_b128 v[8:11], v2 offset:672
	ds_load_b128 v[2:5], v2 offset:688
	s_wait_loadcnt_dscnt 0x101
	v_mul_f64_e32 v[64:65], v[8:9], v[112:113]
	v_mul_f64_e32 v[78:79], v[10:11], v[112:113]
	s_wait_loadcnt_dscnt 0x0
	v_mul_f64_e32 v[62:63], v[2:3], v[76:77]
	v_mul_f64_e32 v[66:67], v[4:5], v[76:77]
	v_add_f64_e32 v[58:59], v[58:59], v[72:73]
	v_add_f64_e32 v[12:13], v[12:13], v[84:85]
	v_fmac_f64_e32 v[64:65], v[10:11], v[110:111]
	v_fma_f64 v[8:9], v[8:9], v[110:111], -v[78:79]
	v_fmac_f64_e32 v[62:63], v[4:5], v[74:75]
	v_fma_f64 v[2:3], v[2:3], v[74:75], -v[66:67]
	v_add_f64_e32 v[10:11], v[58:59], v[60:61]
	v_add_f64_e32 v[12:13], v[12:13], v[70:71]
	s_delay_alu instid0(VALU_DEP_2) | instskip(NEXT) | instid1(VALU_DEP_2)
	v_add_f64_e32 v[4:5], v[10:11], v[8:9]
	v_add_f64_e32 v[8:9], v[12:13], v[64:65]
	s_delay_alu instid0(VALU_DEP_2) | instskip(NEXT) | instid1(VALU_DEP_2)
	;; [unrolled: 3-line block ×3, first 2 shown]
	v_add_f64_e64 v[2:3], v[106:107], -v[2:3]
	v_add_f64_e64 v[4:5], v[108:109], -v[4:5]
	scratch_store_b128 off, v[2:5], off offset:48
	s_wait_xcnt 0x0
	v_cmpx_lt_u32_e32 2, v1
	s_cbranch_execz .LBB21_141
; %bb.140:
	scratch_load_b128 v[2:5], off, s8
	v_mov_b32_e32 v8, 0
	s_delay_alu instid0(VALU_DEP_1)
	v_dual_mov_b32 v9, v8 :: v_dual_mov_b32 v10, v8
	v_mov_b32_e32 v11, v8
	scratch_store_b128 off, v[8:11], off offset:32
	s_wait_loadcnt 0x0
	ds_store_b128 v6, v[2:5]
.LBB21_141:
	s_wait_xcnt 0x0
	s_or_b32 exec_lo, exec_lo, s2
	s_wait_storecnt_dscnt 0x0
	s_barrier_signal -1
	s_barrier_wait -1
	s_clause 0x9
	scratch_load_b128 v[8:11], off, off offset:48
	scratch_load_b128 v[58:61], off, off offset:64
	;; [unrolled: 1-line block ×10, first 2 shown]
	v_mov_b32_e32 v2, 0
	s_mov_b32 s2, exec_lo
	v_dual_ashrrev_i32 v21, 31, v20 :: v_dual_ashrrev_i32 v19, 31, v18
	v_ashrrev_i32_e32 v23, 31, v22
	ds_load_b128 v[94:97], v2 offset:400
	s_clause 0x2
	scratch_load_b128 v[98:101], off, off offset:208
	scratch_load_b128 v[102:105], off, off offset:32
	scratch_load_b128 v[110:113], off, off offset:240
	v_ashrrev_i32_e32 v27, 31, v26
	v_ashrrev_i32_e32 v31, 31, v30
	v_dual_ashrrev_i32 v35, 31, v34 :: v_dual_ashrrev_i32 v25, 31, v24
	v_dual_ashrrev_i32 v29, 31, v28 :: v_dual_ashrrev_i32 v39, 31, v38
	;; [unrolled: 1-line block ×4, first 2 shown]
	v_ashrrev_i32_e32 v51, 31, v50
	v_dual_ashrrev_i32 v55, 31, v54 :: v_dual_ashrrev_i32 v41, 31, v40
	v_ashrrev_i32_e32 v45, 31, v44
	v_ashrrev_i32_e32 v49, 31, v48
	;; [unrolled: 1-line block ×3, first 2 shown]
	s_wait_loadcnt_dscnt 0xc00
	v_dual_mul_f64 v[4:5], v[96:97], v[10:11] :: v_dual_ashrrev_i32 v57, 31, v56
	v_mul_f64_e32 v[118:119], v[94:95], v[10:11]
	ds_load_b128 v[106:109], v2 offset:416
	scratch_load_b128 v[10:13], off, off offset:224
	ds_load_b128 v[114:117], v2 offset:448
	v_fma_f64 v[4:5], v[94:95], v[8:9], -v[4:5]
	v_fmac_f64_e32 v[118:119], v[96:97], v[8:9]
	ds_load_b128 v[94:97], v2 offset:432
	s_wait_loadcnt_dscnt 0xc02
	v_mul_f64_e32 v[120:121], v[106:107], v[60:61]
	v_mul_f64_e32 v[60:61], v[108:109], v[60:61]
	s_wait_loadcnt_dscnt 0xb00
	v_mul_f64_e32 v[8:9], v[94:95], v[64:65]
	v_mul_f64_e32 v[64:65], v[96:97], v[64:65]
	v_add_f64_e32 v[4:5], 0, v[4:5]
	v_fmac_f64_e32 v[120:121], v[108:109], v[58:59]
	v_fma_f64 v[106:107], v[106:107], v[58:59], -v[60:61]
	v_add_f64_e32 v[108:109], 0, v[118:119]
	scratch_load_b128 v[58:61], off, off offset:256
	v_fmac_f64_e32 v[8:9], v[96:97], v[62:63]
	v_fma_f64 v[122:123], v[94:95], v[62:63], -v[64:65]
	ds_load_b128 v[62:65], v2 offset:464
	s_wait_loadcnt 0xb
	v_mul_f64_e32 v[118:119], v[114:115], v[68:69]
	v_mul_f64_e32 v[68:69], v[116:117], v[68:69]
	scratch_load_b128 v[94:97], off, off offset:272
	v_add_f64_e32 v[4:5], v[4:5], v[106:107]
	v_add_f64_e32 v[120:121], v[108:109], v[120:121]
	ds_load_b128 v[106:109], v2 offset:480
	s_wait_loadcnt_dscnt 0xb01
	v_mul_f64_e32 v[124:125], v[62:63], v[72:73]
	v_mul_f64_e32 v[72:73], v[64:65], v[72:73]
	v_fmac_f64_e32 v[118:119], v[116:117], v[66:67]
	v_fma_f64 v[114:115], v[114:115], v[66:67], -v[68:69]
	scratch_load_b128 v[66:69], off, off offset:288
	v_add_f64_e32 v[4:5], v[4:5], v[122:123]
	v_add_f64_e32 v[8:9], v[120:121], v[8:9]
	v_fmac_f64_e32 v[124:125], v[64:65], v[70:71]
	v_fma_f64 v[122:123], v[62:63], v[70:71], -v[72:73]
	ds_load_b128 v[62:65], v2 offset:496
	s_wait_loadcnt_dscnt 0xb01
	v_mul_f64_e32 v[120:121], v[106:107], v[76:77]
	v_mul_f64_e32 v[76:77], v[108:109], v[76:77]
	scratch_load_b128 v[70:73], off, off offset:304
	v_add_f64_e32 v[4:5], v[4:5], v[114:115]
	v_add_f64_e32 v[8:9], v[8:9], v[118:119]
	s_wait_loadcnt_dscnt 0xb00
	v_mul_f64_e32 v[118:119], v[62:63], v[80:81]
	v_mul_f64_e32 v[80:81], v[64:65], v[80:81]
	ds_load_b128 v[114:117], v2 offset:512
	v_fmac_f64_e32 v[120:121], v[108:109], v[74:75]
	v_fma_f64 v[106:107], v[106:107], v[74:75], -v[76:77]
	scratch_load_b128 v[74:77], off, off offset:320
	v_add_f64_e32 v[4:5], v[4:5], v[122:123]
	v_add_f64_e32 v[8:9], v[8:9], v[124:125]
	v_fmac_f64_e32 v[118:119], v[64:65], v[78:79]
	v_fma_f64 v[124:125], v[62:63], v[78:79], -v[80:81]
	ds_load_b128 v[62:65], v2 offset:528
	s_wait_loadcnt_dscnt 0xb01
	v_mul_f64_e32 v[122:123], v[114:115], v[84:85]
	v_mul_f64_e32 v[84:85], v[116:117], v[84:85]
	scratch_load_b128 v[78:81], off, off offset:336
	v_add_f64_e32 v[4:5], v[4:5], v[106:107]
	v_add_f64_e32 v[8:9], v[8:9], v[120:121]
	s_wait_loadcnt_dscnt 0xb00
	v_mul_f64_e32 v[120:121], v[62:63], v[88:89]
	ds_load_b128 v[106:109], v2 offset:544
	v_fmac_f64_e32 v[122:123], v[116:117], v[82:83]
	v_fma_f64 v[82:83], v[114:115], v[82:83], -v[84:85]
	v_mul_f64_e32 v[84:85], v[64:65], v[88:89]
	s_wait_loadcnt_dscnt 0xa00
	v_mul_f64_e32 v[88:89], v[106:107], v[92:93]
	v_mul_f64_e32 v[92:93], v[108:109], v[92:93]
	v_add_f64_e32 v[4:5], v[4:5], v[124:125]
	v_add_f64_e32 v[8:9], v[8:9], v[118:119]
	v_fmac_f64_e32 v[120:121], v[64:65], v[86:87]
	v_fma_f64 v[86:87], v[62:63], v[86:87], -v[84:85]
	v_fmac_f64_e32 v[88:89], v[108:109], v[90:91]
	v_fma_f64 v[90:91], v[106:107], v[90:91], -v[92:93]
	v_add_f64_e32 v[4:5], v[4:5], v[82:83]
	v_add_f64_e32 v[8:9], v[8:9], v[122:123]
	ds_load_b128 v[62:65], v2 offset:560
	ds_load_b128 v[82:85], v2 offset:576
	s_wait_loadcnt_dscnt 0x901
	v_mul_f64_e32 v[114:115], v[62:63], v[100:101]
	v_mul_f64_e32 v[100:101], v[64:65], v[100:101]
	s_wait_loadcnt_dscnt 0x600
	v_mul_f64_e32 v[92:93], v[82:83], v[12:13]
	v_add_f64_e32 v[4:5], v[4:5], v[86:87]
	v_add_f64_e32 v[8:9], v[8:9], v[120:121]
	v_mul_f64_e32 v[12:13], v[84:85], v[12:13]
	v_fmac_f64_e32 v[114:115], v[64:65], v[98:99]
	v_fma_f64 v[98:99], v[62:63], v[98:99], -v[100:101]
	v_fmac_f64_e32 v[92:93], v[84:85], v[10:11]
	v_add_f64_e32 v[4:5], v[4:5], v[90:91]
	v_add_f64_e32 v[8:9], v[8:9], v[88:89]
	ds_load_b128 v[62:65], v2 offset:592
	ds_load_b128 v[86:89], v2 offset:608
	v_fma_f64 v[10:11], v[82:83], v[10:11], -v[12:13]
	s_wait_dscnt 0x1
	v_mul_f64_e32 v[90:91], v[62:63], v[112:113]
	v_mul_f64_e32 v[100:101], v[64:65], v[112:113]
	v_add_f64_e32 v[4:5], v[4:5], v[98:99]
	v_add_f64_e32 v[8:9], v[8:9], v[114:115]
	s_wait_loadcnt_dscnt 0x500
	v_mul_f64_e32 v[12:13], v[86:87], v[60:61]
	v_mul_f64_e32 v[82:83], v[88:89], v[60:61]
	v_fmac_f64_e32 v[90:91], v[64:65], v[110:111]
	v_fma_f64 v[64:65], v[62:63], v[110:111], -v[100:101]
	v_add_f64_e32 v[4:5], v[4:5], v[10:11]
	v_add_f64_e32 v[84:85], v[8:9], v[92:93]
	ds_load_b128 v[8:11], v2 offset:624
	ds_load_b128 v[60:63], v2 offset:640
	v_fmac_f64_e32 v[12:13], v[88:89], v[58:59]
	v_fma_f64 v[58:59], v[86:87], v[58:59], -v[82:83]
	s_wait_loadcnt_dscnt 0x401
	v_mul_f64_e32 v[92:93], v[8:9], v[96:97]
	v_mul_f64_e32 v[96:97], v[10:11], v[96:97]
	s_wait_loadcnt_dscnt 0x300
	v_mul_f64_e32 v[86:87], v[60:61], v[68:69]
	v_mul_f64_e32 v[68:69], v[62:63], v[68:69]
	v_add_f64_e32 v[4:5], v[4:5], v[64:65]
	v_add_f64_e32 v[64:65], v[84:85], v[90:91]
	v_fmac_f64_e32 v[92:93], v[10:11], v[94:95]
	v_fma_f64 v[88:89], v[8:9], v[94:95], -v[96:97]
	ds_load_b128 v[8:11], v2 offset:656
	ds_load_b128 v[82:85], v2 offset:672
	v_fmac_f64_e32 v[86:87], v[62:63], v[66:67]
	v_fma_f64 v[60:61], v[60:61], v[66:67], -v[68:69]
	v_add_f64_e32 v[4:5], v[4:5], v[58:59]
	v_add_f64_e32 v[12:13], v[64:65], v[12:13]
	s_wait_loadcnt_dscnt 0x201
	v_mul_f64_e32 v[58:59], v[8:9], v[72:73]
	v_mul_f64_e32 v[64:65], v[10:11], v[72:73]
	s_wait_loadcnt_dscnt 0x100
	v_mul_f64_e32 v[62:63], v[82:83], v[76:77]
	v_mul_f64_e32 v[66:67], v[84:85], v[76:77]
	v_add_f64_e32 v[4:5], v[4:5], v[88:89]
	v_add_f64_e32 v[12:13], v[12:13], v[92:93]
	v_fmac_f64_e32 v[58:59], v[10:11], v[70:71]
	v_fma_f64 v[64:65], v[8:9], v[70:71], -v[64:65]
	ds_load_b128 v[8:11], v2 offset:688
	v_fmac_f64_e32 v[62:63], v[84:85], v[74:75]
	v_fma_f64 v[66:67], v[82:83], v[74:75], -v[66:67]
	s_wait_loadcnt_dscnt 0x0
	v_mul_f64_e32 v[68:69], v[10:11], v[80:81]
	v_add_f64_e32 v[4:5], v[4:5], v[60:61]
	v_add_f64_e32 v[12:13], v[12:13], v[86:87]
	v_mul_f64_e32 v[60:61], v[8:9], v[80:81]
	s_delay_alu instid0(VALU_DEP_4) | instskip(NEXT) | instid1(VALU_DEP_4)
	v_fma_f64 v[8:9], v[8:9], v[78:79], -v[68:69]
	v_add_f64_e32 v[4:5], v[4:5], v[64:65]
	s_delay_alu instid0(VALU_DEP_4) | instskip(NEXT) | instid1(VALU_DEP_4)
	v_add_f64_e32 v[12:13], v[12:13], v[58:59]
	v_fmac_f64_e32 v[60:61], v[10:11], v[78:79]
	s_delay_alu instid0(VALU_DEP_3) | instskip(NEXT) | instid1(VALU_DEP_3)
	v_add_f64_e32 v[4:5], v[4:5], v[66:67]
	v_add_f64_e32 v[10:11], v[12:13], v[62:63]
	s_delay_alu instid0(VALU_DEP_2) | instskip(NEXT) | instid1(VALU_DEP_2)
	v_add_f64_e32 v[4:5], v[4:5], v[8:9]
	v_add_f64_e32 v[10:11], v[10:11], v[60:61]
	s_delay_alu instid0(VALU_DEP_2) | instskip(NEXT) | instid1(VALU_DEP_2)
	v_add_f64_e64 v[8:9], v[102:103], -v[4:5]
	v_add_f64_e64 v[10:11], v[104:105], -v[10:11]
	scratch_store_b128 off, v[8:11], off offset:32
	s_wait_xcnt 0x0
	v_cmpx_lt_u32_e32 1, v1
	s_cbranch_execz .LBB21_143
; %bb.142:
	scratch_load_b128 v[8:11], off, s11
	v_dual_mov_b32 v3, v2 :: v_dual_mov_b32 v4, v2
	v_mov_b32_e32 v5, v2
	scratch_store_b128 off, v[2:5], off offset:16
	s_wait_loadcnt 0x0
	ds_store_b128 v6, v[8:11]
.LBB21_143:
	s_wait_xcnt 0x0
	s_or_b32 exec_lo, exec_lo, s2
	s_wait_storecnt_dscnt 0x0
	s_barrier_signal -1
	s_barrier_wait -1
	s_clause 0x9
	scratch_load_b128 v[8:11], off, off offset:32
	scratch_load_b128 v[58:61], off, off offset:48
	;; [unrolled: 1-line block ×10, first 2 shown]
	ds_load_b128 v[94:97], v2 offset:384
	s_clause 0x2
	scratch_load_b128 v[98:101], off, off offset:192
	scratch_load_b128 v[106:109], off, off offset:224
	;; [unrolled: 1-line block ×3, first 2 shown]
	s_mov_b32 s2, exec_lo
	s_wait_loadcnt_dscnt 0xc00
	v_mul_f64_e32 v[4:5], v[96:97], v[10:11]
	v_mul_f64_e32 v[110:111], v[94:95], v[10:11]
	ds_load_b128 v[10:13], v2 offset:400
	v_fma_f64 v[4:5], v[94:95], v[8:9], -v[4:5]
	v_fmac_f64_e32 v[110:111], v[96:97], v[8:9]
	ds_load_b128 v[94:97], v2 offset:416
	s_wait_loadcnt_dscnt 0xb01
	v_mul_f64_e32 v[112:113], v[10:11], v[60:61]
	v_mul_f64_e32 v[60:61], v[12:13], v[60:61]
	s_wait_loadcnt_dscnt 0xa00
	v_mul_f64_e32 v[114:115], v[94:95], v[64:65]
	v_mul_f64_e32 v[64:65], v[96:97], v[64:65]
	v_add_f64_e32 v[4:5], 0, v[4:5]
	v_add_f64_e32 v[110:111], 0, v[110:111]
	v_fmac_f64_e32 v[112:113], v[12:13], v[58:59]
	v_fma_f64 v[12:13], v[10:11], v[58:59], -v[60:61]
	ds_load_b128 v[8:11], v2 offset:432
	scratch_load_b128 v[58:61], off, off offset:240
	v_fmac_f64_e32 v[114:115], v[96:97], v[62:63]
	v_fma_f64 v[118:119], v[94:95], v[62:63], -v[64:65]
	ds_load_b128 v[62:65], v2 offset:448
	s_wait_loadcnt_dscnt 0xa01
	v_mul_f64_e32 v[116:117], v[8:9], v[68:69]
	v_mul_f64_e32 v[68:69], v[10:11], v[68:69]
	scratch_load_b128 v[94:97], off, off offset:256
	v_add_f64_e32 v[4:5], v[4:5], v[12:13]
	v_add_f64_e32 v[12:13], v[110:111], v[112:113]
	s_wait_loadcnt_dscnt 0xa00
	v_mul_f64_e32 v[110:111], v[62:63], v[72:73]
	v_mul_f64_e32 v[72:73], v[64:65], v[72:73]
	v_fmac_f64_e32 v[116:117], v[10:11], v[66:67]
	v_fma_f64 v[112:113], v[8:9], v[66:67], -v[68:69]
	ds_load_b128 v[8:11], v2 offset:464
	scratch_load_b128 v[66:69], off, off offset:272
	v_add_f64_e32 v[4:5], v[4:5], v[118:119]
	v_add_f64_e32 v[12:13], v[12:13], v[114:115]
	v_fmac_f64_e32 v[110:111], v[64:65], v[70:71]
	v_fma_f64 v[118:119], v[62:63], v[70:71], -v[72:73]
	ds_load_b128 v[62:65], v2 offset:480
	s_wait_loadcnt_dscnt 0xa01
	v_mul_f64_e32 v[114:115], v[8:9], v[76:77]
	v_mul_f64_e32 v[76:77], v[10:11], v[76:77]
	scratch_load_b128 v[70:73], off, off offset:288
	v_add_f64_e32 v[4:5], v[4:5], v[112:113]
	v_add_f64_e32 v[12:13], v[12:13], v[116:117]
	s_wait_loadcnt_dscnt 0xa00
	v_mul_f64_e32 v[112:113], v[62:63], v[80:81]
	v_mul_f64_e32 v[80:81], v[64:65], v[80:81]
	v_fmac_f64_e32 v[114:115], v[10:11], v[74:75]
	v_fma_f64 v[116:117], v[8:9], v[74:75], -v[76:77]
	ds_load_b128 v[8:11], v2 offset:496
	scratch_load_b128 v[74:77], off, off offset:304
	v_add_f64_e32 v[4:5], v[4:5], v[118:119]
	v_add_f64_e32 v[12:13], v[12:13], v[110:111]
	v_fmac_f64_e32 v[112:113], v[64:65], v[78:79]
	v_fma_f64 v[118:119], v[62:63], v[78:79], -v[80:81]
	ds_load_b128 v[62:65], v2 offset:512
	s_wait_loadcnt_dscnt 0xa01
	v_mul_f64_e32 v[110:111], v[8:9], v[84:85]
	v_mul_f64_e32 v[84:85], v[10:11], v[84:85]
	scratch_load_b128 v[78:81], off, off offset:320
	v_add_f64_e32 v[4:5], v[4:5], v[116:117]
	v_add_f64_e32 v[12:13], v[12:13], v[114:115]
	s_wait_loadcnt_dscnt 0xa00
	v_mul_f64_e32 v[114:115], v[62:63], v[88:89]
	v_mul_f64_e32 v[88:89], v[64:65], v[88:89]
	v_fmac_f64_e32 v[110:111], v[10:11], v[82:83]
	v_fma_f64 v[116:117], v[8:9], v[82:83], -v[84:85]
	ds_load_b128 v[8:11], v2 offset:528
	scratch_load_b128 v[82:85], off, off offset:336
	v_add_f64_e32 v[4:5], v[4:5], v[118:119]
	v_add_f64_e32 v[12:13], v[12:13], v[112:113]
	v_fmac_f64_e32 v[114:115], v[64:65], v[86:87]
	v_fma_f64 v[86:87], v[62:63], v[86:87], -v[88:89]
	ds_load_b128 v[62:65], v2 offset:544
	s_wait_loadcnt_dscnt 0xa01
	v_mul_f64_e32 v[112:113], v[8:9], v[92:93]
	v_mul_f64_e32 v[92:93], v[10:11], v[92:93]
	s_wait_loadcnt_dscnt 0x900
	v_mul_f64_e32 v[88:89], v[64:65], v[100:101]
	v_add_f64_e32 v[4:5], v[4:5], v[116:117]
	v_add_f64_e32 v[12:13], v[12:13], v[110:111]
	v_mul_f64_e32 v[110:111], v[62:63], v[100:101]
	v_fmac_f64_e32 v[112:113], v[10:11], v[90:91]
	v_fma_f64 v[90:91], v[8:9], v[90:91], -v[92:93]
	ds_load_b128 v[8:11], v2 offset:560
	v_add_f64_e32 v[4:5], v[4:5], v[86:87]
	v_add_f64_e32 v[12:13], v[12:13], v[114:115]
	v_fmac_f64_e32 v[110:111], v[64:65], v[98:99]
	v_fma_f64 v[98:99], v[62:63], v[98:99], -v[88:89]
	ds_load_b128 v[62:65], v2 offset:576
	scratch_load_b128 v[86:89], off, off offset:16
	s_wait_loadcnt_dscnt 0x801
	v_mul_f64_e32 v[92:93], v[8:9], v[104:105]
	v_mul_f64_e32 v[100:101], v[10:11], v[104:105]
	s_wait_dscnt 0x0
	v_mul_f64_e32 v[104:105], v[64:65], v[108:109]
	v_add_f64_e32 v[4:5], v[4:5], v[90:91]
	v_add_f64_e32 v[12:13], v[12:13], v[112:113]
	v_mul_f64_e32 v[90:91], v[62:63], v[108:109]
	v_fmac_f64_e32 v[92:93], v[10:11], v[102:103]
	v_fma_f64 v[100:101], v[8:9], v[102:103], -v[100:101]
	ds_load_b128 v[8:11], v2 offset:592
	v_add_f64_e32 v[4:5], v[4:5], v[98:99]
	v_add_f64_e32 v[12:13], v[12:13], v[110:111]
	s_wait_loadcnt_dscnt 0x700
	v_mul_f64_e32 v[98:99], v[8:9], v[60:61]
	v_mul_f64_e32 v[102:103], v[10:11], v[60:61]
	v_fmac_f64_e32 v[90:91], v[64:65], v[106:107]
	v_fma_f64 v[64:65], v[62:63], v[106:107], -v[104:105]
	ds_load_b128 v[60:63], v2 offset:608
	v_add_f64_e32 v[4:5], v[4:5], v[100:101]
	v_add_f64_e32 v[12:13], v[12:13], v[92:93]
	v_fmac_f64_e32 v[98:99], v[10:11], v[58:59]
	v_fma_f64 v[58:59], v[8:9], v[58:59], -v[102:103]
	ds_load_b128 v[8:11], v2 offset:624
	s_wait_loadcnt_dscnt 0x601
	v_mul_f64_e32 v[92:93], v[60:61], v[96:97]
	v_mul_f64_e32 v[96:97], v[62:63], v[96:97]
	v_add_f64_e32 v[4:5], v[4:5], v[64:65]
	v_add_f64_e32 v[12:13], v[12:13], v[90:91]
	s_wait_loadcnt_dscnt 0x500
	v_mul_f64_e32 v[64:65], v[8:9], v[68:69]
	v_mul_f64_e32 v[68:69], v[10:11], v[68:69]
	v_fmac_f64_e32 v[92:93], v[62:63], v[94:95]
	v_fma_f64 v[62:63], v[60:61], v[94:95], -v[96:97]
	v_add_f64_e32 v[4:5], v[4:5], v[58:59]
	v_add_f64_e32 v[12:13], v[12:13], v[98:99]
	ds_load_b128 v[58:61], v2 offset:640
	v_fmac_f64_e32 v[64:65], v[10:11], v[66:67]
	v_fma_f64 v[66:67], v[8:9], v[66:67], -v[68:69]
	ds_load_b128 v[8:11], v2 offset:656
	s_wait_loadcnt_dscnt 0x401
	v_mul_f64_e32 v[90:91], v[58:59], v[72:73]
	v_mul_f64_e32 v[72:73], v[60:61], v[72:73]
	s_wait_loadcnt_dscnt 0x300
	v_mul_f64_e32 v[68:69], v[10:11], v[76:77]
	v_add_f64_e32 v[4:5], v[4:5], v[62:63]
	v_add_f64_e32 v[12:13], v[12:13], v[92:93]
	v_mul_f64_e32 v[62:63], v[8:9], v[76:77]
	v_fmac_f64_e32 v[90:91], v[60:61], v[70:71]
	v_fma_f64 v[70:71], v[58:59], v[70:71], -v[72:73]
	ds_load_b128 v[58:61], v2 offset:672
	v_fma_f64 v[8:9], v[8:9], v[74:75], -v[68:69]
	v_add_f64_e32 v[4:5], v[4:5], v[66:67]
	v_add_f64_e32 v[12:13], v[12:13], v[64:65]
	v_fmac_f64_e32 v[62:63], v[10:11], v[74:75]
	s_wait_loadcnt_dscnt 0x200
	v_mul_f64_e32 v[64:65], v[58:59], v[80:81]
	v_mul_f64_e32 v[66:67], v[60:61], v[80:81]
	v_add_f64_e32 v[10:11], v[4:5], v[70:71]
	v_add_f64_e32 v[12:13], v[12:13], v[90:91]
	ds_load_b128 v[2:5], v2 offset:688
	v_fmac_f64_e32 v[64:65], v[60:61], v[78:79]
	v_fma_f64 v[58:59], v[58:59], v[78:79], -v[66:67]
	s_wait_loadcnt_dscnt 0x100
	v_mul_f64_e32 v[68:69], v[2:3], v[84:85]
	v_mul_f64_e32 v[70:71], v[4:5], v[84:85]
	v_add_f64_e32 v[8:9], v[10:11], v[8:9]
	v_add_f64_e32 v[10:11], v[12:13], v[62:63]
	s_delay_alu instid0(VALU_DEP_4) | instskip(NEXT) | instid1(VALU_DEP_4)
	v_fmac_f64_e32 v[68:69], v[4:5], v[82:83]
	v_fma_f64 v[2:3], v[2:3], v[82:83], -v[70:71]
	s_delay_alu instid0(VALU_DEP_4) | instskip(NEXT) | instid1(VALU_DEP_4)
	v_add_f64_e32 v[4:5], v[8:9], v[58:59]
	v_add_f64_e32 v[8:9], v[10:11], v[64:65]
	s_delay_alu instid0(VALU_DEP_2) | instskip(NEXT) | instid1(VALU_DEP_2)
	v_add_f64_e32 v[2:3], v[4:5], v[2:3]
	v_add_f64_e32 v[4:5], v[8:9], v[68:69]
	s_wait_loadcnt 0x0
	s_delay_alu instid0(VALU_DEP_2) | instskip(NEXT) | instid1(VALU_DEP_2)
	v_add_f64_e64 v[2:3], v[86:87], -v[2:3]
	v_add_f64_e64 v[4:5], v[88:89], -v[4:5]
	scratch_store_b128 off, v[2:5], off offset:16
	s_wait_xcnt 0x0
	v_cmpx_ne_u32_e32 0, v1
	s_cbranch_execz .LBB21_145
; %bb.144:
	scratch_load_b128 v[2:5], off, off
	v_mov_b32_e32 v8, 0
	s_delay_alu instid0(VALU_DEP_1)
	v_dual_mov_b32 v9, v8 :: v_dual_mov_b32 v10, v8
	v_mov_b32_e32 v11, v8
	scratch_store_b128 off, v[8:11], off
	s_wait_loadcnt 0x0
	ds_store_b128 v6, v[2:5]
.LBB21_145:
	s_wait_xcnt 0x0
	s_or_b32 exec_lo, exec_lo, s2
	s_wait_storecnt_dscnt 0x0
	s_barrier_signal -1
	s_barrier_wait -1
	s_clause 0x9
	scratch_load_b128 v[2:5], off, off offset:16
	scratch_load_b128 v[6:9], off, off offset:32
	;; [unrolled: 1-line block ×10, first 2 shown]
	v_mov_b32_e32 v58, 0
	s_and_b32 vcc_lo, exec_lo, s34
	ds_load_b128 v[88:91], v58 offset:368
	s_clause 0x2
	scratch_load_b128 v[92:95], off, off offset:176
	scratch_load_b128 v[96:99], off, off
	scratch_load_b128 v[104:107], off, off offset:192
	s_wait_loadcnt_dscnt 0xc00
	v_mul_f64_e32 v[108:109], v[90:91], v[4:5]
	v_mul_f64_e32 v[112:113], v[88:89], v[4:5]
	ds_load_b128 v[100:103], v58 offset:384
	v_fma_f64 v[116:117], v[88:89], v[2:3], -v[108:109]
	v_fmac_f64_e32 v[112:113], v[90:91], v[2:3]
	ds_load_b128 v[2:5], v58 offset:400
	s_wait_loadcnt_dscnt 0xb01
	v_mul_f64_e32 v[114:115], v[100:101], v[8:9]
	v_mul_f64_e32 v[8:9], v[102:103], v[8:9]
	scratch_load_b128 v[88:91], off, off offset:208
	ds_load_b128 v[108:111], v58 offset:416
	s_wait_loadcnt_dscnt 0xb01
	v_mul_f64_e32 v[118:119], v[2:3], v[12:13]
	v_mul_f64_e32 v[12:13], v[4:5], v[12:13]
	v_add_f64_e32 v[112:113], 0, v[112:113]
	v_fmac_f64_e32 v[114:115], v[102:103], v[6:7]
	v_fma_f64 v[100:101], v[100:101], v[6:7], -v[8:9]
	v_add_f64_e32 v[102:103], 0, v[116:117]
	scratch_load_b128 v[6:9], off, off offset:224
	v_fmac_f64_e32 v[118:119], v[4:5], v[10:11]
	v_fma_f64 v[120:121], v[2:3], v[10:11], -v[12:13]
	ds_load_b128 v[2:5], v58 offset:432
	s_wait_loadcnt_dscnt 0xb01
	v_mul_f64_e32 v[116:117], v[108:109], v[62:63]
	v_mul_f64_e32 v[62:63], v[110:111], v[62:63]
	scratch_load_b128 v[10:13], off, off offset:240
	v_add_f64_e32 v[112:113], v[112:113], v[114:115]
	v_add_f64_e32 v[122:123], v[102:103], v[100:101]
	ds_load_b128 v[100:103], v58 offset:448
	s_wait_loadcnt_dscnt 0xb01
	v_mul_f64_e32 v[114:115], v[2:3], v[66:67]
	v_mul_f64_e32 v[66:67], v[4:5], v[66:67]
	v_fmac_f64_e32 v[116:117], v[110:111], v[60:61]
	v_fma_f64 v[108:109], v[108:109], v[60:61], -v[62:63]
	scratch_load_b128 v[60:63], off, off offset:256
	v_add_f64_e32 v[112:113], v[112:113], v[118:119]
	v_add_f64_e32 v[110:111], v[122:123], v[120:121]
	v_fmac_f64_e32 v[114:115], v[4:5], v[64:65]
	v_fma_f64 v[120:121], v[2:3], v[64:65], -v[66:67]
	ds_load_b128 v[2:5], v58 offset:464
	s_wait_loadcnt_dscnt 0xb01
	v_mul_f64_e32 v[118:119], v[100:101], v[70:71]
	v_mul_f64_e32 v[70:71], v[102:103], v[70:71]
	scratch_load_b128 v[64:67], off, off offset:272
	v_add_f64_e32 v[112:113], v[112:113], v[116:117]
	s_wait_loadcnt_dscnt 0xb00
	v_mul_f64_e32 v[116:117], v[2:3], v[74:75]
	v_add_f64_e32 v[122:123], v[110:111], v[108:109]
	v_mul_f64_e32 v[74:75], v[4:5], v[74:75]
	ds_load_b128 v[108:111], v58 offset:480
	v_fmac_f64_e32 v[118:119], v[102:103], v[68:69]
	v_fma_f64 v[100:101], v[100:101], v[68:69], -v[70:71]
	scratch_load_b128 v[68:71], off, off offset:288
	v_add_f64_e32 v[112:113], v[112:113], v[114:115]
	v_fmac_f64_e32 v[116:117], v[4:5], v[72:73]
	v_add_f64_e32 v[102:103], v[122:123], v[120:121]
	v_fma_f64 v[120:121], v[2:3], v[72:73], -v[74:75]
	ds_load_b128 v[2:5], v58 offset:496
	s_wait_loadcnt_dscnt 0xb01
	v_mul_f64_e32 v[114:115], v[108:109], v[78:79]
	v_mul_f64_e32 v[78:79], v[110:111], v[78:79]
	scratch_load_b128 v[72:75], off, off offset:304
	v_add_f64_e32 v[112:113], v[112:113], v[118:119]
	s_wait_loadcnt_dscnt 0xb00
	v_mul_f64_e32 v[118:119], v[2:3], v[82:83]
	v_add_f64_e32 v[122:123], v[102:103], v[100:101]
	v_mul_f64_e32 v[82:83], v[4:5], v[82:83]
	ds_load_b128 v[100:103], v58 offset:512
	v_fmac_f64_e32 v[114:115], v[110:111], v[76:77]
	v_fma_f64 v[108:109], v[108:109], v[76:77], -v[78:79]
	scratch_load_b128 v[76:79], off, off offset:320
	v_add_f64_e32 v[112:113], v[112:113], v[116:117]
	v_fmac_f64_e32 v[118:119], v[4:5], v[80:81]
	v_add_f64_e32 v[110:111], v[122:123], v[120:121]
	v_fma_f64 v[120:121], v[2:3], v[80:81], -v[82:83]
	ds_load_b128 v[2:5], v58 offset:528
	s_wait_loadcnt_dscnt 0xb01
	v_mul_f64_e32 v[116:117], v[100:101], v[86:87]
	v_mul_f64_e32 v[86:87], v[102:103], v[86:87]
	scratch_load_b128 v[80:83], off, off offset:336
	v_add_f64_e32 v[112:113], v[112:113], v[114:115]
	s_wait_loadcnt_dscnt 0xb00
	v_mul_f64_e32 v[114:115], v[2:3], v[94:95]
	v_add_f64_e32 v[122:123], v[110:111], v[108:109]
	v_mul_f64_e32 v[94:95], v[4:5], v[94:95]
	ds_load_b128 v[108:111], v58 offset:544
	v_fmac_f64_e32 v[116:117], v[102:103], v[84:85]
	v_fma_f64 v[84:85], v[100:101], v[84:85], -v[86:87]
	s_wait_loadcnt_dscnt 0x900
	v_mul_f64_e32 v[102:103], v[108:109], v[106:107]
	v_mul_f64_e32 v[106:107], v[110:111], v[106:107]
	v_add_f64_e32 v[100:101], v[112:113], v[118:119]
	v_fmac_f64_e32 v[114:115], v[4:5], v[92:93]
	v_add_f64_e32 v[86:87], v[122:123], v[120:121]
	v_fma_f64 v[92:93], v[2:3], v[92:93], -v[94:95]
	v_fmac_f64_e32 v[102:103], v[110:111], v[104:105]
	v_fma_f64 v[104:105], v[108:109], v[104:105], -v[106:107]
	v_add_f64_e32 v[100:101], v[100:101], v[116:117]
	v_add_f64_e32 v[94:95], v[86:87], v[84:85]
	ds_load_b128 v[2:5], v58 offset:560
	ds_load_b128 v[84:87], v58 offset:576
	s_wait_loadcnt_dscnt 0x801
	v_mul_f64_e32 v[112:113], v[2:3], v[90:91]
	v_mul_f64_e32 v[90:91], v[4:5], v[90:91]
	v_add_f64_e32 v[92:93], v[94:95], v[92:93]
	v_add_f64_e32 v[94:95], v[100:101], v[114:115]
	s_wait_loadcnt_dscnt 0x700
	v_mul_f64_e32 v[100:101], v[84:85], v[8:9]
	v_mul_f64_e32 v[8:9], v[86:87], v[8:9]
	v_fmac_f64_e32 v[112:113], v[4:5], v[88:89]
	v_fma_f64 v[106:107], v[2:3], v[88:89], -v[90:91]
	ds_load_b128 v[2:5], v58 offset:592
	ds_load_b128 v[88:91], v58 offset:608
	v_add_f64_e32 v[92:93], v[92:93], v[104:105]
	v_add_f64_e32 v[94:95], v[94:95], v[102:103]
	v_fmac_f64_e32 v[100:101], v[86:87], v[6:7]
	v_fma_f64 v[6:7], v[84:85], v[6:7], -v[8:9]
	s_wait_loadcnt_dscnt 0x601
	v_mul_f64_e32 v[102:103], v[2:3], v[12:13]
	v_mul_f64_e32 v[12:13], v[4:5], v[12:13]
	s_wait_loadcnt_dscnt 0x500
	v_mul_f64_e32 v[86:87], v[88:89], v[62:63]
	v_mul_f64_e32 v[62:63], v[90:91], v[62:63]
	v_add_f64_e32 v[8:9], v[92:93], v[106:107]
	v_add_f64_e32 v[84:85], v[94:95], v[112:113]
	v_fmac_f64_e32 v[102:103], v[4:5], v[10:11]
	v_fma_f64 v[10:11], v[2:3], v[10:11], -v[12:13]
	v_fmac_f64_e32 v[86:87], v[90:91], v[60:61]
	v_fma_f64 v[60:61], v[88:89], v[60:61], -v[62:63]
	v_add_f64_e32 v[12:13], v[8:9], v[6:7]
	v_add_f64_e32 v[84:85], v[84:85], v[100:101]
	ds_load_b128 v[2:5], v58 offset:624
	ds_load_b128 v[6:9], v58 offset:640
	s_wait_loadcnt_dscnt 0x401
	v_mul_f64_e32 v[92:93], v[2:3], v[66:67]
	v_mul_f64_e32 v[66:67], v[4:5], v[66:67]
	s_wait_loadcnt_dscnt 0x300
	v_mul_f64_e32 v[62:63], v[6:7], v[70:71]
	v_mul_f64_e32 v[70:71], v[8:9], v[70:71]
	v_add_f64_e32 v[10:11], v[12:13], v[10:11]
	v_add_f64_e32 v[12:13], v[84:85], v[102:103]
	v_fmac_f64_e32 v[92:93], v[4:5], v[64:65]
	v_fma_f64 v[64:65], v[2:3], v[64:65], -v[66:67]
	v_fmac_f64_e32 v[62:63], v[8:9], v[68:69]
	v_fma_f64 v[6:7], v[6:7], v[68:69], -v[70:71]
	v_add_f64_e32 v[60:61], v[10:11], v[60:61]
	v_add_f64_e32 v[66:67], v[12:13], v[86:87]
	ds_load_b128 v[2:5], v58 offset:656
	ds_load_b128 v[10:13], v58 offset:672
	s_wait_loadcnt_dscnt 0x201
	v_mul_f64_e32 v[84:85], v[2:3], v[74:75]
	v_mul_f64_e32 v[74:75], v[4:5], v[74:75]
	v_add_f64_e32 v[8:9], v[60:61], v[64:65]
	v_add_f64_e32 v[60:61], v[66:67], v[92:93]
	s_wait_loadcnt_dscnt 0x100
	v_mul_f64_e32 v[64:65], v[10:11], v[78:79]
	v_mul_f64_e32 v[66:67], v[12:13], v[78:79]
	v_fmac_f64_e32 v[84:85], v[4:5], v[72:73]
	v_fma_f64 v[68:69], v[2:3], v[72:73], -v[74:75]
	ds_load_b128 v[2:5], v58 offset:688
	v_add_f64_e32 v[6:7], v[8:9], v[6:7]
	v_add_f64_e32 v[8:9], v[60:61], v[62:63]
	v_fmac_f64_e32 v[64:65], v[12:13], v[76:77]
	v_fma_f64 v[10:11], v[10:11], v[76:77], -v[66:67]
	v_lshl_add_u64 v[12:13], v[28:29], 4, s[4:5]
	v_lshl_add_u64 v[28:29], v[40:41], 4, s[4:5]
	;; [unrolled: 1-line block ×3, first 2 shown]
	s_wait_loadcnt_dscnt 0x0
	v_mul_f64_e32 v[60:61], v[2:3], v[82:83]
	v_mul_f64_e32 v[62:63], v[4:5], v[82:83]
	v_add_f64_e32 v[6:7], v[6:7], v[68:69]
	v_add_f64_e32 v[8:9], v[8:9], v[84:85]
	s_delay_alu instid0(VALU_DEP_4) | instskip(NEXT) | instid1(VALU_DEP_4)
	v_fmac_f64_e32 v[60:61], v[4:5], v[80:81]
	v_fma_f64 v[2:3], v[2:3], v[80:81], -v[62:63]
	s_delay_alu instid0(VALU_DEP_4) | instskip(NEXT) | instid1(VALU_DEP_4)
	v_add_f64_e32 v[4:5], v[6:7], v[10:11]
	v_add_f64_e32 v[6:7], v[8:9], v[64:65]
	v_lshl_add_u64 v[8:9], v[24:25], 4, s[4:5]
	v_lshl_add_u64 v[10:11], v[26:27], 4, s[4:5]
	;; [unrolled: 1-line block ×6, first 2 shown]
	v_add_f64_e32 v[2:3], v[4:5], v[2:3]
	v_add_f64_e32 v[4:5], v[6:7], v[60:61]
	v_lshl_add_u64 v[6:7], v[22:23], 4, s[4:5]
	v_lshl_add_u64 v[22:23], v[34:35], 4, s[4:5]
	;; [unrolled: 1-line block ×3, first 2 shown]
	v_add_f64_e64 v[60:61], v[96:97], -v[2:3]
	v_add_f64_e64 v[62:63], v[98:99], -v[4:5]
	v_lshl_add_u64 v[2:3], v[18:19], 4, s[4:5]
	v_lshl_add_u64 v[4:5], v[20:21], 4, s[4:5]
	v_lshl_add_u64 v[18:19], v[30:31], 4, s[4:5]
	v_lshl_add_u64 v[20:21], v[32:33], 4, s[4:5]
	v_lshl_add_u64 v[30:31], v[42:43], 4, s[4:5]
	v_lshl_add_u64 v[32:33], v[44:45], 4, s[4:5]
	v_lshl_add_u64 v[42:43], v[54:55], 4, s[4:5]
	v_lshl_add_u64 v[44:45], v[56:57], 4, s[4:5]
	scratch_store_b128 off, v[60:63], off
	s_cbranch_vccz .LBB21_188
; %bb.146:
	global_load_b32 v46, v58, s[16:17] offset:80
	s_load_b64 s[2:3], s[0:1], 0x4
	v_bfe_u32 v47, v0, 10, 10
	v_bfe_u32 v0, v0, 20, 10
	s_wait_kmcnt 0x0
	s_lshr_b32 s0, s2, 16
	s_delay_alu instid0(VALU_DEP_2) | instskip(SKIP_1) | instid1(SALU_CYCLE_1)
	v_mul_u32_u24_e32 v47, s3, v47
	s_mul_i32 s0, s0, s3
	v_mul_u32_u24_e32 v1, s0, v1
	s_delay_alu instid0(VALU_DEP_1) | instskip(NEXT) | instid1(VALU_DEP_1)
	v_add3_u32 v0, v1, v47, v0
	v_lshl_add_u32 v0, v0, 4, 0x2c8
	s_wait_loadcnt 0x0
	v_cmp_ne_u32_e32 vcc_lo, 21, v46
	s_cbranch_vccz .LBB21_148
; %bb.147:
	v_lshlrev_b32_e32 v1, 4, v46
	s_clause 0x1
	scratch_load_b128 v[46:49], off, s26
	scratch_load_b128 v[50:53], v1, off offset:-16
	s_wait_loadcnt 0x1
	ds_store_2addr_b64 v0, v[46:47], v[48:49] offset1:1
	s_wait_loadcnt 0x0
	s_clause 0x1
	scratch_store_b128 off, v[50:53], s26
	scratch_store_b128 v1, v[46:49], off offset:-16
.LBB21_148:
	s_wait_xcnt 0x0
	v_mov_b32_e32 v1, 0
	global_load_b32 v46, v1, s[16:17] offset:76
	s_wait_loadcnt 0x0
	v_cmp_eq_u32_e32 vcc_lo, 20, v46
	s_cbranch_vccnz .LBB21_150
; %bb.149:
	v_lshlrev_b32_e32 v46, 4, v46
	s_delay_alu instid0(VALU_DEP_1)
	v_mov_b32_e32 v54, v46
	s_clause 0x1
	scratch_load_b128 v[46:49], off, s20
	scratch_load_b128 v[50:53], v54, off offset:-16
	s_wait_loadcnt 0x1
	ds_store_2addr_b64 v0, v[46:47], v[48:49] offset1:1
	s_wait_loadcnt 0x0
	s_clause 0x1
	scratch_store_b128 off, v[50:53], s20
	scratch_store_b128 v54, v[46:49], off offset:-16
.LBB21_150:
	global_load_b32 v1, v1, s[16:17] offset:72
	s_wait_loadcnt 0x0
	v_cmp_eq_u32_e32 vcc_lo, 19, v1
	s_cbranch_vccnz .LBB21_152
; %bb.151:
	s_wait_xcnt 0x0
	v_lshlrev_b32_e32 v1, 4, v1
	s_clause 0x1
	scratch_load_b128 v[46:49], off, s27
	scratch_load_b128 v[50:53], v1, off offset:-16
	s_wait_loadcnt 0x1
	ds_store_2addr_b64 v0, v[46:47], v[48:49] offset1:1
	s_wait_loadcnt 0x0
	s_clause 0x1
	scratch_store_b128 off, v[50:53], s27
	scratch_store_b128 v1, v[46:49], off offset:-16
.LBB21_152:
	s_wait_xcnt 0x0
	v_mov_b32_e32 v1, 0
	global_load_b32 v46, v1, s[16:17] offset:68
	s_wait_loadcnt 0x0
	v_cmp_eq_u32_e32 vcc_lo, 18, v46
	s_cbranch_vccnz .LBB21_154
; %bb.153:
	v_lshlrev_b32_e32 v46, 4, v46
	s_delay_alu instid0(VALU_DEP_1)
	v_mov_b32_e32 v54, v46
	s_clause 0x1
	scratch_load_b128 v[46:49], off, s25
	scratch_load_b128 v[50:53], v54, off offset:-16
	s_wait_loadcnt 0x1
	ds_store_2addr_b64 v0, v[46:47], v[48:49] offset1:1
	s_wait_loadcnt 0x0
	s_clause 0x1
	scratch_store_b128 off, v[50:53], s25
	scratch_store_b128 v54, v[46:49], off offset:-16
.LBB21_154:
	global_load_b32 v1, v1, s[16:17] offset:64
	s_wait_loadcnt 0x0
	v_cmp_eq_u32_e32 vcc_lo, 17, v1
	s_cbranch_vccnz .LBB21_156
; %bb.155:
	s_wait_xcnt 0x0
	v_lshlrev_b32_e32 v1, 4, v1
	s_clause 0x1
	scratch_load_b128 v[46:49], off, s22
	scratch_load_b128 v[50:53], v1, off offset:-16
	s_wait_loadcnt 0x1
	ds_store_2addr_b64 v0, v[46:47], v[48:49] offset1:1
	s_wait_loadcnt 0x0
	s_clause 0x1
	scratch_store_b128 off, v[50:53], s22
	scratch_store_b128 v1, v[46:49], off offset:-16
.LBB21_156:
	;; [unrolled: 37-line block ×9, first 2 shown]
	s_wait_xcnt 0x0
	v_mov_b32_e32 v1, 0
	global_load_b32 v46, v1, s[16:17] offset:4
	s_wait_loadcnt 0x0
	v_cmp_eq_u32_e32 vcc_lo, 2, v46
	s_cbranch_vccnz .LBB21_186
; %bb.185:
	v_lshlrev_b32_e32 v46, 4, v46
	s_delay_alu instid0(VALU_DEP_1)
	v_mov_b32_e32 v54, v46
	s_clause 0x1
	scratch_load_b128 v[46:49], off, s11
	scratch_load_b128 v[50:53], v54, off offset:-16
	s_wait_loadcnt 0x1
	ds_store_2addr_b64 v0, v[46:47], v[48:49] offset1:1
	s_wait_loadcnt 0x0
	s_clause 0x1
	scratch_store_b128 off, v[50:53], s11
	scratch_store_b128 v54, v[46:49], off offset:-16
.LBB21_186:
	global_load_b32 v1, v1, s[16:17]
	s_wait_loadcnt 0x0
	v_cmp_eq_u32_e32 vcc_lo, 1, v1
	s_cbranch_vccnz .LBB21_188
; %bb.187:
	s_wait_xcnt 0x0
	v_lshlrev_b32_e32 v1, 4, v1
	scratch_load_b128 v[46:49], off, off
	scratch_load_b128 v[50:53], v1, off offset:-16
	s_wait_loadcnt 0x1
	ds_store_2addr_b64 v0, v[46:47], v[48:49] offset1:1
	s_wait_loadcnt 0x0
	scratch_store_b128 off, v[50:53], off
	scratch_store_b128 v1, v[46:49], off offset:-16
.LBB21_188:
	scratch_load_b128 v[46:49], off, off
	s_clause 0x12
	scratch_load_b128 v[50:53], off, s11
	scratch_load_b128 v[54:57], off, s8
	;; [unrolled: 1-line block ×15, first 2 shown]
	; meta instruction
	; meta instruction
	;; [unrolled: 1-line block ×15, first 2 shown]
	scratch_load_b128 v[110:113], off, s22
	scratch_load_b128 v[114:117], off, s25
	;; [unrolled: 1-line block ×4, first 2 shown]
	s_wait_loadcnt 0x13
	global_store_b128 v[14:15], v[46:49], off
	s_wait_loadcnt 0x12
	global_store_b128 v[16:17], v[50:53], off
	s_clause 0x1
	scratch_load_b128 v[14:17], off, s20
	scratch_load_b128 v[46:49], off, s26
	s_wait_loadcnt 0x13
	global_store_b128 v[2:3], v[54:57], off
	s_wait_loadcnt 0x12
	global_store_b128 v[4:5], v[58:61], off
	s_wait_loadcnt 0x11
	global_store_b128 v[6:7], v[62:65], off
	s_wait_loadcnt 0x10
	global_store_b128 v[8:9], v[66:69], off
	s_wait_loadcnt 0xf
	global_store_b128 v[10:11], v[70:73], off
	s_wait_loadcnt 0xe
	global_store_b128 v[12:13], v[74:77], off
	s_wait_loadcnt 0xd
	global_store_b128 v[18:19], v[78:81], off
	s_wait_loadcnt 0xc
	global_store_b128 v[20:21], v[82:85], off
	s_wait_loadcnt 0xb
	global_store_b128 v[22:23], v[86:89], off
	s_wait_loadcnt 0xa
	global_store_b128 v[24:25], v[90:93], off
	s_wait_loadcnt 0x9
	global_store_b128 v[26:27], v[94:97], off
	s_wait_loadcnt 0x8
	global_store_b128 v[28:29], v[98:101], off
	s_wait_loadcnt 0x7
	global_store_b128 v[30:31], v[102:105], off
	s_wait_loadcnt 0x6
	global_store_b128 v[32:33], v[106:109], off
	s_wait_loadcnt 0x5
	global_store_b128 v[34:35], v[110:113], off
	s_wait_loadcnt 0x4
	global_store_b128 v[36:37], v[114:117], off
	s_wait_loadcnt 0x3
	global_store_b128 v[38:39], v[118:121], off
	s_wait_loadcnt 0x1
	global_store_b128 v[40:41], v[14:17], off
	s_wait_loadcnt 0x0
	s_clause 0x1
	global_store_b128 v[42:43], v[46:49], off
	global_store_b128 v[44:45], v[122:125], off
	s_sendmsg sendmsg(MSG_DEALLOC_VGPRS)
	s_endpgm
	.section	.rodata,"a",@progbits
	.p2align	6, 0x0
	.amdhsa_kernel _ZN9rocsolver6v33100L18getri_kernel_smallILi22E19rocblas_complex_numIdEPS3_EEvT1_iilPiilS6_bb
		.amdhsa_group_segment_fixed_size 1736
		.amdhsa_private_segment_fixed_size 368
		.amdhsa_kernarg_size 60
		.amdhsa_user_sgpr_count 4
		.amdhsa_user_sgpr_dispatch_ptr 1
		.amdhsa_user_sgpr_queue_ptr 0
		.amdhsa_user_sgpr_kernarg_segment_ptr 1
		.amdhsa_user_sgpr_dispatch_id 0
		.amdhsa_user_sgpr_kernarg_preload_length 0
		.amdhsa_user_sgpr_kernarg_preload_offset 0
		.amdhsa_user_sgpr_private_segment_size 0
		.amdhsa_wavefront_size32 1
		.amdhsa_uses_dynamic_stack 0
		.amdhsa_enable_private_segment 1
		.amdhsa_system_sgpr_workgroup_id_x 1
		.amdhsa_system_sgpr_workgroup_id_y 0
		.amdhsa_system_sgpr_workgroup_id_z 0
		.amdhsa_system_sgpr_workgroup_info 0
		.amdhsa_system_vgpr_workitem_id 2
		.amdhsa_next_free_vgpr 126
		.amdhsa_next_free_sgpr 38
		.amdhsa_named_barrier_count 0
		.amdhsa_reserve_vcc 1
		.amdhsa_float_round_mode_32 0
		.amdhsa_float_round_mode_16_64 0
		.amdhsa_float_denorm_mode_32 3
		.amdhsa_float_denorm_mode_16_64 3
		.amdhsa_fp16_overflow 0
		.amdhsa_memory_ordered 1
		.amdhsa_forward_progress 1
		.amdhsa_inst_pref_size 204
		.amdhsa_round_robin_scheduling 0
		.amdhsa_exception_fp_ieee_invalid_op 0
		.amdhsa_exception_fp_denorm_src 0
		.amdhsa_exception_fp_ieee_div_zero 0
		.amdhsa_exception_fp_ieee_overflow 0
		.amdhsa_exception_fp_ieee_underflow 0
		.amdhsa_exception_fp_ieee_inexact 0
		.amdhsa_exception_int_div_zero 0
	.end_amdhsa_kernel
	.section	.text._ZN9rocsolver6v33100L18getri_kernel_smallILi22E19rocblas_complex_numIdEPS3_EEvT1_iilPiilS6_bb,"axG",@progbits,_ZN9rocsolver6v33100L18getri_kernel_smallILi22E19rocblas_complex_numIdEPS3_EEvT1_iilPiilS6_bb,comdat
.Lfunc_end21:
	.size	_ZN9rocsolver6v33100L18getri_kernel_smallILi22E19rocblas_complex_numIdEPS3_EEvT1_iilPiilS6_bb, .Lfunc_end21-_ZN9rocsolver6v33100L18getri_kernel_smallILi22E19rocblas_complex_numIdEPS3_EEvT1_iilPiilS6_bb
                                        ; -- End function
	.set _ZN9rocsolver6v33100L18getri_kernel_smallILi22E19rocblas_complex_numIdEPS3_EEvT1_iilPiilS6_bb.num_vgpr, 126
	.set _ZN9rocsolver6v33100L18getri_kernel_smallILi22E19rocblas_complex_numIdEPS3_EEvT1_iilPiilS6_bb.num_agpr, 0
	.set _ZN9rocsolver6v33100L18getri_kernel_smallILi22E19rocblas_complex_numIdEPS3_EEvT1_iilPiilS6_bb.numbered_sgpr, 38
	.set _ZN9rocsolver6v33100L18getri_kernel_smallILi22E19rocblas_complex_numIdEPS3_EEvT1_iilPiilS6_bb.num_named_barrier, 0
	.set _ZN9rocsolver6v33100L18getri_kernel_smallILi22E19rocblas_complex_numIdEPS3_EEvT1_iilPiilS6_bb.private_seg_size, 368
	.set _ZN9rocsolver6v33100L18getri_kernel_smallILi22E19rocblas_complex_numIdEPS3_EEvT1_iilPiilS6_bb.uses_vcc, 1
	.set _ZN9rocsolver6v33100L18getri_kernel_smallILi22E19rocblas_complex_numIdEPS3_EEvT1_iilPiilS6_bb.uses_flat_scratch, 1
	.set _ZN9rocsolver6v33100L18getri_kernel_smallILi22E19rocblas_complex_numIdEPS3_EEvT1_iilPiilS6_bb.has_dyn_sized_stack, 0
	.set _ZN9rocsolver6v33100L18getri_kernel_smallILi22E19rocblas_complex_numIdEPS3_EEvT1_iilPiilS6_bb.has_recursion, 0
	.set _ZN9rocsolver6v33100L18getri_kernel_smallILi22E19rocblas_complex_numIdEPS3_EEvT1_iilPiilS6_bb.has_indirect_call, 0
	.section	.AMDGPU.csdata,"",@progbits
; Kernel info:
; codeLenInByte = 26024
; TotalNumSgprs: 40
; NumVgprs: 126
; ScratchSize: 368
; MemoryBound: 0
; FloatMode: 240
; IeeeMode: 1
; LDSByteSize: 1736 bytes/workgroup (compile time only)
; SGPRBlocks: 0
; VGPRBlocks: 7
; NumSGPRsForWavesPerEU: 40
; NumVGPRsForWavesPerEU: 126
; NamedBarCnt: 0
; Occupancy: 8
; WaveLimiterHint : 1
; COMPUTE_PGM_RSRC2:SCRATCH_EN: 1
; COMPUTE_PGM_RSRC2:USER_SGPR: 4
; COMPUTE_PGM_RSRC2:TRAP_HANDLER: 0
; COMPUTE_PGM_RSRC2:TGID_X_EN: 1
; COMPUTE_PGM_RSRC2:TGID_Y_EN: 0
; COMPUTE_PGM_RSRC2:TGID_Z_EN: 0
; COMPUTE_PGM_RSRC2:TIDIG_COMP_CNT: 2
	.section	.text._ZN9rocsolver6v33100L18getri_kernel_smallILi23E19rocblas_complex_numIdEPS3_EEvT1_iilPiilS6_bb,"axG",@progbits,_ZN9rocsolver6v33100L18getri_kernel_smallILi23E19rocblas_complex_numIdEPS3_EEvT1_iilPiilS6_bb,comdat
	.globl	_ZN9rocsolver6v33100L18getri_kernel_smallILi23E19rocblas_complex_numIdEPS3_EEvT1_iilPiilS6_bb ; -- Begin function _ZN9rocsolver6v33100L18getri_kernel_smallILi23E19rocblas_complex_numIdEPS3_EEvT1_iilPiilS6_bb
	.p2align	8
	.type	_ZN9rocsolver6v33100L18getri_kernel_smallILi23E19rocblas_complex_numIdEPS3_EEvT1_iilPiilS6_bb,@function
_ZN9rocsolver6v33100L18getri_kernel_smallILi23E19rocblas_complex_numIdEPS3_EEvT1_iilPiilS6_bb: ; @_ZN9rocsolver6v33100L18getri_kernel_smallILi23E19rocblas_complex_numIdEPS3_EEvT1_iilPiilS6_bb
; %bb.0:
	v_and_b32_e32 v1, 0x3ff, v0
	s_mov_b32 s4, exec_lo
	s_delay_alu instid0(VALU_DEP_1)
	v_cmpx_gt_u32_e32 23, v1
	s_cbranch_execz .LBB22_106
; %bb.1:
	s_clause 0x2
	s_load_b32 s8, s[2:3], 0x38
	s_load_b128 s[12:15], s[2:3], 0x10
	s_load_b128 s[4:7], s[2:3], 0x28
	s_getreg_b32 s11, hwreg(HW_REG_IB_STS2, 6, 4)
                                        ; implicit-def: $sgpr16_sgpr17
	s_wait_kmcnt 0x0
	s_bitcmp1_b32 s8, 8
	s_cselect_b32 s35, -1, 0
	s_bfe_u32 s9, ttmp6, 0x4000c
	s_and_b32 s10, ttmp6, 15
	s_add_co_i32 s9, s9, 1
	s_delay_alu instid0(SALU_CYCLE_1) | instskip(NEXT) | instid1(SALU_CYCLE_1)
	s_mul_i32 s9, ttmp9, s9
	s_add_co_i32 s10, s10, s9
	s_cmp_eq_u32 s11, 0
	s_cselect_b32 s18, ttmp9, s10
	s_bfe_u32 s8, s8, 0x10008
	s_ashr_i32 s19, s18, 31
	s_cmp_eq_u32 s8, 0
	s_cbranch_scc1 .LBB22_3
; %bb.2:
	s_load_b32 s8, s[2:3], 0x20
	s_mul_u64 s[4:5], s[4:5], s[18:19]
	s_delay_alu instid0(SALU_CYCLE_1) | instskip(NEXT) | instid1(SALU_CYCLE_1)
	s_lshl_b64 s[4:5], s[4:5], 2
	s_add_nc_u64 s[4:5], s[14:15], s[4:5]
	s_wait_kmcnt 0x0
	s_ashr_i32 s9, s8, 31
	s_delay_alu instid0(SALU_CYCLE_1) | instskip(NEXT) | instid1(SALU_CYCLE_1)
	s_lshl_b64 s[8:9], s[8:9], 2
	s_add_nc_u64 s[16:17], s[4:5], s[8:9]
.LBB22_3:
	s_clause 0x1
	s_load_b128 s[8:11], s[2:3], 0x0
	s_load_b32 s36, s[2:3], 0x38
	s_wait_xcnt 0x0
	s_mul_u64 s[2:3], s[12:13], s[18:19]
	v_dual_mov_b32 v61, 0 :: v_dual_lshlrev_b32 v60, 4, v1
	s_lshl_b64 s[2:3], s[2:3], 4
	s_movk_i32 s13, 0x80
	s_movk_i32 s15, 0x90
	s_movk_i32 s30, 0x100
	s_movk_i32 s31, 0x110
	s_movk_i32 s37, 0x120
	s_movk_i32 s38, 0x130
	s_movk_i32 s14, 0x50
	s_movk_i32 s21, 0x60
	s_movk_i32 s24, 0x70
	s_movk_i32 s20, 0xa0
	s_movk_i32 s22, 0xb0
	s_movk_i32 s26, 0xc0
	s_movk_i32 s29, 0xd0
	s_movk_i32 s33, 0xe0
	s_wait_kmcnt 0x0
	v_add3_u32 v18, s11, s11, v1
	s_ashr_i32 s5, s10, 31
	s_mov_b32 s4, s10
	s_add_nc_u64 s[2:3], s[8:9], s[2:3]
	s_lshl_b64 s[4:5], s[4:5], 4
	v_add_nc_u32_e32 v20, s11, v18
	s_add_nc_u64 s[4:5], s[2:3], s[4:5]
	s_ashr_i32 s3, s11, 31
	v_add_nc_u64_e32 v[14:15], s[4:5], v[60:61]
	s_mov_b32 s2, s11
	v_add_nc_u32_e32 v22, s11, v20
	global_load_b128 v[2:5], v1, s[4:5] scale_offset
	s_mov_b32 s8, 32
	s_mov_b32 s9, 48
	;; [unrolled: 1-line block ×3, first 2 shown]
	v_add_nc_u32_e32 v24, s11, v22
	v_lshl_add_u64 v[16:17], s[2:3], 4, v[14:15]
	s_movk_i32 s34, 0xf0
	s_mov_b32 s12, s13
	s_mov_b32 s13, s15
	v_add_nc_u32_e32 v26, s11, v24
	s_clause 0x1
	global_load_b128 v[6:9], v18, s[4:5] scale_offset
	global_load_b128 v[10:13], v20, s[4:5] scale_offset
	s_mov_b32 s27, s30
	s_mov_b32 s30, s31
	;; [unrolled: 1-line block ×3, first 2 shown]
	v_add_nc_u32_e32 v28, s11, v26
	s_clause 0x1
	global_load_b128 v[62:65], v22, s[4:5] scale_offset
	global_load_b128 v[66:69], v[16:17], off
	s_mov_b32 s23, s38
	s_movk_i32 s28, 0x140
	s_movk_i32 s15, 0x150
	v_add_nc_u32_e32 v30, s11, v28
	global_load_b128 v[70:73], v24, s[4:5] scale_offset
	s_movk_i32 s25, 0x160
	s_bitcmp0_b32 s36, 0
	s_mov_b32 s3, -1
	v_add_nc_u32_e32 v32, s11, v30
	s_delay_alu instid0(VALU_DEP_1) | instskip(NEXT) | instid1(VALU_DEP_1)
	v_add_nc_u32_e32 v34, s11, v32
	v_add_nc_u32_e32 v36, s11, v34
	s_delay_alu instid0(VALU_DEP_1)
	v_add_nc_u32_e32 v38, s11, v36
	s_clause 0x3
	global_load_b128 v[74:77], v26, s[4:5] scale_offset
	global_load_b128 v[78:81], v28, s[4:5] scale_offset
	;; [unrolled: 1-line block ×4, first 2 shown]
	v_add_nc_u32_e32 v40, s11, v38
	s_delay_alu instid0(VALU_DEP_1)
	v_add_nc_u32_e32 v42, s11, v40
	s_clause 0x3
	global_load_b128 v[90:93], v34, s[4:5] scale_offset
	global_load_b128 v[94:97], v36, s[4:5] scale_offset
	;; [unrolled: 1-line block ×4, first 2 shown]
	v_add_nc_u32_e32 v44, s11, v42
	s_delay_alu instid0(VALU_DEP_1) | instskip(NEXT) | instid1(VALU_DEP_1)
	v_add_nc_u32_e32 v46, s11, v44
	v_add_nc_u32_e32 v48, s11, v46
	s_delay_alu instid0(VALU_DEP_1) | instskip(NEXT) | instid1(VALU_DEP_1)
	v_add_nc_u32_e32 v50, s11, v48
	v_add_nc_u32_e32 v52, s11, v50
	s_delay_alu instid0(VALU_DEP_1)
	v_add_nc_u32_e32 v54, s11, v52
	s_clause 0x3
	global_load_b128 v[106:109], v42, s[4:5] scale_offset
	global_load_b128 v[110:113], v44, s[4:5] scale_offset
	;; [unrolled: 1-line block ×4, first 2 shown]
	v_add_nc_u32_e32 v56, s11, v54
	s_delay_alu instid0(VALU_DEP_1)
	v_add_nc_u32_e32 v58, s11, v56
	s_mov_b32 s11, 16
	s_wait_loadcnt 0x11
	scratch_store_b128 off, v[2:5], off
	s_clause 0x1
	global_load_b128 v[2:5], v50, s[4:5] scale_offset
	global_load_b128 v[122:125], v52, s[4:5] scale_offset
	s_wait_loadcnt 0x12
	scratch_store_b128 off, v[6:9], off offset:32
	s_wait_loadcnt 0x11
	scratch_store_b128 off, v[10:13], off offset:48
	;; [unrolled: 2-line block ×3, first 2 shown]
	s_clause 0x2
	global_load_b128 v[6:9], v54, s[4:5] scale_offset
	global_load_b128 v[10:13], v56, s[4:5] scale_offset
	;; [unrolled: 1-line block ×3, first 2 shown]
	s_wait_loadcnt 0x12
	scratch_store_b128 off, v[66:69], off offset:16
	s_wait_loadcnt 0x11
	scratch_store_b128 off, v[70:73], off offset:80
	;; [unrolled: 2-line block ×19, first 2 shown]
	s_cbranch_scc1 .LBB22_104
; %bb.4:
	v_cmp_eq_u32_e64 s2, 0, v1
	s_wait_xcnt 0x0
	s_and_saveexec_b32 s3, s2
; %bb.5:
	v_mov_b32_e32 v2, 0
	ds_store_b32 v2, v2 offset:736
; %bb.6:
	s_or_b32 exec_lo, exec_lo, s3
	s_wait_storecnt_dscnt 0x0
	s_barrier_signal -1
	s_barrier_wait -1
	scratch_load_b128 v[2:5], v1, off scale_offset
	s_wait_loadcnt 0x0
	v_cmp_eq_f64_e32 vcc_lo, 0, v[2:3]
	v_cmp_eq_f64_e64 s3, 0, v[4:5]
	s_and_b32 s3, vcc_lo, s3
	s_delay_alu instid0(SALU_CYCLE_1)
	s_and_saveexec_b32 s36, s3
	s_cbranch_execz .LBB22_10
; %bb.7:
	v_mov_b32_e32 v2, 0
	s_mov_b32 s37, 0
	ds_load_b32 v3, v2 offset:736
	s_wait_dscnt 0x0
	v_readfirstlane_b32 s3, v3
	v_add_nc_u32_e32 v3, 1, v1
	s_cmp_eq_u32 s3, 0
	s_delay_alu instid0(VALU_DEP_1) | instskip(SKIP_1) | instid1(SALU_CYCLE_1)
	v_cmp_gt_i32_e32 vcc_lo, s3, v3
	s_cselect_b32 s38, -1, 0
	s_or_b32 s38, s38, vcc_lo
	s_delay_alu instid0(SALU_CYCLE_1)
	s_and_b32 exec_lo, exec_lo, s38
	s_cbranch_execz .LBB22_10
; %bb.8:
	v_mov_b32_e32 v4, s3
.LBB22_9:                               ; =>This Inner Loop Header: Depth=1
	ds_cmpstore_rtn_b32 v4, v2, v3, v4 offset:736
	s_wait_dscnt 0x0
	v_cmp_ne_u32_e32 vcc_lo, 0, v4
	v_cmp_le_i32_e64 s3, v4, v3
	s_and_b32 s3, vcc_lo, s3
	s_delay_alu instid0(SALU_CYCLE_1) | instskip(NEXT) | instid1(SALU_CYCLE_1)
	s_and_b32 s3, exec_lo, s3
	s_or_b32 s37, s3, s37
	s_delay_alu instid0(SALU_CYCLE_1)
	s_and_not1_b32 exec_lo, exec_lo, s37
	s_cbranch_execnz .LBB22_9
.LBB22_10:
	s_or_b32 exec_lo, exec_lo, s36
	v_mov_b32_e32 v2, 0
	s_barrier_signal -1
	s_barrier_wait -1
	ds_load_b32 v3, v2 offset:736
	s_and_saveexec_b32 s3, s2
	s_cbranch_execz .LBB22_12
; %bb.11:
	s_lshl_b64 s[36:37], s[18:19], 2
	s_delay_alu instid0(SALU_CYCLE_1)
	s_add_nc_u64 s[36:37], s[6:7], s[36:37]
	s_wait_dscnt 0x0
	global_store_b32 v2, v3, s[36:37]
.LBB22_12:
	s_wait_xcnt 0x0
	s_or_b32 exec_lo, exec_lo, s3
	s_wait_dscnt 0x0
	v_cmp_ne_u32_e32 vcc_lo, 0, v3
	s_mov_b32 s3, 0
	s_cbranch_vccnz .LBB22_104
; %bb.13:
	v_lshl_add_u32 v19, v1, 4, 0
                                        ; implicit-def: $vgpr6_vgpr7
                                        ; implicit-def: $vgpr10_vgpr11
	scratch_load_b128 v[2:5], v19, off
	s_wait_loadcnt 0x0
	v_cmp_ngt_f64_e64 s3, |v[2:3]|, |v[4:5]|
	s_wait_xcnt 0x0
	s_and_saveexec_b32 s36, s3
	s_delay_alu instid0(SALU_CYCLE_1)
	s_xor_b32 s3, exec_lo, s36
	s_cbranch_execz .LBB22_15
; %bb.14:
	v_div_scale_f64 v[6:7], null, v[4:5], v[4:5], v[2:3]
	v_div_scale_f64 v[12:13], vcc_lo, v[2:3], v[4:5], v[2:3]
	s_delay_alu instid0(VALU_DEP_2) | instskip(SKIP_1) | instid1(TRANS32_DEP_1)
	v_rcp_f64_e32 v[8:9], v[6:7]
	v_nop
	v_fma_f64 v[10:11], -v[6:7], v[8:9], 1.0
	s_delay_alu instid0(VALU_DEP_1) | instskip(NEXT) | instid1(VALU_DEP_1)
	v_fmac_f64_e32 v[8:9], v[8:9], v[10:11]
	v_fma_f64 v[10:11], -v[6:7], v[8:9], 1.0
	s_delay_alu instid0(VALU_DEP_1) | instskip(NEXT) | instid1(VALU_DEP_1)
	v_fmac_f64_e32 v[8:9], v[8:9], v[10:11]
	v_mul_f64_e32 v[10:11], v[12:13], v[8:9]
	s_delay_alu instid0(VALU_DEP_1) | instskip(NEXT) | instid1(VALU_DEP_1)
	v_fma_f64 v[6:7], -v[6:7], v[10:11], v[12:13]
	v_div_fmas_f64 v[6:7], v[6:7], v[8:9], v[10:11]
	s_delay_alu instid0(VALU_DEP_1) | instskip(NEXT) | instid1(VALU_DEP_1)
	v_div_fixup_f64 v[6:7], v[6:7], v[4:5], v[2:3]
	v_fmac_f64_e32 v[4:5], v[2:3], v[6:7]
	s_delay_alu instid0(VALU_DEP_1) | instskip(SKIP_1) | instid1(VALU_DEP_2)
	v_div_scale_f64 v[2:3], null, v[4:5], v[4:5], 1.0
	v_div_scale_f64 v[12:13], vcc_lo, 1.0, v[4:5], 1.0
	v_rcp_f64_e32 v[8:9], v[2:3]
	v_nop
	s_delay_alu instid0(TRANS32_DEP_1) | instskip(NEXT) | instid1(VALU_DEP_1)
	v_fma_f64 v[10:11], -v[2:3], v[8:9], 1.0
	v_fmac_f64_e32 v[8:9], v[8:9], v[10:11]
	s_delay_alu instid0(VALU_DEP_1) | instskip(NEXT) | instid1(VALU_DEP_1)
	v_fma_f64 v[10:11], -v[2:3], v[8:9], 1.0
	v_fmac_f64_e32 v[8:9], v[8:9], v[10:11]
	s_delay_alu instid0(VALU_DEP_1) | instskip(NEXT) | instid1(VALU_DEP_1)
	v_mul_f64_e32 v[10:11], v[12:13], v[8:9]
	v_fma_f64 v[2:3], -v[2:3], v[10:11], v[12:13]
	s_delay_alu instid0(VALU_DEP_1) | instskip(NEXT) | instid1(VALU_DEP_1)
	v_div_fmas_f64 v[2:3], v[2:3], v[8:9], v[10:11]
	v_div_fixup_f64 v[8:9], v[2:3], v[4:5], 1.0
                                        ; implicit-def: $vgpr2_vgpr3
	s_delay_alu instid0(VALU_DEP_1) | instskip(SKIP_1) | instid1(VALU_DEP_2)
	v_mul_f64_e32 v[6:7], v[6:7], v[8:9]
	v_xor_b32_e32 v9, 0x80000000, v9
	v_xor_b32_e32 v11, 0x80000000, v7
	s_delay_alu instid0(VALU_DEP_3)
	v_mov_b32_e32 v10, v6
.LBB22_15:
	s_and_not1_saveexec_b32 s3, s3
	s_cbranch_execz .LBB22_17
; %bb.16:
	v_div_scale_f64 v[6:7], null, v[2:3], v[2:3], v[4:5]
	v_div_scale_f64 v[12:13], vcc_lo, v[4:5], v[2:3], v[4:5]
	s_delay_alu instid0(VALU_DEP_2) | instskip(SKIP_1) | instid1(TRANS32_DEP_1)
	v_rcp_f64_e32 v[8:9], v[6:7]
	v_nop
	v_fma_f64 v[10:11], -v[6:7], v[8:9], 1.0
	s_delay_alu instid0(VALU_DEP_1) | instskip(NEXT) | instid1(VALU_DEP_1)
	v_fmac_f64_e32 v[8:9], v[8:9], v[10:11]
	v_fma_f64 v[10:11], -v[6:7], v[8:9], 1.0
	s_delay_alu instid0(VALU_DEP_1) | instskip(NEXT) | instid1(VALU_DEP_1)
	v_fmac_f64_e32 v[8:9], v[8:9], v[10:11]
	v_mul_f64_e32 v[10:11], v[12:13], v[8:9]
	s_delay_alu instid0(VALU_DEP_1) | instskip(NEXT) | instid1(VALU_DEP_1)
	v_fma_f64 v[6:7], -v[6:7], v[10:11], v[12:13]
	v_div_fmas_f64 v[6:7], v[6:7], v[8:9], v[10:11]
	s_delay_alu instid0(VALU_DEP_1) | instskip(NEXT) | instid1(VALU_DEP_1)
	v_div_fixup_f64 v[8:9], v[6:7], v[2:3], v[4:5]
	v_fmac_f64_e32 v[2:3], v[4:5], v[8:9]
	s_delay_alu instid0(VALU_DEP_1) | instskip(NEXT) | instid1(VALU_DEP_1)
	v_div_scale_f64 v[4:5], null, v[2:3], v[2:3], 1.0
	v_rcp_f64_e32 v[6:7], v[4:5]
	v_nop
	s_delay_alu instid0(TRANS32_DEP_1) | instskip(NEXT) | instid1(VALU_DEP_1)
	v_fma_f64 v[10:11], -v[4:5], v[6:7], 1.0
	v_fmac_f64_e32 v[6:7], v[6:7], v[10:11]
	s_delay_alu instid0(VALU_DEP_1) | instskip(NEXT) | instid1(VALU_DEP_1)
	v_fma_f64 v[10:11], -v[4:5], v[6:7], 1.0
	v_fmac_f64_e32 v[6:7], v[6:7], v[10:11]
	v_div_scale_f64 v[10:11], vcc_lo, 1.0, v[2:3], 1.0
	s_delay_alu instid0(VALU_DEP_1) | instskip(NEXT) | instid1(VALU_DEP_1)
	v_mul_f64_e32 v[12:13], v[10:11], v[6:7]
	v_fma_f64 v[4:5], -v[4:5], v[12:13], v[10:11]
	s_delay_alu instid0(VALU_DEP_1) | instskip(NEXT) | instid1(VALU_DEP_1)
	v_div_fmas_f64 v[4:5], v[4:5], v[6:7], v[12:13]
	v_div_fixup_f64 v[6:7], v[4:5], v[2:3], 1.0
	s_delay_alu instid0(VALU_DEP_1)
	v_mul_f64_e64 v[8:9], v[8:9], -v[6:7]
	v_xor_b32_e32 v11, 0x80000000, v7
	v_mov_b32_e32 v10, v6
.LBB22_17:
	s_or_b32 exec_lo, exec_lo, s3
	s_clause 0x1
	scratch_store_b128 v19, v[6:9], off
	scratch_load_b128 v[2:5], off, s11
	v_xor_b32_e32 v13, 0x80000000, v9
	v_mov_b32_e32 v12, v8
	s_wait_xcnt 0x1
	v_add_nc_u32_e32 v6, 0x170, v60
	ds_store_b128 v60, v[10:13]
	s_wait_loadcnt 0x0
	ds_store_b128 v60, v[2:5] offset:368
	s_wait_storecnt_dscnt 0x0
	s_barrier_signal -1
	s_barrier_wait -1
	s_wait_xcnt 0x0
	s_and_saveexec_b32 s3, s2
	s_cbranch_execz .LBB22_19
; %bb.18:
	scratch_load_b128 v[2:5], v19, off
	ds_load_b128 v[8:11], v6
	v_mov_b32_e32 v7, 0
	ds_load_b128 v[62:65], v7 offset:16
	s_wait_loadcnt_dscnt 0x1
	v_mul_f64_e32 v[12:13], v[8:9], v[4:5]
	v_mul_f64_e32 v[4:5], v[10:11], v[4:5]
	s_delay_alu instid0(VALU_DEP_2) | instskip(NEXT) | instid1(VALU_DEP_2)
	v_fmac_f64_e32 v[12:13], v[10:11], v[2:3]
	v_fma_f64 v[2:3], v[8:9], v[2:3], -v[4:5]
	s_delay_alu instid0(VALU_DEP_2) | instskip(NEXT) | instid1(VALU_DEP_2)
	v_add_f64_e32 v[8:9], 0, v[12:13]
	v_add_f64_e32 v[2:3], 0, v[2:3]
	s_wait_dscnt 0x0
	s_delay_alu instid0(VALU_DEP_2) | instskip(NEXT) | instid1(VALU_DEP_2)
	v_mul_f64_e32 v[10:11], v[8:9], v[64:65]
	v_mul_f64_e32 v[4:5], v[2:3], v[64:65]
	s_delay_alu instid0(VALU_DEP_2) | instskip(NEXT) | instid1(VALU_DEP_2)
	v_fma_f64 v[2:3], v[2:3], v[62:63], -v[10:11]
	v_fmac_f64_e32 v[4:5], v[8:9], v[62:63]
	scratch_store_b128 off, v[2:5], off offset:16
.LBB22_19:
	s_wait_xcnt 0x0
	s_or_b32 exec_lo, exec_lo, s3
	s_wait_storecnt 0x0
	s_barrier_signal -1
	s_barrier_wait -1
	scratch_load_b128 v[2:5], off, s8
	s_mov_b32 s3, exec_lo
	s_wait_loadcnt 0x0
	ds_store_b128 v6, v[2:5]
	s_wait_dscnt 0x0
	s_barrier_signal -1
	s_barrier_wait -1
	v_cmpx_gt_u32_e32 2, v1
	s_cbranch_execz .LBB22_23
; %bb.20:
	scratch_load_b128 v[2:5], v19, off
	ds_load_b128 v[8:11], v6
	s_wait_loadcnt_dscnt 0x0
	v_mul_f64_e32 v[12:13], v[10:11], v[4:5]
	v_mul_f64_e32 v[62:63], v[8:9], v[4:5]
	s_delay_alu instid0(VALU_DEP_2) | instskip(NEXT) | instid1(VALU_DEP_2)
	v_fma_f64 v[4:5], v[8:9], v[2:3], -v[12:13]
	v_fmac_f64_e32 v[62:63], v[10:11], v[2:3]
	s_delay_alu instid0(VALU_DEP_2) | instskip(NEXT) | instid1(VALU_DEP_2)
	v_add_f64_e32 v[4:5], 0, v[4:5]
	v_add_f64_e32 v[2:3], 0, v[62:63]
	s_and_saveexec_b32 s36, s2
	s_cbranch_execz .LBB22_22
; %bb.21:
	scratch_load_b128 v[8:11], off, off offset:16
	v_mov_b32_e32 v7, 0
	ds_load_b128 v[62:65], v7 offset:384
	s_wait_loadcnt_dscnt 0x0
	v_mul_f64_e32 v[12:13], v[62:63], v[10:11]
	v_mul_f64_e32 v[10:11], v[64:65], v[10:11]
	s_delay_alu instid0(VALU_DEP_2) | instskip(NEXT) | instid1(VALU_DEP_2)
	v_fmac_f64_e32 v[12:13], v[64:65], v[8:9]
	v_fma_f64 v[8:9], v[62:63], v[8:9], -v[10:11]
	s_delay_alu instid0(VALU_DEP_2) | instskip(NEXT) | instid1(VALU_DEP_2)
	v_add_f64_e32 v[2:3], v[2:3], v[12:13]
	v_add_f64_e32 v[4:5], v[4:5], v[8:9]
.LBB22_22:
	s_or_b32 exec_lo, exec_lo, s36
	v_mov_b32_e32 v7, 0
	ds_load_b128 v[8:11], v7 offset:32
	s_wait_dscnt 0x0
	v_mul_f64_e32 v[62:63], v[2:3], v[10:11]
	v_mul_f64_e32 v[12:13], v[4:5], v[10:11]
	s_delay_alu instid0(VALU_DEP_2) | instskip(NEXT) | instid1(VALU_DEP_2)
	v_fma_f64 v[10:11], v[4:5], v[8:9], -v[62:63]
	v_fmac_f64_e32 v[12:13], v[2:3], v[8:9]
	scratch_store_b128 off, v[10:13], off offset:32
.LBB22_23:
	s_wait_xcnt 0x0
	s_or_b32 exec_lo, exec_lo, s3
	s_wait_storecnt 0x0
	s_barrier_signal -1
	s_barrier_wait -1
	scratch_load_b128 v[2:5], off, s9
	v_add_nc_u32_e32 v7, -1, v1
	s_mov_b32 s2, exec_lo
	s_wait_loadcnt 0x0
	ds_store_b128 v6, v[2:5]
	s_wait_dscnt 0x0
	s_barrier_signal -1
	s_barrier_wait -1
	v_cmpx_gt_u32_e32 3, v1
	s_cbranch_execz .LBB22_27
; %bb.24:
	v_dual_mov_b32 v10, v60 :: v_dual_add_nc_u32 v8, -1, v1
	v_mov_b64_e32 v[2:3], 0
	v_mov_b64_e32 v[4:5], 0
	v_add_nc_u32_e32 v9, 0x170, v60
	s_delay_alu instid0(VALU_DEP_4)
	v_or_b32_e32 v10, 8, v10
	s_mov_b32 s3, 0
.LBB22_25:                              ; =>This Inner Loop Header: Depth=1
	scratch_load_b128 v[62:65], v10, off offset:-8
	ds_load_b128 v[66:69], v9
	s_wait_xcnt 0x0
	v_dual_add_nc_u32 v9, 16, v9 :: v_dual_add_nc_u32 v10, 16, v10
	v_add_nc_u32_e32 v8, 1, v8
	s_delay_alu instid0(VALU_DEP_1) | instskip(SKIP_4) | instid1(VALU_DEP_2)
	v_cmp_lt_u32_e32 vcc_lo, 1, v8
	s_or_b32 s3, vcc_lo, s3
	s_wait_loadcnt_dscnt 0x0
	v_mul_f64_e32 v[12:13], v[68:69], v[64:65]
	v_mul_f64_e32 v[64:65], v[66:67], v[64:65]
	v_fma_f64 v[12:13], v[66:67], v[62:63], -v[12:13]
	s_delay_alu instid0(VALU_DEP_2) | instskip(NEXT) | instid1(VALU_DEP_2)
	v_fmac_f64_e32 v[64:65], v[68:69], v[62:63]
	v_add_f64_e32 v[4:5], v[4:5], v[12:13]
	s_delay_alu instid0(VALU_DEP_2)
	v_add_f64_e32 v[2:3], v[2:3], v[64:65]
	s_and_not1_b32 exec_lo, exec_lo, s3
	s_cbranch_execnz .LBB22_25
; %bb.26:
	s_or_b32 exec_lo, exec_lo, s3
	v_mov_b32_e32 v8, 0
	ds_load_b128 v[8:11], v8 offset:48
	s_wait_dscnt 0x0
	v_mul_f64_e32 v[62:63], v[2:3], v[10:11]
	v_mul_f64_e32 v[12:13], v[4:5], v[10:11]
	s_delay_alu instid0(VALU_DEP_2) | instskip(NEXT) | instid1(VALU_DEP_2)
	v_fma_f64 v[10:11], v[4:5], v[8:9], -v[62:63]
	v_fmac_f64_e32 v[12:13], v[2:3], v[8:9]
	scratch_store_b128 off, v[10:13], off offset:48
.LBB22_27:
	s_wait_xcnt 0x0
	s_or_b32 exec_lo, exec_lo, s2
	s_wait_storecnt 0x0
	s_barrier_signal -1
	s_barrier_wait -1
	scratch_load_b128 v[2:5], off, s10
	s_mov_b32 s2, exec_lo
	s_wait_loadcnt 0x0
	ds_store_b128 v6, v[2:5]
	s_wait_dscnt 0x0
	s_barrier_signal -1
	s_barrier_wait -1
	v_cmpx_gt_u32_e32 4, v1
	s_cbranch_execz .LBB22_31
; %bb.28:
	v_dual_mov_b32 v10, v60 :: v_dual_add_nc_u32 v8, -1, v1
	v_mov_b64_e32 v[2:3], 0
	v_mov_b64_e32 v[4:5], 0
	v_add_nc_u32_e32 v9, 0x170, v60
	s_delay_alu instid0(VALU_DEP_4)
	v_or_b32_e32 v10, 8, v10
	s_mov_b32 s3, 0
.LBB22_29:                              ; =>This Inner Loop Header: Depth=1
	scratch_load_b128 v[62:65], v10, off offset:-8
	ds_load_b128 v[66:69], v9
	s_wait_xcnt 0x0
	v_dual_add_nc_u32 v9, 16, v9 :: v_dual_add_nc_u32 v10, 16, v10
	v_add_nc_u32_e32 v8, 1, v8
	s_delay_alu instid0(VALU_DEP_1) | instskip(SKIP_4) | instid1(VALU_DEP_2)
	v_cmp_lt_u32_e32 vcc_lo, 2, v8
	s_or_b32 s3, vcc_lo, s3
	s_wait_loadcnt_dscnt 0x0
	v_mul_f64_e32 v[12:13], v[68:69], v[64:65]
	v_mul_f64_e32 v[64:65], v[66:67], v[64:65]
	v_fma_f64 v[12:13], v[66:67], v[62:63], -v[12:13]
	s_delay_alu instid0(VALU_DEP_2) | instskip(NEXT) | instid1(VALU_DEP_2)
	v_fmac_f64_e32 v[64:65], v[68:69], v[62:63]
	v_add_f64_e32 v[4:5], v[4:5], v[12:13]
	s_delay_alu instid0(VALU_DEP_2)
	v_add_f64_e32 v[2:3], v[2:3], v[64:65]
	s_and_not1_b32 exec_lo, exec_lo, s3
	s_cbranch_execnz .LBB22_29
; %bb.30:
	s_or_b32 exec_lo, exec_lo, s3
	v_mov_b32_e32 v8, 0
	ds_load_b128 v[8:11], v8 offset:64
	s_wait_dscnt 0x0
	v_mul_f64_e32 v[62:63], v[2:3], v[10:11]
	v_mul_f64_e32 v[12:13], v[4:5], v[10:11]
	s_delay_alu instid0(VALU_DEP_2) | instskip(NEXT) | instid1(VALU_DEP_2)
	v_fma_f64 v[10:11], v[4:5], v[8:9], -v[62:63]
	v_fmac_f64_e32 v[12:13], v[2:3], v[8:9]
	scratch_store_b128 off, v[10:13], off offset:64
.LBB22_31:
	s_wait_xcnt 0x0
	s_or_b32 exec_lo, exec_lo, s2
	s_wait_storecnt 0x0
	s_barrier_signal -1
	s_barrier_wait -1
	scratch_load_b128 v[2:5], off, s14
	;; [unrolled: 54-line block ×19, first 2 shown]
	s_mov_b32 s2, exec_lo
	s_wait_loadcnt 0x0
	ds_store_b128 v6, v[2:5]
	s_wait_dscnt 0x0
	s_barrier_signal -1
	s_barrier_wait -1
	v_cmpx_ne_u32_e32 22, v1
	s_cbranch_execz .LBB22_103
; %bb.100:
	v_mov_b32_e32 v8, v60
	v_mov_b64_e32 v[2:3], 0
	v_mov_b64_e32 v[4:5], 0
	s_mov_b32 s3, 0
	s_delay_alu instid0(VALU_DEP_3)
	v_or_b32_e32 v8, 8, v8
.LBB22_101:                             ; =>This Inner Loop Header: Depth=1
	scratch_load_b128 v[10:13], v8, off offset:-8
	ds_load_b128 v[60:63], v6
	v_dual_add_nc_u32 v7, 1, v7 :: v_dual_add_nc_u32 v6, 16, v6
	s_wait_xcnt 0x0
	v_add_nc_u32_e32 v8, 16, v8
	s_delay_alu instid0(VALU_DEP_2) | instskip(SKIP_4) | instid1(VALU_DEP_2)
	v_cmp_lt_u32_e32 vcc_lo, 20, v7
	s_or_b32 s3, vcc_lo, s3
	s_wait_loadcnt_dscnt 0x0
	v_mul_f64_e32 v[64:65], v[62:63], v[12:13]
	v_mul_f64_e32 v[12:13], v[60:61], v[12:13]
	v_fma_f64 v[60:61], v[60:61], v[10:11], -v[64:65]
	s_delay_alu instid0(VALU_DEP_2) | instskip(NEXT) | instid1(VALU_DEP_2)
	v_fmac_f64_e32 v[12:13], v[62:63], v[10:11]
	v_add_f64_e32 v[4:5], v[4:5], v[60:61]
	s_delay_alu instid0(VALU_DEP_2)
	v_add_f64_e32 v[2:3], v[2:3], v[12:13]
	s_and_not1_b32 exec_lo, exec_lo, s3
	s_cbranch_execnz .LBB22_101
; %bb.102:
	s_or_b32 exec_lo, exec_lo, s3
	v_mov_b32_e32 v6, 0
	ds_load_b128 v[6:9], v6 offset:352
	s_wait_dscnt 0x0
	v_mul_f64_e32 v[12:13], v[2:3], v[8:9]
	v_mul_f64_e32 v[10:11], v[4:5], v[8:9]
	s_delay_alu instid0(VALU_DEP_2) | instskip(NEXT) | instid1(VALU_DEP_2)
	v_fma_f64 v[8:9], v[4:5], v[6:7], -v[12:13]
	v_fmac_f64_e32 v[10:11], v[2:3], v[6:7]
	scratch_store_b128 off, v[8:11], off offset:352
.LBB22_103:
	s_wait_xcnt 0x0
	s_or_b32 exec_lo, exec_lo, s2
	s_mov_b32 s3, -1
	s_wait_storecnt 0x0
	s_barrier_signal -1
	s_barrier_wait -1
.LBB22_104:
	s_and_b32 vcc_lo, exec_lo, s3
	s_cbranch_vccz .LBB22_106
; %bb.105:
	s_wait_xcnt 0x4
	v_mov_b32_e32 v2, 0
	s_lshl_b64 s[2:3], s[18:19], 2
	s_delay_alu instid0(SALU_CYCLE_1)
	s_add_nc_u64 s[2:3], s[6:7], s[2:3]
	global_load_b32 v2, v2, s[2:3]
	s_wait_loadcnt 0x0
	v_cmp_ne_u32_e32 vcc_lo, 0, v2
	s_cbranch_vccz .LBB22_107
.LBB22_106:
	s_sendmsg sendmsg(MSG_DEALLOC_VGPRS)
	s_endpgm
.LBB22_107:
	s_wait_xcnt 0x3
	v_lshl_add_u32 v6, v1, 4, 0x170
	s_wait_xcnt 0x0
	s_mov_b32 s2, exec_lo
	v_cmpx_eq_u32_e32 22, v1
	s_cbranch_execz .LBB22_109
; %bb.108:
	scratch_load_b128 v[2:5], off, s15
	v_mov_b32_e32 v8, 0
	s_delay_alu instid0(VALU_DEP_1)
	v_dual_mov_b32 v9, v8 :: v_dual_mov_b32 v10, v8
	v_mov_b32_e32 v11, v8
	scratch_store_b128 off, v[8:11], off offset:336
	s_wait_loadcnt 0x0
	ds_store_b128 v6, v[2:5]
.LBB22_109:
	s_wait_xcnt 0x0
	s_or_b32 exec_lo, exec_lo, s2
	s_wait_storecnt_dscnt 0x0
	s_barrier_signal -1
	s_barrier_wait -1
	s_clause 0x1
	scratch_load_b128 v[8:11], off, off offset:352
	scratch_load_b128 v[60:63], off, off offset:336
	v_mov_b32_e32 v2, 0
	s_mov_b32 s2, exec_lo
	ds_load_b128 v[64:67], v2 offset:720
	s_wait_loadcnt_dscnt 0x100
	v_mul_f64_e32 v[4:5], v[66:67], v[10:11]
	v_mul_f64_e32 v[10:11], v[64:65], v[10:11]
	s_delay_alu instid0(VALU_DEP_2) | instskip(NEXT) | instid1(VALU_DEP_2)
	v_fma_f64 v[4:5], v[64:65], v[8:9], -v[4:5]
	v_fmac_f64_e32 v[10:11], v[66:67], v[8:9]
	s_delay_alu instid0(VALU_DEP_2) | instskip(NEXT) | instid1(VALU_DEP_2)
	v_add_f64_e32 v[4:5], 0, v[4:5]
	v_add_f64_e32 v[10:11], 0, v[10:11]
	s_wait_loadcnt 0x0
	s_delay_alu instid0(VALU_DEP_2) | instskip(NEXT) | instid1(VALU_DEP_2)
	v_add_f64_e64 v[8:9], v[60:61], -v[4:5]
	v_add_f64_e64 v[10:11], v[62:63], -v[10:11]
	scratch_store_b128 off, v[8:11], off offset:336
	s_wait_xcnt 0x0
	v_cmpx_lt_u32_e32 20, v1
	s_cbranch_execz .LBB22_111
; %bb.110:
	scratch_load_b128 v[8:11], off, s28
	v_dual_mov_b32 v3, v2 :: v_dual_mov_b32 v4, v2
	v_mov_b32_e32 v5, v2
	scratch_store_b128 off, v[2:5], off offset:320
	s_wait_loadcnt 0x0
	ds_store_b128 v6, v[8:11]
.LBB22_111:
	s_wait_xcnt 0x0
	s_or_b32 exec_lo, exec_lo, s2
	s_wait_storecnt_dscnt 0x0
	s_barrier_signal -1
	s_barrier_wait -1
	s_clause 0x2
	scratch_load_b128 v[8:11], off, off offset:336
	scratch_load_b128 v[60:63], off, off offset:352
	;; [unrolled: 1-line block ×3, first 2 shown]
	ds_load_b128 v[68:71], v2 offset:704
	ds_load_b128 v[2:5], v2 offset:720
	s_mov_b32 s2, exec_lo
	s_wait_loadcnt_dscnt 0x201
	v_mul_f64_e32 v[12:13], v[70:71], v[10:11]
	v_mul_f64_e32 v[10:11], v[68:69], v[10:11]
	s_wait_loadcnt_dscnt 0x100
	v_mul_f64_e32 v[72:73], v[2:3], v[62:63]
	v_mul_f64_e32 v[62:63], v[4:5], v[62:63]
	s_delay_alu instid0(VALU_DEP_4) | instskip(NEXT) | instid1(VALU_DEP_4)
	v_fma_f64 v[12:13], v[68:69], v[8:9], -v[12:13]
	v_fmac_f64_e32 v[10:11], v[70:71], v[8:9]
	s_delay_alu instid0(VALU_DEP_4) | instskip(NEXT) | instid1(VALU_DEP_4)
	v_fmac_f64_e32 v[72:73], v[4:5], v[60:61]
	v_fma_f64 v[2:3], v[2:3], v[60:61], -v[62:63]
	s_delay_alu instid0(VALU_DEP_4) | instskip(NEXT) | instid1(VALU_DEP_4)
	v_add_f64_e32 v[4:5], 0, v[12:13]
	v_add_f64_e32 v[8:9], 0, v[10:11]
	s_delay_alu instid0(VALU_DEP_2) | instskip(NEXT) | instid1(VALU_DEP_2)
	v_add_f64_e32 v[2:3], v[4:5], v[2:3]
	v_add_f64_e32 v[4:5], v[8:9], v[72:73]
	s_wait_loadcnt 0x0
	s_delay_alu instid0(VALU_DEP_2) | instskip(NEXT) | instid1(VALU_DEP_2)
	v_add_f64_e64 v[2:3], v[64:65], -v[2:3]
	v_add_f64_e64 v[4:5], v[66:67], -v[4:5]
	scratch_store_b128 off, v[2:5], off offset:320
	s_wait_xcnt 0x0
	v_cmpx_lt_u32_e32 19, v1
	s_cbranch_execz .LBB22_113
; %bb.112:
	scratch_load_b128 v[2:5], off, s23
	v_mov_b32_e32 v8, 0
	s_delay_alu instid0(VALU_DEP_1)
	v_dual_mov_b32 v9, v8 :: v_dual_mov_b32 v10, v8
	v_mov_b32_e32 v11, v8
	scratch_store_b128 off, v[8:11], off offset:304
	s_wait_loadcnt 0x0
	ds_store_b128 v6, v[2:5]
.LBB22_113:
	s_wait_xcnt 0x0
	s_or_b32 exec_lo, exec_lo, s2
	s_wait_storecnt_dscnt 0x0
	s_barrier_signal -1
	s_barrier_wait -1
	s_clause 0x3
	scratch_load_b128 v[8:11], off, off offset:320
	scratch_load_b128 v[60:63], off, off offset:336
	;; [unrolled: 1-line block ×4, first 2 shown]
	v_mov_b32_e32 v2, 0
	ds_load_b128 v[72:75], v2 offset:688
	ds_load_b128 v[76:79], v2 offset:704
	s_mov_b32 s2, exec_lo
	s_wait_loadcnt_dscnt 0x301
	v_mul_f64_e32 v[4:5], v[74:75], v[10:11]
	v_mul_f64_e32 v[12:13], v[72:73], v[10:11]
	s_wait_loadcnt_dscnt 0x200
	v_mul_f64_e32 v[80:81], v[76:77], v[62:63]
	v_mul_f64_e32 v[62:63], v[78:79], v[62:63]
	s_delay_alu instid0(VALU_DEP_4) | instskip(NEXT) | instid1(VALU_DEP_4)
	v_fma_f64 v[4:5], v[72:73], v[8:9], -v[4:5]
	v_fmac_f64_e32 v[12:13], v[74:75], v[8:9]
	ds_load_b128 v[8:11], v2 offset:720
	v_fmac_f64_e32 v[80:81], v[78:79], v[60:61]
	v_fma_f64 v[60:61], v[76:77], v[60:61], -v[62:63]
	s_wait_loadcnt_dscnt 0x100
	v_mul_f64_e32 v[72:73], v[8:9], v[66:67]
	v_mul_f64_e32 v[66:67], v[10:11], v[66:67]
	v_add_f64_e32 v[4:5], 0, v[4:5]
	v_add_f64_e32 v[12:13], 0, v[12:13]
	s_delay_alu instid0(VALU_DEP_4) | instskip(NEXT) | instid1(VALU_DEP_4)
	v_fmac_f64_e32 v[72:73], v[10:11], v[64:65]
	v_fma_f64 v[8:9], v[8:9], v[64:65], -v[66:67]
	s_delay_alu instid0(VALU_DEP_4) | instskip(NEXT) | instid1(VALU_DEP_4)
	v_add_f64_e32 v[4:5], v[4:5], v[60:61]
	v_add_f64_e32 v[10:11], v[12:13], v[80:81]
	s_delay_alu instid0(VALU_DEP_2) | instskip(NEXT) | instid1(VALU_DEP_2)
	v_add_f64_e32 v[4:5], v[4:5], v[8:9]
	v_add_f64_e32 v[10:11], v[10:11], v[72:73]
	s_wait_loadcnt 0x0
	s_delay_alu instid0(VALU_DEP_2) | instskip(NEXT) | instid1(VALU_DEP_2)
	v_add_f64_e64 v[8:9], v[68:69], -v[4:5]
	v_add_f64_e64 v[10:11], v[70:71], -v[10:11]
	scratch_store_b128 off, v[8:11], off offset:304
	s_wait_xcnt 0x0
	v_cmpx_lt_u32_e32 18, v1
	s_cbranch_execz .LBB22_115
; %bb.114:
	scratch_load_b128 v[8:11], off, s31
	v_dual_mov_b32 v3, v2 :: v_dual_mov_b32 v4, v2
	v_mov_b32_e32 v5, v2
	scratch_store_b128 off, v[2:5], off offset:288
	s_wait_loadcnt 0x0
	ds_store_b128 v6, v[8:11]
.LBB22_115:
	s_wait_xcnt 0x0
	s_or_b32 exec_lo, exec_lo, s2
	s_wait_storecnt_dscnt 0x0
	s_barrier_signal -1
	s_barrier_wait -1
	s_clause 0x4
	scratch_load_b128 v[8:11], off, off offset:304
	scratch_load_b128 v[60:63], off, off offset:320
	;; [unrolled: 1-line block ×5, first 2 shown]
	ds_load_b128 v[76:79], v2 offset:672
	ds_load_b128 v[80:83], v2 offset:688
	s_mov_b32 s2, exec_lo
	s_wait_loadcnt_dscnt 0x401
	v_mul_f64_e32 v[4:5], v[78:79], v[10:11]
	v_mul_f64_e32 v[12:13], v[76:77], v[10:11]
	s_wait_loadcnt_dscnt 0x300
	v_mul_f64_e32 v[84:85], v[80:81], v[62:63]
	v_mul_f64_e32 v[62:63], v[82:83], v[62:63]
	s_delay_alu instid0(VALU_DEP_4) | instskip(NEXT) | instid1(VALU_DEP_4)
	v_fma_f64 v[76:77], v[76:77], v[8:9], -v[4:5]
	v_fmac_f64_e32 v[12:13], v[78:79], v[8:9]
	ds_load_b128 v[8:11], v2 offset:704
	ds_load_b128 v[2:5], v2 offset:720
	v_fmac_f64_e32 v[84:85], v[82:83], v[60:61]
	v_fma_f64 v[60:61], v[80:81], v[60:61], -v[62:63]
	s_wait_loadcnt_dscnt 0x201
	v_mul_f64_e32 v[78:79], v[8:9], v[66:67]
	v_mul_f64_e32 v[66:67], v[10:11], v[66:67]
	v_add_f64_e32 v[62:63], 0, v[76:77]
	v_add_f64_e32 v[12:13], 0, v[12:13]
	s_wait_loadcnt_dscnt 0x100
	v_mul_f64_e32 v[76:77], v[2:3], v[70:71]
	v_mul_f64_e32 v[70:71], v[4:5], v[70:71]
	v_fmac_f64_e32 v[78:79], v[10:11], v[64:65]
	v_fma_f64 v[8:9], v[8:9], v[64:65], -v[66:67]
	v_add_f64_e32 v[10:11], v[62:63], v[60:61]
	v_add_f64_e32 v[12:13], v[12:13], v[84:85]
	v_fmac_f64_e32 v[76:77], v[4:5], v[68:69]
	v_fma_f64 v[2:3], v[2:3], v[68:69], -v[70:71]
	s_delay_alu instid0(VALU_DEP_4) | instskip(NEXT) | instid1(VALU_DEP_4)
	v_add_f64_e32 v[4:5], v[10:11], v[8:9]
	v_add_f64_e32 v[8:9], v[12:13], v[78:79]
	s_delay_alu instid0(VALU_DEP_2) | instskip(NEXT) | instid1(VALU_DEP_2)
	v_add_f64_e32 v[2:3], v[4:5], v[2:3]
	v_add_f64_e32 v[4:5], v[8:9], v[76:77]
	s_wait_loadcnt 0x0
	s_delay_alu instid0(VALU_DEP_2) | instskip(NEXT) | instid1(VALU_DEP_2)
	v_add_f64_e64 v[2:3], v[72:73], -v[2:3]
	v_add_f64_e64 v[4:5], v[74:75], -v[4:5]
	scratch_store_b128 off, v[2:5], off offset:288
	s_wait_xcnt 0x0
	v_cmpx_lt_u32_e32 17, v1
	s_cbranch_execz .LBB22_117
; %bb.116:
	scratch_load_b128 v[2:5], off, s30
	v_mov_b32_e32 v8, 0
	s_delay_alu instid0(VALU_DEP_1)
	v_dual_mov_b32 v9, v8 :: v_dual_mov_b32 v10, v8
	v_mov_b32_e32 v11, v8
	scratch_store_b128 off, v[8:11], off offset:272
	s_wait_loadcnt 0x0
	ds_store_b128 v6, v[2:5]
.LBB22_117:
	s_wait_xcnt 0x0
	s_or_b32 exec_lo, exec_lo, s2
	s_wait_storecnt_dscnt 0x0
	s_barrier_signal -1
	s_barrier_wait -1
	s_clause 0x5
	scratch_load_b128 v[8:11], off, off offset:288
	scratch_load_b128 v[60:63], off, off offset:304
	;; [unrolled: 1-line block ×6, first 2 shown]
	v_mov_b32_e32 v2, 0
	ds_load_b128 v[80:83], v2 offset:656
	ds_load_b128 v[84:87], v2 offset:672
	s_mov_b32 s2, exec_lo
	s_wait_loadcnt_dscnt 0x501
	v_mul_f64_e32 v[4:5], v[82:83], v[10:11]
	v_mul_f64_e32 v[12:13], v[80:81], v[10:11]
	s_wait_loadcnt_dscnt 0x400
	v_mul_f64_e32 v[88:89], v[84:85], v[62:63]
	v_mul_f64_e32 v[62:63], v[86:87], v[62:63]
	s_delay_alu instid0(VALU_DEP_4) | instskip(NEXT) | instid1(VALU_DEP_4)
	v_fma_f64 v[4:5], v[80:81], v[8:9], -v[4:5]
	v_fmac_f64_e32 v[12:13], v[82:83], v[8:9]
	ds_load_b128 v[8:11], v2 offset:688
	ds_load_b128 v[80:83], v2 offset:704
	v_fmac_f64_e32 v[88:89], v[86:87], v[60:61]
	v_fma_f64 v[60:61], v[84:85], v[60:61], -v[62:63]
	s_wait_loadcnt_dscnt 0x301
	v_mul_f64_e32 v[90:91], v[8:9], v[66:67]
	v_mul_f64_e32 v[66:67], v[10:11], v[66:67]
	s_wait_loadcnt_dscnt 0x200
	v_mul_f64_e32 v[62:63], v[80:81], v[70:71]
	v_mul_f64_e32 v[70:71], v[82:83], v[70:71]
	v_add_f64_e32 v[4:5], 0, v[4:5]
	v_add_f64_e32 v[12:13], 0, v[12:13]
	v_fmac_f64_e32 v[90:91], v[10:11], v[64:65]
	v_fma_f64 v[64:65], v[8:9], v[64:65], -v[66:67]
	ds_load_b128 v[8:11], v2 offset:720
	v_fmac_f64_e32 v[62:63], v[82:83], v[68:69]
	v_fma_f64 v[68:69], v[80:81], v[68:69], -v[70:71]
	v_add_f64_e32 v[4:5], v[4:5], v[60:61]
	v_add_f64_e32 v[12:13], v[12:13], v[88:89]
	s_wait_loadcnt_dscnt 0x100
	v_mul_f64_e32 v[60:61], v[8:9], v[74:75]
	v_mul_f64_e32 v[66:67], v[10:11], v[74:75]
	s_delay_alu instid0(VALU_DEP_4) | instskip(NEXT) | instid1(VALU_DEP_4)
	v_add_f64_e32 v[4:5], v[4:5], v[64:65]
	v_add_f64_e32 v[12:13], v[12:13], v[90:91]
	s_delay_alu instid0(VALU_DEP_4) | instskip(NEXT) | instid1(VALU_DEP_4)
	v_fmac_f64_e32 v[60:61], v[10:11], v[72:73]
	v_fma_f64 v[8:9], v[8:9], v[72:73], -v[66:67]
	s_delay_alu instid0(VALU_DEP_4) | instskip(NEXT) | instid1(VALU_DEP_4)
	v_add_f64_e32 v[4:5], v[4:5], v[68:69]
	v_add_f64_e32 v[10:11], v[12:13], v[62:63]
	s_delay_alu instid0(VALU_DEP_2) | instskip(NEXT) | instid1(VALU_DEP_2)
	v_add_f64_e32 v[4:5], v[4:5], v[8:9]
	v_add_f64_e32 v[10:11], v[10:11], v[60:61]
	s_wait_loadcnt 0x0
	s_delay_alu instid0(VALU_DEP_2) | instskip(NEXT) | instid1(VALU_DEP_2)
	v_add_f64_e64 v[8:9], v[76:77], -v[4:5]
	v_add_f64_e64 v[10:11], v[78:79], -v[10:11]
	scratch_store_b128 off, v[8:11], off offset:272
	s_wait_xcnt 0x0
	v_cmpx_lt_u32_e32 16, v1
	s_cbranch_execz .LBB22_119
; %bb.118:
	scratch_load_b128 v[8:11], off, s27
	v_dual_mov_b32 v3, v2 :: v_dual_mov_b32 v4, v2
	v_mov_b32_e32 v5, v2
	scratch_store_b128 off, v[2:5], off offset:256
	s_wait_loadcnt 0x0
	ds_store_b128 v6, v[8:11]
.LBB22_119:
	s_wait_xcnt 0x0
	s_or_b32 exec_lo, exec_lo, s2
	s_wait_storecnt_dscnt 0x0
	s_barrier_signal -1
	s_barrier_wait -1
	s_clause 0x6
	scratch_load_b128 v[8:11], off, off offset:272
	scratch_load_b128 v[60:63], off, off offset:288
	;; [unrolled: 1-line block ×7, first 2 shown]
	ds_load_b128 v[84:87], v2 offset:640
	ds_load_b128 v[88:91], v2 offset:656
	s_mov_b32 s2, exec_lo
	s_wait_loadcnt_dscnt 0x601
	v_mul_f64_e32 v[4:5], v[86:87], v[10:11]
	v_mul_f64_e32 v[12:13], v[84:85], v[10:11]
	s_wait_loadcnt_dscnt 0x500
	v_mul_f64_e32 v[92:93], v[88:89], v[62:63]
	v_mul_f64_e32 v[62:63], v[90:91], v[62:63]
	s_delay_alu instid0(VALU_DEP_4) | instskip(NEXT) | instid1(VALU_DEP_4)
	v_fma_f64 v[4:5], v[84:85], v[8:9], -v[4:5]
	v_fmac_f64_e32 v[12:13], v[86:87], v[8:9]
	ds_load_b128 v[8:11], v2 offset:672
	ds_load_b128 v[84:87], v2 offset:688
	v_fmac_f64_e32 v[92:93], v[90:91], v[60:61]
	v_fma_f64 v[60:61], v[88:89], v[60:61], -v[62:63]
	s_wait_loadcnt_dscnt 0x401
	v_mul_f64_e32 v[94:95], v[8:9], v[66:67]
	v_mul_f64_e32 v[66:67], v[10:11], v[66:67]
	s_wait_loadcnt_dscnt 0x300
	v_mul_f64_e32 v[62:63], v[84:85], v[70:71]
	v_mul_f64_e32 v[70:71], v[86:87], v[70:71]
	v_add_f64_e32 v[4:5], 0, v[4:5]
	v_add_f64_e32 v[12:13], 0, v[12:13]
	v_fmac_f64_e32 v[94:95], v[10:11], v[64:65]
	v_fma_f64 v[64:65], v[8:9], v[64:65], -v[66:67]
	v_fmac_f64_e32 v[62:63], v[86:87], v[68:69]
	v_fma_f64 v[68:69], v[84:85], v[68:69], -v[70:71]
	v_add_f64_e32 v[60:61], v[4:5], v[60:61]
	v_add_f64_e32 v[12:13], v[12:13], v[92:93]
	ds_load_b128 v[8:11], v2 offset:704
	ds_load_b128 v[2:5], v2 offset:720
	s_wait_loadcnt_dscnt 0x201
	v_mul_f64_e32 v[66:67], v[8:9], v[74:75]
	v_mul_f64_e32 v[74:75], v[10:11], v[74:75]
	s_wait_loadcnt_dscnt 0x100
	v_mul_f64_e32 v[70:71], v[4:5], v[78:79]
	v_add_f64_e32 v[60:61], v[60:61], v[64:65]
	v_add_f64_e32 v[12:13], v[12:13], v[94:95]
	v_mul_f64_e32 v[64:65], v[2:3], v[78:79]
	v_fmac_f64_e32 v[66:67], v[10:11], v[72:73]
	v_fma_f64 v[8:9], v[8:9], v[72:73], -v[74:75]
	v_fma_f64 v[2:3], v[2:3], v[76:77], -v[70:71]
	v_add_f64_e32 v[10:11], v[60:61], v[68:69]
	v_add_f64_e32 v[12:13], v[12:13], v[62:63]
	v_fmac_f64_e32 v[64:65], v[4:5], v[76:77]
	s_delay_alu instid0(VALU_DEP_3) | instskip(NEXT) | instid1(VALU_DEP_3)
	v_add_f64_e32 v[4:5], v[10:11], v[8:9]
	v_add_f64_e32 v[8:9], v[12:13], v[66:67]
	s_delay_alu instid0(VALU_DEP_2) | instskip(NEXT) | instid1(VALU_DEP_2)
	v_add_f64_e32 v[2:3], v[4:5], v[2:3]
	v_add_f64_e32 v[4:5], v[8:9], v[64:65]
	s_wait_loadcnt 0x0
	s_delay_alu instid0(VALU_DEP_2) | instskip(NEXT) | instid1(VALU_DEP_2)
	v_add_f64_e64 v[2:3], v[80:81], -v[2:3]
	v_add_f64_e64 v[4:5], v[82:83], -v[4:5]
	scratch_store_b128 off, v[2:5], off offset:256
	s_wait_xcnt 0x0
	v_cmpx_lt_u32_e32 15, v1
	s_cbranch_execz .LBB22_121
; %bb.120:
	scratch_load_b128 v[2:5], off, s34
	v_mov_b32_e32 v8, 0
	s_delay_alu instid0(VALU_DEP_1)
	v_dual_mov_b32 v9, v8 :: v_dual_mov_b32 v10, v8
	v_mov_b32_e32 v11, v8
	scratch_store_b128 off, v[8:11], off offset:240
	s_wait_loadcnt 0x0
	ds_store_b128 v6, v[2:5]
.LBB22_121:
	s_wait_xcnt 0x0
	s_or_b32 exec_lo, exec_lo, s2
	s_wait_storecnt_dscnt 0x0
	s_barrier_signal -1
	s_barrier_wait -1
	s_clause 0x7
	scratch_load_b128 v[8:11], off, off offset:256
	scratch_load_b128 v[60:63], off, off offset:272
	;; [unrolled: 1-line block ×8, first 2 shown]
	v_mov_b32_e32 v2, 0
	ds_load_b128 v[88:91], v2 offset:624
	ds_load_b128 v[92:95], v2 offset:640
	s_mov_b32 s2, exec_lo
	s_wait_loadcnt_dscnt 0x701
	v_mul_f64_e32 v[4:5], v[90:91], v[10:11]
	v_mul_f64_e32 v[12:13], v[88:89], v[10:11]
	s_wait_loadcnt_dscnt 0x600
	v_mul_f64_e32 v[96:97], v[92:93], v[62:63]
	v_mul_f64_e32 v[62:63], v[94:95], v[62:63]
	s_delay_alu instid0(VALU_DEP_4) | instskip(NEXT) | instid1(VALU_DEP_4)
	v_fma_f64 v[4:5], v[88:89], v[8:9], -v[4:5]
	v_fmac_f64_e32 v[12:13], v[90:91], v[8:9]
	ds_load_b128 v[8:11], v2 offset:656
	ds_load_b128 v[88:91], v2 offset:672
	v_fmac_f64_e32 v[96:97], v[94:95], v[60:61]
	v_fma_f64 v[60:61], v[92:93], v[60:61], -v[62:63]
	s_wait_loadcnt_dscnt 0x501
	v_mul_f64_e32 v[98:99], v[8:9], v[66:67]
	v_mul_f64_e32 v[66:67], v[10:11], v[66:67]
	s_wait_loadcnt_dscnt 0x400
	v_mul_f64_e32 v[92:93], v[88:89], v[70:71]
	v_mul_f64_e32 v[70:71], v[90:91], v[70:71]
	v_add_f64_e32 v[4:5], 0, v[4:5]
	v_add_f64_e32 v[12:13], 0, v[12:13]
	v_fmac_f64_e32 v[98:99], v[10:11], v[64:65]
	v_fma_f64 v[64:65], v[8:9], v[64:65], -v[66:67]
	v_fmac_f64_e32 v[92:93], v[90:91], v[68:69]
	v_fma_f64 v[68:69], v[88:89], v[68:69], -v[70:71]
	v_add_f64_e32 v[4:5], v[4:5], v[60:61]
	v_add_f64_e32 v[12:13], v[12:13], v[96:97]
	ds_load_b128 v[8:11], v2 offset:688
	ds_load_b128 v[60:63], v2 offset:704
	s_wait_loadcnt_dscnt 0x301
	v_mul_f64_e32 v[66:67], v[8:9], v[74:75]
	v_mul_f64_e32 v[74:75], v[10:11], v[74:75]
	s_wait_loadcnt_dscnt 0x200
	v_mul_f64_e32 v[70:71], v[62:63], v[78:79]
	v_add_f64_e32 v[4:5], v[4:5], v[64:65]
	v_add_f64_e32 v[12:13], v[12:13], v[98:99]
	v_mul_f64_e32 v[64:65], v[60:61], v[78:79]
	v_fmac_f64_e32 v[66:67], v[10:11], v[72:73]
	v_fma_f64 v[72:73], v[8:9], v[72:73], -v[74:75]
	ds_load_b128 v[8:11], v2 offset:720
	v_fma_f64 v[60:61], v[60:61], v[76:77], -v[70:71]
	v_add_f64_e32 v[4:5], v[4:5], v[68:69]
	v_add_f64_e32 v[12:13], v[12:13], v[92:93]
	v_fmac_f64_e32 v[64:65], v[62:63], v[76:77]
	s_wait_loadcnt_dscnt 0x100
	v_mul_f64_e32 v[68:69], v[8:9], v[82:83]
	v_mul_f64_e32 v[74:75], v[10:11], v[82:83]
	v_add_f64_e32 v[4:5], v[4:5], v[72:73]
	v_add_f64_e32 v[12:13], v[12:13], v[66:67]
	s_delay_alu instid0(VALU_DEP_4) | instskip(NEXT) | instid1(VALU_DEP_4)
	v_fmac_f64_e32 v[68:69], v[10:11], v[80:81]
	v_fma_f64 v[8:9], v[8:9], v[80:81], -v[74:75]
	s_delay_alu instid0(VALU_DEP_4) | instskip(NEXT) | instid1(VALU_DEP_4)
	v_add_f64_e32 v[4:5], v[4:5], v[60:61]
	v_add_f64_e32 v[10:11], v[12:13], v[64:65]
	s_delay_alu instid0(VALU_DEP_2) | instskip(NEXT) | instid1(VALU_DEP_2)
	v_add_f64_e32 v[4:5], v[4:5], v[8:9]
	v_add_f64_e32 v[10:11], v[10:11], v[68:69]
	s_wait_loadcnt 0x0
	s_delay_alu instid0(VALU_DEP_2) | instskip(NEXT) | instid1(VALU_DEP_2)
	v_add_f64_e64 v[8:9], v[84:85], -v[4:5]
	v_add_f64_e64 v[10:11], v[86:87], -v[10:11]
	scratch_store_b128 off, v[8:11], off offset:240
	s_wait_xcnt 0x0
	v_cmpx_lt_u32_e32 14, v1
	s_cbranch_execz .LBB22_123
; %bb.122:
	scratch_load_b128 v[8:11], off, s33
	v_dual_mov_b32 v3, v2 :: v_dual_mov_b32 v4, v2
	v_mov_b32_e32 v5, v2
	scratch_store_b128 off, v[2:5], off offset:224
	s_wait_loadcnt 0x0
	ds_store_b128 v6, v[8:11]
.LBB22_123:
	s_wait_xcnt 0x0
	s_or_b32 exec_lo, exec_lo, s2
	s_wait_storecnt_dscnt 0x0
	s_barrier_signal -1
	s_barrier_wait -1
	s_clause 0x7
	scratch_load_b128 v[8:11], off, off offset:240
	scratch_load_b128 v[60:63], off, off offset:256
	;; [unrolled: 1-line block ×8, first 2 shown]
	ds_load_b128 v[88:91], v2 offset:608
	ds_load_b128 v[92:95], v2 offset:624
	scratch_load_b128 v[96:99], off, off offset:224
	s_mov_b32 s2, exec_lo
	s_wait_loadcnt_dscnt 0x801
	v_mul_f64_e32 v[4:5], v[90:91], v[10:11]
	v_mul_f64_e32 v[12:13], v[88:89], v[10:11]
	s_wait_loadcnt_dscnt 0x700
	v_mul_f64_e32 v[100:101], v[92:93], v[62:63]
	v_mul_f64_e32 v[62:63], v[94:95], v[62:63]
	s_delay_alu instid0(VALU_DEP_4) | instskip(NEXT) | instid1(VALU_DEP_4)
	v_fma_f64 v[4:5], v[88:89], v[8:9], -v[4:5]
	v_fmac_f64_e32 v[12:13], v[90:91], v[8:9]
	ds_load_b128 v[8:11], v2 offset:640
	ds_load_b128 v[88:91], v2 offset:656
	v_fmac_f64_e32 v[100:101], v[94:95], v[60:61]
	v_fma_f64 v[60:61], v[92:93], v[60:61], -v[62:63]
	s_wait_loadcnt_dscnt 0x601
	v_mul_f64_e32 v[102:103], v[8:9], v[66:67]
	v_mul_f64_e32 v[66:67], v[10:11], v[66:67]
	s_wait_loadcnt_dscnt 0x500
	v_mul_f64_e32 v[92:93], v[88:89], v[70:71]
	v_mul_f64_e32 v[70:71], v[90:91], v[70:71]
	v_add_f64_e32 v[4:5], 0, v[4:5]
	v_add_f64_e32 v[12:13], 0, v[12:13]
	v_fmac_f64_e32 v[102:103], v[10:11], v[64:65]
	v_fma_f64 v[64:65], v[8:9], v[64:65], -v[66:67]
	v_fmac_f64_e32 v[92:93], v[90:91], v[68:69]
	v_fma_f64 v[68:69], v[88:89], v[68:69], -v[70:71]
	v_add_f64_e32 v[4:5], v[4:5], v[60:61]
	v_add_f64_e32 v[12:13], v[12:13], v[100:101]
	ds_load_b128 v[8:11], v2 offset:672
	ds_load_b128 v[60:63], v2 offset:688
	s_wait_loadcnt_dscnt 0x401
	v_mul_f64_e32 v[66:67], v[8:9], v[74:75]
	v_mul_f64_e32 v[74:75], v[10:11], v[74:75]
	s_wait_loadcnt_dscnt 0x300
	v_mul_f64_e32 v[70:71], v[62:63], v[78:79]
	v_add_f64_e32 v[4:5], v[4:5], v[64:65]
	v_add_f64_e32 v[12:13], v[12:13], v[102:103]
	v_mul_f64_e32 v[64:65], v[60:61], v[78:79]
	v_fmac_f64_e32 v[66:67], v[10:11], v[72:73]
	v_fma_f64 v[72:73], v[8:9], v[72:73], -v[74:75]
	v_fma_f64 v[60:61], v[60:61], v[76:77], -v[70:71]
	v_add_f64_e32 v[68:69], v[4:5], v[68:69]
	v_add_f64_e32 v[12:13], v[12:13], v[92:93]
	ds_load_b128 v[8:11], v2 offset:704
	ds_load_b128 v[2:5], v2 offset:720
	v_fmac_f64_e32 v[64:65], v[62:63], v[76:77]
	s_wait_loadcnt_dscnt 0x201
	v_mul_f64_e32 v[74:75], v[8:9], v[82:83]
	v_mul_f64_e32 v[78:79], v[10:11], v[82:83]
	v_add_f64_e32 v[62:63], v[68:69], v[72:73]
	v_add_f64_e32 v[12:13], v[12:13], v[66:67]
	s_wait_loadcnt_dscnt 0x100
	v_mul_f64_e32 v[66:67], v[2:3], v[86:87]
	v_mul_f64_e32 v[68:69], v[4:5], v[86:87]
	v_fmac_f64_e32 v[74:75], v[10:11], v[80:81]
	v_fma_f64 v[8:9], v[8:9], v[80:81], -v[78:79]
	v_add_f64_e32 v[10:11], v[62:63], v[60:61]
	v_add_f64_e32 v[12:13], v[12:13], v[64:65]
	v_fmac_f64_e32 v[66:67], v[4:5], v[84:85]
	v_fma_f64 v[2:3], v[2:3], v[84:85], -v[68:69]
	s_delay_alu instid0(VALU_DEP_4) | instskip(NEXT) | instid1(VALU_DEP_4)
	v_add_f64_e32 v[4:5], v[10:11], v[8:9]
	v_add_f64_e32 v[8:9], v[12:13], v[74:75]
	s_delay_alu instid0(VALU_DEP_2) | instskip(NEXT) | instid1(VALU_DEP_2)
	v_add_f64_e32 v[2:3], v[4:5], v[2:3]
	v_add_f64_e32 v[4:5], v[8:9], v[66:67]
	s_wait_loadcnt 0x0
	s_delay_alu instid0(VALU_DEP_2) | instskip(NEXT) | instid1(VALU_DEP_2)
	v_add_f64_e64 v[2:3], v[96:97], -v[2:3]
	v_add_f64_e64 v[4:5], v[98:99], -v[4:5]
	scratch_store_b128 off, v[2:5], off offset:224
	s_wait_xcnt 0x0
	v_cmpx_lt_u32_e32 13, v1
	s_cbranch_execz .LBB22_125
; %bb.124:
	scratch_load_b128 v[2:5], off, s29
	v_mov_b32_e32 v8, 0
	s_delay_alu instid0(VALU_DEP_1)
	v_dual_mov_b32 v9, v8 :: v_dual_mov_b32 v10, v8
	v_mov_b32_e32 v11, v8
	scratch_store_b128 off, v[8:11], off offset:208
	s_wait_loadcnt 0x0
	ds_store_b128 v6, v[2:5]
.LBB22_125:
	s_wait_xcnt 0x0
	s_or_b32 exec_lo, exec_lo, s2
	s_wait_storecnt_dscnt 0x0
	s_barrier_signal -1
	s_barrier_wait -1
	s_clause 0x8
	scratch_load_b128 v[8:11], off, off offset:224
	scratch_load_b128 v[60:63], off, off offset:240
	scratch_load_b128 v[64:67], off, off offset:256
	scratch_load_b128 v[68:71], off, off offset:272
	scratch_load_b128 v[72:75], off, off offset:288
	scratch_load_b128 v[76:79], off, off offset:304
	scratch_load_b128 v[80:83], off, off offset:320
	scratch_load_b128 v[84:87], off, off offset:336
	scratch_load_b128 v[88:91], off, off offset:352
	v_mov_b32_e32 v2, 0
	scratch_load_b128 v[96:99], off, off offset:208
	s_mov_b32 s2, exec_lo
	ds_load_b128 v[92:95], v2 offset:592
	ds_load_b128 v[100:103], v2 offset:608
	s_wait_loadcnt_dscnt 0x901
	v_mul_f64_e32 v[4:5], v[94:95], v[10:11]
	v_mul_f64_e32 v[12:13], v[92:93], v[10:11]
	s_wait_loadcnt_dscnt 0x800
	v_mul_f64_e32 v[104:105], v[100:101], v[62:63]
	v_mul_f64_e32 v[62:63], v[102:103], v[62:63]
	s_delay_alu instid0(VALU_DEP_4) | instskip(NEXT) | instid1(VALU_DEP_4)
	v_fma_f64 v[4:5], v[92:93], v[8:9], -v[4:5]
	v_fmac_f64_e32 v[12:13], v[94:95], v[8:9]
	ds_load_b128 v[8:11], v2 offset:624
	ds_load_b128 v[92:95], v2 offset:640
	v_fmac_f64_e32 v[104:105], v[102:103], v[60:61]
	v_fma_f64 v[60:61], v[100:101], v[60:61], -v[62:63]
	s_wait_loadcnt_dscnt 0x701
	v_mul_f64_e32 v[106:107], v[8:9], v[66:67]
	v_mul_f64_e32 v[66:67], v[10:11], v[66:67]
	s_wait_loadcnt_dscnt 0x600
	v_mul_f64_e32 v[100:101], v[92:93], v[70:71]
	v_mul_f64_e32 v[70:71], v[94:95], v[70:71]
	v_add_f64_e32 v[4:5], 0, v[4:5]
	v_add_f64_e32 v[12:13], 0, v[12:13]
	v_fmac_f64_e32 v[106:107], v[10:11], v[64:65]
	v_fma_f64 v[64:65], v[8:9], v[64:65], -v[66:67]
	v_fmac_f64_e32 v[100:101], v[94:95], v[68:69]
	v_fma_f64 v[68:69], v[92:93], v[68:69], -v[70:71]
	v_add_f64_e32 v[4:5], v[4:5], v[60:61]
	v_add_f64_e32 v[12:13], v[12:13], v[104:105]
	ds_load_b128 v[8:11], v2 offset:656
	ds_load_b128 v[60:63], v2 offset:672
	s_wait_loadcnt_dscnt 0x501
	v_mul_f64_e32 v[102:103], v[8:9], v[74:75]
	v_mul_f64_e32 v[66:67], v[10:11], v[74:75]
	s_wait_loadcnt_dscnt 0x400
	v_mul_f64_e32 v[70:71], v[60:61], v[78:79]
	v_mul_f64_e32 v[74:75], v[62:63], v[78:79]
	v_add_f64_e32 v[4:5], v[4:5], v[64:65]
	v_add_f64_e32 v[12:13], v[12:13], v[106:107]
	v_fmac_f64_e32 v[102:103], v[10:11], v[72:73]
	v_fma_f64 v[72:73], v[8:9], v[72:73], -v[66:67]
	ds_load_b128 v[8:11], v2 offset:688
	ds_load_b128 v[64:67], v2 offset:704
	v_fmac_f64_e32 v[70:71], v[62:63], v[76:77]
	v_fma_f64 v[60:61], v[60:61], v[76:77], -v[74:75]
	v_add_f64_e32 v[4:5], v[4:5], v[68:69]
	v_add_f64_e32 v[12:13], v[12:13], v[100:101]
	s_wait_loadcnt_dscnt 0x301
	v_mul_f64_e32 v[68:69], v[8:9], v[82:83]
	v_mul_f64_e32 v[78:79], v[10:11], v[82:83]
	s_wait_loadcnt_dscnt 0x200
	v_mul_f64_e32 v[62:63], v[64:65], v[86:87]
	v_add_f64_e32 v[4:5], v[4:5], v[72:73]
	v_add_f64_e32 v[12:13], v[12:13], v[102:103]
	v_mul_f64_e32 v[72:73], v[66:67], v[86:87]
	v_fmac_f64_e32 v[68:69], v[10:11], v[80:81]
	v_fma_f64 v[74:75], v[8:9], v[80:81], -v[78:79]
	ds_load_b128 v[8:11], v2 offset:720
	v_fmac_f64_e32 v[62:63], v[66:67], v[84:85]
	v_add_f64_e32 v[4:5], v[4:5], v[60:61]
	v_add_f64_e32 v[12:13], v[12:13], v[70:71]
	s_wait_loadcnt_dscnt 0x100
	v_mul_f64_e32 v[60:61], v[8:9], v[90:91]
	v_mul_f64_e32 v[70:71], v[10:11], v[90:91]
	v_fma_f64 v[64:65], v[64:65], v[84:85], -v[72:73]
	v_add_f64_e32 v[4:5], v[4:5], v[74:75]
	v_add_f64_e32 v[12:13], v[12:13], v[68:69]
	v_fmac_f64_e32 v[60:61], v[10:11], v[88:89]
	v_fma_f64 v[8:9], v[8:9], v[88:89], -v[70:71]
	s_delay_alu instid0(VALU_DEP_4) | instskip(NEXT) | instid1(VALU_DEP_4)
	v_add_f64_e32 v[4:5], v[4:5], v[64:65]
	v_add_f64_e32 v[10:11], v[12:13], v[62:63]
	s_delay_alu instid0(VALU_DEP_2) | instskip(NEXT) | instid1(VALU_DEP_2)
	v_add_f64_e32 v[4:5], v[4:5], v[8:9]
	v_add_f64_e32 v[10:11], v[10:11], v[60:61]
	s_wait_loadcnt 0x0
	s_delay_alu instid0(VALU_DEP_2) | instskip(NEXT) | instid1(VALU_DEP_2)
	v_add_f64_e64 v[8:9], v[96:97], -v[4:5]
	v_add_f64_e64 v[10:11], v[98:99], -v[10:11]
	scratch_store_b128 off, v[8:11], off offset:208
	s_wait_xcnt 0x0
	v_cmpx_lt_u32_e32 12, v1
	s_cbranch_execz .LBB22_127
; %bb.126:
	scratch_load_b128 v[8:11], off, s26
	v_dual_mov_b32 v3, v2 :: v_dual_mov_b32 v4, v2
	v_mov_b32_e32 v5, v2
	scratch_store_b128 off, v[2:5], off offset:192
	s_wait_loadcnt 0x0
	ds_store_b128 v6, v[8:11]
.LBB22_127:
	s_wait_xcnt 0x0
	s_or_b32 exec_lo, exec_lo, s2
	s_wait_storecnt_dscnt 0x0
	s_barrier_signal -1
	s_barrier_wait -1
	s_clause 0x9
	scratch_load_b128 v[8:11], off, off offset:208
	scratch_load_b128 v[60:63], off, off offset:224
	;; [unrolled: 1-line block ×10, first 2 shown]
	ds_load_b128 v[96:99], v2 offset:576
	ds_load_b128 v[100:103], v2 offset:592
	scratch_load_b128 v[104:107], off, off offset:192
	s_mov_b32 s2, exec_lo
	s_wait_loadcnt_dscnt 0xa01
	v_mul_f64_e32 v[4:5], v[98:99], v[10:11]
	v_mul_f64_e32 v[12:13], v[96:97], v[10:11]
	s_wait_loadcnt_dscnt 0x900
	v_mul_f64_e32 v[108:109], v[100:101], v[62:63]
	v_mul_f64_e32 v[62:63], v[102:103], v[62:63]
	s_delay_alu instid0(VALU_DEP_4) | instskip(NEXT) | instid1(VALU_DEP_4)
	v_fma_f64 v[4:5], v[96:97], v[8:9], -v[4:5]
	v_fmac_f64_e32 v[12:13], v[98:99], v[8:9]
	ds_load_b128 v[8:11], v2 offset:608
	ds_load_b128 v[96:99], v2 offset:624
	v_fmac_f64_e32 v[108:109], v[102:103], v[60:61]
	v_fma_f64 v[60:61], v[100:101], v[60:61], -v[62:63]
	s_wait_loadcnt_dscnt 0x801
	v_mul_f64_e32 v[110:111], v[8:9], v[66:67]
	v_mul_f64_e32 v[66:67], v[10:11], v[66:67]
	s_wait_loadcnt_dscnt 0x700
	v_mul_f64_e32 v[100:101], v[96:97], v[70:71]
	v_mul_f64_e32 v[70:71], v[98:99], v[70:71]
	v_add_f64_e32 v[4:5], 0, v[4:5]
	v_add_f64_e32 v[12:13], 0, v[12:13]
	v_fmac_f64_e32 v[110:111], v[10:11], v[64:65]
	v_fma_f64 v[64:65], v[8:9], v[64:65], -v[66:67]
	v_fmac_f64_e32 v[100:101], v[98:99], v[68:69]
	v_fma_f64 v[68:69], v[96:97], v[68:69], -v[70:71]
	v_add_f64_e32 v[4:5], v[4:5], v[60:61]
	v_add_f64_e32 v[12:13], v[12:13], v[108:109]
	ds_load_b128 v[8:11], v2 offset:640
	ds_load_b128 v[60:63], v2 offset:656
	s_wait_loadcnt_dscnt 0x601
	v_mul_f64_e32 v[102:103], v[8:9], v[74:75]
	v_mul_f64_e32 v[66:67], v[10:11], v[74:75]
	s_wait_loadcnt_dscnt 0x500
	v_mul_f64_e32 v[70:71], v[60:61], v[78:79]
	v_mul_f64_e32 v[74:75], v[62:63], v[78:79]
	v_add_f64_e32 v[4:5], v[4:5], v[64:65]
	v_add_f64_e32 v[12:13], v[12:13], v[110:111]
	v_fmac_f64_e32 v[102:103], v[10:11], v[72:73]
	v_fma_f64 v[72:73], v[8:9], v[72:73], -v[66:67]
	ds_load_b128 v[8:11], v2 offset:672
	ds_load_b128 v[64:67], v2 offset:688
	v_fmac_f64_e32 v[70:71], v[62:63], v[76:77]
	v_fma_f64 v[60:61], v[60:61], v[76:77], -v[74:75]
	v_add_f64_e32 v[4:5], v[4:5], v[68:69]
	v_add_f64_e32 v[12:13], v[12:13], v[100:101]
	s_wait_loadcnt_dscnt 0x401
	v_mul_f64_e32 v[68:69], v[8:9], v[82:83]
	v_mul_f64_e32 v[78:79], v[10:11], v[82:83]
	s_wait_loadcnt_dscnt 0x300
	v_mul_f64_e32 v[62:63], v[64:65], v[86:87]
	v_add_f64_e32 v[4:5], v[4:5], v[72:73]
	v_add_f64_e32 v[12:13], v[12:13], v[102:103]
	v_mul_f64_e32 v[72:73], v[66:67], v[86:87]
	v_fmac_f64_e32 v[68:69], v[10:11], v[80:81]
	v_fma_f64 v[74:75], v[8:9], v[80:81], -v[78:79]
	v_fmac_f64_e32 v[62:63], v[66:67], v[84:85]
	v_add_f64_e32 v[60:61], v[4:5], v[60:61]
	v_add_f64_e32 v[12:13], v[12:13], v[70:71]
	ds_load_b128 v[8:11], v2 offset:704
	ds_load_b128 v[2:5], v2 offset:720
	v_fma_f64 v[64:65], v[64:65], v[84:85], -v[72:73]
	s_wait_loadcnt_dscnt 0x201
	v_mul_f64_e32 v[70:71], v[8:9], v[90:91]
	v_mul_f64_e32 v[76:77], v[10:11], v[90:91]
	s_wait_loadcnt_dscnt 0x100
	v_mul_f64_e32 v[66:67], v[2:3], v[94:95]
	v_add_f64_e32 v[60:61], v[60:61], v[74:75]
	v_add_f64_e32 v[12:13], v[12:13], v[68:69]
	v_mul_f64_e32 v[68:69], v[4:5], v[94:95]
	v_fmac_f64_e32 v[70:71], v[10:11], v[88:89]
	v_fma_f64 v[8:9], v[8:9], v[88:89], -v[76:77]
	v_fmac_f64_e32 v[66:67], v[4:5], v[92:93]
	v_add_f64_e32 v[10:11], v[60:61], v[64:65]
	v_add_f64_e32 v[12:13], v[12:13], v[62:63]
	v_fma_f64 v[2:3], v[2:3], v[92:93], -v[68:69]
	s_delay_alu instid0(VALU_DEP_3) | instskip(NEXT) | instid1(VALU_DEP_3)
	v_add_f64_e32 v[4:5], v[10:11], v[8:9]
	v_add_f64_e32 v[8:9], v[12:13], v[70:71]
	s_delay_alu instid0(VALU_DEP_2) | instskip(NEXT) | instid1(VALU_DEP_2)
	v_add_f64_e32 v[2:3], v[4:5], v[2:3]
	v_add_f64_e32 v[4:5], v[8:9], v[66:67]
	s_wait_loadcnt 0x0
	s_delay_alu instid0(VALU_DEP_2) | instskip(NEXT) | instid1(VALU_DEP_2)
	v_add_f64_e64 v[2:3], v[104:105], -v[2:3]
	v_add_f64_e64 v[4:5], v[106:107], -v[4:5]
	scratch_store_b128 off, v[2:5], off offset:192
	s_wait_xcnt 0x0
	v_cmpx_lt_u32_e32 11, v1
	s_cbranch_execz .LBB22_129
; %bb.128:
	scratch_load_b128 v[2:5], off, s22
	v_mov_b32_e32 v8, 0
	s_delay_alu instid0(VALU_DEP_1)
	v_dual_mov_b32 v9, v8 :: v_dual_mov_b32 v10, v8
	v_mov_b32_e32 v11, v8
	scratch_store_b128 off, v[8:11], off offset:176
	s_wait_loadcnt 0x0
	ds_store_b128 v6, v[2:5]
.LBB22_129:
	s_wait_xcnt 0x0
	s_or_b32 exec_lo, exec_lo, s2
	s_wait_storecnt_dscnt 0x0
	s_barrier_signal -1
	s_barrier_wait -1
	s_clause 0x9
	scratch_load_b128 v[8:11], off, off offset:192
	scratch_load_b128 v[60:63], off, off offset:208
	;; [unrolled: 1-line block ×10, first 2 shown]
	v_mov_b32_e32 v2, 0
	s_mov_b32 s2, exec_lo
	ds_load_b128 v[96:99], v2 offset:560
	s_clause 0x1
	scratch_load_b128 v[100:103], off, off offset:352
	scratch_load_b128 v[104:107], off, off offset:176
	s_wait_loadcnt_dscnt 0xb00
	v_mul_f64_e32 v[4:5], v[98:99], v[10:11]
	v_mul_f64_e32 v[12:13], v[96:97], v[10:11]
	ds_load_b128 v[108:111], v2 offset:576
	s_wait_loadcnt_dscnt 0xa00
	v_mul_f64_e32 v[112:113], v[108:109], v[62:63]
	v_mul_f64_e32 v[62:63], v[110:111], v[62:63]
	v_fma_f64 v[4:5], v[96:97], v[8:9], -v[4:5]
	v_fmac_f64_e32 v[12:13], v[98:99], v[8:9]
	ds_load_b128 v[8:11], v2 offset:592
	ds_load_b128 v[96:99], v2 offset:608
	s_wait_loadcnt_dscnt 0x901
	v_mul_f64_e32 v[114:115], v[8:9], v[66:67]
	v_mul_f64_e32 v[66:67], v[10:11], v[66:67]
	v_fmac_f64_e32 v[112:113], v[110:111], v[60:61]
	v_fma_f64 v[60:61], v[108:109], v[60:61], -v[62:63]
	s_wait_loadcnt_dscnt 0x800
	v_mul_f64_e32 v[108:109], v[96:97], v[70:71]
	v_mul_f64_e32 v[70:71], v[98:99], v[70:71]
	v_add_f64_e32 v[4:5], 0, v[4:5]
	v_add_f64_e32 v[12:13], 0, v[12:13]
	v_fmac_f64_e32 v[114:115], v[10:11], v[64:65]
	v_fma_f64 v[64:65], v[8:9], v[64:65], -v[66:67]
	v_fmac_f64_e32 v[108:109], v[98:99], v[68:69]
	v_fma_f64 v[68:69], v[96:97], v[68:69], -v[70:71]
	v_add_f64_e32 v[4:5], v[4:5], v[60:61]
	v_add_f64_e32 v[12:13], v[12:13], v[112:113]
	ds_load_b128 v[8:11], v2 offset:624
	ds_load_b128 v[60:63], v2 offset:640
	s_wait_loadcnt_dscnt 0x701
	v_mul_f64_e32 v[110:111], v[8:9], v[74:75]
	v_mul_f64_e32 v[66:67], v[10:11], v[74:75]
	s_wait_loadcnt_dscnt 0x600
	v_mul_f64_e32 v[70:71], v[60:61], v[78:79]
	v_mul_f64_e32 v[74:75], v[62:63], v[78:79]
	v_add_f64_e32 v[4:5], v[4:5], v[64:65]
	v_add_f64_e32 v[12:13], v[12:13], v[114:115]
	v_fmac_f64_e32 v[110:111], v[10:11], v[72:73]
	v_fma_f64 v[72:73], v[8:9], v[72:73], -v[66:67]
	ds_load_b128 v[8:11], v2 offset:656
	ds_load_b128 v[64:67], v2 offset:672
	v_fmac_f64_e32 v[70:71], v[62:63], v[76:77]
	v_fma_f64 v[60:61], v[60:61], v[76:77], -v[74:75]
	v_add_f64_e32 v[4:5], v[4:5], v[68:69]
	v_add_f64_e32 v[12:13], v[12:13], v[108:109]
	s_wait_loadcnt_dscnt 0x501
	v_mul_f64_e32 v[68:69], v[8:9], v[82:83]
	v_mul_f64_e32 v[78:79], v[10:11], v[82:83]
	s_wait_loadcnt_dscnt 0x400
	v_mul_f64_e32 v[74:75], v[66:67], v[86:87]
	v_add_f64_e32 v[4:5], v[4:5], v[72:73]
	v_add_f64_e32 v[12:13], v[12:13], v[110:111]
	v_mul_f64_e32 v[72:73], v[64:65], v[86:87]
	v_fmac_f64_e32 v[68:69], v[10:11], v[80:81]
	v_fma_f64 v[76:77], v[8:9], v[80:81], -v[78:79]
	v_fma_f64 v[64:65], v[64:65], v[84:85], -v[74:75]
	v_add_f64_e32 v[4:5], v[4:5], v[60:61]
	v_add_f64_e32 v[12:13], v[12:13], v[70:71]
	ds_load_b128 v[8:11], v2 offset:688
	ds_load_b128 v[60:63], v2 offset:704
	v_fmac_f64_e32 v[72:73], v[66:67], v[84:85]
	s_wait_loadcnt_dscnt 0x301
	v_mul_f64_e32 v[70:71], v[8:9], v[90:91]
	v_mul_f64_e32 v[78:79], v[10:11], v[90:91]
	s_wait_loadcnt_dscnt 0x200
	v_mul_f64_e32 v[66:67], v[60:61], v[94:95]
	v_add_f64_e32 v[4:5], v[4:5], v[76:77]
	v_add_f64_e32 v[12:13], v[12:13], v[68:69]
	v_mul_f64_e32 v[68:69], v[62:63], v[94:95]
	v_fmac_f64_e32 v[70:71], v[10:11], v[88:89]
	v_fma_f64 v[74:75], v[8:9], v[88:89], -v[78:79]
	ds_load_b128 v[8:11], v2 offset:720
	v_fmac_f64_e32 v[66:67], v[62:63], v[92:93]
	v_add_f64_e32 v[4:5], v[4:5], v[64:65]
	v_add_f64_e32 v[12:13], v[12:13], v[72:73]
	v_fma_f64 v[60:61], v[60:61], v[92:93], -v[68:69]
	s_wait_loadcnt_dscnt 0x100
	v_mul_f64_e32 v[64:65], v[8:9], v[102:103]
	v_mul_f64_e32 v[72:73], v[10:11], v[102:103]
	v_add_f64_e32 v[4:5], v[4:5], v[74:75]
	v_add_f64_e32 v[12:13], v[12:13], v[70:71]
	s_delay_alu instid0(VALU_DEP_4) | instskip(NEXT) | instid1(VALU_DEP_4)
	v_fmac_f64_e32 v[64:65], v[10:11], v[100:101]
	v_fma_f64 v[8:9], v[8:9], v[100:101], -v[72:73]
	s_delay_alu instid0(VALU_DEP_4) | instskip(NEXT) | instid1(VALU_DEP_4)
	v_add_f64_e32 v[4:5], v[4:5], v[60:61]
	v_add_f64_e32 v[10:11], v[12:13], v[66:67]
	s_delay_alu instid0(VALU_DEP_2) | instskip(NEXT) | instid1(VALU_DEP_2)
	v_add_f64_e32 v[4:5], v[4:5], v[8:9]
	v_add_f64_e32 v[10:11], v[10:11], v[64:65]
	s_wait_loadcnt 0x0
	s_delay_alu instid0(VALU_DEP_2) | instskip(NEXT) | instid1(VALU_DEP_2)
	v_add_f64_e64 v[8:9], v[104:105], -v[4:5]
	v_add_f64_e64 v[10:11], v[106:107], -v[10:11]
	scratch_store_b128 off, v[8:11], off offset:176
	s_wait_xcnt 0x0
	v_cmpx_lt_u32_e32 10, v1
	s_cbranch_execz .LBB22_131
; %bb.130:
	scratch_load_b128 v[8:11], off, s20
	v_dual_mov_b32 v3, v2 :: v_dual_mov_b32 v4, v2
	v_mov_b32_e32 v5, v2
	scratch_store_b128 off, v[2:5], off offset:160
	s_wait_loadcnt 0x0
	ds_store_b128 v6, v[8:11]
.LBB22_131:
	s_wait_xcnt 0x0
	s_or_b32 exec_lo, exec_lo, s2
	s_wait_storecnt_dscnt 0x0
	s_barrier_signal -1
	s_barrier_wait -1
	s_clause 0x9
	scratch_load_b128 v[8:11], off, off offset:176
	scratch_load_b128 v[60:63], off, off offset:192
	;; [unrolled: 1-line block ×10, first 2 shown]
	ds_load_b128 v[96:99], v2 offset:544
	ds_load_b128 v[104:107], v2 offset:560
	s_clause 0x1
	scratch_load_b128 v[100:103], off, off offset:336
	scratch_load_b128 v[108:111], off, off offset:160
	s_mov_b32 s2, exec_lo
	s_wait_loadcnt_dscnt 0xb01
	v_mul_f64_e32 v[4:5], v[98:99], v[10:11]
	v_mul_f64_e32 v[116:117], v[96:97], v[10:11]
	scratch_load_b128 v[10:13], off, off offset:352
	s_wait_loadcnt_dscnt 0xb00
	v_mul_f64_e32 v[118:119], v[104:105], v[62:63]
	v_mul_f64_e32 v[62:63], v[106:107], v[62:63]
	v_fma_f64 v[4:5], v[96:97], v[8:9], -v[4:5]
	v_fmac_f64_e32 v[116:117], v[98:99], v[8:9]
	ds_load_b128 v[96:99], v2 offset:576
	ds_load_b128 v[112:115], v2 offset:592
	v_fmac_f64_e32 v[118:119], v[106:107], v[60:61]
	v_fma_f64 v[60:61], v[104:105], v[60:61], -v[62:63]
	s_wait_loadcnt_dscnt 0xa01
	v_mul_f64_e32 v[8:9], v[96:97], v[66:67]
	v_mul_f64_e32 v[66:67], v[98:99], v[66:67]
	s_wait_loadcnt_dscnt 0x900
	v_mul_f64_e32 v[104:105], v[112:113], v[70:71]
	v_mul_f64_e32 v[70:71], v[114:115], v[70:71]
	v_add_f64_e32 v[4:5], 0, v[4:5]
	v_add_f64_e32 v[62:63], 0, v[116:117]
	v_fmac_f64_e32 v[8:9], v[98:99], v[64:65]
	v_fma_f64 v[96:97], v[96:97], v[64:65], -v[66:67]
	v_fmac_f64_e32 v[104:105], v[114:115], v[68:69]
	v_fma_f64 v[68:69], v[112:113], v[68:69], -v[70:71]
	v_add_f64_e32 v[4:5], v[4:5], v[60:61]
	v_add_f64_e32 v[98:99], v[62:63], v[118:119]
	ds_load_b128 v[60:63], v2 offset:608
	ds_load_b128 v[64:67], v2 offset:624
	s_wait_loadcnt_dscnt 0x801
	v_mul_f64_e32 v[106:107], v[60:61], v[74:75]
	v_mul_f64_e32 v[74:75], v[62:63], v[74:75]
	v_add_f64_e32 v[4:5], v[4:5], v[96:97]
	v_add_f64_e32 v[8:9], v[98:99], v[8:9]
	s_wait_loadcnt_dscnt 0x700
	v_mul_f64_e32 v[96:97], v[64:65], v[78:79]
	v_mul_f64_e32 v[78:79], v[66:67], v[78:79]
	v_fmac_f64_e32 v[106:107], v[62:63], v[72:73]
	v_fma_f64 v[72:73], v[60:61], v[72:73], -v[74:75]
	v_add_f64_e32 v[4:5], v[4:5], v[68:69]
	v_add_f64_e32 v[8:9], v[8:9], v[104:105]
	ds_load_b128 v[60:63], v2 offset:640
	ds_load_b128 v[68:71], v2 offset:656
	v_fmac_f64_e32 v[96:97], v[66:67], v[76:77]
	v_fma_f64 v[64:65], v[64:65], v[76:77], -v[78:79]
	s_wait_loadcnt_dscnt 0x601
	v_mul_f64_e32 v[74:75], v[60:61], v[82:83]
	v_mul_f64_e32 v[82:83], v[62:63], v[82:83]
	s_wait_loadcnt_dscnt 0x500
	v_mul_f64_e32 v[76:77], v[70:71], v[86:87]
	v_add_f64_e32 v[4:5], v[4:5], v[72:73]
	v_add_f64_e32 v[8:9], v[8:9], v[106:107]
	v_mul_f64_e32 v[72:73], v[68:69], v[86:87]
	v_fmac_f64_e32 v[74:75], v[62:63], v[80:81]
	v_fma_f64 v[78:79], v[60:61], v[80:81], -v[82:83]
	v_fma_f64 v[68:69], v[68:69], v[84:85], -v[76:77]
	v_add_f64_e32 v[4:5], v[4:5], v[64:65]
	v_add_f64_e32 v[8:9], v[8:9], v[96:97]
	ds_load_b128 v[60:63], v2 offset:672
	ds_load_b128 v[64:67], v2 offset:688
	v_fmac_f64_e32 v[72:73], v[70:71], v[84:85]
	s_wait_loadcnt_dscnt 0x401
	v_mul_f64_e32 v[80:81], v[60:61], v[90:91]
	v_mul_f64_e32 v[82:83], v[62:63], v[90:91]
	s_wait_loadcnt_dscnt 0x300
	v_mul_f64_e32 v[70:71], v[64:65], v[94:95]
	v_add_f64_e32 v[4:5], v[4:5], v[78:79]
	v_add_f64_e32 v[8:9], v[8:9], v[74:75]
	v_mul_f64_e32 v[74:75], v[66:67], v[94:95]
	v_fmac_f64_e32 v[80:81], v[62:63], v[88:89]
	v_fma_f64 v[76:77], v[60:61], v[88:89], -v[82:83]
	v_fmac_f64_e32 v[70:71], v[66:67], v[92:93]
	v_add_f64_e32 v[68:69], v[4:5], v[68:69]
	v_add_f64_e32 v[8:9], v[8:9], v[72:73]
	ds_load_b128 v[60:63], v2 offset:704
	ds_load_b128 v[2:5], v2 offset:720
	v_fma_f64 v[64:65], v[64:65], v[92:93], -v[74:75]
	s_wait_loadcnt_dscnt 0x201
	v_mul_f64_e32 v[72:73], v[60:61], v[102:103]
	v_mul_f64_e32 v[78:79], v[62:63], v[102:103]
	v_add_f64_e32 v[66:67], v[68:69], v[76:77]
	v_add_f64_e32 v[8:9], v[8:9], v[80:81]
	s_wait_loadcnt_dscnt 0x0
	v_mul_f64_e32 v[68:69], v[2:3], v[12:13]
	v_mul_f64_e32 v[12:13], v[4:5], v[12:13]
	v_fmac_f64_e32 v[72:73], v[62:63], v[100:101]
	v_fma_f64 v[60:61], v[60:61], v[100:101], -v[78:79]
	v_add_f64_e32 v[62:63], v[66:67], v[64:65]
	v_add_f64_e32 v[8:9], v[8:9], v[70:71]
	v_fmac_f64_e32 v[68:69], v[4:5], v[10:11]
	v_fma_f64 v[2:3], v[2:3], v[10:11], -v[12:13]
	s_delay_alu instid0(VALU_DEP_4) | instskip(NEXT) | instid1(VALU_DEP_4)
	v_add_f64_e32 v[4:5], v[62:63], v[60:61]
	v_add_f64_e32 v[8:9], v[8:9], v[72:73]
	s_delay_alu instid0(VALU_DEP_2) | instskip(NEXT) | instid1(VALU_DEP_2)
	v_add_f64_e32 v[2:3], v[4:5], v[2:3]
	v_add_f64_e32 v[4:5], v[8:9], v[68:69]
	s_delay_alu instid0(VALU_DEP_2) | instskip(NEXT) | instid1(VALU_DEP_2)
	v_add_f64_e64 v[2:3], v[108:109], -v[2:3]
	v_add_f64_e64 v[4:5], v[110:111], -v[4:5]
	scratch_store_b128 off, v[2:5], off offset:160
	s_wait_xcnt 0x0
	v_cmpx_lt_u32_e32 9, v1
	s_cbranch_execz .LBB22_133
; %bb.132:
	scratch_load_b128 v[2:5], off, s13
	v_mov_b32_e32 v8, 0
	s_delay_alu instid0(VALU_DEP_1)
	v_dual_mov_b32 v9, v8 :: v_dual_mov_b32 v10, v8
	v_mov_b32_e32 v11, v8
	scratch_store_b128 off, v[8:11], off offset:144
	s_wait_loadcnt 0x0
	ds_store_b128 v6, v[2:5]
.LBB22_133:
	s_wait_xcnt 0x0
	s_or_b32 exec_lo, exec_lo, s2
	s_wait_storecnt_dscnt 0x0
	s_barrier_signal -1
	s_barrier_wait -1
	s_clause 0x9
	scratch_load_b128 v[8:11], off, off offset:160
	scratch_load_b128 v[60:63], off, off offset:176
	;; [unrolled: 1-line block ×10, first 2 shown]
	v_mov_b32_e32 v2, 0
	s_mov_b32 s2, exec_lo
	ds_load_b128 v[96:99], v2 offset:528
	s_clause 0x2
	scratch_load_b128 v[100:103], off, off offset:320
	scratch_load_b128 v[104:107], off, off offset:144
	;; [unrolled: 1-line block ×3, first 2 shown]
	s_wait_loadcnt_dscnt 0xc00
	v_mul_f64_e32 v[4:5], v[98:99], v[10:11]
	v_mul_f64_e32 v[120:121], v[96:97], v[10:11]
	ds_load_b128 v[108:111], v2 offset:544
	scratch_load_b128 v[10:13], off, off offset:336
	ds_load_b128 v[116:119], v2 offset:576
	v_fma_f64 v[4:5], v[96:97], v[8:9], -v[4:5]
	v_fmac_f64_e32 v[120:121], v[98:99], v[8:9]
	ds_load_b128 v[96:99], v2 offset:560
	s_wait_loadcnt_dscnt 0xc02
	v_mul_f64_e32 v[122:123], v[108:109], v[62:63]
	v_mul_f64_e32 v[62:63], v[110:111], v[62:63]
	s_wait_loadcnt_dscnt 0xb00
	v_mul_f64_e32 v[8:9], v[96:97], v[66:67]
	v_mul_f64_e32 v[66:67], v[98:99], v[66:67]
	v_add_f64_e32 v[4:5], 0, v[4:5]
	v_fmac_f64_e32 v[122:123], v[110:111], v[60:61]
	v_fma_f64 v[60:61], v[108:109], v[60:61], -v[62:63]
	v_add_f64_e32 v[62:63], 0, v[120:121]
	s_wait_loadcnt 0xa
	v_mul_f64_e32 v[108:109], v[116:117], v[70:71]
	v_mul_f64_e32 v[70:71], v[118:119], v[70:71]
	v_fmac_f64_e32 v[8:9], v[98:99], v[64:65]
	v_fma_f64 v[96:97], v[96:97], v[64:65], -v[66:67]
	v_add_f64_e32 v[4:5], v[4:5], v[60:61]
	v_add_f64_e32 v[98:99], v[62:63], v[122:123]
	ds_load_b128 v[60:63], v2 offset:592
	ds_load_b128 v[64:67], v2 offset:608
	v_fmac_f64_e32 v[108:109], v[118:119], v[68:69]
	v_fma_f64 v[68:69], v[116:117], v[68:69], -v[70:71]
	s_wait_loadcnt_dscnt 0x901
	v_mul_f64_e32 v[110:111], v[60:61], v[74:75]
	v_mul_f64_e32 v[74:75], v[62:63], v[74:75]
	v_add_f64_e32 v[4:5], v[4:5], v[96:97]
	v_add_f64_e32 v[8:9], v[98:99], v[8:9]
	s_wait_loadcnt_dscnt 0x800
	v_mul_f64_e32 v[96:97], v[64:65], v[78:79]
	v_mul_f64_e32 v[78:79], v[66:67], v[78:79]
	v_fmac_f64_e32 v[110:111], v[62:63], v[72:73]
	v_fma_f64 v[72:73], v[60:61], v[72:73], -v[74:75]
	v_add_f64_e32 v[4:5], v[4:5], v[68:69]
	v_add_f64_e32 v[8:9], v[8:9], v[108:109]
	ds_load_b128 v[60:63], v2 offset:624
	ds_load_b128 v[68:71], v2 offset:640
	v_fmac_f64_e32 v[96:97], v[66:67], v[76:77]
	v_fma_f64 v[64:65], v[64:65], v[76:77], -v[78:79]
	s_wait_loadcnt_dscnt 0x701
	v_mul_f64_e32 v[74:75], v[60:61], v[82:83]
	v_mul_f64_e32 v[82:83], v[62:63], v[82:83]
	s_wait_loadcnt_dscnt 0x600
	v_mul_f64_e32 v[76:77], v[70:71], v[86:87]
	v_add_f64_e32 v[4:5], v[4:5], v[72:73]
	v_add_f64_e32 v[8:9], v[8:9], v[110:111]
	v_mul_f64_e32 v[72:73], v[68:69], v[86:87]
	v_fmac_f64_e32 v[74:75], v[62:63], v[80:81]
	v_fma_f64 v[78:79], v[60:61], v[80:81], -v[82:83]
	v_fma_f64 v[68:69], v[68:69], v[84:85], -v[76:77]
	v_add_f64_e32 v[4:5], v[4:5], v[64:65]
	v_add_f64_e32 v[8:9], v[8:9], v[96:97]
	ds_load_b128 v[60:63], v2 offset:656
	ds_load_b128 v[64:67], v2 offset:672
	v_fmac_f64_e32 v[72:73], v[70:71], v[84:85]
	s_wait_loadcnt_dscnt 0x501
	v_mul_f64_e32 v[80:81], v[60:61], v[90:91]
	v_mul_f64_e32 v[82:83], v[62:63], v[90:91]
	s_wait_loadcnt_dscnt 0x400
	v_mul_f64_e32 v[76:77], v[66:67], v[94:95]
	v_add_f64_e32 v[4:5], v[4:5], v[78:79]
	v_add_f64_e32 v[8:9], v[8:9], v[74:75]
	v_mul_f64_e32 v[74:75], v[64:65], v[94:95]
	v_fmac_f64_e32 v[80:81], v[62:63], v[88:89]
	v_fma_f64 v[78:79], v[60:61], v[88:89], -v[82:83]
	v_fma_f64 v[64:65], v[64:65], v[92:93], -v[76:77]
	v_add_f64_e32 v[4:5], v[4:5], v[68:69]
	v_add_f64_e32 v[8:9], v[8:9], v[72:73]
	ds_load_b128 v[60:63], v2 offset:688
	ds_load_b128 v[68:71], v2 offset:704
	v_fmac_f64_e32 v[74:75], v[66:67], v[92:93]
	s_wait_loadcnt_dscnt 0x301
	v_mul_f64_e32 v[72:73], v[60:61], v[102:103]
	v_mul_f64_e32 v[82:83], v[62:63], v[102:103]
	s_wait_loadcnt_dscnt 0x0
	v_mul_f64_e32 v[66:67], v[68:69], v[12:13]
	v_add_f64_e32 v[4:5], v[4:5], v[78:79]
	v_add_f64_e32 v[8:9], v[8:9], v[80:81]
	v_mul_f64_e32 v[12:13], v[70:71], v[12:13]
	v_fmac_f64_e32 v[72:73], v[62:63], v[100:101]
	v_fma_f64 v[76:77], v[60:61], v[100:101], -v[82:83]
	ds_load_b128 v[60:63], v2 offset:720
	v_fmac_f64_e32 v[66:67], v[70:71], v[10:11]
	v_add_f64_e32 v[4:5], v[4:5], v[64:65]
	v_add_f64_e32 v[8:9], v[8:9], v[74:75]
	v_fma_f64 v[10:11], v[68:69], v[10:11], -v[12:13]
	s_wait_dscnt 0x0
	v_mul_f64_e32 v[64:65], v[60:61], v[114:115]
	v_mul_f64_e32 v[74:75], v[62:63], v[114:115]
	v_add_f64_e32 v[4:5], v[4:5], v[76:77]
	v_add_f64_e32 v[8:9], v[8:9], v[72:73]
	s_delay_alu instid0(VALU_DEP_4) | instskip(NEXT) | instid1(VALU_DEP_4)
	v_fmac_f64_e32 v[64:65], v[62:63], v[112:113]
	v_fma_f64 v[12:13], v[60:61], v[112:113], -v[74:75]
	s_delay_alu instid0(VALU_DEP_4) | instskip(NEXT) | instid1(VALU_DEP_4)
	v_add_f64_e32 v[4:5], v[4:5], v[10:11]
	v_add_f64_e32 v[8:9], v[8:9], v[66:67]
	s_delay_alu instid0(VALU_DEP_2) | instskip(NEXT) | instid1(VALU_DEP_2)
	v_add_f64_e32 v[4:5], v[4:5], v[12:13]
	v_add_f64_e32 v[10:11], v[8:9], v[64:65]
	s_delay_alu instid0(VALU_DEP_2) | instskip(NEXT) | instid1(VALU_DEP_2)
	v_add_f64_e64 v[8:9], v[104:105], -v[4:5]
	v_add_f64_e64 v[10:11], v[106:107], -v[10:11]
	scratch_store_b128 off, v[8:11], off offset:144
	s_wait_xcnt 0x0
	v_cmpx_lt_u32_e32 8, v1
	s_cbranch_execz .LBB22_135
; %bb.134:
	scratch_load_b128 v[8:11], off, s12
	v_dual_mov_b32 v3, v2 :: v_dual_mov_b32 v4, v2
	v_mov_b32_e32 v5, v2
	scratch_store_b128 off, v[2:5], off offset:128
	s_wait_loadcnt 0x0
	ds_store_b128 v6, v[8:11]
.LBB22_135:
	s_wait_xcnt 0x0
	s_or_b32 exec_lo, exec_lo, s2
	s_wait_storecnt_dscnt 0x0
	s_barrier_signal -1
	s_barrier_wait -1
	s_clause 0x9
	scratch_load_b128 v[8:11], off, off offset:144
	scratch_load_b128 v[60:63], off, off offset:160
	;; [unrolled: 1-line block ×10, first 2 shown]
	ds_load_b128 v[96:99], v2 offset:512
	ds_load_b128 v[104:107], v2 offset:528
	s_clause 0x1
	scratch_load_b128 v[100:103], off, off offset:304
	scratch_load_b128 v[108:111], off, off offset:128
	s_mov_b32 s2, exec_lo
	s_wait_loadcnt_dscnt 0xb01
	v_mul_f64_e32 v[4:5], v[98:99], v[10:11]
	v_mul_f64_e32 v[120:121], v[96:97], v[10:11]
	scratch_load_b128 v[10:13], off, off offset:320
	s_wait_loadcnt_dscnt 0xb00
	v_mul_f64_e32 v[122:123], v[104:105], v[62:63]
	v_mul_f64_e32 v[62:63], v[106:107], v[62:63]
	v_fma_f64 v[4:5], v[96:97], v[8:9], -v[4:5]
	v_fmac_f64_e32 v[120:121], v[98:99], v[8:9]
	ds_load_b128 v[96:99], v2 offset:544
	ds_load_b128 v[112:115], v2 offset:560
	scratch_load_b128 v[116:119], off, off offset:336
	v_fmac_f64_e32 v[122:123], v[106:107], v[60:61]
	v_fma_f64 v[104:105], v[104:105], v[60:61], -v[62:63]
	scratch_load_b128 v[60:63], off, off offset:352
	s_wait_loadcnt_dscnt 0xc01
	v_mul_f64_e32 v[8:9], v[96:97], v[66:67]
	v_mul_f64_e32 v[66:67], v[98:99], v[66:67]
	v_add_f64_e32 v[4:5], 0, v[4:5]
	v_add_f64_e32 v[106:107], 0, v[120:121]
	s_wait_loadcnt_dscnt 0xb00
	v_mul_f64_e32 v[120:121], v[112:113], v[70:71]
	v_mul_f64_e32 v[70:71], v[114:115], v[70:71]
	v_fmac_f64_e32 v[8:9], v[98:99], v[64:65]
	v_fma_f64 v[124:125], v[96:97], v[64:65], -v[66:67]
	ds_load_b128 v[64:67], v2 offset:576
	ds_load_b128 v[96:99], v2 offset:592
	v_add_f64_e32 v[4:5], v[4:5], v[104:105]
	v_add_f64_e32 v[104:105], v[106:107], v[122:123]
	v_fmac_f64_e32 v[120:121], v[114:115], v[68:69]
	v_fma_f64 v[68:69], v[112:113], v[68:69], -v[70:71]
	s_wait_loadcnt_dscnt 0xa01
	v_mul_f64_e32 v[106:107], v[64:65], v[74:75]
	v_mul_f64_e32 v[74:75], v[66:67], v[74:75]
	v_add_f64_e32 v[4:5], v[4:5], v[124:125]
	v_add_f64_e32 v[8:9], v[104:105], v[8:9]
	s_wait_loadcnt_dscnt 0x900
	v_mul_f64_e32 v[104:105], v[96:97], v[78:79]
	v_mul_f64_e32 v[78:79], v[98:99], v[78:79]
	v_fmac_f64_e32 v[106:107], v[66:67], v[72:73]
	v_fma_f64 v[72:73], v[64:65], v[72:73], -v[74:75]
	v_add_f64_e32 v[4:5], v[4:5], v[68:69]
	v_add_f64_e32 v[8:9], v[8:9], v[120:121]
	ds_load_b128 v[64:67], v2 offset:608
	ds_load_b128 v[68:71], v2 offset:624
	v_fmac_f64_e32 v[104:105], v[98:99], v[76:77]
	v_fma_f64 v[76:77], v[96:97], v[76:77], -v[78:79]
	s_wait_loadcnt_dscnt 0x801
	v_mul_f64_e32 v[112:113], v[64:65], v[82:83]
	v_mul_f64_e32 v[74:75], v[66:67], v[82:83]
	s_wait_loadcnt_dscnt 0x700
	v_mul_f64_e32 v[78:79], v[68:69], v[86:87]
	v_mul_f64_e32 v[82:83], v[70:71], v[86:87]
	v_add_f64_e32 v[4:5], v[4:5], v[72:73]
	v_add_f64_e32 v[8:9], v[8:9], v[106:107]
	v_fmac_f64_e32 v[112:113], v[66:67], v[80:81]
	v_fma_f64 v[80:81], v[64:65], v[80:81], -v[74:75]
	ds_load_b128 v[64:67], v2 offset:640
	ds_load_b128 v[72:75], v2 offset:656
	v_fmac_f64_e32 v[78:79], v[70:71], v[84:85]
	v_fma_f64 v[68:69], v[68:69], v[84:85], -v[82:83]
	v_add_f64_e32 v[4:5], v[4:5], v[76:77]
	v_add_f64_e32 v[8:9], v[8:9], v[104:105]
	s_wait_loadcnt_dscnt 0x601
	v_mul_f64_e32 v[76:77], v[64:65], v[90:91]
	v_mul_f64_e32 v[86:87], v[66:67], v[90:91]
	s_wait_loadcnt_dscnt 0x500
	v_mul_f64_e32 v[82:83], v[74:75], v[94:95]
	v_add_f64_e32 v[4:5], v[4:5], v[80:81]
	v_add_f64_e32 v[8:9], v[8:9], v[112:113]
	v_mul_f64_e32 v[80:81], v[72:73], v[94:95]
	v_fmac_f64_e32 v[76:77], v[66:67], v[88:89]
	v_fma_f64 v[84:85], v[64:65], v[88:89], -v[86:87]
	v_fma_f64 v[72:73], v[72:73], v[92:93], -v[82:83]
	v_add_f64_e32 v[4:5], v[4:5], v[68:69]
	v_add_f64_e32 v[8:9], v[8:9], v[78:79]
	ds_load_b128 v[64:67], v2 offset:672
	ds_load_b128 v[68:71], v2 offset:688
	v_fmac_f64_e32 v[80:81], v[74:75], v[92:93]
	s_wait_loadcnt_dscnt 0x401
	v_mul_f64_e32 v[78:79], v[64:65], v[102:103]
	v_mul_f64_e32 v[86:87], v[66:67], v[102:103]
	v_add_f64_e32 v[4:5], v[4:5], v[84:85]
	v_add_f64_e32 v[8:9], v[8:9], v[76:77]
	s_wait_loadcnt_dscnt 0x200
	v_mul_f64_e32 v[74:75], v[68:69], v[12:13]
	v_mul_f64_e32 v[12:13], v[70:71], v[12:13]
	v_fmac_f64_e32 v[78:79], v[66:67], v[100:101]
	v_fma_f64 v[76:77], v[64:65], v[100:101], -v[86:87]
	v_add_f64_e32 v[72:73], v[4:5], v[72:73]
	v_add_f64_e32 v[8:9], v[8:9], v[80:81]
	ds_load_b128 v[64:67], v2 offset:704
	ds_load_b128 v[2:5], v2 offset:720
	v_fmac_f64_e32 v[74:75], v[70:71], v[10:11]
	v_fma_f64 v[10:11], v[68:69], v[10:11], -v[12:13]
	s_wait_loadcnt_dscnt 0x101
	v_mul_f64_e32 v[80:81], v[64:65], v[118:119]
	v_mul_f64_e32 v[82:83], v[66:67], v[118:119]
	s_wait_loadcnt_dscnt 0x0
	v_mul_f64_e32 v[68:69], v[2:3], v[62:63]
	v_mul_f64_e32 v[62:63], v[4:5], v[62:63]
	v_add_f64_e32 v[12:13], v[72:73], v[76:77]
	v_add_f64_e32 v[8:9], v[8:9], v[78:79]
	v_fmac_f64_e32 v[80:81], v[66:67], v[116:117]
	v_fma_f64 v[64:65], v[64:65], v[116:117], -v[82:83]
	v_fmac_f64_e32 v[68:69], v[4:5], v[60:61]
	v_fma_f64 v[2:3], v[2:3], v[60:61], -v[62:63]
	v_add_f64_e32 v[10:11], v[12:13], v[10:11]
	v_add_f64_e32 v[8:9], v[8:9], v[74:75]
	s_delay_alu instid0(VALU_DEP_2) | instskip(NEXT) | instid1(VALU_DEP_2)
	v_add_f64_e32 v[4:5], v[10:11], v[64:65]
	v_add_f64_e32 v[8:9], v[8:9], v[80:81]
	s_delay_alu instid0(VALU_DEP_2) | instskip(NEXT) | instid1(VALU_DEP_2)
	;; [unrolled: 3-line block ×3, first 2 shown]
	v_add_f64_e64 v[2:3], v[108:109], -v[2:3]
	v_add_f64_e64 v[4:5], v[110:111], -v[4:5]
	scratch_store_b128 off, v[2:5], off offset:128
	s_wait_xcnt 0x0
	v_cmpx_lt_u32_e32 7, v1
	s_cbranch_execz .LBB22_137
; %bb.136:
	scratch_load_b128 v[2:5], off, s24
	v_mov_b32_e32 v8, 0
	s_delay_alu instid0(VALU_DEP_1)
	v_dual_mov_b32 v9, v8 :: v_dual_mov_b32 v10, v8
	v_mov_b32_e32 v11, v8
	scratch_store_b128 off, v[8:11], off offset:112
	s_wait_loadcnt 0x0
	ds_store_b128 v6, v[2:5]
.LBB22_137:
	s_wait_xcnt 0x0
	s_or_b32 exec_lo, exec_lo, s2
	s_wait_storecnt_dscnt 0x0
	s_barrier_signal -1
	s_barrier_wait -1
	s_clause 0x9
	scratch_load_b128 v[8:11], off, off offset:128
	scratch_load_b128 v[60:63], off, off offset:144
	;; [unrolled: 1-line block ×10, first 2 shown]
	v_mov_b32_e32 v2, 0
	s_mov_b32 s2, exec_lo
	ds_load_b128 v[96:99], v2 offset:496
	s_clause 0x2
	scratch_load_b128 v[100:103], off, off offset:288
	scratch_load_b128 v[104:107], off, off offset:112
	;; [unrolled: 1-line block ×3, first 2 shown]
	s_wait_loadcnt_dscnt 0xc00
	v_mul_f64_e32 v[4:5], v[98:99], v[10:11]
	v_mul_f64_e32 v[120:121], v[96:97], v[10:11]
	ds_load_b128 v[108:111], v2 offset:512
	scratch_load_b128 v[10:13], off, off offset:304
	ds_load_b128 v[116:119], v2 offset:544
	v_fma_f64 v[4:5], v[96:97], v[8:9], -v[4:5]
	v_fmac_f64_e32 v[120:121], v[98:99], v[8:9]
	ds_load_b128 v[96:99], v2 offset:528
	s_wait_loadcnt_dscnt 0xc02
	v_mul_f64_e32 v[122:123], v[108:109], v[62:63]
	v_mul_f64_e32 v[62:63], v[110:111], v[62:63]
	s_wait_loadcnt_dscnt 0xb00
	v_mul_f64_e32 v[8:9], v[96:97], v[66:67]
	v_mul_f64_e32 v[66:67], v[98:99], v[66:67]
	v_add_f64_e32 v[4:5], 0, v[4:5]
	v_fmac_f64_e32 v[122:123], v[110:111], v[60:61]
	v_fma_f64 v[108:109], v[108:109], v[60:61], -v[62:63]
	v_add_f64_e32 v[110:111], 0, v[120:121]
	scratch_load_b128 v[60:63], off, off offset:336
	v_fmac_f64_e32 v[8:9], v[98:99], v[64:65]
	v_fma_f64 v[124:125], v[96:97], v[64:65], -v[66:67]
	ds_load_b128 v[64:67], v2 offset:560
	s_wait_loadcnt 0xb
	v_mul_f64_e32 v[120:121], v[116:117], v[70:71]
	v_mul_f64_e32 v[70:71], v[118:119], v[70:71]
	scratch_load_b128 v[96:99], off, off offset:352
	v_add_f64_e32 v[4:5], v[4:5], v[108:109]
	v_add_f64_e32 v[122:123], v[110:111], v[122:123]
	ds_load_b128 v[108:111], v2 offset:576
	s_wait_loadcnt_dscnt 0xb01
	v_mul_f64_e32 v[126:127], v[64:65], v[74:75]
	v_mul_f64_e32 v[74:75], v[66:67], v[74:75]
	v_fmac_f64_e32 v[120:121], v[118:119], v[68:69]
	v_fma_f64 v[68:69], v[116:117], v[68:69], -v[70:71]
	s_wait_loadcnt_dscnt 0xa00
	v_mul_f64_e32 v[116:117], v[108:109], v[78:79]
	v_mul_f64_e32 v[78:79], v[110:111], v[78:79]
	v_add_f64_e32 v[4:5], v[4:5], v[124:125]
	v_add_f64_e32 v[8:9], v[122:123], v[8:9]
	v_fmac_f64_e32 v[126:127], v[66:67], v[72:73]
	v_fma_f64 v[72:73], v[64:65], v[72:73], -v[74:75]
	v_fmac_f64_e32 v[116:117], v[110:111], v[76:77]
	v_fma_f64 v[76:77], v[108:109], v[76:77], -v[78:79]
	v_add_f64_e32 v[4:5], v[4:5], v[68:69]
	v_add_f64_e32 v[8:9], v[8:9], v[120:121]
	ds_load_b128 v[64:67], v2 offset:592
	ds_load_b128 v[68:71], v2 offset:608
	s_wait_loadcnt_dscnt 0x901
	v_mul_f64_e32 v[118:119], v[64:65], v[82:83]
	v_mul_f64_e32 v[74:75], v[66:67], v[82:83]
	s_wait_loadcnt_dscnt 0x800
	v_mul_f64_e32 v[78:79], v[68:69], v[86:87]
	v_mul_f64_e32 v[82:83], v[70:71], v[86:87]
	v_add_f64_e32 v[4:5], v[4:5], v[72:73]
	v_add_f64_e32 v[8:9], v[8:9], v[126:127]
	v_fmac_f64_e32 v[118:119], v[66:67], v[80:81]
	v_fma_f64 v[80:81], v[64:65], v[80:81], -v[74:75]
	ds_load_b128 v[64:67], v2 offset:624
	ds_load_b128 v[72:75], v2 offset:640
	v_fmac_f64_e32 v[78:79], v[70:71], v[84:85]
	v_fma_f64 v[68:69], v[68:69], v[84:85], -v[82:83]
	v_add_f64_e32 v[4:5], v[4:5], v[76:77]
	v_add_f64_e32 v[8:9], v[8:9], v[116:117]
	s_wait_loadcnt_dscnt 0x701
	v_mul_f64_e32 v[76:77], v[64:65], v[90:91]
	v_mul_f64_e32 v[86:87], v[66:67], v[90:91]
	s_wait_loadcnt_dscnt 0x600
	v_mul_f64_e32 v[82:83], v[74:75], v[94:95]
	v_add_f64_e32 v[4:5], v[4:5], v[80:81]
	v_add_f64_e32 v[8:9], v[8:9], v[118:119]
	v_mul_f64_e32 v[80:81], v[72:73], v[94:95]
	v_fmac_f64_e32 v[76:77], v[66:67], v[88:89]
	v_fma_f64 v[84:85], v[64:65], v[88:89], -v[86:87]
	v_fma_f64 v[72:73], v[72:73], v[92:93], -v[82:83]
	v_add_f64_e32 v[4:5], v[4:5], v[68:69]
	v_add_f64_e32 v[8:9], v[8:9], v[78:79]
	ds_load_b128 v[64:67], v2 offset:656
	ds_load_b128 v[68:71], v2 offset:672
	v_fmac_f64_e32 v[80:81], v[74:75], v[92:93]
	s_wait_loadcnt_dscnt 0x501
	v_mul_f64_e32 v[78:79], v[64:65], v[102:103]
	v_mul_f64_e32 v[86:87], v[66:67], v[102:103]
	v_add_f64_e32 v[4:5], v[4:5], v[84:85]
	v_add_f64_e32 v[8:9], v[8:9], v[76:77]
	s_wait_loadcnt_dscnt 0x200
	v_mul_f64_e32 v[76:77], v[68:69], v[12:13]
	v_mul_f64_e32 v[12:13], v[70:71], v[12:13]
	v_fmac_f64_e32 v[78:79], v[66:67], v[100:101]
	v_fma_f64 v[82:83], v[64:65], v[100:101], -v[86:87]
	v_add_f64_e32 v[4:5], v[4:5], v[72:73]
	v_add_f64_e32 v[8:9], v[8:9], v[80:81]
	ds_load_b128 v[64:67], v2 offset:688
	ds_load_b128 v[72:75], v2 offset:704
	v_fmac_f64_e32 v[76:77], v[70:71], v[10:11]
	v_fma_f64 v[10:11], v[68:69], v[10:11], -v[12:13]
	s_wait_dscnt 0x1
	v_mul_f64_e32 v[80:81], v[64:65], v[114:115]
	v_mul_f64_e32 v[84:85], v[66:67], v[114:115]
	v_add_f64_e32 v[4:5], v[4:5], v[82:83]
	v_add_f64_e32 v[8:9], v[8:9], v[78:79]
	s_wait_loadcnt_dscnt 0x100
	v_mul_f64_e32 v[12:13], v[72:73], v[62:63]
	v_mul_f64_e32 v[62:63], v[74:75], v[62:63]
	v_fmac_f64_e32 v[80:81], v[66:67], v[112:113]
	v_fma_f64 v[64:65], v[64:65], v[112:113], -v[84:85]
	v_add_f64_e32 v[4:5], v[4:5], v[10:11]
	v_add_f64_e32 v[66:67], v[8:9], v[76:77]
	ds_load_b128 v[8:11], v2 offset:720
	v_fmac_f64_e32 v[12:13], v[74:75], v[60:61]
	v_fma_f64 v[60:61], v[72:73], v[60:61], -v[62:63]
	s_wait_loadcnt_dscnt 0x0
	v_mul_f64_e32 v[68:69], v[8:9], v[98:99]
	v_mul_f64_e32 v[70:71], v[10:11], v[98:99]
	v_add_f64_e32 v[4:5], v[4:5], v[64:65]
	v_add_f64_e32 v[62:63], v[66:67], v[80:81]
	s_delay_alu instid0(VALU_DEP_4) | instskip(NEXT) | instid1(VALU_DEP_4)
	v_fmac_f64_e32 v[68:69], v[10:11], v[96:97]
	v_fma_f64 v[8:9], v[8:9], v[96:97], -v[70:71]
	s_delay_alu instid0(VALU_DEP_4) | instskip(NEXT) | instid1(VALU_DEP_4)
	v_add_f64_e32 v[4:5], v[4:5], v[60:61]
	v_add_f64_e32 v[10:11], v[62:63], v[12:13]
	s_delay_alu instid0(VALU_DEP_2) | instskip(NEXT) | instid1(VALU_DEP_2)
	v_add_f64_e32 v[4:5], v[4:5], v[8:9]
	v_add_f64_e32 v[10:11], v[10:11], v[68:69]
	s_delay_alu instid0(VALU_DEP_2) | instskip(NEXT) | instid1(VALU_DEP_2)
	v_add_f64_e64 v[8:9], v[104:105], -v[4:5]
	v_add_f64_e64 v[10:11], v[106:107], -v[10:11]
	scratch_store_b128 off, v[8:11], off offset:112
	s_wait_xcnt 0x0
	v_cmpx_lt_u32_e32 6, v1
	s_cbranch_execz .LBB22_139
; %bb.138:
	scratch_load_b128 v[8:11], off, s21
	v_dual_mov_b32 v3, v2 :: v_dual_mov_b32 v4, v2
	v_mov_b32_e32 v5, v2
	scratch_store_b128 off, v[2:5], off offset:96
	s_wait_loadcnt 0x0
	ds_store_b128 v6, v[8:11]
.LBB22_139:
	s_wait_xcnt 0x0
	s_or_b32 exec_lo, exec_lo, s2
	s_wait_storecnt_dscnt 0x0
	s_barrier_signal -1
	s_barrier_wait -1
	s_clause 0x9
	scratch_load_b128 v[8:11], off, off offset:112
	scratch_load_b128 v[60:63], off, off offset:128
	;; [unrolled: 1-line block ×10, first 2 shown]
	ds_load_b128 v[96:99], v2 offset:480
	ds_load_b128 v[104:107], v2 offset:496
	s_clause 0x1
	scratch_load_b128 v[100:103], off, off offset:272
	scratch_load_b128 v[108:111], off, off offset:96
	s_mov_b32 s2, exec_lo
	s_wait_loadcnt_dscnt 0xb01
	v_mul_f64_e32 v[4:5], v[98:99], v[10:11]
	v_mul_f64_e32 v[120:121], v[96:97], v[10:11]
	scratch_load_b128 v[10:13], off, off offset:288
	s_wait_loadcnt_dscnt 0xb00
	v_mul_f64_e32 v[122:123], v[104:105], v[62:63]
	v_mul_f64_e32 v[62:63], v[106:107], v[62:63]
	v_fma_f64 v[4:5], v[96:97], v[8:9], -v[4:5]
	v_fmac_f64_e32 v[120:121], v[98:99], v[8:9]
	ds_load_b128 v[96:99], v2 offset:512
	ds_load_b128 v[112:115], v2 offset:528
	scratch_load_b128 v[116:119], off, off offset:304
	v_fmac_f64_e32 v[122:123], v[106:107], v[60:61]
	v_fma_f64 v[104:105], v[104:105], v[60:61], -v[62:63]
	scratch_load_b128 v[60:63], off, off offset:320
	s_wait_loadcnt_dscnt 0xc01
	v_mul_f64_e32 v[8:9], v[96:97], v[66:67]
	v_mul_f64_e32 v[66:67], v[98:99], v[66:67]
	v_add_f64_e32 v[4:5], 0, v[4:5]
	v_add_f64_e32 v[106:107], 0, v[120:121]
	s_wait_loadcnt_dscnt 0xb00
	v_mul_f64_e32 v[120:121], v[112:113], v[70:71]
	v_mul_f64_e32 v[70:71], v[114:115], v[70:71]
	v_fmac_f64_e32 v[8:9], v[98:99], v[64:65]
	v_fma_f64 v[124:125], v[96:97], v[64:65], -v[66:67]
	ds_load_b128 v[64:67], v2 offset:544
	ds_load_b128 v[96:99], v2 offset:560
	v_add_f64_e32 v[4:5], v[4:5], v[104:105]
	v_add_f64_e32 v[122:123], v[106:107], v[122:123]
	scratch_load_b128 v[104:107], off, off offset:336
	v_fmac_f64_e32 v[120:121], v[114:115], v[68:69]
	v_fma_f64 v[112:113], v[112:113], v[68:69], -v[70:71]
	scratch_load_b128 v[68:71], off, off offset:352
	s_wait_loadcnt_dscnt 0xc01
	v_mul_f64_e32 v[126:127], v[64:65], v[74:75]
	v_mul_f64_e32 v[74:75], v[66:67], v[74:75]
	s_wait_loadcnt_dscnt 0xb00
	v_mul_f64_e32 v[114:115], v[96:97], v[78:79]
	v_mul_f64_e32 v[78:79], v[98:99], v[78:79]
	v_add_f64_e32 v[4:5], v[4:5], v[124:125]
	v_add_f64_e32 v[8:9], v[122:123], v[8:9]
	v_fmac_f64_e32 v[126:127], v[66:67], v[72:73]
	v_fma_f64 v[122:123], v[64:65], v[72:73], -v[74:75]
	ds_load_b128 v[64:67], v2 offset:576
	ds_load_b128 v[72:75], v2 offset:592
	v_fmac_f64_e32 v[114:115], v[98:99], v[76:77]
	v_fma_f64 v[76:77], v[96:97], v[76:77], -v[78:79]
	s_wait_loadcnt_dscnt 0x900
	v_mul_f64_e32 v[96:97], v[72:73], v[86:87]
	v_add_f64_e32 v[4:5], v[4:5], v[112:113]
	v_add_f64_e32 v[8:9], v[8:9], v[120:121]
	v_mul_f64_e32 v[112:113], v[64:65], v[82:83]
	v_mul_f64_e32 v[82:83], v[66:67], v[82:83]
	;; [unrolled: 1-line block ×3, first 2 shown]
	v_fmac_f64_e32 v[96:97], v[74:75], v[84:85]
	v_add_f64_e32 v[4:5], v[4:5], v[122:123]
	v_add_f64_e32 v[8:9], v[8:9], v[126:127]
	v_fmac_f64_e32 v[112:113], v[66:67], v[80:81]
	v_fma_f64 v[80:81], v[64:65], v[80:81], -v[82:83]
	v_fma_f64 v[72:73], v[72:73], v[84:85], -v[86:87]
	v_add_f64_e32 v[4:5], v[4:5], v[76:77]
	v_add_f64_e32 v[8:9], v[8:9], v[114:115]
	ds_load_b128 v[64:67], v2 offset:608
	ds_load_b128 v[76:79], v2 offset:624
	s_wait_loadcnt_dscnt 0x801
	v_mul_f64_e32 v[82:83], v[64:65], v[90:91]
	v_mul_f64_e32 v[90:91], v[66:67], v[90:91]
	s_wait_loadcnt_dscnt 0x700
	v_mul_f64_e32 v[84:85], v[78:79], v[94:95]
	v_add_f64_e32 v[4:5], v[4:5], v[80:81]
	v_add_f64_e32 v[8:9], v[8:9], v[112:113]
	v_mul_f64_e32 v[80:81], v[76:77], v[94:95]
	v_fmac_f64_e32 v[82:83], v[66:67], v[88:89]
	v_fma_f64 v[86:87], v[64:65], v[88:89], -v[90:91]
	v_fma_f64 v[76:77], v[76:77], v[92:93], -v[84:85]
	v_add_f64_e32 v[4:5], v[4:5], v[72:73]
	v_add_f64_e32 v[8:9], v[8:9], v[96:97]
	ds_load_b128 v[64:67], v2 offset:640
	ds_load_b128 v[72:75], v2 offset:656
	v_fmac_f64_e32 v[80:81], v[78:79], v[92:93]
	s_wait_loadcnt_dscnt 0x601
	v_mul_f64_e32 v[88:89], v[64:65], v[102:103]
	v_mul_f64_e32 v[90:91], v[66:67], v[102:103]
	v_add_f64_e32 v[4:5], v[4:5], v[86:87]
	v_add_f64_e32 v[8:9], v[8:9], v[82:83]
	s_wait_loadcnt_dscnt 0x400
	v_mul_f64_e32 v[82:83], v[72:73], v[12:13]
	v_mul_f64_e32 v[12:13], v[74:75], v[12:13]
	v_fmac_f64_e32 v[88:89], v[66:67], v[100:101]
	v_fma_f64 v[84:85], v[64:65], v[100:101], -v[90:91]
	v_add_f64_e32 v[4:5], v[4:5], v[76:77]
	v_add_f64_e32 v[8:9], v[8:9], v[80:81]
	ds_load_b128 v[64:67], v2 offset:672
	ds_load_b128 v[76:79], v2 offset:688
	v_fmac_f64_e32 v[82:83], v[74:75], v[10:11]
	v_fma_f64 v[10:11], v[72:73], v[10:11], -v[12:13]
	s_wait_loadcnt_dscnt 0x301
	v_mul_f64_e32 v[80:81], v[64:65], v[118:119]
	v_mul_f64_e32 v[86:87], v[66:67], v[118:119]
	s_wait_loadcnt_dscnt 0x200
	v_mul_f64_e32 v[12:13], v[76:77], v[62:63]
	v_mul_f64_e32 v[62:63], v[78:79], v[62:63]
	v_add_f64_e32 v[4:5], v[4:5], v[84:85]
	v_add_f64_e32 v[8:9], v[8:9], v[88:89]
	v_fmac_f64_e32 v[80:81], v[66:67], v[116:117]
	v_fma_f64 v[64:65], v[64:65], v[116:117], -v[86:87]
	v_fmac_f64_e32 v[12:13], v[78:79], v[60:61]
	v_fma_f64 v[60:61], v[76:77], v[60:61], -v[62:63]
	v_add_f64_e32 v[66:67], v[4:5], v[10:11]
	v_add_f64_e32 v[72:73], v[8:9], v[82:83]
	ds_load_b128 v[8:11], v2 offset:704
	ds_load_b128 v[2:5], v2 offset:720
	s_wait_loadcnt_dscnt 0x101
	v_mul_f64_e32 v[74:75], v[8:9], v[106:107]
	v_mul_f64_e32 v[82:83], v[10:11], v[106:107]
	v_add_f64_e32 v[62:63], v[66:67], v[64:65]
	v_add_f64_e32 v[64:65], v[72:73], v[80:81]
	s_wait_loadcnt_dscnt 0x0
	v_mul_f64_e32 v[66:67], v[2:3], v[70:71]
	v_mul_f64_e32 v[70:71], v[4:5], v[70:71]
	v_fmac_f64_e32 v[74:75], v[10:11], v[104:105]
	v_fma_f64 v[8:9], v[8:9], v[104:105], -v[82:83]
	v_add_f64_e32 v[10:11], v[62:63], v[60:61]
	v_add_f64_e32 v[12:13], v[64:65], v[12:13]
	v_fmac_f64_e32 v[66:67], v[4:5], v[68:69]
	v_fma_f64 v[2:3], v[2:3], v[68:69], -v[70:71]
	s_delay_alu instid0(VALU_DEP_4) | instskip(NEXT) | instid1(VALU_DEP_4)
	v_add_f64_e32 v[4:5], v[10:11], v[8:9]
	v_add_f64_e32 v[8:9], v[12:13], v[74:75]
	s_delay_alu instid0(VALU_DEP_2) | instskip(NEXT) | instid1(VALU_DEP_2)
	v_add_f64_e32 v[2:3], v[4:5], v[2:3]
	v_add_f64_e32 v[4:5], v[8:9], v[66:67]
	s_delay_alu instid0(VALU_DEP_2) | instskip(NEXT) | instid1(VALU_DEP_2)
	v_add_f64_e64 v[2:3], v[108:109], -v[2:3]
	v_add_f64_e64 v[4:5], v[110:111], -v[4:5]
	scratch_store_b128 off, v[2:5], off offset:96
	s_wait_xcnt 0x0
	v_cmpx_lt_u32_e32 5, v1
	s_cbranch_execz .LBB22_141
; %bb.140:
	scratch_load_b128 v[2:5], off, s14
	v_mov_b32_e32 v8, 0
	s_delay_alu instid0(VALU_DEP_1)
	v_dual_mov_b32 v9, v8 :: v_dual_mov_b32 v10, v8
	v_mov_b32_e32 v11, v8
	scratch_store_b128 off, v[8:11], off offset:80
	s_wait_loadcnt 0x0
	ds_store_b128 v6, v[2:5]
.LBB22_141:
	s_wait_xcnt 0x0
	s_or_b32 exec_lo, exec_lo, s2
	s_wait_storecnt_dscnt 0x0
	s_barrier_signal -1
	s_barrier_wait -1
	s_clause 0x9
	scratch_load_b128 v[8:11], off, off offset:96
	scratch_load_b128 v[60:63], off, off offset:112
	;; [unrolled: 1-line block ×10, first 2 shown]
	v_mov_b32_e32 v2, 0
	s_mov_b32 s2, exec_lo
	ds_load_b128 v[96:99], v2 offset:464
	s_clause 0x2
	scratch_load_b128 v[100:103], off, off offset:256
	scratch_load_b128 v[104:107], off, off offset:80
	;; [unrolled: 1-line block ×3, first 2 shown]
	s_wait_loadcnt_dscnt 0xc00
	v_mul_f64_e32 v[4:5], v[98:99], v[10:11]
	v_mul_f64_e32 v[120:121], v[96:97], v[10:11]
	ds_load_b128 v[108:111], v2 offset:480
	scratch_load_b128 v[10:13], off, off offset:272
	ds_load_b128 v[116:119], v2 offset:512
	v_fma_f64 v[4:5], v[96:97], v[8:9], -v[4:5]
	v_fmac_f64_e32 v[120:121], v[98:99], v[8:9]
	ds_load_b128 v[96:99], v2 offset:496
	s_wait_loadcnt_dscnt 0xc02
	v_mul_f64_e32 v[122:123], v[108:109], v[62:63]
	v_mul_f64_e32 v[62:63], v[110:111], v[62:63]
	s_wait_loadcnt_dscnt 0xb00
	v_mul_f64_e32 v[8:9], v[96:97], v[66:67]
	v_mul_f64_e32 v[66:67], v[98:99], v[66:67]
	v_add_f64_e32 v[4:5], 0, v[4:5]
	v_fmac_f64_e32 v[122:123], v[110:111], v[60:61]
	v_fma_f64 v[108:109], v[108:109], v[60:61], -v[62:63]
	v_add_f64_e32 v[110:111], 0, v[120:121]
	scratch_load_b128 v[60:63], off, off offset:304
	v_fmac_f64_e32 v[8:9], v[98:99], v[64:65]
	v_fma_f64 v[124:125], v[96:97], v[64:65], -v[66:67]
	ds_load_b128 v[64:67], v2 offset:528
	s_wait_loadcnt 0xb
	v_mul_f64_e32 v[120:121], v[116:117], v[70:71]
	v_mul_f64_e32 v[70:71], v[118:119], v[70:71]
	scratch_load_b128 v[96:99], off, off offset:320
	v_add_f64_e32 v[4:5], v[4:5], v[108:109]
	v_add_f64_e32 v[122:123], v[110:111], v[122:123]
	ds_load_b128 v[108:111], v2 offset:544
	s_wait_loadcnt_dscnt 0xb01
	v_mul_f64_e32 v[126:127], v[64:65], v[74:75]
	v_mul_f64_e32 v[74:75], v[66:67], v[74:75]
	v_fmac_f64_e32 v[120:121], v[118:119], v[68:69]
	v_fma_f64 v[116:117], v[116:117], v[68:69], -v[70:71]
	scratch_load_b128 v[68:71], off, off offset:336
	v_add_f64_e32 v[4:5], v[4:5], v[124:125]
	v_add_f64_e32 v[8:9], v[122:123], v[8:9]
	v_fmac_f64_e32 v[126:127], v[66:67], v[72:73]
	v_fma_f64 v[124:125], v[64:65], v[72:73], -v[74:75]
	ds_load_b128 v[64:67], v2 offset:560
	s_wait_loadcnt_dscnt 0xb01
	v_mul_f64_e32 v[122:123], v[108:109], v[78:79]
	v_mul_f64_e32 v[78:79], v[110:111], v[78:79]
	scratch_load_b128 v[72:75], off, off offset:352
	v_add_f64_e32 v[4:5], v[4:5], v[116:117]
	v_add_f64_e32 v[8:9], v[8:9], v[120:121]
	s_wait_loadcnt_dscnt 0xb00
	v_mul_f64_e32 v[120:121], v[64:65], v[82:83]
	v_mul_f64_e32 v[82:83], v[66:67], v[82:83]
	ds_load_b128 v[116:119], v2 offset:576
	v_fmac_f64_e32 v[122:123], v[110:111], v[76:77]
	v_fma_f64 v[76:77], v[108:109], v[76:77], -v[78:79]
	s_wait_loadcnt_dscnt 0xa00
	v_mul_f64_e32 v[108:109], v[116:117], v[86:87]
	v_mul_f64_e32 v[86:87], v[118:119], v[86:87]
	v_add_f64_e32 v[4:5], v[4:5], v[124:125]
	v_add_f64_e32 v[8:9], v[8:9], v[126:127]
	v_fmac_f64_e32 v[120:121], v[66:67], v[80:81]
	v_fma_f64 v[80:81], v[64:65], v[80:81], -v[82:83]
	v_fmac_f64_e32 v[108:109], v[118:119], v[84:85]
	v_fma_f64 v[84:85], v[116:117], v[84:85], -v[86:87]
	v_add_f64_e32 v[4:5], v[4:5], v[76:77]
	v_add_f64_e32 v[8:9], v[8:9], v[122:123]
	ds_load_b128 v[64:67], v2 offset:592
	ds_load_b128 v[76:79], v2 offset:608
	s_wait_loadcnt_dscnt 0x901
	v_mul_f64_e32 v[110:111], v[64:65], v[90:91]
	v_mul_f64_e32 v[82:83], v[66:67], v[90:91]
	s_wait_loadcnt_dscnt 0x800
	v_mul_f64_e32 v[86:87], v[76:77], v[94:95]
	v_mul_f64_e32 v[90:91], v[78:79], v[94:95]
	v_add_f64_e32 v[4:5], v[4:5], v[80:81]
	v_add_f64_e32 v[8:9], v[8:9], v[120:121]
	v_fmac_f64_e32 v[110:111], v[66:67], v[88:89]
	v_fma_f64 v[88:89], v[64:65], v[88:89], -v[82:83]
	ds_load_b128 v[64:67], v2 offset:624
	ds_load_b128 v[80:83], v2 offset:640
	v_fmac_f64_e32 v[86:87], v[78:79], v[92:93]
	v_fma_f64 v[76:77], v[76:77], v[92:93], -v[90:91]
	v_add_f64_e32 v[4:5], v[4:5], v[84:85]
	v_add_f64_e32 v[8:9], v[8:9], v[108:109]
	s_wait_loadcnt_dscnt 0x701
	v_mul_f64_e32 v[84:85], v[64:65], v[102:103]
	v_mul_f64_e32 v[94:95], v[66:67], v[102:103]
	s_delay_alu instid0(VALU_DEP_4) | instskip(NEXT) | instid1(VALU_DEP_4)
	v_add_f64_e32 v[4:5], v[4:5], v[88:89]
	v_add_f64_e32 v[8:9], v[8:9], v[110:111]
	s_wait_loadcnt_dscnt 0x400
	v_mul_f64_e32 v[88:89], v[80:81], v[12:13]
	v_mul_f64_e32 v[12:13], v[82:83], v[12:13]
	v_fmac_f64_e32 v[84:85], v[66:67], v[100:101]
	v_fma_f64 v[90:91], v[64:65], v[100:101], -v[94:95]
	v_add_f64_e32 v[4:5], v[4:5], v[76:77]
	v_add_f64_e32 v[8:9], v[8:9], v[86:87]
	ds_load_b128 v[64:67], v2 offset:656
	ds_load_b128 v[76:79], v2 offset:672
	v_fmac_f64_e32 v[88:89], v[82:83], v[10:11]
	v_fma_f64 v[10:11], v[80:81], v[10:11], -v[12:13]
	s_wait_dscnt 0x1
	v_mul_f64_e32 v[86:87], v[64:65], v[114:115]
	v_mul_f64_e32 v[92:93], v[66:67], v[114:115]
	v_add_f64_e32 v[4:5], v[4:5], v[90:91]
	v_add_f64_e32 v[8:9], v[8:9], v[84:85]
	s_wait_loadcnt_dscnt 0x300
	v_mul_f64_e32 v[12:13], v[76:77], v[62:63]
	v_mul_f64_e32 v[80:81], v[78:79], v[62:63]
	v_fmac_f64_e32 v[86:87], v[66:67], v[112:113]
	v_fma_f64 v[66:67], v[64:65], v[112:113], -v[92:93]
	v_add_f64_e32 v[4:5], v[4:5], v[10:11]
	v_add_f64_e32 v[82:83], v[8:9], v[88:89]
	ds_load_b128 v[8:11], v2 offset:688
	ds_load_b128 v[62:65], v2 offset:704
	v_fmac_f64_e32 v[12:13], v[78:79], v[60:61]
	v_fma_f64 v[60:61], v[76:77], v[60:61], -v[80:81]
	s_wait_loadcnt_dscnt 0x201
	v_mul_f64_e32 v[84:85], v[8:9], v[98:99]
	v_mul_f64_e32 v[88:89], v[10:11], v[98:99]
	s_wait_loadcnt_dscnt 0x100
	v_mul_f64_e32 v[76:77], v[62:63], v[70:71]
	v_mul_f64_e32 v[70:71], v[64:65], v[70:71]
	v_add_f64_e32 v[4:5], v[4:5], v[66:67]
	v_add_f64_e32 v[66:67], v[82:83], v[86:87]
	v_fmac_f64_e32 v[84:85], v[10:11], v[96:97]
	v_fma_f64 v[78:79], v[8:9], v[96:97], -v[88:89]
	ds_load_b128 v[8:11], v2 offset:720
	v_fmac_f64_e32 v[76:77], v[64:65], v[68:69]
	v_fma_f64 v[62:63], v[62:63], v[68:69], -v[70:71]
	v_add_f64_e32 v[4:5], v[4:5], v[60:61]
	v_add_f64_e32 v[12:13], v[66:67], v[12:13]
	s_wait_loadcnt_dscnt 0x0
	v_mul_f64_e32 v[60:61], v[8:9], v[74:75]
	v_mul_f64_e32 v[66:67], v[10:11], v[74:75]
	s_delay_alu instid0(VALU_DEP_4) | instskip(NEXT) | instid1(VALU_DEP_4)
	v_add_f64_e32 v[4:5], v[4:5], v[78:79]
	v_add_f64_e32 v[12:13], v[12:13], v[84:85]
	s_delay_alu instid0(VALU_DEP_4) | instskip(NEXT) | instid1(VALU_DEP_4)
	v_fmac_f64_e32 v[60:61], v[10:11], v[72:73]
	v_fma_f64 v[8:9], v[8:9], v[72:73], -v[66:67]
	s_delay_alu instid0(VALU_DEP_4) | instskip(NEXT) | instid1(VALU_DEP_4)
	v_add_f64_e32 v[4:5], v[4:5], v[62:63]
	v_add_f64_e32 v[10:11], v[12:13], v[76:77]
	s_delay_alu instid0(VALU_DEP_2) | instskip(NEXT) | instid1(VALU_DEP_2)
	v_add_f64_e32 v[4:5], v[4:5], v[8:9]
	v_add_f64_e32 v[10:11], v[10:11], v[60:61]
	s_delay_alu instid0(VALU_DEP_2) | instskip(NEXT) | instid1(VALU_DEP_2)
	v_add_f64_e64 v[8:9], v[104:105], -v[4:5]
	v_add_f64_e64 v[10:11], v[106:107], -v[10:11]
	scratch_store_b128 off, v[8:11], off offset:80
	s_wait_xcnt 0x0
	v_cmpx_lt_u32_e32 4, v1
	s_cbranch_execz .LBB22_143
; %bb.142:
	scratch_load_b128 v[8:11], off, s10
	v_dual_mov_b32 v3, v2 :: v_dual_mov_b32 v4, v2
	v_mov_b32_e32 v5, v2
	scratch_store_b128 off, v[2:5], off offset:64
	s_wait_loadcnt 0x0
	ds_store_b128 v6, v[8:11]
.LBB22_143:
	s_wait_xcnt 0x0
	s_or_b32 exec_lo, exec_lo, s2
	s_wait_storecnt_dscnt 0x0
	s_barrier_signal -1
	s_barrier_wait -1
	s_clause 0x9
	scratch_load_b128 v[8:11], off, off offset:80
	scratch_load_b128 v[60:63], off, off offset:96
	;; [unrolled: 1-line block ×10, first 2 shown]
	ds_load_b128 v[96:99], v2 offset:448
	ds_load_b128 v[104:107], v2 offset:464
	s_clause 0x1
	scratch_load_b128 v[100:103], off, off offset:240
	scratch_load_b128 v[108:111], off, off offset:64
	s_mov_b32 s2, exec_lo
	s_wait_loadcnt_dscnt 0xb01
	v_mul_f64_e32 v[4:5], v[98:99], v[10:11]
	v_mul_f64_e32 v[120:121], v[96:97], v[10:11]
	scratch_load_b128 v[10:13], off, off offset:256
	s_wait_loadcnt_dscnt 0xb00
	v_mul_f64_e32 v[122:123], v[104:105], v[62:63]
	v_mul_f64_e32 v[62:63], v[106:107], v[62:63]
	v_fma_f64 v[4:5], v[96:97], v[8:9], -v[4:5]
	v_fmac_f64_e32 v[120:121], v[98:99], v[8:9]
	ds_load_b128 v[96:99], v2 offset:480
	ds_load_b128 v[112:115], v2 offset:496
	scratch_load_b128 v[116:119], off, off offset:272
	v_fmac_f64_e32 v[122:123], v[106:107], v[60:61]
	v_fma_f64 v[104:105], v[104:105], v[60:61], -v[62:63]
	scratch_load_b128 v[60:63], off, off offset:288
	s_wait_loadcnt_dscnt 0xc01
	v_mul_f64_e32 v[8:9], v[96:97], v[66:67]
	v_mul_f64_e32 v[66:67], v[98:99], v[66:67]
	v_add_f64_e32 v[4:5], 0, v[4:5]
	v_add_f64_e32 v[106:107], 0, v[120:121]
	s_wait_loadcnt_dscnt 0xb00
	v_mul_f64_e32 v[120:121], v[112:113], v[70:71]
	v_mul_f64_e32 v[70:71], v[114:115], v[70:71]
	v_fmac_f64_e32 v[8:9], v[98:99], v[64:65]
	v_fma_f64 v[124:125], v[96:97], v[64:65], -v[66:67]
	ds_load_b128 v[64:67], v2 offset:512
	ds_load_b128 v[96:99], v2 offset:528
	v_add_f64_e32 v[4:5], v[4:5], v[104:105]
	v_add_f64_e32 v[122:123], v[106:107], v[122:123]
	scratch_load_b128 v[104:107], off, off offset:304
	v_fmac_f64_e32 v[120:121], v[114:115], v[68:69]
	v_fma_f64 v[112:113], v[112:113], v[68:69], -v[70:71]
	scratch_load_b128 v[68:71], off, off offset:320
	s_wait_loadcnt_dscnt 0xc01
	v_mul_f64_e32 v[126:127], v[64:65], v[74:75]
	v_mul_f64_e32 v[74:75], v[66:67], v[74:75]
	v_add_f64_e32 v[4:5], v[4:5], v[124:125]
	v_add_f64_e32 v[8:9], v[122:123], v[8:9]
	s_wait_loadcnt_dscnt 0xb00
	v_mul_f64_e32 v[122:123], v[96:97], v[78:79]
	v_mul_f64_e32 v[78:79], v[98:99], v[78:79]
	v_fmac_f64_e32 v[126:127], v[66:67], v[72:73]
	v_fma_f64 v[124:125], v[64:65], v[72:73], -v[74:75]
	ds_load_b128 v[64:67], v2 offset:544
	ds_load_b128 v[72:75], v2 offset:560
	v_add_f64_e32 v[4:5], v[4:5], v[112:113]
	v_add_f64_e32 v[8:9], v[8:9], v[120:121]
	scratch_load_b128 v[112:115], off, off offset:336
	s_wait_loadcnt_dscnt 0xb01
	v_mul_f64_e32 v[120:121], v[64:65], v[82:83]
	v_mul_f64_e32 v[82:83], v[66:67], v[82:83]
	v_fmac_f64_e32 v[122:123], v[98:99], v[76:77]
	v_fma_f64 v[96:97], v[96:97], v[76:77], -v[78:79]
	scratch_load_b128 v[76:79], off, off offset:352
	s_wait_loadcnt_dscnt 0xb00
	v_mul_f64_e32 v[98:99], v[72:73], v[86:87]
	v_mul_f64_e32 v[86:87], v[74:75], v[86:87]
	v_add_f64_e32 v[4:5], v[4:5], v[124:125]
	v_add_f64_e32 v[8:9], v[8:9], v[126:127]
	v_fmac_f64_e32 v[120:121], v[66:67], v[80:81]
	v_fma_f64 v[124:125], v[64:65], v[80:81], -v[82:83]
	ds_load_b128 v[64:67], v2 offset:576
	ds_load_b128 v[80:83], v2 offset:592
	v_fmac_f64_e32 v[98:99], v[74:75], v[84:85]
	v_fma_f64 v[72:73], v[72:73], v[84:85], -v[86:87]
	s_wait_loadcnt_dscnt 0x900
	v_mul_f64_e32 v[84:85], v[80:81], v[94:95]
	v_mul_f64_e32 v[86:87], v[82:83], v[94:95]
	v_add_f64_e32 v[4:5], v[4:5], v[96:97]
	v_add_f64_e32 v[8:9], v[8:9], v[122:123]
	v_mul_f64_e32 v[96:97], v[64:65], v[90:91]
	v_mul_f64_e32 v[90:91], v[66:67], v[90:91]
	v_fmac_f64_e32 v[84:85], v[82:83], v[92:93]
	v_fma_f64 v[80:81], v[80:81], v[92:93], -v[86:87]
	v_add_f64_e32 v[4:5], v[4:5], v[124:125]
	v_add_f64_e32 v[8:9], v[8:9], v[120:121]
	v_fmac_f64_e32 v[96:97], v[66:67], v[88:89]
	v_fma_f64 v[88:89], v[64:65], v[88:89], -v[90:91]
	s_delay_alu instid0(VALU_DEP_4) | instskip(NEXT) | instid1(VALU_DEP_4)
	v_add_f64_e32 v[4:5], v[4:5], v[72:73]
	v_add_f64_e32 v[8:9], v[8:9], v[98:99]
	ds_load_b128 v[64:67], v2 offset:608
	ds_load_b128 v[72:75], v2 offset:624
	s_wait_loadcnt_dscnt 0x801
	v_mul_f64_e32 v[90:91], v[64:65], v[102:103]
	v_mul_f64_e32 v[94:95], v[66:67], v[102:103]
	v_add_f64_e32 v[4:5], v[4:5], v[88:89]
	v_add_f64_e32 v[8:9], v[8:9], v[96:97]
	s_wait_loadcnt_dscnt 0x600
	v_mul_f64_e32 v[86:87], v[72:73], v[12:13]
	v_mul_f64_e32 v[12:13], v[74:75], v[12:13]
	v_fmac_f64_e32 v[90:91], v[66:67], v[100:101]
	v_fma_f64 v[88:89], v[64:65], v[100:101], -v[94:95]
	v_add_f64_e32 v[4:5], v[4:5], v[80:81]
	v_add_f64_e32 v[8:9], v[8:9], v[84:85]
	ds_load_b128 v[64:67], v2 offset:640
	ds_load_b128 v[80:83], v2 offset:656
	v_fmac_f64_e32 v[86:87], v[74:75], v[10:11]
	v_fma_f64 v[10:11], v[72:73], v[10:11], -v[12:13]
	s_wait_loadcnt_dscnt 0x501
	v_mul_f64_e32 v[84:85], v[64:65], v[118:119]
	v_mul_f64_e32 v[92:93], v[66:67], v[118:119]
	s_wait_loadcnt_dscnt 0x400
	v_mul_f64_e32 v[12:13], v[80:81], v[62:63]
	v_mul_f64_e32 v[72:73], v[82:83], v[62:63]
	v_add_f64_e32 v[4:5], v[4:5], v[88:89]
	v_add_f64_e32 v[8:9], v[8:9], v[90:91]
	v_fmac_f64_e32 v[84:85], v[66:67], v[116:117]
	v_fma_f64 v[66:67], v[64:65], v[116:117], -v[92:93]
	v_fmac_f64_e32 v[12:13], v[82:83], v[60:61]
	v_fma_f64 v[60:61], v[80:81], v[60:61], -v[72:73]
	v_add_f64_e32 v[4:5], v[4:5], v[10:11]
	v_add_f64_e32 v[74:75], v[8:9], v[86:87]
	ds_load_b128 v[8:11], v2 offset:672
	ds_load_b128 v[62:65], v2 offset:688
	s_wait_loadcnt_dscnt 0x301
	v_mul_f64_e32 v[86:87], v[8:9], v[106:107]
	v_mul_f64_e32 v[88:89], v[10:11], v[106:107]
	s_wait_loadcnt_dscnt 0x200
	v_mul_f64_e32 v[72:73], v[62:63], v[70:71]
	v_mul_f64_e32 v[70:71], v[64:65], v[70:71]
	v_add_f64_e32 v[4:5], v[4:5], v[66:67]
	v_add_f64_e32 v[66:67], v[74:75], v[84:85]
	v_fmac_f64_e32 v[86:87], v[10:11], v[104:105]
	v_fma_f64 v[74:75], v[8:9], v[104:105], -v[88:89]
	v_fmac_f64_e32 v[72:73], v[64:65], v[68:69]
	v_fma_f64 v[62:63], v[62:63], v[68:69], -v[70:71]
	v_add_f64_e32 v[60:61], v[4:5], v[60:61]
	v_add_f64_e32 v[12:13], v[66:67], v[12:13]
	ds_load_b128 v[8:11], v2 offset:704
	ds_load_b128 v[2:5], v2 offset:720
	s_wait_loadcnt_dscnt 0x101
	v_mul_f64_e32 v[66:67], v[8:9], v[114:115]
	v_mul_f64_e32 v[80:81], v[10:11], v[114:115]
	s_wait_loadcnt_dscnt 0x0
	v_mul_f64_e32 v[64:65], v[2:3], v[78:79]
	v_mul_f64_e32 v[68:69], v[4:5], v[78:79]
	v_add_f64_e32 v[60:61], v[60:61], v[74:75]
	v_add_f64_e32 v[12:13], v[12:13], v[86:87]
	v_fmac_f64_e32 v[66:67], v[10:11], v[112:113]
	v_fma_f64 v[8:9], v[8:9], v[112:113], -v[80:81]
	v_fmac_f64_e32 v[64:65], v[4:5], v[76:77]
	v_fma_f64 v[2:3], v[2:3], v[76:77], -v[68:69]
	v_add_f64_e32 v[10:11], v[60:61], v[62:63]
	v_add_f64_e32 v[12:13], v[12:13], v[72:73]
	s_delay_alu instid0(VALU_DEP_2) | instskip(NEXT) | instid1(VALU_DEP_2)
	v_add_f64_e32 v[4:5], v[10:11], v[8:9]
	v_add_f64_e32 v[8:9], v[12:13], v[66:67]
	s_delay_alu instid0(VALU_DEP_2) | instskip(NEXT) | instid1(VALU_DEP_2)
	;; [unrolled: 3-line block ×3, first 2 shown]
	v_add_f64_e64 v[2:3], v[108:109], -v[2:3]
	v_add_f64_e64 v[4:5], v[110:111], -v[4:5]
	scratch_store_b128 off, v[2:5], off offset:64
	s_wait_xcnt 0x0
	v_cmpx_lt_u32_e32 3, v1
	s_cbranch_execz .LBB22_145
; %bb.144:
	scratch_load_b128 v[2:5], off, s9
	v_mov_b32_e32 v8, 0
	s_delay_alu instid0(VALU_DEP_1)
	v_dual_mov_b32 v9, v8 :: v_dual_mov_b32 v10, v8
	v_mov_b32_e32 v11, v8
	scratch_store_b128 off, v[8:11], off offset:48
	s_wait_loadcnt 0x0
	ds_store_b128 v6, v[2:5]
.LBB22_145:
	s_wait_xcnt 0x0
	s_or_b32 exec_lo, exec_lo, s2
	s_wait_storecnt_dscnt 0x0
	s_barrier_signal -1
	s_barrier_wait -1
	s_clause 0x9
	scratch_load_b128 v[8:11], off, off offset:64
	scratch_load_b128 v[60:63], off, off offset:80
	;; [unrolled: 1-line block ×10, first 2 shown]
	v_mov_b32_e32 v2, 0
	s_mov_b32 s2, exec_lo
	ds_load_b128 v[96:99], v2 offset:432
	s_clause 0x2
	scratch_load_b128 v[100:103], off, off offset:224
	scratch_load_b128 v[104:107], off, off offset:48
	;; [unrolled: 1-line block ×3, first 2 shown]
	s_wait_loadcnt_dscnt 0xc00
	v_mul_f64_e32 v[4:5], v[98:99], v[10:11]
	v_mul_f64_e32 v[120:121], v[96:97], v[10:11]
	ds_load_b128 v[108:111], v2 offset:448
	scratch_load_b128 v[10:13], off, off offset:240
	ds_load_b128 v[116:119], v2 offset:480
	v_fma_f64 v[4:5], v[96:97], v[8:9], -v[4:5]
	v_fmac_f64_e32 v[120:121], v[98:99], v[8:9]
	ds_load_b128 v[96:99], v2 offset:464
	s_wait_loadcnt_dscnt 0xc02
	v_mul_f64_e32 v[122:123], v[108:109], v[62:63]
	v_mul_f64_e32 v[62:63], v[110:111], v[62:63]
	s_wait_loadcnt_dscnt 0xb00
	v_mul_f64_e32 v[8:9], v[96:97], v[66:67]
	v_mul_f64_e32 v[66:67], v[98:99], v[66:67]
	v_add_f64_e32 v[4:5], 0, v[4:5]
	v_fmac_f64_e32 v[122:123], v[110:111], v[60:61]
	v_fma_f64 v[108:109], v[108:109], v[60:61], -v[62:63]
	v_add_f64_e32 v[110:111], 0, v[120:121]
	scratch_load_b128 v[60:63], off, off offset:272
	v_fmac_f64_e32 v[8:9], v[98:99], v[64:65]
	v_fma_f64 v[124:125], v[96:97], v[64:65], -v[66:67]
	ds_load_b128 v[64:67], v2 offset:496
	s_wait_loadcnt 0xb
	v_mul_f64_e32 v[120:121], v[116:117], v[70:71]
	v_mul_f64_e32 v[70:71], v[118:119], v[70:71]
	scratch_load_b128 v[96:99], off, off offset:288
	v_add_f64_e32 v[4:5], v[4:5], v[108:109]
	v_add_f64_e32 v[122:123], v[110:111], v[122:123]
	ds_load_b128 v[108:111], v2 offset:512
	s_wait_loadcnt_dscnt 0xb01
	v_mul_f64_e32 v[126:127], v[64:65], v[74:75]
	v_mul_f64_e32 v[74:75], v[66:67], v[74:75]
	v_fmac_f64_e32 v[120:121], v[118:119], v[68:69]
	v_fma_f64 v[116:117], v[116:117], v[68:69], -v[70:71]
	scratch_load_b128 v[68:71], off, off offset:304
	v_add_f64_e32 v[4:5], v[4:5], v[124:125]
	v_add_f64_e32 v[8:9], v[122:123], v[8:9]
	v_fmac_f64_e32 v[126:127], v[66:67], v[72:73]
	v_fma_f64 v[124:125], v[64:65], v[72:73], -v[74:75]
	ds_load_b128 v[64:67], v2 offset:528
	s_wait_loadcnt_dscnt 0xb01
	v_mul_f64_e32 v[122:123], v[108:109], v[78:79]
	v_mul_f64_e32 v[78:79], v[110:111], v[78:79]
	scratch_load_b128 v[72:75], off, off offset:320
	v_add_f64_e32 v[4:5], v[4:5], v[116:117]
	v_add_f64_e32 v[8:9], v[8:9], v[120:121]
	s_wait_loadcnt_dscnt 0xb00
	v_mul_f64_e32 v[120:121], v[64:65], v[82:83]
	v_mul_f64_e32 v[82:83], v[66:67], v[82:83]
	ds_load_b128 v[116:119], v2 offset:544
	v_fmac_f64_e32 v[122:123], v[110:111], v[76:77]
	v_fma_f64 v[108:109], v[108:109], v[76:77], -v[78:79]
	scratch_load_b128 v[76:79], off, off offset:336
	v_add_f64_e32 v[4:5], v[4:5], v[124:125]
	v_add_f64_e32 v[8:9], v[8:9], v[126:127]
	v_fmac_f64_e32 v[120:121], v[66:67], v[80:81]
	v_fma_f64 v[126:127], v[64:65], v[80:81], -v[82:83]
	ds_load_b128 v[64:67], v2 offset:560
	s_wait_loadcnt_dscnt 0xb01
	v_mul_f64_e32 v[124:125], v[116:117], v[86:87]
	v_mul_f64_e32 v[86:87], v[118:119], v[86:87]
	scratch_load_b128 v[80:83], off, off offset:352
	v_add_f64_e32 v[4:5], v[4:5], v[108:109]
	v_add_f64_e32 v[8:9], v[8:9], v[122:123]
	s_wait_loadcnt_dscnt 0xb00
	v_mul_f64_e32 v[122:123], v[64:65], v[90:91]
	v_mul_f64_e32 v[90:91], v[66:67], v[90:91]
	ds_load_b128 v[108:111], v2 offset:576
	v_fmac_f64_e32 v[124:125], v[118:119], v[84:85]
	v_fma_f64 v[84:85], v[116:117], v[84:85], -v[86:87]
	s_wait_loadcnt_dscnt 0xa00
	v_mul_f64_e32 v[116:117], v[108:109], v[94:95]
	v_mul_f64_e32 v[94:95], v[110:111], v[94:95]
	v_add_f64_e32 v[4:5], v[4:5], v[126:127]
	v_add_f64_e32 v[8:9], v[8:9], v[120:121]
	v_fmac_f64_e32 v[122:123], v[66:67], v[88:89]
	v_fma_f64 v[88:89], v[64:65], v[88:89], -v[90:91]
	v_fmac_f64_e32 v[116:117], v[110:111], v[92:93]
	v_fma_f64 v[92:93], v[108:109], v[92:93], -v[94:95]
	v_add_f64_e32 v[4:5], v[4:5], v[84:85]
	v_add_f64_e32 v[8:9], v[8:9], v[124:125]
	ds_load_b128 v[64:67], v2 offset:592
	ds_load_b128 v[84:87], v2 offset:608
	s_wait_loadcnt_dscnt 0x901
	v_mul_f64_e32 v[118:119], v[64:65], v[102:103]
	v_mul_f64_e32 v[90:91], v[66:67], v[102:103]
	s_wait_loadcnt_dscnt 0x600
	v_mul_f64_e32 v[94:95], v[84:85], v[12:13]
	v_add_f64_e32 v[4:5], v[4:5], v[88:89]
	v_add_f64_e32 v[8:9], v[8:9], v[122:123]
	v_mul_f64_e32 v[12:13], v[86:87], v[12:13]
	v_fmac_f64_e32 v[118:119], v[66:67], v[100:101]
	v_fma_f64 v[100:101], v[64:65], v[100:101], -v[90:91]
	ds_load_b128 v[64:67], v2 offset:624
	ds_load_b128 v[88:91], v2 offset:640
	v_fmac_f64_e32 v[94:95], v[86:87], v[10:11]
	v_add_f64_e32 v[4:5], v[4:5], v[92:93]
	v_add_f64_e32 v[8:9], v[8:9], v[116:117]
	v_fma_f64 v[10:11], v[84:85], v[10:11], -v[12:13]
	s_wait_dscnt 0x1
	v_mul_f64_e32 v[92:93], v[64:65], v[114:115]
	v_mul_f64_e32 v[102:103], v[66:67], v[114:115]
	v_add_f64_e32 v[4:5], v[4:5], v[100:101]
	v_add_f64_e32 v[8:9], v[8:9], v[118:119]
	s_wait_loadcnt_dscnt 0x500
	v_mul_f64_e32 v[12:13], v[88:89], v[62:63]
	v_mul_f64_e32 v[84:85], v[90:91], v[62:63]
	v_fmac_f64_e32 v[92:93], v[66:67], v[112:113]
	v_fma_f64 v[66:67], v[64:65], v[112:113], -v[102:103]
	v_add_f64_e32 v[4:5], v[4:5], v[10:11]
	v_add_f64_e32 v[86:87], v[8:9], v[94:95]
	ds_load_b128 v[8:11], v2 offset:656
	ds_load_b128 v[62:65], v2 offset:672
	v_fmac_f64_e32 v[12:13], v[90:91], v[60:61]
	v_fma_f64 v[60:61], v[88:89], v[60:61], -v[84:85]
	s_wait_loadcnt_dscnt 0x401
	v_mul_f64_e32 v[94:95], v[8:9], v[98:99]
	v_mul_f64_e32 v[98:99], v[10:11], v[98:99]
	s_wait_loadcnt_dscnt 0x300
	v_mul_f64_e32 v[88:89], v[62:63], v[70:71]
	v_mul_f64_e32 v[70:71], v[64:65], v[70:71]
	v_add_f64_e32 v[4:5], v[4:5], v[66:67]
	v_add_f64_e32 v[66:67], v[86:87], v[92:93]
	v_fmac_f64_e32 v[94:95], v[10:11], v[96:97]
	v_fma_f64 v[90:91], v[8:9], v[96:97], -v[98:99]
	ds_load_b128 v[8:11], v2 offset:688
	ds_load_b128 v[84:87], v2 offset:704
	v_fmac_f64_e32 v[88:89], v[64:65], v[68:69]
	v_fma_f64 v[62:63], v[62:63], v[68:69], -v[70:71]
	v_add_f64_e32 v[4:5], v[4:5], v[60:61]
	v_add_f64_e32 v[12:13], v[66:67], v[12:13]
	s_wait_loadcnt_dscnt 0x201
	v_mul_f64_e32 v[60:61], v[8:9], v[74:75]
	v_mul_f64_e32 v[66:67], v[10:11], v[74:75]
	s_wait_loadcnt_dscnt 0x100
	v_mul_f64_e32 v[64:65], v[84:85], v[78:79]
	v_mul_f64_e32 v[68:69], v[86:87], v[78:79]
	v_add_f64_e32 v[4:5], v[4:5], v[90:91]
	v_add_f64_e32 v[12:13], v[12:13], v[94:95]
	v_fmac_f64_e32 v[60:61], v[10:11], v[72:73]
	v_fma_f64 v[66:67], v[8:9], v[72:73], -v[66:67]
	ds_load_b128 v[8:11], v2 offset:720
	v_fmac_f64_e32 v[64:65], v[86:87], v[76:77]
	v_fma_f64 v[68:69], v[84:85], v[76:77], -v[68:69]
	s_wait_loadcnt_dscnt 0x0
	v_mul_f64_e32 v[70:71], v[10:11], v[82:83]
	v_add_f64_e32 v[4:5], v[4:5], v[62:63]
	v_add_f64_e32 v[12:13], v[12:13], v[88:89]
	v_mul_f64_e32 v[62:63], v[8:9], v[82:83]
	s_delay_alu instid0(VALU_DEP_4) | instskip(NEXT) | instid1(VALU_DEP_4)
	v_fma_f64 v[8:9], v[8:9], v[80:81], -v[70:71]
	v_add_f64_e32 v[4:5], v[4:5], v[66:67]
	s_delay_alu instid0(VALU_DEP_4) | instskip(NEXT) | instid1(VALU_DEP_4)
	v_add_f64_e32 v[12:13], v[12:13], v[60:61]
	v_fmac_f64_e32 v[62:63], v[10:11], v[80:81]
	s_delay_alu instid0(VALU_DEP_3) | instskip(NEXT) | instid1(VALU_DEP_3)
	v_add_f64_e32 v[4:5], v[4:5], v[68:69]
	v_add_f64_e32 v[10:11], v[12:13], v[64:65]
	s_delay_alu instid0(VALU_DEP_2) | instskip(NEXT) | instid1(VALU_DEP_2)
	v_add_f64_e32 v[4:5], v[4:5], v[8:9]
	v_add_f64_e32 v[10:11], v[10:11], v[62:63]
	s_delay_alu instid0(VALU_DEP_2) | instskip(NEXT) | instid1(VALU_DEP_2)
	v_add_f64_e64 v[8:9], v[104:105], -v[4:5]
	v_add_f64_e64 v[10:11], v[106:107], -v[10:11]
	scratch_store_b128 off, v[8:11], off offset:48
	s_wait_xcnt 0x0
	v_cmpx_lt_u32_e32 2, v1
	s_cbranch_execz .LBB22_147
; %bb.146:
	scratch_load_b128 v[8:11], off, s8
	v_dual_mov_b32 v3, v2 :: v_dual_mov_b32 v4, v2
	v_mov_b32_e32 v5, v2
	scratch_store_b128 off, v[2:5], off offset:32
	s_wait_loadcnt 0x0
	ds_store_b128 v6, v[8:11]
.LBB22_147:
	s_wait_xcnt 0x0
	s_or_b32 exec_lo, exec_lo, s2
	s_wait_storecnt_dscnt 0x0
	s_barrier_signal -1
	s_barrier_wait -1
	s_clause 0x9
	scratch_load_b128 v[8:11], off, off offset:48
	scratch_load_b128 v[60:63], off, off offset:64
	;; [unrolled: 1-line block ×10, first 2 shown]
	ds_load_b128 v[96:99], v2 offset:416
	ds_load_b128 v[104:107], v2 offset:432
	s_clause 0x1
	scratch_load_b128 v[100:103], off, off offset:208
	scratch_load_b128 v[108:111], off, off offset:32
	s_mov_b32 s2, exec_lo
	v_ashrrev_i32_e32 v21, 31, v20
	v_ashrrev_i32_e32 v25, 31, v24
	;; [unrolled: 1-line block ×3, first 2 shown]
	v_dual_ashrrev_i32 v33, 31, v32 :: v_dual_ashrrev_i32 v19, 31, v18
	v_dual_ashrrev_i32 v23, 31, v22 :: v_dual_ashrrev_i32 v37, 31, v36
	;; [unrolled: 1-line block ×7, first 2 shown]
	v_ashrrev_i32_e32 v47, 31, v46
	v_ashrrev_i32_e32 v51, 31, v50
	;; [unrolled: 1-line block ×4, first 2 shown]
	s_wait_loadcnt_dscnt 0xb01
	v_mul_f64_e32 v[4:5], v[98:99], v[10:11]
	v_mul_f64_e32 v[120:121], v[96:97], v[10:11]
	scratch_load_b128 v[10:13], off, off offset:224
	s_wait_loadcnt_dscnt 0xb00
	v_mul_f64_e32 v[122:123], v[104:105], v[62:63]
	v_mul_f64_e32 v[62:63], v[106:107], v[62:63]
	v_fma_f64 v[4:5], v[96:97], v[8:9], -v[4:5]
	v_fmac_f64_e32 v[120:121], v[98:99], v[8:9]
	ds_load_b128 v[96:99], v2 offset:448
	ds_load_b128 v[112:115], v2 offset:464
	scratch_load_b128 v[116:119], off, off offset:240
	v_fmac_f64_e32 v[122:123], v[106:107], v[60:61]
	v_fma_f64 v[104:105], v[104:105], v[60:61], -v[62:63]
	scratch_load_b128 v[60:63], off, off offset:256
	s_wait_loadcnt_dscnt 0xc01
	v_mul_f64_e32 v[8:9], v[96:97], v[66:67]
	v_mul_f64_e32 v[66:67], v[98:99], v[66:67]
	v_add_f64_e32 v[4:5], 0, v[4:5]
	v_add_f64_e32 v[106:107], 0, v[120:121]
	s_wait_loadcnt_dscnt 0xb00
	v_mul_f64_e32 v[120:121], v[112:113], v[70:71]
	v_mul_f64_e32 v[70:71], v[114:115], v[70:71]
	v_fmac_f64_e32 v[8:9], v[98:99], v[64:65]
	v_fma_f64 v[124:125], v[96:97], v[64:65], -v[66:67]
	ds_load_b128 v[64:67], v2 offset:480
	ds_load_b128 v[96:99], v2 offset:496
	v_add_f64_e32 v[4:5], v[4:5], v[104:105]
	v_add_f64_e32 v[122:123], v[106:107], v[122:123]
	scratch_load_b128 v[104:107], off, off offset:272
	v_fmac_f64_e32 v[120:121], v[114:115], v[68:69]
	v_fma_f64 v[112:113], v[112:113], v[68:69], -v[70:71]
	scratch_load_b128 v[68:71], off, off offset:288
	s_wait_loadcnt_dscnt 0xc01
	v_mul_f64_e32 v[126:127], v[64:65], v[74:75]
	v_mul_f64_e32 v[74:75], v[66:67], v[74:75]
	v_add_f64_e32 v[4:5], v[4:5], v[124:125]
	v_add_f64_e32 v[8:9], v[122:123], v[8:9]
	s_wait_loadcnt_dscnt 0xb00
	v_mul_f64_e32 v[122:123], v[96:97], v[78:79]
	v_mul_f64_e32 v[78:79], v[98:99], v[78:79]
	v_fmac_f64_e32 v[126:127], v[66:67], v[72:73]
	v_fma_f64 v[124:125], v[64:65], v[72:73], -v[74:75]
	ds_load_b128 v[64:67], v2 offset:512
	ds_load_b128 v[72:75], v2 offset:528
	v_add_f64_e32 v[4:5], v[4:5], v[112:113]
	v_add_f64_e32 v[8:9], v[8:9], v[120:121]
	scratch_load_b128 v[112:115], off, off offset:304
	v_fmac_f64_e32 v[122:123], v[98:99], v[76:77]
	v_fma_f64 v[96:97], v[96:97], v[76:77], -v[78:79]
	s_wait_loadcnt_dscnt 0xb01
	v_mul_f64_e32 v[120:121], v[64:65], v[82:83]
	v_mul_f64_e32 v[82:83], v[66:67], v[82:83]
	scratch_load_b128 v[76:79], off, off offset:320
	v_add_f64_e32 v[4:5], v[4:5], v[124:125]
	v_add_f64_e32 v[8:9], v[8:9], v[126:127]
	s_wait_loadcnt_dscnt 0xb00
	v_mul_f64_e32 v[124:125], v[72:73], v[86:87]
	v_mul_f64_e32 v[86:87], v[74:75], v[86:87]
	v_fmac_f64_e32 v[120:121], v[66:67], v[80:81]
	v_fma_f64 v[126:127], v[64:65], v[80:81], -v[82:83]
	ds_load_b128 v[64:67], v2 offset:544
	ds_load_b128 v[80:83], v2 offset:560
	v_add_f64_e32 v[4:5], v[4:5], v[96:97]
	v_add_f64_e32 v[8:9], v[8:9], v[122:123]
	scratch_load_b128 v[96:99], off, off offset:336
	v_fmac_f64_e32 v[124:125], v[74:75], v[84:85]
	v_fma_f64 v[84:85], v[72:73], v[84:85], -v[86:87]
	s_wait_loadcnt_dscnt 0xb01
	v_mul_f64_e32 v[122:123], v[64:65], v[90:91]
	v_mul_f64_e32 v[86:87], v[66:67], v[90:91]
	scratch_load_b128 v[72:75], off, off offset:352
	s_wait_loadcnt_dscnt 0xb00
	v_mul_f64_e32 v[90:91], v[80:81], v[94:95]
	v_mul_f64_e32 v[94:95], v[82:83], v[94:95]
	v_add_f64_e32 v[4:5], v[4:5], v[126:127]
	v_add_f64_e32 v[8:9], v[8:9], v[120:121]
	v_fmac_f64_e32 v[122:123], v[66:67], v[88:89]
	v_fma_f64 v[88:89], v[64:65], v[88:89], -v[86:87]
	v_fmac_f64_e32 v[90:91], v[82:83], v[92:93]
	v_fma_f64 v[80:81], v[80:81], v[92:93], -v[94:95]
	v_add_f64_e32 v[4:5], v[4:5], v[84:85]
	v_add_f64_e32 v[8:9], v[8:9], v[124:125]
	ds_load_b128 v[64:67], v2 offset:576
	ds_load_b128 v[84:87], v2 offset:592
	s_wait_loadcnt_dscnt 0xa01
	v_mul_f64_e32 v[120:121], v[64:65], v[102:103]
	v_mul_f64_e32 v[102:103], v[66:67], v[102:103]
	v_add_f64_e32 v[4:5], v[4:5], v[88:89]
	v_add_f64_e32 v[8:9], v[8:9], v[122:123]
	s_wait_loadcnt_dscnt 0x800
	v_mul_f64_e32 v[88:89], v[84:85], v[12:13]
	v_mul_f64_e32 v[12:13], v[86:87], v[12:13]
	v_fmac_f64_e32 v[120:121], v[66:67], v[100:101]
	v_fma_f64 v[92:93], v[64:65], v[100:101], -v[102:103]
	v_add_f64_e32 v[4:5], v[4:5], v[80:81]
	v_add_f64_e32 v[8:9], v[8:9], v[90:91]
	ds_load_b128 v[64:67], v2 offset:608
	ds_load_b128 v[80:83], v2 offset:624
	v_fmac_f64_e32 v[88:89], v[86:87], v[10:11]
	v_fma_f64 v[10:11], v[84:85], v[10:11], -v[12:13]
	s_wait_loadcnt_dscnt 0x701
	v_mul_f64_e32 v[90:91], v[64:65], v[118:119]
	v_mul_f64_e32 v[94:95], v[66:67], v[118:119]
	s_wait_loadcnt_dscnt 0x600
	v_mul_f64_e32 v[12:13], v[80:81], v[62:63]
	v_mul_f64_e32 v[84:85], v[82:83], v[62:63]
	v_add_f64_e32 v[4:5], v[4:5], v[92:93]
	v_add_f64_e32 v[8:9], v[8:9], v[120:121]
	v_fmac_f64_e32 v[90:91], v[66:67], v[116:117]
	v_fma_f64 v[66:67], v[64:65], v[116:117], -v[94:95]
	v_fmac_f64_e32 v[12:13], v[82:83], v[60:61]
	v_fma_f64 v[60:61], v[80:81], v[60:61], -v[84:85]
	v_add_f64_e32 v[4:5], v[4:5], v[10:11]
	v_add_f64_e32 v[86:87], v[8:9], v[88:89]
	ds_load_b128 v[8:11], v2 offset:640
	ds_load_b128 v[62:65], v2 offset:656
	s_wait_loadcnt_dscnt 0x501
	v_mul_f64_e32 v[88:89], v[8:9], v[106:107]
	v_mul_f64_e32 v[92:93], v[10:11], v[106:107]
	s_wait_loadcnt_dscnt 0x400
	v_mul_f64_e32 v[84:85], v[62:63], v[70:71]
	v_mul_f64_e32 v[70:71], v[64:65], v[70:71]
	v_add_f64_e32 v[4:5], v[4:5], v[66:67]
	v_add_f64_e32 v[66:67], v[86:87], v[90:91]
	v_fmac_f64_e32 v[88:89], v[10:11], v[104:105]
	v_fma_f64 v[86:87], v[8:9], v[104:105], -v[92:93]
	ds_load_b128 v[8:11], v2 offset:672
	ds_load_b128 v[80:83], v2 offset:688
	v_fmac_f64_e32 v[84:85], v[64:65], v[68:69]
	v_fma_f64 v[62:63], v[62:63], v[68:69], -v[70:71]
	v_add_f64_e32 v[4:5], v[4:5], v[60:61]
	v_add_f64_e32 v[12:13], v[66:67], v[12:13]
	s_wait_loadcnt_dscnt 0x301
	v_mul_f64_e32 v[60:61], v[8:9], v[114:115]
	v_mul_f64_e32 v[66:67], v[10:11], v[114:115]
	s_wait_loadcnt_dscnt 0x200
	v_mul_f64_e32 v[64:65], v[80:81], v[78:79]
	v_mul_f64_e32 v[68:69], v[82:83], v[78:79]
	v_add_f64_e32 v[4:5], v[4:5], v[86:87]
	v_add_f64_e32 v[12:13], v[12:13], v[88:89]
	v_fmac_f64_e32 v[60:61], v[10:11], v[112:113]
	v_fma_f64 v[66:67], v[8:9], v[112:113], -v[66:67]
	v_fmac_f64_e32 v[64:65], v[82:83], v[76:77]
	v_fma_f64 v[68:69], v[80:81], v[76:77], -v[68:69]
	v_add_f64_e32 v[62:63], v[4:5], v[62:63]
	v_add_f64_e32 v[12:13], v[12:13], v[84:85]
	ds_load_b128 v[8:11], v2 offset:704
	ds_load_b128 v[2:5], v2 offset:720
	s_wait_loadcnt_dscnt 0x101
	v_mul_f64_e32 v[70:71], v[8:9], v[98:99]
	v_mul_f64_e32 v[78:79], v[10:11], v[98:99]
	v_add_f64_e32 v[62:63], v[62:63], v[66:67]
	v_add_f64_e32 v[12:13], v[12:13], v[60:61]
	s_wait_loadcnt_dscnt 0x0
	v_mul_f64_e32 v[60:61], v[2:3], v[74:75]
	v_mul_f64_e32 v[66:67], v[4:5], v[74:75]
	v_fmac_f64_e32 v[70:71], v[10:11], v[96:97]
	v_fma_f64 v[8:9], v[8:9], v[96:97], -v[78:79]
	v_add_f64_e32 v[10:11], v[62:63], v[68:69]
	v_add_f64_e32 v[12:13], v[12:13], v[64:65]
	v_fmac_f64_e32 v[60:61], v[4:5], v[72:73]
	v_fma_f64 v[2:3], v[2:3], v[72:73], -v[66:67]
	s_delay_alu instid0(VALU_DEP_4) | instskip(NEXT) | instid1(VALU_DEP_4)
	v_add_f64_e32 v[4:5], v[10:11], v[8:9]
	v_add_f64_e32 v[8:9], v[12:13], v[70:71]
	s_delay_alu instid0(VALU_DEP_2) | instskip(NEXT) | instid1(VALU_DEP_2)
	v_add_f64_e32 v[2:3], v[4:5], v[2:3]
	v_add_f64_e32 v[4:5], v[8:9], v[60:61]
	s_delay_alu instid0(VALU_DEP_2) | instskip(NEXT) | instid1(VALU_DEP_2)
	v_add_f64_e64 v[2:3], v[108:109], -v[2:3]
	v_add_f64_e64 v[4:5], v[110:111], -v[4:5]
	scratch_store_b128 off, v[2:5], off offset:32
	s_wait_xcnt 0x0
	v_cmpx_lt_u32_e32 1, v1
	s_cbranch_execz .LBB22_149
; %bb.148:
	scratch_load_b128 v[2:5], off, s11
	v_mov_b32_e32 v8, 0
	s_delay_alu instid0(VALU_DEP_1)
	v_dual_mov_b32 v9, v8 :: v_dual_mov_b32 v10, v8
	v_mov_b32_e32 v11, v8
	scratch_store_b128 off, v[8:11], off offset:16
	s_wait_loadcnt 0x0
	ds_store_b128 v6, v[2:5]
.LBB22_149:
	s_wait_xcnt 0x0
	s_or_b32 exec_lo, exec_lo, s2
	s_wait_storecnt_dscnt 0x0
	s_barrier_signal -1
	s_barrier_wait -1
	s_clause 0x9
	scratch_load_b128 v[8:11], off, off offset:32
	scratch_load_b128 v[60:63], off, off offset:48
	;; [unrolled: 1-line block ×10, first 2 shown]
	v_mov_b32_e32 v2, 0
	s_clause 0x2
	scratch_load_b128 v[104:107], off, off offset:208
	scratch_load_b128 v[108:111], off, off offset:224
	;; [unrolled: 1-line block ×3, first 2 shown]
	s_mov_b32 s2, exec_lo
	ds_load_b128 v[96:99], v2 offset:400
	s_wait_loadcnt_dscnt 0xc00
	v_mul_f64_e32 v[4:5], v[98:99], v[10:11]
	v_mul_f64_e32 v[112:113], v[96:97], v[10:11]
	ds_load_b128 v[10:13], v2 offset:416
	v_fma_f64 v[4:5], v[96:97], v[8:9], -v[4:5]
	v_fmac_f64_e32 v[112:113], v[98:99], v[8:9]
	ds_load_b128 v[96:99], v2 offset:432
	s_wait_loadcnt_dscnt 0xb01
	v_mul_f64_e32 v[114:115], v[10:11], v[62:63]
	v_mul_f64_e32 v[62:63], v[12:13], v[62:63]
	s_wait_loadcnt_dscnt 0xa00
	v_mul_f64_e32 v[116:117], v[96:97], v[66:67]
	v_mul_f64_e32 v[66:67], v[98:99], v[66:67]
	v_add_f64_e32 v[4:5], 0, v[4:5]
	v_add_f64_e32 v[112:113], 0, v[112:113]
	v_fmac_f64_e32 v[114:115], v[12:13], v[60:61]
	v_fma_f64 v[12:13], v[10:11], v[60:61], -v[62:63]
	ds_load_b128 v[8:11], v2 offset:448
	scratch_load_b128 v[60:63], off, off offset:240
	v_fmac_f64_e32 v[116:117], v[98:99], v[64:65]
	v_fma_f64 v[120:121], v[96:97], v[64:65], -v[66:67]
	ds_load_b128 v[64:67], v2 offset:464
	s_wait_loadcnt_dscnt 0xa01
	v_mul_f64_e32 v[118:119], v[8:9], v[70:71]
	v_mul_f64_e32 v[70:71], v[10:11], v[70:71]
	scratch_load_b128 v[96:99], off, off offset:256
	v_add_f64_e32 v[4:5], v[4:5], v[12:13]
	v_add_f64_e32 v[12:13], v[112:113], v[114:115]
	s_wait_loadcnt_dscnt 0xa00
	v_mul_f64_e32 v[112:113], v[64:65], v[74:75]
	v_mul_f64_e32 v[74:75], v[66:67], v[74:75]
	v_fmac_f64_e32 v[118:119], v[10:11], v[68:69]
	v_fma_f64 v[114:115], v[8:9], v[68:69], -v[70:71]
	ds_load_b128 v[8:11], v2 offset:480
	scratch_load_b128 v[68:71], off, off offset:272
	v_add_f64_e32 v[4:5], v[4:5], v[120:121]
	v_add_f64_e32 v[12:13], v[12:13], v[116:117]
	v_fmac_f64_e32 v[112:113], v[66:67], v[72:73]
	v_fma_f64 v[120:121], v[64:65], v[72:73], -v[74:75]
	ds_load_b128 v[64:67], v2 offset:496
	s_wait_loadcnt_dscnt 0xa01
	v_mul_f64_e32 v[116:117], v[8:9], v[78:79]
	v_mul_f64_e32 v[78:79], v[10:11], v[78:79]
	scratch_load_b128 v[72:75], off, off offset:288
	v_add_f64_e32 v[4:5], v[4:5], v[114:115]
	v_add_f64_e32 v[12:13], v[12:13], v[118:119]
	s_wait_loadcnt_dscnt 0xa00
	v_mul_f64_e32 v[114:115], v[64:65], v[82:83]
	v_mul_f64_e32 v[82:83], v[66:67], v[82:83]
	v_fmac_f64_e32 v[116:117], v[10:11], v[76:77]
	v_fma_f64 v[118:119], v[8:9], v[76:77], -v[78:79]
	ds_load_b128 v[8:11], v2 offset:512
	scratch_load_b128 v[76:79], off, off offset:304
	v_add_f64_e32 v[4:5], v[4:5], v[120:121]
	v_add_f64_e32 v[12:13], v[12:13], v[112:113]
	;; [unrolled: 18-line block ×3, first 2 shown]
	v_fmac_f64_e32 v[116:117], v[66:67], v[88:89]
	v_fma_f64 v[120:121], v[64:65], v[88:89], -v[90:91]
	ds_load_b128 v[64:67], v2 offset:560
	s_wait_loadcnt_dscnt 0xa01
	v_mul_f64_e32 v[114:115], v[8:9], v[94:95]
	v_mul_f64_e32 v[94:95], v[10:11], v[94:95]
	scratch_load_b128 v[88:91], off, off offset:352
	v_add_f64_e32 v[4:5], v[4:5], v[118:119]
	v_add_f64_e32 v[12:13], v[12:13], v[112:113]
	v_fmac_f64_e32 v[114:115], v[10:11], v[92:93]
	v_fma_f64 v[92:93], v[8:9], v[92:93], -v[94:95]
	ds_load_b128 v[8:11], v2 offset:576
	s_wait_loadcnt_dscnt 0xa00
	v_mul_f64_e32 v[94:95], v[10:11], v[106:107]
	v_add_f64_e32 v[4:5], v[4:5], v[120:121]
	v_add_f64_e32 v[12:13], v[12:13], v[116:117]
	v_mul_f64_e32 v[116:117], v[8:9], v[106:107]
	s_delay_alu instid0(VALU_DEP_3) | instskip(NEXT) | instid1(VALU_DEP_3)
	v_add_f64_e32 v[4:5], v[4:5], v[92:93]
	v_add_f64_e32 v[12:13], v[12:13], v[114:115]
	s_delay_alu instid0(VALU_DEP_3)
	v_fmac_f64_e32 v[116:117], v[10:11], v[104:105]
	v_fma_f64 v[104:105], v[8:9], v[104:105], -v[94:95]
	scratch_load_b128 v[92:95], off, off offset:16
	s_wait_loadcnt 0x9
	v_mul_f64_e32 v[112:113], v[64:65], v[102:103]
	v_mul_f64_e32 v[102:103], v[66:67], v[102:103]
	ds_load_b128 v[8:11], v2 offset:608
	v_fmac_f64_e32 v[112:113], v[66:67], v[100:101]
	v_fma_f64 v[100:101], v[64:65], v[100:101], -v[102:103]
	ds_load_b128 v[64:67], v2 offset:592
	s_wait_dscnt 0x0
	v_mul_f64_e32 v[102:103], v[64:65], v[110:111]
	v_mul_f64_e32 v[106:107], v[66:67], v[110:111]
	s_wait_loadcnt 0x8
	v_mul_f64_e32 v[110:111], v[10:11], v[62:63]
	v_add_f64_e32 v[12:13], v[12:13], v[112:113]
	v_add_f64_e32 v[4:5], v[4:5], v[100:101]
	v_mul_f64_e32 v[100:101], v[8:9], v[62:63]
	v_fmac_f64_e32 v[102:103], v[66:67], v[108:109]
	v_fma_f64 v[66:67], v[64:65], v[108:109], -v[106:107]
	ds_load_b128 v[62:65], v2 offset:624
	v_add_f64_e32 v[12:13], v[12:13], v[116:117]
	v_add_f64_e32 v[4:5], v[4:5], v[104:105]
	v_fmac_f64_e32 v[100:101], v[10:11], v[60:61]
	v_fma_f64 v[60:61], v[8:9], v[60:61], -v[110:111]
	ds_load_b128 v[8:11], v2 offset:640
	s_wait_loadcnt_dscnt 0x701
	v_mul_f64_e32 v[104:105], v[62:63], v[98:99]
	v_mul_f64_e32 v[98:99], v[64:65], v[98:99]
	v_add_f64_e32 v[12:13], v[12:13], v[102:103]
	v_add_f64_e32 v[4:5], v[4:5], v[66:67]
	s_wait_loadcnt_dscnt 0x600
	v_mul_f64_e32 v[66:67], v[8:9], v[70:71]
	v_mul_f64_e32 v[70:71], v[10:11], v[70:71]
	v_fmac_f64_e32 v[104:105], v[64:65], v[96:97]
	v_fma_f64 v[64:65], v[62:63], v[96:97], -v[98:99]
	v_add_f64_e32 v[12:13], v[12:13], v[100:101]
	v_add_f64_e32 v[4:5], v[4:5], v[60:61]
	ds_load_b128 v[60:63], v2 offset:656
	v_fmac_f64_e32 v[66:67], v[10:11], v[68:69]
	v_fma_f64 v[68:69], v[8:9], v[68:69], -v[70:71]
	ds_load_b128 v[8:11], v2 offset:672
	s_wait_loadcnt_dscnt 0x501
	v_mul_f64_e32 v[96:97], v[60:61], v[74:75]
	v_mul_f64_e32 v[74:75], v[62:63], v[74:75]
	s_wait_loadcnt_dscnt 0x400
	v_mul_f64_e32 v[70:71], v[10:11], v[78:79]
	v_add_f64_e32 v[12:13], v[12:13], v[104:105]
	v_add_f64_e32 v[4:5], v[4:5], v[64:65]
	v_mul_f64_e32 v[64:65], v[8:9], v[78:79]
	v_fmac_f64_e32 v[96:97], v[62:63], v[72:73]
	v_fma_f64 v[72:73], v[60:61], v[72:73], -v[74:75]
	ds_load_b128 v[60:63], v2 offset:688
	v_fma_f64 v[70:71], v[8:9], v[76:77], -v[70:71]
	v_add_f64_e32 v[12:13], v[12:13], v[66:67]
	v_add_f64_e32 v[4:5], v[4:5], v[68:69]
	v_fmac_f64_e32 v[64:65], v[10:11], v[76:77]
	ds_load_b128 v[8:11], v2 offset:704
	s_wait_loadcnt_dscnt 0x301
	v_mul_f64_e32 v[66:67], v[60:61], v[82:83]
	v_mul_f64_e32 v[68:69], v[62:63], v[82:83]
	s_wait_loadcnt_dscnt 0x200
	v_mul_f64_e32 v[74:75], v[10:11], v[86:87]
	v_add_f64_e32 v[12:13], v[12:13], v[96:97]
	v_add_f64_e32 v[4:5], v[4:5], v[72:73]
	v_mul_f64_e32 v[72:73], v[8:9], v[86:87]
	v_fmac_f64_e32 v[66:67], v[62:63], v[80:81]
	v_fma_f64 v[68:69], v[60:61], v[80:81], -v[68:69]
	ds_load_b128 v[60:63], v2 offset:720
	v_fma_f64 v[8:9], v[8:9], v[84:85], -v[74:75]
	v_add_f64_e32 v[12:13], v[12:13], v[64:65]
	v_add_f64_e32 v[4:5], v[4:5], v[70:71]
	s_wait_loadcnt_dscnt 0x100
	v_mul_f64_e32 v[64:65], v[60:61], v[90:91]
	v_mul_f64_e32 v[70:71], v[62:63], v[90:91]
	v_fmac_f64_e32 v[72:73], v[10:11], v[84:85]
	v_add_f64_e32 v[10:11], v[12:13], v[66:67]
	v_add_f64_e32 v[4:5], v[4:5], v[68:69]
	v_fmac_f64_e32 v[64:65], v[62:63], v[88:89]
	v_fma_f64 v[12:13], v[60:61], v[88:89], -v[70:71]
	s_delay_alu instid0(VALU_DEP_3) | instskip(SKIP_1) | instid1(VALU_DEP_2)
	v_add_f64_e32 v[4:5], v[4:5], v[8:9]
	v_add_f64_e32 v[8:9], v[10:11], v[72:73]
	v_add_f64_e32 v[4:5], v[4:5], v[12:13]
	s_delay_alu instid0(VALU_DEP_2) | instskip(SKIP_1) | instid1(VALU_DEP_2)
	v_add_f64_e32 v[10:11], v[8:9], v[64:65]
	s_wait_loadcnt 0x0
	v_add_f64_e64 v[8:9], v[92:93], -v[4:5]
	s_delay_alu instid0(VALU_DEP_2)
	v_add_f64_e64 v[10:11], v[94:95], -v[10:11]
	scratch_store_b128 off, v[8:11], off offset:16
	s_wait_xcnt 0x0
	v_cmpx_ne_u32_e32 0, v1
	s_cbranch_execz .LBB22_151
; %bb.150:
	scratch_load_b128 v[8:11], off, off
	v_dual_mov_b32 v3, v2 :: v_dual_mov_b32 v4, v2
	v_mov_b32_e32 v5, v2
	scratch_store_b128 off, v[2:5], off
	s_wait_loadcnt 0x0
	ds_store_b128 v6, v[8:11]
.LBB22_151:
	s_wait_xcnt 0x0
	s_or_b32 exec_lo, exec_lo, s2
	s_wait_storecnt_dscnt 0x0
	s_barrier_signal -1
	s_barrier_wait -1
	s_clause 0x9
	scratch_load_b128 v[4:7], off, off offset:16
	scratch_load_b128 v[8:11], off, off offset:32
	;; [unrolled: 1-line block ×10, first 2 shown]
	ds_load_b128 v[92:95], v2 offset:384
	ds_load_b128 v[100:103], v2 offset:400
	s_clause 0x2
	scratch_load_b128 v[96:99], off, off offset:176
	scratch_load_b128 v[104:107], off, off
	scratch_load_b128 v[108:111], off, off offset:192
	s_and_b32 vcc_lo, exec_lo, s35
	s_wait_loadcnt_dscnt 0xc01
	v_mul_f64_e32 v[12:13], v[94:95], v[6:7]
	v_mul_f64_e32 v[112:113], v[92:93], v[6:7]
	s_wait_loadcnt_dscnt 0xb00
	v_mul_f64_e32 v[114:115], v[100:101], v[10:11]
	v_mul_f64_e32 v[116:117], v[102:103], v[10:11]
	s_delay_alu instid0(VALU_DEP_4) | instskip(NEXT) | instid1(VALU_DEP_4)
	v_fma_f64 v[118:119], v[92:93], v[4:5], -v[12:13]
	v_fmac_f64_e32 v[112:113], v[94:95], v[4:5]
	ds_load_b128 v[4:7], v2 offset:416
	ds_load_b128 v[10:13], v2 offset:432
	scratch_load_b128 v[92:95], off, off offset:208
	v_fmac_f64_e32 v[114:115], v[102:103], v[8:9]
	v_fma_f64 v[8:9], v[100:101], v[8:9], -v[116:117]
	scratch_load_b128 v[100:103], off, off offset:224
	s_wait_loadcnt_dscnt 0xc01
	v_mul_f64_e32 v[120:121], v[4:5], v[62:63]
	v_mul_f64_e32 v[62:63], v[6:7], v[62:63]
	v_add_f64_e32 v[116:117], 0, v[118:119]
	v_add_f64_e32 v[112:113], 0, v[112:113]
	s_wait_loadcnt_dscnt 0xb00
	v_mul_f64_e32 v[118:119], v[10:11], v[66:67]
	v_mul_f64_e32 v[66:67], v[12:13], v[66:67]
	v_fmac_f64_e32 v[120:121], v[6:7], v[60:61]
	v_fma_f64 v[122:123], v[4:5], v[60:61], -v[62:63]
	ds_load_b128 v[4:7], v2 offset:448
	ds_load_b128 v[60:63], v2 offset:464
	v_add_f64_e32 v[8:9], v[116:117], v[8:9]
	v_add_f64_e32 v[116:117], v[112:113], v[114:115]
	scratch_load_b128 v[112:115], off, off offset:240
	v_fmac_f64_e32 v[118:119], v[12:13], v[64:65]
	v_fma_f64 v[12:13], v[10:11], v[64:65], -v[66:67]
	s_wait_loadcnt_dscnt 0xb01
	v_mul_f64_e32 v[124:125], v[4:5], v[70:71]
	v_mul_f64_e32 v[64:65], v[6:7], v[70:71]
	v_add_f64_e32 v[66:67], v[8:9], v[122:123]
	v_add_f64_e32 v[70:71], v[116:117], v[120:121]
	scratch_load_b128 v[8:11], off, off offset:256
	s_wait_loadcnt_dscnt 0xb00
	v_mul_f64_e32 v[116:117], v[60:61], v[74:75]
	v_mul_f64_e32 v[74:75], v[62:63], v[74:75]
	v_fmac_f64_e32 v[124:125], v[6:7], v[68:69]
	v_fma_f64 v[120:121], v[4:5], v[68:69], -v[64:65]
	v_add_f64_e32 v[12:13], v[66:67], v[12:13]
	v_add_f64_e32 v[118:119], v[70:71], v[118:119]
	ds_load_b128 v[4:7], v2 offset:480
	ds_load_b128 v[64:67], v2 offset:496
	scratch_load_b128 v[68:71], off, off offset:272
	v_fmac_f64_e32 v[116:117], v[62:63], v[72:73]
	v_fma_f64 v[72:73], v[60:61], v[72:73], -v[74:75]
	scratch_load_b128 v[60:63], off, off offset:288
	s_wait_loadcnt_dscnt 0xc01
	v_mul_f64_e32 v[122:123], v[4:5], v[78:79]
	v_mul_f64_e32 v[74:75], v[6:7], v[78:79]
	v_add_f64_e32 v[12:13], v[12:13], v[120:121]
	v_add_f64_e32 v[78:79], v[118:119], v[124:125]
	s_wait_loadcnt_dscnt 0xb00
	v_mul_f64_e32 v[118:119], v[64:65], v[82:83]
	v_mul_f64_e32 v[82:83], v[66:67], v[82:83]
	v_fmac_f64_e32 v[122:123], v[6:7], v[76:77]
	v_fma_f64 v[120:121], v[4:5], v[76:77], -v[74:75]
	v_add_f64_e32 v[12:13], v[12:13], v[72:73]
	v_add_f64_e32 v[116:117], v[78:79], v[116:117]
	ds_load_b128 v[4:7], v2 offset:512
	ds_load_b128 v[72:75], v2 offset:528
	scratch_load_b128 v[76:79], off, off offset:304
	v_fmac_f64_e32 v[118:119], v[66:67], v[80:81]
	v_fma_f64 v[80:81], v[64:65], v[80:81], -v[82:83]
	scratch_load_b128 v[64:67], off, off offset:320
	s_wait_loadcnt_dscnt 0xc01
	v_mul_f64_e32 v[124:125], v[4:5], v[86:87]
	v_mul_f64_e32 v[82:83], v[6:7], v[86:87]
	v_add_f64_e32 v[12:13], v[12:13], v[120:121]
	v_add_f64_e32 v[86:87], v[116:117], v[122:123]
	;; [unrolled: 18-line block ×3, first 2 shown]
	s_wait_loadcnt_dscnt 0xa00
	v_mul_f64_e32 v[118:119], v[80:81], v[110:111]
	v_mul_f64_e32 v[110:111], v[82:83], v[110:111]
	v_fmac_f64_e32 v[122:123], v[6:7], v[96:97]
	v_fma_f64 v[96:97], v[4:5], v[96:97], -v[90:91]
	v_add_f64_e32 v[12:13], v[12:13], v[88:89]
	v_add_f64_e32 v[98:99], v[98:99], v[116:117]
	ds_load_b128 v[4:7], v2 offset:576
	ds_load_b128 v[88:91], v2 offset:592
	v_fmac_f64_e32 v[118:119], v[82:83], v[108:109]
	v_fma_f64 v[80:81], v[80:81], v[108:109], -v[110:111]
	s_wait_loadcnt_dscnt 0x901
	v_mul_f64_e32 v[116:117], v[4:5], v[94:95]
	v_mul_f64_e32 v[94:95], v[6:7], v[94:95]
	v_add_f64_e32 v[12:13], v[12:13], v[96:97]
	v_add_f64_e32 v[82:83], v[98:99], v[122:123]
	s_wait_loadcnt_dscnt 0x800
	v_mul_f64_e32 v[96:97], v[88:89], v[102:103]
	v_mul_f64_e32 v[98:99], v[90:91], v[102:103]
	v_fmac_f64_e32 v[116:117], v[6:7], v[92:93]
	v_fma_f64 v[92:93], v[4:5], v[92:93], -v[94:95]
	v_add_f64_e32 v[12:13], v[12:13], v[80:81]
	v_add_f64_e32 v[94:95], v[82:83], v[118:119]
	ds_load_b128 v[4:7], v2 offset:608
	ds_load_b128 v[80:83], v2 offset:624
	v_fmac_f64_e32 v[96:97], v[90:91], v[100:101]
	v_fma_f64 v[88:89], v[88:89], v[100:101], -v[98:99]
	s_wait_loadcnt_dscnt 0x701
	v_mul_f64_e32 v[102:103], v[4:5], v[114:115]
	v_mul_f64_e32 v[108:109], v[6:7], v[114:115]
	v_add_f64_e32 v[12:13], v[12:13], v[92:93]
	v_add_f64_e32 v[90:91], v[94:95], v[116:117]
	s_wait_loadcnt_dscnt 0x600
	v_mul_f64_e32 v[92:93], v[80:81], v[10:11]
	v_mul_f64_e32 v[94:95], v[82:83], v[10:11]
	v_fmac_f64_e32 v[102:103], v[6:7], v[112:113]
	v_fma_f64 v[98:99], v[4:5], v[112:113], -v[108:109]
	v_add_f64_e32 v[88:89], v[12:13], v[88:89]
	v_add_f64_e32 v[90:91], v[90:91], v[96:97]
	ds_load_b128 v[4:7], v2 offset:640
	ds_load_b128 v[10:13], v2 offset:656
	v_fmac_f64_e32 v[92:93], v[82:83], v[8:9]
	v_fma_f64 v[8:9], v[80:81], v[8:9], -v[94:95]
	s_wait_loadcnt_dscnt 0x501
	v_mul_f64_e32 v[96:97], v[4:5], v[70:71]
	v_mul_f64_e32 v[70:71], v[6:7], v[70:71]
	v_add_f64_e32 v[80:81], v[88:89], v[98:99]
	v_add_f64_e32 v[82:83], v[90:91], v[102:103]
	s_wait_loadcnt_dscnt 0x400
	v_mul_f64_e32 v[88:89], v[10:11], v[62:63]
	v_mul_f64_e32 v[62:63], v[12:13], v[62:63]
	v_fmac_f64_e32 v[96:97], v[6:7], v[68:69]
	v_fma_f64 v[90:91], v[4:5], v[68:69], -v[70:71]
	ds_load_b128 v[4:7], v2 offset:672
	ds_load_b128 v[68:71], v2 offset:688
	v_add_f64_e32 v[8:9], v[80:81], v[8:9]
	v_add_f64_e32 v[80:81], v[82:83], v[92:93]
	v_fmac_f64_e32 v[88:89], v[12:13], v[60:61]
	v_fma_f64 v[10:11], v[10:11], v[60:61], -v[62:63]
	s_wait_loadcnt_dscnt 0x301
	v_mul_f64_e32 v[82:83], v[4:5], v[78:79]
	v_mul_f64_e32 v[78:79], v[6:7], v[78:79]
	s_wait_loadcnt_dscnt 0x200
	v_mul_f64_e32 v[60:61], v[68:69], v[66:67]
	v_mul_f64_e32 v[62:63], v[70:71], v[66:67]
	v_add_f64_e32 v[8:9], v[8:9], v[90:91]
	v_add_f64_e32 v[12:13], v[80:81], v[96:97]
	v_fmac_f64_e32 v[82:83], v[6:7], v[76:77]
	v_fma_f64 v[66:67], v[4:5], v[76:77], -v[78:79]
	v_fmac_f64_e32 v[60:61], v[70:71], v[64:65]
	v_fma_f64 v[62:63], v[68:69], v[64:65], -v[62:63]
	v_add_f64_e32 v[76:77], v[8:9], v[10:11]
	v_add_f64_e32 v[12:13], v[12:13], v[88:89]
	ds_load_b128 v[4:7], v2 offset:704
	ds_load_b128 v[8:11], v2 offset:720
	s_wait_loadcnt_dscnt 0x101
	v_mul_f64_e32 v[2:3], v[4:5], v[86:87]
	v_mul_f64_e32 v[78:79], v[6:7], v[86:87]
	s_wait_loadcnt_dscnt 0x0
	v_mul_f64_e32 v[68:69], v[10:11], v[74:75]
	v_add_f64_e32 v[64:65], v[76:77], v[66:67]
	v_add_f64_e32 v[12:13], v[12:13], v[82:83]
	v_mul_f64_e32 v[66:67], v[8:9], v[74:75]
	v_fmac_f64_e32 v[2:3], v[6:7], v[84:85]
	v_fma_f64 v[4:5], v[4:5], v[84:85], -v[78:79]
	v_fma_f64 v[8:9], v[8:9], v[72:73], -v[68:69]
	v_add_f64_e32 v[6:7], v[64:65], v[62:63]
	v_add_f64_e32 v[12:13], v[12:13], v[60:61]
	v_fmac_f64_e32 v[66:67], v[10:11], v[72:73]
	v_lshl_add_u64 v[60:61], v[18:19], 4, s[4:5]
	v_lshl_add_u64 v[10:11], v[28:29], 4, s[4:5]
	;; [unrolled: 1-line block ×6, first 2 shown]
	v_add_f64_e32 v[4:5], v[6:7], v[4:5]
	v_add_f64_e32 v[2:3], v[12:13], v[2:3]
	v_lshl_add_u64 v[6:7], v[24:25], 4, s[4:5]
	v_lshl_add_u64 v[12:13], v[30:31], 4, s[4:5]
	;; [unrolled: 1-line block ×6, first 2 shown]
	v_add_f64_e32 v[4:5], v[4:5], v[8:9]
	v_add_f64_e32 v[2:3], v[2:3], v[66:67]
	v_lshl_add_u64 v[8:9], v[26:27], 4, s[4:5]
	v_lshl_add_u64 v[26:27], v[40:41], 4, s[4:5]
	;; [unrolled: 1-line block ×3, first 2 shown]
	v_add_f64_e64 v[62:63], v[104:105], -v[4:5]
	v_add_f64_e64 v[64:65], v[106:107], -v[2:3]
	v_lshl_add_u64 v[2:3], v[20:21], 4, s[4:5]
	v_lshl_add_u64 v[4:5], v[22:23], 4, s[4:5]
	;; [unrolled: 1-line block ×6, first 2 shown]
	scratch_store_b128 off, v[62:65], off
	s_cbranch_vccz .LBB22_196
; %bb.152:
	v_mov_b32_e32 v46, 0
	s_load_b64 s[2:3], s[0:1], 0x4
	v_bfe_u32 v48, v0, 10, 10
	v_bfe_u32 v0, v0, 20, 10
	global_load_b32 v47, v46, s[16:17] offset:84
	s_wait_kmcnt 0x0
	s_lshr_b32 s0, s2, 16
	v_mul_u32_u24_e32 v48, s3, v48
	s_mul_i32 s0, s0, s3
	s_delay_alu instid0(SALU_CYCLE_1) | instskip(NEXT) | instid1(VALU_DEP_1)
	v_mul_u32_u24_e32 v1, s0, v1
	v_add3_u32 v0, v1, v48, v0
	s_delay_alu instid0(VALU_DEP_1)
	v_lshl_add_u32 v0, v0, 4, 0x2e8
	s_wait_loadcnt 0x0
	v_cmp_ne_u32_e32 vcc_lo, 22, v47
	s_cbranch_vccz .LBB22_154
; %bb.153:
	v_lshlrev_b32_e32 v1, 4, v47
	s_clause 0x1
	scratch_load_b128 v[48:51], off, s15
	scratch_load_b128 v[52:55], v1, off offset:-16
	s_wait_loadcnt 0x1
	ds_store_2addr_b64 v0, v[48:49], v[50:51] offset1:1
	s_wait_loadcnt 0x0
	s_clause 0x1
	scratch_store_b128 off, v[52:55], s15
	scratch_store_b128 v1, v[48:51], off offset:-16
.LBB22_154:
	global_load_b32 v1, v46, s[16:17] offset:80
	s_wait_loadcnt 0x0
	v_cmp_eq_u32_e32 vcc_lo, 21, v1
	s_cbranch_vccnz .LBB22_156
; %bb.155:
	v_lshlrev_b32_e32 v1, 4, v1
	s_clause 0x1
	scratch_load_b128 v[46:49], off, s28
	scratch_load_b128 v[50:53], v1, off offset:-16
	s_wait_loadcnt 0x1
	ds_store_2addr_b64 v0, v[46:47], v[48:49] offset1:1
	s_wait_loadcnt 0x0
	s_clause 0x1
	scratch_store_b128 off, v[50:53], s28
	scratch_store_b128 v1, v[46:49], off offset:-16
.LBB22_156:
	s_wait_xcnt 0x0
	v_mov_b32_e32 v1, 0
	global_load_b32 v46, v1, s[16:17] offset:76
	s_wait_loadcnt 0x0
	v_cmp_eq_u32_e32 vcc_lo, 20, v46
	s_cbranch_vccnz .LBB22_158
; %bb.157:
	v_lshlrev_b32_e32 v46, 4, v46
	s_delay_alu instid0(VALU_DEP_1)
	v_mov_b32_e32 v54, v46
	s_clause 0x1
	scratch_load_b128 v[46:49], off, s23
	scratch_load_b128 v[50:53], v54, off offset:-16
	s_wait_loadcnt 0x1
	ds_store_2addr_b64 v0, v[46:47], v[48:49] offset1:1
	s_wait_loadcnt 0x0
	s_clause 0x1
	scratch_store_b128 off, v[50:53], s23
	scratch_store_b128 v54, v[46:49], off offset:-16
.LBB22_158:
	global_load_b32 v1, v1, s[16:17] offset:72
	s_wait_loadcnt 0x0
	v_cmp_eq_u32_e32 vcc_lo, 19, v1
	s_cbranch_vccnz .LBB22_160
; %bb.159:
	s_wait_xcnt 0x0
	v_lshlrev_b32_e32 v1, 4, v1
	s_clause 0x1
	scratch_load_b128 v[46:49], off, s31
	scratch_load_b128 v[50:53], v1, off offset:-16
	s_wait_loadcnt 0x1
	ds_store_2addr_b64 v0, v[46:47], v[48:49] offset1:1
	s_wait_loadcnt 0x0
	s_clause 0x1
	scratch_store_b128 off, v[50:53], s31
	scratch_store_b128 v1, v[46:49], off offset:-16
.LBB22_160:
	s_wait_xcnt 0x0
	v_mov_b32_e32 v1, 0
	global_load_b32 v46, v1, s[16:17] offset:68
	s_wait_loadcnt 0x0
	v_cmp_eq_u32_e32 vcc_lo, 18, v46
	s_cbranch_vccnz .LBB22_162
; %bb.161:
	v_lshlrev_b32_e32 v46, 4, v46
	s_delay_alu instid0(VALU_DEP_1)
	v_mov_b32_e32 v54, v46
	s_clause 0x1
	scratch_load_b128 v[46:49], off, s30
	scratch_load_b128 v[50:53], v54, off offset:-16
	s_wait_loadcnt 0x1
	ds_store_2addr_b64 v0, v[46:47], v[48:49] offset1:1
	s_wait_loadcnt 0x0
	s_clause 0x1
	scratch_store_b128 off, v[50:53], s30
	scratch_store_b128 v54, v[46:49], off offset:-16
.LBB22_162:
	global_load_b32 v1, v1, s[16:17] offset:64
	s_wait_loadcnt 0x0
	v_cmp_eq_u32_e32 vcc_lo, 17, v1
	s_cbranch_vccnz .LBB22_164
; %bb.163:
	s_wait_xcnt 0x0
	v_lshlrev_b32_e32 v1, 4, v1
	s_clause 0x1
	scratch_load_b128 v[46:49], off, s27
	scratch_load_b128 v[50:53], v1, off offset:-16
	s_wait_loadcnt 0x1
	ds_store_2addr_b64 v0, v[46:47], v[48:49] offset1:1
	s_wait_loadcnt 0x0
	s_clause 0x1
	scratch_store_b128 off, v[50:53], s27
	scratch_store_b128 v1, v[46:49], off offset:-16
.LBB22_164:
	;; [unrolled: 37-line block ×9, first 2 shown]
	s_wait_xcnt 0x0
	v_mov_b32_e32 v1, 0
	global_load_b32 v46, v1, s[16:17] offset:4
	s_wait_loadcnt 0x0
	v_cmp_eq_u32_e32 vcc_lo, 2, v46
	s_cbranch_vccnz .LBB22_194
; %bb.193:
	v_lshlrev_b32_e32 v46, 4, v46
	s_delay_alu instid0(VALU_DEP_1)
	v_mov_b32_e32 v54, v46
	s_clause 0x1
	scratch_load_b128 v[46:49], off, s11
	scratch_load_b128 v[50:53], v54, off offset:-16
	s_wait_loadcnt 0x1
	ds_store_2addr_b64 v0, v[46:47], v[48:49] offset1:1
	s_wait_loadcnt 0x0
	s_clause 0x1
	scratch_store_b128 off, v[50:53], s11
	scratch_store_b128 v54, v[46:49], off offset:-16
.LBB22_194:
	global_load_b32 v1, v1, s[16:17]
	s_wait_loadcnt 0x0
	v_cmp_eq_u32_e32 vcc_lo, 1, v1
	s_cbranch_vccnz .LBB22_196
; %bb.195:
	s_wait_xcnt 0x0
	v_lshlrev_b32_e32 v1, 4, v1
	scratch_load_b128 v[46:49], off, off
	scratch_load_b128 v[50:53], v1, off offset:-16
	s_wait_loadcnt 0x1
	ds_store_2addr_b64 v0, v[46:47], v[48:49] offset1:1
	s_wait_loadcnt 0x0
	scratch_store_b128 off, v[50:53], off
	scratch_store_b128 v1, v[46:49], off offset:-16
.LBB22_196:
	scratch_load_b128 v[46:49], off, off
	s_clause 0x11
	scratch_load_b128 v[50:53], off, s11
	scratch_load_b128 v[54:57], off, s8
	scratch_load_b128 v[62:65], off, s9
	scratch_load_b128 v[66:69], off, s10
	scratch_load_b128 v[70:73], off, s14
	scratch_load_b128 v[74:77], off, s21
	scratch_load_b128 v[78:81], off, s24
	scratch_load_b128 v[82:85], off, s12
	scratch_load_b128 v[86:89], off, s13
	scratch_load_b128 v[90:93], off, s20
	scratch_load_b128 v[94:97], off, s22
	scratch_load_b128 v[98:101], off, s26
	scratch_load_b128 v[102:105], off, s29
	scratch_load_b128 v[106:109], off, s33
	scratch_load_b128 v[110:113], off, s34
	; meta instruction
	; meta instruction
	;; [unrolled: 1-line block ×15, first 2 shown]
	scratch_load_b128 v[114:117], off, s27
	scratch_load_b128 v[118:121], off, s30
	;; [unrolled: 1-line block ×3, first 2 shown]
	s_wait_loadcnt 0x12
	global_store_b128 v[14:15], v[46:49], off
	s_clause 0x1
	scratch_load_b128 v[46:49], off, s23
	scratch_load_b128 v[126:129], off, s28
	s_wait_loadcnt 0x13
	global_store_b128 v[16:17], v[50:53], off
	s_wait_loadcnt 0x12
	global_store_b128 v[60:61], v[54:57], off
	s_clause 0x1
	scratch_load_b128 v[14:17], off, s15
	scratch_load_b128 v[50:53], off, s25
	s_wait_loadcnt 0x13
	global_store_b128 v[2:3], v[62:65], off
	s_wait_loadcnt 0x12
	global_store_b128 v[4:5], v[66:69], off
	;; [unrolled: 2-line block ×20, first 2 shown]
	s_sendmsg sendmsg(MSG_DEALLOC_VGPRS)
	s_endpgm
	.section	.rodata,"a",@progbits
	.p2align	6, 0x0
	.amdhsa_kernel _ZN9rocsolver6v33100L18getri_kernel_smallILi23E19rocblas_complex_numIdEPS3_EEvT1_iilPiilS6_bb
		.amdhsa_group_segment_fixed_size 1768
		.amdhsa_private_segment_fixed_size 384
		.amdhsa_kernarg_size 60
		.amdhsa_user_sgpr_count 4
		.amdhsa_user_sgpr_dispatch_ptr 1
		.amdhsa_user_sgpr_queue_ptr 0
		.amdhsa_user_sgpr_kernarg_segment_ptr 1
		.amdhsa_user_sgpr_dispatch_id 0
		.amdhsa_user_sgpr_kernarg_preload_length 0
		.amdhsa_user_sgpr_kernarg_preload_offset 0
		.amdhsa_user_sgpr_private_segment_size 0
		.amdhsa_wavefront_size32 1
		.amdhsa_uses_dynamic_stack 0
		.amdhsa_enable_private_segment 1
		.amdhsa_system_sgpr_workgroup_id_x 1
		.amdhsa_system_sgpr_workgroup_id_y 0
		.amdhsa_system_sgpr_workgroup_id_z 0
		.amdhsa_system_sgpr_workgroup_info 0
		.amdhsa_system_vgpr_workitem_id 2
		.amdhsa_next_free_vgpr 130
		.amdhsa_next_free_sgpr 39
		.amdhsa_named_barrier_count 0
		.amdhsa_reserve_vcc 1
		.amdhsa_float_round_mode_32 0
		.amdhsa_float_round_mode_16_64 0
		.amdhsa_float_denorm_mode_32 3
		.amdhsa_float_denorm_mode_16_64 3
		.amdhsa_fp16_overflow 0
		.amdhsa_memory_ordered 1
		.amdhsa_forward_progress 1
		.amdhsa_inst_pref_size 217
		.amdhsa_round_robin_scheduling 0
		.amdhsa_exception_fp_ieee_invalid_op 0
		.amdhsa_exception_fp_denorm_src 0
		.amdhsa_exception_fp_ieee_div_zero 0
		.amdhsa_exception_fp_ieee_overflow 0
		.amdhsa_exception_fp_ieee_underflow 0
		.amdhsa_exception_fp_ieee_inexact 0
		.amdhsa_exception_int_div_zero 0
	.end_amdhsa_kernel
	.section	.text._ZN9rocsolver6v33100L18getri_kernel_smallILi23E19rocblas_complex_numIdEPS3_EEvT1_iilPiilS6_bb,"axG",@progbits,_ZN9rocsolver6v33100L18getri_kernel_smallILi23E19rocblas_complex_numIdEPS3_EEvT1_iilPiilS6_bb,comdat
.Lfunc_end22:
	.size	_ZN9rocsolver6v33100L18getri_kernel_smallILi23E19rocblas_complex_numIdEPS3_EEvT1_iilPiilS6_bb, .Lfunc_end22-_ZN9rocsolver6v33100L18getri_kernel_smallILi23E19rocblas_complex_numIdEPS3_EEvT1_iilPiilS6_bb
                                        ; -- End function
	.set _ZN9rocsolver6v33100L18getri_kernel_smallILi23E19rocblas_complex_numIdEPS3_EEvT1_iilPiilS6_bb.num_vgpr, 130
	.set _ZN9rocsolver6v33100L18getri_kernel_smallILi23E19rocblas_complex_numIdEPS3_EEvT1_iilPiilS6_bb.num_agpr, 0
	.set _ZN9rocsolver6v33100L18getri_kernel_smallILi23E19rocblas_complex_numIdEPS3_EEvT1_iilPiilS6_bb.numbered_sgpr, 39
	.set _ZN9rocsolver6v33100L18getri_kernel_smallILi23E19rocblas_complex_numIdEPS3_EEvT1_iilPiilS6_bb.num_named_barrier, 0
	.set _ZN9rocsolver6v33100L18getri_kernel_smallILi23E19rocblas_complex_numIdEPS3_EEvT1_iilPiilS6_bb.private_seg_size, 384
	.set _ZN9rocsolver6v33100L18getri_kernel_smallILi23E19rocblas_complex_numIdEPS3_EEvT1_iilPiilS6_bb.uses_vcc, 1
	.set _ZN9rocsolver6v33100L18getri_kernel_smallILi23E19rocblas_complex_numIdEPS3_EEvT1_iilPiilS6_bb.uses_flat_scratch, 1
	.set _ZN9rocsolver6v33100L18getri_kernel_smallILi23E19rocblas_complex_numIdEPS3_EEvT1_iilPiilS6_bb.has_dyn_sized_stack, 0
	.set _ZN9rocsolver6v33100L18getri_kernel_smallILi23E19rocblas_complex_numIdEPS3_EEvT1_iilPiilS6_bb.has_recursion, 0
	.set _ZN9rocsolver6v33100L18getri_kernel_smallILi23E19rocblas_complex_numIdEPS3_EEvT1_iilPiilS6_bb.has_indirect_call, 0
	.section	.AMDGPU.csdata,"",@progbits
; Kernel info:
; codeLenInByte = 27768
; TotalNumSgprs: 41
; NumVgprs: 130
; ScratchSize: 384
; MemoryBound: 0
; FloatMode: 240
; IeeeMode: 1
; LDSByteSize: 1768 bytes/workgroup (compile time only)
; SGPRBlocks: 0
; VGPRBlocks: 8
; NumSGPRsForWavesPerEU: 41
; NumVGPRsForWavesPerEU: 130
; NamedBarCnt: 0
; Occupancy: 7
; WaveLimiterHint : 1
; COMPUTE_PGM_RSRC2:SCRATCH_EN: 1
; COMPUTE_PGM_RSRC2:USER_SGPR: 4
; COMPUTE_PGM_RSRC2:TRAP_HANDLER: 0
; COMPUTE_PGM_RSRC2:TGID_X_EN: 1
; COMPUTE_PGM_RSRC2:TGID_Y_EN: 0
; COMPUTE_PGM_RSRC2:TGID_Z_EN: 0
; COMPUTE_PGM_RSRC2:TIDIG_COMP_CNT: 2
	.section	.text._ZN9rocsolver6v33100L18getri_kernel_smallILi24E19rocblas_complex_numIdEPS3_EEvT1_iilPiilS6_bb,"axG",@progbits,_ZN9rocsolver6v33100L18getri_kernel_smallILi24E19rocblas_complex_numIdEPS3_EEvT1_iilPiilS6_bb,comdat
	.globl	_ZN9rocsolver6v33100L18getri_kernel_smallILi24E19rocblas_complex_numIdEPS3_EEvT1_iilPiilS6_bb ; -- Begin function _ZN9rocsolver6v33100L18getri_kernel_smallILi24E19rocblas_complex_numIdEPS3_EEvT1_iilPiilS6_bb
	.p2align	8
	.type	_ZN9rocsolver6v33100L18getri_kernel_smallILi24E19rocblas_complex_numIdEPS3_EEvT1_iilPiilS6_bb,@function
_ZN9rocsolver6v33100L18getri_kernel_smallILi24E19rocblas_complex_numIdEPS3_EEvT1_iilPiilS6_bb: ; @_ZN9rocsolver6v33100L18getri_kernel_smallILi24E19rocblas_complex_numIdEPS3_EEvT1_iilPiilS6_bb
; %bb.0:
	v_and_b32_e32 v1, 0x3ff, v0
	s_mov_b32 s4, exec_lo
	s_delay_alu instid0(VALU_DEP_1)
	v_cmpx_gt_u32_e32 24, v1
	s_cbranch_execz .LBB23_110
; %bb.1:
	s_clause 0x2
	s_load_b32 s8, s[2:3], 0x38
	s_load_b128 s[12:15], s[2:3], 0x10
	s_load_b128 s[4:7], s[2:3], 0x28
	s_getreg_b32 s11, hwreg(HW_REG_IB_STS2, 6, 4)
                                        ; implicit-def: $sgpr16_sgpr17
	s_wait_kmcnt 0x0
	s_bitcmp1_b32 s8, 8
	s_cselect_b32 s36, -1, 0
	s_bfe_u32 s9, ttmp6, 0x4000c
	s_and_b32 s10, ttmp6, 15
	s_add_co_i32 s9, s9, 1
	s_delay_alu instid0(SALU_CYCLE_1) | instskip(NEXT) | instid1(SALU_CYCLE_1)
	s_mul_i32 s9, ttmp9, s9
	s_add_co_i32 s10, s10, s9
	s_cmp_eq_u32 s11, 0
	s_cselect_b32 s18, ttmp9, s10
	s_bfe_u32 s8, s8, 0x10008
	s_ashr_i32 s19, s18, 31
	s_cmp_eq_u32 s8, 0
	s_cbranch_scc1 .LBB23_3
; %bb.2:
	s_load_b32 s8, s[2:3], 0x20
	s_mul_u64 s[4:5], s[4:5], s[18:19]
	s_delay_alu instid0(SALU_CYCLE_1) | instskip(NEXT) | instid1(SALU_CYCLE_1)
	s_lshl_b64 s[4:5], s[4:5], 2
	s_add_nc_u64 s[4:5], s[14:15], s[4:5]
	s_wait_kmcnt 0x0
	s_ashr_i32 s9, s8, 31
	s_delay_alu instid0(SALU_CYCLE_1) | instskip(NEXT) | instid1(SALU_CYCLE_1)
	s_lshl_b64 s[8:9], s[8:9], 2
	s_add_nc_u64 s[16:17], s[4:5], s[8:9]
.LBB23_3:
	s_load_b128 s[8:11], s[2:3], 0x0
	s_mul_u64 s[4:5], s[12:13], s[18:19]
	v_dual_mov_b32 v63, 0 :: v_dual_lshlrev_b32 v62, 4, v1
	s_lshl_b64 s[4:5], s[4:5], 4
	s_wait_xcnt 0x0
	s_load_b32 s2, s[2:3], 0x38
	s_movk_i32 s37, 0xf0
	s_movk_i32 s38, 0x100
	;; [unrolled: 1-line block ×6, first 2 shown]
	s_mov_b32 s22, 16
	s_mov_b32 s14, 48
	;; [unrolled: 1-line block ×3, first 2 shown]
	s_movk_i32 s26, 0x50
	s_movk_i32 s28, 0x60
	;; [unrolled: 1-line block ×5, first 2 shown]
	s_wait_kmcnt 0x0
	v_add3_u32 v18, s11, s11, v1
	s_ashr_i32 s13, s10, 31
	s_mov_b32 s12, s10
	s_add_nc_u64 s[4:5], s[8:9], s[4:5]
	s_lshl_b64 s[8:9], s[12:13], 4
	v_add_nc_u32_e32 v20, s11, v18
	s_add_nc_u64 s[4:5], s[4:5], s[8:9]
	s_ashr_i32 s9, s11, 31
	v_add_nc_u64_e32 v[14:15], s[4:5], v[62:63]
	s_mov_b32 s8, s11
	v_add_nc_u32_e32 v22, s11, v20
	global_load_b128 v[2:5], v1, s[4:5] scale_offset
	s_mov_b32 s12, 32
	s_movk_i32 s27, 0xa0
	s_movk_i32 s30, 0xb0
	v_add_nc_u32_e32 v24, s11, v22
	v_lshl_add_u64 v[16:17], s[8:9], 4, v[14:15]
	s_movk_i32 s33, 0xc0
	s_movk_i32 s34, 0xd0
	;; [unrolled: 1-line block ×3, first 2 shown]
	v_add_nc_u32_e32 v26, s11, v24
	s_clause 0x2
	global_load_b128 v[6:9], v18, s[4:5] scale_offset
	global_load_b128 v[10:13], v20, s[4:5] scale_offset
	global_load_b128 v[58:61], v[16:17], off
	s_mov_b32 s29, s37
	s_mov_b32 s9, s39
	v_add_nc_u32_e32 v28, s11, v26
	s_mov_b32 s10, s40
	s_mov_b32 s8, s41
	s_movk_i32 s13, 0x150
	s_mov_b32 s21, s42
	v_add_nc_u32_e32 v30, s11, v28
	s_clause 0x1
	global_load_b128 v[64:67], v22, s[4:5] scale_offset
	global_load_b128 v[68:71], v24, s[4:5] scale_offset
	s_movk_i32 s20, 0x160
	s_movk_i32 s24, 0x170
	s_mov_b32 s3, -1
	v_add_nc_u32_e32 v32, s11, v30
	s_bitcmp0_b32 s2, 0
	s_delay_alu instid0(VALU_DEP_1) | instskip(NEXT) | instid1(VALU_DEP_1)
	v_add_nc_u32_e32 v34, s11, v32
	v_add_nc_u32_e32 v36, s11, v34
	s_delay_alu instid0(VALU_DEP_1)
	v_add_nc_u32_e32 v38, s11, v36
	s_clause 0x3
	global_load_b128 v[72:75], v26, s[4:5] scale_offset
	global_load_b128 v[76:79], v28, s[4:5] scale_offset
	global_load_b128 v[80:83], v30, s[4:5] scale_offset
	global_load_b128 v[84:87], v32, s[4:5] scale_offset
	v_add_nc_u32_e32 v40, s11, v38
	s_delay_alu instid0(VALU_DEP_1)
	v_add_nc_u32_e32 v42, s11, v40
	s_clause 0x3
	global_load_b128 v[88:91], v34, s[4:5] scale_offset
	global_load_b128 v[92:95], v36, s[4:5] scale_offset
	;; [unrolled: 1-line block ×4, first 2 shown]
	v_add_nc_u32_e32 v44, s11, v42
	s_delay_alu instid0(VALU_DEP_1) | instskip(NEXT) | instid1(VALU_DEP_1)
	v_add_nc_u32_e32 v46, s11, v44
	v_add_nc_u32_e32 v48, s11, v46
	s_delay_alu instid0(VALU_DEP_1) | instskip(NEXT) | instid1(VALU_DEP_1)
	v_add_nc_u32_e32 v50, s11, v48
	v_add_nc_u32_e32 v52, s11, v50
	s_delay_alu instid0(VALU_DEP_1)
	v_add_nc_u32_e32 v54, s11, v52
	s_clause 0x3
	global_load_b128 v[104:107], v42, s[4:5] scale_offset
	global_load_b128 v[108:111], v44, s[4:5] scale_offset
	;; [unrolled: 1-line block ×4, first 2 shown]
	v_add_nc_u32_e32 v56, s11, v54
	s_wait_loadcnt 0x11
	scratch_store_b128 off, v[2:5], off
	s_clause 0x1
	global_load_b128 v[2:5], v50, s[4:5] scale_offset
	global_load_b128 v[120:123], v52, s[4:5] scale_offset
	s_wait_loadcnt 0x12
	scratch_store_b128 off, v[6:9], off offset:32
	s_wait_loadcnt 0x11
	scratch_store_b128 off, v[10:13], off offset:48
	s_clause 0x1
	global_load_b128 v[6:9], v54, s[4:5] scale_offset
	global_load_b128 v[10:13], v56, s[4:5] scale_offset
	s_wait_loadcnt 0x12
	scratch_store_b128 off, v[58:61], off offset:16
	s_wait_xcnt 0x0
	v_add_nc_u32_e32 v58, s11, v56
	s_wait_loadcnt 0x11
	scratch_store_b128 off, v[64:67], off offset:64
	s_wait_loadcnt 0x10
	scratch_store_b128 off, v[68:71], off offset:80
	v_add_nc_u32_e32 v60, s11, v58
	s_clause 0x1
	global_load_b128 v[64:67], v58, s[4:5] scale_offset
	global_load_b128 v[68:71], v60, s[4:5] scale_offset
	s_mov_b32 s11, s38
	s_wait_loadcnt 0x11
	scratch_store_b128 off, v[72:75], off offset:96
	s_wait_loadcnt 0x10
	scratch_store_b128 off, v[76:79], off offset:112
	;; [unrolled: 2-line block ×18, first 2 shown]
	s_cbranch_scc1 .LBB23_108
; %bb.4:
	v_cmp_eq_u32_e64 s2, 0, v1
	s_wait_xcnt 0x0
	s_and_saveexec_b32 s3, s2
; %bb.5:
	v_mov_b32_e32 v2, 0
	ds_store_b32 v2, v2 offset:768
; %bb.6:
	s_or_b32 exec_lo, exec_lo, s3
	s_wait_storecnt_dscnt 0x0
	s_barrier_signal -1
	s_barrier_wait -1
	scratch_load_b128 v[2:5], v1, off scale_offset
	s_wait_loadcnt 0x0
	v_cmp_eq_f64_e32 vcc_lo, 0, v[2:3]
	v_cmp_eq_f64_e64 s3, 0, v[4:5]
	s_and_b32 s3, vcc_lo, s3
	s_delay_alu instid0(SALU_CYCLE_1)
	s_and_saveexec_b32 s37, s3
	s_cbranch_execz .LBB23_10
; %bb.7:
	v_mov_b32_e32 v2, 0
	s_mov_b32 s38, 0
	ds_load_b32 v3, v2 offset:768
	s_wait_dscnt 0x0
	v_readfirstlane_b32 s3, v3
	v_add_nc_u32_e32 v3, 1, v1
	s_cmp_eq_u32 s3, 0
	s_delay_alu instid0(VALU_DEP_1) | instskip(SKIP_1) | instid1(SALU_CYCLE_1)
	v_cmp_gt_i32_e32 vcc_lo, s3, v3
	s_cselect_b32 s39, -1, 0
	s_or_b32 s39, s39, vcc_lo
	s_delay_alu instid0(SALU_CYCLE_1)
	s_and_b32 exec_lo, exec_lo, s39
	s_cbranch_execz .LBB23_10
; %bb.8:
	v_mov_b32_e32 v4, s3
.LBB23_9:                               ; =>This Inner Loop Header: Depth=1
	ds_cmpstore_rtn_b32 v4, v2, v3, v4 offset:768
	s_wait_dscnt 0x0
	v_cmp_ne_u32_e32 vcc_lo, 0, v4
	v_cmp_le_i32_e64 s3, v4, v3
	s_and_b32 s3, vcc_lo, s3
	s_delay_alu instid0(SALU_CYCLE_1) | instskip(NEXT) | instid1(SALU_CYCLE_1)
	s_and_b32 s3, exec_lo, s3
	s_or_b32 s38, s3, s38
	s_delay_alu instid0(SALU_CYCLE_1)
	s_and_not1_b32 exec_lo, exec_lo, s38
	s_cbranch_execnz .LBB23_9
.LBB23_10:
	s_or_b32 exec_lo, exec_lo, s37
	v_mov_b32_e32 v2, 0
	s_barrier_signal -1
	s_barrier_wait -1
	ds_load_b32 v3, v2 offset:768
	s_and_saveexec_b32 s3, s2
	s_cbranch_execz .LBB23_12
; %bb.11:
	s_lshl_b64 s[38:39], s[18:19], 2
	s_delay_alu instid0(SALU_CYCLE_1)
	s_add_nc_u64 s[38:39], s[6:7], s[38:39]
	s_wait_dscnt 0x0
	global_store_b32 v2, v3, s[38:39]
.LBB23_12:
	s_wait_xcnt 0x0
	s_or_b32 exec_lo, exec_lo, s3
	s_wait_dscnt 0x0
	v_cmp_ne_u32_e32 vcc_lo, 0, v3
	s_mov_b32 s3, 0
	s_cbranch_vccnz .LBB23_108
; %bb.13:
	v_lshl_add_u32 v19, v1, 4, 0
                                        ; implicit-def: $vgpr6_vgpr7
                                        ; implicit-def: $vgpr10_vgpr11
	scratch_load_b128 v[2:5], v19, off
	s_wait_loadcnt 0x0
	v_cmp_ngt_f64_e64 s3, |v[2:3]|, |v[4:5]|
	s_wait_xcnt 0x0
	s_and_saveexec_b32 s37, s3
	s_delay_alu instid0(SALU_CYCLE_1)
	s_xor_b32 s3, exec_lo, s37
	s_cbranch_execz .LBB23_15
; %bb.14:
	v_div_scale_f64 v[6:7], null, v[4:5], v[4:5], v[2:3]
	v_div_scale_f64 v[12:13], vcc_lo, v[2:3], v[4:5], v[2:3]
	s_delay_alu instid0(VALU_DEP_2) | instskip(SKIP_1) | instid1(TRANS32_DEP_1)
	v_rcp_f64_e32 v[8:9], v[6:7]
	v_nop
	v_fma_f64 v[10:11], -v[6:7], v[8:9], 1.0
	s_delay_alu instid0(VALU_DEP_1) | instskip(NEXT) | instid1(VALU_DEP_1)
	v_fmac_f64_e32 v[8:9], v[8:9], v[10:11]
	v_fma_f64 v[10:11], -v[6:7], v[8:9], 1.0
	s_delay_alu instid0(VALU_DEP_1) | instskip(NEXT) | instid1(VALU_DEP_1)
	v_fmac_f64_e32 v[8:9], v[8:9], v[10:11]
	v_mul_f64_e32 v[10:11], v[12:13], v[8:9]
	s_delay_alu instid0(VALU_DEP_1) | instskip(NEXT) | instid1(VALU_DEP_1)
	v_fma_f64 v[6:7], -v[6:7], v[10:11], v[12:13]
	v_div_fmas_f64 v[6:7], v[6:7], v[8:9], v[10:11]
	s_delay_alu instid0(VALU_DEP_1) | instskip(NEXT) | instid1(VALU_DEP_1)
	v_div_fixup_f64 v[6:7], v[6:7], v[4:5], v[2:3]
	v_fmac_f64_e32 v[4:5], v[2:3], v[6:7]
	s_delay_alu instid0(VALU_DEP_1) | instskip(SKIP_1) | instid1(VALU_DEP_2)
	v_div_scale_f64 v[2:3], null, v[4:5], v[4:5], 1.0
	v_div_scale_f64 v[12:13], vcc_lo, 1.0, v[4:5], 1.0
	v_rcp_f64_e32 v[8:9], v[2:3]
	v_nop
	s_delay_alu instid0(TRANS32_DEP_1) | instskip(NEXT) | instid1(VALU_DEP_1)
	v_fma_f64 v[10:11], -v[2:3], v[8:9], 1.0
	v_fmac_f64_e32 v[8:9], v[8:9], v[10:11]
	s_delay_alu instid0(VALU_DEP_1) | instskip(NEXT) | instid1(VALU_DEP_1)
	v_fma_f64 v[10:11], -v[2:3], v[8:9], 1.0
	v_fmac_f64_e32 v[8:9], v[8:9], v[10:11]
	s_delay_alu instid0(VALU_DEP_1) | instskip(NEXT) | instid1(VALU_DEP_1)
	v_mul_f64_e32 v[10:11], v[12:13], v[8:9]
	v_fma_f64 v[2:3], -v[2:3], v[10:11], v[12:13]
	s_delay_alu instid0(VALU_DEP_1) | instskip(NEXT) | instid1(VALU_DEP_1)
	v_div_fmas_f64 v[2:3], v[2:3], v[8:9], v[10:11]
	v_div_fixup_f64 v[8:9], v[2:3], v[4:5], 1.0
                                        ; implicit-def: $vgpr2_vgpr3
	s_delay_alu instid0(VALU_DEP_1) | instskip(SKIP_1) | instid1(VALU_DEP_2)
	v_mul_f64_e32 v[6:7], v[6:7], v[8:9]
	v_xor_b32_e32 v9, 0x80000000, v9
	v_xor_b32_e32 v11, 0x80000000, v7
	s_delay_alu instid0(VALU_DEP_3)
	v_mov_b32_e32 v10, v6
.LBB23_15:
	s_and_not1_saveexec_b32 s3, s3
	s_cbranch_execz .LBB23_17
; %bb.16:
	v_div_scale_f64 v[6:7], null, v[2:3], v[2:3], v[4:5]
	v_div_scale_f64 v[12:13], vcc_lo, v[4:5], v[2:3], v[4:5]
	s_delay_alu instid0(VALU_DEP_2) | instskip(SKIP_1) | instid1(TRANS32_DEP_1)
	v_rcp_f64_e32 v[8:9], v[6:7]
	v_nop
	v_fma_f64 v[10:11], -v[6:7], v[8:9], 1.0
	s_delay_alu instid0(VALU_DEP_1) | instskip(NEXT) | instid1(VALU_DEP_1)
	v_fmac_f64_e32 v[8:9], v[8:9], v[10:11]
	v_fma_f64 v[10:11], -v[6:7], v[8:9], 1.0
	s_delay_alu instid0(VALU_DEP_1) | instskip(NEXT) | instid1(VALU_DEP_1)
	v_fmac_f64_e32 v[8:9], v[8:9], v[10:11]
	v_mul_f64_e32 v[10:11], v[12:13], v[8:9]
	s_delay_alu instid0(VALU_DEP_1) | instskip(NEXT) | instid1(VALU_DEP_1)
	v_fma_f64 v[6:7], -v[6:7], v[10:11], v[12:13]
	v_div_fmas_f64 v[6:7], v[6:7], v[8:9], v[10:11]
	s_delay_alu instid0(VALU_DEP_1) | instskip(NEXT) | instid1(VALU_DEP_1)
	v_div_fixup_f64 v[8:9], v[6:7], v[2:3], v[4:5]
	v_fmac_f64_e32 v[2:3], v[4:5], v[8:9]
	s_delay_alu instid0(VALU_DEP_1) | instskip(NEXT) | instid1(VALU_DEP_1)
	v_div_scale_f64 v[4:5], null, v[2:3], v[2:3], 1.0
	v_rcp_f64_e32 v[6:7], v[4:5]
	v_nop
	s_delay_alu instid0(TRANS32_DEP_1) | instskip(NEXT) | instid1(VALU_DEP_1)
	v_fma_f64 v[10:11], -v[4:5], v[6:7], 1.0
	v_fmac_f64_e32 v[6:7], v[6:7], v[10:11]
	s_delay_alu instid0(VALU_DEP_1) | instskip(NEXT) | instid1(VALU_DEP_1)
	v_fma_f64 v[10:11], -v[4:5], v[6:7], 1.0
	v_fmac_f64_e32 v[6:7], v[6:7], v[10:11]
	v_div_scale_f64 v[10:11], vcc_lo, 1.0, v[2:3], 1.0
	s_delay_alu instid0(VALU_DEP_1) | instskip(NEXT) | instid1(VALU_DEP_1)
	v_mul_f64_e32 v[12:13], v[10:11], v[6:7]
	v_fma_f64 v[4:5], -v[4:5], v[12:13], v[10:11]
	s_delay_alu instid0(VALU_DEP_1) | instskip(NEXT) | instid1(VALU_DEP_1)
	v_div_fmas_f64 v[4:5], v[4:5], v[6:7], v[12:13]
	v_div_fixup_f64 v[6:7], v[4:5], v[2:3], 1.0
	s_delay_alu instid0(VALU_DEP_1)
	v_mul_f64_e64 v[8:9], v[8:9], -v[6:7]
	v_xor_b32_e32 v11, 0x80000000, v7
	v_mov_b32_e32 v10, v6
.LBB23_17:
	s_or_b32 exec_lo, exec_lo, s3
	s_clause 0x1
	scratch_store_b128 v19, v[6:9], off
	scratch_load_b128 v[2:5], off, s22
	v_xor_b32_e32 v13, 0x80000000, v9
	v_mov_b32_e32 v12, v8
	s_wait_xcnt 0x1
	v_add_nc_u32_e32 v6, 0x180, v62
	ds_store_b128 v62, v[10:13]
	s_wait_loadcnt 0x0
	ds_store_b128 v62, v[2:5] offset:384
	s_wait_storecnt_dscnt 0x0
	s_barrier_signal -1
	s_barrier_wait -1
	s_wait_xcnt 0x0
	s_and_saveexec_b32 s3, s2
	s_cbranch_execz .LBB23_19
; %bb.18:
	scratch_load_b128 v[2:5], v19, off
	ds_load_b128 v[8:11], v6
	v_mov_b32_e32 v7, 0
	ds_load_b128 v[64:67], v7 offset:16
	s_wait_loadcnt_dscnt 0x1
	v_mul_f64_e32 v[12:13], v[8:9], v[4:5]
	v_mul_f64_e32 v[4:5], v[10:11], v[4:5]
	s_delay_alu instid0(VALU_DEP_2) | instskip(NEXT) | instid1(VALU_DEP_2)
	v_fmac_f64_e32 v[12:13], v[10:11], v[2:3]
	v_fma_f64 v[2:3], v[8:9], v[2:3], -v[4:5]
	s_delay_alu instid0(VALU_DEP_2) | instskip(NEXT) | instid1(VALU_DEP_2)
	v_add_f64_e32 v[8:9], 0, v[12:13]
	v_add_f64_e32 v[2:3], 0, v[2:3]
	s_wait_dscnt 0x0
	s_delay_alu instid0(VALU_DEP_2) | instskip(NEXT) | instid1(VALU_DEP_2)
	v_mul_f64_e32 v[10:11], v[8:9], v[66:67]
	v_mul_f64_e32 v[4:5], v[2:3], v[66:67]
	s_delay_alu instid0(VALU_DEP_2) | instskip(NEXT) | instid1(VALU_DEP_2)
	v_fma_f64 v[2:3], v[2:3], v[64:65], -v[10:11]
	v_fmac_f64_e32 v[4:5], v[8:9], v[64:65]
	scratch_store_b128 off, v[2:5], off offset:16
.LBB23_19:
	s_wait_xcnt 0x0
	s_or_b32 exec_lo, exec_lo, s3
	s_wait_storecnt 0x0
	s_barrier_signal -1
	s_barrier_wait -1
	scratch_load_b128 v[2:5], off, s12
	s_mov_b32 s3, exec_lo
	s_wait_loadcnt 0x0
	ds_store_b128 v6, v[2:5]
	s_wait_dscnt 0x0
	s_barrier_signal -1
	s_barrier_wait -1
	v_cmpx_gt_u32_e32 2, v1
	s_cbranch_execz .LBB23_23
; %bb.20:
	scratch_load_b128 v[2:5], v19, off
	ds_load_b128 v[8:11], v6
	s_wait_loadcnt_dscnt 0x0
	v_mul_f64_e32 v[12:13], v[10:11], v[4:5]
	v_mul_f64_e32 v[64:65], v[8:9], v[4:5]
	s_delay_alu instid0(VALU_DEP_2) | instskip(NEXT) | instid1(VALU_DEP_2)
	v_fma_f64 v[4:5], v[8:9], v[2:3], -v[12:13]
	v_fmac_f64_e32 v[64:65], v[10:11], v[2:3]
	s_delay_alu instid0(VALU_DEP_2) | instskip(NEXT) | instid1(VALU_DEP_2)
	v_add_f64_e32 v[4:5], 0, v[4:5]
	v_add_f64_e32 v[2:3], 0, v[64:65]
	s_and_saveexec_b32 s37, s2
	s_cbranch_execz .LBB23_22
; %bb.21:
	scratch_load_b128 v[8:11], off, off offset:16
	v_mov_b32_e32 v7, 0
	ds_load_b128 v[64:67], v7 offset:400
	s_wait_loadcnt_dscnt 0x0
	v_mul_f64_e32 v[12:13], v[64:65], v[10:11]
	v_mul_f64_e32 v[10:11], v[66:67], v[10:11]
	s_delay_alu instid0(VALU_DEP_2) | instskip(NEXT) | instid1(VALU_DEP_2)
	v_fmac_f64_e32 v[12:13], v[66:67], v[8:9]
	v_fma_f64 v[8:9], v[64:65], v[8:9], -v[10:11]
	s_delay_alu instid0(VALU_DEP_2) | instskip(NEXT) | instid1(VALU_DEP_2)
	v_add_f64_e32 v[2:3], v[2:3], v[12:13]
	v_add_f64_e32 v[4:5], v[4:5], v[8:9]
.LBB23_22:
	s_or_b32 exec_lo, exec_lo, s37
	v_mov_b32_e32 v7, 0
	ds_load_b128 v[8:11], v7 offset:32
	s_wait_dscnt 0x0
	v_mul_f64_e32 v[64:65], v[2:3], v[10:11]
	v_mul_f64_e32 v[12:13], v[4:5], v[10:11]
	s_delay_alu instid0(VALU_DEP_2) | instskip(NEXT) | instid1(VALU_DEP_2)
	v_fma_f64 v[10:11], v[4:5], v[8:9], -v[64:65]
	v_fmac_f64_e32 v[12:13], v[2:3], v[8:9]
	scratch_store_b128 off, v[10:13], off offset:32
.LBB23_23:
	s_wait_xcnt 0x0
	s_or_b32 exec_lo, exec_lo, s3
	s_wait_storecnt 0x0
	s_barrier_signal -1
	s_barrier_wait -1
	scratch_load_b128 v[2:5], off, s14
	v_add_nc_u32_e32 v7, -1, v1
	s_mov_b32 s2, exec_lo
	s_wait_loadcnt 0x0
	ds_store_b128 v6, v[2:5]
	s_wait_dscnt 0x0
	s_barrier_signal -1
	s_barrier_wait -1
	v_cmpx_gt_u32_e32 3, v1
	s_cbranch_execz .LBB23_27
; %bb.24:
	v_dual_mov_b32 v10, v62 :: v_dual_add_nc_u32 v8, -1, v1
	v_mov_b64_e32 v[2:3], 0
	v_mov_b64_e32 v[4:5], 0
	v_add_nc_u32_e32 v9, 0x180, v62
	s_delay_alu instid0(VALU_DEP_4)
	v_or_b32_e32 v10, 8, v10
	s_mov_b32 s3, 0
.LBB23_25:                              ; =>This Inner Loop Header: Depth=1
	scratch_load_b128 v[64:67], v10, off offset:-8
	ds_load_b128 v[68:71], v9
	v_dual_add_nc_u32 v8, 1, v8 :: v_dual_add_nc_u32 v9, 16, v9
	s_wait_xcnt 0x0
	v_add_nc_u32_e32 v10, 16, v10
	s_delay_alu instid0(VALU_DEP_2) | instskip(SKIP_4) | instid1(VALU_DEP_2)
	v_cmp_lt_u32_e32 vcc_lo, 1, v8
	s_or_b32 s3, vcc_lo, s3
	s_wait_loadcnt_dscnt 0x0
	v_mul_f64_e32 v[12:13], v[70:71], v[66:67]
	v_mul_f64_e32 v[66:67], v[68:69], v[66:67]
	v_fma_f64 v[12:13], v[68:69], v[64:65], -v[12:13]
	s_delay_alu instid0(VALU_DEP_2) | instskip(NEXT) | instid1(VALU_DEP_2)
	v_fmac_f64_e32 v[66:67], v[70:71], v[64:65]
	v_add_f64_e32 v[4:5], v[4:5], v[12:13]
	s_delay_alu instid0(VALU_DEP_2)
	v_add_f64_e32 v[2:3], v[2:3], v[66:67]
	s_and_not1_b32 exec_lo, exec_lo, s3
	s_cbranch_execnz .LBB23_25
; %bb.26:
	s_or_b32 exec_lo, exec_lo, s3
	v_mov_b32_e32 v8, 0
	ds_load_b128 v[8:11], v8 offset:48
	s_wait_dscnt 0x0
	v_mul_f64_e32 v[64:65], v[2:3], v[10:11]
	v_mul_f64_e32 v[12:13], v[4:5], v[10:11]
	s_delay_alu instid0(VALU_DEP_2) | instskip(NEXT) | instid1(VALU_DEP_2)
	v_fma_f64 v[10:11], v[4:5], v[8:9], -v[64:65]
	v_fmac_f64_e32 v[12:13], v[2:3], v[8:9]
	scratch_store_b128 off, v[10:13], off offset:48
.LBB23_27:
	s_wait_xcnt 0x0
	s_or_b32 exec_lo, exec_lo, s2
	s_wait_storecnt 0x0
	s_barrier_signal -1
	s_barrier_wait -1
	scratch_load_b128 v[2:5], off, s15
	s_mov_b32 s2, exec_lo
	s_wait_loadcnt 0x0
	ds_store_b128 v6, v[2:5]
	s_wait_dscnt 0x0
	s_barrier_signal -1
	s_barrier_wait -1
	v_cmpx_gt_u32_e32 4, v1
	s_cbranch_execz .LBB23_31
; %bb.28:
	v_dual_mov_b32 v10, v62 :: v_dual_add_nc_u32 v8, -1, v1
	v_mov_b64_e32 v[2:3], 0
	v_mov_b64_e32 v[4:5], 0
	v_add_nc_u32_e32 v9, 0x180, v62
	s_delay_alu instid0(VALU_DEP_4)
	v_or_b32_e32 v10, 8, v10
	s_mov_b32 s3, 0
.LBB23_29:                              ; =>This Inner Loop Header: Depth=1
	scratch_load_b128 v[64:67], v10, off offset:-8
	ds_load_b128 v[68:71], v9
	v_dual_add_nc_u32 v8, 1, v8 :: v_dual_add_nc_u32 v9, 16, v9
	s_wait_xcnt 0x0
	v_add_nc_u32_e32 v10, 16, v10
	s_delay_alu instid0(VALU_DEP_2) | instskip(SKIP_4) | instid1(VALU_DEP_2)
	v_cmp_lt_u32_e32 vcc_lo, 2, v8
	s_or_b32 s3, vcc_lo, s3
	s_wait_loadcnt_dscnt 0x0
	v_mul_f64_e32 v[12:13], v[70:71], v[66:67]
	v_mul_f64_e32 v[66:67], v[68:69], v[66:67]
	v_fma_f64 v[12:13], v[68:69], v[64:65], -v[12:13]
	s_delay_alu instid0(VALU_DEP_2) | instskip(NEXT) | instid1(VALU_DEP_2)
	v_fmac_f64_e32 v[66:67], v[70:71], v[64:65]
	v_add_f64_e32 v[4:5], v[4:5], v[12:13]
	s_delay_alu instid0(VALU_DEP_2)
	v_add_f64_e32 v[2:3], v[2:3], v[66:67]
	s_and_not1_b32 exec_lo, exec_lo, s3
	s_cbranch_execnz .LBB23_29
; %bb.30:
	s_or_b32 exec_lo, exec_lo, s3
	v_mov_b32_e32 v8, 0
	ds_load_b128 v[8:11], v8 offset:64
	s_wait_dscnt 0x0
	v_mul_f64_e32 v[64:65], v[2:3], v[10:11]
	v_mul_f64_e32 v[12:13], v[4:5], v[10:11]
	s_delay_alu instid0(VALU_DEP_2) | instskip(NEXT) | instid1(VALU_DEP_2)
	v_fma_f64 v[10:11], v[4:5], v[8:9], -v[64:65]
	v_fmac_f64_e32 v[12:13], v[2:3], v[8:9]
	scratch_store_b128 off, v[10:13], off offset:64
.LBB23_31:
	s_wait_xcnt 0x0
	s_or_b32 exec_lo, exec_lo, s2
	s_wait_storecnt 0x0
	s_barrier_signal -1
	s_barrier_wait -1
	scratch_load_b128 v[2:5], off, s26
	;; [unrolled: 54-line block ×19, first 2 shown]
	s_mov_b32 s2, exec_lo
	s_wait_loadcnt 0x0
	ds_store_b128 v6, v[2:5]
	s_wait_dscnt 0x0
	s_barrier_signal -1
	s_barrier_wait -1
	v_cmpx_gt_u32_e32 22, v1
	s_cbranch_execz .LBB23_103
; %bb.100:
	v_dual_mov_b32 v10, v62 :: v_dual_add_nc_u32 v8, -1, v1
	v_mov_b64_e32 v[2:3], 0
	v_mov_b64_e32 v[4:5], 0
	v_add_nc_u32_e32 v9, 0x180, v62
	s_delay_alu instid0(VALU_DEP_4)
	v_or_b32_e32 v10, 8, v10
	s_mov_b32 s3, 0
.LBB23_101:                             ; =>This Inner Loop Header: Depth=1
	scratch_load_b128 v[64:67], v10, off offset:-8
	ds_load_b128 v[68:71], v9
	v_dual_add_nc_u32 v8, 1, v8 :: v_dual_add_nc_u32 v9, 16, v9
	s_wait_xcnt 0x0
	v_add_nc_u32_e32 v10, 16, v10
	s_delay_alu instid0(VALU_DEP_2) | instskip(SKIP_4) | instid1(VALU_DEP_2)
	v_cmp_lt_u32_e32 vcc_lo, 20, v8
	s_or_b32 s3, vcc_lo, s3
	s_wait_loadcnt_dscnt 0x0
	v_mul_f64_e32 v[12:13], v[70:71], v[66:67]
	v_mul_f64_e32 v[66:67], v[68:69], v[66:67]
	v_fma_f64 v[12:13], v[68:69], v[64:65], -v[12:13]
	s_delay_alu instid0(VALU_DEP_2) | instskip(NEXT) | instid1(VALU_DEP_2)
	v_fmac_f64_e32 v[66:67], v[70:71], v[64:65]
	v_add_f64_e32 v[4:5], v[4:5], v[12:13]
	s_delay_alu instid0(VALU_DEP_2)
	v_add_f64_e32 v[2:3], v[2:3], v[66:67]
	s_and_not1_b32 exec_lo, exec_lo, s3
	s_cbranch_execnz .LBB23_101
; %bb.102:
	s_or_b32 exec_lo, exec_lo, s3
	v_mov_b32_e32 v8, 0
	ds_load_b128 v[8:11], v8 offset:352
	s_wait_dscnt 0x0
	v_mul_f64_e32 v[64:65], v[2:3], v[10:11]
	v_mul_f64_e32 v[12:13], v[4:5], v[10:11]
	s_delay_alu instid0(VALU_DEP_2) | instskip(NEXT) | instid1(VALU_DEP_2)
	v_fma_f64 v[10:11], v[4:5], v[8:9], -v[64:65]
	v_fmac_f64_e32 v[12:13], v[2:3], v[8:9]
	scratch_store_b128 off, v[10:13], off offset:352
.LBB23_103:
	s_wait_xcnt 0x0
	s_or_b32 exec_lo, exec_lo, s2
	s_wait_storecnt 0x0
	s_barrier_signal -1
	s_barrier_wait -1
	scratch_load_b128 v[2:5], off, s24
	s_mov_b32 s2, exec_lo
	s_wait_loadcnt 0x0
	ds_store_b128 v6, v[2:5]
	s_wait_dscnt 0x0
	s_barrier_signal -1
	s_barrier_wait -1
	v_cmpx_ne_u32_e32 23, v1
	s_cbranch_execz .LBB23_107
; %bb.104:
	v_mov_b32_e32 v8, v62
	v_mov_b64_e32 v[2:3], 0
	v_mov_b64_e32 v[4:5], 0
	s_mov_b32 s3, 0
	s_delay_alu instid0(VALU_DEP_3)
	v_or_b32_e32 v8, 8, v8
.LBB23_105:                             ; =>This Inner Loop Header: Depth=1
	scratch_load_b128 v[10:13], v8, off offset:-8
	ds_load_b128 v[62:65], v6
	v_dual_add_nc_u32 v7, 1, v7 :: v_dual_add_nc_u32 v6, 16, v6
	s_wait_xcnt 0x0
	v_add_nc_u32_e32 v8, 16, v8
	s_delay_alu instid0(VALU_DEP_2) | instskip(SKIP_4) | instid1(VALU_DEP_2)
	v_cmp_lt_u32_e32 vcc_lo, 21, v7
	s_or_b32 s3, vcc_lo, s3
	s_wait_loadcnt_dscnt 0x0
	v_mul_f64_e32 v[66:67], v[64:65], v[12:13]
	v_mul_f64_e32 v[12:13], v[62:63], v[12:13]
	v_fma_f64 v[62:63], v[62:63], v[10:11], -v[66:67]
	s_delay_alu instid0(VALU_DEP_2) | instskip(NEXT) | instid1(VALU_DEP_2)
	v_fmac_f64_e32 v[12:13], v[64:65], v[10:11]
	v_add_f64_e32 v[4:5], v[4:5], v[62:63]
	s_delay_alu instid0(VALU_DEP_2)
	v_add_f64_e32 v[2:3], v[2:3], v[12:13]
	s_and_not1_b32 exec_lo, exec_lo, s3
	s_cbranch_execnz .LBB23_105
; %bb.106:
	s_or_b32 exec_lo, exec_lo, s3
	v_mov_b32_e32 v6, 0
	ds_load_b128 v[6:9], v6 offset:368
	s_wait_dscnt 0x0
	v_mul_f64_e32 v[12:13], v[2:3], v[8:9]
	v_mul_f64_e32 v[10:11], v[4:5], v[8:9]
	s_delay_alu instid0(VALU_DEP_2) | instskip(NEXT) | instid1(VALU_DEP_2)
	v_fma_f64 v[8:9], v[4:5], v[6:7], -v[12:13]
	v_fmac_f64_e32 v[10:11], v[2:3], v[6:7]
	scratch_store_b128 off, v[8:11], off offset:368
.LBB23_107:
	s_wait_xcnt 0x0
	s_or_b32 exec_lo, exec_lo, s2
	s_mov_b32 s3, -1
	s_wait_storecnt 0x0
	s_barrier_signal -1
	s_barrier_wait -1
.LBB23_108:
	s_and_b32 vcc_lo, exec_lo, s3
	s_cbranch_vccz .LBB23_110
; %bb.109:
	s_wait_xcnt 0x5
	v_mov_b32_e32 v2, 0
	s_lshl_b64 s[2:3], s[18:19], 2
	s_delay_alu instid0(SALU_CYCLE_1)
	s_add_nc_u64 s[2:3], s[6:7], s[2:3]
	global_load_b32 v2, v2, s[2:3]
	s_wait_loadcnt 0x0
	v_cmp_ne_u32_e32 vcc_lo, 0, v2
	s_cbranch_vccz .LBB23_111
.LBB23_110:
	s_sendmsg sendmsg(MSG_DEALLOC_VGPRS)
	s_endpgm
.LBB23_111:
	s_wait_xcnt 0x4
	v_lshl_add_u32 v6, v1, 4, 0x180
	s_wait_xcnt 0x0
	s_mov_b32 s2, exec_lo
	v_cmpx_eq_u32_e32 23, v1
	s_cbranch_execz .LBB23_113
; %bb.112:
	scratch_load_b128 v[2:5], off, s20
	v_mov_b32_e32 v8, 0
	s_delay_alu instid0(VALU_DEP_1)
	v_dual_mov_b32 v9, v8 :: v_dual_mov_b32 v10, v8
	v_mov_b32_e32 v11, v8
	scratch_store_b128 off, v[8:11], off offset:352
	s_wait_loadcnt 0x0
	ds_store_b128 v6, v[2:5]
.LBB23_113:
	s_wait_xcnt 0x0
	s_or_b32 exec_lo, exec_lo, s2
	s_wait_storecnt_dscnt 0x0
	s_barrier_signal -1
	s_barrier_wait -1
	s_clause 0x1
	scratch_load_b128 v[8:11], off, off offset:368
	scratch_load_b128 v[62:65], off, off offset:352
	v_mov_b32_e32 v2, 0
	s_mov_b32 s2, exec_lo
	ds_load_b128 v[66:69], v2 offset:752
	s_wait_loadcnt_dscnt 0x100
	v_mul_f64_e32 v[4:5], v[68:69], v[10:11]
	v_mul_f64_e32 v[10:11], v[66:67], v[10:11]
	s_delay_alu instid0(VALU_DEP_2) | instskip(NEXT) | instid1(VALU_DEP_2)
	v_fma_f64 v[4:5], v[66:67], v[8:9], -v[4:5]
	v_fmac_f64_e32 v[10:11], v[68:69], v[8:9]
	s_delay_alu instid0(VALU_DEP_2) | instskip(NEXT) | instid1(VALU_DEP_2)
	v_add_f64_e32 v[4:5], 0, v[4:5]
	v_add_f64_e32 v[10:11], 0, v[10:11]
	s_wait_loadcnt 0x0
	s_delay_alu instid0(VALU_DEP_2) | instskip(NEXT) | instid1(VALU_DEP_2)
	v_add_f64_e64 v[8:9], v[62:63], -v[4:5]
	v_add_f64_e64 v[10:11], v[64:65], -v[10:11]
	scratch_store_b128 off, v[8:11], off offset:352
	s_wait_xcnt 0x0
	v_cmpx_lt_u32_e32 21, v1
	s_cbranch_execz .LBB23_115
; %bb.114:
	scratch_load_b128 v[8:11], off, s13
	v_dual_mov_b32 v3, v2 :: v_dual_mov_b32 v4, v2
	v_mov_b32_e32 v5, v2
	scratch_store_b128 off, v[2:5], off offset:336
	s_wait_loadcnt 0x0
	ds_store_b128 v6, v[8:11]
.LBB23_115:
	s_wait_xcnt 0x0
	s_or_b32 exec_lo, exec_lo, s2
	s_wait_storecnt_dscnt 0x0
	s_barrier_signal -1
	s_barrier_wait -1
	s_clause 0x2
	scratch_load_b128 v[8:11], off, off offset:352
	scratch_load_b128 v[62:65], off, off offset:368
	;; [unrolled: 1-line block ×3, first 2 shown]
	ds_load_b128 v[70:73], v2 offset:736
	ds_load_b128 v[2:5], v2 offset:752
	s_mov_b32 s2, exec_lo
	s_wait_loadcnt_dscnt 0x201
	v_mul_f64_e32 v[12:13], v[72:73], v[10:11]
	v_mul_f64_e32 v[10:11], v[70:71], v[10:11]
	s_wait_loadcnt_dscnt 0x100
	v_mul_f64_e32 v[74:75], v[2:3], v[64:65]
	v_mul_f64_e32 v[64:65], v[4:5], v[64:65]
	s_delay_alu instid0(VALU_DEP_4) | instskip(NEXT) | instid1(VALU_DEP_4)
	v_fma_f64 v[12:13], v[70:71], v[8:9], -v[12:13]
	v_fmac_f64_e32 v[10:11], v[72:73], v[8:9]
	s_delay_alu instid0(VALU_DEP_4) | instskip(NEXT) | instid1(VALU_DEP_4)
	v_fmac_f64_e32 v[74:75], v[4:5], v[62:63]
	v_fma_f64 v[2:3], v[2:3], v[62:63], -v[64:65]
	s_delay_alu instid0(VALU_DEP_4) | instskip(NEXT) | instid1(VALU_DEP_4)
	v_add_f64_e32 v[4:5], 0, v[12:13]
	v_add_f64_e32 v[8:9], 0, v[10:11]
	s_delay_alu instid0(VALU_DEP_2) | instskip(NEXT) | instid1(VALU_DEP_2)
	v_add_f64_e32 v[2:3], v[4:5], v[2:3]
	v_add_f64_e32 v[4:5], v[8:9], v[74:75]
	s_wait_loadcnt 0x0
	s_delay_alu instid0(VALU_DEP_2) | instskip(NEXT) | instid1(VALU_DEP_2)
	v_add_f64_e64 v[2:3], v[66:67], -v[2:3]
	v_add_f64_e64 v[4:5], v[68:69], -v[4:5]
	scratch_store_b128 off, v[2:5], off offset:336
	s_wait_xcnt 0x0
	v_cmpx_lt_u32_e32 20, v1
	s_cbranch_execz .LBB23_117
; %bb.116:
	scratch_load_b128 v[2:5], off, s21
	v_mov_b32_e32 v8, 0
	s_delay_alu instid0(VALU_DEP_1)
	v_dual_mov_b32 v9, v8 :: v_dual_mov_b32 v10, v8
	v_mov_b32_e32 v11, v8
	scratch_store_b128 off, v[8:11], off offset:320
	s_wait_loadcnt 0x0
	ds_store_b128 v6, v[2:5]
.LBB23_117:
	s_wait_xcnt 0x0
	s_or_b32 exec_lo, exec_lo, s2
	s_wait_storecnt_dscnt 0x0
	s_barrier_signal -1
	s_barrier_wait -1
	s_clause 0x3
	scratch_load_b128 v[8:11], off, off offset:336
	scratch_load_b128 v[62:65], off, off offset:352
	;; [unrolled: 1-line block ×4, first 2 shown]
	v_mov_b32_e32 v2, 0
	ds_load_b128 v[74:77], v2 offset:720
	ds_load_b128 v[78:81], v2 offset:736
	s_mov_b32 s2, exec_lo
	s_wait_loadcnt_dscnt 0x301
	v_mul_f64_e32 v[4:5], v[76:77], v[10:11]
	v_mul_f64_e32 v[12:13], v[74:75], v[10:11]
	s_wait_loadcnt_dscnt 0x200
	v_mul_f64_e32 v[82:83], v[78:79], v[64:65]
	v_mul_f64_e32 v[64:65], v[80:81], v[64:65]
	s_delay_alu instid0(VALU_DEP_4) | instskip(NEXT) | instid1(VALU_DEP_4)
	v_fma_f64 v[4:5], v[74:75], v[8:9], -v[4:5]
	v_fmac_f64_e32 v[12:13], v[76:77], v[8:9]
	ds_load_b128 v[8:11], v2 offset:752
	v_fmac_f64_e32 v[82:83], v[80:81], v[62:63]
	v_fma_f64 v[62:63], v[78:79], v[62:63], -v[64:65]
	s_wait_loadcnt_dscnt 0x100
	v_mul_f64_e32 v[74:75], v[8:9], v[68:69]
	v_mul_f64_e32 v[68:69], v[10:11], v[68:69]
	v_add_f64_e32 v[4:5], 0, v[4:5]
	v_add_f64_e32 v[12:13], 0, v[12:13]
	s_delay_alu instid0(VALU_DEP_4) | instskip(NEXT) | instid1(VALU_DEP_4)
	v_fmac_f64_e32 v[74:75], v[10:11], v[66:67]
	v_fma_f64 v[8:9], v[8:9], v[66:67], -v[68:69]
	s_delay_alu instid0(VALU_DEP_4) | instskip(NEXT) | instid1(VALU_DEP_4)
	v_add_f64_e32 v[4:5], v[4:5], v[62:63]
	v_add_f64_e32 v[10:11], v[12:13], v[82:83]
	s_delay_alu instid0(VALU_DEP_2) | instskip(NEXT) | instid1(VALU_DEP_2)
	v_add_f64_e32 v[4:5], v[4:5], v[8:9]
	v_add_f64_e32 v[10:11], v[10:11], v[74:75]
	s_wait_loadcnt 0x0
	s_delay_alu instid0(VALU_DEP_2) | instskip(NEXT) | instid1(VALU_DEP_2)
	v_add_f64_e64 v[8:9], v[70:71], -v[4:5]
	v_add_f64_e64 v[10:11], v[72:73], -v[10:11]
	scratch_store_b128 off, v[8:11], off offset:320
	s_wait_xcnt 0x0
	v_cmpx_lt_u32_e32 19, v1
	s_cbranch_execz .LBB23_119
; %bb.118:
	scratch_load_b128 v[8:11], off, s8
	v_dual_mov_b32 v3, v2 :: v_dual_mov_b32 v4, v2
	v_mov_b32_e32 v5, v2
	scratch_store_b128 off, v[2:5], off offset:304
	s_wait_loadcnt 0x0
	ds_store_b128 v6, v[8:11]
.LBB23_119:
	s_wait_xcnt 0x0
	s_or_b32 exec_lo, exec_lo, s2
	s_wait_storecnt_dscnt 0x0
	s_barrier_signal -1
	s_barrier_wait -1
	s_clause 0x4
	scratch_load_b128 v[8:11], off, off offset:320
	scratch_load_b128 v[62:65], off, off offset:336
	;; [unrolled: 1-line block ×5, first 2 shown]
	ds_load_b128 v[78:81], v2 offset:704
	ds_load_b128 v[82:85], v2 offset:720
	s_mov_b32 s2, exec_lo
	s_wait_loadcnt_dscnt 0x401
	v_mul_f64_e32 v[4:5], v[80:81], v[10:11]
	v_mul_f64_e32 v[12:13], v[78:79], v[10:11]
	s_wait_loadcnt_dscnt 0x300
	v_mul_f64_e32 v[86:87], v[82:83], v[64:65]
	v_mul_f64_e32 v[64:65], v[84:85], v[64:65]
	s_delay_alu instid0(VALU_DEP_4) | instskip(NEXT) | instid1(VALU_DEP_4)
	v_fma_f64 v[78:79], v[78:79], v[8:9], -v[4:5]
	v_fmac_f64_e32 v[12:13], v[80:81], v[8:9]
	ds_load_b128 v[8:11], v2 offset:736
	ds_load_b128 v[2:5], v2 offset:752
	v_fmac_f64_e32 v[86:87], v[84:85], v[62:63]
	v_fma_f64 v[62:63], v[82:83], v[62:63], -v[64:65]
	s_wait_loadcnt_dscnt 0x201
	v_mul_f64_e32 v[80:81], v[8:9], v[68:69]
	v_mul_f64_e32 v[68:69], v[10:11], v[68:69]
	v_add_f64_e32 v[64:65], 0, v[78:79]
	v_add_f64_e32 v[12:13], 0, v[12:13]
	s_wait_loadcnt_dscnt 0x100
	v_mul_f64_e32 v[78:79], v[2:3], v[72:73]
	v_mul_f64_e32 v[72:73], v[4:5], v[72:73]
	v_fmac_f64_e32 v[80:81], v[10:11], v[66:67]
	v_fma_f64 v[8:9], v[8:9], v[66:67], -v[68:69]
	v_add_f64_e32 v[10:11], v[64:65], v[62:63]
	v_add_f64_e32 v[12:13], v[12:13], v[86:87]
	v_fmac_f64_e32 v[78:79], v[4:5], v[70:71]
	v_fma_f64 v[2:3], v[2:3], v[70:71], -v[72:73]
	s_delay_alu instid0(VALU_DEP_4) | instskip(NEXT) | instid1(VALU_DEP_4)
	v_add_f64_e32 v[4:5], v[10:11], v[8:9]
	v_add_f64_e32 v[8:9], v[12:13], v[80:81]
	s_delay_alu instid0(VALU_DEP_2) | instskip(NEXT) | instid1(VALU_DEP_2)
	v_add_f64_e32 v[2:3], v[4:5], v[2:3]
	v_add_f64_e32 v[4:5], v[8:9], v[78:79]
	s_wait_loadcnt 0x0
	s_delay_alu instid0(VALU_DEP_2) | instskip(NEXT) | instid1(VALU_DEP_2)
	v_add_f64_e64 v[2:3], v[74:75], -v[2:3]
	v_add_f64_e64 v[4:5], v[76:77], -v[4:5]
	scratch_store_b128 off, v[2:5], off offset:304
	s_wait_xcnt 0x0
	v_cmpx_lt_u32_e32 18, v1
	s_cbranch_execz .LBB23_121
; %bb.120:
	scratch_load_b128 v[2:5], off, s10
	v_mov_b32_e32 v8, 0
	s_delay_alu instid0(VALU_DEP_1)
	v_dual_mov_b32 v9, v8 :: v_dual_mov_b32 v10, v8
	v_mov_b32_e32 v11, v8
	scratch_store_b128 off, v[8:11], off offset:288
	s_wait_loadcnt 0x0
	ds_store_b128 v6, v[2:5]
.LBB23_121:
	s_wait_xcnt 0x0
	s_or_b32 exec_lo, exec_lo, s2
	s_wait_storecnt_dscnt 0x0
	s_barrier_signal -1
	s_barrier_wait -1
	s_clause 0x5
	scratch_load_b128 v[8:11], off, off offset:304
	scratch_load_b128 v[62:65], off, off offset:320
	;; [unrolled: 1-line block ×6, first 2 shown]
	v_mov_b32_e32 v2, 0
	ds_load_b128 v[82:85], v2 offset:688
	ds_load_b128 v[86:89], v2 offset:704
	s_mov_b32 s2, exec_lo
	s_wait_loadcnt_dscnt 0x501
	v_mul_f64_e32 v[4:5], v[84:85], v[10:11]
	v_mul_f64_e32 v[12:13], v[82:83], v[10:11]
	s_wait_loadcnt_dscnt 0x400
	v_mul_f64_e32 v[90:91], v[86:87], v[64:65]
	v_mul_f64_e32 v[64:65], v[88:89], v[64:65]
	s_delay_alu instid0(VALU_DEP_4) | instskip(NEXT) | instid1(VALU_DEP_4)
	v_fma_f64 v[4:5], v[82:83], v[8:9], -v[4:5]
	v_fmac_f64_e32 v[12:13], v[84:85], v[8:9]
	ds_load_b128 v[8:11], v2 offset:720
	ds_load_b128 v[82:85], v2 offset:736
	v_fmac_f64_e32 v[90:91], v[88:89], v[62:63]
	v_fma_f64 v[62:63], v[86:87], v[62:63], -v[64:65]
	s_wait_loadcnt_dscnt 0x301
	v_mul_f64_e32 v[92:93], v[8:9], v[68:69]
	v_mul_f64_e32 v[68:69], v[10:11], v[68:69]
	s_wait_loadcnt_dscnt 0x200
	v_mul_f64_e32 v[64:65], v[82:83], v[72:73]
	v_mul_f64_e32 v[72:73], v[84:85], v[72:73]
	v_add_f64_e32 v[4:5], 0, v[4:5]
	v_add_f64_e32 v[12:13], 0, v[12:13]
	v_fmac_f64_e32 v[92:93], v[10:11], v[66:67]
	v_fma_f64 v[66:67], v[8:9], v[66:67], -v[68:69]
	ds_load_b128 v[8:11], v2 offset:752
	v_fmac_f64_e32 v[64:65], v[84:85], v[70:71]
	v_fma_f64 v[70:71], v[82:83], v[70:71], -v[72:73]
	v_add_f64_e32 v[4:5], v[4:5], v[62:63]
	v_add_f64_e32 v[12:13], v[12:13], v[90:91]
	s_wait_loadcnt_dscnt 0x100
	v_mul_f64_e32 v[62:63], v[8:9], v[76:77]
	v_mul_f64_e32 v[68:69], v[10:11], v[76:77]
	s_delay_alu instid0(VALU_DEP_4) | instskip(NEXT) | instid1(VALU_DEP_4)
	v_add_f64_e32 v[4:5], v[4:5], v[66:67]
	v_add_f64_e32 v[12:13], v[12:13], v[92:93]
	s_delay_alu instid0(VALU_DEP_4) | instskip(NEXT) | instid1(VALU_DEP_4)
	v_fmac_f64_e32 v[62:63], v[10:11], v[74:75]
	v_fma_f64 v[8:9], v[8:9], v[74:75], -v[68:69]
	s_delay_alu instid0(VALU_DEP_4) | instskip(NEXT) | instid1(VALU_DEP_4)
	v_add_f64_e32 v[4:5], v[4:5], v[70:71]
	v_add_f64_e32 v[10:11], v[12:13], v[64:65]
	s_delay_alu instid0(VALU_DEP_2) | instskip(NEXT) | instid1(VALU_DEP_2)
	v_add_f64_e32 v[4:5], v[4:5], v[8:9]
	v_add_f64_e32 v[10:11], v[10:11], v[62:63]
	s_wait_loadcnt 0x0
	s_delay_alu instid0(VALU_DEP_2) | instskip(NEXT) | instid1(VALU_DEP_2)
	v_add_f64_e64 v[8:9], v[78:79], -v[4:5]
	v_add_f64_e64 v[10:11], v[80:81], -v[10:11]
	scratch_store_b128 off, v[8:11], off offset:288
	s_wait_xcnt 0x0
	v_cmpx_lt_u32_e32 17, v1
	s_cbranch_execz .LBB23_123
; %bb.122:
	scratch_load_b128 v[8:11], off, s9
	v_dual_mov_b32 v3, v2 :: v_dual_mov_b32 v4, v2
	v_mov_b32_e32 v5, v2
	scratch_store_b128 off, v[2:5], off offset:272
	s_wait_loadcnt 0x0
	ds_store_b128 v6, v[8:11]
.LBB23_123:
	s_wait_xcnt 0x0
	s_or_b32 exec_lo, exec_lo, s2
	s_wait_storecnt_dscnt 0x0
	s_barrier_signal -1
	s_barrier_wait -1
	s_clause 0x6
	scratch_load_b128 v[8:11], off, off offset:288
	scratch_load_b128 v[62:65], off, off offset:304
	scratch_load_b128 v[66:69], off, off offset:320
	scratch_load_b128 v[70:73], off, off offset:336
	scratch_load_b128 v[74:77], off, off offset:352
	scratch_load_b128 v[78:81], off, off offset:368
	scratch_load_b128 v[82:85], off, off offset:272
	ds_load_b128 v[86:89], v2 offset:672
	ds_load_b128 v[90:93], v2 offset:688
	s_mov_b32 s2, exec_lo
	s_wait_loadcnt_dscnt 0x601
	v_mul_f64_e32 v[4:5], v[88:89], v[10:11]
	v_mul_f64_e32 v[12:13], v[86:87], v[10:11]
	s_wait_loadcnt_dscnt 0x500
	v_mul_f64_e32 v[94:95], v[90:91], v[64:65]
	v_mul_f64_e32 v[64:65], v[92:93], v[64:65]
	s_delay_alu instid0(VALU_DEP_4) | instskip(NEXT) | instid1(VALU_DEP_4)
	v_fma_f64 v[4:5], v[86:87], v[8:9], -v[4:5]
	v_fmac_f64_e32 v[12:13], v[88:89], v[8:9]
	ds_load_b128 v[8:11], v2 offset:704
	ds_load_b128 v[86:89], v2 offset:720
	v_fmac_f64_e32 v[94:95], v[92:93], v[62:63]
	v_fma_f64 v[62:63], v[90:91], v[62:63], -v[64:65]
	s_wait_loadcnt_dscnt 0x401
	v_mul_f64_e32 v[96:97], v[8:9], v[68:69]
	v_mul_f64_e32 v[68:69], v[10:11], v[68:69]
	s_wait_loadcnt_dscnt 0x300
	v_mul_f64_e32 v[64:65], v[86:87], v[72:73]
	v_mul_f64_e32 v[72:73], v[88:89], v[72:73]
	v_add_f64_e32 v[4:5], 0, v[4:5]
	v_add_f64_e32 v[12:13], 0, v[12:13]
	v_fmac_f64_e32 v[96:97], v[10:11], v[66:67]
	v_fma_f64 v[66:67], v[8:9], v[66:67], -v[68:69]
	v_fmac_f64_e32 v[64:65], v[88:89], v[70:71]
	v_fma_f64 v[70:71], v[86:87], v[70:71], -v[72:73]
	v_add_f64_e32 v[62:63], v[4:5], v[62:63]
	v_add_f64_e32 v[12:13], v[12:13], v[94:95]
	ds_load_b128 v[8:11], v2 offset:736
	ds_load_b128 v[2:5], v2 offset:752
	s_wait_loadcnt_dscnt 0x201
	v_mul_f64_e32 v[68:69], v[8:9], v[76:77]
	v_mul_f64_e32 v[76:77], v[10:11], v[76:77]
	s_wait_loadcnt_dscnt 0x100
	v_mul_f64_e32 v[72:73], v[4:5], v[80:81]
	v_add_f64_e32 v[62:63], v[62:63], v[66:67]
	v_add_f64_e32 v[12:13], v[12:13], v[96:97]
	v_mul_f64_e32 v[66:67], v[2:3], v[80:81]
	v_fmac_f64_e32 v[68:69], v[10:11], v[74:75]
	v_fma_f64 v[8:9], v[8:9], v[74:75], -v[76:77]
	v_fma_f64 v[2:3], v[2:3], v[78:79], -v[72:73]
	v_add_f64_e32 v[10:11], v[62:63], v[70:71]
	v_add_f64_e32 v[12:13], v[12:13], v[64:65]
	v_fmac_f64_e32 v[66:67], v[4:5], v[78:79]
	s_delay_alu instid0(VALU_DEP_3) | instskip(NEXT) | instid1(VALU_DEP_3)
	v_add_f64_e32 v[4:5], v[10:11], v[8:9]
	v_add_f64_e32 v[8:9], v[12:13], v[68:69]
	s_delay_alu instid0(VALU_DEP_2) | instskip(NEXT) | instid1(VALU_DEP_2)
	v_add_f64_e32 v[2:3], v[4:5], v[2:3]
	v_add_f64_e32 v[4:5], v[8:9], v[66:67]
	s_wait_loadcnt 0x0
	s_delay_alu instid0(VALU_DEP_2) | instskip(NEXT) | instid1(VALU_DEP_2)
	v_add_f64_e64 v[2:3], v[82:83], -v[2:3]
	v_add_f64_e64 v[4:5], v[84:85], -v[4:5]
	scratch_store_b128 off, v[2:5], off offset:272
	s_wait_xcnt 0x0
	v_cmpx_lt_u32_e32 16, v1
	s_cbranch_execz .LBB23_125
; %bb.124:
	scratch_load_b128 v[2:5], off, s11
	v_mov_b32_e32 v8, 0
	s_delay_alu instid0(VALU_DEP_1)
	v_dual_mov_b32 v9, v8 :: v_dual_mov_b32 v10, v8
	v_mov_b32_e32 v11, v8
	scratch_store_b128 off, v[8:11], off offset:256
	s_wait_loadcnt 0x0
	ds_store_b128 v6, v[2:5]
.LBB23_125:
	s_wait_xcnt 0x0
	s_or_b32 exec_lo, exec_lo, s2
	s_wait_storecnt_dscnt 0x0
	s_barrier_signal -1
	s_barrier_wait -1
	s_clause 0x7
	scratch_load_b128 v[8:11], off, off offset:272
	scratch_load_b128 v[62:65], off, off offset:288
	;; [unrolled: 1-line block ×8, first 2 shown]
	v_mov_b32_e32 v2, 0
	ds_load_b128 v[90:93], v2 offset:656
	ds_load_b128 v[94:97], v2 offset:672
	s_mov_b32 s2, exec_lo
	s_wait_loadcnt_dscnt 0x701
	v_mul_f64_e32 v[4:5], v[92:93], v[10:11]
	v_mul_f64_e32 v[12:13], v[90:91], v[10:11]
	s_wait_loadcnt_dscnt 0x600
	v_mul_f64_e32 v[98:99], v[94:95], v[64:65]
	v_mul_f64_e32 v[64:65], v[96:97], v[64:65]
	s_delay_alu instid0(VALU_DEP_4) | instskip(NEXT) | instid1(VALU_DEP_4)
	v_fma_f64 v[4:5], v[90:91], v[8:9], -v[4:5]
	v_fmac_f64_e32 v[12:13], v[92:93], v[8:9]
	ds_load_b128 v[8:11], v2 offset:688
	ds_load_b128 v[90:93], v2 offset:704
	v_fmac_f64_e32 v[98:99], v[96:97], v[62:63]
	v_fma_f64 v[62:63], v[94:95], v[62:63], -v[64:65]
	s_wait_loadcnt_dscnt 0x501
	v_mul_f64_e32 v[100:101], v[8:9], v[68:69]
	v_mul_f64_e32 v[68:69], v[10:11], v[68:69]
	s_wait_loadcnt_dscnt 0x400
	v_mul_f64_e32 v[94:95], v[90:91], v[72:73]
	v_mul_f64_e32 v[72:73], v[92:93], v[72:73]
	v_add_f64_e32 v[4:5], 0, v[4:5]
	v_add_f64_e32 v[12:13], 0, v[12:13]
	v_fmac_f64_e32 v[100:101], v[10:11], v[66:67]
	v_fma_f64 v[66:67], v[8:9], v[66:67], -v[68:69]
	v_fmac_f64_e32 v[94:95], v[92:93], v[70:71]
	v_fma_f64 v[70:71], v[90:91], v[70:71], -v[72:73]
	v_add_f64_e32 v[4:5], v[4:5], v[62:63]
	v_add_f64_e32 v[12:13], v[12:13], v[98:99]
	ds_load_b128 v[8:11], v2 offset:720
	ds_load_b128 v[62:65], v2 offset:736
	s_wait_loadcnt_dscnt 0x301
	v_mul_f64_e32 v[68:69], v[8:9], v[76:77]
	v_mul_f64_e32 v[76:77], v[10:11], v[76:77]
	s_wait_loadcnt_dscnt 0x200
	v_mul_f64_e32 v[72:73], v[64:65], v[80:81]
	v_add_f64_e32 v[4:5], v[4:5], v[66:67]
	v_add_f64_e32 v[12:13], v[12:13], v[100:101]
	v_mul_f64_e32 v[66:67], v[62:63], v[80:81]
	v_fmac_f64_e32 v[68:69], v[10:11], v[74:75]
	v_fma_f64 v[74:75], v[8:9], v[74:75], -v[76:77]
	ds_load_b128 v[8:11], v2 offset:752
	v_fma_f64 v[62:63], v[62:63], v[78:79], -v[72:73]
	v_add_f64_e32 v[4:5], v[4:5], v[70:71]
	v_add_f64_e32 v[12:13], v[12:13], v[94:95]
	v_fmac_f64_e32 v[66:67], v[64:65], v[78:79]
	s_wait_loadcnt_dscnt 0x100
	v_mul_f64_e32 v[70:71], v[8:9], v[84:85]
	v_mul_f64_e32 v[76:77], v[10:11], v[84:85]
	v_add_f64_e32 v[4:5], v[4:5], v[74:75]
	v_add_f64_e32 v[12:13], v[12:13], v[68:69]
	s_delay_alu instid0(VALU_DEP_4) | instskip(NEXT) | instid1(VALU_DEP_4)
	v_fmac_f64_e32 v[70:71], v[10:11], v[82:83]
	v_fma_f64 v[8:9], v[8:9], v[82:83], -v[76:77]
	s_delay_alu instid0(VALU_DEP_4) | instskip(NEXT) | instid1(VALU_DEP_4)
	v_add_f64_e32 v[4:5], v[4:5], v[62:63]
	v_add_f64_e32 v[10:11], v[12:13], v[66:67]
	s_delay_alu instid0(VALU_DEP_2) | instskip(NEXT) | instid1(VALU_DEP_2)
	v_add_f64_e32 v[4:5], v[4:5], v[8:9]
	v_add_f64_e32 v[10:11], v[10:11], v[70:71]
	s_wait_loadcnt 0x0
	s_delay_alu instid0(VALU_DEP_2) | instskip(NEXT) | instid1(VALU_DEP_2)
	v_add_f64_e64 v[8:9], v[86:87], -v[4:5]
	v_add_f64_e64 v[10:11], v[88:89], -v[10:11]
	scratch_store_b128 off, v[8:11], off offset:256
	s_wait_xcnt 0x0
	v_cmpx_lt_u32_e32 15, v1
	s_cbranch_execz .LBB23_127
; %bb.126:
	scratch_load_b128 v[8:11], off, s29
	v_dual_mov_b32 v3, v2 :: v_dual_mov_b32 v4, v2
	v_mov_b32_e32 v5, v2
	scratch_store_b128 off, v[2:5], off offset:240
	s_wait_loadcnt 0x0
	ds_store_b128 v6, v[8:11]
.LBB23_127:
	s_wait_xcnt 0x0
	s_or_b32 exec_lo, exec_lo, s2
	s_wait_storecnt_dscnt 0x0
	s_barrier_signal -1
	s_barrier_wait -1
	s_clause 0x7
	scratch_load_b128 v[8:11], off, off offset:256
	scratch_load_b128 v[62:65], off, off offset:272
	;; [unrolled: 1-line block ×8, first 2 shown]
	ds_load_b128 v[90:93], v2 offset:640
	ds_load_b128 v[94:97], v2 offset:656
	scratch_load_b128 v[98:101], off, off offset:240
	s_mov_b32 s2, exec_lo
	s_wait_loadcnt_dscnt 0x801
	v_mul_f64_e32 v[4:5], v[92:93], v[10:11]
	v_mul_f64_e32 v[12:13], v[90:91], v[10:11]
	s_wait_loadcnt_dscnt 0x700
	v_mul_f64_e32 v[102:103], v[94:95], v[64:65]
	v_mul_f64_e32 v[64:65], v[96:97], v[64:65]
	s_delay_alu instid0(VALU_DEP_4) | instskip(NEXT) | instid1(VALU_DEP_4)
	v_fma_f64 v[4:5], v[90:91], v[8:9], -v[4:5]
	v_fmac_f64_e32 v[12:13], v[92:93], v[8:9]
	ds_load_b128 v[8:11], v2 offset:672
	ds_load_b128 v[90:93], v2 offset:688
	v_fmac_f64_e32 v[102:103], v[96:97], v[62:63]
	v_fma_f64 v[62:63], v[94:95], v[62:63], -v[64:65]
	s_wait_loadcnt_dscnt 0x601
	v_mul_f64_e32 v[104:105], v[8:9], v[68:69]
	v_mul_f64_e32 v[68:69], v[10:11], v[68:69]
	s_wait_loadcnt_dscnt 0x500
	v_mul_f64_e32 v[94:95], v[90:91], v[72:73]
	v_mul_f64_e32 v[72:73], v[92:93], v[72:73]
	v_add_f64_e32 v[4:5], 0, v[4:5]
	v_add_f64_e32 v[12:13], 0, v[12:13]
	v_fmac_f64_e32 v[104:105], v[10:11], v[66:67]
	v_fma_f64 v[66:67], v[8:9], v[66:67], -v[68:69]
	v_fmac_f64_e32 v[94:95], v[92:93], v[70:71]
	v_fma_f64 v[70:71], v[90:91], v[70:71], -v[72:73]
	v_add_f64_e32 v[4:5], v[4:5], v[62:63]
	v_add_f64_e32 v[12:13], v[12:13], v[102:103]
	ds_load_b128 v[8:11], v2 offset:704
	ds_load_b128 v[62:65], v2 offset:720
	s_wait_loadcnt_dscnt 0x401
	v_mul_f64_e32 v[68:69], v[8:9], v[76:77]
	v_mul_f64_e32 v[76:77], v[10:11], v[76:77]
	s_wait_loadcnt_dscnt 0x300
	v_mul_f64_e32 v[72:73], v[64:65], v[80:81]
	v_add_f64_e32 v[4:5], v[4:5], v[66:67]
	v_add_f64_e32 v[12:13], v[12:13], v[104:105]
	v_mul_f64_e32 v[66:67], v[62:63], v[80:81]
	v_fmac_f64_e32 v[68:69], v[10:11], v[74:75]
	v_fma_f64 v[74:75], v[8:9], v[74:75], -v[76:77]
	v_fma_f64 v[62:63], v[62:63], v[78:79], -v[72:73]
	v_add_f64_e32 v[70:71], v[4:5], v[70:71]
	v_add_f64_e32 v[12:13], v[12:13], v[94:95]
	ds_load_b128 v[8:11], v2 offset:736
	ds_load_b128 v[2:5], v2 offset:752
	v_fmac_f64_e32 v[66:67], v[64:65], v[78:79]
	s_wait_loadcnt_dscnt 0x201
	v_mul_f64_e32 v[76:77], v[8:9], v[84:85]
	v_mul_f64_e32 v[80:81], v[10:11], v[84:85]
	v_add_f64_e32 v[64:65], v[70:71], v[74:75]
	v_add_f64_e32 v[12:13], v[12:13], v[68:69]
	s_wait_loadcnt_dscnt 0x100
	v_mul_f64_e32 v[68:69], v[2:3], v[88:89]
	v_mul_f64_e32 v[70:71], v[4:5], v[88:89]
	v_fmac_f64_e32 v[76:77], v[10:11], v[82:83]
	v_fma_f64 v[8:9], v[8:9], v[82:83], -v[80:81]
	v_add_f64_e32 v[10:11], v[64:65], v[62:63]
	v_add_f64_e32 v[12:13], v[12:13], v[66:67]
	v_fmac_f64_e32 v[68:69], v[4:5], v[86:87]
	v_fma_f64 v[2:3], v[2:3], v[86:87], -v[70:71]
	s_delay_alu instid0(VALU_DEP_4) | instskip(NEXT) | instid1(VALU_DEP_4)
	v_add_f64_e32 v[4:5], v[10:11], v[8:9]
	v_add_f64_e32 v[8:9], v[12:13], v[76:77]
	s_delay_alu instid0(VALU_DEP_2) | instskip(NEXT) | instid1(VALU_DEP_2)
	v_add_f64_e32 v[2:3], v[4:5], v[2:3]
	v_add_f64_e32 v[4:5], v[8:9], v[68:69]
	s_wait_loadcnt 0x0
	s_delay_alu instid0(VALU_DEP_2) | instskip(NEXT) | instid1(VALU_DEP_2)
	v_add_f64_e64 v[2:3], v[98:99], -v[2:3]
	v_add_f64_e64 v[4:5], v[100:101], -v[4:5]
	scratch_store_b128 off, v[2:5], off offset:240
	s_wait_xcnt 0x0
	v_cmpx_lt_u32_e32 14, v1
	s_cbranch_execz .LBB23_129
; %bb.128:
	scratch_load_b128 v[2:5], off, s35
	v_mov_b32_e32 v8, 0
	s_delay_alu instid0(VALU_DEP_1)
	v_dual_mov_b32 v9, v8 :: v_dual_mov_b32 v10, v8
	v_mov_b32_e32 v11, v8
	scratch_store_b128 off, v[8:11], off offset:224
	s_wait_loadcnt 0x0
	ds_store_b128 v6, v[2:5]
.LBB23_129:
	s_wait_xcnt 0x0
	s_or_b32 exec_lo, exec_lo, s2
	s_wait_storecnt_dscnt 0x0
	s_barrier_signal -1
	s_barrier_wait -1
	s_clause 0x8
	scratch_load_b128 v[8:11], off, off offset:240
	scratch_load_b128 v[62:65], off, off offset:256
	;; [unrolled: 1-line block ×9, first 2 shown]
	v_mov_b32_e32 v2, 0
	scratch_load_b128 v[98:101], off, off offset:224
	s_mov_b32 s2, exec_lo
	ds_load_b128 v[94:97], v2 offset:624
	ds_load_b128 v[102:105], v2 offset:640
	s_wait_loadcnt_dscnt 0x901
	v_mul_f64_e32 v[4:5], v[96:97], v[10:11]
	v_mul_f64_e32 v[12:13], v[94:95], v[10:11]
	s_wait_loadcnt_dscnt 0x800
	v_mul_f64_e32 v[106:107], v[102:103], v[64:65]
	v_mul_f64_e32 v[64:65], v[104:105], v[64:65]
	s_delay_alu instid0(VALU_DEP_4) | instskip(NEXT) | instid1(VALU_DEP_4)
	v_fma_f64 v[4:5], v[94:95], v[8:9], -v[4:5]
	v_fmac_f64_e32 v[12:13], v[96:97], v[8:9]
	ds_load_b128 v[8:11], v2 offset:656
	ds_load_b128 v[94:97], v2 offset:672
	v_fmac_f64_e32 v[106:107], v[104:105], v[62:63]
	v_fma_f64 v[62:63], v[102:103], v[62:63], -v[64:65]
	s_wait_loadcnt_dscnt 0x701
	v_mul_f64_e32 v[108:109], v[8:9], v[68:69]
	v_mul_f64_e32 v[68:69], v[10:11], v[68:69]
	s_wait_loadcnt_dscnt 0x600
	v_mul_f64_e32 v[102:103], v[94:95], v[72:73]
	v_mul_f64_e32 v[72:73], v[96:97], v[72:73]
	v_add_f64_e32 v[4:5], 0, v[4:5]
	v_add_f64_e32 v[12:13], 0, v[12:13]
	v_fmac_f64_e32 v[108:109], v[10:11], v[66:67]
	v_fma_f64 v[66:67], v[8:9], v[66:67], -v[68:69]
	v_fmac_f64_e32 v[102:103], v[96:97], v[70:71]
	v_fma_f64 v[70:71], v[94:95], v[70:71], -v[72:73]
	v_add_f64_e32 v[4:5], v[4:5], v[62:63]
	v_add_f64_e32 v[12:13], v[12:13], v[106:107]
	ds_load_b128 v[8:11], v2 offset:688
	ds_load_b128 v[62:65], v2 offset:704
	s_wait_loadcnt_dscnt 0x501
	v_mul_f64_e32 v[104:105], v[8:9], v[76:77]
	v_mul_f64_e32 v[68:69], v[10:11], v[76:77]
	s_wait_loadcnt_dscnt 0x400
	v_mul_f64_e32 v[72:73], v[62:63], v[80:81]
	v_mul_f64_e32 v[76:77], v[64:65], v[80:81]
	v_add_f64_e32 v[4:5], v[4:5], v[66:67]
	v_add_f64_e32 v[12:13], v[12:13], v[108:109]
	v_fmac_f64_e32 v[104:105], v[10:11], v[74:75]
	v_fma_f64 v[74:75], v[8:9], v[74:75], -v[68:69]
	ds_load_b128 v[8:11], v2 offset:720
	ds_load_b128 v[66:69], v2 offset:736
	v_fmac_f64_e32 v[72:73], v[64:65], v[78:79]
	v_fma_f64 v[62:63], v[62:63], v[78:79], -v[76:77]
	v_add_f64_e32 v[4:5], v[4:5], v[70:71]
	v_add_f64_e32 v[12:13], v[12:13], v[102:103]
	s_wait_loadcnt_dscnt 0x301
	v_mul_f64_e32 v[70:71], v[8:9], v[84:85]
	v_mul_f64_e32 v[80:81], v[10:11], v[84:85]
	s_wait_loadcnt_dscnt 0x200
	v_mul_f64_e32 v[64:65], v[66:67], v[88:89]
	v_add_f64_e32 v[4:5], v[4:5], v[74:75]
	v_add_f64_e32 v[12:13], v[12:13], v[104:105]
	v_mul_f64_e32 v[74:75], v[68:69], v[88:89]
	v_fmac_f64_e32 v[70:71], v[10:11], v[82:83]
	v_fma_f64 v[76:77], v[8:9], v[82:83], -v[80:81]
	ds_load_b128 v[8:11], v2 offset:752
	v_fmac_f64_e32 v[64:65], v[68:69], v[86:87]
	v_add_f64_e32 v[4:5], v[4:5], v[62:63]
	v_add_f64_e32 v[12:13], v[12:13], v[72:73]
	s_wait_loadcnt_dscnt 0x100
	v_mul_f64_e32 v[62:63], v[8:9], v[92:93]
	v_mul_f64_e32 v[72:73], v[10:11], v[92:93]
	v_fma_f64 v[66:67], v[66:67], v[86:87], -v[74:75]
	v_add_f64_e32 v[4:5], v[4:5], v[76:77]
	v_add_f64_e32 v[12:13], v[12:13], v[70:71]
	v_fmac_f64_e32 v[62:63], v[10:11], v[90:91]
	v_fma_f64 v[8:9], v[8:9], v[90:91], -v[72:73]
	s_delay_alu instid0(VALU_DEP_4) | instskip(NEXT) | instid1(VALU_DEP_4)
	v_add_f64_e32 v[4:5], v[4:5], v[66:67]
	v_add_f64_e32 v[10:11], v[12:13], v[64:65]
	s_delay_alu instid0(VALU_DEP_2) | instskip(NEXT) | instid1(VALU_DEP_2)
	v_add_f64_e32 v[4:5], v[4:5], v[8:9]
	v_add_f64_e32 v[10:11], v[10:11], v[62:63]
	s_wait_loadcnt 0x0
	s_delay_alu instid0(VALU_DEP_2) | instskip(NEXT) | instid1(VALU_DEP_2)
	v_add_f64_e64 v[8:9], v[98:99], -v[4:5]
	v_add_f64_e64 v[10:11], v[100:101], -v[10:11]
	scratch_store_b128 off, v[8:11], off offset:224
	s_wait_xcnt 0x0
	v_cmpx_lt_u32_e32 13, v1
	s_cbranch_execz .LBB23_131
; %bb.130:
	scratch_load_b128 v[8:11], off, s34
	v_dual_mov_b32 v3, v2 :: v_dual_mov_b32 v4, v2
	v_mov_b32_e32 v5, v2
	scratch_store_b128 off, v[2:5], off offset:208
	s_wait_loadcnt 0x0
	ds_store_b128 v6, v[8:11]
.LBB23_131:
	s_wait_xcnt 0x0
	s_or_b32 exec_lo, exec_lo, s2
	s_wait_storecnt_dscnt 0x0
	s_barrier_signal -1
	s_barrier_wait -1
	s_clause 0x9
	scratch_load_b128 v[8:11], off, off offset:224
	scratch_load_b128 v[62:65], off, off offset:240
	;; [unrolled: 1-line block ×10, first 2 shown]
	ds_load_b128 v[98:101], v2 offset:608
	ds_load_b128 v[102:105], v2 offset:624
	scratch_load_b128 v[106:109], off, off offset:208
	s_mov_b32 s2, exec_lo
	s_wait_loadcnt_dscnt 0xa01
	v_mul_f64_e32 v[4:5], v[100:101], v[10:11]
	v_mul_f64_e32 v[12:13], v[98:99], v[10:11]
	s_wait_loadcnt_dscnt 0x900
	v_mul_f64_e32 v[110:111], v[102:103], v[64:65]
	v_mul_f64_e32 v[64:65], v[104:105], v[64:65]
	s_delay_alu instid0(VALU_DEP_4) | instskip(NEXT) | instid1(VALU_DEP_4)
	v_fma_f64 v[4:5], v[98:99], v[8:9], -v[4:5]
	v_fmac_f64_e32 v[12:13], v[100:101], v[8:9]
	ds_load_b128 v[8:11], v2 offset:640
	ds_load_b128 v[98:101], v2 offset:656
	v_fmac_f64_e32 v[110:111], v[104:105], v[62:63]
	v_fma_f64 v[62:63], v[102:103], v[62:63], -v[64:65]
	s_wait_loadcnt_dscnt 0x801
	v_mul_f64_e32 v[112:113], v[8:9], v[68:69]
	v_mul_f64_e32 v[68:69], v[10:11], v[68:69]
	s_wait_loadcnt_dscnt 0x700
	v_mul_f64_e32 v[102:103], v[98:99], v[72:73]
	v_mul_f64_e32 v[72:73], v[100:101], v[72:73]
	v_add_f64_e32 v[4:5], 0, v[4:5]
	v_add_f64_e32 v[12:13], 0, v[12:13]
	v_fmac_f64_e32 v[112:113], v[10:11], v[66:67]
	v_fma_f64 v[66:67], v[8:9], v[66:67], -v[68:69]
	v_fmac_f64_e32 v[102:103], v[100:101], v[70:71]
	v_fma_f64 v[70:71], v[98:99], v[70:71], -v[72:73]
	v_add_f64_e32 v[4:5], v[4:5], v[62:63]
	v_add_f64_e32 v[12:13], v[12:13], v[110:111]
	ds_load_b128 v[8:11], v2 offset:672
	ds_load_b128 v[62:65], v2 offset:688
	s_wait_loadcnt_dscnt 0x601
	v_mul_f64_e32 v[104:105], v[8:9], v[76:77]
	v_mul_f64_e32 v[68:69], v[10:11], v[76:77]
	s_wait_loadcnt_dscnt 0x500
	v_mul_f64_e32 v[72:73], v[62:63], v[80:81]
	v_mul_f64_e32 v[76:77], v[64:65], v[80:81]
	v_add_f64_e32 v[4:5], v[4:5], v[66:67]
	v_add_f64_e32 v[12:13], v[12:13], v[112:113]
	v_fmac_f64_e32 v[104:105], v[10:11], v[74:75]
	v_fma_f64 v[74:75], v[8:9], v[74:75], -v[68:69]
	ds_load_b128 v[8:11], v2 offset:704
	ds_load_b128 v[66:69], v2 offset:720
	v_fmac_f64_e32 v[72:73], v[64:65], v[78:79]
	v_fma_f64 v[62:63], v[62:63], v[78:79], -v[76:77]
	v_add_f64_e32 v[4:5], v[4:5], v[70:71]
	v_add_f64_e32 v[12:13], v[12:13], v[102:103]
	s_wait_loadcnt_dscnt 0x401
	v_mul_f64_e32 v[70:71], v[8:9], v[84:85]
	v_mul_f64_e32 v[80:81], v[10:11], v[84:85]
	s_wait_loadcnt_dscnt 0x300
	v_mul_f64_e32 v[64:65], v[66:67], v[88:89]
	v_add_f64_e32 v[4:5], v[4:5], v[74:75]
	v_add_f64_e32 v[12:13], v[12:13], v[104:105]
	v_mul_f64_e32 v[74:75], v[68:69], v[88:89]
	v_fmac_f64_e32 v[70:71], v[10:11], v[82:83]
	v_fma_f64 v[76:77], v[8:9], v[82:83], -v[80:81]
	v_fmac_f64_e32 v[64:65], v[68:69], v[86:87]
	v_add_f64_e32 v[62:63], v[4:5], v[62:63]
	v_add_f64_e32 v[12:13], v[12:13], v[72:73]
	ds_load_b128 v[8:11], v2 offset:736
	ds_load_b128 v[2:5], v2 offset:752
	v_fma_f64 v[66:67], v[66:67], v[86:87], -v[74:75]
	s_wait_loadcnt_dscnt 0x201
	v_mul_f64_e32 v[72:73], v[8:9], v[92:93]
	v_mul_f64_e32 v[78:79], v[10:11], v[92:93]
	s_wait_loadcnt_dscnt 0x100
	v_mul_f64_e32 v[68:69], v[2:3], v[96:97]
	v_add_f64_e32 v[62:63], v[62:63], v[76:77]
	v_add_f64_e32 v[12:13], v[12:13], v[70:71]
	v_mul_f64_e32 v[70:71], v[4:5], v[96:97]
	v_fmac_f64_e32 v[72:73], v[10:11], v[90:91]
	v_fma_f64 v[8:9], v[8:9], v[90:91], -v[78:79]
	v_fmac_f64_e32 v[68:69], v[4:5], v[94:95]
	v_add_f64_e32 v[10:11], v[62:63], v[66:67]
	v_add_f64_e32 v[12:13], v[12:13], v[64:65]
	v_fma_f64 v[2:3], v[2:3], v[94:95], -v[70:71]
	s_delay_alu instid0(VALU_DEP_3) | instskip(NEXT) | instid1(VALU_DEP_3)
	v_add_f64_e32 v[4:5], v[10:11], v[8:9]
	v_add_f64_e32 v[8:9], v[12:13], v[72:73]
	s_delay_alu instid0(VALU_DEP_2) | instskip(NEXT) | instid1(VALU_DEP_2)
	v_add_f64_e32 v[2:3], v[4:5], v[2:3]
	v_add_f64_e32 v[4:5], v[8:9], v[68:69]
	s_wait_loadcnt 0x0
	s_delay_alu instid0(VALU_DEP_2) | instskip(NEXT) | instid1(VALU_DEP_2)
	v_add_f64_e64 v[2:3], v[106:107], -v[2:3]
	v_add_f64_e64 v[4:5], v[108:109], -v[4:5]
	scratch_store_b128 off, v[2:5], off offset:208
	s_wait_xcnt 0x0
	v_cmpx_lt_u32_e32 12, v1
	s_cbranch_execz .LBB23_133
; %bb.132:
	scratch_load_b128 v[2:5], off, s33
	v_mov_b32_e32 v8, 0
	s_delay_alu instid0(VALU_DEP_1)
	v_dual_mov_b32 v9, v8 :: v_dual_mov_b32 v10, v8
	v_mov_b32_e32 v11, v8
	scratch_store_b128 off, v[8:11], off offset:192
	s_wait_loadcnt 0x0
	ds_store_b128 v6, v[2:5]
.LBB23_133:
	s_wait_xcnt 0x0
	s_or_b32 exec_lo, exec_lo, s2
	s_wait_storecnt_dscnt 0x0
	s_barrier_signal -1
	s_barrier_wait -1
	s_clause 0x9
	scratch_load_b128 v[8:11], off, off offset:208
	scratch_load_b128 v[62:65], off, off offset:224
	scratch_load_b128 v[66:69], off, off offset:240
	scratch_load_b128 v[70:73], off, off offset:256
	scratch_load_b128 v[74:77], off, off offset:272
	scratch_load_b128 v[78:81], off, off offset:288
	scratch_load_b128 v[82:85], off, off offset:304
	scratch_load_b128 v[86:89], off, off offset:320
	scratch_load_b128 v[90:93], off, off offset:336
	scratch_load_b128 v[94:97], off, off offset:352
	v_mov_b32_e32 v2, 0
	s_mov_b32 s2, exec_lo
	ds_load_b128 v[98:101], v2 offset:592
	s_clause 0x1
	scratch_load_b128 v[102:105], off, off offset:368
	scratch_load_b128 v[106:109], off, off offset:192
	s_wait_loadcnt_dscnt 0xb00
	v_mul_f64_e32 v[4:5], v[100:101], v[10:11]
	v_mul_f64_e32 v[12:13], v[98:99], v[10:11]
	ds_load_b128 v[110:113], v2 offset:608
	s_wait_loadcnt_dscnt 0xa00
	v_mul_f64_e32 v[114:115], v[110:111], v[64:65]
	v_mul_f64_e32 v[64:65], v[112:113], v[64:65]
	v_fma_f64 v[4:5], v[98:99], v[8:9], -v[4:5]
	v_fmac_f64_e32 v[12:13], v[100:101], v[8:9]
	ds_load_b128 v[8:11], v2 offset:624
	ds_load_b128 v[98:101], v2 offset:640
	s_wait_loadcnt_dscnt 0x901
	v_mul_f64_e32 v[116:117], v[8:9], v[68:69]
	v_mul_f64_e32 v[68:69], v[10:11], v[68:69]
	v_fmac_f64_e32 v[114:115], v[112:113], v[62:63]
	v_fma_f64 v[62:63], v[110:111], v[62:63], -v[64:65]
	s_wait_loadcnt_dscnt 0x800
	v_mul_f64_e32 v[110:111], v[98:99], v[72:73]
	v_mul_f64_e32 v[72:73], v[100:101], v[72:73]
	v_add_f64_e32 v[4:5], 0, v[4:5]
	v_add_f64_e32 v[12:13], 0, v[12:13]
	v_fmac_f64_e32 v[116:117], v[10:11], v[66:67]
	v_fma_f64 v[66:67], v[8:9], v[66:67], -v[68:69]
	v_fmac_f64_e32 v[110:111], v[100:101], v[70:71]
	v_fma_f64 v[70:71], v[98:99], v[70:71], -v[72:73]
	v_add_f64_e32 v[4:5], v[4:5], v[62:63]
	v_add_f64_e32 v[12:13], v[12:13], v[114:115]
	ds_load_b128 v[8:11], v2 offset:656
	ds_load_b128 v[62:65], v2 offset:672
	s_wait_loadcnt_dscnt 0x701
	v_mul_f64_e32 v[112:113], v[8:9], v[76:77]
	v_mul_f64_e32 v[68:69], v[10:11], v[76:77]
	s_wait_loadcnt_dscnt 0x600
	v_mul_f64_e32 v[72:73], v[62:63], v[80:81]
	v_mul_f64_e32 v[76:77], v[64:65], v[80:81]
	v_add_f64_e32 v[4:5], v[4:5], v[66:67]
	v_add_f64_e32 v[12:13], v[12:13], v[116:117]
	v_fmac_f64_e32 v[112:113], v[10:11], v[74:75]
	v_fma_f64 v[74:75], v[8:9], v[74:75], -v[68:69]
	ds_load_b128 v[8:11], v2 offset:688
	ds_load_b128 v[66:69], v2 offset:704
	v_fmac_f64_e32 v[72:73], v[64:65], v[78:79]
	v_fma_f64 v[62:63], v[62:63], v[78:79], -v[76:77]
	v_add_f64_e32 v[4:5], v[4:5], v[70:71]
	v_add_f64_e32 v[12:13], v[12:13], v[110:111]
	s_wait_loadcnt_dscnt 0x501
	v_mul_f64_e32 v[70:71], v[8:9], v[84:85]
	v_mul_f64_e32 v[80:81], v[10:11], v[84:85]
	s_wait_loadcnt_dscnt 0x400
	v_mul_f64_e32 v[76:77], v[68:69], v[88:89]
	v_add_f64_e32 v[4:5], v[4:5], v[74:75]
	v_add_f64_e32 v[12:13], v[12:13], v[112:113]
	v_mul_f64_e32 v[74:75], v[66:67], v[88:89]
	v_fmac_f64_e32 v[70:71], v[10:11], v[82:83]
	v_fma_f64 v[78:79], v[8:9], v[82:83], -v[80:81]
	v_fma_f64 v[66:67], v[66:67], v[86:87], -v[76:77]
	v_add_f64_e32 v[4:5], v[4:5], v[62:63]
	v_add_f64_e32 v[12:13], v[12:13], v[72:73]
	ds_load_b128 v[8:11], v2 offset:720
	ds_load_b128 v[62:65], v2 offset:736
	v_fmac_f64_e32 v[74:75], v[68:69], v[86:87]
	s_wait_loadcnt_dscnt 0x301
	v_mul_f64_e32 v[72:73], v[8:9], v[92:93]
	v_mul_f64_e32 v[80:81], v[10:11], v[92:93]
	s_wait_loadcnt_dscnt 0x200
	v_mul_f64_e32 v[68:69], v[62:63], v[96:97]
	v_add_f64_e32 v[4:5], v[4:5], v[78:79]
	v_add_f64_e32 v[12:13], v[12:13], v[70:71]
	v_mul_f64_e32 v[70:71], v[64:65], v[96:97]
	v_fmac_f64_e32 v[72:73], v[10:11], v[90:91]
	v_fma_f64 v[76:77], v[8:9], v[90:91], -v[80:81]
	ds_load_b128 v[8:11], v2 offset:752
	v_fmac_f64_e32 v[68:69], v[64:65], v[94:95]
	v_add_f64_e32 v[4:5], v[4:5], v[66:67]
	v_add_f64_e32 v[12:13], v[12:13], v[74:75]
	v_fma_f64 v[62:63], v[62:63], v[94:95], -v[70:71]
	s_wait_loadcnt_dscnt 0x100
	v_mul_f64_e32 v[66:67], v[8:9], v[104:105]
	v_mul_f64_e32 v[74:75], v[10:11], v[104:105]
	v_add_f64_e32 v[4:5], v[4:5], v[76:77]
	v_add_f64_e32 v[12:13], v[12:13], v[72:73]
	s_delay_alu instid0(VALU_DEP_4) | instskip(NEXT) | instid1(VALU_DEP_4)
	v_fmac_f64_e32 v[66:67], v[10:11], v[102:103]
	v_fma_f64 v[8:9], v[8:9], v[102:103], -v[74:75]
	s_delay_alu instid0(VALU_DEP_4) | instskip(NEXT) | instid1(VALU_DEP_4)
	v_add_f64_e32 v[4:5], v[4:5], v[62:63]
	v_add_f64_e32 v[10:11], v[12:13], v[68:69]
	s_delay_alu instid0(VALU_DEP_2) | instskip(NEXT) | instid1(VALU_DEP_2)
	v_add_f64_e32 v[4:5], v[4:5], v[8:9]
	v_add_f64_e32 v[10:11], v[10:11], v[66:67]
	s_wait_loadcnt 0x0
	s_delay_alu instid0(VALU_DEP_2) | instskip(NEXT) | instid1(VALU_DEP_2)
	v_add_f64_e64 v[8:9], v[106:107], -v[4:5]
	v_add_f64_e64 v[10:11], v[108:109], -v[10:11]
	scratch_store_b128 off, v[8:11], off offset:192
	s_wait_xcnt 0x0
	v_cmpx_lt_u32_e32 11, v1
	s_cbranch_execz .LBB23_135
; %bb.134:
	scratch_load_b128 v[8:11], off, s30
	v_dual_mov_b32 v3, v2 :: v_dual_mov_b32 v4, v2
	v_mov_b32_e32 v5, v2
	scratch_store_b128 off, v[2:5], off offset:176
	s_wait_loadcnt 0x0
	ds_store_b128 v6, v[8:11]
.LBB23_135:
	s_wait_xcnt 0x0
	s_or_b32 exec_lo, exec_lo, s2
	s_wait_storecnt_dscnt 0x0
	s_barrier_signal -1
	s_barrier_wait -1
	s_clause 0x9
	scratch_load_b128 v[8:11], off, off offset:192
	scratch_load_b128 v[62:65], off, off offset:208
	;; [unrolled: 1-line block ×10, first 2 shown]
	ds_load_b128 v[98:101], v2 offset:576
	ds_load_b128 v[106:109], v2 offset:592
	s_clause 0x1
	scratch_load_b128 v[102:105], off, off offset:352
	scratch_load_b128 v[110:113], off, off offset:176
	s_mov_b32 s2, exec_lo
	s_wait_loadcnt_dscnt 0xb01
	v_mul_f64_e32 v[4:5], v[100:101], v[10:11]
	v_mul_f64_e32 v[118:119], v[98:99], v[10:11]
	scratch_load_b128 v[10:13], off, off offset:368
	s_wait_loadcnt_dscnt 0xb00
	v_mul_f64_e32 v[120:121], v[106:107], v[64:65]
	v_mul_f64_e32 v[64:65], v[108:109], v[64:65]
	v_fma_f64 v[4:5], v[98:99], v[8:9], -v[4:5]
	v_fmac_f64_e32 v[118:119], v[100:101], v[8:9]
	ds_load_b128 v[98:101], v2 offset:608
	ds_load_b128 v[114:117], v2 offset:624
	v_fmac_f64_e32 v[120:121], v[108:109], v[62:63]
	v_fma_f64 v[62:63], v[106:107], v[62:63], -v[64:65]
	s_wait_loadcnt_dscnt 0xa01
	v_mul_f64_e32 v[8:9], v[98:99], v[68:69]
	v_mul_f64_e32 v[68:69], v[100:101], v[68:69]
	s_wait_loadcnt_dscnt 0x900
	v_mul_f64_e32 v[106:107], v[114:115], v[72:73]
	v_mul_f64_e32 v[72:73], v[116:117], v[72:73]
	v_add_f64_e32 v[4:5], 0, v[4:5]
	v_add_f64_e32 v[64:65], 0, v[118:119]
	v_fmac_f64_e32 v[8:9], v[100:101], v[66:67]
	v_fma_f64 v[98:99], v[98:99], v[66:67], -v[68:69]
	v_fmac_f64_e32 v[106:107], v[116:117], v[70:71]
	v_fma_f64 v[70:71], v[114:115], v[70:71], -v[72:73]
	v_add_f64_e32 v[4:5], v[4:5], v[62:63]
	v_add_f64_e32 v[100:101], v[64:65], v[120:121]
	ds_load_b128 v[62:65], v2 offset:640
	ds_load_b128 v[66:69], v2 offset:656
	s_wait_loadcnt_dscnt 0x801
	v_mul_f64_e32 v[108:109], v[62:63], v[76:77]
	v_mul_f64_e32 v[76:77], v[64:65], v[76:77]
	v_add_f64_e32 v[4:5], v[4:5], v[98:99]
	v_add_f64_e32 v[8:9], v[100:101], v[8:9]
	s_wait_loadcnt_dscnt 0x700
	v_mul_f64_e32 v[98:99], v[66:67], v[80:81]
	v_mul_f64_e32 v[80:81], v[68:69], v[80:81]
	v_fmac_f64_e32 v[108:109], v[64:65], v[74:75]
	v_fma_f64 v[74:75], v[62:63], v[74:75], -v[76:77]
	v_add_f64_e32 v[4:5], v[4:5], v[70:71]
	v_add_f64_e32 v[8:9], v[8:9], v[106:107]
	ds_load_b128 v[62:65], v2 offset:672
	ds_load_b128 v[70:73], v2 offset:688
	v_fmac_f64_e32 v[98:99], v[68:69], v[78:79]
	v_fma_f64 v[66:67], v[66:67], v[78:79], -v[80:81]
	s_wait_loadcnt_dscnt 0x601
	v_mul_f64_e32 v[76:77], v[62:63], v[84:85]
	v_mul_f64_e32 v[84:85], v[64:65], v[84:85]
	s_wait_loadcnt_dscnt 0x500
	v_mul_f64_e32 v[78:79], v[72:73], v[88:89]
	v_add_f64_e32 v[4:5], v[4:5], v[74:75]
	v_add_f64_e32 v[8:9], v[8:9], v[108:109]
	v_mul_f64_e32 v[74:75], v[70:71], v[88:89]
	v_fmac_f64_e32 v[76:77], v[64:65], v[82:83]
	v_fma_f64 v[80:81], v[62:63], v[82:83], -v[84:85]
	v_fma_f64 v[70:71], v[70:71], v[86:87], -v[78:79]
	v_add_f64_e32 v[4:5], v[4:5], v[66:67]
	v_add_f64_e32 v[8:9], v[8:9], v[98:99]
	ds_load_b128 v[62:65], v2 offset:704
	ds_load_b128 v[66:69], v2 offset:720
	v_fmac_f64_e32 v[74:75], v[72:73], v[86:87]
	s_wait_loadcnt_dscnt 0x401
	v_mul_f64_e32 v[82:83], v[62:63], v[92:93]
	v_mul_f64_e32 v[84:85], v[64:65], v[92:93]
	s_wait_loadcnt_dscnt 0x300
	v_mul_f64_e32 v[72:73], v[66:67], v[96:97]
	v_add_f64_e32 v[4:5], v[4:5], v[80:81]
	v_add_f64_e32 v[8:9], v[8:9], v[76:77]
	v_mul_f64_e32 v[76:77], v[68:69], v[96:97]
	v_fmac_f64_e32 v[82:83], v[64:65], v[90:91]
	v_fma_f64 v[78:79], v[62:63], v[90:91], -v[84:85]
	v_fmac_f64_e32 v[72:73], v[68:69], v[94:95]
	v_add_f64_e32 v[70:71], v[4:5], v[70:71]
	v_add_f64_e32 v[8:9], v[8:9], v[74:75]
	ds_load_b128 v[62:65], v2 offset:736
	ds_load_b128 v[2:5], v2 offset:752
	v_fma_f64 v[66:67], v[66:67], v[94:95], -v[76:77]
	s_wait_loadcnt_dscnt 0x201
	v_mul_f64_e32 v[74:75], v[62:63], v[104:105]
	v_mul_f64_e32 v[80:81], v[64:65], v[104:105]
	v_add_f64_e32 v[68:69], v[70:71], v[78:79]
	v_add_f64_e32 v[8:9], v[8:9], v[82:83]
	s_wait_loadcnt_dscnt 0x0
	v_mul_f64_e32 v[70:71], v[2:3], v[12:13]
	v_mul_f64_e32 v[12:13], v[4:5], v[12:13]
	v_fmac_f64_e32 v[74:75], v[64:65], v[102:103]
	v_fma_f64 v[62:63], v[62:63], v[102:103], -v[80:81]
	v_add_f64_e32 v[64:65], v[68:69], v[66:67]
	v_add_f64_e32 v[8:9], v[8:9], v[72:73]
	v_fmac_f64_e32 v[70:71], v[4:5], v[10:11]
	v_fma_f64 v[2:3], v[2:3], v[10:11], -v[12:13]
	s_delay_alu instid0(VALU_DEP_4) | instskip(NEXT) | instid1(VALU_DEP_4)
	v_add_f64_e32 v[4:5], v[64:65], v[62:63]
	v_add_f64_e32 v[8:9], v[8:9], v[74:75]
	s_delay_alu instid0(VALU_DEP_2) | instskip(NEXT) | instid1(VALU_DEP_2)
	v_add_f64_e32 v[2:3], v[4:5], v[2:3]
	v_add_f64_e32 v[4:5], v[8:9], v[70:71]
	s_delay_alu instid0(VALU_DEP_2) | instskip(NEXT) | instid1(VALU_DEP_2)
	v_add_f64_e64 v[2:3], v[110:111], -v[2:3]
	v_add_f64_e64 v[4:5], v[112:113], -v[4:5]
	scratch_store_b128 off, v[2:5], off offset:176
	s_wait_xcnt 0x0
	v_cmpx_lt_u32_e32 10, v1
	s_cbranch_execz .LBB23_137
; %bb.136:
	scratch_load_b128 v[2:5], off, s27
	v_mov_b32_e32 v8, 0
	s_delay_alu instid0(VALU_DEP_1)
	v_dual_mov_b32 v9, v8 :: v_dual_mov_b32 v10, v8
	v_mov_b32_e32 v11, v8
	scratch_store_b128 off, v[8:11], off offset:160
	s_wait_loadcnt 0x0
	ds_store_b128 v6, v[2:5]
.LBB23_137:
	s_wait_xcnt 0x0
	s_or_b32 exec_lo, exec_lo, s2
	s_wait_storecnt_dscnt 0x0
	s_barrier_signal -1
	s_barrier_wait -1
	s_clause 0x9
	scratch_load_b128 v[8:11], off, off offset:176
	scratch_load_b128 v[62:65], off, off offset:192
	;; [unrolled: 1-line block ×10, first 2 shown]
	v_mov_b32_e32 v2, 0
	s_mov_b32 s2, exec_lo
	ds_load_b128 v[98:101], v2 offset:560
	s_clause 0x2
	scratch_load_b128 v[102:105], off, off offset:336
	scratch_load_b128 v[106:109], off, off offset:160
	scratch_load_b128 v[114:117], off, off offset:368
	s_wait_loadcnt_dscnt 0xc00
	v_mul_f64_e32 v[4:5], v[100:101], v[10:11]
	v_mul_f64_e32 v[122:123], v[98:99], v[10:11]
	ds_load_b128 v[110:113], v2 offset:576
	scratch_load_b128 v[10:13], off, off offset:352
	ds_load_b128 v[118:121], v2 offset:608
	v_fma_f64 v[4:5], v[98:99], v[8:9], -v[4:5]
	v_fmac_f64_e32 v[122:123], v[100:101], v[8:9]
	ds_load_b128 v[98:101], v2 offset:592
	s_wait_loadcnt_dscnt 0xc02
	v_mul_f64_e32 v[124:125], v[110:111], v[64:65]
	v_mul_f64_e32 v[64:65], v[112:113], v[64:65]
	s_wait_loadcnt_dscnt 0xb00
	v_mul_f64_e32 v[8:9], v[98:99], v[68:69]
	v_mul_f64_e32 v[68:69], v[100:101], v[68:69]
	v_add_f64_e32 v[4:5], 0, v[4:5]
	v_fmac_f64_e32 v[124:125], v[112:113], v[62:63]
	v_fma_f64 v[62:63], v[110:111], v[62:63], -v[64:65]
	v_add_f64_e32 v[64:65], 0, v[122:123]
	s_wait_loadcnt 0xa
	v_mul_f64_e32 v[110:111], v[118:119], v[72:73]
	v_mul_f64_e32 v[72:73], v[120:121], v[72:73]
	v_fmac_f64_e32 v[8:9], v[100:101], v[66:67]
	v_fma_f64 v[98:99], v[98:99], v[66:67], -v[68:69]
	v_add_f64_e32 v[4:5], v[4:5], v[62:63]
	v_add_f64_e32 v[100:101], v[64:65], v[124:125]
	ds_load_b128 v[62:65], v2 offset:624
	ds_load_b128 v[66:69], v2 offset:640
	v_fmac_f64_e32 v[110:111], v[120:121], v[70:71]
	v_fma_f64 v[70:71], v[118:119], v[70:71], -v[72:73]
	s_wait_loadcnt_dscnt 0x901
	v_mul_f64_e32 v[112:113], v[62:63], v[76:77]
	v_mul_f64_e32 v[76:77], v[64:65], v[76:77]
	v_add_f64_e32 v[4:5], v[4:5], v[98:99]
	v_add_f64_e32 v[8:9], v[100:101], v[8:9]
	s_wait_loadcnt_dscnt 0x800
	v_mul_f64_e32 v[98:99], v[66:67], v[80:81]
	v_mul_f64_e32 v[80:81], v[68:69], v[80:81]
	v_fmac_f64_e32 v[112:113], v[64:65], v[74:75]
	v_fma_f64 v[74:75], v[62:63], v[74:75], -v[76:77]
	v_add_f64_e32 v[4:5], v[4:5], v[70:71]
	v_add_f64_e32 v[8:9], v[8:9], v[110:111]
	ds_load_b128 v[62:65], v2 offset:656
	ds_load_b128 v[70:73], v2 offset:672
	v_fmac_f64_e32 v[98:99], v[68:69], v[78:79]
	v_fma_f64 v[66:67], v[66:67], v[78:79], -v[80:81]
	s_wait_loadcnt_dscnt 0x701
	v_mul_f64_e32 v[76:77], v[62:63], v[84:85]
	v_mul_f64_e32 v[84:85], v[64:65], v[84:85]
	s_wait_loadcnt_dscnt 0x600
	v_mul_f64_e32 v[78:79], v[72:73], v[88:89]
	v_add_f64_e32 v[4:5], v[4:5], v[74:75]
	v_add_f64_e32 v[8:9], v[8:9], v[112:113]
	v_mul_f64_e32 v[74:75], v[70:71], v[88:89]
	v_fmac_f64_e32 v[76:77], v[64:65], v[82:83]
	v_fma_f64 v[80:81], v[62:63], v[82:83], -v[84:85]
	v_fma_f64 v[70:71], v[70:71], v[86:87], -v[78:79]
	v_add_f64_e32 v[4:5], v[4:5], v[66:67]
	v_add_f64_e32 v[8:9], v[8:9], v[98:99]
	ds_load_b128 v[62:65], v2 offset:688
	ds_load_b128 v[66:69], v2 offset:704
	v_fmac_f64_e32 v[74:75], v[72:73], v[86:87]
	s_wait_loadcnt_dscnt 0x501
	v_mul_f64_e32 v[82:83], v[62:63], v[92:93]
	v_mul_f64_e32 v[84:85], v[64:65], v[92:93]
	s_wait_loadcnt_dscnt 0x400
	v_mul_f64_e32 v[78:79], v[68:69], v[96:97]
	v_add_f64_e32 v[4:5], v[4:5], v[80:81]
	v_add_f64_e32 v[8:9], v[8:9], v[76:77]
	v_mul_f64_e32 v[76:77], v[66:67], v[96:97]
	v_fmac_f64_e32 v[82:83], v[64:65], v[90:91]
	v_fma_f64 v[80:81], v[62:63], v[90:91], -v[84:85]
	v_fma_f64 v[66:67], v[66:67], v[94:95], -v[78:79]
	v_add_f64_e32 v[4:5], v[4:5], v[70:71]
	v_add_f64_e32 v[8:9], v[8:9], v[74:75]
	ds_load_b128 v[62:65], v2 offset:720
	ds_load_b128 v[70:73], v2 offset:736
	v_fmac_f64_e32 v[76:77], v[68:69], v[94:95]
	s_wait_loadcnt_dscnt 0x301
	v_mul_f64_e32 v[74:75], v[62:63], v[104:105]
	v_mul_f64_e32 v[84:85], v[64:65], v[104:105]
	s_wait_loadcnt_dscnt 0x0
	v_mul_f64_e32 v[68:69], v[70:71], v[12:13]
	v_add_f64_e32 v[4:5], v[4:5], v[80:81]
	v_add_f64_e32 v[8:9], v[8:9], v[82:83]
	v_mul_f64_e32 v[12:13], v[72:73], v[12:13]
	v_fmac_f64_e32 v[74:75], v[64:65], v[102:103]
	v_fma_f64 v[78:79], v[62:63], v[102:103], -v[84:85]
	ds_load_b128 v[62:65], v2 offset:752
	v_fmac_f64_e32 v[68:69], v[72:73], v[10:11]
	v_add_f64_e32 v[4:5], v[4:5], v[66:67]
	v_add_f64_e32 v[8:9], v[8:9], v[76:77]
	v_fma_f64 v[10:11], v[70:71], v[10:11], -v[12:13]
	s_wait_dscnt 0x0
	v_mul_f64_e32 v[66:67], v[62:63], v[116:117]
	v_mul_f64_e32 v[76:77], v[64:65], v[116:117]
	v_add_f64_e32 v[4:5], v[4:5], v[78:79]
	v_add_f64_e32 v[8:9], v[8:9], v[74:75]
	s_delay_alu instid0(VALU_DEP_4) | instskip(NEXT) | instid1(VALU_DEP_4)
	v_fmac_f64_e32 v[66:67], v[64:65], v[114:115]
	v_fma_f64 v[12:13], v[62:63], v[114:115], -v[76:77]
	s_delay_alu instid0(VALU_DEP_4) | instskip(NEXT) | instid1(VALU_DEP_4)
	v_add_f64_e32 v[4:5], v[4:5], v[10:11]
	v_add_f64_e32 v[8:9], v[8:9], v[68:69]
	s_delay_alu instid0(VALU_DEP_2) | instskip(NEXT) | instid1(VALU_DEP_2)
	v_add_f64_e32 v[4:5], v[4:5], v[12:13]
	v_add_f64_e32 v[10:11], v[8:9], v[66:67]
	s_delay_alu instid0(VALU_DEP_2) | instskip(NEXT) | instid1(VALU_DEP_2)
	v_add_f64_e64 v[8:9], v[106:107], -v[4:5]
	v_add_f64_e64 v[10:11], v[108:109], -v[10:11]
	scratch_store_b128 off, v[8:11], off offset:160
	s_wait_xcnt 0x0
	v_cmpx_lt_u32_e32 9, v1
	s_cbranch_execz .LBB23_139
; %bb.138:
	scratch_load_b128 v[8:11], off, s25
	v_dual_mov_b32 v3, v2 :: v_dual_mov_b32 v4, v2
	v_mov_b32_e32 v5, v2
	scratch_store_b128 off, v[2:5], off offset:144
	s_wait_loadcnt 0x0
	ds_store_b128 v6, v[8:11]
.LBB23_139:
	s_wait_xcnt 0x0
	s_or_b32 exec_lo, exec_lo, s2
	s_wait_storecnt_dscnt 0x0
	s_barrier_signal -1
	s_barrier_wait -1
	s_clause 0x9
	scratch_load_b128 v[8:11], off, off offset:160
	scratch_load_b128 v[62:65], off, off offset:176
	;; [unrolled: 1-line block ×10, first 2 shown]
	ds_load_b128 v[98:101], v2 offset:544
	ds_load_b128 v[106:109], v2 offset:560
	s_clause 0x1
	scratch_load_b128 v[102:105], off, off offset:320
	scratch_load_b128 v[110:113], off, off offset:144
	s_mov_b32 s2, exec_lo
	s_wait_loadcnt_dscnt 0xb01
	v_mul_f64_e32 v[4:5], v[100:101], v[10:11]
	v_mul_f64_e32 v[122:123], v[98:99], v[10:11]
	scratch_load_b128 v[10:13], off, off offset:336
	s_wait_loadcnt_dscnt 0xb00
	v_mul_f64_e32 v[124:125], v[106:107], v[64:65]
	v_mul_f64_e32 v[64:65], v[108:109], v[64:65]
	v_fma_f64 v[4:5], v[98:99], v[8:9], -v[4:5]
	v_fmac_f64_e32 v[122:123], v[100:101], v[8:9]
	ds_load_b128 v[98:101], v2 offset:576
	ds_load_b128 v[114:117], v2 offset:592
	scratch_load_b128 v[118:121], off, off offset:352
	v_fmac_f64_e32 v[124:125], v[108:109], v[62:63]
	v_fma_f64 v[106:107], v[106:107], v[62:63], -v[64:65]
	scratch_load_b128 v[62:65], off, off offset:368
	s_wait_loadcnt_dscnt 0xc01
	v_mul_f64_e32 v[8:9], v[98:99], v[68:69]
	v_mul_f64_e32 v[68:69], v[100:101], v[68:69]
	v_add_f64_e32 v[4:5], 0, v[4:5]
	v_add_f64_e32 v[108:109], 0, v[122:123]
	s_wait_loadcnt_dscnt 0xb00
	v_mul_f64_e32 v[122:123], v[114:115], v[72:73]
	v_mul_f64_e32 v[72:73], v[116:117], v[72:73]
	v_fmac_f64_e32 v[8:9], v[100:101], v[66:67]
	v_fma_f64 v[126:127], v[98:99], v[66:67], -v[68:69]
	ds_load_b128 v[66:69], v2 offset:608
	ds_load_b128 v[98:101], v2 offset:624
	v_add_f64_e32 v[4:5], v[4:5], v[106:107]
	v_add_f64_e32 v[106:107], v[108:109], v[124:125]
	v_fmac_f64_e32 v[122:123], v[116:117], v[70:71]
	v_fma_f64 v[70:71], v[114:115], v[70:71], -v[72:73]
	s_wait_loadcnt_dscnt 0xa01
	v_mul_f64_e32 v[108:109], v[66:67], v[76:77]
	v_mul_f64_e32 v[76:77], v[68:69], v[76:77]
	v_add_f64_e32 v[4:5], v[4:5], v[126:127]
	v_add_f64_e32 v[8:9], v[106:107], v[8:9]
	s_wait_loadcnt_dscnt 0x900
	v_mul_f64_e32 v[106:107], v[98:99], v[80:81]
	v_mul_f64_e32 v[80:81], v[100:101], v[80:81]
	v_fmac_f64_e32 v[108:109], v[68:69], v[74:75]
	v_fma_f64 v[74:75], v[66:67], v[74:75], -v[76:77]
	v_add_f64_e32 v[4:5], v[4:5], v[70:71]
	v_add_f64_e32 v[8:9], v[8:9], v[122:123]
	ds_load_b128 v[66:69], v2 offset:640
	ds_load_b128 v[70:73], v2 offset:656
	v_fmac_f64_e32 v[106:107], v[100:101], v[78:79]
	v_fma_f64 v[78:79], v[98:99], v[78:79], -v[80:81]
	s_wait_loadcnt_dscnt 0x801
	v_mul_f64_e32 v[114:115], v[66:67], v[84:85]
	v_mul_f64_e32 v[76:77], v[68:69], v[84:85]
	s_wait_loadcnt_dscnt 0x700
	v_mul_f64_e32 v[80:81], v[70:71], v[88:89]
	v_mul_f64_e32 v[84:85], v[72:73], v[88:89]
	v_add_f64_e32 v[4:5], v[4:5], v[74:75]
	v_add_f64_e32 v[8:9], v[8:9], v[108:109]
	v_fmac_f64_e32 v[114:115], v[68:69], v[82:83]
	v_fma_f64 v[82:83], v[66:67], v[82:83], -v[76:77]
	ds_load_b128 v[66:69], v2 offset:672
	ds_load_b128 v[74:77], v2 offset:688
	v_fmac_f64_e32 v[80:81], v[72:73], v[86:87]
	v_fma_f64 v[70:71], v[70:71], v[86:87], -v[84:85]
	v_add_f64_e32 v[4:5], v[4:5], v[78:79]
	v_add_f64_e32 v[8:9], v[8:9], v[106:107]
	s_wait_loadcnt_dscnt 0x601
	v_mul_f64_e32 v[78:79], v[66:67], v[92:93]
	v_mul_f64_e32 v[88:89], v[68:69], v[92:93]
	s_wait_loadcnt_dscnt 0x500
	v_mul_f64_e32 v[84:85], v[76:77], v[96:97]
	v_add_f64_e32 v[4:5], v[4:5], v[82:83]
	v_add_f64_e32 v[8:9], v[8:9], v[114:115]
	v_mul_f64_e32 v[82:83], v[74:75], v[96:97]
	v_fmac_f64_e32 v[78:79], v[68:69], v[90:91]
	v_fma_f64 v[86:87], v[66:67], v[90:91], -v[88:89]
	v_fma_f64 v[74:75], v[74:75], v[94:95], -v[84:85]
	v_add_f64_e32 v[4:5], v[4:5], v[70:71]
	v_add_f64_e32 v[8:9], v[8:9], v[80:81]
	ds_load_b128 v[66:69], v2 offset:704
	ds_load_b128 v[70:73], v2 offset:720
	v_fmac_f64_e32 v[82:83], v[76:77], v[94:95]
	s_wait_loadcnt_dscnt 0x401
	v_mul_f64_e32 v[80:81], v[66:67], v[104:105]
	v_mul_f64_e32 v[88:89], v[68:69], v[104:105]
	v_add_f64_e32 v[4:5], v[4:5], v[86:87]
	v_add_f64_e32 v[8:9], v[8:9], v[78:79]
	s_wait_loadcnt_dscnt 0x200
	v_mul_f64_e32 v[76:77], v[70:71], v[12:13]
	v_mul_f64_e32 v[12:13], v[72:73], v[12:13]
	v_fmac_f64_e32 v[80:81], v[68:69], v[102:103]
	v_fma_f64 v[78:79], v[66:67], v[102:103], -v[88:89]
	v_add_f64_e32 v[74:75], v[4:5], v[74:75]
	v_add_f64_e32 v[8:9], v[8:9], v[82:83]
	ds_load_b128 v[66:69], v2 offset:736
	ds_load_b128 v[2:5], v2 offset:752
	v_fmac_f64_e32 v[76:77], v[72:73], v[10:11]
	v_fma_f64 v[10:11], v[70:71], v[10:11], -v[12:13]
	s_wait_loadcnt_dscnt 0x101
	v_mul_f64_e32 v[82:83], v[66:67], v[120:121]
	v_mul_f64_e32 v[84:85], v[68:69], v[120:121]
	s_wait_loadcnt_dscnt 0x0
	v_mul_f64_e32 v[70:71], v[2:3], v[64:65]
	v_mul_f64_e32 v[64:65], v[4:5], v[64:65]
	v_add_f64_e32 v[12:13], v[74:75], v[78:79]
	v_add_f64_e32 v[8:9], v[8:9], v[80:81]
	v_fmac_f64_e32 v[82:83], v[68:69], v[118:119]
	v_fma_f64 v[66:67], v[66:67], v[118:119], -v[84:85]
	v_fmac_f64_e32 v[70:71], v[4:5], v[62:63]
	v_fma_f64 v[2:3], v[2:3], v[62:63], -v[64:65]
	v_add_f64_e32 v[10:11], v[12:13], v[10:11]
	v_add_f64_e32 v[8:9], v[8:9], v[76:77]
	s_delay_alu instid0(VALU_DEP_2) | instskip(NEXT) | instid1(VALU_DEP_2)
	v_add_f64_e32 v[4:5], v[10:11], v[66:67]
	v_add_f64_e32 v[8:9], v[8:9], v[82:83]
	s_delay_alu instid0(VALU_DEP_2) | instskip(NEXT) | instid1(VALU_DEP_2)
	;; [unrolled: 3-line block ×3, first 2 shown]
	v_add_f64_e64 v[2:3], v[110:111], -v[2:3]
	v_add_f64_e64 v[4:5], v[112:113], -v[4:5]
	scratch_store_b128 off, v[2:5], off offset:144
	s_wait_xcnt 0x0
	v_cmpx_lt_u32_e32 8, v1
	s_cbranch_execz .LBB23_141
; %bb.140:
	scratch_load_b128 v[2:5], off, s23
	v_mov_b32_e32 v8, 0
	s_delay_alu instid0(VALU_DEP_1)
	v_dual_mov_b32 v9, v8 :: v_dual_mov_b32 v10, v8
	v_mov_b32_e32 v11, v8
	scratch_store_b128 off, v[8:11], off offset:128
	s_wait_loadcnt 0x0
	ds_store_b128 v6, v[2:5]
.LBB23_141:
	s_wait_xcnt 0x0
	s_or_b32 exec_lo, exec_lo, s2
	s_wait_storecnt_dscnt 0x0
	s_barrier_signal -1
	s_barrier_wait -1
	s_clause 0x9
	scratch_load_b128 v[8:11], off, off offset:144
	scratch_load_b128 v[62:65], off, off offset:160
	;; [unrolled: 1-line block ×10, first 2 shown]
	v_mov_b32_e32 v2, 0
	s_mov_b32 s2, exec_lo
	ds_load_b128 v[98:101], v2 offset:528
	s_clause 0x2
	scratch_load_b128 v[102:105], off, off offset:304
	scratch_load_b128 v[106:109], off, off offset:128
	;; [unrolled: 1-line block ×3, first 2 shown]
	s_wait_loadcnt_dscnt 0xc00
	v_mul_f64_e32 v[4:5], v[100:101], v[10:11]
	v_mul_f64_e32 v[122:123], v[98:99], v[10:11]
	ds_load_b128 v[110:113], v2 offset:544
	scratch_load_b128 v[10:13], off, off offset:320
	ds_load_b128 v[118:121], v2 offset:576
	v_fma_f64 v[4:5], v[98:99], v[8:9], -v[4:5]
	v_fmac_f64_e32 v[122:123], v[100:101], v[8:9]
	ds_load_b128 v[98:101], v2 offset:560
	s_wait_loadcnt_dscnt 0xc02
	v_mul_f64_e32 v[124:125], v[110:111], v[64:65]
	v_mul_f64_e32 v[64:65], v[112:113], v[64:65]
	s_wait_loadcnt_dscnt 0xb00
	v_mul_f64_e32 v[8:9], v[98:99], v[68:69]
	v_mul_f64_e32 v[68:69], v[100:101], v[68:69]
	v_add_f64_e32 v[4:5], 0, v[4:5]
	v_fmac_f64_e32 v[124:125], v[112:113], v[62:63]
	v_fma_f64 v[110:111], v[110:111], v[62:63], -v[64:65]
	v_add_f64_e32 v[112:113], 0, v[122:123]
	scratch_load_b128 v[62:65], off, off offset:352
	v_fmac_f64_e32 v[8:9], v[100:101], v[66:67]
	v_fma_f64 v[126:127], v[98:99], v[66:67], -v[68:69]
	ds_load_b128 v[66:69], v2 offset:592
	s_wait_loadcnt 0xb
	v_mul_f64_e32 v[122:123], v[118:119], v[72:73]
	v_mul_f64_e32 v[72:73], v[120:121], v[72:73]
	scratch_load_b128 v[98:101], off, off offset:368
	v_add_f64_e32 v[4:5], v[4:5], v[110:111]
	v_add_f64_e32 v[124:125], v[112:113], v[124:125]
	ds_load_b128 v[110:113], v2 offset:608
	s_wait_loadcnt_dscnt 0xb01
	v_mul_f64_e32 v[128:129], v[66:67], v[76:77]
	v_mul_f64_e32 v[76:77], v[68:69], v[76:77]
	v_fmac_f64_e32 v[122:123], v[120:121], v[70:71]
	v_fma_f64 v[70:71], v[118:119], v[70:71], -v[72:73]
	s_wait_loadcnt_dscnt 0xa00
	v_mul_f64_e32 v[118:119], v[110:111], v[80:81]
	v_mul_f64_e32 v[80:81], v[112:113], v[80:81]
	v_add_f64_e32 v[4:5], v[4:5], v[126:127]
	v_add_f64_e32 v[8:9], v[124:125], v[8:9]
	v_fmac_f64_e32 v[128:129], v[68:69], v[74:75]
	v_fma_f64 v[74:75], v[66:67], v[74:75], -v[76:77]
	v_fmac_f64_e32 v[118:119], v[112:113], v[78:79]
	v_fma_f64 v[78:79], v[110:111], v[78:79], -v[80:81]
	v_add_f64_e32 v[4:5], v[4:5], v[70:71]
	v_add_f64_e32 v[8:9], v[8:9], v[122:123]
	ds_load_b128 v[66:69], v2 offset:624
	ds_load_b128 v[70:73], v2 offset:640
	s_wait_loadcnt_dscnt 0x901
	v_mul_f64_e32 v[120:121], v[66:67], v[84:85]
	v_mul_f64_e32 v[76:77], v[68:69], v[84:85]
	s_wait_loadcnt_dscnt 0x800
	v_mul_f64_e32 v[80:81], v[70:71], v[88:89]
	v_mul_f64_e32 v[84:85], v[72:73], v[88:89]
	v_add_f64_e32 v[4:5], v[4:5], v[74:75]
	v_add_f64_e32 v[8:9], v[8:9], v[128:129]
	v_fmac_f64_e32 v[120:121], v[68:69], v[82:83]
	v_fma_f64 v[82:83], v[66:67], v[82:83], -v[76:77]
	ds_load_b128 v[66:69], v2 offset:656
	ds_load_b128 v[74:77], v2 offset:672
	v_fmac_f64_e32 v[80:81], v[72:73], v[86:87]
	v_fma_f64 v[70:71], v[70:71], v[86:87], -v[84:85]
	v_add_f64_e32 v[4:5], v[4:5], v[78:79]
	v_add_f64_e32 v[8:9], v[8:9], v[118:119]
	s_wait_loadcnt_dscnt 0x701
	v_mul_f64_e32 v[78:79], v[66:67], v[92:93]
	v_mul_f64_e32 v[88:89], v[68:69], v[92:93]
	s_wait_loadcnt_dscnt 0x600
	v_mul_f64_e32 v[84:85], v[76:77], v[96:97]
	v_add_f64_e32 v[4:5], v[4:5], v[82:83]
	v_add_f64_e32 v[8:9], v[8:9], v[120:121]
	v_mul_f64_e32 v[82:83], v[74:75], v[96:97]
	v_fmac_f64_e32 v[78:79], v[68:69], v[90:91]
	v_fma_f64 v[86:87], v[66:67], v[90:91], -v[88:89]
	v_fma_f64 v[74:75], v[74:75], v[94:95], -v[84:85]
	v_add_f64_e32 v[4:5], v[4:5], v[70:71]
	v_add_f64_e32 v[8:9], v[8:9], v[80:81]
	ds_load_b128 v[66:69], v2 offset:688
	ds_load_b128 v[70:73], v2 offset:704
	v_fmac_f64_e32 v[82:83], v[76:77], v[94:95]
	s_wait_loadcnt_dscnt 0x501
	v_mul_f64_e32 v[80:81], v[66:67], v[104:105]
	v_mul_f64_e32 v[88:89], v[68:69], v[104:105]
	v_add_f64_e32 v[4:5], v[4:5], v[86:87]
	v_add_f64_e32 v[8:9], v[8:9], v[78:79]
	s_wait_loadcnt_dscnt 0x200
	v_mul_f64_e32 v[78:79], v[70:71], v[12:13]
	v_mul_f64_e32 v[12:13], v[72:73], v[12:13]
	v_fmac_f64_e32 v[80:81], v[68:69], v[102:103]
	v_fma_f64 v[84:85], v[66:67], v[102:103], -v[88:89]
	v_add_f64_e32 v[4:5], v[4:5], v[74:75]
	v_add_f64_e32 v[8:9], v[8:9], v[82:83]
	ds_load_b128 v[66:69], v2 offset:720
	ds_load_b128 v[74:77], v2 offset:736
	v_fmac_f64_e32 v[78:79], v[72:73], v[10:11]
	v_fma_f64 v[10:11], v[70:71], v[10:11], -v[12:13]
	s_wait_dscnt 0x1
	v_mul_f64_e32 v[82:83], v[66:67], v[116:117]
	v_mul_f64_e32 v[86:87], v[68:69], v[116:117]
	v_add_f64_e32 v[4:5], v[4:5], v[84:85]
	v_add_f64_e32 v[8:9], v[8:9], v[80:81]
	s_wait_loadcnt_dscnt 0x100
	v_mul_f64_e32 v[12:13], v[74:75], v[64:65]
	v_mul_f64_e32 v[64:65], v[76:77], v[64:65]
	v_fmac_f64_e32 v[82:83], v[68:69], v[114:115]
	v_fma_f64 v[66:67], v[66:67], v[114:115], -v[86:87]
	v_add_f64_e32 v[4:5], v[4:5], v[10:11]
	v_add_f64_e32 v[68:69], v[8:9], v[78:79]
	ds_load_b128 v[8:11], v2 offset:752
	v_fmac_f64_e32 v[12:13], v[76:77], v[62:63]
	v_fma_f64 v[62:63], v[74:75], v[62:63], -v[64:65]
	s_wait_loadcnt_dscnt 0x0
	v_mul_f64_e32 v[70:71], v[8:9], v[100:101]
	v_mul_f64_e32 v[72:73], v[10:11], v[100:101]
	v_add_f64_e32 v[4:5], v[4:5], v[66:67]
	v_add_f64_e32 v[64:65], v[68:69], v[82:83]
	s_delay_alu instid0(VALU_DEP_4) | instskip(NEXT) | instid1(VALU_DEP_4)
	v_fmac_f64_e32 v[70:71], v[10:11], v[98:99]
	v_fma_f64 v[8:9], v[8:9], v[98:99], -v[72:73]
	s_delay_alu instid0(VALU_DEP_4) | instskip(NEXT) | instid1(VALU_DEP_4)
	v_add_f64_e32 v[4:5], v[4:5], v[62:63]
	v_add_f64_e32 v[10:11], v[64:65], v[12:13]
	s_delay_alu instid0(VALU_DEP_2) | instskip(NEXT) | instid1(VALU_DEP_2)
	v_add_f64_e32 v[4:5], v[4:5], v[8:9]
	v_add_f64_e32 v[10:11], v[10:11], v[70:71]
	s_delay_alu instid0(VALU_DEP_2) | instskip(NEXT) | instid1(VALU_DEP_2)
	v_add_f64_e64 v[8:9], v[106:107], -v[4:5]
	v_add_f64_e64 v[10:11], v[108:109], -v[10:11]
	scratch_store_b128 off, v[8:11], off offset:128
	s_wait_xcnt 0x0
	v_cmpx_lt_u32_e32 7, v1
	s_cbranch_execz .LBB23_143
; %bb.142:
	scratch_load_b128 v[8:11], off, s31
	v_dual_mov_b32 v3, v2 :: v_dual_mov_b32 v4, v2
	v_mov_b32_e32 v5, v2
	scratch_store_b128 off, v[2:5], off offset:112
	s_wait_loadcnt 0x0
	ds_store_b128 v6, v[8:11]
.LBB23_143:
	s_wait_xcnt 0x0
	s_or_b32 exec_lo, exec_lo, s2
	s_wait_storecnt_dscnt 0x0
	s_barrier_signal -1
	s_barrier_wait -1
	s_clause 0x9
	scratch_load_b128 v[8:11], off, off offset:128
	scratch_load_b128 v[62:65], off, off offset:144
	;; [unrolled: 1-line block ×10, first 2 shown]
	ds_load_b128 v[98:101], v2 offset:512
	ds_load_b128 v[106:109], v2 offset:528
	s_clause 0x1
	scratch_load_b128 v[102:105], off, off offset:288
	scratch_load_b128 v[110:113], off, off offset:112
	s_mov_b32 s2, exec_lo
	s_wait_loadcnt_dscnt 0xb01
	v_mul_f64_e32 v[4:5], v[100:101], v[10:11]
	v_mul_f64_e32 v[122:123], v[98:99], v[10:11]
	scratch_load_b128 v[10:13], off, off offset:304
	s_wait_loadcnt_dscnt 0xb00
	v_mul_f64_e32 v[124:125], v[106:107], v[64:65]
	v_mul_f64_e32 v[64:65], v[108:109], v[64:65]
	v_fma_f64 v[4:5], v[98:99], v[8:9], -v[4:5]
	v_fmac_f64_e32 v[122:123], v[100:101], v[8:9]
	ds_load_b128 v[98:101], v2 offset:544
	ds_load_b128 v[114:117], v2 offset:560
	scratch_load_b128 v[118:121], off, off offset:320
	v_fmac_f64_e32 v[124:125], v[108:109], v[62:63]
	v_fma_f64 v[106:107], v[106:107], v[62:63], -v[64:65]
	scratch_load_b128 v[62:65], off, off offset:336
	s_wait_loadcnt_dscnt 0xc01
	v_mul_f64_e32 v[8:9], v[98:99], v[68:69]
	v_mul_f64_e32 v[68:69], v[100:101], v[68:69]
	v_add_f64_e32 v[4:5], 0, v[4:5]
	v_add_f64_e32 v[108:109], 0, v[122:123]
	s_wait_loadcnt_dscnt 0xb00
	v_mul_f64_e32 v[122:123], v[114:115], v[72:73]
	v_mul_f64_e32 v[72:73], v[116:117], v[72:73]
	v_fmac_f64_e32 v[8:9], v[100:101], v[66:67]
	v_fma_f64 v[126:127], v[98:99], v[66:67], -v[68:69]
	ds_load_b128 v[66:69], v2 offset:576
	ds_load_b128 v[98:101], v2 offset:592
	v_add_f64_e32 v[4:5], v[4:5], v[106:107]
	v_add_f64_e32 v[124:125], v[108:109], v[124:125]
	scratch_load_b128 v[106:109], off, off offset:352
	v_fmac_f64_e32 v[122:123], v[116:117], v[70:71]
	v_fma_f64 v[114:115], v[114:115], v[70:71], -v[72:73]
	scratch_load_b128 v[70:73], off, off offset:368
	s_wait_loadcnt_dscnt 0xc01
	v_mul_f64_e32 v[128:129], v[66:67], v[76:77]
	v_mul_f64_e32 v[76:77], v[68:69], v[76:77]
	s_wait_loadcnt_dscnt 0xb00
	v_mul_f64_e32 v[116:117], v[98:99], v[80:81]
	v_mul_f64_e32 v[80:81], v[100:101], v[80:81]
	v_add_f64_e32 v[4:5], v[4:5], v[126:127]
	v_add_f64_e32 v[8:9], v[124:125], v[8:9]
	v_fmac_f64_e32 v[128:129], v[68:69], v[74:75]
	v_fma_f64 v[124:125], v[66:67], v[74:75], -v[76:77]
	ds_load_b128 v[66:69], v2 offset:608
	ds_load_b128 v[74:77], v2 offset:624
	v_fmac_f64_e32 v[116:117], v[100:101], v[78:79]
	v_fma_f64 v[78:79], v[98:99], v[78:79], -v[80:81]
	s_wait_loadcnt_dscnt 0x900
	v_mul_f64_e32 v[98:99], v[74:75], v[88:89]
	v_add_f64_e32 v[4:5], v[4:5], v[114:115]
	v_add_f64_e32 v[8:9], v[8:9], v[122:123]
	v_mul_f64_e32 v[114:115], v[66:67], v[84:85]
	v_mul_f64_e32 v[84:85], v[68:69], v[84:85]
	;; [unrolled: 1-line block ×3, first 2 shown]
	v_fmac_f64_e32 v[98:99], v[76:77], v[86:87]
	v_add_f64_e32 v[4:5], v[4:5], v[124:125]
	v_add_f64_e32 v[8:9], v[8:9], v[128:129]
	v_fmac_f64_e32 v[114:115], v[68:69], v[82:83]
	v_fma_f64 v[82:83], v[66:67], v[82:83], -v[84:85]
	v_fma_f64 v[74:75], v[74:75], v[86:87], -v[88:89]
	v_add_f64_e32 v[4:5], v[4:5], v[78:79]
	v_add_f64_e32 v[8:9], v[8:9], v[116:117]
	ds_load_b128 v[66:69], v2 offset:640
	ds_load_b128 v[78:81], v2 offset:656
	s_wait_loadcnt_dscnt 0x801
	v_mul_f64_e32 v[84:85], v[66:67], v[92:93]
	v_mul_f64_e32 v[92:93], v[68:69], v[92:93]
	s_wait_loadcnt_dscnt 0x700
	v_mul_f64_e32 v[86:87], v[80:81], v[96:97]
	v_add_f64_e32 v[4:5], v[4:5], v[82:83]
	v_add_f64_e32 v[8:9], v[8:9], v[114:115]
	v_mul_f64_e32 v[82:83], v[78:79], v[96:97]
	v_fmac_f64_e32 v[84:85], v[68:69], v[90:91]
	v_fma_f64 v[88:89], v[66:67], v[90:91], -v[92:93]
	v_fma_f64 v[78:79], v[78:79], v[94:95], -v[86:87]
	v_add_f64_e32 v[4:5], v[4:5], v[74:75]
	v_add_f64_e32 v[8:9], v[8:9], v[98:99]
	ds_load_b128 v[66:69], v2 offset:672
	ds_load_b128 v[74:77], v2 offset:688
	v_fmac_f64_e32 v[82:83], v[80:81], v[94:95]
	s_wait_loadcnt_dscnt 0x601
	v_mul_f64_e32 v[90:91], v[66:67], v[104:105]
	v_mul_f64_e32 v[92:93], v[68:69], v[104:105]
	v_add_f64_e32 v[4:5], v[4:5], v[88:89]
	v_add_f64_e32 v[8:9], v[8:9], v[84:85]
	s_wait_loadcnt_dscnt 0x400
	v_mul_f64_e32 v[84:85], v[74:75], v[12:13]
	v_mul_f64_e32 v[12:13], v[76:77], v[12:13]
	v_fmac_f64_e32 v[90:91], v[68:69], v[102:103]
	v_fma_f64 v[86:87], v[66:67], v[102:103], -v[92:93]
	v_add_f64_e32 v[4:5], v[4:5], v[78:79]
	v_add_f64_e32 v[8:9], v[8:9], v[82:83]
	ds_load_b128 v[66:69], v2 offset:704
	ds_load_b128 v[78:81], v2 offset:720
	v_fmac_f64_e32 v[84:85], v[76:77], v[10:11]
	v_fma_f64 v[10:11], v[74:75], v[10:11], -v[12:13]
	s_wait_loadcnt_dscnt 0x301
	v_mul_f64_e32 v[82:83], v[66:67], v[120:121]
	v_mul_f64_e32 v[88:89], v[68:69], v[120:121]
	s_wait_loadcnt_dscnt 0x200
	v_mul_f64_e32 v[12:13], v[78:79], v[64:65]
	v_mul_f64_e32 v[64:65], v[80:81], v[64:65]
	v_add_f64_e32 v[4:5], v[4:5], v[86:87]
	v_add_f64_e32 v[8:9], v[8:9], v[90:91]
	v_fmac_f64_e32 v[82:83], v[68:69], v[118:119]
	v_fma_f64 v[66:67], v[66:67], v[118:119], -v[88:89]
	v_fmac_f64_e32 v[12:13], v[80:81], v[62:63]
	v_fma_f64 v[62:63], v[78:79], v[62:63], -v[64:65]
	v_add_f64_e32 v[68:69], v[4:5], v[10:11]
	v_add_f64_e32 v[74:75], v[8:9], v[84:85]
	ds_load_b128 v[8:11], v2 offset:736
	ds_load_b128 v[2:5], v2 offset:752
	s_wait_loadcnt_dscnt 0x101
	v_mul_f64_e32 v[76:77], v[8:9], v[108:109]
	v_mul_f64_e32 v[84:85], v[10:11], v[108:109]
	v_add_f64_e32 v[64:65], v[68:69], v[66:67]
	v_add_f64_e32 v[66:67], v[74:75], v[82:83]
	s_wait_loadcnt_dscnt 0x0
	v_mul_f64_e32 v[68:69], v[2:3], v[72:73]
	v_mul_f64_e32 v[72:73], v[4:5], v[72:73]
	v_fmac_f64_e32 v[76:77], v[10:11], v[106:107]
	v_fma_f64 v[8:9], v[8:9], v[106:107], -v[84:85]
	v_add_f64_e32 v[10:11], v[64:65], v[62:63]
	v_add_f64_e32 v[12:13], v[66:67], v[12:13]
	v_fmac_f64_e32 v[68:69], v[4:5], v[70:71]
	v_fma_f64 v[2:3], v[2:3], v[70:71], -v[72:73]
	s_delay_alu instid0(VALU_DEP_4) | instskip(NEXT) | instid1(VALU_DEP_4)
	v_add_f64_e32 v[4:5], v[10:11], v[8:9]
	v_add_f64_e32 v[8:9], v[12:13], v[76:77]
	s_delay_alu instid0(VALU_DEP_2) | instskip(NEXT) | instid1(VALU_DEP_2)
	v_add_f64_e32 v[2:3], v[4:5], v[2:3]
	v_add_f64_e32 v[4:5], v[8:9], v[68:69]
	s_delay_alu instid0(VALU_DEP_2) | instskip(NEXT) | instid1(VALU_DEP_2)
	v_add_f64_e64 v[2:3], v[110:111], -v[2:3]
	v_add_f64_e64 v[4:5], v[112:113], -v[4:5]
	scratch_store_b128 off, v[2:5], off offset:112
	s_wait_xcnt 0x0
	v_cmpx_lt_u32_e32 6, v1
	s_cbranch_execz .LBB23_145
; %bb.144:
	scratch_load_b128 v[2:5], off, s28
	v_mov_b32_e32 v8, 0
	s_delay_alu instid0(VALU_DEP_1)
	v_dual_mov_b32 v9, v8 :: v_dual_mov_b32 v10, v8
	v_mov_b32_e32 v11, v8
	scratch_store_b128 off, v[8:11], off offset:96
	s_wait_loadcnt 0x0
	ds_store_b128 v6, v[2:5]
.LBB23_145:
	s_wait_xcnt 0x0
	s_or_b32 exec_lo, exec_lo, s2
	s_wait_storecnt_dscnt 0x0
	s_barrier_signal -1
	s_barrier_wait -1
	s_clause 0x9
	scratch_load_b128 v[8:11], off, off offset:112
	scratch_load_b128 v[62:65], off, off offset:128
	scratch_load_b128 v[66:69], off, off offset:144
	scratch_load_b128 v[70:73], off, off offset:160
	scratch_load_b128 v[74:77], off, off offset:176
	scratch_load_b128 v[78:81], off, off offset:192
	scratch_load_b128 v[82:85], off, off offset:208
	scratch_load_b128 v[86:89], off, off offset:224
	scratch_load_b128 v[90:93], off, off offset:240
	scratch_load_b128 v[94:97], off, off offset:256
	v_mov_b32_e32 v2, 0
	s_mov_b32 s2, exec_lo
	ds_load_b128 v[98:101], v2 offset:496
	s_clause 0x2
	scratch_load_b128 v[102:105], off, off offset:272
	scratch_load_b128 v[106:109], off, off offset:96
	scratch_load_b128 v[114:117], off, off offset:304
	s_wait_loadcnt_dscnt 0xc00
	v_mul_f64_e32 v[4:5], v[100:101], v[10:11]
	v_mul_f64_e32 v[122:123], v[98:99], v[10:11]
	ds_load_b128 v[110:113], v2 offset:512
	scratch_load_b128 v[10:13], off, off offset:288
	ds_load_b128 v[118:121], v2 offset:544
	v_fma_f64 v[4:5], v[98:99], v[8:9], -v[4:5]
	v_fmac_f64_e32 v[122:123], v[100:101], v[8:9]
	ds_load_b128 v[98:101], v2 offset:528
	s_wait_loadcnt_dscnt 0xc02
	v_mul_f64_e32 v[124:125], v[110:111], v[64:65]
	v_mul_f64_e32 v[64:65], v[112:113], v[64:65]
	s_wait_loadcnt_dscnt 0xb00
	v_mul_f64_e32 v[8:9], v[98:99], v[68:69]
	v_mul_f64_e32 v[68:69], v[100:101], v[68:69]
	v_add_f64_e32 v[4:5], 0, v[4:5]
	v_fmac_f64_e32 v[124:125], v[112:113], v[62:63]
	v_fma_f64 v[110:111], v[110:111], v[62:63], -v[64:65]
	v_add_f64_e32 v[112:113], 0, v[122:123]
	scratch_load_b128 v[62:65], off, off offset:320
	v_fmac_f64_e32 v[8:9], v[100:101], v[66:67]
	v_fma_f64 v[126:127], v[98:99], v[66:67], -v[68:69]
	ds_load_b128 v[66:69], v2 offset:560
	s_wait_loadcnt 0xb
	v_mul_f64_e32 v[122:123], v[118:119], v[72:73]
	v_mul_f64_e32 v[72:73], v[120:121], v[72:73]
	scratch_load_b128 v[98:101], off, off offset:336
	v_add_f64_e32 v[4:5], v[4:5], v[110:111]
	v_add_f64_e32 v[124:125], v[112:113], v[124:125]
	ds_load_b128 v[110:113], v2 offset:576
	s_wait_loadcnt_dscnt 0xb01
	v_mul_f64_e32 v[128:129], v[66:67], v[76:77]
	v_mul_f64_e32 v[76:77], v[68:69], v[76:77]
	v_fmac_f64_e32 v[122:123], v[120:121], v[70:71]
	v_fma_f64 v[118:119], v[118:119], v[70:71], -v[72:73]
	scratch_load_b128 v[70:73], off, off offset:352
	v_add_f64_e32 v[4:5], v[4:5], v[126:127]
	v_add_f64_e32 v[8:9], v[124:125], v[8:9]
	v_fmac_f64_e32 v[128:129], v[68:69], v[74:75]
	v_fma_f64 v[126:127], v[66:67], v[74:75], -v[76:77]
	ds_load_b128 v[66:69], v2 offset:592
	s_wait_loadcnt_dscnt 0xb01
	v_mul_f64_e32 v[124:125], v[110:111], v[80:81]
	v_mul_f64_e32 v[80:81], v[112:113], v[80:81]
	scratch_load_b128 v[74:77], off, off offset:368
	v_add_f64_e32 v[4:5], v[4:5], v[118:119]
	v_add_f64_e32 v[8:9], v[8:9], v[122:123]
	s_wait_loadcnt_dscnt 0xb00
	v_mul_f64_e32 v[122:123], v[66:67], v[84:85]
	v_mul_f64_e32 v[84:85], v[68:69], v[84:85]
	ds_load_b128 v[118:121], v2 offset:608
	v_fmac_f64_e32 v[124:125], v[112:113], v[78:79]
	v_fma_f64 v[78:79], v[110:111], v[78:79], -v[80:81]
	s_wait_loadcnt_dscnt 0xa00
	v_mul_f64_e32 v[110:111], v[118:119], v[88:89]
	v_mul_f64_e32 v[88:89], v[120:121], v[88:89]
	v_add_f64_e32 v[4:5], v[4:5], v[126:127]
	v_add_f64_e32 v[8:9], v[8:9], v[128:129]
	v_fmac_f64_e32 v[122:123], v[68:69], v[82:83]
	v_fma_f64 v[82:83], v[66:67], v[82:83], -v[84:85]
	v_fmac_f64_e32 v[110:111], v[120:121], v[86:87]
	v_fma_f64 v[86:87], v[118:119], v[86:87], -v[88:89]
	v_add_f64_e32 v[4:5], v[4:5], v[78:79]
	v_add_f64_e32 v[8:9], v[8:9], v[124:125]
	ds_load_b128 v[66:69], v2 offset:624
	ds_load_b128 v[78:81], v2 offset:640
	s_wait_loadcnt_dscnt 0x901
	v_mul_f64_e32 v[112:113], v[66:67], v[92:93]
	v_mul_f64_e32 v[84:85], v[68:69], v[92:93]
	s_wait_loadcnt_dscnt 0x800
	v_mul_f64_e32 v[88:89], v[78:79], v[96:97]
	v_mul_f64_e32 v[92:93], v[80:81], v[96:97]
	v_add_f64_e32 v[4:5], v[4:5], v[82:83]
	v_add_f64_e32 v[8:9], v[8:9], v[122:123]
	v_fmac_f64_e32 v[112:113], v[68:69], v[90:91]
	v_fma_f64 v[90:91], v[66:67], v[90:91], -v[84:85]
	ds_load_b128 v[66:69], v2 offset:656
	ds_load_b128 v[82:85], v2 offset:672
	v_fmac_f64_e32 v[88:89], v[80:81], v[94:95]
	v_fma_f64 v[78:79], v[78:79], v[94:95], -v[92:93]
	v_add_f64_e32 v[4:5], v[4:5], v[86:87]
	v_add_f64_e32 v[8:9], v[8:9], v[110:111]
	s_wait_loadcnt_dscnt 0x701
	v_mul_f64_e32 v[86:87], v[66:67], v[104:105]
	v_mul_f64_e32 v[96:97], v[68:69], v[104:105]
	s_delay_alu instid0(VALU_DEP_4) | instskip(NEXT) | instid1(VALU_DEP_4)
	v_add_f64_e32 v[4:5], v[4:5], v[90:91]
	v_add_f64_e32 v[8:9], v[8:9], v[112:113]
	s_wait_loadcnt_dscnt 0x400
	v_mul_f64_e32 v[90:91], v[82:83], v[12:13]
	v_mul_f64_e32 v[12:13], v[84:85], v[12:13]
	v_fmac_f64_e32 v[86:87], v[68:69], v[102:103]
	v_fma_f64 v[92:93], v[66:67], v[102:103], -v[96:97]
	v_add_f64_e32 v[4:5], v[4:5], v[78:79]
	v_add_f64_e32 v[8:9], v[8:9], v[88:89]
	ds_load_b128 v[66:69], v2 offset:688
	ds_load_b128 v[78:81], v2 offset:704
	v_fmac_f64_e32 v[90:91], v[84:85], v[10:11]
	v_fma_f64 v[10:11], v[82:83], v[10:11], -v[12:13]
	s_wait_dscnt 0x1
	v_mul_f64_e32 v[88:89], v[66:67], v[116:117]
	v_mul_f64_e32 v[94:95], v[68:69], v[116:117]
	v_add_f64_e32 v[4:5], v[4:5], v[92:93]
	v_add_f64_e32 v[8:9], v[8:9], v[86:87]
	s_wait_loadcnt_dscnt 0x300
	v_mul_f64_e32 v[12:13], v[78:79], v[64:65]
	v_mul_f64_e32 v[82:83], v[80:81], v[64:65]
	v_fmac_f64_e32 v[88:89], v[68:69], v[114:115]
	v_fma_f64 v[68:69], v[66:67], v[114:115], -v[94:95]
	v_add_f64_e32 v[4:5], v[4:5], v[10:11]
	v_add_f64_e32 v[84:85], v[8:9], v[90:91]
	ds_load_b128 v[8:11], v2 offset:720
	ds_load_b128 v[64:67], v2 offset:736
	v_fmac_f64_e32 v[12:13], v[80:81], v[62:63]
	v_fma_f64 v[62:63], v[78:79], v[62:63], -v[82:83]
	s_wait_loadcnt_dscnt 0x201
	v_mul_f64_e32 v[86:87], v[8:9], v[100:101]
	v_mul_f64_e32 v[90:91], v[10:11], v[100:101]
	s_wait_loadcnt_dscnt 0x100
	v_mul_f64_e32 v[78:79], v[64:65], v[72:73]
	v_mul_f64_e32 v[72:73], v[66:67], v[72:73]
	v_add_f64_e32 v[4:5], v[4:5], v[68:69]
	v_add_f64_e32 v[68:69], v[84:85], v[88:89]
	v_fmac_f64_e32 v[86:87], v[10:11], v[98:99]
	v_fma_f64 v[80:81], v[8:9], v[98:99], -v[90:91]
	ds_load_b128 v[8:11], v2 offset:752
	v_fmac_f64_e32 v[78:79], v[66:67], v[70:71]
	v_fma_f64 v[64:65], v[64:65], v[70:71], -v[72:73]
	v_add_f64_e32 v[4:5], v[4:5], v[62:63]
	v_add_f64_e32 v[12:13], v[68:69], v[12:13]
	s_wait_loadcnt_dscnt 0x0
	v_mul_f64_e32 v[62:63], v[8:9], v[76:77]
	v_mul_f64_e32 v[68:69], v[10:11], v[76:77]
	s_delay_alu instid0(VALU_DEP_4) | instskip(NEXT) | instid1(VALU_DEP_4)
	v_add_f64_e32 v[4:5], v[4:5], v[80:81]
	v_add_f64_e32 v[12:13], v[12:13], v[86:87]
	s_delay_alu instid0(VALU_DEP_4) | instskip(NEXT) | instid1(VALU_DEP_4)
	v_fmac_f64_e32 v[62:63], v[10:11], v[74:75]
	v_fma_f64 v[8:9], v[8:9], v[74:75], -v[68:69]
	s_delay_alu instid0(VALU_DEP_4) | instskip(NEXT) | instid1(VALU_DEP_4)
	v_add_f64_e32 v[4:5], v[4:5], v[64:65]
	v_add_f64_e32 v[10:11], v[12:13], v[78:79]
	s_delay_alu instid0(VALU_DEP_2) | instskip(NEXT) | instid1(VALU_DEP_2)
	v_add_f64_e32 v[4:5], v[4:5], v[8:9]
	v_add_f64_e32 v[10:11], v[10:11], v[62:63]
	s_delay_alu instid0(VALU_DEP_2) | instskip(NEXT) | instid1(VALU_DEP_2)
	v_add_f64_e64 v[8:9], v[106:107], -v[4:5]
	v_add_f64_e64 v[10:11], v[108:109], -v[10:11]
	scratch_store_b128 off, v[8:11], off offset:96
	s_wait_xcnt 0x0
	v_cmpx_lt_u32_e32 5, v1
	s_cbranch_execz .LBB23_147
; %bb.146:
	scratch_load_b128 v[8:11], off, s26
	v_dual_mov_b32 v3, v2 :: v_dual_mov_b32 v4, v2
	v_mov_b32_e32 v5, v2
	scratch_store_b128 off, v[2:5], off offset:80
	s_wait_loadcnt 0x0
	ds_store_b128 v6, v[8:11]
.LBB23_147:
	s_wait_xcnt 0x0
	s_or_b32 exec_lo, exec_lo, s2
	s_wait_storecnt_dscnt 0x0
	s_barrier_signal -1
	s_barrier_wait -1
	s_clause 0x9
	scratch_load_b128 v[8:11], off, off offset:96
	scratch_load_b128 v[62:65], off, off offset:112
	;; [unrolled: 1-line block ×10, first 2 shown]
	ds_load_b128 v[98:101], v2 offset:480
	ds_load_b128 v[106:109], v2 offset:496
	s_clause 0x1
	scratch_load_b128 v[102:105], off, off offset:256
	scratch_load_b128 v[110:113], off, off offset:80
	s_mov_b32 s2, exec_lo
	s_wait_loadcnt_dscnt 0xb01
	v_mul_f64_e32 v[4:5], v[100:101], v[10:11]
	v_mul_f64_e32 v[122:123], v[98:99], v[10:11]
	scratch_load_b128 v[10:13], off, off offset:272
	s_wait_loadcnt_dscnt 0xb00
	v_mul_f64_e32 v[124:125], v[106:107], v[64:65]
	v_mul_f64_e32 v[64:65], v[108:109], v[64:65]
	v_fma_f64 v[4:5], v[98:99], v[8:9], -v[4:5]
	v_fmac_f64_e32 v[122:123], v[100:101], v[8:9]
	ds_load_b128 v[98:101], v2 offset:512
	ds_load_b128 v[114:117], v2 offset:528
	scratch_load_b128 v[118:121], off, off offset:288
	v_fmac_f64_e32 v[124:125], v[108:109], v[62:63]
	v_fma_f64 v[106:107], v[106:107], v[62:63], -v[64:65]
	scratch_load_b128 v[62:65], off, off offset:304
	s_wait_loadcnt_dscnt 0xc01
	v_mul_f64_e32 v[8:9], v[98:99], v[68:69]
	v_mul_f64_e32 v[68:69], v[100:101], v[68:69]
	v_add_f64_e32 v[4:5], 0, v[4:5]
	v_add_f64_e32 v[108:109], 0, v[122:123]
	s_wait_loadcnt_dscnt 0xb00
	v_mul_f64_e32 v[122:123], v[114:115], v[72:73]
	v_mul_f64_e32 v[72:73], v[116:117], v[72:73]
	v_fmac_f64_e32 v[8:9], v[100:101], v[66:67]
	v_fma_f64 v[126:127], v[98:99], v[66:67], -v[68:69]
	ds_load_b128 v[66:69], v2 offset:544
	ds_load_b128 v[98:101], v2 offset:560
	v_add_f64_e32 v[4:5], v[4:5], v[106:107]
	v_add_f64_e32 v[124:125], v[108:109], v[124:125]
	scratch_load_b128 v[106:109], off, off offset:320
	v_fmac_f64_e32 v[122:123], v[116:117], v[70:71]
	v_fma_f64 v[114:115], v[114:115], v[70:71], -v[72:73]
	scratch_load_b128 v[70:73], off, off offset:336
	s_wait_loadcnt_dscnt 0xc01
	v_mul_f64_e32 v[128:129], v[66:67], v[76:77]
	v_mul_f64_e32 v[76:77], v[68:69], v[76:77]
	v_add_f64_e32 v[4:5], v[4:5], v[126:127]
	v_add_f64_e32 v[8:9], v[124:125], v[8:9]
	s_wait_loadcnt_dscnt 0xb00
	v_mul_f64_e32 v[124:125], v[98:99], v[80:81]
	v_mul_f64_e32 v[80:81], v[100:101], v[80:81]
	v_fmac_f64_e32 v[128:129], v[68:69], v[74:75]
	v_fma_f64 v[126:127], v[66:67], v[74:75], -v[76:77]
	ds_load_b128 v[66:69], v2 offset:576
	ds_load_b128 v[74:77], v2 offset:592
	v_add_f64_e32 v[4:5], v[4:5], v[114:115]
	v_add_f64_e32 v[8:9], v[8:9], v[122:123]
	scratch_load_b128 v[114:117], off, off offset:352
	s_wait_loadcnt_dscnt 0xb01
	v_mul_f64_e32 v[122:123], v[66:67], v[84:85]
	v_mul_f64_e32 v[84:85], v[68:69], v[84:85]
	v_fmac_f64_e32 v[124:125], v[100:101], v[78:79]
	v_fma_f64 v[98:99], v[98:99], v[78:79], -v[80:81]
	scratch_load_b128 v[78:81], off, off offset:368
	s_wait_loadcnt_dscnt 0xb00
	v_mul_f64_e32 v[100:101], v[74:75], v[88:89]
	v_mul_f64_e32 v[88:89], v[76:77], v[88:89]
	v_add_f64_e32 v[4:5], v[4:5], v[126:127]
	v_add_f64_e32 v[8:9], v[8:9], v[128:129]
	v_fmac_f64_e32 v[122:123], v[68:69], v[82:83]
	v_fma_f64 v[126:127], v[66:67], v[82:83], -v[84:85]
	ds_load_b128 v[66:69], v2 offset:608
	ds_load_b128 v[82:85], v2 offset:624
	v_fmac_f64_e32 v[100:101], v[76:77], v[86:87]
	v_fma_f64 v[74:75], v[74:75], v[86:87], -v[88:89]
	s_wait_loadcnt_dscnt 0x900
	v_mul_f64_e32 v[86:87], v[82:83], v[96:97]
	v_mul_f64_e32 v[88:89], v[84:85], v[96:97]
	v_add_f64_e32 v[4:5], v[4:5], v[98:99]
	v_add_f64_e32 v[8:9], v[8:9], v[124:125]
	v_mul_f64_e32 v[98:99], v[66:67], v[92:93]
	v_mul_f64_e32 v[92:93], v[68:69], v[92:93]
	v_fmac_f64_e32 v[86:87], v[84:85], v[94:95]
	v_fma_f64 v[82:83], v[82:83], v[94:95], -v[88:89]
	v_add_f64_e32 v[4:5], v[4:5], v[126:127]
	v_add_f64_e32 v[8:9], v[8:9], v[122:123]
	v_fmac_f64_e32 v[98:99], v[68:69], v[90:91]
	v_fma_f64 v[90:91], v[66:67], v[90:91], -v[92:93]
	s_delay_alu instid0(VALU_DEP_4) | instskip(NEXT) | instid1(VALU_DEP_4)
	v_add_f64_e32 v[4:5], v[4:5], v[74:75]
	v_add_f64_e32 v[8:9], v[8:9], v[100:101]
	ds_load_b128 v[66:69], v2 offset:640
	ds_load_b128 v[74:77], v2 offset:656
	s_wait_loadcnt_dscnt 0x801
	v_mul_f64_e32 v[92:93], v[66:67], v[104:105]
	v_mul_f64_e32 v[96:97], v[68:69], v[104:105]
	v_add_f64_e32 v[4:5], v[4:5], v[90:91]
	v_add_f64_e32 v[8:9], v[8:9], v[98:99]
	s_wait_loadcnt_dscnt 0x600
	v_mul_f64_e32 v[88:89], v[74:75], v[12:13]
	v_mul_f64_e32 v[12:13], v[76:77], v[12:13]
	v_fmac_f64_e32 v[92:93], v[68:69], v[102:103]
	v_fma_f64 v[90:91], v[66:67], v[102:103], -v[96:97]
	v_add_f64_e32 v[4:5], v[4:5], v[82:83]
	v_add_f64_e32 v[8:9], v[8:9], v[86:87]
	ds_load_b128 v[66:69], v2 offset:672
	ds_load_b128 v[82:85], v2 offset:688
	v_fmac_f64_e32 v[88:89], v[76:77], v[10:11]
	v_fma_f64 v[10:11], v[74:75], v[10:11], -v[12:13]
	s_wait_loadcnt_dscnt 0x501
	v_mul_f64_e32 v[86:87], v[66:67], v[120:121]
	v_mul_f64_e32 v[94:95], v[68:69], v[120:121]
	s_wait_loadcnt_dscnt 0x400
	v_mul_f64_e32 v[12:13], v[82:83], v[64:65]
	v_mul_f64_e32 v[74:75], v[84:85], v[64:65]
	v_add_f64_e32 v[4:5], v[4:5], v[90:91]
	v_add_f64_e32 v[8:9], v[8:9], v[92:93]
	v_fmac_f64_e32 v[86:87], v[68:69], v[118:119]
	v_fma_f64 v[68:69], v[66:67], v[118:119], -v[94:95]
	v_fmac_f64_e32 v[12:13], v[84:85], v[62:63]
	v_fma_f64 v[62:63], v[82:83], v[62:63], -v[74:75]
	v_add_f64_e32 v[4:5], v[4:5], v[10:11]
	v_add_f64_e32 v[76:77], v[8:9], v[88:89]
	ds_load_b128 v[8:11], v2 offset:704
	ds_load_b128 v[64:67], v2 offset:720
	s_wait_loadcnt_dscnt 0x301
	v_mul_f64_e32 v[88:89], v[8:9], v[108:109]
	v_mul_f64_e32 v[90:91], v[10:11], v[108:109]
	s_wait_loadcnt_dscnt 0x200
	v_mul_f64_e32 v[74:75], v[64:65], v[72:73]
	v_mul_f64_e32 v[72:73], v[66:67], v[72:73]
	v_add_f64_e32 v[4:5], v[4:5], v[68:69]
	v_add_f64_e32 v[68:69], v[76:77], v[86:87]
	v_fmac_f64_e32 v[88:89], v[10:11], v[106:107]
	v_fma_f64 v[76:77], v[8:9], v[106:107], -v[90:91]
	v_fmac_f64_e32 v[74:75], v[66:67], v[70:71]
	v_fma_f64 v[64:65], v[64:65], v[70:71], -v[72:73]
	v_add_f64_e32 v[62:63], v[4:5], v[62:63]
	v_add_f64_e32 v[12:13], v[68:69], v[12:13]
	ds_load_b128 v[8:11], v2 offset:736
	ds_load_b128 v[2:5], v2 offset:752
	s_wait_loadcnt_dscnt 0x101
	v_mul_f64_e32 v[68:69], v[8:9], v[116:117]
	v_mul_f64_e32 v[82:83], v[10:11], v[116:117]
	s_wait_loadcnt_dscnt 0x0
	v_mul_f64_e32 v[66:67], v[2:3], v[80:81]
	v_mul_f64_e32 v[70:71], v[4:5], v[80:81]
	v_add_f64_e32 v[62:63], v[62:63], v[76:77]
	v_add_f64_e32 v[12:13], v[12:13], v[88:89]
	v_fmac_f64_e32 v[68:69], v[10:11], v[114:115]
	v_fma_f64 v[8:9], v[8:9], v[114:115], -v[82:83]
	v_fmac_f64_e32 v[66:67], v[4:5], v[78:79]
	v_fma_f64 v[2:3], v[2:3], v[78:79], -v[70:71]
	v_add_f64_e32 v[10:11], v[62:63], v[64:65]
	v_add_f64_e32 v[12:13], v[12:13], v[74:75]
	s_delay_alu instid0(VALU_DEP_2) | instskip(NEXT) | instid1(VALU_DEP_2)
	v_add_f64_e32 v[4:5], v[10:11], v[8:9]
	v_add_f64_e32 v[8:9], v[12:13], v[68:69]
	s_delay_alu instid0(VALU_DEP_2) | instskip(NEXT) | instid1(VALU_DEP_2)
	;; [unrolled: 3-line block ×3, first 2 shown]
	v_add_f64_e64 v[2:3], v[110:111], -v[2:3]
	v_add_f64_e64 v[4:5], v[112:113], -v[4:5]
	scratch_store_b128 off, v[2:5], off offset:80
	s_wait_xcnt 0x0
	v_cmpx_lt_u32_e32 4, v1
	s_cbranch_execz .LBB23_149
; %bb.148:
	scratch_load_b128 v[2:5], off, s15
	v_mov_b32_e32 v8, 0
	s_delay_alu instid0(VALU_DEP_1)
	v_dual_mov_b32 v9, v8 :: v_dual_mov_b32 v10, v8
	v_mov_b32_e32 v11, v8
	scratch_store_b128 off, v[8:11], off offset:64
	s_wait_loadcnt 0x0
	ds_store_b128 v6, v[2:5]
.LBB23_149:
	s_wait_xcnt 0x0
	s_or_b32 exec_lo, exec_lo, s2
	s_wait_storecnt_dscnt 0x0
	s_barrier_signal -1
	s_barrier_wait -1
	s_clause 0x9
	scratch_load_b128 v[8:11], off, off offset:80
	scratch_load_b128 v[62:65], off, off offset:96
	;; [unrolled: 1-line block ×10, first 2 shown]
	v_mov_b32_e32 v2, 0
	s_mov_b32 s2, exec_lo
	ds_load_b128 v[98:101], v2 offset:464
	s_clause 0x2
	scratch_load_b128 v[102:105], off, off offset:240
	scratch_load_b128 v[106:109], off, off offset:64
	scratch_load_b128 v[114:117], off, off offset:272
	s_wait_loadcnt_dscnt 0xc00
	v_mul_f64_e32 v[4:5], v[100:101], v[10:11]
	v_mul_f64_e32 v[122:123], v[98:99], v[10:11]
	ds_load_b128 v[110:113], v2 offset:480
	scratch_load_b128 v[10:13], off, off offset:256
	ds_load_b128 v[118:121], v2 offset:512
	v_fma_f64 v[4:5], v[98:99], v[8:9], -v[4:5]
	v_fmac_f64_e32 v[122:123], v[100:101], v[8:9]
	ds_load_b128 v[98:101], v2 offset:496
	s_wait_loadcnt_dscnt 0xc02
	v_mul_f64_e32 v[124:125], v[110:111], v[64:65]
	v_mul_f64_e32 v[64:65], v[112:113], v[64:65]
	s_wait_loadcnt_dscnt 0xb00
	v_mul_f64_e32 v[8:9], v[98:99], v[68:69]
	v_mul_f64_e32 v[68:69], v[100:101], v[68:69]
	v_add_f64_e32 v[4:5], 0, v[4:5]
	v_fmac_f64_e32 v[124:125], v[112:113], v[62:63]
	v_fma_f64 v[110:111], v[110:111], v[62:63], -v[64:65]
	v_add_f64_e32 v[112:113], 0, v[122:123]
	scratch_load_b128 v[62:65], off, off offset:288
	v_fmac_f64_e32 v[8:9], v[100:101], v[66:67]
	v_fma_f64 v[126:127], v[98:99], v[66:67], -v[68:69]
	ds_load_b128 v[66:69], v2 offset:528
	s_wait_loadcnt 0xb
	v_mul_f64_e32 v[122:123], v[118:119], v[72:73]
	v_mul_f64_e32 v[72:73], v[120:121], v[72:73]
	scratch_load_b128 v[98:101], off, off offset:304
	v_add_f64_e32 v[4:5], v[4:5], v[110:111]
	v_add_f64_e32 v[124:125], v[112:113], v[124:125]
	ds_load_b128 v[110:113], v2 offset:544
	s_wait_loadcnt_dscnt 0xb01
	v_mul_f64_e32 v[128:129], v[66:67], v[76:77]
	v_mul_f64_e32 v[76:77], v[68:69], v[76:77]
	v_fmac_f64_e32 v[122:123], v[120:121], v[70:71]
	v_fma_f64 v[118:119], v[118:119], v[70:71], -v[72:73]
	scratch_load_b128 v[70:73], off, off offset:320
	v_add_f64_e32 v[4:5], v[4:5], v[126:127]
	v_add_f64_e32 v[8:9], v[124:125], v[8:9]
	v_fmac_f64_e32 v[128:129], v[68:69], v[74:75]
	v_fma_f64 v[126:127], v[66:67], v[74:75], -v[76:77]
	ds_load_b128 v[66:69], v2 offset:560
	s_wait_loadcnt_dscnt 0xb01
	v_mul_f64_e32 v[124:125], v[110:111], v[80:81]
	v_mul_f64_e32 v[80:81], v[112:113], v[80:81]
	scratch_load_b128 v[74:77], off, off offset:336
	v_add_f64_e32 v[4:5], v[4:5], v[118:119]
	v_add_f64_e32 v[8:9], v[8:9], v[122:123]
	s_wait_loadcnt_dscnt 0xb00
	v_mul_f64_e32 v[122:123], v[66:67], v[84:85]
	v_mul_f64_e32 v[84:85], v[68:69], v[84:85]
	ds_load_b128 v[118:121], v2 offset:576
	v_fmac_f64_e32 v[124:125], v[112:113], v[78:79]
	v_fma_f64 v[110:111], v[110:111], v[78:79], -v[80:81]
	scratch_load_b128 v[78:81], off, off offset:352
	v_add_f64_e32 v[4:5], v[4:5], v[126:127]
	v_add_f64_e32 v[8:9], v[8:9], v[128:129]
	v_fmac_f64_e32 v[122:123], v[68:69], v[82:83]
	v_fma_f64 v[128:129], v[66:67], v[82:83], -v[84:85]
	ds_load_b128 v[66:69], v2 offset:592
	s_wait_loadcnt_dscnt 0xb01
	v_mul_f64_e32 v[126:127], v[118:119], v[88:89]
	v_mul_f64_e32 v[88:89], v[120:121], v[88:89]
	scratch_load_b128 v[82:85], off, off offset:368
	v_add_f64_e32 v[4:5], v[4:5], v[110:111]
	v_add_f64_e32 v[8:9], v[8:9], v[124:125]
	s_wait_loadcnt_dscnt 0xb00
	v_mul_f64_e32 v[124:125], v[66:67], v[92:93]
	v_mul_f64_e32 v[92:93], v[68:69], v[92:93]
	ds_load_b128 v[110:113], v2 offset:608
	v_fmac_f64_e32 v[126:127], v[120:121], v[86:87]
	v_fma_f64 v[86:87], v[118:119], v[86:87], -v[88:89]
	s_wait_loadcnt_dscnt 0xa00
	v_mul_f64_e32 v[118:119], v[110:111], v[96:97]
	v_mul_f64_e32 v[96:97], v[112:113], v[96:97]
	v_add_f64_e32 v[4:5], v[4:5], v[128:129]
	v_add_f64_e32 v[8:9], v[8:9], v[122:123]
	v_fmac_f64_e32 v[124:125], v[68:69], v[90:91]
	v_fma_f64 v[90:91], v[66:67], v[90:91], -v[92:93]
	v_fmac_f64_e32 v[118:119], v[112:113], v[94:95]
	v_fma_f64 v[94:95], v[110:111], v[94:95], -v[96:97]
	v_add_f64_e32 v[4:5], v[4:5], v[86:87]
	v_add_f64_e32 v[8:9], v[8:9], v[126:127]
	ds_load_b128 v[66:69], v2 offset:624
	ds_load_b128 v[86:89], v2 offset:640
	s_wait_loadcnt_dscnt 0x901
	v_mul_f64_e32 v[120:121], v[66:67], v[104:105]
	v_mul_f64_e32 v[92:93], v[68:69], v[104:105]
	s_wait_loadcnt_dscnt 0x600
	v_mul_f64_e32 v[96:97], v[86:87], v[12:13]
	v_add_f64_e32 v[4:5], v[4:5], v[90:91]
	v_add_f64_e32 v[8:9], v[8:9], v[124:125]
	v_mul_f64_e32 v[12:13], v[88:89], v[12:13]
	v_fmac_f64_e32 v[120:121], v[68:69], v[102:103]
	v_fma_f64 v[102:103], v[66:67], v[102:103], -v[92:93]
	ds_load_b128 v[66:69], v2 offset:656
	ds_load_b128 v[90:93], v2 offset:672
	v_fmac_f64_e32 v[96:97], v[88:89], v[10:11]
	v_add_f64_e32 v[4:5], v[4:5], v[94:95]
	v_add_f64_e32 v[8:9], v[8:9], v[118:119]
	v_fma_f64 v[10:11], v[86:87], v[10:11], -v[12:13]
	s_wait_dscnt 0x1
	v_mul_f64_e32 v[94:95], v[66:67], v[116:117]
	v_mul_f64_e32 v[104:105], v[68:69], v[116:117]
	v_add_f64_e32 v[4:5], v[4:5], v[102:103]
	v_add_f64_e32 v[8:9], v[8:9], v[120:121]
	s_wait_loadcnt_dscnt 0x500
	v_mul_f64_e32 v[12:13], v[90:91], v[64:65]
	v_mul_f64_e32 v[86:87], v[92:93], v[64:65]
	v_fmac_f64_e32 v[94:95], v[68:69], v[114:115]
	v_fma_f64 v[68:69], v[66:67], v[114:115], -v[104:105]
	v_add_f64_e32 v[4:5], v[4:5], v[10:11]
	v_add_f64_e32 v[88:89], v[8:9], v[96:97]
	ds_load_b128 v[8:11], v2 offset:688
	ds_load_b128 v[64:67], v2 offset:704
	v_fmac_f64_e32 v[12:13], v[92:93], v[62:63]
	v_fma_f64 v[62:63], v[90:91], v[62:63], -v[86:87]
	s_wait_loadcnt_dscnt 0x401
	v_mul_f64_e32 v[96:97], v[8:9], v[100:101]
	v_mul_f64_e32 v[100:101], v[10:11], v[100:101]
	s_wait_loadcnt_dscnt 0x300
	v_mul_f64_e32 v[90:91], v[64:65], v[72:73]
	v_mul_f64_e32 v[72:73], v[66:67], v[72:73]
	v_add_f64_e32 v[4:5], v[4:5], v[68:69]
	v_add_f64_e32 v[68:69], v[88:89], v[94:95]
	v_fmac_f64_e32 v[96:97], v[10:11], v[98:99]
	v_fma_f64 v[92:93], v[8:9], v[98:99], -v[100:101]
	ds_load_b128 v[8:11], v2 offset:720
	ds_load_b128 v[86:89], v2 offset:736
	v_fmac_f64_e32 v[90:91], v[66:67], v[70:71]
	v_fma_f64 v[64:65], v[64:65], v[70:71], -v[72:73]
	v_add_f64_e32 v[4:5], v[4:5], v[62:63]
	v_add_f64_e32 v[12:13], v[68:69], v[12:13]
	s_wait_loadcnt_dscnt 0x201
	v_mul_f64_e32 v[62:63], v[8:9], v[76:77]
	v_mul_f64_e32 v[68:69], v[10:11], v[76:77]
	s_wait_loadcnt_dscnt 0x100
	v_mul_f64_e32 v[66:67], v[86:87], v[80:81]
	v_mul_f64_e32 v[70:71], v[88:89], v[80:81]
	v_add_f64_e32 v[4:5], v[4:5], v[92:93]
	v_add_f64_e32 v[12:13], v[12:13], v[96:97]
	v_fmac_f64_e32 v[62:63], v[10:11], v[74:75]
	v_fma_f64 v[68:69], v[8:9], v[74:75], -v[68:69]
	ds_load_b128 v[8:11], v2 offset:752
	v_fmac_f64_e32 v[66:67], v[88:89], v[78:79]
	v_fma_f64 v[70:71], v[86:87], v[78:79], -v[70:71]
	s_wait_loadcnt_dscnt 0x0
	v_mul_f64_e32 v[72:73], v[10:11], v[84:85]
	v_add_f64_e32 v[4:5], v[4:5], v[64:65]
	v_add_f64_e32 v[12:13], v[12:13], v[90:91]
	v_mul_f64_e32 v[64:65], v[8:9], v[84:85]
	s_delay_alu instid0(VALU_DEP_4) | instskip(NEXT) | instid1(VALU_DEP_4)
	v_fma_f64 v[8:9], v[8:9], v[82:83], -v[72:73]
	v_add_f64_e32 v[4:5], v[4:5], v[68:69]
	s_delay_alu instid0(VALU_DEP_4) | instskip(NEXT) | instid1(VALU_DEP_4)
	v_add_f64_e32 v[12:13], v[12:13], v[62:63]
	v_fmac_f64_e32 v[64:65], v[10:11], v[82:83]
	s_delay_alu instid0(VALU_DEP_3) | instskip(NEXT) | instid1(VALU_DEP_3)
	v_add_f64_e32 v[4:5], v[4:5], v[70:71]
	v_add_f64_e32 v[10:11], v[12:13], v[66:67]
	s_delay_alu instid0(VALU_DEP_2) | instskip(NEXT) | instid1(VALU_DEP_2)
	v_add_f64_e32 v[4:5], v[4:5], v[8:9]
	v_add_f64_e32 v[10:11], v[10:11], v[64:65]
	s_delay_alu instid0(VALU_DEP_2) | instskip(NEXT) | instid1(VALU_DEP_2)
	v_add_f64_e64 v[8:9], v[106:107], -v[4:5]
	v_add_f64_e64 v[10:11], v[108:109], -v[10:11]
	scratch_store_b128 off, v[8:11], off offset:64
	s_wait_xcnt 0x0
	v_cmpx_lt_u32_e32 3, v1
	s_cbranch_execz .LBB23_151
; %bb.150:
	scratch_load_b128 v[8:11], off, s14
	v_dual_mov_b32 v3, v2 :: v_dual_mov_b32 v4, v2
	v_mov_b32_e32 v5, v2
	scratch_store_b128 off, v[2:5], off offset:48
	s_wait_loadcnt 0x0
	ds_store_b128 v6, v[8:11]
.LBB23_151:
	s_wait_xcnt 0x0
	s_or_b32 exec_lo, exec_lo, s2
	s_wait_storecnt_dscnt 0x0
	s_barrier_signal -1
	s_barrier_wait -1
	s_clause 0x9
	scratch_load_b128 v[8:11], off, off offset:64
	scratch_load_b128 v[62:65], off, off offset:80
	;; [unrolled: 1-line block ×10, first 2 shown]
	ds_load_b128 v[98:101], v2 offset:448
	ds_load_b128 v[106:109], v2 offset:464
	s_clause 0x1
	scratch_load_b128 v[102:105], off, off offset:224
	scratch_load_b128 v[110:113], off, off offset:48
	s_mov_b32 s2, exec_lo
	s_wait_loadcnt_dscnt 0xb01
	v_mul_f64_e32 v[4:5], v[100:101], v[10:11]
	v_mul_f64_e32 v[122:123], v[98:99], v[10:11]
	scratch_load_b128 v[10:13], off, off offset:240
	s_wait_loadcnt_dscnt 0xb00
	v_mul_f64_e32 v[124:125], v[106:107], v[64:65]
	v_mul_f64_e32 v[64:65], v[108:109], v[64:65]
	v_fma_f64 v[4:5], v[98:99], v[8:9], -v[4:5]
	v_fmac_f64_e32 v[122:123], v[100:101], v[8:9]
	ds_load_b128 v[98:101], v2 offset:480
	ds_load_b128 v[114:117], v2 offset:496
	scratch_load_b128 v[118:121], off, off offset:256
	v_fmac_f64_e32 v[124:125], v[108:109], v[62:63]
	v_fma_f64 v[106:107], v[106:107], v[62:63], -v[64:65]
	scratch_load_b128 v[62:65], off, off offset:272
	s_wait_loadcnt_dscnt 0xc01
	v_mul_f64_e32 v[8:9], v[98:99], v[68:69]
	v_mul_f64_e32 v[68:69], v[100:101], v[68:69]
	v_add_f64_e32 v[4:5], 0, v[4:5]
	v_add_f64_e32 v[108:109], 0, v[122:123]
	s_wait_loadcnt_dscnt 0xb00
	v_mul_f64_e32 v[122:123], v[114:115], v[72:73]
	v_mul_f64_e32 v[72:73], v[116:117], v[72:73]
	v_fmac_f64_e32 v[8:9], v[100:101], v[66:67]
	v_fma_f64 v[126:127], v[98:99], v[66:67], -v[68:69]
	ds_load_b128 v[66:69], v2 offset:512
	ds_load_b128 v[98:101], v2 offset:528
	v_add_f64_e32 v[4:5], v[4:5], v[106:107]
	v_add_f64_e32 v[124:125], v[108:109], v[124:125]
	scratch_load_b128 v[106:109], off, off offset:288
	v_fmac_f64_e32 v[122:123], v[116:117], v[70:71]
	v_fma_f64 v[114:115], v[114:115], v[70:71], -v[72:73]
	scratch_load_b128 v[70:73], off, off offset:304
	s_wait_loadcnt_dscnt 0xc01
	v_mul_f64_e32 v[128:129], v[66:67], v[76:77]
	v_mul_f64_e32 v[76:77], v[68:69], v[76:77]
	v_add_f64_e32 v[4:5], v[4:5], v[126:127]
	v_add_f64_e32 v[8:9], v[124:125], v[8:9]
	s_wait_loadcnt_dscnt 0xb00
	v_mul_f64_e32 v[124:125], v[98:99], v[80:81]
	v_mul_f64_e32 v[80:81], v[100:101], v[80:81]
	v_fmac_f64_e32 v[128:129], v[68:69], v[74:75]
	v_fma_f64 v[126:127], v[66:67], v[74:75], -v[76:77]
	ds_load_b128 v[66:69], v2 offset:544
	ds_load_b128 v[74:77], v2 offset:560
	v_add_f64_e32 v[4:5], v[4:5], v[114:115]
	v_add_f64_e32 v[8:9], v[8:9], v[122:123]
	scratch_load_b128 v[114:117], off, off offset:320
	s_wait_loadcnt_dscnt 0xb01
	v_mul_f64_e32 v[122:123], v[66:67], v[84:85]
	v_mul_f64_e32 v[84:85], v[68:69], v[84:85]
	v_fmac_f64_e32 v[124:125], v[100:101], v[78:79]
	v_fma_f64 v[98:99], v[98:99], v[78:79], -v[80:81]
	scratch_load_b128 v[78:81], off, off offset:336
	v_add_f64_e32 v[4:5], v[4:5], v[126:127]
	v_add_f64_e32 v[8:9], v[8:9], v[128:129]
	s_wait_loadcnt_dscnt 0xb00
	v_mul_f64_e32 v[126:127], v[74:75], v[88:89]
	v_mul_f64_e32 v[88:89], v[76:77], v[88:89]
	v_fmac_f64_e32 v[122:123], v[68:69], v[82:83]
	v_fma_f64 v[128:129], v[66:67], v[82:83], -v[84:85]
	ds_load_b128 v[66:69], v2 offset:576
	ds_load_b128 v[82:85], v2 offset:592
	v_add_f64_e32 v[4:5], v[4:5], v[98:99]
	v_add_f64_e32 v[8:9], v[8:9], v[124:125]
	scratch_load_b128 v[98:101], off, off offset:352
	s_wait_loadcnt_dscnt 0xb01
	v_mul_f64_e32 v[124:125], v[66:67], v[92:93]
	v_mul_f64_e32 v[92:93], v[68:69], v[92:93]
	v_fmac_f64_e32 v[126:127], v[76:77], v[86:87]
	v_fma_f64 v[86:87], v[74:75], v[86:87], -v[88:89]
	scratch_load_b128 v[74:77], off, off offset:368
	v_add_f64_e32 v[4:5], v[4:5], v[128:129]
	v_add_f64_e32 v[8:9], v[8:9], v[122:123]
	s_wait_loadcnt_dscnt 0xb00
	v_mul_f64_e32 v[122:123], v[82:83], v[96:97]
	v_mul_f64_e32 v[96:97], v[84:85], v[96:97]
	v_fmac_f64_e32 v[124:125], v[68:69], v[90:91]
	v_fma_f64 v[90:91], v[66:67], v[90:91], -v[92:93]
	v_add_f64_e32 v[4:5], v[4:5], v[86:87]
	v_add_f64_e32 v[8:9], v[8:9], v[126:127]
	ds_load_b128 v[66:69], v2 offset:608
	ds_load_b128 v[86:89], v2 offset:624
	v_fmac_f64_e32 v[122:123], v[84:85], v[94:95]
	v_fma_f64 v[82:83], v[82:83], v[94:95], -v[96:97]
	s_wait_loadcnt_dscnt 0xa01
	v_mul_f64_e32 v[92:93], v[66:67], v[104:105]
	v_mul_f64_e32 v[104:105], v[68:69], v[104:105]
	v_add_f64_e32 v[4:5], v[4:5], v[90:91]
	v_add_f64_e32 v[8:9], v[8:9], v[124:125]
	s_wait_loadcnt_dscnt 0x800
	v_mul_f64_e32 v[90:91], v[86:87], v[12:13]
	v_mul_f64_e32 v[12:13], v[88:89], v[12:13]
	v_fmac_f64_e32 v[92:93], v[68:69], v[102:103]
	v_fma_f64 v[94:95], v[66:67], v[102:103], -v[104:105]
	v_add_f64_e32 v[4:5], v[4:5], v[82:83]
	v_add_f64_e32 v[8:9], v[8:9], v[122:123]
	ds_load_b128 v[66:69], v2 offset:640
	ds_load_b128 v[82:85], v2 offset:656
	v_fmac_f64_e32 v[90:91], v[88:89], v[10:11]
	v_fma_f64 v[10:11], v[86:87], v[10:11], -v[12:13]
	s_wait_loadcnt_dscnt 0x701
	v_mul_f64_e32 v[96:97], v[66:67], v[120:121]
	v_mul_f64_e32 v[102:103], v[68:69], v[120:121]
	s_wait_loadcnt_dscnt 0x600
	v_mul_f64_e32 v[12:13], v[82:83], v[64:65]
	v_mul_f64_e32 v[86:87], v[84:85], v[64:65]
	v_add_f64_e32 v[4:5], v[4:5], v[94:95]
	v_add_f64_e32 v[8:9], v[8:9], v[92:93]
	v_fmac_f64_e32 v[96:97], v[68:69], v[118:119]
	v_fma_f64 v[68:69], v[66:67], v[118:119], -v[102:103]
	v_fmac_f64_e32 v[12:13], v[84:85], v[62:63]
	v_fma_f64 v[62:63], v[82:83], v[62:63], -v[86:87]
	v_add_f64_e32 v[4:5], v[4:5], v[10:11]
	v_add_f64_e32 v[88:89], v[8:9], v[90:91]
	ds_load_b128 v[8:11], v2 offset:672
	ds_load_b128 v[64:67], v2 offset:688
	s_wait_loadcnt_dscnt 0x501
	v_mul_f64_e32 v[90:91], v[8:9], v[108:109]
	v_mul_f64_e32 v[92:93], v[10:11], v[108:109]
	s_wait_loadcnt_dscnt 0x400
	v_mul_f64_e32 v[86:87], v[64:65], v[72:73]
	v_mul_f64_e32 v[72:73], v[66:67], v[72:73]
	v_add_f64_e32 v[4:5], v[4:5], v[68:69]
	v_add_f64_e32 v[68:69], v[88:89], v[96:97]
	v_fmac_f64_e32 v[90:91], v[10:11], v[106:107]
	v_fma_f64 v[88:89], v[8:9], v[106:107], -v[92:93]
	ds_load_b128 v[8:11], v2 offset:704
	ds_load_b128 v[82:85], v2 offset:720
	v_fmac_f64_e32 v[86:87], v[66:67], v[70:71]
	v_fma_f64 v[64:65], v[64:65], v[70:71], -v[72:73]
	v_add_f64_e32 v[4:5], v[4:5], v[62:63]
	v_add_f64_e32 v[12:13], v[68:69], v[12:13]
	s_wait_loadcnt_dscnt 0x301
	v_mul_f64_e32 v[62:63], v[8:9], v[116:117]
	v_mul_f64_e32 v[68:69], v[10:11], v[116:117]
	s_wait_loadcnt_dscnt 0x200
	v_mul_f64_e32 v[66:67], v[82:83], v[80:81]
	v_mul_f64_e32 v[70:71], v[84:85], v[80:81]
	v_add_f64_e32 v[4:5], v[4:5], v[88:89]
	v_add_f64_e32 v[12:13], v[12:13], v[90:91]
	v_fmac_f64_e32 v[62:63], v[10:11], v[114:115]
	v_fma_f64 v[68:69], v[8:9], v[114:115], -v[68:69]
	v_fmac_f64_e32 v[66:67], v[84:85], v[78:79]
	v_fma_f64 v[70:71], v[82:83], v[78:79], -v[70:71]
	v_add_f64_e32 v[64:65], v[4:5], v[64:65]
	v_add_f64_e32 v[12:13], v[12:13], v[86:87]
	ds_load_b128 v[8:11], v2 offset:736
	ds_load_b128 v[2:5], v2 offset:752
	s_wait_loadcnt_dscnt 0x101
	v_mul_f64_e32 v[72:73], v[8:9], v[100:101]
	v_mul_f64_e32 v[80:81], v[10:11], v[100:101]
	v_add_f64_e32 v[64:65], v[64:65], v[68:69]
	v_add_f64_e32 v[12:13], v[12:13], v[62:63]
	s_wait_loadcnt_dscnt 0x0
	v_mul_f64_e32 v[62:63], v[2:3], v[76:77]
	v_mul_f64_e32 v[68:69], v[4:5], v[76:77]
	v_fmac_f64_e32 v[72:73], v[10:11], v[98:99]
	v_fma_f64 v[8:9], v[8:9], v[98:99], -v[80:81]
	v_add_f64_e32 v[10:11], v[64:65], v[70:71]
	v_add_f64_e32 v[12:13], v[12:13], v[66:67]
	v_fmac_f64_e32 v[62:63], v[4:5], v[74:75]
	v_fma_f64 v[2:3], v[2:3], v[74:75], -v[68:69]
	s_delay_alu instid0(VALU_DEP_4) | instskip(NEXT) | instid1(VALU_DEP_4)
	v_add_f64_e32 v[4:5], v[10:11], v[8:9]
	v_add_f64_e32 v[8:9], v[12:13], v[72:73]
	s_delay_alu instid0(VALU_DEP_2) | instskip(NEXT) | instid1(VALU_DEP_2)
	v_add_f64_e32 v[2:3], v[4:5], v[2:3]
	v_add_f64_e32 v[4:5], v[8:9], v[62:63]
	s_delay_alu instid0(VALU_DEP_2) | instskip(NEXT) | instid1(VALU_DEP_2)
	v_add_f64_e64 v[2:3], v[110:111], -v[2:3]
	v_add_f64_e64 v[4:5], v[112:113], -v[4:5]
	scratch_store_b128 off, v[2:5], off offset:48
	s_wait_xcnt 0x0
	v_cmpx_lt_u32_e32 2, v1
	s_cbranch_execz .LBB23_153
; %bb.152:
	scratch_load_b128 v[2:5], off, s12
	v_mov_b32_e32 v8, 0
	s_delay_alu instid0(VALU_DEP_1)
	v_dual_mov_b32 v9, v8 :: v_dual_mov_b32 v10, v8
	v_mov_b32_e32 v11, v8
	scratch_store_b128 off, v[8:11], off offset:32
	s_wait_loadcnt 0x0
	ds_store_b128 v6, v[2:5]
.LBB23_153:
	s_wait_xcnt 0x0
	s_or_b32 exec_lo, exec_lo, s2
	s_wait_storecnt_dscnt 0x0
	s_barrier_signal -1
	s_barrier_wait -1
	s_clause 0x9
	scratch_load_b128 v[8:11], off, off offset:48
	scratch_load_b128 v[62:65], off, off offset:64
	;; [unrolled: 1-line block ×10, first 2 shown]
	v_mov_b32_e32 v2, 0
	s_mov_b32 s2, exec_lo
	v_dual_ashrrev_i32 v21, 31, v20 :: v_dual_ashrrev_i32 v19, 31, v18
	v_ashrrev_i32_e32 v23, 31, v22
	ds_load_b128 v[98:101], v2 offset:432
	s_clause 0x1
	scratch_load_b128 v[102:105], off, off offset:32
	scratch_load_b128 v[106:109], off, off offset:208
	v_ashrrev_i32_e32 v27, 31, v26
	v_ashrrev_i32_e32 v31, 31, v30
	v_dual_ashrrev_i32 v35, 31, v34 :: v_dual_ashrrev_i32 v25, 31, v24
	v_dual_ashrrev_i32 v29, 31, v28 :: v_dual_ashrrev_i32 v39, 31, v38
	v_ashrrev_i32_e32 v43, 31, v42
	v_dual_ashrrev_i32 v47, 31, v46 :: v_dual_ashrrev_i32 v33, 31, v32
	v_dual_ashrrev_i32 v37, 31, v36 :: v_dual_ashrrev_i32 v51, 31, v50
	;; [unrolled: 1-line block ×4, first 2 shown]
	v_ashrrev_i32_e32 v49, 31, v48
	v_ashrrev_i32_e32 v53, 31, v52
	;; [unrolled: 1-line block ×3, first 2 shown]
	s_wait_loadcnt_dscnt 0xb00
	v_dual_mul_f64 v[4:5], v[100:101], v[10:11] :: v_dual_ashrrev_i32 v61, 31, v60
	v_mul_f64_e32 v[118:119], v[98:99], v[10:11]
	ds_load_b128 v[110:113], v2 offset:448
	scratch_load_b128 v[10:13], off, off offset:224
	s_wait_loadcnt_dscnt 0xb00
	v_mul_f64_e32 v[120:121], v[110:111], v[64:65]
	v_mul_f64_e32 v[64:65], v[112:113], v[64:65]
	v_fma_f64 v[4:5], v[98:99], v[8:9], -v[4:5]
	v_fmac_f64_e32 v[118:119], v[100:101], v[8:9]
	ds_load_b128 v[98:101], v2 offset:464
	ds_load_b128 v[114:117], v2 offset:480
	s_wait_loadcnt_dscnt 0xa01
	v_mul_f64_e32 v[8:9], v[98:99], v[68:69]
	v_mul_f64_e32 v[68:69], v[100:101], v[68:69]
	v_fmac_f64_e32 v[120:121], v[112:113], v[62:63]
	v_fma_f64 v[110:111], v[110:111], v[62:63], -v[64:65]
	scratch_load_b128 v[62:65], off, off offset:240
	v_add_f64_e32 v[4:5], 0, v[4:5]
	v_add_f64_e32 v[112:113], 0, v[118:119]
	s_wait_loadcnt_dscnt 0xa00
	v_mul_f64_e32 v[118:119], v[114:115], v[72:73]
	v_mul_f64_e32 v[72:73], v[116:117], v[72:73]
	v_fmac_f64_e32 v[8:9], v[100:101], v[66:67]
	v_fma_f64 v[122:123], v[98:99], v[66:67], -v[68:69]
	scratch_load_b128 v[66:69], off, off offset:256
	v_add_f64_e32 v[4:5], v[4:5], v[110:111]
	v_add_f64_e32 v[120:121], v[112:113], v[120:121]
	ds_load_b128 v[98:101], v2 offset:496
	ds_load_b128 v[110:113], v2 offset:512
	v_fmac_f64_e32 v[118:119], v[116:117], v[70:71]
	v_fma_f64 v[114:115], v[114:115], v[70:71], -v[72:73]
	scratch_load_b128 v[70:73], off, off offset:272
	s_wait_loadcnt_dscnt 0xb01
	v_mul_f64_e32 v[124:125], v[98:99], v[76:77]
	v_mul_f64_e32 v[76:77], v[100:101], v[76:77]
	v_add_f64_e32 v[4:5], v[4:5], v[122:123]
	v_add_f64_e32 v[8:9], v[120:121], v[8:9]
	s_wait_loadcnt_dscnt 0xa00
	v_mul_f64_e32 v[120:121], v[110:111], v[80:81]
	v_mul_f64_e32 v[80:81], v[112:113], v[80:81]
	v_fmac_f64_e32 v[124:125], v[100:101], v[74:75]
	v_fma_f64 v[122:123], v[98:99], v[74:75], -v[76:77]
	scratch_load_b128 v[74:77], off, off offset:288
	v_add_f64_e32 v[4:5], v[4:5], v[114:115]
	v_add_f64_e32 v[8:9], v[8:9], v[118:119]
	ds_load_b128 v[98:101], v2 offset:528
	ds_load_b128 v[114:117], v2 offset:544
	v_fmac_f64_e32 v[120:121], v[112:113], v[78:79]
	v_fma_f64 v[110:111], v[110:111], v[78:79], -v[80:81]
	scratch_load_b128 v[78:81], off, off offset:304
	s_wait_loadcnt_dscnt 0xb01
	v_mul_f64_e32 v[118:119], v[98:99], v[84:85]
	v_mul_f64_e32 v[84:85], v[100:101], v[84:85]
	v_add_f64_e32 v[4:5], v[4:5], v[122:123]
	v_add_f64_e32 v[8:9], v[8:9], v[124:125]
	s_wait_loadcnt_dscnt 0xa00
	v_mul_f64_e32 v[122:123], v[114:115], v[88:89]
	v_mul_f64_e32 v[88:89], v[116:117], v[88:89]
	v_fmac_f64_e32 v[118:119], v[100:101], v[82:83]
	v_fma_f64 v[124:125], v[98:99], v[82:83], -v[84:85]
	scratch_load_b128 v[82:85], off, off offset:320
	v_add_f64_e32 v[4:5], v[4:5], v[110:111]
	v_add_f64_e32 v[8:9], v[8:9], v[120:121]
	ds_load_b128 v[98:101], v2 offset:560
	ds_load_b128 v[110:113], v2 offset:576
	v_fmac_f64_e32 v[122:123], v[116:117], v[86:87]
	v_fma_f64 v[126:127], v[114:115], v[86:87], -v[88:89]
	s_clause 0x1
	scratch_load_b128 v[86:89], off, off offset:336
	scratch_load_b128 v[114:117], off, off offset:352
	s_wait_loadcnt_dscnt 0xc01
	v_mul_f64_e32 v[120:121], v[98:99], v[92:93]
	v_mul_f64_e32 v[92:93], v[100:101], v[92:93]
	v_add_f64_e32 v[4:5], v[4:5], v[124:125]
	v_add_f64_e32 v[8:9], v[8:9], v[118:119]
	s_wait_loadcnt_dscnt 0xb00
	v_mul_f64_e32 v[118:119], v[110:111], v[96:97]
	v_mul_f64_e32 v[124:125], v[112:113], v[96:97]
	v_fmac_f64_e32 v[120:121], v[100:101], v[90:91]
	v_fma_f64 v[100:101], v[98:99], v[90:91], -v[92:93]
	ds_load_b128 v[90:93], v2 offset:592
	scratch_load_b128 v[96:99], off, off offset:368
	v_add_f64_e32 v[4:5], v[4:5], v[126:127]
	v_add_f64_e32 v[8:9], v[8:9], v[122:123]
	v_fmac_f64_e32 v[118:119], v[112:113], v[94:95]
	v_fma_f64 v[94:95], v[110:111], v[94:95], -v[124:125]
	ds_load_b128 v[110:113], v2 offset:608
	s_wait_loadcnt_dscnt 0xa01
	v_mul_f64_e32 v[122:123], v[90:91], v[108:109]
	v_mul_f64_e32 v[108:109], v[92:93], v[108:109]
	v_add_f64_e32 v[4:5], v[4:5], v[100:101]
	v_add_f64_e32 v[8:9], v[8:9], v[120:121]
	s_wait_loadcnt_dscnt 0x900
	v_mul_f64_e32 v[100:101], v[110:111], v[12:13]
	v_mul_f64_e32 v[12:13], v[112:113], v[12:13]
	v_fmac_f64_e32 v[122:123], v[92:93], v[106:107]
	v_fma_f64 v[120:121], v[90:91], v[106:107], -v[108:109]
	ds_load_b128 v[90:93], v2 offset:624
	ds_load_b128 v[106:109], v2 offset:640
	v_add_f64_e32 v[4:5], v[4:5], v[94:95]
	v_add_f64_e32 v[8:9], v[8:9], v[118:119]
	v_fmac_f64_e32 v[100:101], v[112:113], v[10:11]
	v_fma_f64 v[10:11], v[110:111], v[10:11], -v[12:13]
	s_wait_loadcnt_dscnt 0x801
	v_mul_f64_e32 v[94:95], v[90:91], v[64:65]
	v_mul_f64_e32 v[64:65], v[92:93], v[64:65]
	v_add_f64_e32 v[4:5], v[4:5], v[120:121]
	v_add_f64_e32 v[8:9], v[8:9], v[122:123]
	s_wait_loadcnt_dscnt 0x700
	v_mul_f64_e32 v[12:13], v[106:107], v[68:69]
	v_mul_f64_e32 v[68:69], v[108:109], v[68:69]
	v_fmac_f64_e32 v[94:95], v[92:93], v[62:63]
	v_fma_f64 v[90:91], v[90:91], v[62:63], -v[64:65]
	v_add_f64_e32 v[4:5], v[4:5], v[10:11]
	v_add_f64_e32 v[92:93], v[8:9], v[100:101]
	ds_load_b128 v[8:11], v2 offset:656
	ds_load_b128 v[62:65], v2 offset:672
	s_wait_loadcnt_dscnt 0x601
	v_mul_f64_e32 v[100:101], v[8:9], v[72:73]
	v_mul_f64_e32 v[72:73], v[10:11], v[72:73]
	v_fmac_f64_e32 v[12:13], v[108:109], v[66:67]
	v_fma_f64 v[66:67], v[106:107], v[66:67], -v[68:69]
	v_add_f64_e32 v[4:5], v[4:5], v[90:91]
	v_add_f64_e32 v[68:69], v[92:93], v[94:95]
	v_fmac_f64_e32 v[100:101], v[10:11], v[70:71]
	v_fma_f64 v[70:71], v[8:9], v[70:71], -v[72:73]
	s_wait_loadcnt_dscnt 0x500
	v_mul_f64_e32 v[90:91], v[62:63], v[76:77]
	v_mul_f64_e32 v[76:77], v[64:65], v[76:77]
	v_add_f64_e32 v[4:5], v[4:5], v[66:67]
	v_add_f64_e32 v[12:13], v[68:69], v[12:13]
	ds_load_b128 v[8:11], v2 offset:688
	ds_load_b128 v[66:69], v2 offset:704
	s_wait_loadcnt_dscnt 0x401
	v_mul_f64_e32 v[72:73], v[8:9], v[80:81]
	v_mul_f64_e32 v[80:81], v[10:11], v[80:81]
	v_fmac_f64_e32 v[90:91], v[64:65], v[74:75]
	v_fma_f64 v[62:63], v[62:63], v[74:75], -v[76:77]
	v_add_f64_e32 v[4:5], v[4:5], v[70:71]
	v_add_f64_e32 v[12:13], v[12:13], v[100:101]
	v_fmac_f64_e32 v[72:73], v[10:11], v[78:79]
	v_fma_f64 v[76:77], v[8:9], v[78:79], -v[80:81]
	s_wait_loadcnt_dscnt 0x300
	v_mul_f64_e32 v[70:71], v[66:67], v[84:85]
	v_mul_f64_e32 v[74:75], v[68:69], v[84:85]
	v_add_f64_e32 v[4:5], v[4:5], v[62:63]
	v_add_f64_e32 v[12:13], v[12:13], v[90:91]
	ds_load_b128 v[8:11], v2 offset:720
	ds_load_b128 v[62:65], v2 offset:736
	s_wait_loadcnt_dscnt 0x201
	v_mul_f64_e32 v[78:79], v[8:9], v[88:89]
	v_mul_f64_e32 v[80:81], v[10:11], v[88:89]
	v_fmac_f64_e32 v[70:71], v[68:69], v[82:83]
	v_fma_f64 v[66:67], v[66:67], v[82:83], -v[74:75]
	s_wait_loadcnt_dscnt 0x100
	v_mul_f64_e32 v[68:69], v[62:63], v[116:117]
	v_add_f64_e32 v[4:5], v[4:5], v[76:77]
	v_add_f64_e32 v[12:13], v[12:13], v[72:73]
	v_mul_f64_e32 v[72:73], v[64:65], v[116:117]
	v_fmac_f64_e32 v[78:79], v[10:11], v[86:87]
	v_fma_f64 v[74:75], v[8:9], v[86:87], -v[80:81]
	ds_load_b128 v[8:11], v2 offset:752
	v_fmac_f64_e32 v[68:69], v[64:65], v[114:115]
	v_add_f64_e32 v[4:5], v[4:5], v[66:67]
	v_add_f64_e32 v[12:13], v[12:13], v[70:71]
	v_fma_f64 v[62:63], v[62:63], v[114:115], -v[72:73]
	s_wait_loadcnt_dscnt 0x0
	v_mul_f64_e32 v[66:67], v[8:9], v[98:99]
	v_mul_f64_e32 v[70:71], v[10:11], v[98:99]
	v_add_f64_e32 v[4:5], v[4:5], v[74:75]
	v_add_f64_e32 v[12:13], v[12:13], v[78:79]
	s_delay_alu instid0(VALU_DEP_4) | instskip(NEXT) | instid1(VALU_DEP_4)
	v_fmac_f64_e32 v[66:67], v[10:11], v[96:97]
	v_fma_f64 v[8:9], v[8:9], v[96:97], -v[70:71]
	s_delay_alu instid0(VALU_DEP_4) | instskip(NEXT) | instid1(VALU_DEP_4)
	v_add_f64_e32 v[4:5], v[4:5], v[62:63]
	v_add_f64_e32 v[10:11], v[12:13], v[68:69]
	s_delay_alu instid0(VALU_DEP_2) | instskip(NEXT) | instid1(VALU_DEP_2)
	v_add_f64_e32 v[4:5], v[4:5], v[8:9]
	v_add_f64_e32 v[10:11], v[10:11], v[66:67]
	s_delay_alu instid0(VALU_DEP_2) | instskip(NEXT) | instid1(VALU_DEP_2)
	v_add_f64_e64 v[8:9], v[102:103], -v[4:5]
	v_add_f64_e64 v[10:11], v[104:105], -v[10:11]
	scratch_store_b128 off, v[8:11], off offset:32
	s_wait_xcnt 0x0
	v_cmpx_lt_u32_e32 1, v1
	s_cbranch_execz .LBB23_155
; %bb.154:
	scratch_load_b128 v[8:11], off, s22
	v_dual_mov_b32 v3, v2 :: v_dual_mov_b32 v4, v2
	v_mov_b32_e32 v5, v2
	scratch_store_b128 off, v[2:5], off offset:16
	s_wait_loadcnt 0x0
	ds_store_b128 v6, v[8:11]
.LBB23_155:
	s_wait_xcnt 0x0
	s_or_b32 exec_lo, exec_lo, s2
	s_wait_storecnt_dscnt 0x0
	s_barrier_signal -1
	s_barrier_wait -1
	s_clause 0x9
	scratch_load_b128 v[8:11], off, off offset:32
	scratch_load_b128 v[62:65], off, off offset:48
	;; [unrolled: 1-line block ×10, first 2 shown]
	ds_load_b128 v[98:101], v2 offset:416
	s_clause 0x2
	scratch_load_b128 v[102:105], off, off offset:192
	scratch_load_b128 v[110:113], off, off offset:224
	;; [unrolled: 1-line block ×3, first 2 shown]
	s_mov_b32 s2, exec_lo
	s_wait_loadcnt_dscnt 0xc00
	v_mul_f64_e32 v[4:5], v[100:101], v[10:11]
	v_mul_f64_e32 v[114:115], v[98:99], v[10:11]
	ds_load_b128 v[10:13], v2 offset:432
	v_fma_f64 v[4:5], v[98:99], v[8:9], -v[4:5]
	v_fmac_f64_e32 v[114:115], v[100:101], v[8:9]
	ds_load_b128 v[98:101], v2 offset:448
	s_wait_loadcnt_dscnt 0xb01
	v_mul_f64_e32 v[116:117], v[10:11], v[64:65]
	v_mul_f64_e32 v[64:65], v[12:13], v[64:65]
	s_wait_loadcnt_dscnt 0xa00
	v_mul_f64_e32 v[118:119], v[98:99], v[68:69]
	v_mul_f64_e32 v[68:69], v[100:101], v[68:69]
	v_add_f64_e32 v[4:5], 0, v[4:5]
	v_add_f64_e32 v[114:115], 0, v[114:115]
	v_fmac_f64_e32 v[116:117], v[12:13], v[62:63]
	v_fma_f64 v[12:13], v[10:11], v[62:63], -v[64:65]
	ds_load_b128 v[8:11], v2 offset:464
	scratch_load_b128 v[62:65], off, off offset:240
	v_fmac_f64_e32 v[118:119], v[100:101], v[66:67]
	v_fma_f64 v[122:123], v[98:99], v[66:67], -v[68:69]
	ds_load_b128 v[66:69], v2 offset:480
	s_wait_loadcnt_dscnt 0xa01
	v_mul_f64_e32 v[120:121], v[8:9], v[72:73]
	v_mul_f64_e32 v[72:73], v[10:11], v[72:73]
	scratch_load_b128 v[98:101], off, off offset:256
	v_add_f64_e32 v[4:5], v[4:5], v[12:13]
	v_add_f64_e32 v[12:13], v[114:115], v[116:117]
	s_wait_loadcnt_dscnt 0xa00
	v_mul_f64_e32 v[114:115], v[66:67], v[76:77]
	v_mul_f64_e32 v[76:77], v[68:69], v[76:77]
	v_fmac_f64_e32 v[120:121], v[10:11], v[70:71]
	v_fma_f64 v[116:117], v[8:9], v[70:71], -v[72:73]
	ds_load_b128 v[8:11], v2 offset:496
	scratch_load_b128 v[70:73], off, off offset:272
	v_add_f64_e32 v[4:5], v[4:5], v[122:123]
	v_add_f64_e32 v[12:13], v[12:13], v[118:119]
	v_fmac_f64_e32 v[114:115], v[68:69], v[74:75]
	v_fma_f64 v[122:123], v[66:67], v[74:75], -v[76:77]
	ds_load_b128 v[66:69], v2 offset:512
	s_wait_loadcnt_dscnt 0xa01
	v_mul_f64_e32 v[118:119], v[8:9], v[80:81]
	v_mul_f64_e32 v[80:81], v[10:11], v[80:81]
	scratch_load_b128 v[74:77], off, off offset:288
	v_add_f64_e32 v[4:5], v[4:5], v[116:117]
	v_add_f64_e32 v[12:13], v[12:13], v[120:121]
	s_wait_loadcnt_dscnt 0xa00
	v_mul_f64_e32 v[116:117], v[66:67], v[84:85]
	v_mul_f64_e32 v[84:85], v[68:69], v[84:85]
	v_fmac_f64_e32 v[118:119], v[10:11], v[78:79]
	v_fma_f64 v[120:121], v[8:9], v[78:79], -v[80:81]
	ds_load_b128 v[8:11], v2 offset:528
	scratch_load_b128 v[78:81], off, off offset:304
	v_add_f64_e32 v[4:5], v[4:5], v[122:123]
	v_add_f64_e32 v[12:13], v[12:13], v[114:115]
	;; [unrolled: 18-line block ×4, first 2 shown]
	v_fmac_f64_e32 v[114:115], v[68:69], v[102:103]
	v_fma_f64 v[102:103], v[66:67], v[102:103], -v[104:105]
	ds_load_b128 v[66:69], v2 offset:608
	s_wait_loadcnt_dscnt 0xa00
	v_mul_f64_e32 v[104:105], v[68:69], v[112:113]
	v_add_f64_e32 v[4:5], v[4:5], v[120:121]
	v_add_f64_e32 v[12:13], v[12:13], v[116:117]
	v_mul_f64_e32 v[116:117], v[66:67], v[112:113]
	s_delay_alu instid0(VALU_DEP_3) | instskip(NEXT) | instid1(VALU_DEP_3)
	v_add_f64_e32 v[4:5], v[4:5], v[102:103]
	v_add_f64_e32 v[12:13], v[12:13], v[114:115]
	s_delay_alu instid0(VALU_DEP_3)
	v_fmac_f64_e32 v[116:117], v[68:69], v[110:111]
	v_fma_f64 v[68:69], v[66:67], v[110:111], -v[104:105]
	scratch_load_b128 v[102:105], off, off offset:16
	s_wait_loadcnt 0xa
	v_mul_f64_e32 v[118:119], v[8:9], v[108:109]
	v_mul_f64_e32 v[108:109], v[10:11], v[108:109]
	s_delay_alu instid0(VALU_DEP_2) | instskip(NEXT) | instid1(VALU_DEP_2)
	v_fmac_f64_e32 v[118:119], v[10:11], v[106:107]
	v_fma_f64 v[106:107], v[8:9], v[106:107], -v[108:109]
	ds_load_b128 v[8:11], v2 offset:624
	s_wait_loadcnt_dscnt 0x900
	v_mul_f64_e32 v[108:109], v[8:9], v[64:65]
	v_mul_f64_e32 v[112:113], v[10:11], v[64:65]
	ds_load_b128 v[64:67], v2 offset:640
	v_add_f64_e32 v[12:13], v[12:13], v[118:119]
	v_add_f64_e32 v[4:5], v[4:5], v[106:107]
	v_fmac_f64_e32 v[108:109], v[10:11], v[62:63]
	v_fma_f64 v[62:63], v[8:9], v[62:63], -v[112:113]
	ds_load_b128 v[8:11], v2 offset:656
	s_wait_loadcnt_dscnt 0x801
	v_mul_f64_e32 v[106:107], v[64:65], v[100:101]
	v_mul_f64_e32 v[100:101], v[66:67], v[100:101]
	v_add_f64_e32 v[12:13], v[12:13], v[116:117]
	v_add_f64_e32 v[4:5], v[4:5], v[68:69]
	s_wait_loadcnt_dscnt 0x700
	v_mul_f64_e32 v[68:69], v[8:9], v[72:73]
	v_mul_f64_e32 v[72:73], v[10:11], v[72:73]
	v_fmac_f64_e32 v[106:107], v[66:67], v[98:99]
	v_fma_f64 v[66:67], v[64:65], v[98:99], -v[100:101]
	v_add_f64_e32 v[12:13], v[12:13], v[108:109]
	v_add_f64_e32 v[4:5], v[4:5], v[62:63]
	ds_load_b128 v[62:65], v2 offset:672
	v_fmac_f64_e32 v[68:69], v[10:11], v[70:71]
	v_fma_f64 v[70:71], v[8:9], v[70:71], -v[72:73]
	ds_load_b128 v[8:11], v2 offset:688
	s_wait_loadcnt_dscnt 0x601
	v_mul_f64_e32 v[98:99], v[62:63], v[76:77]
	v_mul_f64_e32 v[76:77], v[64:65], v[76:77]
	v_add_f64_e32 v[12:13], v[12:13], v[106:107]
	v_add_f64_e32 v[4:5], v[4:5], v[66:67]
	s_wait_loadcnt_dscnt 0x500
	v_mul_f64_e32 v[66:67], v[8:9], v[80:81]
	v_mul_f64_e32 v[72:73], v[10:11], v[80:81]
	v_fmac_f64_e32 v[98:99], v[64:65], v[74:75]
	v_fma_f64 v[74:75], v[62:63], v[74:75], -v[76:77]
	ds_load_b128 v[62:65], v2 offset:704
	v_add_f64_e32 v[12:13], v[12:13], v[68:69]
	v_add_f64_e32 v[4:5], v[4:5], v[70:71]
	v_fmac_f64_e32 v[66:67], v[10:11], v[78:79]
	v_fma_f64 v[72:73], v[8:9], v[78:79], -v[72:73]
	ds_load_b128 v[8:11], v2 offset:720
	s_wait_loadcnt_dscnt 0x401
	v_mul_f64_e32 v[68:69], v[62:63], v[84:85]
	v_mul_f64_e32 v[70:71], v[64:65], v[84:85]
	s_wait_loadcnt_dscnt 0x300
	v_mul_f64_e32 v[76:77], v[10:11], v[88:89]
	v_add_f64_e32 v[12:13], v[12:13], v[98:99]
	v_add_f64_e32 v[4:5], v[4:5], v[74:75]
	v_mul_f64_e32 v[74:75], v[8:9], v[88:89]
	v_fmac_f64_e32 v[68:69], v[64:65], v[82:83]
	v_fma_f64 v[70:71], v[62:63], v[82:83], -v[70:71]
	ds_load_b128 v[62:65], v2 offset:736
	v_fma_f64 v[8:9], v[8:9], v[86:87], -v[76:77]
	v_add_f64_e32 v[12:13], v[12:13], v[66:67]
	v_add_f64_e32 v[4:5], v[4:5], v[72:73]
	s_wait_loadcnt_dscnt 0x200
	v_mul_f64_e32 v[66:67], v[62:63], v[92:93]
	v_mul_f64_e32 v[72:73], v[64:65], v[92:93]
	v_fmac_f64_e32 v[74:75], v[10:11], v[86:87]
	v_add_f64_e32 v[12:13], v[12:13], v[68:69]
	v_add_f64_e32 v[10:11], v[4:5], v[70:71]
	ds_load_b128 v[2:5], v2 offset:752
	v_fmac_f64_e32 v[66:67], v[64:65], v[90:91]
	v_fma_f64 v[62:63], v[62:63], v[90:91], -v[72:73]
	s_wait_loadcnt_dscnt 0x100
	v_mul_f64_e32 v[68:69], v[2:3], v[96:97]
	v_mul_f64_e32 v[70:71], v[4:5], v[96:97]
	v_add_f64_e32 v[8:9], v[10:11], v[8:9]
	v_add_f64_e32 v[10:11], v[12:13], v[74:75]
	s_delay_alu instid0(VALU_DEP_4) | instskip(NEXT) | instid1(VALU_DEP_4)
	v_fmac_f64_e32 v[68:69], v[4:5], v[94:95]
	v_fma_f64 v[2:3], v[2:3], v[94:95], -v[70:71]
	s_delay_alu instid0(VALU_DEP_4) | instskip(NEXT) | instid1(VALU_DEP_4)
	v_add_f64_e32 v[4:5], v[8:9], v[62:63]
	v_add_f64_e32 v[8:9], v[10:11], v[66:67]
	s_delay_alu instid0(VALU_DEP_2) | instskip(NEXT) | instid1(VALU_DEP_2)
	v_add_f64_e32 v[2:3], v[4:5], v[2:3]
	v_add_f64_e32 v[4:5], v[8:9], v[68:69]
	s_wait_loadcnt 0x0
	s_delay_alu instid0(VALU_DEP_2) | instskip(NEXT) | instid1(VALU_DEP_2)
	v_add_f64_e64 v[2:3], v[102:103], -v[2:3]
	v_add_f64_e64 v[4:5], v[104:105], -v[4:5]
	scratch_store_b128 off, v[2:5], off offset:16
	s_wait_xcnt 0x0
	v_cmpx_ne_u32_e32 0, v1
	s_cbranch_execz .LBB23_157
; %bb.156:
	scratch_load_b128 v[2:5], off, off
	v_mov_b32_e32 v8, 0
	s_delay_alu instid0(VALU_DEP_1)
	v_dual_mov_b32 v9, v8 :: v_dual_mov_b32 v10, v8
	v_mov_b32_e32 v11, v8
	scratch_store_b128 off, v[8:11], off
	s_wait_loadcnt 0x0
	ds_store_b128 v6, v[2:5]
.LBB23_157:
	s_wait_xcnt 0x0
	s_or_b32 exec_lo, exec_lo, s2
	s_wait_storecnt_dscnt 0x0
	s_barrier_signal -1
	s_barrier_wait -1
	s_clause 0x9
	scratch_load_b128 v[2:5], off, off offset:16
	scratch_load_b128 v[6:9], off, off offset:32
	;; [unrolled: 1-line block ×10, first 2 shown]
	v_mov_b32_e32 v66, 0
	s_and_b32 vcc_lo, exec_lo, s36
	ds_load_b128 v[92:95], v66 offset:400
	s_clause 0x2
	scratch_load_b128 v[96:99], off, off offset:176
	scratch_load_b128 v[100:103], off, off
	scratch_load_b128 v[108:111], off, off offset:192
	s_wait_loadcnt_dscnt 0xc00
	v_mul_f64_e32 v[112:113], v[94:95], v[4:5]
	v_mul_f64_e32 v[116:117], v[92:93], v[4:5]
	ds_load_b128 v[104:107], v66 offset:416
	v_fma_f64 v[120:121], v[92:93], v[2:3], -v[112:113]
	v_fmac_f64_e32 v[116:117], v[94:95], v[2:3]
	ds_load_b128 v[2:5], v66 offset:432
	s_wait_loadcnt_dscnt 0xb01
	v_mul_f64_e32 v[118:119], v[104:105], v[8:9]
	v_mul_f64_e32 v[8:9], v[106:107], v[8:9]
	scratch_load_b128 v[92:95], off, off offset:208
	ds_load_b128 v[112:115], v66 offset:448
	s_wait_loadcnt_dscnt 0xb01
	v_mul_f64_e32 v[122:123], v[2:3], v[12:13]
	v_mul_f64_e32 v[12:13], v[4:5], v[12:13]
	v_add_f64_e32 v[116:117], 0, v[116:117]
	v_fmac_f64_e32 v[118:119], v[106:107], v[6:7]
	v_fma_f64 v[104:105], v[104:105], v[6:7], -v[8:9]
	v_add_f64_e32 v[106:107], 0, v[120:121]
	scratch_load_b128 v[6:9], off, off offset:224
	v_fmac_f64_e32 v[122:123], v[4:5], v[10:11]
	v_fma_f64 v[124:125], v[2:3], v[10:11], -v[12:13]
	ds_load_b128 v[2:5], v66 offset:464
	s_wait_loadcnt_dscnt 0xb01
	v_mul_f64_e32 v[120:121], v[112:113], v[64:65]
	v_mul_f64_e32 v[64:65], v[114:115], v[64:65]
	scratch_load_b128 v[10:13], off, off offset:240
	v_add_f64_e32 v[116:117], v[116:117], v[118:119]
	v_add_f64_e32 v[126:127], v[106:107], v[104:105]
	ds_load_b128 v[104:107], v66 offset:480
	s_wait_loadcnt_dscnt 0xb01
	v_mul_f64_e32 v[118:119], v[2:3], v[70:71]
	v_mul_f64_e32 v[70:71], v[4:5], v[70:71]
	v_fmac_f64_e32 v[120:121], v[114:115], v[62:63]
	v_fma_f64 v[112:113], v[112:113], v[62:63], -v[64:65]
	scratch_load_b128 v[62:65], off, off offset:256
	v_add_f64_e32 v[116:117], v[116:117], v[122:123]
	v_add_f64_e32 v[114:115], v[126:127], v[124:125]
	v_fmac_f64_e32 v[118:119], v[4:5], v[68:69]
	v_fma_f64 v[124:125], v[2:3], v[68:69], -v[70:71]
	ds_load_b128 v[2:5], v66 offset:496
	s_wait_loadcnt_dscnt 0xb01
	v_mul_f64_e32 v[122:123], v[104:105], v[74:75]
	v_mul_f64_e32 v[74:75], v[106:107], v[74:75]
	scratch_load_b128 v[68:71], off, off offset:272
	v_add_f64_e32 v[116:117], v[116:117], v[120:121]
	s_wait_loadcnt_dscnt 0xb00
	v_mul_f64_e32 v[120:121], v[2:3], v[78:79]
	v_add_f64_e32 v[126:127], v[114:115], v[112:113]
	v_mul_f64_e32 v[78:79], v[4:5], v[78:79]
	ds_load_b128 v[112:115], v66 offset:512
	v_fmac_f64_e32 v[122:123], v[106:107], v[72:73]
	v_fma_f64 v[104:105], v[104:105], v[72:73], -v[74:75]
	scratch_load_b128 v[72:75], off, off offset:288
	v_add_f64_e32 v[116:117], v[116:117], v[118:119]
	v_fmac_f64_e32 v[120:121], v[4:5], v[76:77]
	v_add_f64_e32 v[106:107], v[126:127], v[124:125]
	v_fma_f64 v[124:125], v[2:3], v[76:77], -v[78:79]
	ds_load_b128 v[2:5], v66 offset:528
	s_wait_loadcnt_dscnt 0xb01
	v_mul_f64_e32 v[118:119], v[112:113], v[82:83]
	v_mul_f64_e32 v[82:83], v[114:115], v[82:83]
	scratch_load_b128 v[76:79], off, off offset:304
	v_add_f64_e32 v[116:117], v[116:117], v[122:123]
	s_wait_loadcnt_dscnt 0xb00
	v_mul_f64_e32 v[122:123], v[2:3], v[86:87]
	v_add_f64_e32 v[126:127], v[106:107], v[104:105]
	v_mul_f64_e32 v[86:87], v[4:5], v[86:87]
	ds_load_b128 v[104:107], v66 offset:544
	v_fmac_f64_e32 v[118:119], v[114:115], v[80:81]
	v_fma_f64 v[112:113], v[112:113], v[80:81], -v[82:83]
	scratch_load_b128 v[80:83], off, off offset:320
	v_add_f64_e32 v[116:117], v[116:117], v[120:121]
	v_fmac_f64_e32 v[122:123], v[4:5], v[84:85]
	v_add_f64_e32 v[114:115], v[126:127], v[124:125]
	;; [unrolled: 18-line block ×3, first 2 shown]
	v_fma_f64 v[124:125], v[2:3], v[96:97], -v[98:99]
	ds_load_b128 v[2:5], v66 offset:592
	s_wait_loadcnt_dscnt 0xa01
	v_mul_f64_e32 v[122:123], v[112:113], v[110:111]
	v_mul_f64_e32 v[110:111], v[114:115], v[110:111]
	scratch_load_b128 v[96:99], off, off offset:368
	v_add_f64_e32 v[116:117], v[116:117], v[120:121]
	v_add_f64_e32 v[126:127], v[106:107], v[104:105]
	s_wait_loadcnt_dscnt 0xa00
	v_mul_f64_e32 v[120:121], v[2:3], v[94:95]
	v_mul_f64_e32 v[94:95], v[4:5], v[94:95]
	v_fmac_f64_e32 v[122:123], v[114:115], v[108:109]
	v_fma_f64 v[108:109], v[112:113], v[108:109], -v[110:111]
	ds_load_b128 v[104:107], v66 offset:608
	v_add_f64_e32 v[112:113], v[116:117], v[118:119]
	v_add_f64_e32 v[110:111], v[126:127], v[124:125]
	s_wait_loadcnt_dscnt 0x900
	v_mul_f64_e32 v[114:115], v[104:105], v[8:9]
	v_mul_f64_e32 v[8:9], v[106:107], v[8:9]
	v_fmac_f64_e32 v[120:121], v[4:5], v[92:93]
	v_fma_f64 v[116:117], v[2:3], v[92:93], -v[94:95]
	ds_load_b128 v[2:5], v66 offset:624
	ds_load_b128 v[92:95], v66 offset:640
	v_add_f64_e32 v[108:109], v[110:111], v[108:109]
	v_add_f64_e32 v[110:111], v[112:113], v[122:123]
	s_wait_loadcnt_dscnt 0x801
	v_mul_f64_e32 v[112:113], v[2:3], v[12:13]
	v_mul_f64_e32 v[12:13], v[4:5], v[12:13]
	v_fmac_f64_e32 v[114:115], v[106:107], v[6:7]
	v_fma_f64 v[6:7], v[104:105], v[6:7], -v[8:9]
	s_wait_loadcnt_dscnt 0x700
	v_mul_f64_e32 v[106:107], v[92:93], v[64:65]
	v_mul_f64_e32 v[64:65], v[94:95], v[64:65]
	v_add_f64_e32 v[8:9], v[108:109], v[116:117]
	v_add_f64_e32 v[104:105], v[110:111], v[120:121]
	v_fmac_f64_e32 v[112:113], v[4:5], v[10:11]
	v_fma_f64 v[10:11], v[2:3], v[10:11], -v[12:13]
	v_fmac_f64_e32 v[106:107], v[94:95], v[62:63]
	v_fma_f64 v[62:63], v[92:93], v[62:63], -v[64:65]
	v_add_f64_e32 v[12:13], v[8:9], v[6:7]
	v_add_f64_e32 v[104:105], v[104:105], v[114:115]
	ds_load_b128 v[2:5], v66 offset:656
	ds_load_b128 v[6:9], v66 offset:672
	s_wait_loadcnt_dscnt 0x601
	v_mul_f64_e32 v[108:109], v[2:3], v[70:71]
	v_mul_f64_e32 v[70:71], v[4:5], v[70:71]
	s_wait_loadcnt_dscnt 0x500
	v_mul_f64_e32 v[64:65], v[6:7], v[74:75]
	v_mul_f64_e32 v[74:75], v[8:9], v[74:75]
	v_add_f64_e32 v[10:11], v[12:13], v[10:11]
	v_add_f64_e32 v[12:13], v[104:105], v[112:113]
	v_fmac_f64_e32 v[108:109], v[4:5], v[68:69]
	v_fma_f64 v[68:69], v[2:3], v[68:69], -v[70:71]
	v_fmac_f64_e32 v[64:65], v[8:9], v[72:73]
	v_fma_f64 v[6:7], v[6:7], v[72:73], -v[74:75]
	v_add_f64_e32 v[62:63], v[10:11], v[62:63]
	v_add_f64_e32 v[70:71], v[12:13], v[106:107]
	ds_load_b128 v[2:5], v66 offset:688
	ds_load_b128 v[10:13], v66 offset:704
	s_wait_loadcnt_dscnt 0x401
	v_mul_f64_e32 v[92:93], v[2:3], v[78:79]
	v_mul_f64_e32 v[78:79], v[4:5], v[78:79]
	v_add_f64_e32 v[8:9], v[62:63], v[68:69]
	v_add_f64_e32 v[62:63], v[70:71], v[108:109]
	s_wait_loadcnt_dscnt 0x300
	v_mul_f64_e32 v[68:69], v[10:11], v[82:83]
	v_mul_f64_e32 v[70:71], v[12:13], v[82:83]
	v_fmac_f64_e32 v[92:93], v[4:5], v[76:77]
	v_fma_f64 v[72:73], v[2:3], v[76:77], -v[78:79]
	v_add_f64_e32 v[74:75], v[8:9], v[6:7]
	v_add_f64_e32 v[62:63], v[62:63], v[64:65]
	ds_load_b128 v[2:5], v66 offset:720
	ds_load_b128 v[6:9], v66 offset:736
	v_fmac_f64_e32 v[68:69], v[12:13], v[80:81]
	v_fma_f64 v[10:11], v[10:11], v[80:81], -v[70:71]
	s_wait_loadcnt_dscnt 0x201
	v_mul_f64_e32 v[64:65], v[2:3], v[86:87]
	v_mul_f64_e32 v[76:77], v[4:5], v[86:87]
	s_wait_loadcnt_dscnt 0x100
	v_mul_f64_e32 v[70:71], v[6:7], v[90:91]
	v_add_f64_e32 v[12:13], v[74:75], v[72:73]
	v_add_f64_e32 v[62:63], v[62:63], v[92:93]
	v_mul_f64_e32 v[72:73], v[8:9], v[90:91]
	v_fmac_f64_e32 v[64:65], v[4:5], v[84:85]
	v_fma_f64 v[74:75], v[2:3], v[84:85], -v[76:77]
	ds_load_b128 v[2:5], v66 offset:752
	v_fmac_f64_e32 v[70:71], v[8:9], v[88:89]
	v_add_f64_e32 v[10:11], v[12:13], v[10:11]
	v_add_f64_e32 v[12:13], v[62:63], v[68:69]
	v_fma_f64 v[6:7], v[6:7], v[88:89], -v[72:73]
	s_wait_loadcnt_dscnt 0x0
	v_mul_f64_e32 v[62:63], v[2:3], v[98:99]
	v_mul_f64_e32 v[68:69], v[4:5], v[98:99]
	v_add_f64_e32 v[8:9], v[10:11], v[74:75]
	v_add_f64_e32 v[10:11], v[12:13], v[64:65]
	v_lshl_add_u64 v[64:65], v[20:21], 4, s[4:5]
	v_lshl_add_u64 v[12:13], v[32:33], 4, s[4:5]
	;; [unrolled: 1-line block ×5, first 2 shown]
	v_fmac_f64_e32 v[62:63], v[4:5], v[96:97]
	v_fma_f64 v[2:3], v[2:3], v[96:97], -v[68:69]
	v_add_f64_e32 v[4:5], v[8:9], v[6:7]
	v_add_f64_e32 v[6:7], v[10:11], v[70:71]
	v_lshl_add_u64 v[8:9], v[28:29], 4, s[4:5]
	v_lshl_add_u64 v[10:11], v[30:31], 4, s[4:5]
	;; [unrolled: 1-line block ×5, first 2 shown]
	v_add_f64_e32 v[2:3], v[4:5], v[2:3]
	v_add_f64_e32 v[4:5], v[6:7], v[62:63]
	v_lshl_add_u64 v[62:63], v[18:19], 4, s[4:5]
	v_lshl_add_u64 v[6:7], v[26:27], 4, s[4:5]
	;; [unrolled: 1-line block ×6, first 2 shown]
	v_add_f64_e64 v[68:69], v[100:101], -v[2:3]
	v_add_f64_e64 v[70:71], v[102:103], -v[4:5]
	v_lshl_add_u64 v[2:3], v[22:23], 4, s[4:5]
	v_lshl_add_u64 v[4:5], v[24:25], 4, s[4:5]
	;; [unrolled: 1-line block ×6, first 2 shown]
	scratch_store_b128 off, v[68:71], off
	s_cbranch_vccz .LBB23_204
; %bb.158:
	global_load_b32 v46, v66, s[16:17] offset:88
	s_load_b64 s[2:3], s[0:1], 0x4
	v_bfe_u32 v47, v0, 10, 10
	v_bfe_u32 v0, v0, 20, 10
	s_wait_kmcnt 0x0
	s_lshr_b32 s0, s2, 16
	s_delay_alu instid0(VALU_DEP_2) | instskip(SKIP_1) | instid1(SALU_CYCLE_1)
	v_mul_u32_u24_e32 v47, s3, v47
	s_mul_i32 s0, s0, s3
	v_mul_u32_u24_e32 v1, s0, v1
	s_delay_alu instid0(VALU_DEP_1) | instskip(NEXT) | instid1(VALU_DEP_1)
	v_add3_u32 v0, v1, v47, v0
	v_lshl_add_u32 v0, v0, 4, 0x308
	s_wait_loadcnt 0x0
	v_cmp_ne_u32_e32 vcc_lo, 23, v46
	s_cbranch_vccz .LBB23_160
; %bb.159:
	v_lshlrev_b32_e32 v1, 4, v46
	s_clause 0x1
	scratch_load_b128 v[46:49], off, s20
	scratch_load_b128 v[50:53], v1, off offset:-16
	s_wait_loadcnt 0x1
	ds_store_2addr_b64 v0, v[46:47], v[48:49] offset1:1
	s_wait_loadcnt 0x0
	s_clause 0x1
	scratch_store_b128 off, v[50:53], s20
	scratch_store_b128 v1, v[46:49], off offset:-16
.LBB23_160:
	s_wait_xcnt 0x0
	v_mov_b32_e32 v1, 0
	global_load_b32 v46, v1, s[16:17] offset:84
	s_wait_loadcnt 0x0
	v_cmp_eq_u32_e32 vcc_lo, 22, v46
	s_cbranch_vccnz .LBB23_162
; %bb.161:
	v_lshlrev_b32_e32 v46, 4, v46
	s_delay_alu instid0(VALU_DEP_1)
	v_mov_b32_e32 v54, v46
	s_clause 0x1
	scratch_load_b128 v[46:49], off, s13
	scratch_load_b128 v[50:53], v54, off offset:-16
	s_wait_loadcnt 0x1
	ds_store_2addr_b64 v0, v[46:47], v[48:49] offset1:1
	s_wait_loadcnt 0x0
	s_clause 0x1
	scratch_store_b128 off, v[50:53], s13
	scratch_store_b128 v54, v[46:49], off offset:-16
.LBB23_162:
	global_load_b32 v1, v1, s[16:17] offset:80
	s_wait_loadcnt 0x0
	v_cmp_eq_u32_e32 vcc_lo, 21, v1
	s_cbranch_vccnz .LBB23_164
; %bb.163:
	s_wait_xcnt 0x0
	v_lshlrev_b32_e32 v1, 4, v1
	s_clause 0x1
	scratch_load_b128 v[46:49], off, s21
	scratch_load_b128 v[50:53], v1, off offset:-16
	s_wait_loadcnt 0x1
	ds_store_2addr_b64 v0, v[46:47], v[48:49] offset1:1
	s_wait_loadcnt 0x0
	s_clause 0x1
	scratch_store_b128 off, v[50:53], s21
	scratch_store_b128 v1, v[46:49], off offset:-16
.LBB23_164:
	s_wait_xcnt 0x0
	v_mov_b32_e32 v1, 0
	global_load_b32 v46, v1, s[16:17] offset:76
	s_wait_loadcnt 0x0
	v_cmp_eq_u32_e32 vcc_lo, 20, v46
	s_cbranch_vccnz .LBB23_166
; %bb.165:
	v_lshlrev_b32_e32 v46, 4, v46
	s_delay_alu instid0(VALU_DEP_1)
	v_mov_b32_e32 v54, v46
	s_clause 0x1
	scratch_load_b128 v[46:49], off, s8
	scratch_load_b128 v[50:53], v54, off offset:-16
	s_wait_loadcnt 0x1
	ds_store_2addr_b64 v0, v[46:47], v[48:49] offset1:1
	s_wait_loadcnt 0x0
	s_clause 0x1
	scratch_store_b128 off, v[50:53], s8
	scratch_store_b128 v54, v[46:49], off offset:-16
.LBB23_166:
	global_load_b32 v1, v1, s[16:17] offset:72
	s_wait_loadcnt 0x0
	v_cmp_eq_u32_e32 vcc_lo, 19, v1
	s_cbranch_vccnz .LBB23_168
; %bb.167:
	s_wait_xcnt 0x0
	v_lshlrev_b32_e32 v1, 4, v1
	s_clause 0x1
	scratch_load_b128 v[46:49], off, s10
	scratch_load_b128 v[50:53], v1, off offset:-16
	s_wait_loadcnt 0x1
	ds_store_2addr_b64 v0, v[46:47], v[48:49] offset1:1
	s_wait_loadcnt 0x0
	s_clause 0x1
	scratch_store_b128 off, v[50:53], s10
	scratch_store_b128 v1, v[46:49], off offset:-16
.LBB23_168:
	;; [unrolled: 37-line block ×10, first 2 shown]
	s_wait_xcnt 0x0
	v_mov_b32_e32 v1, 0
	global_load_b32 v46, v1, s[16:17] offset:4
	s_wait_loadcnt 0x0
	v_cmp_eq_u32_e32 vcc_lo, 2, v46
	s_cbranch_vccnz .LBB23_202
; %bb.201:
	v_lshlrev_b32_e32 v46, 4, v46
	s_delay_alu instid0(VALU_DEP_1)
	v_mov_b32_e32 v54, v46
	s_clause 0x1
	scratch_load_b128 v[46:49], off, s22
	scratch_load_b128 v[50:53], v54, off offset:-16
	s_wait_loadcnt 0x1
	ds_store_2addr_b64 v0, v[46:47], v[48:49] offset1:1
	s_wait_loadcnt 0x0
	s_clause 0x1
	scratch_store_b128 off, v[50:53], s22
	scratch_store_b128 v54, v[46:49], off offset:-16
.LBB23_202:
	global_load_b32 v1, v1, s[16:17]
	s_wait_loadcnt 0x0
	v_cmp_eq_u32_e32 vcc_lo, 1, v1
	s_cbranch_vccnz .LBB23_204
; %bb.203:
	s_wait_xcnt 0x0
	v_lshlrev_b32_e32 v1, 4, v1
	scratch_load_b128 v[46:49], off, off
	scratch_load_b128 v[50:53], v1, off offset:-16
	s_wait_loadcnt 0x1
	ds_store_2addr_b64 v0, v[46:47], v[48:49] offset1:1
	s_wait_loadcnt 0x0
	scratch_store_b128 off, v[50:53], off
	scratch_store_b128 v1, v[46:49], off offset:-16
.LBB23_204:
	scratch_load_b128 v[46:49], off, off
	s_clause 0x10
	scratch_load_b128 v[50:53], off, s22
	scratch_load_b128 v[54:57], off, s12
	;; [unrolled: 1-line block ×15, first 2 shown]
	; meta instruction
	; meta instruction
	;; [unrolled: 1-line block ×15, first 2 shown]
	scratch_load_b128 v[114:117], off, s11
	scratch_load_b128 v[118:121], off, s24
	s_wait_loadcnt 0x11
	global_store_b128 v[14:15], v[46:49], off
	s_clause 0x1
	scratch_load_b128 v[46:49], off, s9
	scratch_load_b128 v[122:125], off, s10
	s_wait_loadcnt 0x12
	global_store_b128 v[16:17], v[50:53], off
	s_clause 0x1
	scratch_load_b128 v[14:17], off, s8
	scratch_load_b128 v[50:53], off, s21
	s_wait_loadcnt 0x13
	global_store_b128 v[62:63], v[54:57], off
	s_wait_loadcnt 0x12
	global_store_b128 v[64:65], v[58:61], off
	s_clause 0x1
	scratch_load_b128 v[54:57], off, s13
	scratch_load_b128 v[58:61], off, s20
	s_wait_loadcnt 0x13
	global_store_b128 v[2:3], v[66:69], off
	s_wait_loadcnt 0x12
	global_store_b128 v[4:5], v[70:73], off
	;; [unrolled: 2-line block ×18, first 2 shown]
	s_wait_loadcnt 0x0
	s_clause 0x1
	global_store_b128 v[42:43], v[58:61], off
	global_store_b128 v[44:45], v[118:121], off
	s_sendmsg sendmsg(MSG_DEALLOC_VGPRS)
	s_endpgm
	.section	.rodata,"a",@progbits
	.p2align	6, 0x0
	.amdhsa_kernel _ZN9rocsolver6v33100L18getri_kernel_smallILi24E19rocblas_complex_numIdEPS3_EEvT1_iilPiilS6_bb
		.amdhsa_group_segment_fixed_size 1800
		.amdhsa_private_segment_fixed_size 400
		.amdhsa_kernarg_size 60
		.amdhsa_user_sgpr_count 4
		.amdhsa_user_sgpr_dispatch_ptr 1
		.amdhsa_user_sgpr_queue_ptr 0
		.amdhsa_user_sgpr_kernarg_segment_ptr 1
		.amdhsa_user_sgpr_dispatch_id 0
		.amdhsa_user_sgpr_kernarg_preload_length 0
		.amdhsa_user_sgpr_kernarg_preload_offset 0
		.amdhsa_user_sgpr_private_segment_size 0
		.amdhsa_wavefront_size32 1
		.amdhsa_uses_dynamic_stack 0
		.amdhsa_enable_private_segment 1
		.amdhsa_system_sgpr_workgroup_id_x 1
		.amdhsa_system_sgpr_workgroup_id_y 0
		.amdhsa_system_sgpr_workgroup_id_z 0
		.amdhsa_system_sgpr_workgroup_info 0
		.amdhsa_system_vgpr_workitem_id 2
		.amdhsa_next_free_vgpr 130
		.amdhsa_next_free_sgpr 43
		.amdhsa_named_barrier_count 0
		.amdhsa_reserve_vcc 1
		.amdhsa_float_round_mode_32 0
		.amdhsa_float_round_mode_16_64 0
		.amdhsa_float_denorm_mode_32 3
		.amdhsa_float_denorm_mode_16_64 3
		.amdhsa_fp16_overflow 0
		.amdhsa_memory_ordered 1
		.amdhsa_forward_progress 1
		.amdhsa_inst_pref_size 232
		.amdhsa_round_robin_scheduling 0
		.amdhsa_exception_fp_ieee_invalid_op 0
		.amdhsa_exception_fp_denorm_src 0
		.amdhsa_exception_fp_ieee_div_zero 0
		.amdhsa_exception_fp_ieee_overflow 0
		.amdhsa_exception_fp_ieee_underflow 0
		.amdhsa_exception_fp_ieee_inexact 0
		.amdhsa_exception_int_div_zero 0
	.end_amdhsa_kernel
	.section	.text._ZN9rocsolver6v33100L18getri_kernel_smallILi24E19rocblas_complex_numIdEPS3_EEvT1_iilPiilS6_bb,"axG",@progbits,_ZN9rocsolver6v33100L18getri_kernel_smallILi24E19rocblas_complex_numIdEPS3_EEvT1_iilPiilS6_bb,comdat
.Lfunc_end23:
	.size	_ZN9rocsolver6v33100L18getri_kernel_smallILi24E19rocblas_complex_numIdEPS3_EEvT1_iilPiilS6_bb, .Lfunc_end23-_ZN9rocsolver6v33100L18getri_kernel_smallILi24E19rocblas_complex_numIdEPS3_EEvT1_iilPiilS6_bb
                                        ; -- End function
	.set _ZN9rocsolver6v33100L18getri_kernel_smallILi24E19rocblas_complex_numIdEPS3_EEvT1_iilPiilS6_bb.num_vgpr, 130
	.set _ZN9rocsolver6v33100L18getri_kernel_smallILi24E19rocblas_complex_numIdEPS3_EEvT1_iilPiilS6_bb.num_agpr, 0
	.set _ZN9rocsolver6v33100L18getri_kernel_smallILi24E19rocblas_complex_numIdEPS3_EEvT1_iilPiilS6_bb.numbered_sgpr, 43
	.set _ZN9rocsolver6v33100L18getri_kernel_smallILi24E19rocblas_complex_numIdEPS3_EEvT1_iilPiilS6_bb.num_named_barrier, 0
	.set _ZN9rocsolver6v33100L18getri_kernel_smallILi24E19rocblas_complex_numIdEPS3_EEvT1_iilPiilS6_bb.private_seg_size, 400
	.set _ZN9rocsolver6v33100L18getri_kernel_smallILi24E19rocblas_complex_numIdEPS3_EEvT1_iilPiilS6_bb.uses_vcc, 1
	.set _ZN9rocsolver6v33100L18getri_kernel_smallILi24E19rocblas_complex_numIdEPS3_EEvT1_iilPiilS6_bb.uses_flat_scratch, 1
	.set _ZN9rocsolver6v33100L18getri_kernel_smallILi24E19rocblas_complex_numIdEPS3_EEvT1_iilPiilS6_bb.has_dyn_sized_stack, 0
	.set _ZN9rocsolver6v33100L18getri_kernel_smallILi24E19rocblas_complex_numIdEPS3_EEvT1_iilPiilS6_bb.has_recursion, 0
	.set _ZN9rocsolver6v33100L18getri_kernel_smallILi24E19rocblas_complex_numIdEPS3_EEvT1_iilPiilS6_bb.has_indirect_call, 0
	.section	.AMDGPU.csdata,"",@progbits
; Kernel info:
; codeLenInByte = 29596
; TotalNumSgprs: 45
; NumVgprs: 130
; ScratchSize: 400
; MemoryBound: 0
; FloatMode: 240
; IeeeMode: 1
; LDSByteSize: 1800 bytes/workgroup (compile time only)
; SGPRBlocks: 0
; VGPRBlocks: 8
; NumSGPRsForWavesPerEU: 45
; NumVGPRsForWavesPerEU: 130
; NamedBarCnt: 0
; Occupancy: 7
; WaveLimiterHint : 1
; COMPUTE_PGM_RSRC2:SCRATCH_EN: 1
; COMPUTE_PGM_RSRC2:USER_SGPR: 4
; COMPUTE_PGM_RSRC2:TRAP_HANDLER: 0
; COMPUTE_PGM_RSRC2:TGID_X_EN: 1
; COMPUTE_PGM_RSRC2:TGID_Y_EN: 0
; COMPUTE_PGM_RSRC2:TGID_Z_EN: 0
; COMPUTE_PGM_RSRC2:TIDIG_COMP_CNT: 2
	.section	.text._ZN9rocsolver6v33100L18getri_kernel_smallILi25E19rocblas_complex_numIdEPS3_EEvT1_iilPiilS6_bb,"axG",@progbits,_ZN9rocsolver6v33100L18getri_kernel_smallILi25E19rocblas_complex_numIdEPS3_EEvT1_iilPiilS6_bb,comdat
	.globl	_ZN9rocsolver6v33100L18getri_kernel_smallILi25E19rocblas_complex_numIdEPS3_EEvT1_iilPiilS6_bb ; -- Begin function _ZN9rocsolver6v33100L18getri_kernel_smallILi25E19rocblas_complex_numIdEPS3_EEvT1_iilPiilS6_bb
	.p2align	8
	.type	_ZN9rocsolver6v33100L18getri_kernel_smallILi25E19rocblas_complex_numIdEPS3_EEvT1_iilPiilS6_bb,@function
_ZN9rocsolver6v33100L18getri_kernel_smallILi25E19rocblas_complex_numIdEPS3_EEvT1_iilPiilS6_bb: ; @_ZN9rocsolver6v33100L18getri_kernel_smallILi25E19rocblas_complex_numIdEPS3_EEvT1_iilPiilS6_bb
; %bb.0:
	v_and_b32_e32 v1, 0x3ff, v0
	s_mov_b32 s4, exec_lo
	s_delay_alu instid0(VALU_DEP_1)
	v_cmpx_gt_u32_e32 25, v1
	s_cbranch_execz .LBB24_114
; %bb.1:
	s_clause 0x2
	s_load_b32 s8, s[2:3], 0x38
	s_load_b128 s[12:15], s[2:3], 0x10
	s_load_b128 s[4:7], s[2:3], 0x28
	s_getreg_b32 s11, hwreg(HW_REG_IB_STS2, 6, 4)
                                        ; implicit-def: $sgpr16_sgpr17
	s_wait_kmcnt 0x0
	s_bitcmp1_b32 s8, 8
	s_cselect_b32 s37, -1, 0
	s_bfe_u32 s9, ttmp6, 0x4000c
	s_and_b32 s10, ttmp6, 15
	s_add_co_i32 s9, s9, 1
	s_delay_alu instid0(SALU_CYCLE_1) | instskip(NEXT) | instid1(SALU_CYCLE_1)
	s_mul_i32 s9, ttmp9, s9
	s_add_co_i32 s10, s10, s9
	s_cmp_eq_u32 s11, 0
	s_cselect_b32 s18, ttmp9, s10
	s_bfe_u32 s8, s8, 0x10008
	s_ashr_i32 s19, s18, 31
	s_cmp_eq_u32 s8, 0
	s_cbranch_scc1 .LBB24_3
; %bb.2:
	s_load_b32 s8, s[2:3], 0x20
	s_mul_u64 s[4:5], s[4:5], s[18:19]
	s_delay_alu instid0(SALU_CYCLE_1) | instskip(NEXT) | instid1(SALU_CYCLE_1)
	s_lshl_b64 s[4:5], s[4:5], 2
	s_add_nc_u64 s[4:5], s[14:15], s[4:5]
	s_wait_kmcnt 0x0
	s_ashr_i32 s9, s8, 31
	s_delay_alu instid0(SALU_CYCLE_1) | instskip(NEXT) | instid1(SALU_CYCLE_1)
	s_lshl_b64 s[8:9], s[8:9], 2
	s_add_nc_u64 s[16:17], s[4:5], s[8:9]
.LBB24_3:
	s_clause 0x1
	s_load_b128 s[8:11], s[2:3], 0x0
	s_load_b32 s38, s[2:3], 0x38
	s_wait_xcnt 0x0
	s_mul_u64 s[2:3], s[12:13], s[18:19]
	v_dual_mov_b32 v65, 0 :: v_dual_lshlrev_b32 v64, 4, v1
	s_lshl_b64 s[2:3], s[2:3], 4
	s_movk_i32 s39, 0x100
	s_movk_i32 s40, 0x110
	;; [unrolled: 1-line block ×8, first 2 shown]
	s_mov_b32 s20, 16
	s_mov_b32 s12, 48
	;; [unrolled: 1-line block ×3, first 2 shown]
	s_movk_i32 s27, 0x50
	s_movk_i32 s29, 0x60
	;; [unrolled: 1-line block ×3, first 2 shown]
	s_wait_kmcnt 0x0
	v_add3_u32 v18, s11, s11, v1
	s_ashr_i32 s5, s10, 31
	s_mov_b32 s4, s10
	s_add_nc_u64 s[2:3], s[8:9], s[2:3]
	s_lshl_b64 s[4:5], s[4:5], 4
	v_add_nc_u32_e32 v20, s11, v18
	s_add_nc_u64 s[4:5], s[2:3], s[4:5]
	s_ashr_i32 s3, s11, 31
	v_add_nc_u64_e32 v[14:15], s[4:5], v[64:65]
	s_mov_b32 s2, s11
	v_add_nc_u32_e32 v22, s11, v20
	s_mov_b32 s9, 32
	s_movk_i32 s25, 0x80
	s_movk_i32 s26, 0x90
	;; [unrolled: 1-line block ×3, first 2 shown]
	v_add_nc_u32_e32 v24, s11, v22
	v_lshl_add_u64 v[16:17], s[2:3], 4, v[14:15]
	s_movk_i32 s31, 0xb0
	s_movk_i32 s34, 0xc0
	s_movk_i32 s35, 0xd0
	v_add_nc_u32_e32 v26, s11, v24
	s_clause 0x3
	global_load_b128 v[2:5], v18, s[4:5] scale_offset
	global_load_b128 v[6:9], v20, s[4:5] scale_offset
	;; [unrolled: 1-line block ×3, first 2 shown]
	global_load_b128 v[66:69], v[16:17], off
	s_movk_i32 s36, 0xe0
	s_movk_i32 s30, 0xf0
	v_add_nc_u32_e32 v28, s11, v26
	s_mov_b32 s24, s39
	s_mov_b32 s21, s40
	;; [unrolled: 1-line block ×4, first 2 shown]
	v_add_nc_u32_e32 v30, s11, v28
	s_clause 0x3
	global_load_b128 v[70:73], v22, s[4:5] scale_offset
	global_load_b128 v[74:77], v24, s[4:5] scale_offset
	;; [unrolled: 1-line block ×4, first 2 shown]
	s_mov_b32 s8, s44
	s_mov_b32 s10, s45
	v_add_nc_u32_e32 v32, s11, v30
	s_movk_i32 s22, 0x180
	s_mov_b32 s15, s46
	s_bitcmp0_b32 s38, 0
	s_mov_b32 s3, -1
	v_add_nc_u32_e32 v34, s11, v32
	s_delay_alu instid0(VALU_DEP_1) | instskip(NEXT) | instid1(VALU_DEP_1)
	v_add_nc_u32_e32 v36, s11, v34
	v_add_nc_u32_e32 v38, s11, v36
	s_clause 0x1
	global_load_b128 v[86:89], v30, s[4:5] scale_offset
	global_load_b128 v[90:93], v32, s[4:5] scale_offset
	v_add_nc_u32_e32 v40, s11, v38
	s_delay_alu instid0(VALU_DEP_1)
	v_add_nc_u32_e32 v42, s11, v40
	s_clause 0x3
	global_load_b128 v[94:97], v34, s[4:5] scale_offset
	global_load_b128 v[98:101], v36, s[4:5] scale_offset
	;; [unrolled: 1-line block ×4, first 2 shown]
	v_add_nc_u32_e32 v44, s11, v42
	s_delay_alu instid0(VALU_DEP_1) | instskip(NEXT) | instid1(VALU_DEP_1)
	v_add_nc_u32_e32 v46, s11, v44
	v_add_nc_u32_e32 v48, s11, v46
	s_delay_alu instid0(VALU_DEP_1) | instskip(NEXT) | instid1(VALU_DEP_1)
	v_add_nc_u32_e32 v50, s11, v48
	v_add_nc_u32_e32 v52, s11, v50
	s_delay_alu instid0(VALU_DEP_1)
	v_add_nc_u32_e32 v54, s11, v52
	s_clause 0x3
	global_load_b128 v[110:113], v42, s[4:5] scale_offset
	global_load_b128 v[114:117], v44, s[4:5] scale_offset
	;; [unrolled: 1-line block ×4, first 2 shown]
	s_wait_loadcnt 0x11
	scratch_store_b128 off, v[2:5], off offset:32
	s_wait_loadcnt 0x10
	scratch_store_b128 off, v[6:9], off offset:48
	v_add_nc_u32_e32 v56, s11, v54
	s_clause 0x1
	global_load_b128 v[2:5], v50, s[4:5] scale_offset
	global_load_b128 v[6:9], v52, s[4:5] scale_offset
	s_wait_loadcnt 0x11
	scratch_store_b128 off, v[10:13], off
	s_wait_loadcnt 0x10
	scratch_store_b128 off, v[66:69], off offset:16
	v_add_nc_u32_e32 v58, s11, v56
	s_delay_alu instid0(VALU_DEP_1) | instskip(NEXT) | instid1(VALU_DEP_1)
	v_add_nc_u32_e32 v60, s11, v58
	v_add_nc_u32_e32 v62, s11, v60
	s_clause 0x1
	global_load_b128 v[10:13], v54, s[4:5] scale_offset
	global_load_b128 v[66:69], v56, s[4:5] scale_offset
	s_wait_loadcnt 0x11
	scratch_store_b128 off, v[70:73], off offset:64
	s_wait_loadcnt 0x10
	scratch_store_b128 off, v[74:77], off offset:80
	s_clause 0x1
	global_load_b128 v[70:73], v58, s[4:5] scale_offset
	global_load_b128 v[74:77], v60, s[4:5] scale_offset
	s_wait_loadcnt 0x11
	scratch_store_b128 off, v[78:81], off offset:96
	s_wait_loadcnt 0x10
	scratch_store_b128 off, v[82:85], off offset:112
	global_load_b128 v[78:81], v62, s[4:5] scale_offset
	s_mov_b32 s11, s42
	s_wait_loadcnt 0x10
	scratch_store_b128 off, v[86:89], off offset:128
	s_wait_loadcnt 0xf
	scratch_store_b128 off, v[90:93], off offset:144
	;; [unrolled: 2-line block ×17, first 2 shown]
	s_cbranch_scc1 .LBB24_112
; %bb.4:
	v_cmp_eq_u32_e64 s2, 0, v1
	s_wait_xcnt 0x0
	s_and_saveexec_b32 s3, s2
; %bb.5:
	v_mov_b32_e32 v2, 0
	ds_store_b32 v2, v2 offset:800
; %bb.6:
	s_or_b32 exec_lo, exec_lo, s3
	s_wait_storecnt_dscnt 0x0
	s_barrier_signal -1
	s_barrier_wait -1
	scratch_load_b128 v[2:5], v1, off scale_offset
	s_wait_loadcnt 0x0
	v_cmp_eq_f64_e32 vcc_lo, 0, v[2:3]
	v_cmp_eq_f64_e64 s3, 0, v[4:5]
	s_and_b32 s3, vcc_lo, s3
	s_delay_alu instid0(SALU_CYCLE_1)
	s_and_saveexec_b32 s38, s3
	s_cbranch_execz .LBB24_10
; %bb.7:
	v_mov_b32_e32 v2, 0
	s_mov_b32 s39, 0
	ds_load_b32 v3, v2 offset:800
	s_wait_dscnt 0x0
	v_readfirstlane_b32 s3, v3
	v_add_nc_u32_e32 v3, 1, v1
	s_cmp_eq_u32 s3, 0
	s_delay_alu instid0(VALU_DEP_1) | instskip(SKIP_1) | instid1(SALU_CYCLE_1)
	v_cmp_gt_i32_e32 vcc_lo, s3, v3
	s_cselect_b32 s40, -1, 0
	s_or_b32 s40, s40, vcc_lo
	s_delay_alu instid0(SALU_CYCLE_1)
	s_and_b32 exec_lo, exec_lo, s40
	s_cbranch_execz .LBB24_10
; %bb.8:
	v_mov_b32_e32 v4, s3
.LBB24_9:                               ; =>This Inner Loop Header: Depth=1
	ds_cmpstore_rtn_b32 v4, v2, v3, v4 offset:800
	s_wait_dscnt 0x0
	v_cmp_ne_u32_e32 vcc_lo, 0, v4
	v_cmp_le_i32_e64 s3, v4, v3
	s_and_b32 s3, vcc_lo, s3
	s_delay_alu instid0(SALU_CYCLE_1) | instskip(NEXT) | instid1(SALU_CYCLE_1)
	s_and_b32 s3, exec_lo, s3
	s_or_b32 s39, s3, s39
	s_delay_alu instid0(SALU_CYCLE_1)
	s_and_not1_b32 exec_lo, exec_lo, s39
	s_cbranch_execnz .LBB24_9
.LBB24_10:
	s_or_b32 exec_lo, exec_lo, s38
	v_mov_b32_e32 v2, 0
	s_barrier_signal -1
	s_barrier_wait -1
	ds_load_b32 v3, v2 offset:800
	s_and_saveexec_b32 s3, s2
	s_cbranch_execz .LBB24_12
; %bb.11:
	s_lshl_b64 s[38:39], s[18:19], 2
	s_delay_alu instid0(SALU_CYCLE_1)
	s_add_nc_u64 s[38:39], s[6:7], s[38:39]
	s_wait_dscnt 0x0
	global_store_b32 v2, v3, s[38:39]
.LBB24_12:
	s_wait_xcnt 0x0
	s_or_b32 exec_lo, exec_lo, s3
	s_wait_dscnt 0x0
	v_cmp_ne_u32_e32 vcc_lo, 0, v3
	s_mov_b32 s3, 0
	s_cbranch_vccnz .LBB24_112
; %bb.13:
	v_lshl_add_u32 v19, v1, 4, 0
                                        ; implicit-def: $vgpr6_vgpr7
                                        ; implicit-def: $vgpr10_vgpr11
	scratch_load_b128 v[2:5], v19, off
	s_wait_loadcnt 0x0
	v_cmp_ngt_f64_e64 s3, |v[2:3]|, |v[4:5]|
	s_wait_xcnt 0x0
	s_and_saveexec_b32 s38, s3
	s_delay_alu instid0(SALU_CYCLE_1)
	s_xor_b32 s3, exec_lo, s38
	s_cbranch_execz .LBB24_15
; %bb.14:
	v_div_scale_f64 v[6:7], null, v[4:5], v[4:5], v[2:3]
	v_div_scale_f64 v[12:13], vcc_lo, v[2:3], v[4:5], v[2:3]
	s_delay_alu instid0(VALU_DEP_2) | instskip(SKIP_1) | instid1(TRANS32_DEP_1)
	v_rcp_f64_e32 v[8:9], v[6:7]
	v_nop
	v_fma_f64 v[10:11], -v[6:7], v[8:9], 1.0
	s_delay_alu instid0(VALU_DEP_1) | instskip(NEXT) | instid1(VALU_DEP_1)
	v_fmac_f64_e32 v[8:9], v[8:9], v[10:11]
	v_fma_f64 v[10:11], -v[6:7], v[8:9], 1.0
	s_delay_alu instid0(VALU_DEP_1) | instskip(NEXT) | instid1(VALU_DEP_1)
	v_fmac_f64_e32 v[8:9], v[8:9], v[10:11]
	v_mul_f64_e32 v[10:11], v[12:13], v[8:9]
	s_delay_alu instid0(VALU_DEP_1) | instskip(NEXT) | instid1(VALU_DEP_1)
	v_fma_f64 v[6:7], -v[6:7], v[10:11], v[12:13]
	v_div_fmas_f64 v[6:7], v[6:7], v[8:9], v[10:11]
	s_delay_alu instid0(VALU_DEP_1) | instskip(NEXT) | instid1(VALU_DEP_1)
	v_div_fixup_f64 v[6:7], v[6:7], v[4:5], v[2:3]
	v_fmac_f64_e32 v[4:5], v[2:3], v[6:7]
	s_delay_alu instid0(VALU_DEP_1) | instskip(SKIP_1) | instid1(VALU_DEP_2)
	v_div_scale_f64 v[2:3], null, v[4:5], v[4:5], 1.0
	v_div_scale_f64 v[12:13], vcc_lo, 1.0, v[4:5], 1.0
	v_rcp_f64_e32 v[8:9], v[2:3]
	v_nop
	s_delay_alu instid0(TRANS32_DEP_1) | instskip(NEXT) | instid1(VALU_DEP_1)
	v_fma_f64 v[10:11], -v[2:3], v[8:9], 1.0
	v_fmac_f64_e32 v[8:9], v[8:9], v[10:11]
	s_delay_alu instid0(VALU_DEP_1) | instskip(NEXT) | instid1(VALU_DEP_1)
	v_fma_f64 v[10:11], -v[2:3], v[8:9], 1.0
	v_fmac_f64_e32 v[8:9], v[8:9], v[10:11]
	s_delay_alu instid0(VALU_DEP_1) | instskip(NEXT) | instid1(VALU_DEP_1)
	v_mul_f64_e32 v[10:11], v[12:13], v[8:9]
	v_fma_f64 v[2:3], -v[2:3], v[10:11], v[12:13]
	s_delay_alu instid0(VALU_DEP_1) | instskip(NEXT) | instid1(VALU_DEP_1)
	v_div_fmas_f64 v[2:3], v[2:3], v[8:9], v[10:11]
	v_div_fixup_f64 v[8:9], v[2:3], v[4:5], 1.0
                                        ; implicit-def: $vgpr2_vgpr3
	s_delay_alu instid0(VALU_DEP_1) | instskip(SKIP_1) | instid1(VALU_DEP_2)
	v_mul_f64_e32 v[6:7], v[6:7], v[8:9]
	v_xor_b32_e32 v9, 0x80000000, v9
	v_xor_b32_e32 v11, 0x80000000, v7
	s_delay_alu instid0(VALU_DEP_3)
	v_mov_b32_e32 v10, v6
.LBB24_15:
	s_and_not1_saveexec_b32 s3, s3
	s_cbranch_execz .LBB24_17
; %bb.16:
	v_div_scale_f64 v[6:7], null, v[2:3], v[2:3], v[4:5]
	v_div_scale_f64 v[12:13], vcc_lo, v[4:5], v[2:3], v[4:5]
	s_delay_alu instid0(VALU_DEP_2) | instskip(SKIP_1) | instid1(TRANS32_DEP_1)
	v_rcp_f64_e32 v[8:9], v[6:7]
	v_nop
	v_fma_f64 v[10:11], -v[6:7], v[8:9], 1.0
	s_delay_alu instid0(VALU_DEP_1) | instskip(NEXT) | instid1(VALU_DEP_1)
	v_fmac_f64_e32 v[8:9], v[8:9], v[10:11]
	v_fma_f64 v[10:11], -v[6:7], v[8:9], 1.0
	s_delay_alu instid0(VALU_DEP_1) | instskip(NEXT) | instid1(VALU_DEP_1)
	v_fmac_f64_e32 v[8:9], v[8:9], v[10:11]
	v_mul_f64_e32 v[10:11], v[12:13], v[8:9]
	s_delay_alu instid0(VALU_DEP_1) | instskip(NEXT) | instid1(VALU_DEP_1)
	v_fma_f64 v[6:7], -v[6:7], v[10:11], v[12:13]
	v_div_fmas_f64 v[6:7], v[6:7], v[8:9], v[10:11]
	s_delay_alu instid0(VALU_DEP_1) | instskip(NEXT) | instid1(VALU_DEP_1)
	v_div_fixup_f64 v[8:9], v[6:7], v[2:3], v[4:5]
	v_fmac_f64_e32 v[2:3], v[4:5], v[8:9]
	s_delay_alu instid0(VALU_DEP_1) | instskip(NEXT) | instid1(VALU_DEP_1)
	v_div_scale_f64 v[4:5], null, v[2:3], v[2:3], 1.0
	v_rcp_f64_e32 v[6:7], v[4:5]
	v_nop
	s_delay_alu instid0(TRANS32_DEP_1) | instskip(NEXT) | instid1(VALU_DEP_1)
	v_fma_f64 v[10:11], -v[4:5], v[6:7], 1.0
	v_fmac_f64_e32 v[6:7], v[6:7], v[10:11]
	s_delay_alu instid0(VALU_DEP_1) | instskip(NEXT) | instid1(VALU_DEP_1)
	v_fma_f64 v[10:11], -v[4:5], v[6:7], 1.0
	v_fmac_f64_e32 v[6:7], v[6:7], v[10:11]
	v_div_scale_f64 v[10:11], vcc_lo, 1.0, v[2:3], 1.0
	s_delay_alu instid0(VALU_DEP_1) | instskip(NEXT) | instid1(VALU_DEP_1)
	v_mul_f64_e32 v[12:13], v[10:11], v[6:7]
	v_fma_f64 v[4:5], -v[4:5], v[12:13], v[10:11]
	s_delay_alu instid0(VALU_DEP_1) | instskip(NEXT) | instid1(VALU_DEP_1)
	v_div_fmas_f64 v[4:5], v[4:5], v[6:7], v[12:13]
	v_div_fixup_f64 v[6:7], v[4:5], v[2:3], 1.0
	s_delay_alu instid0(VALU_DEP_1)
	v_mul_f64_e64 v[8:9], v[8:9], -v[6:7]
	v_xor_b32_e32 v11, 0x80000000, v7
	v_mov_b32_e32 v10, v6
.LBB24_17:
	s_or_b32 exec_lo, exec_lo, s3
	s_clause 0x1
	scratch_store_b128 v19, v[6:9], off
	scratch_load_b128 v[2:5], off, s20
	v_xor_b32_e32 v13, 0x80000000, v9
	v_mov_b32_e32 v12, v8
	s_wait_xcnt 0x1
	v_add_nc_u32_e32 v6, 0x190, v64
	ds_store_b128 v64, v[10:13]
	s_wait_loadcnt 0x0
	ds_store_b128 v64, v[2:5] offset:400
	s_wait_storecnt_dscnt 0x0
	s_barrier_signal -1
	s_barrier_wait -1
	s_wait_xcnt 0x0
	s_and_saveexec_b32 s3, s2
	s_cbranch_execz .LBB24_19
; %bb.18:
	scratch_load_b128 v[2:5], v19, off
	ds_load_b128 v[8:11], v6
	v_mov_b32_e32 v7, 0
	ds_load_b128 v[66:69], v7 offset:16
	s_wait_loadcnt_dscnt 0x1
	v_mul_f64_e32 v[12:13], v[8:9], v[4:5]
	v_mul_f64_e32 v[4:5], v[10:11], v[4:5]
	s_delay_alu instid0(VALU_DEP_2) | instskip(NEXT) | instid1(VALU_DEP_2)
	v_fmac_f64_e32 v[12:13], v[10:11], v[2:3]
	v_fma_f64 v[2:3], v[8:9], v[2:3], -v[4:5]
	s_delay_alu instid0(VALU_DEP_2) | instskip(NEXT) | instid1(VALU_DEP_2)
	v_add_f64_e32 v[8:9], 0, v[12:13]
	v_add_f64_e32 v[2:3], 0, v[2:3]
	s_wait_dscnt 0x0
	s_delay_alu instid0(VALU_DEP_2) | instskip(NEXT) | instid1(VALU_DEP_2)
	v_mul_f64_e32 v[10:11], v[8:9], v[68:69]
	v_mul_f64_e32 v[4:5], v[2:3], v[68:69]
	s_delay_alu instid0(VALU_DEP_2) | instskip(NEXT) | instid1(VALU_DEP_2)
	v_fma_f64 v[2:3], v[2:3], v[66:67], -v[10:11]
	v_fmac_f64_e32 v[4:5], v[8:9], v[66:67]
	scratch_store_b128 off, v[2:5], off offset:16
.LBB24_19:
	s_wait_xcnt 0x0
	s_or_b32 exec_lo, exec_lo, s3
	s_wait_storecnt 0x0
	s_barrier_signal -1
	s_barrier_wait -1
	scratch_load_b128 v[2:5], off, s9
	s_mov_b32 s3, exec_lo
	s_wait_loadcnt 0x0
	ds_store_b128 v6, v[2:5]
	s_wait_dscnt 0x0
	s_barrier_signal -1
	s_barrier_wait -1
	v_cmpx_gt_u32_e32 2, v1
	s_cbranch_execz .LBB24_23
; %bb.20:
	scratch_load_b128 v[2:5], v19, off
	ds_load_b128 v[8:11], v6
	s_wait_loadcnt_dscnt 0x0
	v_mul_f64_e32 v[12:13], v[10:11], v[4:5]
	v_mul_f64_e32 v[66:67], v[8:9], v[4:5]
	s_delay_alu instid0(VALU_DEP_2) | instskip(NEXT) | instid1(VALU_DEP_2)
	v_fma_f64 v[4:5], v[8:9], v[2:3], -v[12:13]
	v_fmac_f64_e32 v[66:67], v[10:11], v[2:3]
	s_delay_alu instid0(VALU_DEP_2) | instskip(NEXT) | instid1(VALU_DEP_2)
	v_add_f64_e32 v[4:5], 0, v[4:5]
	v_add_f64_e32 v[2:3], 0, v[66:67]
	s_and_saveexec_b32 s38, s2
	s_cbranch_execz .LBB24_22
; %bb.21:
	scratch_load_b128 v[8:11], off, off offset:16
	v_mov_b32_e32 v7, 0
	ds_load_b128 v[66:69], v7 offset:416
	s_wait_loadcnt_dscnt 0x0
	v_mul_f64_e32 v[12:13], v[66:67], v[10:11]
	v_mul_f64_e32 v[10:11], v[68:69], v[10:11]
	s_delay_alu instid0(VALU_DEP_2) | instskip(NEXT) | instid1(VALU_DEP_2)
	v_fmac_f64_e32 v[12:13], v[68:69], v[8:9]
	v_fma_f64 v[8:9], v[66:67], v[8:9], -v[10:11]
	s_delay_alu instid0(VALU_DEP_2) | instskip(NEXT) | instid1(VALU_DEP_2)
	v_add_f64_e32 v[2:3], v[2:3], v[12:13]
	v_add_f64_e32 v[4:5], v[4:5], v[8:9]
.LBB24_22:
	s_or_b32 exec_lo, exec_lo, s38
	v_mov_b32_e32 v7, 0
	ds_load_b128 v[8:11], v7 offset:32
	s_wait_dscnt 0x0
	v_mul_f64_e32 v[66:67], v[2:3], v[10:11]
	v_mul_f64_e32 v[12:13], v[4:5], v[10:11]
	s_delay_alu instid0(VALU_DEP_2) | instskip(NEXT) | instid1(VALU_DEP_2)
	v_fma_f64 v[10:11], v[4:5], v[8:9], -v[66:67]
	v_fmac_f64_e32 v[12:13], v[2:3], v[8:9]
	scratch_store_b128 off, v[10:13], off offset:32
.LBB24_23:
	s_wait_xcnt 0x0
	s_or_b32 exec_lo, exec_lo, s3
	s_wait_storecnt 0x0
	s_barrier_signal -1
	s_barrier_wait -1
	scratch_load_b128 v[2:5], off, s12
	v_add_nc_u32_e32 v7, -1, v1
	s_mov_b32 s2, exec_lo
	s_wait_loadcnt 0x0
	ds_store_b128 v6, v[2:5]
	s_wait_dscnt 0x0
	s_barrier_signal -1
	s_barrier_wait -1
	v_cmpx_gt_u32_e32 3, v1
	s_cbranch_execz .LBB24_27
; %bb.24:
	v_dual_mov_b32 v10, v64 :: v_dual_add_nc_u32 v8, -1, v1
	v_mov_b64_e32 v[2:3], 0
	v_mov_b64_e32 v[4:5], 0
	v_add_nc_u32_e32 v9, 0x190, v64
	s_delay_alu instid0(VALU_DEP_4)
	v_or_b32_e32 v10, 8, v10
	s_mov_b32 s3, 0
.LBB24_25:                              ; =>This Inner Loop Header: Depth=1
	scratch_load_b128 v[66:69], v10, off offset:-8
	ds_load_b128 v[70:73], v9
	s_wait_xcnt 0x0
	v_dual_add_nc_u32 v9, 16, v9 :: v_dual_add_nc_u32 v10, 16, v10
	v_add_nc_u32_e32 v8, 1, v8
	s_delay_alu instid0(VALU_DEP_1) | instskip(SKIP_4) | instid1(VALU_DEP_2)
	v_cmp_lt_u32_e32 vcc_lo, 1, v8
	s_or_b32 s3, vcc_lo, s3
	s_wait_loadcnt_dscnt 0x0
	v_mul_f64_e32 v[12:13], v[72:73], v[68:69]
	v_mul_f64_e32 v[68:69], v[70:71], v[68:69]
	v_fma_f64 v[12:13], v[70:71], v[66:67], -v[12:13]
	s_delay_alu instid0(VALU_DEP_2) | instskip(NEXT) | instid1(VALU_DEP_2)
	v_fmac_f64_e32 v[68:69], v[72:73], v[66:67]
	v_add_f64_e32 v[4:5], v[4:5], v[12:13]
	s_delay_alu instid0(VALU_DEP_2)
	v_add_f64_e32 v[2:3], v[2:3], v[68:69]
	s_and_not1_b32 exec_lo, exec_lo, s3
	s_cbranch_execnz .LBB24_25
; %bb.26:
	s_or_b32 exec_lo, exec_lo, s3
	v_mov_b32_e32 v8, 0
	ds_load_b128 v[8:11], v8 offset:48
	s_wait_dscnt 0x0
	v_mul_f64_e32 v[66:67], v[2:3], v[10:11]
	v_mul_f64_e32 v[12:13], v[4:5], v[10:11]
	s_delay_alu instid0(VALU_DEP_2) | instskip(NEXT) | instid1(VALU_DEP_2)
	v_fma_f64 v[10:11], v[4:5], v[8:9], -v[66:67]
	v_fmac_f64_e32 v[12:13], v[2:3], v[8:9]
	scratch_store_b128 off, v[10:13], off offset:48
.LBB24_27:
	s_wait_xcnt 0x0
	s_or_b32 exec_lo, exec_lo, s2
	s_wait_storecnt 0x0
	s_barrier_signal -1
	s_barrier_wait -1
	scratch_load_b128 v[2:5], off, s14
	s_mov_b32 s2, exec_lo
	s_wait_loadcnt 0x0
	ds_store_b128 v6, v[2:5]
	s_wait_dscnt 0x0
	s_barrier_signal -1
	s_barrier_wait -1
	v_cmpx_gt_u32_e32 4, v1
	s_cbranch_execz .LBB24_31
; %bb.28:
	v_dual_mov_b32 v10, v64 :: v_dual_add_nc_u32 v8, -1, v1
	v_mov_b64_e32 v[2:3], 0
	v_mov_b64_e32 v[4:5], 0
	v_add_nc_u32_e32 v9, 0x190, v64
	s_delay_alu instid0(VALU_DEP_4)
	v_or_b32_e32 v10, 8, v10
	s_mov_b32 s3, 0
.LBB24_29:                              ; =>This Inner Loop Header: Depth=1
	scratch_load_b128 v[66:69], v10, off offset:-8
	ds_load_b128 v[70:73], v9
	s_wait_xcnt 0x0
	v_dual_add_nc_u32 v9, 16, v9 :: v_dual_add_nc_u32 v10, 16, v10
	v_add_nc_u32_e32 v8, 1, v8
	s_delay_alu instid0(VALU_DEP_1) | instskip(SKIP_4) | instid1(VALU_DEP_2)
	v_cmp_lt_u32_e32 vcc_lo, 2, v8
	s_or_b32 s3, vcc_lo, s3
	s_wait_loadcnt_dscnt 0x0
	v_mul_f64_e32 v[12:13], v[72:73], v[68:69]
	v_mul_f64_e32 v[68:69], v[70:71], v[68:69]
	v_fma_f64 v[12:13], v[70:71], v[66:67], -v[12:13]
	s_delay_alu instid0(VALU_DEP_2) | instskip(NEXT) | instid1(VALU_DEP_2)
	v_fmac_f64_e32 v[68:69], v[72:73], v[66:67]
	v_add_f64_e32 v[4:5], v[4:5], v[12:13]
	s_delay_alu instid0(VALU_DEP_2)
	v_add_f64_e32 v[2:3], v[2:3], v[68:69]
	s_and_not1_b32 exec_lo, exec_lo, s3
	s_cbranch_execnz .LBB24_29
; %bb.30:
	s_or_b32 exec_lo, exec_lo, s3
	v_mov_b32_e32 v8, 0
	ds_load_b128 v[8:11], v8 offset:64
	s_wait_dscnt 0x0
	v_mul_f64_e32 v[66:67], v[2:3], v[10:11]
	v_mul_f64_e32 v[12:13], v[4:5], v[10:11]
	s_delay_alu instid0(VALU_DEP_2) | instskip(NEXT) | instid1(VALU_DEP_2)
	v_fma_f64 v[10:11], v[4:5], v[8:9], -v[66:67]
	v_fmac_f64_e32 v[12:13], v[2:3], v[8:9]
	scratch_store_b128 off, v[10:13], off offset:64
.LBB24_31:
	s_wait_xcnt 0x0
	s_or_b32 exec_lo, exec_lo, s2
	s_wait_storecnt 0x0
	s_barrier_signal -1
	s_barrier_wait -1
	scratch_load_b128 v[2:5], off, s27
	;; [unrolled: 54-line block ×19, first 2 shown]
	s_mov_b32 s2, exec_lo
	s_wait_loadcnt 0x0
	ds_store_b128 v6, v[2:5]
	s_wait_dscnt 0x0
	s_barrier_signal -1
	s_barrier_wait -1
	v_cmpx_gt_u32_e32 22, v1
	s_cbranch_execz .LBB24_103
; %bb.100:
	v_dual_mov_b32 v10, v64 :: v_dual_add_nc_u32 v8, -1, v1
	v_mov_b64_e32 v[2:3], 0
	v_mov_b64_e32 v[4:5], 0
	v_add_nc_u32_e32 v9, 0x190, v64
	s_delay_alu instid0(VALU_DEP_4)
	v_or_b32_e32 v10, 8, v10
	s_mov_b32 s3, 0
.LBB24_101:                             ; =>This Inner Loop Header: Depth=1
	scratch_load_b128 v[66:69], v10, off offset:-8
	ds_load_b128 v[70:73], v9
	s_wait_xcnt 0x0
	v_dual_add_nc_u32 v9, 16, v9 :: v_dual_add_nc_u32 v10, 16, v10
	v_add_nc_u32_e32 v8, 1, v8
	s_delay_alu instid0(VALU_DEP_1) | instskip(SKIP_4) | instid1(VALU_DEP_2)
	v_cmp_lt_u32_e32 vcc_lo, 20, v8
	s_or_b32 s3, vcc_lo, s3
	s_wait_loadcnt_dscnt 0x0
	v_mul_f64_e32 v[12:13], v[72:73], v[68:69]
	v_mul_f64_e32 v[68:69], v[70:71], v[68:69]
	v_fma_f64 v[12:13], v[70:71], v[66:67], -v[12:13]
	s_delay_alu instid0(VALU_DEP_2) | instskip(NEXT) | instid1(VALU_DEP_2)
	v_fmac_f64_e32 v[68:69], v[72:73], v[66:67]
	v_add_f64_e32 v[4:5], v[4:5], v[12:13]
	s_delay_alu instid0(VALU_DEP_2)
	v_add_f64_e32 v[2:3], v[2:3], v[68:69]
	s_and_not1_b32 exec_lo, exec_lo, s3
	s_cbranch_execnz .LBB24_101
; %bb.102:
	s_or_b32 exec_lo, exec_lo, s3
	v_mov_b32_e32 v8, 0
	ds_load_b128 v[8:11], v8 offset:352
	s_wait_dscnt 0x0
	v_mul_f64_e32 v[66:67], v[2:3], v[10:11]
	v_mul_f64_e32 v[12:13], v[4:5], v[10:11]
	s_delay_alu instid0(VALU_DEP_2) | instskip(NEXT) | instid1(VALU_DEP_2)
	v_fma_f64 v[10:11], v[4:5], v[8:9], -v[66:67]
	v_fmac_f64_e32 v[12:13], v[2:3], v[8:9]
	scratch_store_b128 off, v[10:13], off offset:352
.LBB24_103:
	s_wait_xcnt 0x0
	s_or_b32 exec_lo, exec_lo, s2
	s_wait_storecnt 0x0
	s_barrier_signal -1
	s_barrier_wait -1
	scratch_load_b128 v[2:5], off, s15
	s_mov_b32 s2, exec_lo
	s_wait_loadcnt 0x0
	ds_store_b128 v6, v[2:5]
	s_wait_dscnt 0x0
	s_barrier_signal -1
	s_barrier_wait -1
	v_cmpx_gt_u32_e32 23, v1
	s_cbranch_execz .LBB24_107
; %bb.104:
	v_dual_mov_b32 v10, v64 :: v_dual_add_nc_u32 v8, -1, v1
	v_mov_b64_e32 v[2:3], 0
	v_mov_b64_e32 v[4:5], 0
	v_add_nc_u32_e32 v9, 0x190, v64
	s_delay_alu instid0(VALU_DEP_4)
	v_or_b32_e32 v10, 8, v10
	s_mov_b32 s3, 0
.LBB24_105:                             ; =>This Inner Loop Header: Depth=1
	scratch_load_b128 v[66:69], v10, off offset:-8
	ds_load_b128 v[70:73], v9
	s_wait_xcnt 0x0
	v_dual_add_nc_u32 v9, 16, v9 :: v_dual_add_nc_u32 v10, 16, v10
	v_add_nc_u32_e32 v8, 1, v8
	s_delay_alu instid0(VALU_DEP_1) | instskip(SKIP_4) | instid1(VALU_DEP_2)
	v_cmp_lt_u32_e32 vcc_lo, 21, v8
	s_or_b32 s3, vcc_lo, s3
	s_wait_loadcnt_dscnt 0x0
	v_mul_f64_e32 v[12:13], v[72:73], v[68:69]
	v_mul_f64_e32 v[68:69], v[70:71], v[68:69]
	v_fma_f64 v[12:13], v[70:71], v[66:67], -v[12:13]
	s_delay_alu instid0(VALU_DEP_2) | instskip(NEXT) | instid1(VALU_DEP_2)
	v_fmac_f64_e32 v[68:69], v[72:73], v[66:67]
	v_add_f64_e32 v[4:5], v[4:5], v[12:13]
	s_delay_alu instid0(VALU_DEP_2)
	v_add_f64_e32 v[2:3], v[2:3], v[68:69]
	s_and_not1_b32 exec_lo, exec_lo, s3
	s_cbranch_execnz .LBB24_105
; %bb.106:
	s_or_b32 exec_lo, exec_lo, s3
	v_mov_b32_e32 v8, 0
	ds_load_b128 v[8:11], v8 offset:368
	s_wait_dscnt 0x0
	v_mul_f64_e32 v[66:67], v[2:3], v[10:11]
	v_mul_f64_e32 v[12:13], v[4:5], v[10:11]
	s_delay_alu instid0(VALU_DEP_2) | instskip(NEXT) | instid1(VALU_DEP_2)
	v_fma_f64 v[10:11], v[4:5], v[8:9], -v[66:67]
	v_fmac_f64_e32 v[12:13], v[2:3], v[8:9]
	scratch_store_b128 off, v[10:13], off offset:368
.LBB24_107:
	s_wait_xcnt 0x0
	s_or_b32 exec_lo, exec_lo, s2
	s_wait_storecnt 0x0
	s_barrier_signal -1
	s_barrier_wait -1
	scratch_load_b128 v[2:5], off, s22
	s_mov_b32 s2, exec_lo
	s_wait_loadcnt 0x0
	ds_store_b128 v6, v[2:5]
	s_wait_dscnt 0x0
	s_barrier_signal -1
	s_barrier_wait -1
	v_cmpx_ne_u32_e32 24, v1
	s_cbranch_execz .LBB24_111
; %bb.108:
	v_mov_b32_e32 v8, v64
	v_mov_b64_e32 v[2:3], 0
	v_mov_b64_e32 v[4:5], 0
	s_mov_b32 s3, 0
	s_delay_alu instid0(VALU_DEP_3)
	v_or_b32_e32 v8, 8, v8
.LBB24_109:                             ; =>This Inner Loop Header: Depth=1
	scratch_load_b128 v[10:13], v8, off offset:-8
	ds_load_b128 v[64:67], v6
	v_dual_add_nc_u32 v7, 1, v7 :: v_dual_add_nc_u32 v6, 16, v6
	s_wait_xcnt 0x0
	v_add_nc_u32_e32 v8, 16, v8
	s_delay_alu instid0(VALU_DEP_2) | instskip(SKIP_4) | instid1(VALU_DEP_2)
	v_cmp_lt_u32_e32 vcc_lo, 22, v7
	s_or_b32 s3, vcc_lo, s3
	s_wait_loadcnt_dscnt 0x0
	v_mul_f64_e32 v[68:69], v[66:67], v[12:13]
	v_mul_f64_e32 v[12:13], v[64:65], v[12:13]
	v_fma_f64 v[64:65], v[64:65], v[10:11], -v[68:69]
	s_delay_alu instid0(VALU_DEP_2) | instskip(NEXT) | instid1(VALU_DEP_2)
	v_fmac_f64_e32 v[12:13], v[66:67], v[10:11]
	v_add_f64_e32 v[4:5], v[4:5], v[64:65]
	s_delay_alu instid0(VALU_DEP_2)
	v_add_f64_e32 v[2:3], v[2:3], v[12:13]
	s_and_not1_b32 exec_lo, exec_lo, s3
	s_cbranch_execnz .LBB24_109
; %bb.110:
	s_or_b32 exec_lo, exec_lo, s3
	v_mov_b32_e32 v6, 0
	ds_load_b128 v[6:9], v6 offset:384
	s_wait_dscnt 0x0
	v_mul_f64_e32 v[12:13], v[2:3], v[8:9]
	v_mul_f64_e32 v[10:11], v[4:5], v[8:9]
	s_delay_alu instid0(VALU_DEP_2) | instskip(NEXT) | instid1(VALU_DEP_2)
	v_fma_f64 v[8:9], v[4:5], v[6:7], -v[12:13]
	v_fmac_f64_e32 v[10:11], v[2:3], v[6:7]
	scratch_store_b128 off, v[8:11], off offset:384
.LBB24_111:
	s_wait_xcnt 0x0
	s_or_b32 exec_lo, exec_lo, s2
	s_mov_b32 s3, -1
	s_wait_storecnt 0x0
	s_barrier_signal -1
	s_barrier_wait -1
.LBB24_112:
	s_and_b32 vcc_lo, exec_lo, s3
	s_cbranch_vccz .LBB24_114
; %bb.113:
	s_wait_xcnt 0x6
	v_mov_b32_e32 v2, 0
	s_lshl_b64 s[2:3], s[18:19], 2
	s_delay_alu instid0(SALU_CYCLE_1)
	s_add_nc_u64 s[2:3], s[6:7], s[2:3]
	global_load_b32 v2, v2, s[2:3]
	s_wait_loadcnt 0x0
	v_cmp_ne_u32_e32 vcc_lo, 0, v2
	s_cbranch_vccz .LBB24_115
.LBB24_114:
	s_sendmsg sendmsg(MSG_DEALLOC_VGPRS)
	s_endpgm
.LBB24_115:
	s_wait_xcnt 0x6
	v_lshl_add_u32 v6, v1, 4, 0x190
	s_wait_xcnt 0x0
	s_mov_b32 s2, exec_lo
	v_cmpx_eq_u32_e32 24, v1
	s_cbranch_execz .LBB24_117
; %bb.116:
	scratch_load_b128 v[2:5], off, s15
	v_mov_b32_e32 v8, 0
	s_delay_alu instid0(VALU_DEP_1)
	v_dual_mov_b32 v9, v8 :: v_dual_mov_b32 v10, v8
	v_mov_b32_e32 v11, v8
	scratch_store_b128 off, v[8:11], off offset:368
	s_wait_loadcnt 0x0
	ds_store_b128 v6, v[2:5]
.LBB24_117:
	s_wait_xcnt 0x0
	s_or_b32 exec_lo, exec_lo, s2
	s_wait_storecnt_dscnt 0x0
	s_barrier_signal -1
	s_barrier_wait -1
	s_clause 0x1
	scratch_load_b128 v[8:11], off, off offset:384
	scratch_load_b128 v[64:67], off, off offset:368
	v_mov_b32_e32 v2, 0
	s_mov_b32 s2, exec_lo
	ds_load_b128 v[68:71], v2 offset:784
	s_wait_loadcnt_dscnt 0x100
	v_mul_f64_e32 v[4:5], v[70:71], v[10:11]
	v_mul_f64_e32 v[10:11], v[68:69], v[10:11]
	s_delay_alu instid0(VALU_DEP_2) | instskip(NEXT) | instid1(VALU_DEP_2)
	v_fma_f64 v[4:5], v[68:69], v[8:9], -v[4:5]
	v_fmac_f64_e32 v[10:11], v[70:71], v[8:9]
	s_delay_alu instid0(VALU_DEP_2) | instskip(NEXT) | instid1(VALU_DEP_2)
	v_add_f64_e32 v[4:5], 0, v[4:5]
	v_add_f64_e32 v[10:11], 0, v[10:11]
	s_wait_loadcnt 0x0
	s_delay_alu instid0(VALU_DEP_2) | instskip(NEXT) | instid1(VALU_DEP_2)
	v_add_f64_e64 v[8:9], v[64:65], -v[4:5]
	v_add_f64_e64 v[10:11], v[66:67], -v[10:11]
	scratch_store_b128 off, v[8:11], off offset:368
	s_wait_xcnt 0x0
	v_cmpx_lt_u32_e32 22, v1
	s_cbranch_execz .LBB24_119
; %bb.118:
	scratch_load_b128 v[8:11], off, s10
	v_dual_mov_b32 v3, v2 :: v_dual_mov_b32 v4, v2
	v_mov_b32_e32 v5, v2
	scratch_store_b128 off, v[2:5], off offset:352
	s_wait_loadcnt 0x0
	ds_store_b128 v6, v[8:11]
.LBB24_119:
	s_wait_xcnt 0x0
	s_or_b32 exec_lo, exec_lo, s2
	s_wait_storecnt_dscnt 0x0
	s_barrier_signal -1
	s_barrier_wait -1
	s_clause 0x2
	scratch_load_b128 v[8:11], off, off offset:368
	scratch_load_b128 v[64:67], off, off offset:384
	;; [unrolled: 1-line block ×3, first 2 shown]
	ds_load_b128 v[72:75], v2 offset:768
	ds_load_b128 v[2:5], v2 offset:784
	s_mov_b32 s2, exec_lo
	s_wait_loadcnt_dscnt 0x201
	v_mul_f64_e32 v[12:13], v[74:75], v[10:11]
	v_mul_f64_e32 v[10:11], v[72:73], v[10:11]
	s_wait_loadcnt_dscnt 0x100
	v_mul_f64_e32 v[76:77], v[2:3], v[66:67]
	v_mul_f64_e32 v[66:67], v[4:5], v[66:67]
	s_delay_alu instid0(VALU_DEP_4) | instskip(NEXT) | instid1(VALU_DEP_4)
	v_fma_f64 v[12:13], v[72:73], v[8:9], -v[12:13]
	v_fmac_f64_e32 v[10:11], v[74:75], v[8:9]
	s_delay_alu instid0(VALU_DEP_4) | instskip(NEXT) | instid1(VALU_DEP_4)
	v_fmac_f64_e32 v[76:77], v[4:5], v[64:65]
	v_fma_f64 v[2:3], v[2:3], v[64:65], -v[66:67]
	s_delay_alu instid0(VALU_DEP_4) | instskip(NEXT) | instid1(VALU_DEP_4)
	v_add_f64_e32 v[4:5], 0, v[12:13]
	v_add_f64_e32 v[8:9], 0, v[10:11]
	s_delay_alu instid0(VALU_DEP_2) | instskip(NEXT) | instid1(VALU_DEP_2)
	v_add_f64_e32 v[2:3], v[4:5], v[2:3]
	v_add_f64_e32 v[4:5], v[8:9], v[76:77]
	s_wait_loadcnt 0x0
	s_delay_alu instid0(VALU_DEP_2) | instskip(NEXT) | instid1(VALU_DEP_2)
	v_add_f64_e64 v[2:3], v[68:69], -v[2:3]
	v_add_f64_e64 v[4:5], v[70:71], -v[4:5]
	scratch_store_b128 off, v[2:5], off offset:352
	s_wait_xcnt 0x0
	v_cmpx_lt_u32_e32 21, v1
	s_cbranch_execz .LBB24_121
; %bb.120:
	scratch_load_b128 v[2:5], off, s8
	v_mov_b32_e32 v8, 0
	s_delay_alu instid0(VALU_DEP_1)
	v_dual_mov_b32 v9, v8 :: v_dual_mov_b32 v10, v8
	v_mov_b32_e32 v11, v8
	scratch_store_b128 off, v[8:11], off offset:336
	s_wait_loadcnt 0x0
	ds_store_b128 v6, v[2:5]
.LBB24_121:
	s_wait_xcnt 0x0
	s_or_b32 exec_lo, exec_lo, s2
	s_wait_storecnt_dscnt 0x0
	s_barrier_signal -1
	s_barrier_wait -1
	s_clause 0x3
	scratch_load_b128 v[8:11], off, off offset:352
	scratch_load_b128 v[64:67], off, off offset:368
	;; [unrolled: 1-line block ×4, first 2 shown]
	v_mov_b32_e32 v2, 0
	ds_load_b128 v[76:79], v2 offset:752
	ds_load_b128 v[80:83], v2 offset:768
	s_mov_b32 s2, exec_lo
	s_wait_loadcnt_dscnt 0x301
	v_mul_f64_e32 v[4:5], v[78:79], v[10:11]
	v_mul_f64_e32 v[12:13], v[76:77], v[10:11]
	s_wait_loadcnt_dscnt 0x200
	v_mul_f64_e32 v[84:85], v[80:81], v[66:67]
	v_mul_f64_e32 v[66:67], v[82:83], v[66:67]
	s_delay_alu instid0(VALU_DEP_4) | instskip(NEXT) | instid1(VALU_DEP_4)
	v_fma_f64 v[4:5], v[76:77], v[8:9], -v[4:5]
	v_fmac_f64_e32 v[12:13], v[78:79], v[8:9]
	ds_load_b128 v[8:11], v2 offset:784
	v_fmac_f64_e32 v[84:85], v[82:83], v[64:65]
	v_fma_f64 v[64:65], v[80:81], v[64:65], -v[66:67]
	s_wait_loadcnt_dscnt 0x100
	v_mul_f64_e32 v[76:77], v[8:9], v[70:71]
	v_mul_f64_e32 v[70:71], v[10:11], v[70:71]
	v_add_f64_e32 v[4:5], 0, v[4:5]
	v_add_f64_e32 v[12:13], 0, v[12:13]
	s_delay_alu instid0(VALU_DEP_4) | instskip(NEXT) | instid1(VALU_DEP_4)
	v_fmac_f64_e32 v[76:77], v[10:11], v[68:69]
	v_fma_f64 v[8:9], v[8:9], v[68:69], -v[70:71]
	s_delay_alu instid0(VALU_DEP_4) | instskip(NEXT) | instid1(VALU_DEP_4)
	v_add_f64_e32 v[4:5], v[4:5], v[64:65]
	v_add_f64_e32 v[10:11], v[12:13], v[84:85]
	s_delay_alu instid0(VALU_DEP_2) | instskip(NEXT) | instid1(VALU_DEP_2)
	v_add_f64_e32 v[4:5], v[4:5], v[8:9]
	v_add_f64_e32 v[10:11], v[10:11], v[76:77]
	s_wait_loadcnt 0x0
	s_delay_alu instid0(VALU_DEP_2) | instskip(NEXT) | instid1(VALU_DEP_2)
	v_add_f64_e64 v[8:9], v[72:73], -v[4:5]
	v_add_f64_e64 v[10:11], v[74:75], -v[10:11]
	scratch_store_b128 off, v[8:11], off offset:336
	s_wait_xcnt 0x0
	v_cmpx_lt_u32_e32 20, v1
	s_cbranch_execz .LBB24_123
; %bb.122:
	scratch_load_b128 v[8:11], off, s13
	v_dual_mov_b32 v3, v2 :: v_dual_mov_b32 v4, v2
	v_mov_b32_e32 v5, v2
	scratch_store_b128 off, v[2:5], off offset:320
	s_wait_loadcnt 0x0
	ds_store_b128 v6, v[8:11]
.LBB24_123:
	s_wait_xcnt 0x0
	s_or_b32 exec_lo, exec_lo, s2
	s_wait_storecnt_dscnt 0x0
	s_barrier_signal -1
	s_barrier_wait -1
	s_clause 0x4
	scratch_load_b128 v[8:11], off, off offset:336
	scratch_load_b128 v[64:67], off, off offset:352
	scratch_load_b128 v[68:71], off, off offset:368
	scratch_load_b128 v[72:75], off, off offset:384
	scratch_load_b128 v[76:79], off, off offset:320
	ds_load_b128 v[80:83], v2 offset:736
	ds_load_b128 v[84:87], v2 offset:752
	s_mov_b32 s2, exec_lo
	s_wait_loadcnt_dscnt 0x401
	v_mul_f64_e32 v[4:5], v[82:83], v[10:11]
	v_mul_f64_e32 v[12:13], v[80:81], v[10:11]
	s_wait_loadcnt_dscnt 0x300
	v_mul_f64_e32 v[88:89], v[84:85], v[66:67]
	v_mul_f64_e32 v[66:67], v[86:87], v[66:67]
	s_delay_alu instid0(VALU_DEP_4) | instskip(NEXT) | instid1(VALU_DEP_4)
	v_fma_f64 v[80:81], v[80:81], v[8:9], -v[4:5]
	v_fmac_f64_e32 v[12:13], v[82:83], v[8:9]
	ds_load_b128 v[8:11], v2 offset:768
	ds_load_b128 v[2:5], v2 offset:784
	v_fmac_f64_e32 v[88:89], v[86:87], v[64:65]
	v_fma_f64 v[64:65], v[84:85], v[64:65], -v[66:67]
	s_wait_loadcnt_dscnt 0x201
	v_mul_f64_e32 v[82:83], v[8:9], v[70:71]
	v_mul_f64_e32 v[70:71], v[10:11], v[70:71]
	v_add_f64_e32 v[66:67], 0, v[80:81]
	v_add_f64_e32 v[12:13], 0, v[12:13]
	s_wait_loadcnt_dscnt 0x100
	v_mul_f64_e32 v[80:81], v[2:3], v[74:75]
	v_mul_f64_e32 v[74:75], v[4:5], v[74:75]
	v_fmac_f64_e32 v[82:83], v[10:11], v[68:69]
	v_fma_f64 v[8:9], v[8:9], v[68:69], -v[70:71]
	v_add_f64_e32 v[10:11], v[66:67], v[64:65]
	v_add_f64_e32 v[12:13], v[12:13], v[88:89]
	v_fmac_f64_e32 v[80:81], v[4:5], v[72:73]
	v_fma_f64 v[2:3], v[2:3], v[72:73], -v[74:75]
	s_delay_alu instid0(VALU_DEP_4) | instskip(NEXT) | instid1(VALU_DEP_4)
	v_add_f64_e32 v[4:5], v[10:11], v[8:9]
	v_add_f64_e32 v[8:9], v[12:13], v[82:83]
	s_delay_alu instid0(VALU_DEP_2) | instskip(NEXT) | instid1(VALU_DEP_2)
	v_add_f64_e32 v[2:3], v[4:5], v[2:3]
	v_add_f64_e32 v[4:5], v[8:9], v[80:81]
	s_wait_loadcnt 0x0
	s_delay_alu instid0(VALU_DEP_2) | instskip(NEXT) | instid1(VALU_DEP_2)
	v_add_f64_e64 v[2:3], v[76:77], -v[2:3]
	v_add_f64_e64 v[4:5], v[78:79], -v[4:5]
	scratch_store_b128 off, v[2:5], off offset:320
	s_wait_xcnt 0x0
	v_cmpx_lt_u32_e32 19, v1
	s_cbranch_execz .LBB24_125
; %bb.124:
	scratch_load_b128 v[2:5], off, s11
	v_mov_b32_e32 v8, 0
	s_delay_alu instid0(VALU_DEP_1)
	v_dual_mov_b32 v9, v8 :: v_dual_mov_b32 v10, v8
	v_mov_b32_e32 v11, v8
	scratch_store_b128 off, v[8:11], off offset:304
	s_wait_loadcnt 0x0
	ds_store_b128 v6, v[2:5]
.LBB24_125:
	s_wait_xcnt 0x0
	s_or_b32 exec_lo, exec_lo, s2
	s_wait_storecnt_dscnt 0x0
	s_barrier_signal -1
	s_barrier_wait -1
	s_clause 0x5
	scratch_load_b128 v[8:11], off, off offset:320
	scratch_load_b128 v[64:67], off, off offset:336
	;; [unrolled: 1-line block ×6, first 2 shown]
	v_mov_b32_e32 v2, 0
	ds_load_b128 v[84:87], v2 offset:720
	ds_load_b128 v[88:91], v2 offset:736
	s_mov_b32 s2, exec_lo
	s_wait_loadcnt_dscnt 0x501
	v_mul_f64_e32 v[4:5], v[86:87], v[10:11]
	v_mul_f64_e32 v[12:13], v[84:85], v[10:11]
	s_wait_loadcnt_dscnt 0x400
	v_mul_f64_e32 v[92:93], v[88:89], v[66:67]
	v_mul_f64_e32 v[66:67], v[90:91], v[66:67]
	s_delay_alu instid0(VALU_DEP_4) | instskip(NEXT) | instid1(VALU_DEP_4)
	v_fma_f64 v[4:5], v[84:85], v[8:9], -v[4:5]
	v_fmac_f64_e32 v[12:13], v[86:87], v[8:9]
	ds_load_b128 v[8:11], v2 offset:752
	ds_load_b128 v[84:87], v2 offset:768
	v_fmac_f64_e32 v[92:93], v[90:91], v[64:65]
	v_fma_f64 v[64:65], v[88:89], v[64:65], -v[66:67]
	s_wait_loadcnt_dscnt 0x301
	v_mul_f64_e32 v[94:95], v[8:9], v[70:71]
	v_mul_f64_e32 v[70:71], v[10:11], v[70:71]
	s_wait_loadcnt_dscnt 0x200
	v_mul_f64_e32 v[66:67], v[84:85], v[74:75]
	v_mul_f64_e32 v[74:75], v[86:87], v[74:75]
	v_add_f64_e32 v[4:5], 0, v[4:5]
	v_add_f64_e32 v[12:13], 0, v[12:13]
	v_fmac_f64_e32 v[94:95], v[10:11], v[68:69]
	v_fma_f64 v[68:69], v[8:9], v[68:69], -v[70:71]
	ds_load_b128 v[8:11], v2 offset:784
	v_fmac_f64_e32 v[66:67], v[86:87], v[72:73]
	v_fma_f64 v[72:73], v[84:85], v[72:73], -v[74:75]
	v_add_f64_e32 v[4:5], v[4:5], v[64:65]
	v_add_f64_e32 v[12:13], v[12:13], v[92:93]
	s_wait_loadcnt_dscnt 0x100
	v_mul_f64_e32 v[64:65], v[8:9], v[78:79]
	v_mul_f64_e32 v[70:71], v[10:11], v[78:79]
	s_delay_alu instid0(VALU_DEP_4) | instskip(NEXT) | instid1(VALU_DEP_4)
	v_add_f64_e32 v[4:5], v[4:5], v[68:69]
	v_add_f64_e32 v[12:13], v[12:13], v[94:95]
	s_delay_alu instid0(VALU_DEP_4) | instskip(NEXT) | instid1(VALU_DEP_4)
	v_fmac_f64_e32 v[64:65], v[10:11], v[76:77]
	v_fma_f64 v[8:9], v[8:9], v[76:77], -v[70:71]
	s_delay_alu instid0(VALU_DEP_4) | instskip(NEXT) | instid1(VALU_DEP_4)
	v_add_f64_e32 v[4:5], v[4:5], v[72:73]
	v_add_f64_e32 v[10:11], v[12:13], v[66:67]
	s_delay_alu instid0(VALU_DEP_2) | instskip(NEXT) | instid1(VALU_DEP_2)
	v_add_f64_e32 v[4:5], v[4:5], v[8:9]
	v_add_f64_e32 v[10:11], v[10:11], v[64:65]
	s_wait_loadcnt 0x0
	s_delay_alu instid0(VALU_DEP_2) | instskip(NEXT) | instid1(VALU_DEP_2)
	v_add_f64_e64 v[8:9], v[80:81], -v[4:5]
	v_add_f64_e64 v[10:11], v[82:83], -v[10:11]
	scratch_store_b128 off, v[8:11], off offset:304
	s_wait_xcnt 0x0
	v_cmpx_lt_u32_e32 18, v1
	s_cbranch_execz .LBB24_127
; %bb.126:
	scratch_load_b128 v[8:11], off, s23
	v_dual_mov_b32 v3, v2 :: v_dual_mov_b32 v4, v2
	v_mov_b32_e32 v5, v2
	scratch_store_b128 off, v[2:5], off offset:288
	s_wait_loadcnt 0x0
	ds_store_b128 v6, v[8:11]
.LBB24_127:
	s_wait_xcnt 0x0
	s_or_b32 exec_lo, exec_lo, s2
	s_wait_storecnt_dscnt 0x0
	s_barrier_signal -1
	s_barrier_wait -1
	s_clause 0x6
	scratch_load_b128 v[8:11], off, off offset:304
	scratch_load_b128 v[64:67], off, off offset:320
	scratch_load_b128 v[68:71], off, off offset:336
	scratch_load_b128 v[72:75], off, off offset:352
	scratch_load_b128 v[76:79], off, off offset:368
	scratch_load_b128 v[80:83], off, off offset:384
	scratch_load_b128 v[84:87], off, off offset:288
	ds_load_b128 v[88:91], v2 offset:704
	ds_load_b128 v[92:95], v2 offset:720
	s_mov_b32 s2, exec_lo
	s_wait_loadcnt_dscnt 0x601
	v_mul_f64_e32 v[4:5], v[90:91], v[10:11]
	v_mul_f64_e32 v[12:13], v[88:89], v[10:11]
	s_wait_loadcnt_dscnt 0x500
	v_mul_f64_e32 v[96:97], v[92:93], v[66:67]
	v_mul_f64_e32 v[66:67], v[94:95], v[66:67]
	s_delay_alu instid0(VALU_DEP_4) | instskip(NEXT) | instid1(VALU_DEP_4)
	v_fma_f64 v[4:5], v[88:89], v[8:9], -v[4:5]
	v_fmac_f64_e32 v[12:13], v[90:91], v[8:9]
	ds_load_b128 v[8:11], v2 offset:736
	ds_load_b128 v[88:91], v2 offset:752
	v_fmac_f64_e32 v[96:97], v[94:95], v[64:65]
	v_fma_f64 v[64:65], v[92:93], v[64:65], -v[66:67]
	s_wait_loadcnt_dscnt 0x401
	v_mul_f64_e32 v[98:99], v[8:9], v[70:71]
	v_mul_f64_e32 v[70:71], v[10:11], v[70:71]
	s_wait_loadcnt_dscnt 0x300
	v_mul_f64_e32 v[66:67], v[88:89], v[74:75]
	v_mul_f64_e32 v[74:75], v[90:91], v[74:75]
	v_add_f64_e32 v[4:5], 0, v[4:5]
	v_add_f64_e32 v[12:13], 0, v[12:13]
	v_fmac_f64_e32 v[98:99], v[10:11], v[68:69]
	v_fma_f64 v[68:69], v[8:9], v[68:69], -v[70:71]
	v_fmac_f64_e32 v[66:67], v[90:91], v[72:73]
	v_fma_f64 v[72:73], v[88:89], v[72:73], -v[74:75]
	v_add_f64_e32 v[64:65], v[4:5], v[64:65]
	v_add_f64_e32 v[12:13], v[12:13], v[96:97]
	ds_load_b128 v[8:11], v2 offset:768
	ds_load_b128 v[2:5], v2 offset:784
	s_wait_loadcnt_dscnt 0x201
	v_mul_f64_e32 v[70:71], v[8:9], v[78:79]
	v_mul_f64_e32 v[78:79], v[10:11], v[78:79]
	s_wait_loadcnt_dscnt 0x100
	v_mul_f64_e32 v[74:75], v[4:5], v[82:83]
	v_add_f64_e32 v[64:65], v[64:65], v[68:69]
	v_add_f64_e32 v[12:13], v[12:13], v[98:99]
	v_mul_f64_e32 v[68:69], v[2:3], v[82:83]
	v_fmac_f64_e32 v[70:71], v[10:11], v[76:77]
	v_fma_f64 v[8:9], v[8:9], v[76:77], -v[78:79]
	v_fma_f64 v[2:3], v[2:3], v[80:81], -v[74:75]
	v_add_f64_e32 v[10:11], v[64:65], v[72:73]
	v_add_f64_e32 v[12:13], v[12:13], v[66:67]
	v_fmac_f64_e32 v[68:69], v[4:5], v[80:81]
	s_delay_alu instid0(VALU_DEP_3) | instskip(NEXT) | instid1(VALU_DEP_3)
	v_add_f64_e32 v[4:5], v[10:11], v[8:9]
	v_add_f64_e32 v[8:9], v[12:13], v[70:71]
	s_delay_alu instid0(VALU_DEP_2) | instskip(NEXT) | instid1(VALU_DEP_2)
	v_add_f64_e32 v[2:3], v[4:5], v[2:3]
	v_add_f64_e32 v[4:5], v[8:9], v[68:69]
	s_wait_loadcnt 0x0
	s_delay_alu instid0(VALU_DEP_2) | instskip(NEXT) | instid1(VALU_DEP_2)
	v_add_f64_e64 v[2:3], v[84:85], -v[2:3]
	v_add_f64_e64 v[4:5], v[86:87], -v[4:5]
	scratch_store_b128 off, v[2:5], off offset:288
	s_wait_xcnt 0x0
	v_cmpx_lt_u32_e32 17, v1
	s_cbranch_execz .LBB24_129
; %bb.128:
	scratch_load_b128 v[2:5], off, s21
	v_mov_b32_e32 v8, 0
	s_delay_alu instid0(VALU_DEP_1)
	v_dual_mov_b32 v9, v8 :: v_dual_mov_b32 v10, v8
	v_mov_b32_e32 v11, v8
	scratch_store_b128 off, v[8:11], off offset:272
	s_wait_loadcnt 0x0
	ds_store_b128 v6, v[2:5]
.LBB24_129:
	s_wait_xcnt 0x0
	s_or_b32 exec_lo, exec_lo, s2
	s_wait_storecnt_dscnt 0x0
	s_barrier_signal -1
	s_barrier_wait -1
	s_clause 0x7
	scratch_load_b128 v[8:11], off, off offset:288
	scratch_load_b128 v[64:67], off, off offset:304
	;; [unrolled: 1-line block ×8, first 2 shown]
	v_mov_b32_e32 v2, 0
	ds_load_b128 v[92:95], v2 offset:688
	ds_load_b128 v[96:99], v2 offset:704
	s_mov_b32 s2, exec_lo
	s_wait_loadcnt_dscnt 0x701
	v_mul_f64_e32 v[4:5], v[94:95], v[10:11]
	v_mul_f64_e32 v[12:13], v[92:93], v[10:11]
	s_wait_loadcnt_dscnt 0x600
	v_mul_f64_e32 v[100:101], v[96:97], v[66:67]
	v_mul_f64_e32 v[66:67], v[98:99], v[66:67]
	s_delay_alu instid0(VALU_DEP_4) | instskip(NEXT) | instid1(VALU_DEP_4)
	v_fma_f64 v[4:5], v[92:93], v[8:9], -v[4:5]
	v_fmac_f64_e32 v[12:13], v[94:95], v[8:9]
	ds_load_b128 v[8:11], v2 offset:720
	ds_load_b128 v[92:95], v2 offset:736
	v_fmac_f64_e32 v[100:101], v[98:99], v[64:65]
	v_fma_f64 v[64:65], v[96:97], v[64:65], -v[66:67]
	s_wait_loadcnt_dscnt 0x501
	v_mul_f64_e32 v[102:103], v[8:9], v[70:71]
	v_mul_f64_e32 v[70:71], v[10:11], v[70:71]
	s_wait_loadcnt_dscnt 0x400
	v_mul_f64_e32 v[96:97], v[92:93], v[74:75]
	v_mul_f64_e32 v[74:75], v[94:95], v[74:75]
	v_add_f64_e32 v[4:5], 0, v[4:5]
	v_add_f64_e32 v[12:13], 0, v[12:13]
	v_fmac_f64_e32 v[102:103], v[10:11], v[68:69]
	v_fma_f64 v[68:69], v[8:9], v[68:69], -v[70:71]
	v_fmac_f64_e32 v[96:97], v[94:95], v[72:73]
	v_fma_f64 v[72:73], v[92:93], v[72:73], -v[74:75]
	v_add_f64_e32 v[4:5], v[4:5], v[64:65]
	v_add_f64_e32 v[12:13], v[12:13], v[100:101]
	ds_load_b128 v[8:11], v2 offset:752
	ds_load_b128 v[64:67], v2 offset:768
	s_wait_loadcnt_dscnt 0x301
	v_mul_f64_e32 v[70:71], v[8:9], v[78:79]
	v_mul_f64_e32 v[78:79], v[10:11], v[78:79]
	s_wait_loadcnt_dscnt 0x200
	v_mul_f64_e32 v[74:75], v[66:67], v[82:83]
	v_add_f64_e32 v[4:5], v[4:5], v[68:69]
	v_add_f64_e32 v[12:13], v[12:13], v[102:103]
	v_mul_f64_e32 v[68:69], v[64:65], v[82:83]
	v_fmac_f64_e32 v[70:71], v[10:11], v[76:77]
	v_fma_f64 v[76:77], v[8:9], v[76:77], -v[78:79]
	ds_load_b128 v[8:11], v2 offset:784
	v_fma_f64 v[64:65], v[64:65], v[80:81], -v[74:75]
	v_add_f64_e32 v[4:5], v[4:5], v[72:73]
	v_add_f64_e32 v[12:13], v[12:13], v[96:97]
	v_fmac_f64_e32 v[68:69], v[66:67], v[80:81]
	s_wait_loadcnt_dscnt 0x100
	v_mul_f64_e32 v[72:73], v[8:9], v[86:87]
	v_mul_f64_e32 v[78:79], v[10:11], v[86:87]
	v_add_f64_e32 v[4:5], v[4:5], v[76:77]
	v_add_f64_e32 v[12:13], v[12:13], v[70:71]
	s_delay_alu instid0(VALU_DEP_4) | instskip(NEXT) | instid1(VALU_DEP_4)
	v_fmac_f64_e32 v[72:73], v[10:11], v[84:85]
	v_fma_f64 v[8:9], v[8:9], v[84:85], -v[78:79]
	s_delay_alu instid0(VALU_DEP_4) | instskip(NEXT) | instid1(VALU_DEP_4)
	v_add_f64_e32 v[4:5], v[4:5], v[64:65]
	v_add_f64_e32 v[10:11], v[12:13], v[68:69]
	s_delay_alu instid0(VALU_DEP_2) | instskip(NEXT) | instid1(VALU_DEP_2)
	v_add_f64_e32 v[4:5], v[4:5], v[8:9]
	v_add_f64_e32 v[10:11], v[10:11], v[72:73]
	s_wait_loadcnt 0x0
	s_delay_alu instid0(VALU_DEP_2) | instskip(NEXT) | instid1(VALU_DEP_2)
	v_add_f64_e64 v[8:9], v[88:89], -v[4:5]
	v_add_f64_e64 v[10:11], v[90:91], -v[10:11]
	scratch_store_b128 off, v[8:11], off offset:272
	s_wait_xcnt 0x0
	v_cmpx_lt_u32_e32 16, v1
	s_cbranch_execz .LBB24_131
; %bb.130:
	scratch_load_b128 v[8:11], off, s24
	v_dual_mov_b32 v3, v2 :: v_dual_mov_b32 v4, v2
	v_mov_b32_e32 v5, v2
	scratch_store_b128 off, v[2:5], off offset:256
	s_wait_loadcnt 0x0
	ds_store_b128 v6, v[8:11]
.LBB24_131:
	s_wait_xcnt 0x0
	s_or_b32 exec_lo, exec_lo, s2
	s_wait_storecnt_dscnt 0x0
	s_barrier_signal -1
	s_barrier_wait -1
	s_clause 0x7
	scratch_load_b128 v[8:11], off, off offset:272
	scratch_load_b128 v[64:67], off, off offset:288
	;; [unrolled: 1-line block ×8, first 2 shown]
	ds_load_b128 v[92:95], v2 offset:672
	ds_load_b128 v[96:99], v2 offset:688
	scratch_load_b128 v[100:103], off, off offset:256
	s_mov_b32 s2, exec_lo
	s_wait_loadcnt_dscnt 0x801
	v_mul_f64_e32 v[4:5], v[94:95], v[10:11]
	v_mul_f64_e32 v[12:13], v[92:93], v[10:11]
	s_wait_loadcnt_dscnt 0x700
	v_mul_f64_e32 v[104:105], v[96:97], v[66:67]
	v_mul_f64_e32 v[66:67], v[98:99], v[66:67]
	s_delay_alu instid0(VALU_DEP_4) | instskip(NEXT) | instid1(VALU_DEP_4)
	v_fma_f64 v[4:5], v[92:93], v[8:9], -v[4:5]
	v_fmac_f64_e32 v[12:13], v[94:95], v[8:9]
	ds_load_b128 v[8:11], v2 offset:704
	ds_load_b128 v[92:95], v2 offset:720
	v_fmac_f64_e32 v[104:105], v[98:99], v[64:65]
	v_fma_f64 v[64:65], v[96:97], v[64:65], -v[66:67]
	s_wait_loadcnt_dscnt 0x601
	v_mul_f64_e32 v[106:107], v[8:9], v[70:71]
	v_mul_f64_e32 v[70:71], v[10:11], v[70:71]
	s_wait_loadcnt_dscnt 0x500
	v_mul_f64_e32 v[96:97], v[92:93], v[74:75]
	v_mul_f64_e32 v[74:75], v[94:95], v[74:75]
	v_add_f64_e32 v[4:5], 0, v[4:5]
	v_add_f64_e32 v[12:13], 0, v[12:13]
	v_fmac_f64_e32 v[106:107], v[10:11], v[68:69]
	v_fma_f64 v[68:69], v[8:9], v[68:69], -v[70:71]
	v_fmac_f64_e32 v[96:97], v[94:95], v[72:73]
	v_fma_f64 v[72:73], v[92:93], v[72:73], -v[74:75]
	v_add_f64_e32 v[4:5], v[4:5], v[64:65]
	v_add_f64_e32 v[12:13], v[12:13], v[104:105]
	ds_load_b128 v[8:11], v2 offset:736
	ds_load_b128 v[64:67], v2 offset:752
	s_wait_loadcnt_dscnt 0x401
	v_mul_f64_e32 v[70:71], v[8:9], v[78:79]
	v_mul_f64_e32 v[78:79], v[10:11], v[78:79]
	s_wait_loadcnt_dscnt 0x300
	v_mul_f64_e32 v[74:75], v[66:67], v[82:83]
	v_add_f64_e32 v[4:5], v[4:5], v[68:69]
	v_add_f64_e32 v[12:13], v[12:13], v[106:107]
	v_mul_f64_e32 v[68:69], v[64:65], v[82:83]
	v_fmac_f64_e32 v[70:71], v[10:11], v[76:77]
	v_fma_f64 v[76:77], v[8:9], v[76:77], -v[78:79]
	v_fma_f64 v[64:65], v[64:65], v[80:81], -v[74:75]
	v_add_f64_e32 v[72:73], v[4:5], v[72:73]
	v_add_f64_e32 v[12:13], v[12:13], v[96:97]
	ds_load_b128 v[8:11], v2 offset:768
	ds_load_b128 v[2:5], v2 offset:784
	v_fmac_f64_e32 v[68:69], v[66:67], v[80:81]
	s_wait_loadcnt_dscnt 0x201
	v_mul_f64_e32 v[78:79], v[8:9], v[86:87]
	v_mul_f64_e32 v[82:83], v[10:11], v[86:87]
	v_add_f64_e32 v[66:67], v[72:73], v[76:77]
	v_add_f64_e32 v[12:13], v[12:13], v[70:71]
	s_wait_loadcnt_dscnt 0x100
	v_mul_f64_e32 v[70:71], v[2:3], v[90:91]
	v_mul_f64_e32 v[72:73], v[4:5], v[90:91]
	v_fmac_f64_e32 v[78:79], v[10:11], v[84:85]
	v_fma_f64 v[8:9], v[8:9], v[84:85], -v[82:83]
	v_add_f64_e32 v[10:11], v[66:67], v[64:65]
	v_add_f64_e32 v[12:13], v[12:13], v[68:69]
	v_fmac_f64_e32 v[70:71], v[4:5], v[88:89]
	v_fma_f64 v[2:3], v[2:3], v[88:89], -v[72:73]
	s_delay_alu instid0(VALU_DEP_4) | instskip(NEXT) | instid1(VALU_DEP_4)
	v_add_f64_e32 v[4:5], v[10:11], v[8:9]
	v_add_f64_e32 v[8:9], v[12:13], v[78:79]
	s_delay_alu instid0(VALU_DEP_2) | instskip(NEXT) | instid1(VALU_DEP_2)
	v_add_f64_e32 v[2:3], v[4:5], v[2:3]
	v_add_f64_e32 v[4:5], v[8:9], v[70:71]
	s_wait_loadcnt 0x0
	s_delay_alu instid0(VALU_DEP_2) | instskip(NEXT) | instid1(VALU_DEP_2)
	v_add_f64_e64 v[2:3], v[100:101], -v[2:3]
	v_add_f64_e64 v[4:5], v[102:103], -v[4:5]
	scratch_store_b128 off, v[2:5], off offset:256
	s_wait_xcnt 0x0
	v_cmpx_lt_u32_e32 15, v1
	s_cbranch_execz .LBB24_133
; %bb.132:
	scratch_load_b128 v[2:5], off, s30
	v_mov_b32_e32 v8, 0
	s_delay_alu instid0(VALU_DEP_1)
	v_dual_mov_b32 v9, v8 :: v_dual_mov_b32 v10, v8
	v_mov_b32_e32 v11, v8
	scratch_store_b128 off, v[8:11], off offset:240
	s_wait_loadcnt 0x0
	ds_store_b128 v6, v[2:5]
.LBB24_133:
	s_wait_xcnt 0x0
	s_or_b32 exec_lo, exec_lo, s2
	s_wait_storecnt_dscnt 0x0
	s_barrier_signal -1
	s_barrier_wait -1
	s_clause 0x8
	scratch_load_b128 v[8:11], off, off offset:256
	scratch_load_b128 v[64:67], off, off offset:272
	;; [unrolled: 1-line block ×9, first 2 shown]
	v_mov_b32_e32 v2, 0
	scratch_load_b128 v[100:103], off, off offset:240
	s_mov_b32 s2, exec_lo
	ds_load_b128 v[96:99], v2 offset:656
	ds_load_b128 v[104:107], v2 offset:672
	s_wait_loadcnt_dscnt 0x901
	v_mul_f64_e32 v[4:5], v[98:99], v[10:11]
	v_mul_f64_e32 v[12:13], v[96:97], v[10:11]
	s_wait_loadcnt_dscnt 0x800
	v_mul_f64_e32 v[108:109], v[104:105], v[66:67]
	v_mul_f64_e32 v[66:67], v[106:107], v[66:67]
	s_delay_alu instid0(VALU_DEP_4) | instskip(NEXT) | instid1(VALU_DEP_4)
	v_fma_f64 v[4:5], v[96:97], v[8:9], -v[4:5]
	v_fmac_f64_e32 v[12:13], v[98:99], v[8:9]
	ds_load_b128 v[8:11], v2 offset:688
	ds_load_b128 v[96:99], v2 offset:704
	v_fmac_f64_e32 v[108:109], v[106:107], v[64:65]
	v_fma_f64 v[64:65], v[104:105], v[64:65], -v[66:67]
	s_wait_loadcnt_dscnt 0x701
	v_mul_f64_e32 v[110:111], v[8:9], v[70:71]
	v_mul_f64_e32 v[70:71], v[10:11], v[70:71]
	s_wait_loadcnt_dscnt 0x600
	v_mul_f64_e32 v[104:105], v[96:97], v[74:75]
	v_mul_f64_e32 v[74:75], v[98:99], v[74:75]
	v_add_f64_e32 v[4:5], 0, v[4:5]
	v_add_f64_e32 v[12:13], 0, v[12:13]
	v_fmac_f64_e32 v[110:111], v[10:11], v[68:69]
	v_fma_f64 v[68:69], v[8:9], v[68:69], -v[70:71]
	v_fmac_f64_e32 v[104:105], v[98:99], v[72:73]
	v_fma_f64 v[72:73], v[96:97], v[72:73], -v[74:75]
	v_add_f64_e32 v[4:5], v[4:5], v[64:65]
	v_add_f64_e32 v[12:13], v[12:13], v[108:109]
	ds_load_b128 v[8:11], v2 offset:720
	ds_load_b128 v[64:67], v2 offset:736
	s_wait_loadcnt_dscnt 0x501
	v_mul_f64_e32 v[106:107], v[8:9], v[78:79]
	v_mul_f64_e32 v[70:71], v[10:11], v[78:79]
	s_wait_loadcnt_dscnt 0x400
	v_mul_f64_e32 v[74:75], v[64:65], v[82:83]
	v_mul_f64_e32 v[78:79], v[66:67], v[82:83]
	v_add_f64_e32 v[4:5], v[4:5], v[68:69]
	v_add_f64_e32 v[12:13], v[12:13], v[110:111]
	v_fmac_f64_e32 v[106:107], v[10:11], v[76:77]
	v_fma_f64 v[76:77], v[8:9], v[76:77], -v[70:71]
	ds_load_b128 v[8:11], v2 offset:752
	ds_load_b128 v[68:71], v2 offset:768
	v_fmac_f64_e32 v[74:75], v[66:67], v[80:81]
	v_fma_f64 v[64:65], v[64:65], v[80:81], -v[78:79]
	v_add_f64_e32 v[4:5], v[4:5], v[72:73]
	v_add_f64_e32 v[12:13], v[12:13], v[104:105]
	s_wait_loadcnt_dscnt 0x301
	v_mul_f64_e32 v[72:73], v[8:9], v[86:87]
	v_mul_f64_e32 v[82:83], v[10:11], v[86:87]
	s_wait_loadcnt_dscnt 0x200
	v_mul_f64_e32 v[66:67], v[68:69], v[90:91]
	v_add_f64_e32 v[4:5], v[4:5], v[76:77]
	v_add_f64_e32 v[12:13], v[12:13], v[106:107]
	v_mul_f64_e32 v[76:77], v[70:71], v[90:91]
	v_fmac_f64_e32 v[72:73], v[10:11], v[84:85]
	v_fma_f64 v[78:79], v[8:9], v[84:85], -v[82:83]
	ds_load_b128 v[8:11], v2 offset:784
	v_fmac_f64_e32 v[66:67], v[70:71], v[88:89]
	v_add_f64_e32 v[4:5], v[4:5], v[64:65]
	v_add_f64_e32 v[12:13], v[12:13], v[74:75]
	s_wait_loadcnt_dscnt 0x100
	v_mul_f64_e32 v[64:65], v[8:9], v[94:95]
	v_mul_f64_e32 v[74:75], v[10:11], v[94:95]
	v_fma_f64 v[68:69], v[68:69], v[88:89], -v[76:77]
	v_add_f64_e32 v[4:5], v[4:5], v[78:79]
	v_add_f64_e32 v[12:13], v[12:13], v[72:73]
	v_fmac_f64_e32 v[64:65], v[10:11], v[92:93]
	v_fma_f64 v[8:9], v[8:9], v[92:93], -v[74:75]
	s_delay_alu instid0(VALU_DEP_4) | instskip(NEXT) | instid1(VALU_DEP_4)
	v_add_f64_e32 v[4:5], v[4:5], v[68:69]
	v_add_f64_e32 v[10:11], v[12:13], v[66:67]
	s_delay_alu instid0(VALU_DEP_2) | instskip(NEXT) | instid1(VALU_DEP_2)
	v_add_f64_e32 v[4:5], v[4:5], v[8:9]
	v_add_f64_e32 v[10:11], v[10:11], v[64:65]
	s_wait_loadcnt 0x0
	s_delay_alu instid0(VALU_DEP_2) | instskip(NEXT) | instid1(VALU_DEP_2)
	v_add_f64_e64 v[8:9], v[100:101], -v[4:5]
	v_add_f64_e64 v[10:11], v[102:103], -v[10:11]
	scratch_store_b128 off, v[8:11], off offset:240
	s_wait_xcnt 0x0
	v_cmpx_lt_u32_e32 14, v1
	s_cbranch_execz .LBB24_135
; %bb.134:
	scratch_load_b128 v[8:11], off, s36
	v_dual_mov_b32 v3, v2 :: v_dual_mov_b32 v4, v2
	v_mov_b32_e32 v5, v2
	scratch_store_b128 off, v[2:5], off offset:224
	s_wait_loadcnt 0x0
	ds_store_b128 v6, v[8:11]
.LBB24_135:
	s_wait_xcnt 0x0
	s_or_b32 exec_lo, exec_lo, s2
	s_wait_storecnt_dscnt 0x0
	s_barrier_signal -1
	s_barrier_wait -1
	s_clause 0x9
	scratch_load_b128 v[8:11], off, off offset:240
	scratch_load_b128 v[64:67], off, off offset:256
	scratch_load_b128 v[68:71], off, off offset:272
	scratch_load_b128 v[72:75], off, off offset:288
	scratch_load_b128 v[76:79], off, off offset:304
	scratch_load_b128 v[80:83], off, off offset:320
	scratch_load_b128 v[84:87], off, off offset:336
	scratch_load_b128 v[88:91], off, off offset:352
	scratch_load_b128 v[92:95], off, off offset:368
	scratch_load_b128 v[96:99], off, off offset:384
	ds_load_b128 v[100:103], v2 offset:640
	ds_load_b128 v[104:107], v2 offset:656
	scratch_load_b128 v[108:111], off, off offset:224
	s_mov_b32 s2, exec_lo
	s_wait_loadcnt_dscnt 0xa01
	v_mul_f64_e32 v[4:5], v[102:103], v[10:11]
	v_mul_f64_e32 v[12:13], v[100:101], v[10:11]
	s_wait_loadcnt_dscnt 0x900
	v_mul_f64_e32 v[112:113], v[104:105], v[66:67]
	v_mul_f64_e32 v[66:67], v[106:107], v[66:67]
	s_delay_alu instid0(VALU_DEP_4) | instskip(NEXT) | instid1(VALU_DEP_4)
	v_fma_f64 v[4:5], v[100:101], v[8:9], -v[4:5]
	v_fmac_f64_e32 v[12:13], v[102:103], v[8:9]
	ds_load_b128 v[8:11], v2 offset:672
	ds_load_b128 v[100:103], v2 offset:688
	v_fmac_f64_e32 v[112:113], v[106:107], v[64:65]
	v_fma_f64 v[64:65], v[104:105], v[64:65], -v[66:67]
	s_wait_loadcnt_dscnt 0x801
	v_mul_f64_e32 v[114:115], v[8:9], v[70:71]
	v_mul_f64_e32 v[70:71], v[10:11], v[70:71]
	s_wait_loadcnt_dscnt 0x700
	v_mul_f64_e32 v[104:105], v[100:101], v[74:75]
	v_mul_f64_e32 v[74:75], v[102:103], v[74:75]
	v_add_f64_e32 v[4:5], 0, v[4:5]
	v_add_f64_e32 v[12:13], 0, v[12:13]
	v_fmac_f64_e32 v[114:115], v[10:11], v[68:69]
	v_fma_f64 v[68:69], v[8:9], v[68:69], -v[70:71]
	v_fmac_f64_e32 v[104:105], v[102:103], v[72:73]
	v_fma_f64 v[72:73], v[100:101], v[72:73], -v[74:75]
	v_add_f64_e32 v[4:5], v[4:5], v[64:65]
	v_add_f64_e32 v[12:13], v[12:13], v[112:113]
	ds_load_b128 v[8:11], v2 offset:704
	ds_load_b128 v[64:67], v2 offset:720
	s_wait_loadcnt_dscnt 0x601
	v_mul_f64_e32 v[106:107], v[8:9], v[78:79]
	v_mul_f64_e32 v[70:71], v[10:11], v[78:79]
	s_wait_loadcnt_dscnt 0x500
	v_mul_f64_e32 v[74:75], v[64:65], v[82:83]
	v_mul_f64_e32 v[78:79], v[66:67], v[82:83]
	v_add_f64_e32 v[4:5], v[4:5], v[68:69]
	v_add_f64_e32 v[12:13], v[12:13], v[114:115]
	v_fmac_f64_e32 v[106:107], v[10:11], v[76:77]
	v_fma_f64 v[76:77], v[8:9], v[76:77], -v[70:71]
	ds_load_b128 v[8:11], v2 offset:736
	ds_load_b128 v[68:71], v2 offset:752
	v_fmac_f64_e32 v[74:75], v[66:67], v[80:81]
	v_fma_f64 v[64:65], v[64:65], v[80:81], -v[78:79]
	v_add_f64_e32 v[4:5], v[4:5], v[72:73]
	v_add_f64_e32 v[12:13], v[12:13], v[104:105]
	s_wait_loadcnt_dscnt 0x401
	v_mul_f64_e32 v[72:73], v[8:9], v[86:87]
	v_mul_f64_e32 v[82:83], v[10:11], v[86:87]
	s_wait_loadcnt_dscnt 0x300
	v_mul_f64_e32 v[66:67], v[68:69], v[90:91]
	v_add_f64_e32 v[4:5], v[4:5], v[76:77]
	v_add_f64_e32 v[12:13], v[12:13], v[106:107]
	v_mul_f64_e32 v[76:77], v[70:71], v[90:91]
	v_fmac_f64_e32 v[72:73], v[10:11], v[84:85]
	v_fma_f64 v[78:79], v[8:9], v[84:85], -v[82:83]
	v_fmac_f64_e32 v[66:67], v[70:71], v[88:89]
	v_add_f64_e32 v[64:65], v[4:5], v[64:65]
	v_add_f64_e32 v[12:13], v[12:13], v[74:75]
	ds_load_b128 v[8:11], v2 offset:768
	ds_load_b128 v[2:5], v2 offset:784
	v_fma_f64 v[68:69], v[68:69], v[88:89], -v[76:77]
	s_wait_loadcnt_dscnt 0x201
	v_mul_f64_e32 v[74:75], v[8:9], v[94:95]
	v_mul_f64_e32 v[80:81], v[10:11], v[94:95]
	s_wait_loadcnt_dscnt 0x100
	v_mul_f64_e32 v[70:71], v[2:3], v[98:99]
	v_add_f64_e32 v[64:65], v[64:65], v[78:79]
	v_add_f64_e32 v[12:13], v[12:13], v[72:73]
	v_mul_f64_e32 v[72:73], v[4:5], v[98:99]
	v_fmac_f64_e32 v[74:75], v[10:11], v[92:93]
	v_fma_f64 v[8:9], v[8:9], v[92:93], -v[80:81]
	v_fmac_f64_e32 v[70:71], v[4:5], v[96:97]
	v_add_f64_e32 v[10:11], v[64:65], v[68:69]
	v_add_f64_e32 v[12:13], v[12:13], v[66:67]
	v_fma_f64 v[2:3], v[2:3], v[96:97], -v[72:73]
	s_delay_alu instid0(VALU_DEP_3) | instskip(NEXT) | instid1(VALU_DEP_3)
	v_add_f64_e32 v[4:5], v[10:11], v[8:9]
	v_add_f64_e32 v[8:9], v[12:13], v[74:75]
	s_delay_alu instid0(VALU_DEP_2) | instskip(NEXT) | instid1(VALU_DEP_2)
	v_add_f64_e32 v[2:3], v[4:5], v[2:3]
	v_add_f64_e32 v[4:5], v[8:9], v[70:71]
	s_wait_loadcnt 0x0
	s_delay_alu instid0(VALU_DEP_2) | instskip(NEXT) | instid1(VALU_DEP_2)
	v_add_f64_e64 v[2:3], v[108:109], -v[2:3]
	v_add_f64_e64 v[4:5], v[110:111], -v[4:5]
	scratch_store_b128 off, v[2:5], off offset:224
	s_wait_xcnt 0x0
	v_cmpx_lt_u32_e32 13, v1
	s_cbranch_execz .LBB24_137
; %bb.136:
	scratch_load_b128 v[2:5], off, s35
	v_mov_b32_e32 v8, 0
	s_delay_alu instid0(VALU_DEP_1)
	v_dual_mov_b32 v9, v8 :: v_dual_mov_b32 v10, v8
	v_mov_b32_e32 v11, v8
	scratch_store_b128 off, v[8:11], off offset:208
	s_wait_loadcnt 0x0
	ds_store_b128 v6, v[2:5]
.LBB24_137:
	s_wait_xcnt 0x0
	s_or_b32 exec_lo, exec_lo, s2
	s_wait_storecnt_dscnt 0x0
	s_barrier_signal -1
	s_barrier_wait -1
	s_clause 0x9
	scratch_load_b128 v[8:11], off, off offset:224
	scratch_load_b128 v[64:67], off, off offset:240
	;; [unrolled: 1-line block ×10, first 2 shown]
	v_mov_b32_e32 v2, 0
	s_mov_b32 s2, exec_lo
	ds_load_b128 v[100:103], v2 offset:624
	s_clause 0x1
	scratch_load_b128 v[104:107], off, off offset:384
	scratch_load_b128 v[108:111], off, off offset:208
	s_wait_loadcnt_dscnt 0xb00
	v_mul_f64_e32 v[4:5], v[102:103], v[10:11]
	v_mul_f64_e32 v[12:13], v[100:101], v[10:11]
	ds_load_b128 v[112:115], v2 offset:640
	s_wait_loadcnt_dscnt 0xa00
	v_mul_f64_e32 v[116:117], v[112:113], v[66:67]
	v_mul_f64_e32 v[66:67], v[114:115], v[66:67]
	v_fma_f64 v[4:5], v[100:101], v[8:9], -v[4:5]
	v_fmac_f64_e32 v[12:13], v[102:103], v[8:9]
	ds_load_b128 v[8:11], v2 offset:656
	ds_load_b128 v[100:103], v2 offset:672
	s_wait_loadcnt_dscnt 0x901
	v_mul_f64_e32 v[118:119], v[8:9], v[70:71]
	v_mul_f64_e32 v[70:71], v[10:11], v[70:71]
	v_fmac_f64_e32 v[116:117], v[114:115], v[64:65]
	v_fma_f64 v[64:65], v[112:113], v[64:65], -v[66:67]
	s_wait_loadcnt_dscnt 0x800
	v_mul_f64_e32 v[112:113], v[100:101], v[74:75]
	v_mul_f64_e32 v[74:75], v[102:103], v[74:75]
	v_add_f64_e32 v[4:5], 0, v[4:5]
	v_add_f64_e32 v[12:13], 0, v[12:13]
	v_fmac_f64_e32 v[118:119], v[10:11], v[68:69]
	v_fma_f64 v[68:69], v[8:9], v[68:69], -v[70:71]
	v_fmac_f64_e32 v[112:113], v[102:103], v[72:73]
	v_fma_f64 v[72:73], v[100:101], v[72:73], -v[74:75]
	v_add_f64_e32 v[4:5], v[4:5], v[64:65]
	v_add_f64_e32 v[12:13], v[12:13], v[116:117]
	ds_load_b128 v[8:11], v2 offset:688
	ds_load_b128 v[64:67], v2 offset:704
	s_wait_loadcnt_dscnt 0x701
	v_mul_f64_e32 v[114:115], v[8:9], v[78:79]
	v_mul_f64_e32 v[70:71], v[10:11], v[78:79]
	s_wait_loadcnt_dscnt 0x600
	v_mul_f64_e32 v[74:75], v[64:65], v[82:83]
	v_mul_f64_e32 v[78:79], v[66:67], v[82:83]
	v_add_f64_e32 v[4:5], v[4:5], v[68:69]
	v_add_f64_e32 v[12:13], v[12:13], v[118:119]
	v_fmac_f64_e32 v[114:115], v[10:11], v[76:77]
	v_fma_f64 v[76:77], v[8:9], v[76:77], -v[70:71]
	ds_load_b128 v[8:11], v2 offset:720
	ds_load_b128 v[68:71], v2 offset:736
	v_fmac_f64_e32 v[74:75], v[66:67], v[80:81]
	v_fma_f64 v[64:65], v[64:65], v[80:81], -v[78:79]
	v_add_f64_e32 v[4:5], v[4:5], v[72:73]
	v_add_f64_e32 v[12:13], v[12:13], v[112:113]
	s_wait_loadcnt_dscnt 0x501
	v_mul_f64_e32 v[72:73], v[8:9], v[86:87]
	v_mul_f64_e32 v[82:83], v[10:11], v[86:87]
	s_wait_loadcnt_dscnt 0x400
	v_mul_f64_e32 v[78:79], v[70:71], v[90:91]
	v_add_f64_e32 v[4:5], v[4:5], v[76:77]
	v_add_f64_e32 v[12:13], v[12:13], v[114:115]
	v_mul_f64_e32 v[76:77], v[68:69], v[90:91]
	v_fmac_f64_e32 v[72:73], v[10:11], v[84:85]
	v_fma_f64 v[80:81], v[8:9], v[84:85], -v[82:83]
	v_fma_f64 v[68:69], v[68:69], v[88:89], -v[78:79]
	v_add_f64_e32 v[4:5], v[4:5], v[64:65]
	v_add_f64_e32 v[12:13], v[12:13], v[74:75]
	ds_load_b128 v[8:11], v2 offset:752
	ds_load_b128 v[64:67], v2 offset:768
	v_fmac_f64_e32 v[76:77], v[70:71], v[88:89]
	s_wait_loadcnt_dscnt 0x301
	v_mul_f64_e32 v[74:75], v[8:9], v[94:95]
	v_mul_f64_e32 v[82:83], v[10:11], v[94:95]
	s_wait_loadcnt_dscnt 0x200
	v_mul_f64_e32 v[70:71], v[64:65], v[98:99]
	v_add_f64_e32 v[4:5], v[4:5], v[80:81]
	v_add_f64_e32 v[12:13], v[12:13], v[72:73]
	v_mul_f64_e32 v[72:73], v[66:67], v[98:99]
	v_fmac_f64_e32 v[74:75], v[10:11], v[92:93]
	v_fma_f64 v[78:79], v[8:9], v[92:93], -v[82:83]
	ds_load_b128 v[8:11], v2 offset:784
	v_fmac_f64_e32 v[70:71], v[66:67], v[96:97]
	v_add_f64_e32 v[4:5], v[4:5], v[68:69]
	v_add_f64_e32 v[12:13], v[12:13], v[76:77]
	v_fma_f64 v[64:65], v[64:65], v[96:97], -v[72:73]
	s_wait_loadcnt_dscnt 0x100
	v_mul_f64_e32 v[68:69], v[8:9], v[106:107]
	v_mul_f64_e32 v[76:77], v[10:11], v[106:107]
	v_add_f64_e32 v[4:5], v[4:5], v[78:79]
	v_add_f64_e32 v[12:13], v[12:13], v[74:75]
	s_delay_alu instid0(VALU_DEP_4) | instskip(NEXT) | instid1(VALU_DEP_4)
	v_fmac_f64_e32 v[68:69], v[10:11], v[104:105]
	v_fma_f64 v[8:9], v[8:9], v[104:105], -v[76:77]
	s_delay_alu instid0(VALU_DEP_4) | instskip(NEXT) | instid1(VALU_DEP_4)
	v_add_f64_e32 v[4:5], v[4:5], v[64:65]
	v_add_f64_e32 v[10:11], v[12:13], v[70:71]
	s_delay_alu instid0(VALU_DEP_2) | instskip(NEXT) | instid1(VALU_DEP_2)
	v_add_f64_e32 v[4:5], v[4:5], v[8:9]
	v_add_f64_e32 v[10:11], v[10:11], v[68:69]
	s_wait_loadcnt 0x0
	s_delay_alu instid0(VALU_DEP_2) | instskip(NEXT) | instid1(VALU_DEP_2)
	v_add_f64_e64 v[8:9], v[108:109], -v[4:5]
	v_add_f64_e64 v[10:11], v[110:111], -v[10:11]
	scratch_store_b128 off, v[8:11], off offset:208
	s_wait_xcnt 0x0
	v_cmpx_lt_u32_e32 12, v1
	s_cbranch_execz .LBB24_139
; %bb.138:
	scratch_load_b128 v[8:11], off, s34
	v_dual_mov_b32 v3, v2 :: v_dual_mov_b32 v4, v2
	v_mov_b32_e32 v5, v2
	scratch_store_b128 off, v[2:5], off offset:192
	s_wait_loadcnt 0x0
	ds_store_b128 v6, v[8:11]
.LBB24_139:
	s_wait_xcnt 0x0
	s_or_b32 exec_lo, exec_lo, s2
	s_wait_storecnt_dscnt 0x0
	s_barrier_signal -1
	s_barrier_wait -1
	s_clause 0x9
	scratch_load_b128 v[8:11], off, off offset:208
	scratch_load_b128 v[64:67], off, off offset:224
	;; [unrolled: 1-line block ×10, first 2 shown]
	ds_load_b128 v[100:103], v2 offset:608
	ds_load_b128 v[108:111], v2 offset:624
	s_clause 0x1
	scratch_load_b128 v[104:107], off, off offset:368
	scratch_load_b128 v[112:115], off, off offset:192
	s_mov_b32 s2, exec_lo
	s_wait_loadcnt_dscnt 0xb01
	v_mul_f64_e32 v[4:5], v[102:103], v[10:11]
	v_mul_f64_e32 v[120:121], v[100:101], v[10:11]
	scratch_load_b128 v[10:13], off, off offset:384
	s_wait_loadcnt_dscnt 0xb00
	v_mul_f64_e32 v[122:123], v[108:109], v[66:67]
	v_mul_f64_e32 v[66:67], v[110:111], v[66:67]
	v_fma_f64 v[4:5], v[100:101], v[8:9], -v[4:5]
	v_fmac_f64_e32 v[120:121], v[102:103], v[8:9]
	ds_load_b128 v[100:103], v2 offset:640
	ds_load_b128 v[116:119], v2 offset:656
	v_fmac_f64_e32 v[122:123], v[110:111], v[64:65]
	v_fma_f64 v[64:65], v[108:109], v[64:65], -v[66:67]
	s_wait_loadcnt_dscnt 0xa01
	v_mul_f64_e32 v[8:9], v[100:101], v[70:71]
	v_mul_f64_e32 v[70:71], v[102:103], v[70:71]
	s_wait_loadcnt_dscnt 0x900
	v_mul_f64_e32 v[108:109], v[116:117], v[74:75]
	v_mul_f64_e32 v[74:75], v[118:119], v[74:75]
	v_add_f64_e32 v[4:5], 0, v[4:5]
	v_add_f64_e32 v[66:67], 0, v[120:121]
	v_fmac_f64_e32 v[8:9], v[102:103], v[68:69]
	v_fma_f64 v[100:101], v[100:101], v[68:69], -v[70:71]
	v_fmac_f64_e32 v[108:109], v[118:119], v[72:73]
	v_fma_f64 v[72:73], v[116:117], v[72:73], -v[74:75]
	v_add_f64_e32 v[4:5], v[4:5], v[64:65]
	v_add_f64_e32 v[102:103], v[66:67], v[122:123]
	ds_load_b128 v[64:67], v2 offset:672
	ds_load_b128 v[68:71], v2 offset:688
	s_wait_loadcnt_dscnt 0x801
	v_mul_f64_e32 v[110:111], v[64:65], v[78:79]
	v_mul_f64_e32 v[78:79], v[66:67], v[78:79]
	v_add_f64_e32 v[4:5], v[4:5], v[100:101]
	v_add_f64_e32 v[8:9], v[102:103], v[8:9]
	s_wait_loadcnt_dscnt 0x700
	v_mul_f64_e32 v[100:101], v[68:69], v[82:83]
	v_mul_f64_e32 v[82:83], v[70:71], v[82:83]
	v_fmac_f64_e32 v[110:111], v[66:67], v[76:77]
	v_fma_f64 v[76:77], v[64:65], v[76:77], -v[78:79]
	v_add_f64_e32 v[4:5], v[4:5], v[72:73]
	v_add_f64_e32 v[8:9], v[8:9], v[108:109]
	ds_load_b128 v[64:67], v2 offset:704
	ds_load_b128 v[72:75], v2 offset:720
	v_fmac_f64_e32 v[100:101], v[70:71], v[80:81]
	v_fma_f64 v[68:69], v[68:69], v[80:81], -v[82:83]
	s_wait_loadcnt_dscnt 0x601
	v_mul_f64_e32 v[78:79], v[64:65], v[86:87]
	v_mul_f64_e32 v[86:87], v[66:67], v[86:87]
	s_wait_loadcnt_dscnt 0x500
	v_mul_f64_e32 v[80:81], v[74:75], v[90:91]
	v_add_f64_e32 v[4:5], v[4:5], v[76:77]
	v_add_f64_e32 v[8:9], v[8:9], v[110:111]
	v_mul_f64_e32 v[76:77], v[72:73], v[90:91]
	v_fmac_f64_e32 v[78:79], v[66:67], v[84:85]
	v_fma_f64 v[82:83], v[64:65], v[84:85], -v[86:87]
	v_fma_f64 v[72:73], v[72:73], v[88:89], -v[80:81]
	v_add_f64_e32 v[4:5], v[4:5], v[68:69]
	v_add_f64_e32 v[8:9], v[8:9], v[100:101]
	ds_load_b128 v[64:67], v2 offset:736
	ds_load_b128 v[68:71], v2 offset:752
	v_fmac_f64_e32 v[76:77], v[74:75], v[88:89]
	s_wait_loadcnt_dscnt 0x401
	v_mul_f64_e32 v[84:85], v[64:65], v[94:95]
	v_mul_f64_e32 v[86:87], v[66:67], v[94:95]
	s_wait_loadcnt_dscnt 0x300
	v_mul_f64_e32 v[74:75], v[68:69], v[98:99]
	v_add_f64_e32 v[4:5], v[4:5], v[82:83]
	v_add_f64_e32 v[8:9], v[8:9], v[78:79]
	v_mul_f64_e32 v[78:79], v[70:71], v[98:99]
	v_fmac_f64_e32 v[84:85], v[66:67], v[92:93]
	v_fma_f64 v[80:81], v[64:65], v[92:93], -v[86:87]
	v_fmac_f64_e32 v[74:75], v[70:71], v[96:97]
	v_add_f64_e32 v[72:73], v[4:5], v[72:73]
	v_add_f64_e32 v[8:9], v[8:9], v[76:77]
	ds_load_b128 v[64:67], v2 offset:768
	ds_load_b128 v[2:5], v2 offset:784
	v_fma_f64 v[68:69], v[68:69], v[96:97], -v[78:79]
	s_wait_loadcnt_dscnt 0x201
	v_mul_f64_e32 v[76:77], v[64:65], v[106:107]
	v_mul_f64_e32 v[82:83], v[66:67], v[106:107]
	v_add_f64_e32 v[70:71], v[72:73], v[80:81]
	v_add_f64_e32 v[8:9], v[8:9], v[84:85]
	s_wait_loadcnt_dscnt 0x0
	v_mul_f64_e32 v[72:73], v[2:3], v[12:13]
	v_mul_f64_e32 v[12:13], v[4:5], v[12:13]
	v_fmac_f64_e32 v[76:77], v[66:67], v[104:105]
	v_fma_f64 v[64:65], v[64:65], v[104:105], -v[82:83]
	v_add_f64_e32 v[66:67], v[70:71], v[68:69]
	v_add_f64_e32 v[8:9], v[8:9], v[74:75]
	v_fmac_f64_e32 v[72:73], v[4:5], v[10:11]
	v_fma_f64 v[2:3], v[2:3], v[10:11], -v[12:13]
	s_delay_alu instid0(VALU_DEP_4) | instskip(NEXT) | instid1(VALU_DEP_4)
	v_add_f64_e32 v[4:5], v[66:67], v[64:65]
	v_add_f64_e32 v[8:9], v[8:9], v[76:77]
	s_delay_alu instid0(VALU_DEP_2) | instskip(NEXT) | instid1(VALU_DEP_2)
	v_add_f64_e32 v[2:3], v[4:5], v[2:3]
	v_add_f64_e32 v[4:5], v[8:9], v[72:73]
	s_delay_alu instid0(VALU_DEP_2) | instskip(NEXT) | instid1(VALU_DEP_2)
	v_add_f64_e64 v[2:3], v[112:113], -v[2:3]
	v_add_f64_e64 v[4:5], v[114:115], -v[4:5]
	scratch_store_b128 off, v[2:5], off offset:192
	s_wait_xcnt 0x0
	v_cmpx_lt_u32_e32 11, v1
	s_cbranch_execz .LBB24_141
; %bb.140:
	scratch_load_b128 v[2:5], off, s31
	v_mov_b32_e32 v8, 0
	s_delay_alu instid0(VALU_DEP_1)
	v_dual_mov_b32 v9, v8 :: v_dual_mov_b32 v10, v8
	v_mov_b32_e32 v11, v8
	scratch_store_b128 off, v[8:11], off offset:176
	s_wait_loadcnt 0x0
	ds_store_b128 v6, v[2:5]
.LBB24_141:
	s_wait_xcnt 0x0
	s_or_b32 exec_lo, exec_lo, s2
	s_wait_storecnt_dscnt 0x0
	s_barrier_signal -1
	s_barrier_wait -1
	s_clause 0x9
	scratch_load_b128 v[8:11], off, off offset:192
	scratch_load_b128 v[64:67], off, off offset:208
	scratch_load_b128 v[68:71], off, off offset:224
	scratch_load_b128 v[72:75], off, off offset:240
	scratch_load_b128 v[76:79], off, off offset:256
	scratch_load_b128 v[80:83], off, off offset:272
	scratch_load_b128 v[84:87], off, off offset:288
	scratch_load_b128 v[88:91], off, off offset:304
	scratch_load_b128 v[92:95], off, off offset:320
	scratch_load_b128 v[96:99], off, off offset:336
	v_mov_b32_e32 v2, 0
	s_mov_b32 s2, exec_lo
	ds_load_b128 v[100:103], v2 offset:592
	s_clause 0x2
	scratch_load_b128 v[104:107], off, off offset:352
	scratch_load_b128 v[108:111], off, off offset:176
	;; [unrolled: 1-line block ×3, first 2 shown]
	s_wait_loadcnt_dscnt 0xc00
	v_mul_f64_e32 v[4:5], v[102:103], v[10:11]
	v_mul_f64_e32 v[124:125], v[100:101], v[10:11]
	ds_load_b128 v[112:115], v2 offset:608
	scratch_load_b128 v[10:13], off, off offset:368
	ds_load_b128 v[120:123], v2 offset:640
	v_fma_f64 v[4:5], v[100:101], v[8:9], -v[4:5]
	v_fmac_f64_e32 v[124:125], v[102:103], v[8:9]
	ds_load_b128 v[100:103], v2 offset:624
	s_wait_loadcnt_dscnt 0xc02
	v_mul_f64_e32 v[126:127], v[112:113], v[66:67]
	v_mul_f64_e32 v[66:67], v[114:115], v[66:67]
	s_wait_loadcnt_dscnt 0xb00
	v_mul_f64_e32 v[8:9], v[100:101], v[70:71]
	v_mul_f64_e32 v[70:71], v[102:103], v[70:71]
	v_add_f64_e32 v[4:5], 0, v[4:5]
	v_fmac_f64_e32 v[126:127], v[114:115], v[64:65]
	v_fma_f64 v[64:65], v[112:113], v[64:65], -v[66:67]
	v_add_f64_e32 v[66:67], 0, v[124:125]
	s_wait_loadcnt 0xa
	v_mul_f64_e32 v[112:113], v[120:121], v[74:75]
	v_mul_f64_e32 v[74:75], v[122:123], v[74:75]
	v_fmac_f64_e32 v[8:9], v[102:103], v[68:69]
	v_fma_f64 v[100:101], v[100:101], v[68:69], -v[70:71]
	v_add_f64_e32 v[4:5], v[4:5], v[64:65]
	v_add_f64_e32 v[102:103], v[66:67], v[126:127]
	ds_load_b128 v[64:67], v2 offset:656
	ds_load_b128 v[68:71], v2 offset:672
	v_fmac_f64_e32 v[112:113], v[122:123], v[72:73]
	v_fma_f64 v[72:73], v[120:121], v[72:73], -v[74:75]
	s_wait_loadcnt_dscnt 0x901
	v_mul_f64_e32 v[114:115], v[64:65], v[78:79]
	v_mul_f64_e32 v[78:79], v[66:67], v[78:79]
	v_add_f64_e32 v[4:5], v[4:5], v[100:101]
	v_add_f64_e32 v[8:9], v[102:103], v[8:9]
	s_wait_loadcnt_dscnt 0x800
	v_mul_f64_e32 v[100:101], v[68:69], v[82:83]
	v_mul_f64_e32 v[82:83], v[70:71], v[82:83]
	v_fmac_f64_e32 v[114:115], v[66:67], v[76:77]
	v_fma_f64 v[76:77], v[64:65], v[76:77], -v[78:79]
	v_add_f64_e32 v[4:5], v[4:5], v[72:73]
	v_add_f64_e32 v[8:9], v[8:9], v[112:113]
	ds_load_b128 v[64:67], v2 offset:688
	ds_load_b128 v[72:75], v2 offset:704
	v_fmac_f64_e32 v[100:101], v[70:71], v[80:81]
	v_fma_f64 v[68:69], v[68:69], v[80:81], -v[82:83]
	s_wait_loadcnt_dscnt 0x701
	v_mul_f64_e32 v[78:79], v[64:65], v[86:87]
	v_mul_f64_e32 v[86:87], v[66:67], v[86:87]
	s_wait_loadcnt_dscnt 0x600
	v_mul_f64_e32 v[80:81], v[74:75], v[90:91]
	v_add_f64_e32 v[4:5], v[4:5], v[76:77]
	v_add_f64_e32 v[8:9], v[8:9], v[114:115]
	v_mul_f64_e32 v[76:77], v[72:73], v[90:91]
	v_fmac_f64_e32 v[78:79], v[66:67], v[84:85]
	v_fma_f64 v[82:83], v[64:65], v[84:85], -v[86:87]
	v_fma_f64 v[72:73], v[72:73], v[88:89], -v[80:81]
	v_add_f64_e32 v[4:5], v[4:5], v[68:69]
	v_add_f64_e32 v[8:9], v[8:9], v[100:101]
	ds_load_b128 v[64:67], v2 offset:720
	ds_load_b128 v[68:71], v2 offset:736
	v_fmac_f64_e32 v[76:77], v[74:75], v[88:89]
	s_wait_loadcnt_dscnt 0x501
	v_mul_f64_e32 v[84:85], v[64:65], v[94:95]
	v_mul_f64_e32 v[86:87], v[66:67], v[94:95]
	s_wait_loadcnt_dscnt 0x400
	v_mul_f64_e32 v[80:81], v[70:71], v[98:99]
	v_add_f64_e32 v[4:5], v[4:5], v[82:83]
	v_add_f64_e32 v[8:9], v[8:9], v[78:79]
	v_mul_f64_e32 v[78:79], v[68:69], v[98:99]
	v_fmac_f64_e32 v[84:85], v[66:67], v[92:93]
	v_fma_f64 v[82:83], v[64:65], v[92:93], -v[86:87]
	v_fma_f64 v[68:69], v[68:69], v[96:97], -v[80:81]
	v_add_f64_e32 v[4:5], v[4:5], v[72:73]
	v_add_f64_e32 v[8:9], v[8:9], v[76:77]
	ds_load_b128 v[64:67], v2 offset:752
	ds_load_b128 v[72:75], v2 offset:768
	v_fmac_f64_e32 v[78:79], v[70:71], v[96:97]
	s_wait_loadcnt_dscnt 0x301
	v_mul_f64_e32 v[76:77], v[64:65], v[106:107]
	v_mul_f64_e32 v[86:87], v[66:67], v[106:107]
	s_wait_loadcnt_dscnt 0x0
	v_mul_f64_e32 v[70:71], v[72:73], v[12:13]
	v_add_f64_e32 v[4:5], v[4:5], v[82:83]
	v_add_f64_e32 v[8:9], v[8:9], v[84:85]
	v_mul_f64_e32 v[12:13], v[74:75], v[12:13]
	v_fmac_f64_e32 v[76:77], v[66:67], v[104:105]
	v_fma_f64 v[80:81], v[64:65], v[104:105], -v[86:87]
	ds_load_b128 v[64:67], v2 offset:784
	v_fmac_f64_e32 v[70:71], v[74:75], v[10:11]
	v_add_f64_e32 v[4:5], v[4:5], v[68:69]
	v_add_f64_e32 v[8:9], v[8:9], v[78:79]
	v_fma_f64 v[10:11], v[72:73], v[10:11], -v[12:13]
	s_wait_dscnt 0x0
	v_mul_f64_e32 v[68:69], v[64:65], v[118:119]
	v_mul_f64_e32 v[78:79], v[66:67], v[118:119]
	v_add_f64_e32 v[4:5], v[4:5], v[80:81]
	v_add_f64_e32 v[8:9], v[8:9], v[76:77]
	s_delay_alu instid0(VALU_DEP_4) | instskip(NEXT) | instid1(VALU_DEP_4)
	v_fmac_f64_e32 v[68:69], v[66:67], v[116:117]
	v_fma_f64 v[12:13], v[64:65], v[116:117], -v[78:79]
	s_delay_alu instid0(VALU_DEP_4) | instskip(NEXT) | instid1(VALU_DEP_4)
	v_add_f64_e32 v[4:5], v[4:5], v[10:11]
	v_add_f64_e32 v[8:9], v[8:9], v[70:71]
	s_delay_alu instid0(VALU_DEP_2) | instskip(NEXT) | instid1(VALU_DEP_2)
	v_add_f64_e32 v[4:5], v[4:5], v[12:13]
	v_add_f64_e32 v[10:11], v[8:9], v[68:69]
	s_delay_alu instid0(VALU_DEP_2) | instskip(NEXT) | instid1(VALU_DEP_2)
	v_add_f64_e64 v[8:9], v[108:109], -v[4:5]
	v_add_f64_e64 v[10:11], v[110:111], -v[10:11]
	scratch_store_b128 off, v[8:11], off offset:176
	s_wait_xcnt 0x0
	v_cmpx_lt_u32_e32 10, v1
	s_cbranch_execz .LBB24_143
; %bb.142:
	scratch_load_b128 v[8:11], off, s28
	v_dual_mov_b32 v3, v2 :: v_dual_mov_b32 v4, v2
	v_mov_b32_e32 v5, v2
	scratch_store_b128 off, v[2:5], off offset:160
	s_wait_loadcnt 0x0
	ds_store_b128 v6, v[8:11]
.LBB24_143:
	s_wait_xcnt 0x0
	s_or_b32 exec_lo, exec_lo, s2
	s_wait_storecnt_dscnt 0x0
	s_barrier_signal -1
	s_barrier_wait -1
	s_clause 0x9
	scratch_load_b128 v[8:11], off, off offset:176
	scratch_load_b128 v[64:67], off, off offset:192
	;; [unrolled: 1-line block ×10, first 2 shown]
	ds_load_b128 v[100:103], v2 offset:576
	ds_load_b128 v[108:111], v2 offset:592
	s_clause 0x1
	scratch_load_b128 v[104:107], off, off offset:336
	scratch_load_b128 v[112:115], off, off offset:160
	s_mov_b32 s2, exec_lo
	s_wait_loadcnt_dscnt 0xb01
	v_mul_f64_e32 v[4:5], v[102:103], v[10:11]
	v_mul_f64_e32 v[124:125], v[100:101], v[10:11]
	scratch_load_b128 v[10:13], off, off offset:352
	s_wait_loadcnt_dscnt 0xb00
	v_mul_f64_e32 v[126:127], v[108:109], v[66:67]
	v_mul_f64_e32 v[66:67], v[110:111], v[66:67]
	v_fma_f64 v[4:5], v[100:101], v[8:9], -v[4:5]
	v_fmac_f64_e32 v[124:125], v[102:103], v[8:9]
	ds_load_b128 v[100:103], v2 offset:608
	ds_load_b128 v[116:119], v2 offset:624
	scratch_load_b128 v[120:123], off, off offset:368
	v_fmac_f64_e32 v[126:127], v[110:111], v[64:65]
	v_fma_f64 v[108:109], v[108:109], v[64:65], -v[66:67]
	scratch_load_b128 v[64:67], off, off offset:384
	s_wait_loadcnt_dscnt 0xc01
	v_mul_f64_e32 v[8:9], v[100:101], v[70:71]
	v_mul_f64_e32 v[70:71], v[102:103], v[70:71]
	v_add_f64_e32 v[4:5], 0, v[4:5]
	v_add_f64_e32 v[110:111], 0, v[124:125]
	s_wait_loadcnt_dscnt 0xb00
	v_mul_f64_e32 v[124:125], v[116:117], v[74:75]
	v_mul_f64_e32 v[74:75], v[118:119], v[74:75]
	v_fmac_f64_e32 v[8:9], v[102:103], v[68:69]
	v_fma_f64 v[128:129], v[100:101], v[68:69], -v[70:71]
	ds_load_b128 v[68:71], v2 offset:640
	ds_load_b128 v[100:103], v2 offset:656
	v_add_f64_e32 v[4:5], v[4:5], v[108:109]
	v_add_f64_e32 v[108:109], v[110:111], v[126:127]
	v_fmac_f64_e32 v[124:125], v[118:119], v[72:73]
	v_fma_f64 v[72:73], v[116:117], v[72:73], -v[74:75]
	s_wait_loadcnt_dscnt 0xa01
	v_mul_f64_e32 v[110:111], v[68:69], v[78:79]
	v_mul_f64_e32 v[78:79], v[70:71], v[78:79]
	v_add_f64_e32 v[4:5], v[4:5], v[128:129]
	v_add_f64_e32 v[8:9], v[108:109], v[8:9]
	s_wait_loadcnt_dscnt 0x900
	v_mul_f64_e32 v[108:109], v[100:101], v[82:83]
	v_mul_f64_e32 v[82:83], v[102:103], v[82:83]
	v_fmac_f64_e32 v[110:111], v[70:71], v[76:77]
	v_fma_f64 v[76:77], v[68:69], v[76:77], -v[78:79]
	v_add_f64_e32 v[4:5], v[4:5], v[72:73]
	v_add_f64_e32 v[8:9], v[8:9], v[124:125]
	ds_load_b128 v[68:71], v2 offset:672
	ds_load_b128 v[72:75], v2 offset:688
	v_fmac_f64_e32 v[108:109], v[102:103], v[80:81]
	v_fma_f64 v[80:81], v[100:101], v[80:81], -v[82:83]
	s_wait_loadcnt_dscnt 0x801
	v_mul_f64_e32 v[116:117], v[68:69], v[86:87]
	v_mul_f64_e32 v[78:79], v[70:71], v[86:87]
	s_wait_loadcnt_dscnt 0x700
	v_mul_f64_e32 v[82:83], v[72:73], v[90:91]
	v_mul_f64_e32 v[86:87], v[74:75], v[90:91]
	v_add_f64_e32 v[4:5], v[4:5], v[76:77]
	v_add_f64_e32 v[8:9], v[8:9], v[110:111]
	v_fmac_f64_e32 v[116:117], v[70:71], v[84:85]
	v_fma_f64 v[84:85], v[68:69], v[84:85], -v[78:79]
	ds_load_b128 v[68:71], v2 offset:704
	ds_load_b128 v[76:79], v2 offset:720
	v_fmac_f64_e32 v[82:83], v[74:75], v[88:89]
	v_fma_f64 v[72:73], v[72:73], v[88:89], -v[86:87]
	v_add_f64_e32 v[4:5], v[4:5], v[80:81]
	v_add_f64_e32 v[8:9], v[8:9], v[108:109]
	s_wait_loadcnt_dscnt 0x601
	v_mul_f64_e32 v[80:81], v[68:69], v[94:95]
	v_mul_f64_e32 v[90:91], v[70:71], v[94:95]
	s_wait_loadcnt_dscnt 0x500
	v_mul_f64_e32 v[86:87], v[78:79], v[98:99]
	v_add_f64_e32 v[4:5], v[4:5], v[84:85]
	v_add_f64_e32 v[8:9], v[8:9], v[116:117]
	v_mul_f64_e32 v[84:85], v[76:77], v[98:99]
	v_fmac_f64_e32 v[80:81], v[70:71], v[92:93]
	v_fma_f64 v[88:89], v[68:69], v[92:93], -v[90:91]
	v_fma_f64 v[76:77], v[76:77], v[96:97], -v[86:87]
	v_add_f64_e32 v[4:5], v[4:5], v[72:73]
	v_add_f64_e32 v[8:9], v[8:9], v[82:83]
	ds_load_b128 v[68:71], v2 offset:736
	ds_load_b128 v[72:75], v2 offset:752
	v_fmac_f64_e32 v[84:85], v[78:79], v[96:97]
	s_wait_loadcnt_dscnt 0x401
	v_mul_f64_e32 v[82:83], v[68:69], v[106:107]
	v_mul_f64_e32 v[90:91], v[70:71], v[106:107]
	v_add_f64_e32 v[4:5], v[4:5], v[88:89]
	v_add_f64_e32 v[8:9], v[8:9], v[80:81]
	s_wait_loadcnt_dscnt 0x200
	v_mul_f64_e32 v[78:79], v[72:73], v[12:13]
	v_mul_f64_e32 v[12:13], v[74:75], v[12:13]
	v_fmac_f64_e32 v[82:83], v[70:71], v[104:105]
	v_fma_f64 v[80:81], v[68:69], v[104:105], -v[90:91]
	v_add_f64_e32 v[76:77], v[4:5], v[76:77]
	v_add_f64_e32 v[8:9], v[8:9], v[84:85]
	ds_load_b128 v[68:71], v2 offset:768
	ds_load_b128 v[2:5], v2 offset:784
	v_fmac_f64_e32 v[78:79], v[74:75], v[10:11]
	v_fma_f64 v[10:11], v[72:73], v[10:11], -v[12:13]
	s_wait_loadcnt_dscnt 0x101
	v_mul_f64_e32 v[84:85], v[68:69], v[122:123]
	v_mul_f64_e32 v[86:87], v[70:71], v[122:123]
	s_wait_loadcnt_dscnt 0x0
	v_mul_f64_e32 v[72:73], v[2:3], v[66:67]
	v_mul_f64_e32 v[66:67], v[4:5], v[66:67]
	v_add_f64_e32 v[12:13], v[76:77], v[80:81]
	v_add_f64_e32 v[8:9], v[8:9], v[82:83]
	v_fmac_f64_e32 v[84:85], v[70:71], v[120:121]
	v_fma_f64 v[68:69], v[68:69], v[120:121], -v[86:87]
	v_fmac_f64_e32 v[72:73], v[4:5], v[64:65]
	v_fma_f64 v[2:3], v[2:3], v[64:65], -v[66:67]
	v_add_f64_e32 v[10:11], v[12:13], v[10:11]
	v_add_f64_e32 v[8:9], v[8:9], v[78:79]
	s_delay_alu instid0(VALU_DEP_2) | instskip(NEXT) | instid1(VALU_DEP_2)
	v_add_f64_e32 v[4:5], v[10:11], v[68:69]
	v_add_f64_e32 v[8:9], v[8:9], v[84:85]
	s_delay_alu instid0(VALU_DEP_2) | instskip(NEXT) | instid1(VALU_DEP_2)
	;; [unrolled: 3-line block ×3, first 2 shown]
	v_add_f64_e64 v[2:3], v[112:113], -v[2:3]
	v_add_f64_e64 v[4:5], v[114:115], -v[4:5]
	scratch_store_b128 off, v[2:5], off offset:160
	s_wait_xcnt 0x0
	v_cmpx_lt_u32_e32 9, v1
	s_cbranch_execz .LBB24_145
; %bb.144:
	scratch_load_b128 v[2:5], off, s26
	v_mov_b32_e32 v8, 0
	s_delay_alu instid0(VALU_DEP_1)
	v_dual_mov_b32 v9, v8 :: v_dual_mov_b32 v10, v8
	v_mov_b32_e32 v11, v8
	scratch_store_b128 off, v[8:11], off offset:144
	s_wait_loadcnt 0x0
	ds_store_b128 v6, v[2:5]
.LBB24_145:
	s_wait_xcnt 0x0
	s_or_b32 exec_lo, exec_lo, s2
	s_wait_storecnt_dscnt 0x0
	s_barrier_signal -1
	s_barrier_wait -1
	s_clause 0x9
	scratch_load_b128 v[8:11], off, off offset:160
	scratch_load_b128 v[64:67], off, off offset:176
	scratch_load_b128 v[68:71], off, off offset:192
	scratch_load_b128 v[72:75], off, off offset:208
	scratch_load_b128 v[76:79], off, off offset:224
	scratch_load_b128 v[80:83], off, off offset:240
	scratch_load_b128 v[84:87], off, off offset:256
	scratch_load_b128 v[88:91], off, off offset:272
	scratch_load_b128 v[92:95], off, off offset:288
	scratch_load_b128 v[96:99], off, off offset:304
	v_mov_b32_e32 v2, 0
	s_mov_b32 s2, exec_lo
	ds_load_b128 v[100:103], v2 offset:560
	s_clause 0x2
	scratch_load_b128 v[104:107], off, off offset:320
	scratch_load_b128 v[108:111], off, off offset:144
	;; [unrolled: 1-line block ×3, first 2 shown]
	s_wait_loadcnt_dscnt 0xc00
	v_mul_f64_e32 v[4:5], v[102:103], v[10:11]
	v_mul_f64_e32 v[124:125], v[100:101], v[10:11]
	ds_load_b128 v[112:115], v2 offset:576
	scratch_load_b128 v[10:13], off, off offset:336
	ds_load_b128 v[120:123], v2 offset:608
	v_fma_f64 v[4:5], v[100:101], v[8:9], -v[4:5]
	v_fmac_f64_e32 v[124:125], v[102:103], v[8:9]
	ds_load_b128 v[100:103], v2 offset:592
	s_wait_loadcnt_dscnt 0xc02
	v_mul_f64_e32 v[126:127], v[112:113], v[66:67]
	v_mul_f64_e32 v[66:67], v[114:115], v[66:67]
	s_wait_loadcnt_dscnt 0xb00
	v_mul_f64_e32 v[8:9], v[100:101], v[70:71]
	v_mul_f64_e32 v[70:71], v[102:103], v[70:71]
	v_add_f64_e32 v[4:5], 0, v[4:5]
	v_fmac_f64_e32 v[126:127], v[114:115], v[64:65]
	v_fma_f64 v[112:113], v[112:113], v[64:65], -v[66:67]
	v_add_f64_e32 v[114:115], 0, v[124:125]
	scratch_load_b128 v[64:67], off, off offset:368
	v_fmac_f64_e32 v[8:9], v[102:103], v[68:69]
	v_fma_f64 v[128:129], v[100:101], v[68:69], -v[70:71]
	ds_load_b128 v[68:71], v2 offset:624
	s_wait_loadcnt 0xb
	v_mul_f64_e32 v[124:125], v[120:121], v[74:75]
	v_mul_f64_e32 v[74:75], v[122:123], v[74:75]
	scratch_load_b128 v[100:103], off, off offset:384
	v_add_f64_e32 v[4:5], v[4:5], v[112:113]
	v_add_f64_e32 v[126:127], v[114:115], v[126:127]
	ds_load_b128 v[112:115], v2 offset:640
	s_wait_loadcnt_dscnt 0xb01
	v_mul_f64_e32 v[130:131], v[68:69], v[78:79]
	v_mul_f64_e32 v[78:79], v[70:71], v[78:79]
	v_fmac_f64_e32 v[124:125], v[122:123], v[72:73]
	v_fma_f64 v[72:73], v[120:121], v[72:73], -v[74:75]
	s_wait_loadcnt_dscnt 0xa00
	v_mul_f64_e32 v[120:121], v[112:113], v[82:83]
	v_mul_f64_e32 v[82:83], v[114:115], v[82:83]
	v_add_f64_e32 v[4:5], v[4:5], v[128:129]
	v_add_f64_e32 v[8:9], v[126:127], v[8:9]
	v_fmac_f64_e32 v[130:131], v[70:71], v[76:77]
	v_fma_f64 v[76:77], v[68:69], v[76:77], -v[78:79]
	v_fmac_f64_e32 v[120:121], v[114:115], v[80:81]
	v_fma_f64 v[80:81], v[112:113], v[80:81], -v[82:83]
	v_add_f64_e32 v[4:5], v[4:5], v[72:73]
	v_add_f64_e32 v[8:9], v[8:9], v[124:125]
	ds_load_b128 v[68:71], v2 offset:656
	ds_load_b128 v[72:75], v2 offset:672
	s_wait_loadcnt_dscnt 0x901
	v_mul_f64_e32 v[122:123], v[68:69], v[86:87]
	v_mul_f64_e32 v[78:79], v[70:71], v[86:87]
	s_wait_loadcnt_dscnt 0x800
	v_mul_f64_e32 v[82:83], v[72:73], v[90:91]
	v_mul_f64_e32 v[86:87], v[74:75], v[90:91]
	v_add_f64_e32 v[4:5], v[4:5], v[76:77]
	v_add_f64_e32 v[8:9], v[8:9], v[130:131]
	v_fmac_f64_e32 v[122:123], v[70:71], v[84:85]
	v_fma_f64 v[84:85], v[68:69], v[84:85], -v[78:79]
	ds_load_b128 v[68:71], v2 offset:688
	ds_load_b128 v[76:79], v2 offset:704
	v_fmac_f64_e32 v[82:83], v[74:75], v[88:89]
	v_fma_f64 v[72:73], v[72:73], v[88:89], -v[86:87]
	v_add_f64_e32 v[4:5], v[4:5], v[80:81]
	v_add_f64_e32 v[8:9], v[8:9], v[120:121]
	s_wait_loadcnt_dscnt 0x701
	v_mul_f64_e32 v[80:81], v[68:69], v[94:95]
	v_mul_f64_e32 v[90:91], v[70:71], v[94:95]
	s_wait_loadcnt_dscnt 0x600
	v_mul_f64_e32 v[86:87], v[78:79], v[98:99]
	v_add_f64_e32 v[4:5], v[4:5], v[84:85]
	v_add_f64_e32 v[8:9], v[8:9], v[122:123]
	v_mul_f64_e32 v[84:85], v[76:77], v[98:99]
	v_fmac_f64_e32 v[80:81], v[70:71], v[92:93]
	v_fma_f64 v[88:89], v[68:69], v[92:93], -v[90:91]
	v_fma_f64 v[76:77], v[76:77], v[96:97], -v[86:87]
	v_add_f64_e32 v[4:5], v[4:5], v[72:73]
	v_add_f64_e32 v[8:9], v[8:9], v[82:83]
	ds_load_b128 v[68:71], v2 offset:720
	ds_load_b128 v[72:75], v2 offset:736
	v_fmac_f64_e32 v[84:85], v[78:79], v[96:97]
	s_wait_loadcnt_dscnt 0x501
	v_mul_f64_e32 v[82:83], v[68:69], v[106:107]
	v_mul_f64_e32 v[90:91], v[70:71], v[106:107]
	v_add_f64_e32 v[4:5], v[4:5], v[88:89]
	v_add_f64_e32 v[8:9], v[8:9], v[80:81]
	s_wait_loadcnt_dscnt 0x200
	v_mul_f64_e32 v[80:81], v[72:73], v[12:13]
	v_mul_f64_e32 v[12:13], v[74:75], v[12:13]
	v_fmac_f64_e32 v[82:83], v[70:71], v[104:105]
	v_fma_f64 v[86:87], v[68:69], v[104:105], -v[90:91]
	v_add_f64_e32 v[4:5], v[4:5], v[76:77]
	v_add_f64_e32 v[8:9], v[8:9], v[84:85]
	ds_load_b128 v[68:71], v2 offset:752
	ds_load_b128 v[76:79], v2 offset:768
	v_fmac_f64_e32 v[80:81], v[74:75], v[10:11]
	v_fma_f64 v[10:11], v[72:73], v[10:11], -v[12:13]
	s_wait_dscnt 0x1
	v_mul_f64_e32 v[84:85], v[68:69], v[118:119]
	v_mul_f64_e32 v[88:89], v[70:71], v[118:119]
	v_add_f64_e32 v[4:5], v[4:5], v[86:87]
	v_add_f64_e32 v[8:9], v[8:9], v[82:83]
	s_wait_loadcnt_dscnt 0x100
	v_mul_f64_e32 v[12:13], v[76:77], v[66:67]
	v_mul_f64_e32 v[66:67], v[78:79], v[66:67]
	v_fmac_f64_e32 v[84:85], v[70:71], v[116:117]
	v_fma_f64 v[68:69], v[68:69], v[116:117], -v[88:89]
	v_add_f64_e32 v[4:5], v[4:5], v[10:11]
	v_add_f64_e32 v[70:71], v[8:9], v[80:81]
	ds_load_b128 v[8:11], v2 offset:784
	v_fmac_f64_e32 v[12:13], v[78:79], v[64:65]
	v_fma_f64 v[64:65], v[76:77], v[64:65], -v[66:67]
	s_wait_loadcnt_dscnt 0x0
	v_mul_f64_e32 v[72:73], v[8:9], v[102:103]
	v_mul_f64_e32 v[74:75], v[10:11], v[102:103]
	v_add_f64_e32 v[4:5], v[4:5], v[68:69]
	v_add_f64_e32 v[66:67], v[70:71], v[84:85]
	s_delay_alu instid0(VALU_DEP_4) | instskip(NEXT) | instid1(VALU_DEP_4)
	v_fmac_f64_e32 v[72:73], v[10:11], v[100:101]
	v_fma_f64 v[8:9], v[8:9], v[100:101], -v[74:75]
	s_delay_alu instid0(VALU_DEP_4) | instskip(NEXT) | instid1(VALU_DEP_4)
	v_add_f64_e32 v[4:5], v[4:5], v[64:65]
	v_add_f64_e32 v[10:11], v[66:67], v[12:13]
	s_delay_alu instid0(VALU_DEP_2) | instskip(NEXT) | instid1(VALU_DEP_2)
	v_add_f64_e32 v[4:5], v[4:5], v[8:9]
	v_add_f64_e32 v[10:11], v[10:11], v[72:73]
	s_delay_alu instid0(VALU_DEP_2) | instskip(NEXT) | instid1(VALU_DEP_2)
	v_add_f64_e64 v[8:9], v[108:109], -v[4:5]
	v_add_f64_e64 v[10:11], v[110:111], -v[10:11]
	scratch_store_b128 off, v[8:11], off offset:144
	s_wait_xcnt 0x0
	v_cmpx_lt_u32_e32 8, v1
	s_cbranch_execz .LBB24_147
; %bb.146:
	scratch_load_b128 v[8:11], off, s25
	v_dual_mov_b32 v3, v2 :: v_dual_mov_b32 v4, v2
	v_mov_b32_e32 v5, v2
	scratch_store_b128 off, v[2:5], off offset:128
	s_wait_loadcnt 0x0
	ds_store_b128 v6, v[8:11]
.LBB24_147:
	s_wait_xcnt 0x0
	s_or_b32 exec_lo, exec_lo, s2
	s_wait_storecnt_dscnt 0x0
	s_barrier_signal -1
	s_barrier_wait -1
	s_clause 0x9
	scratch_load_b128 v[8:11], off, off offset:144
	scratch_load_b128 v[64:67], off, off offset:160
	;; [unrolled: 1-line block ×10, first 2 shown]
	ds_load_b128 v[100:103], v2 offset:544
	ds_load_b128 v[108:111], v2 offset:560
	s_clause 0x1
	scratch_load_b128 v[104:107], off, off offset:304
	scratch_load_b128 v[112:115], off, off offset:128
	s_mov_b32 s2, exec_lo
	s_wait_loadcnt_dscnt 0xb01
	v_mul_f64_e32 v[4:5], v[102:103], v[10:11]
	v_mul_f64_e32 v[124:125], v[100:101], v[10:11]
	scratch_load_b128 v[10:13], off, off offset:320
	s_wait_loadcnt_dscnt 0xb00
	v_mul_f64_e32 v[126:127], v[108:109], v[66:67]
	v_mul_f64_e32 v[66:67], v[110:111], v[66:67]
	v_fma_f64 v[4:5], v[100:101], v[8:9], -v[4:5]
	v_fmac_f64_e32 v[124:125], v[102:103], v[8:9]
	ds_load_b128 v[100:103], v2 offset:576
	ds_load_b128 v[116:119], v2 offset:592
	scratch_load_b128 v[120:123], off, off offset:336
	v_fmac_f64_e32 v[126:127], v[110:111], v[64:65]
	v_fma_f64 v[108:109], v[108:109], v[64:65], -v[66:67]
	scratch_load_b128 v[64:67], off, off offset:352
	s_wait_loadcnt_dscnt 0xc01
	v_mul_f64_e32 v[8:9], v[100:101], v[70:71]
	v_mul_f64_e32 v[70:71], v[102:103], v[70:71]
	v_add_f64_e32 v[4:5], 0, v[4:5]
	v_add_f64_e32 v[110:111], 0, v[124:125]
	s_wait_loadcnt_dscnt 0xb00
	v_mul_f64_e32 v[124:125], v[116:117], v[74:75]
	v_mul_f64_e32 v[74:75], v[118:119], v[74:75]
	v_fmac_f64_e32 v[8:9], v[102:103], v[68:69]
	v_fma_f64 v[128:129], v[100:101], v[68:69], -v[70:71]
	ds_load_b128 v[68:71], v2 offset:608
	ds_load_b128 v[100:103], v2 offset:624
	v_add_f64_e32 v[4:5], v[4:5], v[108:109]
	v_add_f64_e32 v[126:127], v[110:111], v[126:127]
	scratch_load_b128 v[108:111], off, off offset:368
	v_fmac_f64_e32 v[124:125], v[118:119], v[72:73]
	v_fma_f64 v[116:117], v[116:117], v[72:73], -v[74:75]
	scratch_load_b128 v[72:75], off, off offset:384
	s_wait_loadcnt_dscnt 0xc01
	v_mul_f64_e32 v[130:131], v[68:69], v[78:79]
	v_mul_f64_e32 v[78:79], v[70:71], v[78:79]
	s_wait_loadcnt_dscnt 0xb00
	v_mul_f64_e32 v[118:119], v[100:101], v[82:83]
	v_mul_f64_e32 v[82:83], v[102:103], v[82:83]
	v_add_f64_e32 v[4:5], v[4:5], v[128:129]
	v_add_f64_e32 v[8:9], v[126:127], v[8:9]
	v_fmac_f64_e32 v[130:131], v[70:71], v[76:77]
	v_fma_f64 v[126:127], v[68:69], v[76:77], -v[78:79]
	ds_load_b128 v[68:71], v2 offset:640
	ds_load_b128 v[76:79], v2 offset:656
	v_fmac_f64_e32 v[118:119], v[102:103], v[80:81]
	v_fma_f64 v[80:81], v[100:101], v[80:81], -v[82:83]
	s_wait_loadcnt_dscnt 0x900
	v_mul_f64_e32 v[100:101], v[76:77], v[90:91]
	v_add_f64_e32 v[4:5], v[4:5], v[116:117]
	v_add_f64_e32 v[8:9], v[8:9], v[124:125]
	v_mul_f64_e32 v[116:117], v[68:69], v[86:87]
	v_mul_f64_e32 v[86:87], v[70:71], v[86:87]
	;; [unrolled: 1-line block ×3, first 2 shown]
	v_fmac_f64_e32 v[100:101], v[78:79], v[88:89]
	v_add_f64_e32 v[4:5], v[4:5], v[126:127]
	v_add_f64_e32 v[8:9], v[8:9], v[130:131]
	v_fmac_f64_e32 v[116:117], v[70:71], v[84:85]
	v_fma_f64 v[84:85], v[68:69], v[84:85], -v[86:87]
	v_fma_f64 v[76:77], v[76:77], v[88:89], -v[90:91]
	v_add_f64_e32 v[4:5], v[4:5], v[80:81]
	v_add_f64_e32 v[8:9], v[8:9], v[118:119]
	ds_load_b128 v[68:71], v2 offset:672
	ds_load_b128 v[80:83], v2 offset:688
	s_wait_loadcnt_dscnt 0x801
	v_mul_f64_e32 v[86:87], v[68:69], v[94:95]
	v_mul_f64_e32 v[94:95], v[70:71], v[94:95]
	s_wait_loadcnt_dscnt 0x700
	v_mul_f64_e32 v[88:89], v[82:83], v[98:99]
	v_add_f64_e32 v[4:5], v[4:5], v[84:85]
	v_add_f64_e32 v[8:9], v[8:9], v[116:117]
	v_mul_f64_e32 v[84:85], v[80:81], v[98:99]
	v_fmac_f64_e32 v[86:87], v[70:71], v[92:93]
	v_fma_f64 v[90:91], v[68:69], v[92:93], -v[94:95]
	v_fma_f64 v[80:81], v[80:81], v[96:97], -v[88:89]
	v_add_f64_e32 v[4:5], v[4:5], v[76:77]
	v_add_f64_e32 v[8:9], v[8:9], v[100:101]
	ds_load_b128 v[68:71], v2 offset:704
	ds_load_b128 v[76:79], v2 offset:720
	v_fmac_f64_e32 v[84:85], v[82:83], v[96:97]
	s_wait_loadcnt_dscnt 0x601
	v_mul_f64_e32 v[92:93], v[68:69], v[106:107]
	v_mul_f64_e32 v[94:95], v[70:71], v[106:107]
	v_add_f64_e32 v[4:5], v[4:5], v[90:91]
	v_add_f64_e32 v[8:9], v[8:9], v[86:87]
	s_wait_loadcnt_dscnt 0x400
	v_mul_f64_e32 v[86:87], v[76:77], v[12:13]
	v_mul_f64_e32 v[12:13], v[78:79], v[12:13]
	v_fmac_f64_e32 v[92:93], v[70:71], v[104:105]
	v_fma_f64 v[88:89], v[68:69], v[104:105], -v[94:95]
	v_add_f64_e32 v[4:5], v[4:5], v[80:81]
	v_add_f64_e32 v[8:9], v[8:9], v[84:85]
	ds_load_b128 v[68:71], v2 offset:736
	ds_load_b128 v[80:83], v2 offset:752
	v_fmac_f64_e32 v[86:87], v[78:79], v[10:11]
	v_fma_f64 v[10:11], v[76:77], v[10:11], -v[12:13]
	s_wait_loadcnt_dscnt 0x301
	v_mul_f64_e32 v[84:85], v[68:69], v[122:123]
	v_mul_f64_e32 v[90:91], v[70:71], v[122:123]
	s_wait_loadcnt_dscnt 0x200
	v_mul_f64_e32 v[12:13], v[80:81], v[66:67]
	v_mul_f64_e32 v[66:67], v[82:83], v[66:67]
	v_add_f64_e32 v[4:5], v[4:5], v[88:89]
	v_add_f64_e32 v[8:9], v[8:9], v[92:93]
	v_fmac_f64_e32 v[84:85], v[70:71], v[120:121]
	v_fma_f64 v[68:69], v[68:69], v[120:121], -v[90:91]
	v_fmac_f64_e32 v[12:13], v[82:83], v[64:65]
	v_fma_f64 v[64:65], v[80:81], v[64:65], -v[66:67]
	v_add_f64_e32 v[70:71], v[4:5], v[10:11]
	v_add_f64_e32 v[76:77], v[8:9], v[86:87]
	ds_load_b128 v[8:11], v2 offset:768
	ds_load_b128 v[2:5], v2 offset:784
	s_wait_loadcnt_dscnt 0x101
	v_mul_f64_e32 v[78:79], v[8:9], v[110:111]
	v_mul_f64_e32 v[86:87], v[10:11], v[110:111]
	v_add_f64_e32 v[66:67], v[70:71], v[68:69]
	v_add_f64_e32 v[68:69], v[76:77], v[84:85]
	s_wait_loadcnt_dscnt 0x0
	v_mul_f64_e32 v[70:71], v[2:3], v[74:75]
	v_mul_f64_e32 v[74:75], v[4:5], v[74:75]
	v_fmac_f64_e32 v[78:79], v[10:11], v[108:109]
	v_fma_f64 v[8:9], v[8:9], v[108:109], -v[86:87]
	v_add_f64_e32 v[10:11], v[66:67], v[64:65]
	v_add_f64_e32 v[12:13], v[68:69], v[12:13]
	v_fmac_f64_e32 v[70:71], v[4:5], v[72:73]
	v_fma_f64 v[2:3], v[2:3], v[72:73], -v[74:75]
	s_delay_alu instid0(VALU_DEP_4) | instskip(NEXT) | instid1(VALU_DEP_4)
	v_add_f64_e32 v[4:5], v[10:11], v[8:9]
	v_add_f64_e32 v[8:9], v[12:13], v[78:79]
	s_delay_alu instid0(VALU_DEP_2) | instskip(NEXT) | instid1(VALU_DEP_2)
	v_add_f64_e32 v[2:3], v[4:5], v[2:3]
	v_add_f64_e32 v[4:5], v[8:9], v[70:71]
	s_delay_alu instid0(VALU_DEP_2) | instskip(NEXT) | instid1(VALU_DEP_2)
	v_add_f64_e64 v[2:3], v[112:113], -v[2:3]
	v_add_f64_e64 v[4:5], v[114:115], -v[4:5]
	scratch_store_b128 off, v[2:5], off offset:128
	s_wait_xcnt 0x0
	v_cmpx_lt_u32_e32 7, v1
	s_cbranch_execz .LBB24_149
; %bb.148:
	scratch_load_b128 v[2:5], off, s33
	v_mov_b32_e32 v8, 0
	s_delay_alu instid0(VALU_DEP_1)
	v_dual_mov_b32 v9, v8 :: v_dual_mov_b32 v10, v8
	v_mov_b32_e32 v11, v8
	scratch_store_b128 off, v[8:11], off offset:112
	s_wait_loadcnt 0x0
	ds_store_b128 v6, v[2:5]
.LBB24_149:
	s_wait_xcnt 0x0
	s_or_b32 exec_lo, exec_lo, s2
	s_wait_storecnt_dscnt 0x0
	s_barrier_signal -1
	s_barrier_wait -1
	s_clause 0x9
	scratch_load_b128 v[8:11], off, off offset:128
	scratch_load_b128 v[64:67], off, off offset:144
	;; [unrolled: 1-line block ×10, first 2 shown]
	v_mov_b32_e32 v2, 0
	s_mov_b32 s2, exec_lo
	ds_load_b128 v[100:103], v2 offset:528
	s_clause 0x2
	scratch_load_b128 v[104:107], off, off offset:288
	scratch_load_b128 v[108:111], off, off offset:112
	;; [unrolled: 1-line block ×3, first 2 shown]
	s_wait_loadcnt_dscnt 0xc00
	v_mul_f64_e32 v[4:5], v[102:103], v[10:11]
	v_mul_f64_e32 v[124:125], v[100:101], v[10:11]
	ds_load_b128 v[112:115], v2 offset:544
	scratch_load_b128 v[10:13], off, off offset:304
	ds_load_b128 v[120:123], v2 offset:576
	v_fma_f64 v[4:5], v[100:101], v[8:9], -v[4:5]
	v_fmac_f64_e32 v[124:125], v[102:103], v[8:9]
	ds_load_b128 v[100:103], v2 offset:560
	s_wait_loadcnt_dscnt 0xc02
	v_mul_f64_e32 v[126:127], v[112:113], v[66:67]
	v_mul_f64_e32 v[66:67], v[114:115], v[66:67]
	s_wait_loadcnt_dscnt 0xb00
	v_mul_f64_e32 v[8:9], v[100:101], v[70:71]
	v_mul_f64_e32 v[70:71], v[102:103], v[70:71]
	v_add_f64_e32 v[4:5], 0, v[4:5]
	v_fmac_f64_e32 v[126:127], v[114:115], v[64:65]
	v_fma_f64 v[112:113], v[112:113], v[64:65], -v[66:67]
	v_add_f64_e32 v[114:115], 0, v[124:125]
	scratch_load_b128 v[64:67], off, off offset:336
	v_fmac_f64_e32 v[8:9], v[102:103], v[68:69]
	v_fma_f64 v[128:129], v[100:101], v[68:69], -v[70:71]
	ds_load_b128 v[68:71], v2 offset:592
	s_wait_loadcnt 0xb
	v_mul_f64_e32 v[124:125], v[120:121], v[74:75]
	v_mul_f64_e32 v[74:75], v[122:123], v[74:75]
	scratch_load_b128 v[100:103], off, off offset:352
	v_add_f64_e32 v[4:5], v[4:5], v[112:113]
	v_add_f64_e32 v[126:127], v[114:115], v[126:127]
	ds_load_b128 v[112:115], v2 offset:608
	s_wait_loadcnt_dscnt 0xb01
	v_mul_f64_e32 v[130:131], v[68:69], v[78:79]
	v_mul_f64_e32 v[78:79], v[70:71], v[78:79]
	v_fmac_f64_e32 v[124:125], v[122:123], v[72:73]
	v_fma_f64 v[120:121], v[120:121], v[72:73], -v[74:75]
	scratch_load_b128 v[72:75], off, off offset:368
	v_add_f64_e32 v[4:5], v[4:5], v[128:129]
	v_add_f64_e32 v[8:9], v[126:127], v[8:9]
	v_fmac_f64_e32 v[130:131], v[70:71], v[76:77]
	v_fma_f64 v[128:129], v[68:69], v[76:77], -v[78:79]
	ds_load_b128 v[68:71], v2 offset:624
	s_wait_loadcnt_dscnt 0xb01
	v_mul_f64_e32 v[126:127], v[112:113], v[82:83]
	v_mul_f64_e32 v[82:83], v[114:115], v[82:83]
	scratch_load_b128 v[76:79], off, off offset:384
	v_add_f64_e32 v[4:5], v[4:5], v[120:121]
	v_add_f64_e32 v[8:9], v[8:9], v[124:125]
	s_wait_loadcnt_dscnt 0xb00
	v_mul_f64_e32 v[124:125], v[68:69], v[86:87]
	v_mul_f64_e32 v[86:87], v[70:71], v[86:87]
	ds_load_b128 v[120:123], v2 offset:640
	v_fmac_f64_e32 v[126:127], v[114:115], v[80:81]
	v_fma_f64 v[80:81], v[112:113], v[80:81], -v[82:83]
	s_wait_loadcnt_dscnt 0xa00
	v_mul_f64_e32 v[112:113], v[120:121], v[90:91]
	v_mul_f64_e32 v[90:91], v[122:123], v[90:91]
	v_add_f64_e32 v[4:5], v[4:5], v[128:129]
	v_add_f64_e32 v[8:9], v[8:9], v[130:131]
	v_fmac_f64_e32 v[124:125], v[70:71], v[84:85]
	v_fma_f64 v[84:85], v[68:69], v[84:85], -v[86:87]
	v_fmac_f64_e32 v[112:113], v[122:123], v[88:89]
	v_fma_f64 v[88:89], v[120:121], v[88:89], -v[90:91]
	v_add_f64_e32 v[4:5], v[4:5], v[80:81]
	v_add_f64_e32 v[8:9], v[8:9], v[126:127]
	ds_load_b128 v[68:71], v2 offset:656
	ds_load_b128 v[80:83], v2 offset:672
	s_wait_loadcnt_dscnt 0x901
	v_mul_f64_e32 v[114:115], v[68:69], v[94:95]
	v_mul_f64_e32 v[86:87], v[70:71], v[94:95]
	s_wait_loadcnt_dscnt 0x800
	v_mul_f64_e32 v[90:91], v[80:81], v[98:99]
	v_mul_f64_e32 v[94:95], v[82:83], v[98:99]
	v_add_f64_e32 v[4:5], v[4:5], v[84:85]
	v_add_f64_e32 v[8:9], v[8:9], v[124:125]
	v_fmac_f64_e32 v[114:115], v[70:71], v[92:93]
	v_fma_f64 v[92:93], v[68:69], v[92:93], -v[86:87]
	ds_load_b128 v[68:71], v2 offset:688
	ds_load_b128 v[84:87], v2 offset:704
	v_fmac_f64_e32 v[90:91], v[82:83], v[96:97]
	v_fma_f64 v[80:81], v[80:81], v[96:97], -v[94:95]
	v_add_f64_e32 v[4:5], v[4:5], v[88:89]
	v_add_f64_e32 v[8:9], v[8:9], v[112:113]
	s_wait_loadcnt_dscnt 0x701
	v_mul_f64_e32 v[88:89], v[68:69], v[106:107]
	v_mul_f64_e32 v[98:99], v[70:71], v[106:107]
	s_delay_alu instid0(VALU_DEP_4) | instskip(NEXT) | instid1(VALU_DEP_4)
	v_add_f64_e32 v[4:5], v[4:5], v[92:93]
	v_add_f64_e32 v[8:9], v[8:9], v[114:115]
	s_wait_loadcnt_dscnt 0x400
	v_mul_f64_e32 v[92:93], v[84:85], v[12:13]
	v_mul_f64_e32 v[12:13], v[86:87], v[12:13]
	v_fmac_f64_e32 v[88:89], v[70:71], v[104:105]
	v_fma_f64 v[94:95], v[68:69], v[104:105], -v[98:99]
	v_add_f64_e32 v[4:5], v[4:5], v[80:81]
	v_add_f64_e32 v[8:9], v[8:9], v[90:91]
	ds_load_b128 v[68:71], v2 offset:720
	ds_load_b128 v[80:83], v2 offset:736
	v_fmac_f64_e32 v[92:93], v[86:87], v[10:11]
	v_fma_f64 v[10:11], v[84:85], v[10:11], -v[12:13]
	s_wait_dscnt 0x1
	v_mul_f64_e32 v[90:91], v[68:69], v[118:119]
	v_mul_f64_e32 v[96:97], v[70:71], v[118:119]
	v_add_f64_e32 v[4:5], v[4:5], v[94:95]
	v_add_f64_e32 v[8:9], v[8:9], v[88:89]
	s_wait_loadcnt_dscnt 0x300
	v_mul_f64_e32 v[12:13], v[80:81], v[66:67]
	v_mul_f64_e32 v[84:85], v[82:83], v[66:67]
	v_fmac_f64_e32 v[90:91], v[70:71], v[116:117]
	v_fma_f64 v[70:71], v[68:69], v[116:117], -v[96:97]
	v_add_f64_e32 v[4:5], v[4:5], v[10:11]
	v_add_f64_e32 v[86:87], v[8:9], v[92:93]
	ds_load_b128 v[8:11], v2 offset:752
	ds_load_b128 v[66:69], v2 offset:768
	v_fmac_f64_e32 v[12:13], v[82:83], v[64:65]
	v_fma_f64 v[64:65], v[80:81], v[64:65], -v[84:85]
	s_wait_loadcnt_dscnt 0x201
	v_mul_f64_e32 v[88:89], v[8:9], v[102:103]
	v_mul_f64_e32 v[92:93], v[10:11], v[102:103]
	s_wait_loadcnt_dscnt 0x100
	v_mul_f64_e32 v[80:81], v[66:67], v[74:75]
	v_mul_f64_e32 v[74:75], v[68:69], v[74:75]
	v_add_f64_e32 v[4:5], v[4:5], v[70:71]
	v_add_f64_e32 v[70:71], v[86:87], v[90:91]
	v_fmac_f64_e32 v[88:89], v[10:11], v[100:101]
	v_fma_f64 v[82:83], v[8:9], v[100:101], -v[92:93]
	ds_load_b128 v[8:11], v2 offset:784
	v_fmac_f64_e32 v[80:81], v[68:69], v[72:73]
	v_fma_f64 v[66:67], v[66:67], v[72:73], -v[74:75]
	v_add_f64_e32 v[4:5], v[4:5], v[64:65]
	v_add_f64_e32 v[12:13], v[70:71], v[12:13]
	s_wait_loadcnt_dscnt 0x0
	v_mul_f64_e32 v[64:65], v[8:9], v[78:79]
	v_mul_f64_e32 v[70:71], v[10:11], v[78:79]
	s_delay_alu instid0(VALU_DEP_4) | instskip(NEXT) | instid1(VALU_DEP_4)
	v_add_f64_e32 v[4:5], v[4:5], v[82:83]
	v_add_f64_e32 v[12:13], v[12:13], v[88:89]
	s_delay_alu instid0(VALU_DEP_4) | instskip(NEXT) | instid1(VALU_DEP_4)
	v_fmac_f64_e32 v[64:65], v[10:11], v[76:77]
	v_fma_f64 v[8:9], v[8:9], v[76:77], -v[70:71]
	s_delay_alu instid0(VALU_DEP_4) | instskip(NEXT) | instid1(VALU_DEP_4)
	v_add_f64_e32 v[4:5], v[4:5], v[66:67]
	v_add_f64_e32 v[10:11], v[12:13], v[80:81]
	s_delay_alu instid0(VALU_DEP_2) | instskip(NEXT) | instid1(VALU_DEP_2)
	v_add_f64_e32 v[4:5], v[4:5], v[8:9]
	v_add_f64_e32 v[10:11], v[10:11], v[64:65]
	s_delay_alu instid0(VALU_DEP_2) | instskip(NEXT) | instid1(VALU_DEP_2)
	v_add_f64_e64 v[8:9], v[108:109], -v[4:5]
	v_add_f64_e64 v[10:11], v[110:111], -v[10:11]
	scratch_store_b128 off, v[8:11], off offset:112
	s_wait_xcnt 0x0
	v_cmpx_lt_u32_e32 6, v1
	s_cbranch_execz .LBB24_151
; %bb.150:
	scratch_load_b128 v[8:11], off, s29
	v_dual_mov_b32 v3, v2 :: v_dual_mov_b32 v4, v2
	v_mov_b32_e32 v5, v2
	scratch_store_b128 off, v[2:5], off offset:96
	s_wait_loadcnt 0x0
	ds_store_b128 v6, v[8:11]
.LBB24_151:
	s_wait_xcnt 0x0
	s_or_b32 exec_lo, exec_lo, s2
	s_wait_storecnt_dscnt 0x0
	s_barrier_signal -1
	s_barrier_wait -1
	s_clause 0x9
	scratch_load_b128 v[8:11], off, off offset:112
	scratch_load_b128 v[64:67], off, off offset:128
	;; [unrolled: 1-line block ×10, first 2 shown]
	ds_load_b128 v[100:103], v2 offset:512
	ds_load_b128 v[108:111], v2 offset:528
	s_clause 0x1
	scratch_load_b128 v[104:107], off, off offset:272
	scratch_load_b128 v[112:115], off, off offset:96
	s_mov_b32 s2, exec_lo
	s_wait_loadcnt_dscnt 0xb01
	v_mul_f64_e32 v[4:5], v[102:103], v[10:11]
	v_mul_f64_e32 v[124:125], v[100:101], v[10:11]
	scratch_load_b128 v[10:13], off, off offset:288
	s_wait_loadcnt_dscnt 0xb00
	v_mul_f64_e32 v[126:127], v[108:109], v[66:67]
	v_mul_f64_e32 v[66:67], v[110:111], v[66:67]
	v_fma_f64 v[4:5], v[100:101], v[8:9], -v[4:5]
	v_fmac_f64_e32 v[124:125], v[102:103], v[8:9]
	ds_load_b128 v[100:103], v2 offset:544
	ds_load_b128 v[116:119], v2 offset:560
	scratch_load_b128 v[120:123], off, off offset:304
	v_fmac_f64_e32 v[126:127], v[110:111], v[64:65]
	v_fma_f64 v[108:109], v[108:109], v[64:65], -v[66:67]
	scratch_load_b128 v[64:67], off, off offset:320
	s_wait_loadcnt_dscnt 0xc01
	v_mul_f64_e32 v[8:9], v[100:101], v[70:71]
	v_mul_f64_e32 v[70:71], v[102:103], v[70:71]
	v_add_f64_e32 v[4:5], 0, v[4:5]
	v_add_f64_e32 v[110:111], 0, v[124:125]
	s_wait_loadcnt_dscnt 0xb00
	v_mul_f64_e32 v[124:125], v[116:117], v[74:75]
	v_mul_f64_e32 v[74:75], v[118:119], v[74:75]
	v_fmac_f64_e32 v[8:9], v[102:103], v[68:69]
	v_fma_f64 v[128:129], v[100:101], v[68:69], -v[70:71]
	ds_load_b128 v[68:71], v2 offset:576
	ds_load_b128 v[100:103], v2 offset:592
	v_add_f64_e32 v[4:5], v[4:5], v[108:109]
	v_add_f64_e32 v[126:127], v[110:111], v[126:127]
	scratch_load_b128 v[108:111], off, off offset:336
	v_fmac_f64_e32 v[124:125], v[118:119], v[72:73]
	v_fma_f64 v[116:117], v[116:117], v[72:73], -v[74:75]
	scratch_load_b128 v[72:75], off, off offset:352
	s_wait_loadcnt_dscnt 0xc01
	v_mul_f64_e32 v[130:131], v[68:69], v[78:79]
	v_mul_f64_e32 v[78:79], v[70:71], v[78:79]
	v_add_f64_e32 v[4:5], v[4:5], v[128:129]
	v_add_f64_e32 v[8:9], v[126:127], v[8:9]
	s_wait_loadcnt_dscnt 0xb00
	v_mul_f64_e32 v[126:127], v[100:101], v[82:83]
	v_mul_f64_e32 v[82:83], v[102:103], v[82:83]
	v_fmac_f64_e32 v[130:131], v[70:71], v[76:77]
	v_fma_f64 v[128:129], v[68:69], v[76:77], -v[78:79]
	ds_load_b128 v[68:71], v2 offset:608
	ds_load_b128 v[76:79], v2 offset:624
	v_add_f64_e32 v[4:5], v[4:5], v[116:117]
	v_add_f64_e32 v[8:9], v[8:9], v[124:125]
	scratch_load_b128 v[116:119], off, off offset:368
	s_wait_loadcnt_dscnt 0xb01
	v_mul_f64_e32 v[124:125], v[68:69], v[86:87]
	v_mul_f64_e32 v[86:87], v[70:71], v[86:87]
	v_fmac_f64_e32 v[126:127], v[102:103], v[80:81]
	v_fma_f64 v[100:101], v[100:101], v[80:81], -v[82:83]
	scratch_load_b128 v[80:83], off, off offset:384
	s_wait_loadcnt_dscnt 0xb00
	v_mul_f64_e32 v[102:103], v[76:77], v[90:91]
	v_mul_f64_e32 v[90:91], v[78:79], v[90:91]
	v_add_f64_e32 v[4:5], v[4:5], v[128:129]
	v_add_f64_e32 v[8:9], v[8:9], v[130:131]
	v_fmac_f64_e32 v[124:125], v[70:71], v[84:85]
	v_fma_f64 v[128:129], v[68:69], v[84:85], -v[86:87]
	ds_load_b128 v[68:71], v2 offset:640
	ds_load_b128 v[84:87], v2 offset:656
	v_fmac_f64_e32 v[102:103], v[78:79], v[88:89]
	v_fma_f64 v[76:77], v[76:77], v[88:89], -v[90:91]
	s_wait_loadcnt_dscnt 0x900
	v_mul_f64_e32 v[88:89], v[84:85], v[98:99]
	v_mul_f64_e32 v[90:91], v[86:87], v[98:99]
	v_add_f64_e32 v[4:5], v[4:5], v[100:101]
	v_add_f64_e32 v[8:9], v[8:9], v[126:127]
	v_mul_f64_e32 v[100:101], v[68:69], v[94:95]
	v_mul_f64_e32 v[94:95], v[70:71], v[94:95]
	v_fmac_f64_e32 v[88:89], v[86:87], v[96:97]
	v_fma_f64 v[84:85], v[84:85], v[96:97], -v[90:91]
	v_add_f64_e32 v[4:5], v[4:5], v[128:129]
	v_add_f64_e32 v[8:9], v[8:9], v[124:125]
	v_fmac_f64_e32 v[100:101], v[70:71], v[92:93]
	v_fma_f64 v[92:93], v[68:69], v[92:93], -v[94:95]
	s_delay_alu instid0(VALU_DEP_4) | instskip(NEXT) | instid1(VALU_DEP_4)
	v_add_f64_e32 v[4:5], v[4:5], v[76:77]
	v_add_f64_e32 v[8:9], v[8:9], v[102:103]
	ds_load_b128 v[68:71], v2 offset:672
	ds_load_b128 v[76:79], v2 offset:688
	s_wait_loadcnt_dscnt 0x801
	v_mul_f64_e32 v[94:95], v[68:69], v[106:107]
	v_mul_f64_e32 v[98:99], v[70:71], v[106:107]
	v_add_f64_e32 v[4:5], v[4:5], v[92:93]
	v_add_f64_e32 v[8:9], v[8:9], v[100:101]
	s_wait_loadcnt_dscnt 0x600
	v_mul_f64_e32 v[90:91], v[76:77], v[12:13]
	v_mul_f64_e32 v[12:13], v[78:79], v[12:13]
	v_fmac_f64_e32 v[94:95], v[70:71], v[104:105]
	v_fma_f64 v[92:93], v[68:69], v[104:105], -v[98:99]
	v_add_f64_e32 v[4:5], v[4:5], v[84:85]
	v_add_f64_e32 v[8:9], v[8:9], v[88:89]
	ds_load_b128 v[68:71], v2 offset:704
	ds_load_b128 v[84:87], v2 offset:720
	v_fmac_f64_e32 v[90:91], v[78:79], v[10:11]
	v_fma_f64 v[10:11], v[76:77], v[10:11], -v[12:13]
	s_wait_loadcnt_dscnt 0x501
	v_mul_f64_e32 v[88:89], v[68:69], v[122:123]
	v_mul_f64_e32 v[96:97], v[70:71], v[122:123]
	s_wait_loadcnt_dscnt 0x400
	v_mul_f64_e32 v[12:13], v[84:85], v[66:67]
	v_mul_f64_e32 v[76:77], v[86:87], v[66:67]
	v_add_f64_e32 v[4:5], v[4:5], v[92:93]
	v_add_f64_e32 v[8:9], v[8:9], v[94:95]
	v_fmac_f64_e32 v[88:89], v[70:71], v[120:121]
	v_fma_f64 v[70:71], v[68:69], v[120:121], -v[96:97]
	v_fmac_f64_e32 v[12:13], v[86:87], v[64:65]
	v_fma_f64 v[64:65], v[84:85], v[64:65], -v[76:77]
	v_add_f64_e32 v[4:5], v[4:5], v[10:11]
	v_add_f64_e32 v[78:79], v[8:9], v[90:91]
	ds_load_b128 v[8:11], v2 offset:736
	ds_load_b128 v[66:69], v2 offset:752
	s_wait_loadcnt_dscnt 0x301
	v_mul_f64_e32 v[90:91], v[8:9], v[110:111]
	v_mul_f64_e32 v[92:93], v[10:11], v[110:111]
	s_wait_loadcnt_dscnt 0x200
	v_mul_f64_e32 v[76:77], v[66:67], v[74:75]
	v_mul_f64_e32 v[74:75], v[68:69], v[74:75]
	v_add_f64_e32 v[4:5], v[4:5], v[70:71]
	v_add_f64_e32 v[70:71], v[78:79], v[88:89]
	v_fmac_f64_e32 v[90:91], v[10:11], v[108:109]
	v_fma_f64 v[78:79], v[8:9], v[108:109], -v[92:93]
	v_fmac_f64_e32 v[76:77], v[68:69], v[72:73]
	v_fma_f64 v[66:67], v[66:67], v[72:73], -v[74:75]
	v_add_f64_e32 v[64:65], v[4:5], v[64:65]
	v_add_f64_e32 v[12:13], v[70:71], v[12:13]
	ds_load_b128 v[8:11], v2 offset:768
	ds_load_b128 v[2:5], v2 offset:784
	s_wait_loadcnt_dscnt 0x101
	v_mul_f64_e32 v[70:71], v[8:9], v[118:119]
	v_mul_f64_e32 v[84:85], v[10:11], v[118:119]
	s_wait_loadcnt_dscnt 0x0
	v_mul_f64_e32 v[68:69], v[2:3], v[82:83]
	v_mul_f64_e32 v[72:73], v[4:5], v[82:83]
	v_add_f64_e32 v[64:65], v[64:65], v[78:79]
	v_add_f64_e32 v[12:13], v[12:13], v[90:91]
	v_fmac_f64_e32 v[70:71], v[10:11], v[116:117]
	v_fma_f64 v[8:9], v[8:9], v[116:117], -v[84:85]
	v_fmac_f64_e32 v[68:69], v[4:5], v[80:81]
	v_fma_f64 v[2:3], v[2:3], v[80:81], -v[72:73]
	v_add_f64_e32 v[10:11], v[64:65], v[66:67]
	v_add_f64_e32 v[12:13], v[12:13], v[76:77]
	s_delay_alu instid0(VALU_DEP_2) | instskip(NEXT) | instid1(VALU_DEP_2)
	v_add_f64_e32 v[4:5], v[10:11], v[8:9]
	v_add_f64_e32 v[8:9], v[12:13], v[70:71]
	s_delay_alu instid0(VALU_DEP_2) | instskip(NEXT) | instid1(VALU_DEP_2)
	;; [unrolled: 3-line block ×3, first 2 shown]
	v_add_f64_e64 v[2:3], v[112:113], -v[2:3]
	v_add_f64_e64 v[4:5], v[114:115], -v[4:5]
	scratch_store_b128 off, v[2:5], off offset:96
	s_wait_xcnt 0x0
	v_cmpx_lt_u32_e32 5, v1
	s_cbranch_execz .LBB24_153
; %bb.152:
	scratch_load_b128 v[2:5], off, s27
	v_mov_b32_e32 v8, 0
	s_delay_alu instid0(VALU_DEP_1)
	v_dual_mov_b32 v9, v8 :: v_dual_mov_b32 v10, v8
	v_mov_b32_e32 v11, v8
	scratch_store_b128 off, v[8:11], off offset:80
	s_wait_loadcnt 0x0
	ds_store_b128 v6, v[2:5]
.LBB24_153:
	s_wait_xcnt 0x0
	s_or_b32 exec_lo, exec_lo, s2
	s_wait_storecnt_dscnt 0x0
	s_barrier_signal -1
	s_barrier_wait -1
	s_clause 0x9
	scratch_load_b128 v[8:11], off, off offset:96
	scratch_load_b128 v[64:67], off, off offset:112
	;; [unrolled: 1-line block ×10, first 2 shown]
	v_mov_b32_e32 v2, 0
	s_mov_b32 s2, exec_lo
	ds_load_b128 v[100:103], v2 offset:496
	s_clause 0x2
	scratch_load_b128 v[104:107], off, off offset:256
	scratch_load_b128 v[108:111], off, off offset:80
	;; [unrolled: 1-line block ×3, first 2 shown]
	s_wait_loadcnt_dscnt 0xc00
	v_mul_f64_e32 v[4:5], v[102:103], v[10:11]
	v_mul_f64_e32 v[124:125], v[100:101], v[10:11]
	ds_load_b128 v[112:115], v2 offset:512
	scratch_load_b128 v[10:13], off, off offset:272
	ds_load_b128 v[120:123], v2 offset:544
	v_fma_f64 v[4:5], v[100:101], v[8:9], -v[4:5]
	v_fmac_f64_e32 v[124:125], v[102:103], v[8:9]
	ds_load_b128 v[100:103], v2 offset:528
	s_wait_loadcnt_dscnt 0xc02
	v_mul_f64_e32 v[126:127], v[112:113], v[66:67]
	v_mul_f64_e32 v[66:67], v[114:115], v[66:67]
	s_wait_loadcnt_dscnt 0xb00
	v_mul_f64_e32 v[8:9], v[100:101], v[70:71]
	v_mul_f64_e32 v[70:71], v[102:103], v[70:71]
	v_add_f64_e32 v[4:5], 0, v[4:5]
	v_fmac_f64_e32 v[126:127], v[114:115], v[64:65]
	v_fma_f64 v[112:113], v[112:113], v[64:65], -v[66:67]
	v_add_f64_e32 v[114:115], 0, v[124:125]
	scratch_load_b128 v[64:67], off, off offset:304
	v_fmac_f64_e32 v[8:9], v[102:103], v[68:69]
	v_fma_f64 v[128:129], v[100:101], v[68:69], -v[70:71]
	ds_load_b128 v[68:71], v2 offset:560
	s_wait_loadcnt 0xb
	v_mul_f64_e32 v[124:125], v[120:121], v[74:75]
	v_mul_f64_e32 v[74:75], v[122:123], v[74:75]
	scratch_load_b128 v[100:103], off, off offset:320
	v_add_f64_e32 v[4:5], v[4:5], v[112:113]
	v_add_f64_e32 v[126:127], v[114:115], v[126:127]
	ds_load_b128 v[112:115], v2 offset:576
	s_wait_loadcnt_dscnt 0xb01
	v_mul_f64_e32 v[130:131], v[68:69], v[78:79]
	v_mul_f64_e32 v[78:79], v[70:71], v[78:79]
	v_fmac_f64_e32 v[124:125], v[122:123], v[72:73]
	v_fma_f64 v[120:121], v[120:121], v[72:73], -v[74:75]
	scratch_load_b128 v[72:75], off, off offset:336
	v_add_f64_e32 v[4:5], v[4:5], v[128:129]
	v_add_f64_e32 v[8:9], v[126:127], v[8:9]
	v_fmac_f64_e32 v[130:131], v[70:71], v[76:77]
	v_fma_f64 v[128:129], v[68:69], v[76:77], -v[78:79]
	ds_load_b128 v[68:71], v2 offset:592
	s_wait_loadcnt_dscnt 0xb01
	v_mul_f64_e32 v[126:127], v[112:113], v[82:83]
	v_mul_f64_e32 v[82:83], v[114:115], v[82:83]
	scratch_load_b128 v[76:79], off, off offset:352
	v_add_f64_e32 v[4:5], v[4:5], v[120:121]
	v_add_f64_e32 v[8:9], v[8:9], v[124:125]
	s_wait_loadcnt_dscnt 0xb00
	v_mul_f64_e32 v[124:125], v[68:69], v[86:87]
	v_mul_f64_e32 v[86:87], v[70:71], v[86:87]
	ds_load_b128 v[120:123], v2 offset:608
	v_fmac_f64_e32 v[126:127], v[114:115], v[80:81]
	v_fma_f64 v[112:113], v[112:113], v[80:81], -v[82:83]
	scratch_load_b128 v[80:83], off, off offset:368
	v_add_f64_e32 v[4:5], v[4:5], v[128:129]
	v_add_f64_e32 v[8:9], v[8:9], v[130:131]
	v_fmac_f64_e32 v[124:125], v[70:71], v[84:85]
	v_fma_f64 v[130:131], v[68:69], v[84:85], -v[86:87]
	ds_load_b128 v[68:71], v2 offset:624
	s_wait_loadcnt_dscnt 0xb01
	v_mul_f64_e32 v[128:129], v[120:121], v[90:91]
	v_mul_f64_e32 v[90:91], v[122:123], v[90:91]
	scratch_load_b128 v[84:87], off, off offset:384
	v_add_f64_e32 v[4:5], v[4:5], v[112:113]
	v_add_f64_e32 v[8:9], v[8:9], v[126:127]
	s_wait_loadcnt_dscnt 0xb00
	v_mul_f64_e32 v[126:127], v[68:69], v[94:95]
	v_mul_f64_e32 v[94:95], v[70:71], v[94:95]
	ds_load_b128 v[112:115], v2 offset:640
	v_fmac_f64_e32 v[128:129], v[122:123], v[88:89]
	v_fma_f64 v[88:89], v[120:121], v[88:89], -v[90:91]
	s_wait_loadcnt_dscnt 0xa00
	v_mul_f64_e32 v[120:121], v[112:113], v[98:99]
	v_mul_f64_e32 v[98:99], v[114:115], v[98:99]
	v_add_f64_e32 v[4:5], v[4:5], v[130:131]
	v_add_f64_e32 v[8:9], v[8:9], v[124:125]
	v_fmac_f64_e32 v[126:127], v[70:71], v[92:93]
	v_fma_f64 v[92:93], v[68:69], v[92:93], -v[94:95]
	v_fmac_f64_e32 v[120:121], v[114:115], v[96:97]
	v_fma_f64 v[96:97], v[112:113], v[96:97], -v[98:99]
	v_add_f64_e32 v[4:5], v[4:5], v[88:89]
	v_add_f64_e32 v[8:9], v[8:9], v[128:129]
	ds_load_b128 v[68:71], v2 offset:656
	ds_load_b128 v[88:91], v2 offset:672
	s_wait_loadcnt_dscnt 0x901
	v_mul_f64_e32 v[122:123], v[68:69], v[106:107]
	v_mul_f64_e32 v[94:95], v[70:71], v[106:107]
	s_wait_loadcnt_dscnt 0x600
	v_mul_f64_e32 v[98:99], v[88:89], v[12:13]
	v_add_f64_e32 v[4:5], v[4:5], v[92:93]
	v_add_f64_e32 v[8:9], v[8:9], v[126:127]
	v_mul_f64_e32 v[12:13], v[90:91], v[12:13]
	v_fmac_f64_e32 v[122:123], v[70:71], v[104:105]
	v_fma_f64 v[104:105], v[68:69], v[104:105], -v[94:95]
	ds_load_b128 v[68:71], v2 offset:688
	ds_load_b128 v[92:95], v2 offset:704
	v_fmac_f64_e32 v[98:99], v[90:91], v[10:11]
	v_add_f64_e32 v[4:5], v[4:5], v[96:97]
	v_add_f64_e32 v[8:9], v[8:9], v[120:121]
	v_fma_f64 v[10:11], v[88:89], v[10:11], -v[12:13]
	s_wait_dscnt 0x1
	v_mul_f64_e32 v[96:97], v[68:69], v[118:119]
	v_mul_f64_e32 v[106:107], v[70:71], v[118:119]
	v_add_f64_e32 v[4:5], v[4:5], v[104:105]
	v_add_f64_e32 v[8:9], v[8:9], v[122:123]
	s_wait_loadcnt_dscnt 0x500
	v_mul_f64_e32 v[12:13], v[92:93], v[66:67]
	v_mul_f64_e32 v[88:89], v[94:95], v[66:67]
	v_fmac_f64_e32 v[96:97], v[70:71], v[116:117]
	v_fma_f64 v[70:71], v[68:69], v[116:117], -v[106:107]
	v_add_f64_e32 v[4:5], v[4:5], v[10:11]
	v_add_f64_e32 v[90:91], v[8:9], v[98:99]
	ds_load_b128 v[8:11], v2 offset:720
	ds_load_b128 v[66:69], v2 offset:736
	v_fmac_f64_e32 v[12:13], v[94:95], v[64:65]
	v_fma_f64 v[64:65], v[92:93], v[64:65], -v[88:89]
	s_wait_loadcnt_dscnt 0x401
	v_mul_f64_e32 v[98:99], v[8:9], v[102:103]
	v_mul_f64_e32 v[102:103], v[10:11], v[102:103]
	s_wait_loadcnt_dscnt 0x300
	v_mul_f64_e32 v[92:93], v[66:67], v[74:75]
	v_mul_f64_e32 v[74:75], v[68:69], v[74:75]
	v_add_f64_e32 v[4:5], v[4:5], v[70:71]
	v_add_f64_e32 v[70:71], v[90:91], v[96:97]
	v_fmac_f64_e32 v[98:99], v[10:11], v[100:101]
	v_fma_f64 v[94:95], v[8:9], v[100:101], -v[102:103]
	ds_load_b128 v[8:11], v2 offset:752
	ds_load_b128 v[88:91], v2 offset:768
	v_fmac_f64_e32 v[92:93], v[68:69], v[72:73]
	v_fma_f64 v[66:67], v[66:67], v[72:73], -v[74:75]
	v_add_f64_e32 v[4:5], v[4:5], v[64:65]
	v_add_f64_e32 v[12:13], v[70:71], v[12:13]
	s_wait_loadcnt_dscnt 0x201
	v_mul_f64_e32 v[64:65], v[8:9], v[78:79]
	v_mul_f64_e32 v[70:71], v[10:11], v[78:79]
	s_wait_loadcnt_dscnt 0x100
	v_mul_f64_e32 v[68:69], v[88:89], v[82:83]
	v_mul_f64_e32 v[72:73], v[90:91], v[82:83]
	v_add_f64_e32 v[4:5], v[4:5], v[94:95]
	v_add_f64_e32 v[12:13], v[12:13], v[98:99]
	v_fmac_f64_e32 v[64:65], v[10:11], v[76:77]
	v_fma_f64 v[70:71], v[8:9], v[76:77], -v[70:71]
	ds_load_b128 v[8:11], v2 offset:784
	v_fmac_f64_e32 v[68:69], v[90:91], v[80:81]
	v_fma_f64 v[72:73], v[88:89], v[80:81], -v[72:73]
	s_wait_loadcnt_dscnt 0x0
	v_mul_f64_e32 v[74:75], v[10:11], v[86:87]
	v_add_f64_e32 v[4:5], v[4:5], v[66:67]
	v_add_f64_e32 v[12:13], v[12:13], v[92:93]
	v_mul_f64_e32 v[66:67], v[8:9], v[86:87]
	s_delay_alu instid0(VALU_DEP_4) | instskip(NEXT) | instid1(VALU_DEP_4)
	v_fma_f64 v[8:9], v[8:9], v[84:85], -v[74:75]
	v_add_f64_e32 v[4:5], v[4:5], v[70:71]
	s_delay_alu instid0(VALU_DEP_4) | instskip(NEXT) | instid1(VALU_DEP_4)
	v_add_f64_e32 v[12:13], v[12:13], v[64:65]
	v_fmac_f64_e32 v[66:67], v[10:11], v[84:85]
	s_delay_alu instid0(VALU_DEP_3) | instskip(NEXT) | instid1(VALU_DEP_3)
	v_add_f64_e32 v[4:5], v[4:5], v[72:73]
	v_add_f64_e32 v[10:11], v[12:13], v[68:69]
	s_delay_alu instid0(VALU_DEP_2) | instskip(NEXT) | instid1(VALU_DEP_2)
	v_add_f64_e32 v[4:5], v[4:5], v[8:9]
	v_add_f64_e32 v[10:11], v[10:11], v[66:67]
	s_delay_alu instid0(VALU_DEP_2) | instskip(NEXT) | instid1(VALU_DEP_2)
	v_add_f64_e64 v[8:9], v[108:109], -v[4:5]
	v_add_f64_e64 v[10:11], v[110:111], -v[10:11]
	scratch_store_b128 off, v[8:11], off offset:80
	s_wait_xcnt 0x0
	v_cmpx_lt_u32_e32 4, v1
	s_cbranch_execz .LBB24_155
; %bb.154:
	scratch_load_b128 v[8:11], off, s14
	v_dual_mov_b32 v3, v2 :: v_dual_mov_b32 v4, v2
	v_mov_b32_e32 v5, v2
	scratch_store_b128 off, v[2:5], off offset:64
	s_wait_loadcnt 0x0
	ds_store_b128 v6, v[8:11]
.LBB24_155:
	s_wait_xcnt 0x0
	s_or_b32 exec_lo, exec_lo, s2
	s_wait_storecnt_dscnt 0x0
	s_barrier_signal -1
	s_barrier_wait -1
	s_clause 0x9
	scratch_load_b128 v[8:11], off, off offset:80
	scratch_load_b128 v[64:67], off, off offset:96
	;; [unrolled: 1-line block ×10, first 2 shown]
	ds_load_b128 v[100:103], v2 offset:480
	ds_load_b128 v[108:111], v2 offset:496
	s_clause 0x1
	scratch_load_b128 v[104:107], off, off offset:240
	scratch_load_b128 v[112:115], off, off offset:64
	s_mov_b32 s2, exec_lo
	s_wait_loadcnt_dscnt 0xb01
	v_mul_f64_e32 v[4:5], v[102:103], v[10:11]
	v_mul_f64_e32 v[124:125], v[100:101], v[10:11]
	scratch_load_b128 v[10:13], off, off offset:256
	s_wait_loadcnt_dscnt 0xb00
	v_mul_f64_e32 v[126:127], v[108:109], v[66:67]
	v_mul_f64_e32 v[66:67], v[110:111], v[66:67]
	v_fma_f64 v[4:5], v[100:101], v[8:9], -v[4:5]
	v_fmac_f64_e32 v[124:125], v[102:103], v[8:9]
	ds_load_b128 v[100:103], v2 offset:512
	ds_load_b128 v[116:119], v2 offset:528
	scratch_load_b128 v[120:123], off, off offset:272
	v_fmac_f64_e32 v[126:127], v[110:111], v[64:65]
	v_fma_f64 v[108:109], v[108:109], v[64:65], -v[66:67]
	scratch_load_b128 v[64:67], off, off offset:288
	s_wait_loadcnt_dscnt 0xc01
	v_mul_f64_e32 v[8:9], v[100:101], v[70:71]
	v_mul_f64_e32 v[70:71], v[102:103], v[70:71]
	v_add_f64_e32 v[4:5], 0, v[4:5]
	v_add_f64_e32 v[110:111], 0, v[124:125]
	s_wait_loadcnt_dscnt 0xb00
	v_mul_f64_e32 v[124:125], v[116:117], v[74:75]
	v_mul_f64_e32 v[74:75], v[118:119], v[74:75]
	v_fmac_f64_e32 v[8:9], v[102:103], v[68:69]
	v_fma_f64 v[128:129], v[100:101], v[68:69], -v[70:71]
	ds_load_b128 v[68:71], v2 offset:544
	ds_load_b128 v[100:103], v2 offset:560
	v_add_f64_e32 v[4:5], v[4:5], v[108:109]
	v_add_f64_e32 v[126:127], v[110:111], v[126:127]
	scratch_load_b128 v[108:111], off, off offset:304
	v_fmac_f64_e32 v[124:125], v[118:119], v[72:73]
	v_fma_f64 v[116:117], v[116:117], v[72:73], -v[74:75]
	scratch_load_b128 v[72:75], off, off offset:320
	s_wait_loadcnt_dscnt 0xc01
	v_mul_f64_e32 v[130:131], v[68:69], v[78:79]
	v_mul_f64_e32 v[78:79], v[70:71], v[78:79]
	v_add_f64_e32 v[4:5], v[4:5], v[128:129]
	v_add_f64_e32 v[8:9], v[126:127], v[8:9]
	s_wait_loadcnt_dscnt 0xb00
	v_mul_f64_e32 v[126:127], v[100:101], v[82:83]
	v_mul_f64_e32 v[82:83], v[102:103], v[82:83]
	v_fmac_f64_e32 v[130:131], v[70:71], v[76:77]
	v_fma_f64 v[128:129], v[68:69], v[76:77], -v[78:79]
	ds_load_b128 v[68:71], v2 offset:576
	ds_load_b128 v[76:79], v2 offset:592
	v_add_f64_e32 v[4:5], v[4:5], v[116:117]
	v_add_f64_e32 v[8:9], v[8:9], v[124:125]
	scratch_load_b128 v[116:119], off, off offset:336
	s_wait_loadcnt_dscnt 0xb01
	v_mul_f64_e32 v[124:125], v[68:69], v[86:87]
	v_mul_f64_e32 v[86:87], v[70:71], v[86:87]
	v_fmac_f64_e32 v[126:127], v[102:103], v[80:81]
	v_fma_f64 v[100:101], v[100:101], v[80:81], -v[82:83]
	scratch_load_b128 v[80:83], off, off offset:352
	v_add_f64_e32 v[4:5], v[4:5], v[128:129]
	v_add_f64_e32 v[8:9], v[8:9], v[130:131]
	s_wait_loadcnt_dscnt 0xb00
	v_mul_f64_e32 v[128:129], v[76:77], v[90:91]
	v_mul_f64_e32 v[90:91], v[78:79], v[90:91]
	v_fmac_f64_e32 v[124:125], v[70:71], v[84:85]
	v_fma_f64 v[130:131], v[68:69], v[84:85], -v[86:87]
	ds_load_b128 v[68:71], v2 offset:608
	ds_load_b128 v[84:87], v2 offset:624
	v_add_f64_e32 v[4:5], v[4:5], v[100:101]
	v_add_f64_e32 v[8:9], v[8:9], v[126:127]
	scratch_load_b128 v[100:103], off, off offset:368
	s_wait_loadcnt_dscnt 0xb01
	v_mul_f64_e32 v[126:127], v[68:69], v[94:95]
	v_mul_f64_e32 v[94:95], v[70:71], v[94:95]
	v_fmac_f64_e32 v[128:129], v[78:79], v[88:89]
	v_fma_f64 v[88:89], v[76:77], v[88:89], -v[90:91]
	scratch_load_b128 v[76:79], off, off offset:384
	v_add_f64_e32 v[4:5], v[4:5], v[130:131]
	v_add_f64_e32 v[8:9], v[8:9], v[124:125]
	s_wait_loadcnt_dscnt 0xb00
	v_mul_f64_e32 v[124:125], v[84:85], v[98:99]
	v_mul_f64_e32 v[98:99], v[86:87], v[98:99]
	v_fmac_f64_e32 v[126:127], v[70:71], v[92:93]
	v_fma_f64 v[92:93], v[68:69], v[92:93], -v[94:95]
	v_add_f64_e32 v[4:5], v[4:5], v[88:89]
	v_add_f64_e32 v[8:9], v[8:9], v[128:129]
	ds_load_b128 v[68:71], v2 offset:640
	ds_load_b128 v[88:91], v2 offset:656
	v_fmac_f64_e32 v[124:125], v[86:87], v[96:97]
	v_fma_f64 v[84:85], v[84:85], v[96:97], -v[98:99]
	s_wait_loadcnt_dscnt 0xa01
	v_mul_f64_e32 v[94:95], v[68:69], v[106:107]
	v_mul_f64_e32 v[106:107], v[70:71], v[106:107]
	v_add_f64_e32 v[4:5], v[4:5], v[92:93]
	v_add_f64_e32 v[8:9], v[8:9], v[126:127]
	s_wait_loadcnt_dscnt 0x800
	v_mul_f64_e32 v[92:93], v[88:89], v[12:13]
	v_mul_f64_e32 v[12:13], v[90:91], v[12:13]
	v_fmac_f64_e32 v[94:95], v[70:71], v[104:105]
	v_fma_f64 v[96:97], v[68:69], v[104:105], -v[106:107]
	v_add_f64_e32 v[4:5], v[4:5], v[84:85]
	v_add_f64_e32 v[8:9], v[8:9], v[124:125]
	ds_load_b128 v[68:71], v2 offset:672
	ds_load_b128 v[84:87], v2 offset:688
	v_fmac_f64_e32 v[92:93], v[90:91], v[10:11]
	v_fma_f64 v[10:11], v[88:89], v[10:11], -v[12:13]
	s_wait_loadcnt_dscnt 0x701
	v_mul_f64_e32 v[98:99], v[68:69], v[122:123]
	v_mul_f64_e32 v[104:105], v[70:71], v[122:123]
	s_wait_loadcnt_dscnt 0x600
	v_mul_f64_e32 v[12:13], v[84:85], v[66:67]
	v_mul_f64_e32 v[88:89], v[86:87], v[66:67]
	v_add_f64_e32 v[4:5], v[4:5], v[96:97]
	v_add_f64_e32 v[8:9], v[8:9], v[94:95]
	v_fmac_f64_e32 v[98:99], v[70:71], v[120:121]
	v_fma_f64 v[70:71], v[68:69], v[120:121], -v[104:105]
	v_fmac_f64_e32 v[12:13], v[86:87], v[64:65]
	v_fma_f64 v[64:65], v[84:85], v[64:65], -v[88:89]
	v_add_f64_e32 v[4:5], v[4:5], v[10:11]
	v_add_f64_e32 v[90:91], v[8:9], v[92:93]
	ds_load_b128 v[8:11], v2 offset:704
	ds_load_b128 v[66:69], v2 offset:720
	s_wait_loadcnt_dscnt 0x501
	v_mul_f64_e32 v[92:93], v[8:9], v[110:111]
	v_mul_f64_e32 v[94:95], v[10:11], v[110:111]
	s_wait_loadcnt_dscnt 0x400
	v_mul_f64_e32 v[88:89], v[66:67], v[74:75]
	v_mul_f64_e32 v[74:75], v[68:69], v[74:75]
	v_add_f64_e32 v[4:5], v[4:5], v[70:71]
	v_add_f64_e32 v[70:71], v[90:91], v[98:99]
	v_fmac_f64_e32 v[92:93], v[10:11], v[108:109]
	v_fma_f64 v[90:91], v[8:9], v[108:109], -v[94:95]
	ds_load_b128 v[8:11], v2 offset:736
	ds_load_b128 v[84:87], v2 offset:752
	v_fmac_f64_e32 v[88:89], v[68:69], v[72:73]
	v_fma_f64 v[66:67], v[66:67], v[72:73], -v[74:75]
	v_add_f64_e32 v[4:5], v[4:5], v[64:65]
	v_add_f64_e32 v[12:13], v[70:71], v[12:13]
	s_wait_loadcnt_dscnt 0x301
	v_mul_f64_e32 v[64:65], v[8:9], v[118:119]
	v_mul_f64_e32 v[70:71], v[10:11], v[118:119]
	s_wait_loadcnt_dscnt 0x200
	v_mul_f64_e32 v[68:69], v[84:85], v[82:83]
	v_mul_f64_e32 v[72:73], v[86:87], v[82:83]
	v_add_f64_e32 v[4:5], v[4:5], v[90:91]
	v_add_f64_e32 v[12:13], v[12:13], v[92:93]
	v_fmac_f64_e32 v[64:65], v[10:11], v[116:117]
	v_fma_f64 v[70:71], v[8:9], v[116:117], -v[70:71]
	v_fmac_f64_e32 v[68:69], v[86:87], v[80:81]
	v_fma_f64 v[72:73], v[84:85], v[80:81], -v[72:73]
	v_add_f64_e32 v[66:67], v[4:5], v[66:67]
	v_add_f64_e32 v[12:13], v[12:13], v[88:89]
	ds_load_b128 v[8:11], v2 offset:768
	ds_load_b128 v[2:5], v2 offset:784
	s_wait_loadcnt_dscnt 0x101
	v_mul_f64_e32 v[74:75], v[8:9], v[102:103]
	v_mul_f64_e32 v[82:83], v[10:11], v[102:103]
	v_add_f64_e32 v[66:67], v[66:67], v[70:71]
	v_add_f64_e32 v[12:13], v[12:13], v[64:65]
	s_wait_loadcnt_dscnt 0x0
	v_mul_f64_e32 v[64:65], v[2:3], v[78:79]
	v_mul_f64_e32 v[70:71], v[4:5], v[78:79]
	v_fmac_f64_e32 v[74:75], v[10:11], v[100:101]
	v_fma_f64 v[8:9], v[8:9], v[100:101], -v[82:83]
	v_add_f64_e32 v[10:11], v[66:67], v[72:73]
	v_add_f64_e32 v[12:13], v[12:13], v[68:69]
	v_fmac_f64_e32 v[64:65], v[4:5], v[76:77]
	v_fma_f64 v[2:3], v[2:3], v[76:77], -v[70:71]
	s_delay_alu instid0(VALU_DEP_4) | instskip(NEXT) | instid1(VALU_DEP_4)
	v_add_f64_e32 v[4:5], v[10:11], v[8:9]
	v_add_f64_e32 v[8:9], v[12:13], v[74:75]
	s_delay_alu instid0(VALU_DEP_2) | instskip(NEXT) | instid1(VALU_DEP_2)
	v_add_f64_e32 v[2:3], v[4:5], v[2:3]
	v_add_f64_e32 v[4:5], v[8:9], v[64:65]
	s_delay_alu instid0(VALU_DEP_2) | instskip(NEXT) | instid1(VALU_DEP_2)
	v_add_f64_e64 v[2:3], v[112:113], -v[2:3]
	v_add_f64_e64 v[4:5], v[114:115], -v[4:5]
	scratch_store_b128 off, v[2:5], off offset:64
	s_wait_xcnt 0x0
	v_cmpx_lt_u32_e32 3, v1
	s_cbranch_execz .LBB24_157
; %bb.156:
	scratch_load_b128 v[2:5], off, s12
	v_mov_b32_e32 v8, 0
	s_delay_alu instid0(VALU_DEP_1)
	v_dual_mov_b32 v9, v8 :: v_dual_mov_b32 v10, v8
	v_mov_b32_e32 v11, v8
	scratch_store_b128 off, v[8:11], off offset:48
	s_wait_loadcnt 0x0
	ds_store_b128 v6, v[2:5]
.LBB24_157:
	s_wait_xcnt 0x0
	s_or_b32 exec_lo, exec_lo, s2
	s_wait_storecnt_dscnt 0x0
	s_barrier_signal -1
	s_barrier_wait -1
	s_clause 0x9
	scratch_load_b128 v[8:11], off, off offset:64
	scratch_load_b128 v[64:67], off, off offset:80
	scratch_load_b128 v[68:71], off, off offset:96
	scratch_load_b128 v[72:75], off, off offset:112
	scratch_load_b128 v[76:79], off, off offset:128
	scratch_load_b128 v[80:83], off, off offset:144
	scratch_load_b128 v[84:87], off, off offset:160
	scratch_load_b128 v[88:91], off, off offset:176
	scratch_load_b128 v[92:95], off, off offset:192
	scratch_load_b128 v[96:99], off, off offset:208
	v_mov_b32_e32 v2, 0
	s_mov_b32 s2, exec_lo
	ds_load_b128 v[100:103], v2 offset:464
	s_clause 0x2
	scratch_load_b128 v[104:107], off, off offset:224
	scratch_load_b128 v[108:111], off, off offset:48
	;; [unrolled: 1-line block ×3, first 2 shown]
	s_wait_loadcnt_dscnt 0xc00
	v_mul_f64_e32 v[4:5], v[102:103], v[10:11]
	v_mul_f64_e32 v[124:125], v[100:101], v[10:11]
	ds_load_b128 v[112:115], v2 offset:480
	scratch_load_b128 v[10:13], off, off offset:240
	ds_load_b128 v[120:123], v2 offset:512
	v_fma_f64 v[4:5], v[100:101], v[8:9], -v[4:5]
	v_fmac_f64_e32 v[124:125], v[102:103], v[8:9]
	ds_load_b128 v[100:103], v2 offset:496
	s_wait_loadcnt_dscnt 0xc02
	v_mul_f64_e32 v[126:127], v[112:113], v[66:67]
	v_mul_f64_e32 v[66:67], v[114:115], v[66:67]
	s_wait_loadcnt_dscnt 0xb00
	v_mul_f64_e32 v[8:9], v[100:101], v[70:71]
	v_mul_f64_e32 v[70:71], v[102:103], v[70:71]
	v_add_f64_e32 v[4:5], 0, v[4:5]
	v_fmac_f64_e32 v[126:127], v[114:115], v[64:65]
	v_fma_f64 v[112:113], v[112:113], v[64:65], -v[66:67]
	v_add_f64_e32 v[114:115], 0, v[124:125]
	scratch_load_b128 v[64:67], off, off offset:272
	v_fmac_f64_e32 v[8:9], v[102:103], v[68:69]
	v_fma_f64 v[128:129], v[100:101], v[68:69], -v[70:71]
	ds_load_b128 v[68:71], v2 offset:528
	s_wait_loadcnt 0xb
	v_mul_f64_e32 v[124:125], v[120:121], v[74:75]
	v_mul_f64_e32 v[74:75], v[122:123], v[74:75]
	scratch_load_b128 v[100:103], off, off offset:288
	v_add_f64_e32 v[4:5], v[4:5], v[112:113]
	v_add_f64_e32 v[126:127], v[114:115], v[126:127]
	ds_load_b128 v[112:115], v2 offset:544
	s_wait_loadcnt_dscnt 0xb01
	v_mul_f64_e32 v[130:131], v[68:69], v[78:79]
	v_mul_f64_e32 v[78:79], v[70:71], v[78:79]
	v_fmac_f64_e32 v[124:125], v[122:123], v[72:73]
	v_fma_f64 v[120:121], v[120:121], v[72:73], -v[74:75]
	scratch_load_b128 v[72:75], off, off offset:304
	v_add_f64_e32 v[4:5], v[4:5], v[128:129]
	v_add_f64_e32 v[8:9], v[126:127], v[8:9]
	v_fmac_f64_e32 v[130:131], v[70:71], v[76:77]
	v_fma_f64 v[128:129], v[68:69], v[76:77], -v[78:79]
	ds_load_b128 v[68:71], v2 offset:560
	s_wait_loadcnt_dscnt 0xb01
	v_mul_f64_e32 v[126:127], v[112:113], v[82:83]
	v_mul_f64_e32 v[82:83], v[114:115], v[82:83]
	scratch_load_b128 v[76:79], off, off offset:320
	v_add_f64_e32 v[4:5], v[4:5], v[120:121]
	v_add_f64_e32 v[8:9], v[8:9], v[124:125]
	s_wait_loadcnt_dscnt 0xb00
	v_mul_f64_e32 v[124:125], v[68:69], v[86:87]
	v_mul_f64_e32 v[86:87], v[70:71], v[86:87]
	ds_load_b128 v[120:123], v2 offset:576
	v_fmac_f64_e32 v[126:127], v[114:115], v[80:81]
	v_fma_f64 v[112:113], v[112:113], v[80:81], -v[82:83]
	scratch_load_b128 v[80:83], off, off offset:336
	v_add_f64_e32 v[4:5], v[4:5], v[128:129]
	v_add_f64_e32 v[8:9], v[8:9], v[130:131]
	v_fmac_f64_e32 v[124:125], v[70:71], v[84:85]
	v_fma_f64 v[130:131], v[68:69], v[84:85], -v[86:87]
	ds_load_b128 v[68:71], v2 offset:592
	s_wait_loadcnt_dscnt 0xb01
	v_mul_f64_e32 v[128:129], v[120:121], v[90:91]
	v_mul_f64_e32 v[90:91], v[122:123], v[90:91]
	scratch_load_b128 v[84:87], off, off offset:352
	v_add_f64_e32 v[4:5], v[4:5], v[112:113]
	v_add_f64_e32 v[8:9], v[8:9], v[126:127]
	s_wait_loadcnt_dscnt 0xb00
	v_mul_f64_e32 v[126:127], v[68:69], v[94:95]
	v_mul_f64_e32 v[94:95], v[70:71], v[94:95]
	ds_load_b128 v[112:115], v2 offset:608
	;; [unrolled: 18-line block ×3, first 2 shown]
	v_fmac_f64_e32 v[124:125], v[114:115], v[96:97]
	v_fma_f64 v[96:97], v[112:113], v[96:97], -v[98:99]
	s_wait_loadcnt_dscnt 0x800
	v_mul_f64_e32 v[112:113], v[120:121], v[12:13]
	v_add_f64_e32 v[4:5], v[4:5], v[130:131]
	v_add_f64_e32 v[8:9], v[8:9], v[126:127]
	v_mul_f64_e32 v[12:13], v[122:123], v[12:13]
	v_fmac_f64_e32 v[128:129], v[70:71], v[104:105]
	v_fma_f64 v[104:105], v[68:69], v[104:105], -v[106:107]
	v_fmac_f64_e32 v[112:113], v[122:123], v[10:11]
	v_add_f64_e32 v[4:5], v[4:5], v[96:97]
	v_add_f64_e32 v[8:9], v[8:9], v[124:125]
	ds_load_b128 v[68:71], v2 offset:656
	ds_load_b128 v[96:99], v2 offset:672
	v_fma_f64 v[10:11], v[120:121], v[10:11], -v[12:13]
	s_wait_dscnt 0x1
	v_mul_f64_e32 v[106:107], v[68:69], v[118:119]
	v_mul_f64_e32 v[114:115], v[70:71], v[118:119]
	v_add_f64_e32 v[4:5], v[4:5], v[104:105]
	v_add_f64_e32 v[8:9], v[8:9], v[128:129]
	s_wait_loadcnt_dscnt 0x700
	v_mul_f64_e32 v[12:13], v[96:97], v[66:67]
	v_mul_f64_e32 v[104:105], v[98:99], v[66:67]
	v_fmac_f64_e32 v[106:107], v[70:71], v[116:117]
	v_fma_f64 v[70:71], v[68:69], v[116:117], -v[114:115]
	v_add_f64_e32 v[4:5], v[4:5], v[10:11]
	v_add_f64_e32 v[112:113], v[8:9], v[112:113]
	ds_load_b128 v[8:11], v2 offset:688
	ds_load_b128 v[66:69], v2 offset:704
	v_fmac_f64_e32 v[12:13], v[98:99], v[64:65]
	v_fma_f64 v[64:65], v[96:97], v[64:65], -v[104:105]
	s_wait_loadcnt_dscnt 0x601
	v_mul_f64_e32 v[114:115], v[8:9], v[102:103]
	v_mul_f64_e32 v[102:103], v[10:11], v[102:103]
	s_wait_loadcnt_dscnt 0x500
	v_mul_f64_e32 v[104:105], v[66:67], v[74:75]
	v_mul_f64_e32 v[74:75], v[68:69], v[74:75]
	v_add_f64_e32 v[4:5], v[4:5], v[70:71]
	v_add_f64_e32 v[70:71], v[112:113], v[106:107]
	v_fmac_f64_e32 v[114:115], v[10:11], v[100:101]
	v_fma_f64 v[100:101], v[8:9], v[100:101], -v[102:103]
	ds_load_b128 v[8:11], v2 offset:720
	ds_load_b128 v[96:99], v2 offset:736
	v_fmac_f64_e32 v[104:105], v[68:69], v[72:73]
	v_fma_f64 v[66:67], v[66:67], v[72:73], -v[74:75]
	v_add_f64_e32 v[4:5], v[4:5], v[64:65]
	v_add_f64_e32 v[12:13], v[70:71], v[12:13]
	s_wait_loadcnt_dscnt 0x401
	v_mul_f64_e32 v[70:71], v[8:9], v[78:79]
	v_mul_f64_e32 v[64:65], v[10:11], v[78:79]
	s_wait_loadcnt_dscnt 0x300
	v_mul_f64_e32 v[68:69], v[96:97], v[82:83]
	v_mul_f64_e32 v[72:73], v[98:99], v[82:83]
	v_add_f64_e32 v[4:5], v[4:5], v[100:101]
	v_add_f64_e32 v[12:13], v[12:13], v[114:115]
	v_fmac_f64_e32 v[70:71], v[10:11], v[76:77]
	v_fma_f64 v[74:75], v[8:9], v[76:77], -v[64:65]
	v_fmac_f64_e32 v[68:69], v[98:99], v[80:81]
	v_fma_f64 v[72:73], v[96:97], v[80:81], -v[72:73]
	v_add_f64_e32 v[4:5], v[4:5], v[66:67]
	v_add_f64_e32 v[12:13], v[12:13], v[104:105]
	ds_load_b128 v[8:11], v2 offset:752
	ds_load_b128 v[64:67], v2 offset:768
	s_wait_loadcnt_dscnt 0x201
	v_mul_f64_e32 v[76:77], v[8:9], v[86:87]
	v_mul_f64_e32 v[78:79], v[10:11], v[86:87]
	v_add_f64_e32 v[4:5], v[4:5], v[74:75]
	v_add_f64_e32 v[12:13], v[12:13], v[70:71]
	s_wait_loadcnt_dscnt 0x100
	v_mul_f64_e32 v[70:71], v[64:65], v[90:91]
	v_mul_f64_e32 v[74:75], v[66:67], v[90:91]
	v_fmac_f64_e32 v[76:77], v[10:11], v[84:85]
	v_fma_f64 v[78:79], v[8:9], v[84:85], -v[78:79]
	ds_load_b128 v[8:11], v2 offset:784
	v_add_f64_e32 v[4:5], v[4:5], v[72:73]
	v_add_f64_e32 v[12:13], v[12:13], v[68:69]
	v_fmac_f64_e32 v[70:71], v[66:67], v[88:89]
	v_fma_f64 v[64:65], v[64:65], v[88:89], -v[74:75]
	s_wait_loadcnt_dscnt 0x0
	v_mul_f64_e32 v[68:69], v[8:9], v[94:95]
	v_mul_f64_e32 v[72:73], v[10:11], v[94:95]
	v_add_f64_e32 v[4:5], v[4:5], v[78:79]
	v_add_f64_e32 v[12:13], v[12:13], v[76:77]
	s_delay_alu instid0(VALU_DEP_4) | instskip(NEXT) | instid1(VALU_DEP_4)
	v_fmac_f64_e32 v[68:69], v[10:11], v[92:93]
	v_fma_f64 v[8:9], v[8:9], v[92:93], -v[72:73]
	s_delay_alu instid0(VALU_DEP_4) | instskip(NEXT) | instid1(VALU_DEP_4)
	v_add_f64_e32 v[4:5], v[4:5], v[64:65]
	v_add_f64_e32 v[10:11], v[12:13], v[70:71]
	s_delay_alu instid0(VALU_DEP_2) | instskip(NEXT) | instid1(VALU_DEP_2)
	v_add_f64_e32 v[4:5], v[4:5], v[8:9]
	v_add_f64_e32 v[10:11], v[10:11], v[68:69]
	s_delay_alu instid0(VALU_DEP_2) | instskip(NEXT) | instid1(VALU_DEP_2)
	v_add_f64_e64 v[8:9], v[108:109], -v[4:5]
	v_add_f64_e64 v[10:11], v[110:111], -v[10:11]
	scratch_store_b128 off, v[8:11], off offset:48
	s_wait_xcnt 0x0
	v_cmpx_lt_u32_e32 2, v1
	s_cbranch_execz .LBB24_159
; %bb.158:
	scratch_load_b128 v[8:11], off, s9
	v_dual_mov_b32 v3, v2 :: v_dual_mov_b32 v4, v2
	v_mov_b32_e32 v5, v2
	scratch_store_b128 off, v[2:5], off offset:32
	s_wait_loadcnt 0x0
	ds_store_b128 v6, v[8:11]
.LBB24_159:
	s_wait_xcnt 0x0
	s_or_b32 exec_lo, exec_lo, s2
	s_wait_storecnt_dscnt 0x0
	s_barrier_signal -1
	s_barrier_wait -1
	s_clause 0x9
	scratch_load_b128 v[8:11], off, off offset:48
	scratch_load_b128 v[64:67], off, off offset:64
	;; [unrolled: 1-line block ×10, first 2 shown]
	ds_load_b128 v[100:103], v2 offset:448
	ds_load_b128 v[108:111], v2 offset:464
	s_clause 0x1
	scratch_load_b128 v[104:107], off, off offset:208
	scratch_load_b128 v[112:115], off, off offset:32
	s_mov_b32 s2, exec_lo
	v_ashrrev_i32_e32 v21, 31, v20
	v_ashrrev_i32_e32 v25, 31, v24
	;; [unrolled: 1-line block ×3, first 2 shown]
	v_dual_ashrrev_i32 v33, 31, v32 :: v_dual_ashrrev_i32 v19, 31, v18
	v_dual_ashrrev_i32 v23, 31, v22 :: v_dual_ashrrev_i32 v37, 31, v36
	;; [unrolled: 1-line block ×8, first 2 shown]
	v_ashrrev_i32_e32 v51, 31, v50
	v_ashrrev_i32_e32 v55, 31, v54
	;; [unrolled: 1-line block ×4, first 2 shown]
	s_wait_loadcnt_dscnt 0xb01
	v_mul_f64_e32 v[4:5], v[102:103], v[10:11]
	v_mul_f64_e32 v[120:121], v[100:101], v[10:11]
	scratch_load_b128 v[10:13], off, off offset:224
	s_wait_loadcnt_dscnt 0xb00
	v_mul_f64_e32 v[122:123], v[108:109], v[66:67]
	v_mul_f64_e32 v[66:67], v[110:111], v[66:67]
	v_fma_f64 v[4:5], v[100:101], v[8:9], -v[4:5]
	v_fmac_f64_e32 v[120:121], v[102:103], v[8:9]
	ds_load_b128 v[100:103], v2 offset:480
	ds_load_b128 v[116:119], v2 offset:496
	v_fmac_f64_e32 v[122:123], v[110:111], v[64:65]
	v_fma_f64 v[108:109], v[108:109], v[64:65], -v[66:67]
	scratch_load_b128 v[64:67], off, off offset:240
	s_wait_loadcnt_dscnt 0xb01
	v_mul_f64_e32 v[8:9], v[100:101], v[70:71]
	v_mul_f64_e32 v[70:71], v[102:103], v[70:71]
	v_add_f64_e32 v[4:5], 0, v[4:5]
	v_add_f64_e32 v[110:111], 0, v[120:121]
	s_wait_loadcnt_dscnt 0xa00
	v_mul_f64_e32 v[120:121], v[116:117], v[74:75]
	v_mul_f64_e32 v[74:75], v[118:119], v[74:75]
	v_fmac_f64_e32 v[8:9], v[102:103], v[68:69]
	v_fma_f64 v[124:125], v[100:101], v[68:69], -v[70:71]
	scratch_load_b128 v[68:71], off, off offset:256
	v_add_f64_e32 v[4:5], v[4:5], v[108:109]
	v_add_f64_e32 v[122:123], v[110:111], v[122:123]
	ds_load_b128 v[100:103], v2 offset:512
	ds_load_b128 v[108:111], v2 offset:528
	v_fmac_f64_e32 v[120:121], v[118:119], v[72:73]
	v_fma_f64 v[116:117], v[116:117], v[72:73], -v[74:75]
	scratch_load_b128 v[72:75], off, off offset:272
	s_wait_loadcnt_dscnt 0xb01
	v_mul_f64_e32 v[126:127], v[100:101], v[78:79]
	v_mul_f64_e32 v[78:79], v[102:103], v[78:79]
	v_add_f64_e32 v[4:5], v[4:5], v[124:125]
	v_add_f64_e32 v[8:9], v[122:123], v[8:9]
	s_wait_loadcnt_dscnt 0xa00
	v_mul_f64_e32 v[122:123], v[108:109], v[82:83]
	v_mul_f64_e32 v[82:83], v[110:111], v[82:83]
	v_fmac_f64_e32 v[126:127], v[102:103], v[76:77]
	v_fma_f64 v[124:125], v[100:101], v[76:77], -v[78:79]
	scratch_load_b128 v[76:79], off, off offset:288
	v_add_f64_e32 v[4:5], v[4:5], v[116:117]
	v_add_f64_e32 v[8:9], v[8:9], v[120:121]
	ds_load_b128 v[100:103], v2 offset:544
	ds_load_b128 v[116:119], v2 offset:560
	v_fmac_f64_e32 v[122:123], v[110:111], v[80:81]
	v_fma_f64 v[108:109], v[108:109], v[80:81], -v[82:83]
	scratch_load_b128 v[80:83], off, off offset:304
	s_wait_loadcnt_dscnt 0xb01
	v_mul_f64_e32 v[120:121], v[100:101], v[86:87]
	v_mul_f64_e32 v[86:87], v[102:103], v[86:87]
	v_add_f64_e32 v[4:5], v[4:5], v[124:125]
	v_add_f64_e32 v[8:9], v[8:9], v[126:127]
	s_wait_loadcnt_dscnt 0xa00
	v_mul_f64_e32 v[124:125], v[116:117], v[90:91]
	v_mul_f64_e32 v[90:91], v[118:119], v[90:91]
	v_fmac_f64_e32 v[120:121], v[102:103], v[84:85]
	v_fma_f64 v[126:127], v[100:101], v[84:85], -v[86:87]
	scratch_load_b128 v[84:87], off, off offset:320
	v_add_f64_e32 v[4:5], v[4:5], v[108:109]
	v_add_f64_e32 v[8:9], v[8:9], v[122:123]
	ds_load_b128 v[100:103], v2 offset:576
	ds_load_b128 v[108:111], v2 offset:592
	v_fmac_f64_e32 v[124:125], v[118:119], v[88:89]
	v_fma_f64 v[116:117], v[116:117], v[88:89], -v[90:91]
	scratch_load_b128 v[88:91], off, off offset:336
	s_wait_loadcnt_dscnt 0xb01
	v_mul_f64_e32 v[122:123], v[100:101], v[94:95]
	v_mul_f64_e32 v[94:95], v[102:103], v[94:95]
	v_add_f64_e32 v[4:5], v[4:5], v[126:127]
	v_add_f64_e32 v[8:9], v[8:9], v[120:121]
	s_wait_loadcnt_dscnt 0xa00
	v_mul_f64_e32 v[126:127], v[108:109], v[98:99]
	v_mul_f64_e32 v[120:121], v[110:111], v[98:99]
	v_fmac_f64_e32 v[122:123], v[102:103], v[92:93]
	v_fma_f64 v[102:103], v[100:101], v[92:93], -v[94:95]
	scratch_load_b128 v[92:95], off, off offset:352
	v_add_f64_e32 v[4:5], v[4:5], v[116:117]
	v_add_f64_e32 v[8:9], v[8:9], v[124:125]
	ds_load_b128 v[98:101], v2 offset:608
	ds_load_b128 v[116:119], v2 offset:624
	v_fmac_f64_e32 v[126:127], v[110:111], v[96:97]
	v_fma_f64 v[96:97], v[108:109], v[96:97], -v[120:121]
	s_wait_loadcnt_dscnt 0xa01
	v_mul_f64_e32 v[110:111], v[98:99], v[106:107]
	v_mul_f64_e32 v[124:125], v[100:101], v[106:107]
	scratch_load_b128 v[106:109], off, off offset:368
	v_add_f64_e32 v[4:5], v[4:5], v[102:103]
	v_add_f64_e32 v[8:9], v[8:9], v[122:123]
	scratch_load_b128 v[120:123], off, off offset:384
	v_fmac_f64_e32 v[110:111], v[100:101], v[104:105]
	v_fma_f64 v[104:105], v[98:99], v[104:105], -v[124:125]
	s_wait_loadcnt_dscnt 0xa00
	v_mul_f64_e32 v[124:125], v[116:117], v[12:13]
	v_mul_f64_e32 v[12:13], v[118:119], v[12:13]
	v_add_f64_e32 v[4:5], v[4:5], v[96:97]
	v_add_f64_e32 v[8:9], v[8:9], v[126:127]
	ds_load_b128 v[96:99], v2 offset:640
	ds_load_b128 v[100:103], v2 offset:656
	v_fmac_f64_e32 v[124:125], v[118:119], v[10:11]
	v_fma_f64 v[10:11], v[116:117], v[10:11], -v[12:13]
	s_wait_loadcnt_dscnt 0x901
	v_mul_f64_e32 v[12:13], v[96:97], v[66:67]
	v_mul_f64_e32 v[66:67], v[98:99], v[66:67]
	v_add_f64_e32 v[4:5], v[4:5], v[104:105]
	v_add_f64_e32 v[8:9], v[8:9], v[110:111]
	s_wait_loadcnt_dscnt 0x800
	v_mul_f64_e32 v[104:105], v[100:101], v[70:71]
	v_mul_f64_e32 v[70:71], v[102:103], v[70:71]
	v_fmac_f64_e32 v[12:13], v[98:99], v[64:65]
	v_fma_f64 v[96:97], v[96:97], v[64:65], -v[66:67]
	v_add_f64_e32 v[4:5], v[4:5], v[10:11]
	v_add_f64_e32 v[98:99], v[8:9], v[124:125]
	ds_load_b128 v[8:11], v2 offset:672
	ds_load_b128 v[64:67], v2 offset:688
	s_wait_loadcnt_dscnt 0x701
	v_mul_f64_e32 v[110:111], v[8:9], v[74:75]
	v_mul_f64_e32 v[74:75], v[10:11], v[74:75]
	v_fmac_f64_e32 v[104:105], v[102:103], v[68:69]
	v_fma_f64 v[68:69], v[100:101], v[68:69], -v[70:71]
	v_add_f64_e32 v[4:5], v[4:5], v[96:97]
	v_add_f64_e32 v[12:13], v[98:99], v[12:13]
	v_fmac_f64_e32 v[110:111], v[10:11], v[72:73]
	v_fma_f64 v[72:73], v[8:9], v[72:73], -v[74:75]
	s_wait_loadcnt_dscnt 0x600
	v_mul_f64_e32 v[96:97], v[64:65], v[78:79]
	v_mul_f64_e32 v[78:79], v[66:67], v[78:79]
	v_add_f64_e32 v[4:5], v[4:5], v[68:69]
	v_add_f64_e32 v[12:13], v[12:13], v[104:105]
	ds_load_b128 v[8:11], v2 offset:704
	ds_load_b128 v[68:71], v2 offset:720
	s_wait_loadcnt_dscnt 0x501
	v_mul_f64_e32 v[74:75], v[8:9], v[82:83]
	v_mul_f64_e32 v[82:83], v[10:11], v[82:83]
	v_fmac_f64_e32 v[96:97], v[66:67], v[76:77]
	v_fma_f64 v[64:65], v[64:65], v[76:77], -v[78:79]
	v_add_f64_e32 v[4:5], v[4:5], v[72:73]
	v_add_f64_e32 v[12:13], v[12:13], v[110:111]
	v_fmac_f64_e32 v[74:75], v[10:11], v[80:81]
	v_fma_f64 v[78:79], v[8:9], v[80:81], -v[82:83]
	s_wait_loadcnt_dscnt 0x400
	v_mul_f64_e32 v[72:73], v[68:69], v[86:87]
	v_mul_f64_e32 v[76:77], v[70:71], v[86:87]
	;; [unrolled: 16-line block ×3, first 2 shown]
	v_add_f64_e32 v[68:69], v[4:5], v[68:69]
	v_add_f64_e32 v[12:13], v[12:13], v[72:73]
	ds_load_b128 v[8:11], v2 offset:768
	ds_load_b128 v[2:5], v2 offset:784
	s_wait_loadcnt_dscnt 0x101
	v_mul_f64_e32 v[72:73], v[8:9], v[108:109]
	v_mul_f64_e32 v[78:79], v[10:11], v[108:109]
	v_fmac_f64_e32 v[70:71], v[66:67], v[92:93]
	v_fma_f64 v[64:65], v[64:65], v[92:93], -v[74:75]
	v_add_f64_e32 v[66:67], v[68:69], v[76:77]
	v_add_f64_e32 v[12:13], v[12:13], v[80:81]
	s_wait_loadcnt_dscnt 0x0
	v_mul_f64_e32 v[68:69], v[2:3], v[122:123]
	v_mul_f64_e32 v[74:75], v[4:5], v[122:123]
	v_fmac_f64_e32 v[72:73], v[10:11], v[106:107]
	v_fma_f64 v[8:9], v[8:9], v[106:107], -v[78:79]
	v_add_f64_e32 v[10:11], v[66:67], v[64:65]
	v_add_f64_e32 v[12:13], v[12:13], v[70:71]
	v_fmac_f64_e32 v[68:69], v[4:5], v[120:121]
	v_fma_f64 v[2:3], v[2:3], v[120:121], -v[74:75]
	s_delay_alu instid0(VALU_DEP_4) | instskip(NEXT) | instid1(VALU_DEP_4)
	v_add_f64_e32 v[4:5], v[10:11], v[8:9]
	v_add_f64_e32 v[8:9], v[12:13], v[72:73]
	s_delay_alu instid0(VALU_DEP_2) | instskip(NEXT) | instid1(VALU_DEP_2)
	v_add_f64_e32 v[2:3], v[4:5], v[2:3]
	v_add_f64_e32 v[4:5], v[8:9], v[68:69]
	s_delay_alu instid0(VALU_DEP_2) | instskip(NEXT) | instid1(VALU_DEP_2)
	v_add_f64_e64 v[2:3], v[112:113], -v[2:3]
	v_add_f64_e64 v[4:5], v[114:115], -v[4:5]
	scratch_store_b128 off, v[2:5], off offset:32
	s_wait_xcnt 0x0
	v_cmpx_lt_u32_e32 1, v1
	s_cbranch_execz .LBB24_161
; %bb.160:
	scratch_load_b128 v[2:5], off, s20
	v_mov_b32_e32 v8, 0
	s_delay_alu instid0(VALU_DEP_1)
	v_dual_mov_b32 v9, v8 :: v_dual_mov_b32 v10, v8
	v_mov_b32_e32 v11, v8
	scratch_store_b128 off, v[8:11], off offset:16
	s_wait_loadcnt 0x0
	ds_store_b128 v6, v[2:5]
.LBB24_161:
	s_wait_xcnt 0x0
	s_or_b32 exec_lo, exec_lo, s2
	s_wait_storecnt_dscnt 0x0
	s_barrier_signal -1
	s_barrier_wait -1
	s_clause 0x9
	scratch_load_b128 v[8:11], off, off offset:32
	scratch_load_b128 v[64:67], off, off offset:48
	;; [unrolled: 1-line block ×10, first 2 shown]
	v_mov_b32_e32 v2, 0
	s_clause 0x2
	scratch_load_b128 v[104:107], off, off offset:192
	scratch_load_b128 v[108:111], off, off offset:208
	;; [unrolled: 1-line block ×3, first 2 shown]
	s_mov_b32 s2, exec_lo
	ds_load_b128 v[100:103], v2 offset:432
	s_wait_loadcnt_dscnt 0xc00
	v_mul_f64_e32 v[4:5], v[102:103], v[10:11]
	v_mul_f64_e32 v[116:117], v[100:101], v[10:11]
	ds_load_b128 v[10:13], v2 offset:448
	v_fma_f64 v[4:5], v[100:101], v[8:9], -v[4:5]
	v_fmac_f64_e32 v[116:117], v[102:103], v[8:9]
	ds_load_b128 v[100:103], v2 offset:464
	s_wait_loadcnt_dscnt 0xb01
	v_mul_f64_e32 v[118:119], v[10:11], v[66:67]
	v_mul_f64_e32 v[66:67], v[12:13], v[66:67]
	s_wait_loadcnt_dscnt 0xa00
	v_mul_f64_e32 v[120:121], v[100:101], v[70:71]
	v_mul_f64_e32 v[70:71], v[102:103], v[70:71]
	v_add_f64_e32 v[4:5], 0, v[4:5]
	v_add_f64_e32 v[116:117], 0, v[116:117]
	v_fmac_f64_e32 v[118:119], v[12:13], v[64:65]
	v_fma_f64 v[12:13], v[10:11], v[64:65], -v[66:67]
	scratch_load_b128 v[64:67], off, off offset:240
	ds_load_b128 v[8:11], v2 offset:480
	v_fmac_f64_e32 v[120:121], v[102:103], v[68:69]
	v_fma_f64 v[124:125], v[100:101], v[68:69], -v[70:71]
	ds_load_b128 v[68:71], v2 offset:496
	scratch_load_b128 v[100:103], off, off offset:256
	s_wait_loadcnt_dscnt 0xb01
	v_mul_f64_e32 v[122:123], v[8:9], v[74:75]
	v_mul_f64_e32 v[74:75], v[10:11], v[74:75]
	v_add_f64_e32 v[4:5], v[4:5], v[12:13]
	v_add_f64_e32 v[12:13], v[116:117], v[118:119]
	s_wait_loadcnt_dscnt 0xa00
	v_mul_f64_e32 v[116:117], v[68:69], v[78:79]
	v_mul_f64_e32 v[78:79], v[70:71], v[78:79]
	v_fmac_f64_e32 v[122:123], v[10:11], v[72:73]
	v_fma_f64 v[118:119], v[8:9], v[72:73], -v[74:75]
	ds_load_b128 v[8:11], v2 offset:512
	scratch_load_b128 v[72:75], off, off offset:272
	v_add_f64_e32 v[4:5], v[4:5], v[124:125]
	v_add_f64_e32 v[12:13], v[12:13], v[120:121]
	v_fmac_f64_e32 v[116:117], v[70:71], v[76:77]
	v_fma_f64 v[124:125], v[68:69], v[76:77], -v[78:79]
	ds_load_b128 v[68:71], v2 offset:528
	scratch_load_b128 v[76:79], off, off offset:288
	s_wait_loadcnt_dscnt 0xb01
	v_mul_f64_e32 v[120:121], v[8:9], v[82:83]
	v_mul_f64_e32 v[82:83], v[10:11], v[82:83]
	v_add_f64_e32 v[4:5], v[4:5], v[118:119]
	v_add_f64_e32 v[12:13], v[12:13], v[122:123]
	s_wait_loadcnt_dscnt 0xa00
	v_mul_f64_e32 v[118:119], v[68:69], v[86:87]
	v_mul_f64_e32 v[86:87], v[70:71], v[86:87]
	v_fmac_f64_e32 v[120:121], v[10:11], v[80:81]
	v_fma_f64 v[122:123], v[8:9], v[80:81], -v[82:83]
	ds_load_b128 v[8:11], v2 offset:544
	scratch_load_b128 v[80:83], off, off offset:304
	v_add_f64_e32 v[4:5], v[4:5], v[124:125]
	v_add_f64_e32 v[12:13], v[12:13], v[116:117]
	v_fmac_f64_e32 v[118:119], v[70:71], v[84:85]
	v_fma_f64 v[124:125], v[68:69], v[84:85], -v[86:87]
	ds_load_b128 v[68:71], v2 offset:560
	s_wait_loadcnt_dscnt 0xa01
	v_mul_f64_e32 v[116:117], v[8:9], v[90:91]
	v_mul_f64_e32 v[90:91], v[10:11], v[90:91]
	scratch_load_b128 v[84:87], off, off offset:320
	v_add_f64_e32 v[4:5], v[4:5], v[122:123]
	v_add_f64_e32 v[12:13], v[12:13], v[120:121]
	s_wait_loadcnt_dscnt 0xa00
	v_mul_f64_e32 v[120:121], v[68:69], v[94:95]
	v_mul_f64_e32 v[94:95], v[70:71], v[94:95]
	v_fmac_f64_e32 v[116:117], v[10:11], v[88:89]
	v_fma_f64 v[122:123], v[8:9], v[88:89], -v[90:91]
	ds_load_b128 v[8:11], v2 offset:576
	scratch_load_b128 v[88:91], off, off offset:336
	v_add_f64_e32 v[4:5], v[4:5], v[124:125]
	v_add_f64_e32 v[12:13], v[12:13], v[118:119]
	v_fmac_f64_e32 v[120:121], v[70:71], v[92:93]
	v_fma_f64 v[124:125], v[68:69], v[92:93], -v[94:95]
	ds_load_b128 v[68:71], v2 offset:592
	s_wait_loadcnt_dscnt 0xa01
	v_mul_f64_e32 v[118:119], v[8:9], v[98:99]
	v_mul_f64_e32 v[98:99], v[10:11], v[98:99]
	scratch_load_b128 v[92:95], off, off offset:352
	;; [unrolled: 18-line block ×3, first 2 shown]
	v_add_f64_e32 v[4:5], v[4:5], v[122:123]
	v_add_f64_e32 v[12:13], v[12:13], v[118:119]
	v_fmac_f64_e32 v[120:121], v[10:11], v[108:109]
	v_fma_f64 v[108:109], v[8:9], v[108:109], -v[110:111]
	ds_load_b128 v[8:11], v2 offset:640
	v_add_f64_e32 v[4:5], v[4:5], v[124:125]
	v_add_f64_e32 v[12:13], v[12:13], v[116:117]
	s_wait_loadcnt_dscnt 0x900
	v_mul_f64_e32 v[116:117], v[8:9], v[66:67]
	v_mul_f64_e32 v[110:111], v[10:11], v[66:67]
	s_delay_alu instid0(VALU_DEP_4) | instskip(NEXT) | instid1(VALU_DEP_4)
	v_add_f64_e32 v[4:5], v[4:5], v[108:109]
	v_add_f64_e32 v[12:13], v[12:13], v[120:121]
	s_delay_alu instid0(VALU_DEP_4) | instskip(NEXT) | instid1(VALU_DEP_4)
	v_fmac_f64_e32 v[116:117], v[10:11], v[64:65]
	v_fma_f64 v[64:65], v[8:9], v[64:65], -v[110:111]
	scratch_load_b128 v[108:111], off, off offset:16
	v_mul_f64_e32 v[118:119], v[68:69], v[114:115]
	v_mul_f64_e32 v[114:115], v[70:71], v[114:115]
	ds_load_b128 v[8:11], v2 offset:672
	v_fmac_f64_e32 v[118:119], v[70:71], v[112:113]
	v_fma_f64 v[70:71], v[68:69], v[112:113], -v[114:115]
	ds_load_b128 v[66:69], v2 offset:656
	s_wait_loadcnt_dscnt 0x900
	v_mul_f64_e32 v[112:113], v[66:67], v[102:103]
	v_mul_f64_e32 v[102:103], v[68:69], v[102:103]
	v_add_f64_e32 v[12:13], v[12:13], v[118:119]
	v_add_f64_e32 v[4:5], v[4:5], v[70:71]
	s_wait_loadcnt 0x8
	v_mul_f64_e32 v[70:71], v[8:9], v[74:75]
	v_mul_f64_e32 v[74:75], v[10:11], v[74:75]
	v_fmac_f64_e32 v[112:113], v[68:69], v[100:101]
	v_fma_f64 v[68:69], v[66:67], v[100:101], -v[102:103]
	v_add_f64_e32 v[12:13], v[12:13], v[116:117]
	v_add_f64_e32 v[4:5], v[4:5], v[64:65]
	ds_load_b128 v[64:67], v2 offset:688
	v_fmac_f64_e32 v[70:71], v[10:11], v[72:73]
	v_fma_f64 v[72:73], v[8:9], v[72:73], -v[74:75]
	ds_load_b128 v[8:11], v2 offset:704
	s_wait_loadcnt_dscnt 0x701
	v_mul_f64_e32 v[100:101], v[64:65], v[78:79]
	v_mul_f64_e32 v[78:79], v[66:67], v[78:79]
	s_wait_loadcnt_dscnt 0x600
	v_mul_f64_e32 v[74:75], v[10:11], v[82:83]
	v_add_f64_e32 v[12:13], v[12:13], v[112:113]
	v_add_f64_e32 v[4:5], v[4:5], v[68:69]
	v_mul_f64_e32 v[68:69], v[8:9], v[82:83]
	v_fmac_f64_e32 v[100:101], v[66:67], v[76:77]
	v_fma_f64 v[76:77], v[64:65], v[76:77], -v[78:79]
	ds_load_b128 v[64:67], v2 offset:720
	v_fma_f64 v[74:75], v[8:9], v[80:81], -v[74:75]
	v_add_f64_e32 v[12:13], v[12:13], v[70:71]
	v_add_f64_e32 v[4:5], v[4:5], v[72:73]
	v_fmac_f64_e32 v[68:69], v[10:11], v[80:81]
	ds_load_b128 v[8:11], v2 offset:736
	s_wait_loadcnt_dscnt 0x501
	v_mul_f64_e32 v[70:71], v[64:65], v[86:87]
	v_mul_f64_e32 v[72:73], v[66:67], v[86:87]
	s_wait_loadcnt_dscnt 0x400
	v_mul_f64_e32 v[78:79], v[10:11], v[90:91]
	v_add_f64_e32 v[12:13], v[12:13], v[100:101]
	v_add_f64_e32 v[4:5], v[4:5], v[76:77]
	v_mul_f64_e32 v[76:77], v[8:9], v[90:91]
	v_fmac_f64_e32 v[70:71], v[66:67], v[84:85]
	v_fma_f64 v[72:73], v[64:65], v[84:85], -v[72:73]
	ds_load_b128 v[64:67], v2 offset:752
	v_fma_f64 v[78:79], v[8:9], v[88:89], -v[78:79]
	v_add_f64_e32 v[12:13], v[12:13], v[68:69]
	v_add_f64_e32 v[4:5], v[4:5], v[74:75]
	v_fmac_f64_e32 v[76:77], v[10:11], v[88:89]
	ds_load_b128 v[8:11], v2 offset:768
	s_wait_loadcnt_dscnt 0x301
	v_mul_f64_e32 v[68:69], v[64:65], v[94:95]
	v_mul_f64_e32 v[74:75], v[66:67], v[94:95]
	v_add_f64_e32 v[12:13], v[12:13], v[70:71]
	v_add_f64_e32 v[4:5], v[4:5], v[72:73]
	s_wait_loadcnt_dscnt 0x200
	v_mul_f64_e32 v[70:71], v[8:9], v[98:99]
	v_mul_f64_e32 v[72:73], v[10:11], v[98:99]
	v_fmac_f64_e32 v[68:69], v[66:67], v[92:93]
	v_fma_f64 v[74:75], v[64:65], v[92:93], -v[74:75]
	ds_load_b128 v[64:67], v2 offset:784
	v_add_f64_e32 v[12:13], v[12:13], v[76:77]
	v_add_f64_e32 v[4:5], v[4:5], v[78:79]
	s_wait_loadcnt_dscnt 0x100
	v_mul_f64_e32 v[76:77], v[64:65], v[106:107]
	v_mul_f64_e32 v[78:79], v[66:67], v[106:107]
	v_fmac_f64_e32 v[70:71], v[10:11], v[96:97]
	v_fma_f64 v[8:9], v[8:9], v[96:97], -v[72:73]
	v_add_f64_e32 v[10:11], v[12:13], v[68:69]
	v_add_f64_e32 v[4:5], v[4:5], v[74:75]
	v_fmac_f64_e32 v[76:77], v[66:67], v[104:105]
	v_fma_f64 v[12:13], v[64:65], v[104:105], -v[78:79]
	s_delay_alu instid0(VALU_DEP_3) | instskip(SKIP_1) | instid1(VALU_DEP_2)
	v_add_f64_e32 v[4:5], v[4:5], v[8:9]
	v_add_f64_e32 v[8:9], v[10:11], v[70:71]
	;; [unrolled: 1-line block ×3, first 2 shown]
	s_delay_alu instid0(VALU_DEP_2) | instskip(SKIP_1) | instid1(VALU_DEP_2)
	v_add_f64_e32 v[10:11], v[8:9], v[76:77]
	s_wait_loadcnt 0x0
	v_add_f64_e64 v[8:9], v[108:109], -v[4:5]
	s_delay_alu instid0(VALU_DEP_2)
	v_add_f64_e64 v[10:11], v[110:111], -v[10:11]
	scratch_store_b128 off, v[8:11], off offset:16
	s_wait_xcnt 0x0
	v_cmpx_ne_u32_e32 0, v1
	s_cbranch_execz .LBB24_163
; %bb.162:
	scratch_load_b128 v[8:11], off, off
	v_dual_mov_b32 v3, v2 :: v_dual_mov_b32 v4, v2
	v_mov_b32_e32 v5, v2
	scratch_store_b128 off, v[2:5], off
	s_wait_loadcnt 0x0
	ds_store_b128 v6, v[8:11]
.LBB24_163:
	s_wait_xcnt 0x0
	s_or_b32 exec_lo, exec_lo, s2
	s_wait_storecnt_dscnt 0x0
	s_barrier_signal -1
	s_barrier_wait -1
	s_clause 0x9
	scratch_load_b128 v[4:7], off, off offset:16
	scratch_load_b128 v[8:11], off, off offset:32
	;; [unrolled: 1-line block ×10, first 2 shown]
	ds_load_b128 v[96:99], v2 offset:416
	ds_load_b128 v[104:107], v2 offset:432
	s_clause 0x2
	scratch_load_b128 v[100:103], off, off offset:176
	scratch_load_b128 v[108:111], off, off
	scratch_load_b128 v[112:115], off, off offset:192
	s_and_b32 vcc_lo, exec_lo, s37
	s_wait_loadcnt_dscnt 0xc01
	v_mul_f64_e32 v[12:13], v[98:99], v[6:7]
	v_mul_f64_e32 v[116:117], v[96:97], v[6:7]
	s_wait_loadcnt_dscnt 0xb00
	v_mul_f64_e32 v[118:119], v[104:105], v[10:11]
	v_mul_f64_e32 v[120:121], v[106:107], v[10:11]
	s_delay_alu instid0(VALU_DEP_4) | instskip(NEXT) | instid1(VALU_DEP_4)
	v_fma_f64 v[122:123], v[96:97], v[4:5], -v[12:13]
	v_fmac_f64_e32 v[116:117], v[98:99], v[4:5]
	ds_load_b128 v[4:7], v2 offset:448
	ds_load_b128 v[10:13], v2 offset:464
	v_fmac_f64_e32 v[118:119], v[106:107], v[8:9]
	v_fma_f64 v[8:9], v[104:105], v[8:9], -v[120:121]
	scratch_load_b128 v[96:99], off, off offset:208
	s_wait_loadcnt_dscnt 0xb01
	v_mul_f64_e32 v[124:125], v[4:5], v[66:67]
	v_mul_f64_e32 v[66:67], v[6:7], v[66:67]
	v_add_f64_e32 v[104:105], 0, v[122:123]
	v_add_f64_e32 v[106:107], 0, v[116:117]
	s_wait_loadcnt_dscnt 0xa00
	v_mul_f64_e32 v[116:117], v[10:11], v[70:71]
	v_mul_f64_e32 v[70:71], v[12:13], v[70:71]
	v_fmac_f64_e32 v[124:125], v[6:7], v[64:65]
	v_fma_f64 v[120:121], v[4:5], v[64:65], -v[66:67]
	scratch_load_b128 v[4:7], off, off offset:224
	v_add_f64_e32 v[122:123], v[104:105], v[8:9]
	v_add_f64_e32 v[118:119], v[106:107], v[118:119]
	ds_load_b128 v[64:67], v2 offset:480
	ds_load_b128 v[104:107], v2 offset:496
	v_fmac_f64_e32 v[116:117], v[12:13], v[68:69]
	v_fma_f64 v[12:13], v[10:11], v[68:69], -v[70:71]
	scratch_load_b128 v[8:11], off, off offset:240
	s_wait_loadcnt_dscnt 0xb01
	v_mul_f64_e32 v[126:127], v[64:65], v[74:75]
	v_mul_f64_e32 v[68:69], v[66:67], v[74:75]
	v_add_f64_e32 v[70:71], v[122:123], v[120:121]
	v_add_f64_e32 v[74:75], v[118:119], v[124:125]
	s_wait_loadcnt_dscnt 0xa00
	v_mul_f64_e32 v[118:119], v[104:105], v[78:79]
	v_mul_f64_e32 v[78:79], v[106:107], v[78:79]
	v_fmac_f64_e32 v[126:127], v[66:67], v[72:73]
	v_fma_f64 v[120:121], v[64:65], v[72:73], -v[68:69]
	scratch_load_b128 v[64:67], off, off offset:256
	v_add_f64_e32 v[12:13], v[70:71], v[12:13]
	v_add_f64_e32 v[116:117], v[74:75], v[116:117]
	;; [unrolled: 18-line block ×4, first 2 shown]
	ds_load_b128 v[84:87], v2 offset:576
	ds_load_b128 v[88:91], v2 offset:592
	v_fmac_f64_e32 v[118:119], v[106:107], v[92:93]
	v_fma_f64 v[104:105], v[104:105], v[92:93], -v[94:95]
	scratch_load_b128 v[92:95], off, off offset:336
	s_wait_loadcnt_dscnt 0xb01
	v_mul_f64_e32 v[122:123], v[84:85], v[102:103]
	v_mul_f64_e32 v[102:103], v[86:87], v[102:103]
	v_add_f64_e32 v[12:13], v[12:13], v[120:121]
	v_add_f64_e32 v[106:107], v[116:117], v[124:125]
	s_wait_loadcnt_dscnt 0x900
	v_mul_f64_e32 v[116:117], v[88:89], v[114:115]
	v_mul_f64_e32 v[114:115], v[90:91], v[114:115]
	v_fmac_f64_e32 v[122:123], v[86:87], v[100:101]
	v_fma_f64 v[120:121], v[84:85], v[100:101], -v[102:103]
	scratch_load_b128 v[84:87], off, off offset:352
	ds_load_b128 v[100:103], v2 offset:608
	v_add_f64_e32 v[12:13], v[12:13], v[104:105]
	v_add_f64_e32 v[118:119], v[106:107], v[118:119]
	scratch_load_b128 v[104:107], off, off offset:368
	v_fmac_f64_e32 v[116:117], v[90:91], v[112:113]
	v_fma_f64 v[124:125], v[88:89], v[112:113], -v[114:115]
	ds_load_b128 v[88:91], v2 offset:624
	scratch_load_b128 v[112:115], off, off offset:384
	s_wait_loadcnt_dscnt 0xb01
	v_mul_f64_e32 v[126:127], v[100:101], v[98:99]
	v_mul_f64_e32 v[98:99], v[102:103], v[98:99]
	v_add_f64_e32 v[12:13], v[12:13], v[120:121]
	v_add_f64_e32 v[118:119], v[118:119], v[122:123]
	s_delay_alu instid0(VALU_DEP_4) | instskip(NEXT) | instid1(VALU_DEP_4)
	v_fmac_f64_e32 v[126:127], v[102:103], v[96:97]
	v_fma_f64 v[122:123], v[100:101], v[96:97], -v[98:99]
	ds_load_b128 v[96:99], v2 offset:640
	ds_load_b128 v[100:103], v2 offset:656
	s_wait_loadcnt_dscnt 0xa02
	v_mul_f64_e32 v[120:121], v[88:89], v[6:7]
	v_mul_f64_e32 v[6:7], v[90:91], v[6:7]
	v_add_f64_e32 v[12:13], v[12:13], v[124:125]
	v_add_f64_e32 v[116:117], v[118:119], v[116:117]
	s_wait_loadcnt_dscnt 0x901
	v_mul_f64_e32 v[118:119], v[96:97], v[10:11]
	v_fmac_f64_e32 v[120:121], v[90:91], v[4:5]
	v_fma_f64 v[4:5], v[88:89], v[4:5], -v[6:7]
	v_mul_f64_e32 v[6:7], v[98:99], v[10:11]
	v_add_f64_e32 v[10:11], v[12:13], v[122:123]
	v_add_f64_e32 v[12:13], v[116:117], v[126:127]
	v_fmac_f64_e32 v[118:119], v[98:99], v[8:9]
	s_wait_loadcnt_dscnt 0x800
	v_mul_f64_e32 v[88:89], v[100:101], v[66:67]
	v_mul_f64_e32 v[66:67], v[102:103], v[66:67]
	v_fma_f64 v[90:91], v[96:97], v[8:9], -v[6:7]
	v_add_f64_e32 v[96:97], v[10:11], v[4:5]
	v_add_f64_e32 v[12:13], v[12:13], v[120:121]
	ds_load_b128 v[4:7], v2 offset:672
	ds_load_b128 v[8:11], v2 offset:688
	s_wait_loadcnt_dscnt 0x701
	v_mul_f64_e32 v[98:99], v[4:5], v[78:79]
	v_mul_f64_e32 v[78:79], v[6:7], v[78:79]
	v_fmac_f64_e32 v[88:89], v[102:103], v[64:65]
	v_fma_f64 v[64:65], v[100:101], v[64:65], -v[66:67]
	v_add_f64_e32 v[66:67], v[96:97], v[90:91]
	v_add_f64_e32 v[12:13], v[12:13], v[118:119]
	v_fmac_f64_e32 v[98:99], v[6:7], v[76:77]
	v_fma_f64 v[76:77], v[4:5], v[76:77], -v[78:79]
	s_wait_loadcnt_dscnt 0x600
	v_mul_f64_e32 v[90:91], v[8:9], v[70:71]
	v_mul_f64_e32 v[70:71], v[10:11], v[70:71]
	v_add_f64_e32 v[78:79], v[66:67], v[64:65]
	v_add_f64_e32 v[12:13], v[12:13], v[88:89]
	ds_load_b128 v[4:7], v2 offset:704
	ds_load_b128 v[64:67], v2 offset:720
	s_wait_loadcnt_dscnt 0x501
	v_mul_f64_e32 v[88:89], v[4:5], v[74:75]
	v_mul_f64_e32 v[74:75], v[6:7], v[74:75]
	v_fmac_f64_e32 v[90:91], v[10:11], v[68:69]
	v_fma_f64 v[8:9], v[8:9], v[68:69], -v[70:71]
	v_add_f64_e32 v[10:11], v[78:79], v[76:77]
	v_add_f64_e32 v[12:13], v[12:13], v[98:99]
	v_fmac_f64_e32 v[88:89], v[6:7], v[72:73]
	v_fma_f64 v[72:73], v[4:5], v[72:73], -v[74:75]
	s_wait_loadcnt_dscnt 0x400
	v_mul_f64_e32 v[68:69], v[64:65], v[82:83]
	v_mul_f64_e32 v[70:71], v[66:67], v[82:83]
	;; [unrolled: 16-line block ×3, first 2 shown]
	v_add_f64_e32 v[78:79], v[66:67], v[64:65]
	v_add_f64_e32 v[12:13], v[12:13], v[68:69]
	ds_load_b128 v[4:7], v2 offset:768
	ds_load_b128 v[64:67], v2 offset:784
	s_wait_loadcnt_dscnt 0x101
	v_mul_f64_e32 v[2:3], v[4:5], v[106:107]
	v_mul_f64_e32 v[68:69], v[6:7], v[106:107]
	v_fmac_f64_e32 v[70:71], v[10:11], v[84:85]
	v_fma_f64 v[8:9], v[8:9], v[84:85], -v[72:73]
	s_wait_loadcnt_dscnt 0x0
	v_mul_f64_e32 v[72:73], v[64:65], v[114:115]
	v_add_f64_e32 v[10:11], v[78:79], v[74:75]
	v_add_f64_e32 v[12:13], v[12:13], v[76:77]
	v_mul_f64_e32 v[74:75], v[66:67], v[114:115]
	v_fmac_f64_e32 v[2:3], v[6:7], v[104:105]
	v_fma_f64 v[4:5], v[4:5], v[104:105], -v[68:69]
	v_lshl_add_u64 v[68:69], v[18:19], 4, s[4:5]
	v_lshl_add_u64 v[18:19], v[36:37], 4, s[4:5]
	v_fmac_f64_e32 v[72:73], v[66:67], v[112:113]
	v_lshl_add_u64 v[66:67], v[22:23], 4, s[4:5]
	v_lshl_add_u64 v[22:23], v[40:41], 4, s[4:5]
	;; [unrolled: 1-line block ×4, first 2 shown]
	v_add_f64_e32 v[6:7], v[10:11], v[8:9]
	v_add_f64_e32 v[8:9], v[12:13], v[70:71]
	v_fma_f64 v[10:11], v[64:65], v[112:113], -v[74:75]
	v_lshl_add_u64 v[64:65], v[20:21], 4, s[4:5]
	v_lshl_add_u64 v[12:13], v[34:35], 4, s[4:5]
	;; [unrolled: 1-line block ×5, first 2 shown]
	v_add_f64_e32 v[4:5], v[6:7], v[4:5]
	v_add_f64_e32 v[2:3], v[8:9], v[2:3]
	v_lshl_add_u64 v[6:7], v[28:29], 4, s[4:5]
	v_lshl_add_u64 v[8:9], v[30:31], 4, s[4:5]
	;; [unrolled: 1-line block ×4, first 2 shown]
	v_add_f64_e32 v[4:5], v[4:5], v[10:11]
	v_add_f64_e32 v[2:3], v[2:3], v[72:73]
	v_lshl_add_u64 v[10:11], v[32:33], 4, s[4:5]
	v_lshl_add_u64 v[32:33], v[50:51], 4, s[4:5]
	s_delay_alu instid0(VALU_DEP_4) | instskip(NEXT) | instid1(VALU_DEP_4)
	v_add_f64_e64 v[70:71], v[108:109], -v[4:5]
	v_add_f64_e64 v[72:73], v[110:111], -v[2:3]
	v_lshl_add_u64 v[2:3], v[24:25], 4, s[4:5]
	v_lshl_add_u64 v[4:5], v[26:27], 4, s[4:5]
	;; [unrolled: 1-line block ×6, first 2 shown]
	scratch_store_b128 off, v[70:73], off
	s_cbranch_vccz .LBB24_212
; %bb.164:
	v_mov_b32_e32 v46, 0
	s_load_b64 s[2:3], s[0:1], 0x4
	v_bfe_u32 v48, v0, 10, 10
	v_bfe_u32 v0, v0, 20, 10
	global_load_b32 v47, v46, s[16:17] offset:92
	s_wait_kmcnt 0x0
	s_lshr_b32 s0, s2, 16
	v_mul_u32_u24_e32 v48, s3, v48
	s_mul_i32 s0, s0, s3
	s_delay_alu instid0(SALU_CYCLE_1) | instskip(NEXT) | instid1(VALU_DEP_1)
	v_mul_u32_u24_e32 v1, s0, v1
	v_add3_u32 v0, v1, v48, v0
	s_delay_alu instid0(VALU_DEP_1)
	v_lshl_add_u32 v0, v0, 4, 0x328
	s_wait_loadcnt 0x0
	v_cmp_ne_u32_e32 vcc_lo, 24, v47
	s_cbranch_vccz .LBB24_166
; %bb.165:
	v_lshlrev_b32_e32 v1, 4, v47
	s_clause 0x1
	scratch_load_b128 v[48:51], off, s15
	scratch_load_b128 v[52:55], v1, off offset:-16
	s_wait_loadcnt 0x1
	ds_store_2addr_b64 v0, v[48:49], v[50:51] offset1:1
	s_wait_loadcnt 0x0
	s_clause 0x1
	scratch_store_b128 off, v[52:55], s15
	scratch_store_b128 v1, v[48:51], off offset:-16
.LBB24_166:
	global_load_b32 v1, v46, s[16:17] offset:88
	s_wait_loadcnt 0x0
	v_cmp_eq_u32_e32 vcc_lo, 23, v1
	s_cbranch_vccnz .LBB24_168
; %bb.167:
	v_lshlrev_b32_e32 v1, 4, v1
	s_clause 0x1
	scratch_load_b128 v[46:49], off, s10
	scratch_load_b128 v[50:53], v1, off offset:-16
	s_wait_loadcnt 0x1
	ds_store_2addr_b64 v0, v[46:47], v[48:49] offset1:1
	s_wait_loadcnt 0x0
	s_clause 0x1
	scratch_store_b128 off, v[50:53], s10
	scratch_store_b128 v1, v[46:49], off offset:-16
.LBB24_168:
	s_wait_xcnt 0x0
	v_mov_b32_e32 v1, 0
	global_load_b32 v46, v1, s[16:17] offset:84
	s_wait_loadcnt 0x0
	v_cmp_eq_u32_e32 vcc_lo, 22, v46
	s_cbranch_vccnz .LBB24_170
; %bb.169:
	v_lshlrev_b32_e32 v46, 4, v46
	s_delay_alu instid0(VALU_DEP_1)
	v_mov_b32_e32 v54, v46
	s_clause 0x1
	scratch_load_b128 v[46:49], off, s8
	scratch_load_b128 v[50:53], v54, off offset:-16
	s_wait_loadcnt 0x1
	ds_store_2addr_b64 v0, v[46:47], v[48:49] offset1:1
	s_wait_loadcnt 0x0
	s_clause 0x1
	scratch_store_b128 off, v[50:53], s8
	scratch_store_b128 v54, v[46:49], off offset:-16
.LBB24_170:
	global_load_b32 v1, v1, s[16:17] offset:80
	s_wait_loadcnt 0x0
	v_cmp_eq_u32_e32 vcc_lo, 21, v1
	s_cbranch_vccnz .LBB24_172
; %bb.171:
	s_wait_xcnt 0x0
	v_lshlrev_b32_e32 v1, 4, v1
	s_clause 0x1
	scratch_load_b128 v[46:49], off, s13
	scratch_load_b128 v[50:53], v1, off offset:-16
	s_wait_loadcnt 0x1
	ds_store_2addr_b64 v0, v[46:47], v[48:49] offset1:1
	s_wait_loadcnt 0x0
	s_clause 0x1
	scratch_store_b128 off, v[50:53], s13
	scratch_store_b128 v1, v[46:49], off offset:-16
.LBB24_172:
	s_wait_xcnt 0x0
	v_mov_b32_e32 v1, 0
	global_load_b32 v46, v1, s[16:17] offset:76
	s_wait_loadcnt 0x0
	v_cmp_eq_u32_e32 vcc_lo, 20, v46
	s_cbranch_vccnz .LBB24_174
; %bb.173:
	v_lshlrev_b32_e32 v46, 4, v46
	s_delay_alu instid0(VALU_DEP_1)
	v_mov_b32_e32 v54, v46
	s_clause 0x1
	scratch_load_b128 v[46:49], off, s11
	scratch_load_b128 v[50:53], v54, off offset:-16
	s_wait_loadcnt 0x1
	ds_store_2addr_b64 v0, v[46:47], v[48:49] offset1:1
	s_wait_loadcnt 0x0
	s_clause 0x1
	scratch_store_b128 off, v[50:53], s11
	scratch_store_b128 v54, v[46:49], off offset:-16
.LBB24_174:
	global_load_b32 v1, v1, s[16:17] offset:72
	s_wait_loadcnt 0x0
	v_cmp_eq_u32_e32 vcc_lo, 19, v1
	s_cbranch_vccnz .LBB24_176
; %bb.175:
	s_wait_xcnt 0x0
	v_lshlrev_b32_e32 v1, 4, v1
	s_clause 0x1
	scratch_load_b128 v[46:49], off, s23
	scratch_load_b128 v[50:53], v1, off offset:-16
	s_wait_loadcnt 0x1
	ds_store_2addr_b64 v0, v[46:47], v[48:49] offset1:1
	s_wait_loadcnt 0x0
	s_clause 0x1
	scratch_store_b128 off, v[50:53], s23
	scratch_store_b128 v1, v[46:49], off offset:-16
.LBB24_176:
	;; [unrolled: 37-line block ×10, first 2 shown]
	s_wait_xcnt 0x0
	v_mov_b32_e32 v1, 0
	global_load_b32 v46, v1, s[16:17] offset:4
	s_wait_loadcnt 0x0
	v_cmp_eq_u32_e32 vcc_lo, 2, v46
	s_cbranch_vccnz .LBB24_210
; %bb.209:
	v_lshlrev_b32_e32 v46, 4, v46
	s_delay_alu instid0(VALU_DEP_1)
	v_mov_b32_e32 v54, v46
	s_clause 0x1
	scratch_load_b128 v[46:49], off, s20
	scratch_load_b128 v[50:53], v54, off offset:-16
	s_wait_loadcnt 0x1
	ds_store_2addr_b64 v0, v[46:47], v[48:49] offset1:1
	s_wait_loadcnt 0x0
	s_clause 0x1
	scratch_store_b128 off, v[50:53], s20
	scratch_store_b128 v54, v[46:49], off offset:-16
.LBB24_210:
	global_load_b32 v1, v1, s[16:17]
	s_wait_loadcnt 0x0
	v_cmp_eq_u32_e32 vcc_lo, 1, v1
	s_cbranch_vccnz .LBB24_212
; %bb.211:
	s_wait_xcnt 0x0
	v_lshlrev_b32_e32 v1, 4, v1
	scratch_load_b128 v[46:49], off, off
	scratch_load_b128 v[50:53], v1, off offset:-16
	s_wait_loadcnt 0x1
	ds_store_2addr_b64 v0, v[46:47], v[48:49] offset1:1
	s_wait_loadcnt 0x0
	scratch_store_b128 off, v[50:53], off
	scratch_store_b128 v1, v[46:49], off offset:-16
.LBB24_212:
	scratch_load_b128 v[46:49], off, off
	s_clause 0xf
	scratch_load_b128 v[50:53], off, s20
	scratch_load_b128 v[54:57], off, s9
	;; [unrolled: 1-line block ×15, first 2 shown]
	; meta instruction
	; meta instruction
	;; [unrolled: 1-line block ×15, first 2 shown]
	scratch_load_b128 v[118:121], off, s24
	s_wait_loadcnt 0x10
	global_store_b128 v[14:15], v[46:49], off
	s_clause 0x1
	scratch_load_b128 v[46:49], off, s21
	scratch_load_b128 v[122:125], off, s23
	s_wait_loadcnt 0x11
	global_store_b128 v[16:17], v[50:53], off
	s_clause 0x1
	scratch_load_b128 v[14:17], off, s11
	;; [unrolled: 5-line block ×3, first 2 shown]
	scratch_load_b128 v[126:129], off, s10
	s_wait_loadcnt 0x13
	global_store_b128 v[64:65], v[58:61], off
	s_wait_loadcnt 0x12
	global_store_b128 v[66:67], v[70:73], off
	s_clause 0x1
	scratch_load_b128 v[58:61], off, s15
	scratch_load_b128 v[62:65], off, s22
	s_wait_loadcnt 0x13
	global_store_b128 v[2:3], v[74:77], off
	s_wait_loadcnt 0x12
	global_store_b128 v[4:5], v[78:81], off
	;; [unrolled: 2-line block ×20, first 2 shown]
	s_sendmsg sendmsg(MSG_DEALLOC_VGPRS)
	s_endpgm
	.section	.rodata,"a",@progbits
	.p2align	6, 0x0
	.amdhsa_kernel _ZN9rocsolver6v33100L18getri_kernel_smallILi25E19rocblas_complex_numIdEPS3_EEvT1_iilPiilS6_bb
		.amdhsa_group_segment_fixed_size 1832
		.amdhsa_private_segment_fixed_size 416
		.amdhsa_kernarg_size 60
		.amdhsa_user_sgpr_count 4
		.amdhsa_user_sgpr_dispatch_ptr 1
		.amdhsa_user_sgpr_queue_ptr 0
		.amdhsa_user_sgpr_kernarg_segment_ptr 1
		.amdhsa_user_sgpr_dispatch_id 0
		.amdhsa_user_sgpr_kernarg_preload_length 0
		.amdhsa_user_sgpr_kernarg_preload_offset 0
		.amdhsa_user_sgpr_private_segment_size 0
		.amdhsa_wavefront_size32 1
		.amdhsa_uses_dynamic_stack 0
		.amdhsa_enable_private_segment 1
		.amdhsa_system_sgpr_workgroup_id_x 1
		.amdhsa_system_sgpr_workgroup_id_y 0
		.amdhsa_system_sgpr_workgroup_id_z 0
		.amdhsa_system_sgpr_workgroup_info 0
		.amdhsa_system_vgpr_workitem_id 2
		.amdhsa_next_free_vgpr 132
		.amdhsa_next_free_sgpr 47
		.amdhsa_named_barrier_count 0
		.amdhsa_reserve_vcc 1
		.amdhsa_float_round_mode_32 0
		.amdhsa_float_round_mode_16_64 0
		.amdhsa_float_denorm_mode_32 3
		.amdhsa_float_denorm_mode_16_64 3
		.amdhsa_fp16_overflow 0
		.amdhsa_memory_ordered 1
		.amdhsa_forward_progress 1
		.amdhsa_inst_pref_size 246
		.amdhsa_round_robin_scheduling 0
		.amdhsa_exception_fp_ieee_invalid_op 0
		.amdhsa_exception_fp_denorm_src 0
		.amdhsa_exception_fp_ieee_div_zero 0
		.amdhsa_exception_fp_ieee_overflow 0
		.amdhsa_exception_fp_ieee_underflow 0
		.amdhsa_exception_fp_ieee_inexact 0
		.amdhsa_exception_int_div_zero 0
	.end_amdhsa_kernel
	.section	.text._ZN9rocsolver6v33100L18getri_kernel_smallILi25E19rocblas_complex_numIdEPS3_EEvT1_iilPiilS6_bb,"axG",@progbits,_ZN9rocsolver6v33100L18getri_kernel_smallILi25E19rocblas_complex_numIdEPS3_EEvT1_iilPiilS6_bb,comdat
.Lfunc_end24:
	.size	_ZN9rocsolver6v33100L18getri_kernel_smallILi25E19rocblas_complex_numIdEPS3_EEvT1_iilPiilS6_bb, .Lfunc_end24-_ZN9rocsolver6v33100L18getri_kernel_smallILi25E19rocblas_complex_numIdEPS3_EEvT1_iilPiilS6_bb
                                        ; -- End function
	.set _ZN9rocsolver6v33100L18getri_kernel_smallILi25E19rocblas_complex_numIdEPS3_EEvT1_iilPiilS6_bb.num_vgpr, 132
	.set _ZN9rocsolver6v33100L18getri_kernel_smallILi25E19rocblas_complex_numIdEPS3_EEvT1_iilPiilS6_bb.num_agpr, 0
	.set _ZN9rocsolver6v33100L18getri_kernel_smallILi25E19rocblas_complex_numIdEPS3_EEvT1_iilPiilS6_bb.numbered_sgpr, 47
	.set _ZN9rocsolver6v33100L18getri_kernel_smallILi25E19rocblas_complex_numIdEPS3_EEvT1_iilPiilS6_bb.num_named_barrier, 0
	.set _ZN9rocsolver6v33100L18getri_kernel_smallILi25E19rocblas_complex_numIdEPS3_EEvT1_iilPiilS6_bb.private_seg_size, 416
	.set _ZN9rocsolver6v33100L18getri_kernel_smallILi25E19rocblas_complex_numIdEPS3_EEvT1_iilPiilS6_bb.uses_vcc, 1
	.set _ZN9rocsolver6v33100L18getri_kernel_smallILi25E19rocblas_complex_numIdEPS3_EEvT1_iilPiilS6_bb.uses_flat_scratch, 1
	.set _ZN9rocsolver6v33100L18getri_kernel_smallILi25E19rocblas_complex_numIdEPS3_EEvT1_iilPiilS6_bb.has_dyn_sized_stack, 0
	.set _ZN9rocsolver6v33100L18getri_kernel_smallILi25E19rocblas_complex_numIdEPS3_EEvT1_iilPiilS6_bb.has_recursion, 0
	.set _ZN9rocsolver6v33100L18getri_kernel_smallILi25E19rocblas_complex_numIdEPS3_EEvT1_iilPiilS6_bb.has_indirect_call, 0
	.section	.AMDGPU.csdata,"",@progbits
; Kernel info:
; codeLenInByte = 31440
; TotalNumSgprs: 49
; NumVgprs: 132
; ScratchSize: 416
; MemoryBound: 0
; FloatMode: 240
; IeeeMode: 1
; LDSByteSize: 1832 bytes/workgroup (compile time only)
; SGPRBlocks: 0
; VGPRBlocks: 8
; NumSGPRsForWavesPerEU: 49
; NumVGPRsForWavesPerEU: 132
; NamedBarCnt: 0
; Occupancy: 7
; WaveLimiterHint : 1
; COMPUTE_PGM_RSRC2:SCRATCH_EN: 1
; COMPUTE_PGM_RSRC2:USER_SGPR: 4
; COMPUTE_PGM_RSRC2:TRAP_HANDLER: 0
; COMPUTE_PGM_RSRC2:TGID_X_EN: 1
; COMPUTE_PGM_RSRC2:TGID_Y_EN: 0
; COMPUTE_PGM_RSRC2:TGID_Z_EN: 0
; COMPUTE_PGM_RSRC2:TIDIG_COMP_CNT: 2
	.section	.text._ZN9rocsolver6v33100L18getri_kernel_smallILi26E19rocblas_complex_numIdEPS3_EEvT1_iilPiilS6_bb,"axG",@progbits,_ZN9rocsolver6v33100L18getri_kernel_smallILi26E19rocblas_complex_numIdEPS3_EEvT1_iilPiilS6_bb,comdat
	.globl	_ZN9rocsolver6v33100L18getri_kernel_smallILi26E19rocblas_complex_numIdEPS3_EEvT1_iilPiilS6_bb ; -- Begin function _ZN9rocsolver6v33100L18getri_kernel_smallILi26E19rocblas_complex_numIdEPS3_EEvT1_iilPiilS6_bb
	.p2align	8
	.type	_ZN9rocsolver6v33100L18getri_kernel_smallILi26E19rocblas_complex_numIdEPS3_EEvT1_iilPiilS6_bb,@function
_ZN9rocsolver6v33100L18getri_kernel_smallILi26E19rocblas_complex_numIdEPS3_EEvT1_iilPiilS6_bb: ; @_ZN9rocsolver6v33100L18getri_kernel_smallILi26E19rocblas_complex_numIdEPS3_EEvT1_iilPiilS6_bb
; %bb.0:
	v_and_b32_e32 v1, 0x3ff, v0
	s_mov_b32 s4, exec_lo
	s_delay_alu instid0(VALU_DEP_1)
	v_cmpx_gt_u32_e32 26, v1
	s_cbranch_execz .LBB25_118
; %bb.1:
	s_clause 0x2
	s_load_b32 s8, s[2:3], 0x38
	s_load_b128 s[12:15], s[2:3], 0x10
	s_load_b128 s[4:7], s[2:3], 0x28
	s_getreg_b32 s11, hwreg(HW_REG_IB_STS2, 6, 4)
                                        ; implicit-def: $sgpr16_sgpr17
	s_wait_kmcnt 0x0
	s_bitcmp1_b32 s8, 8
	s_cselect_b32 s38, -1, 0
	s_bfe_u32 s9, ttmp6, 0x4000c
	s_and_b32 s10, ttmp6, 15
	s_add_co_i32 s9, s9, 1
	s_delay_alu instid0(SALU_CYCLE_1) | instskip(NEXT) | instid1(SALU_CYCLE_1)
	s_mul_i32 s9, ttmp9, s9
	s_add_co_i32 s10, s10, s9
	s_cmp_eq_u32 s11, 0
	s_cselect_b32 s18, ttmp9, s10
	s_bfe_u32 s8, s8, 0x10008
	s_ashr_i32 s19, s18, 31
	s_cmp_eq_u32 s8, 0
	s_cbranch_scc1 .LBB25_3
; %bb.2:
	s_load_b32 s8, s[2:3], 0x20
	s_mul_u64 s[4:5], s[4:5], s[18:19]
	s_delay_alu instid0(SALU_CYCLE_1) | instskip(NEXT) | instid1(SALU_CYCLE_1)
	s_lshl_b64 s[4:5], s[4:5], 2
	s_add_nc_u64 s[4:5], s[14:15], s[4:5]
	s_wait_kmcnt 0x0
	s_ashr_i32 s9, s8, 31
	s_delay_alu instid0(SALU_CYCLE_1) | instskip(NEXT) | instid1(SALU_CYCLE_1)
	s_lshl_b64 s[8:9], s[8:9], 2
	s_add_nc_u64 s[16:17], s[4:5], s[8:9]
.LBB25_3:
	s_clause 0x1
	s_load_b128 s[8:11], s[2:3], 0x0
	s_load_b32 s39, s[2:3], 0x38
	s_wait_xcnt 0x0
	s_mul_u64 s[2:3], s[12:13], s[18:19]
	v_dual_mov_b32 v67, 0 :: v_dual_lshlrev_b32 v66, 4, v1
	s_lshl_b64 s[2:3], s[2:3], 4
	s_movk_i32 s25, 0x100
	s_movk_i32 s40, 0x110
	;; [unrolled: 1-line block ×9, first 2 shown]
	s_mov_b32 s24, 16
	s_mov_b32 s21, 32
	;; [unrolled: 1-line block ×4, first 2 shown]
	s_movk_i32 s28, 0x50
	s_wait_kmcnt 0x0
	v_add3_u32 v18, s11, s11, v1
	s_ashr_i32 s5, s10, 31
	s_mov_b32 s4, s10
	s_add_nc_u64 s[2:3], s[8:9], s[2:3]
	s_lshl_b64 s[4:5], s[4:5], 4
	v_add_nc_u32_e32 v20, s11, v18
	s_add_nc_u64 s[4:5], s[2:3], s[4:5]
	s_ashr_i32 s3, s11, 31
	v_add_nc_u64_e32 v[14:15], s[4:5], v[66:67]
	s_mov_b32 s2, s11
	v_add_nc_u32_e32 v22, s11, v20
	s_movk_i32 s30, 0x60
	s_movk_i32 s34, 0x70
	;; [unrolled: 1-line block ×4, first 2 shown]
	v_add_nc_u32_e32 v24, s11, v22
	v_lshl_add_u64 v[16:17], s[2:3], 4, v[14:15]
	s_movk_i32 s29, 0xa0
	s_movk_i32 s33, 0xb0
	;; [unrolled: 1-line block ×3, first 2 shown]
	v_add_nc_u32_e32 v26, s11, v24
	s_clause 0x3
	global_load_b128 v[2:5], v18, s[4:5] scale_offset
	global_load_b128 v[6:9], v20, s[4:5] scale_offset
	;; [unrolled: 1-line block ×3, first 2 shown]
	global_load_b128 v[62:65], v[16:17], off
	s_movk_i32 s36, 0xd0
	s_movk_i32 s37, 0xe0
	v_add_nc_u32_e32 v28, s11, v26
	s_movk_i32 s31, 0xf0
	s_mov_b32 s9, s40
	s_mov_b32 s10, s41
	;; [unrolled: 1-line block ×3, first 2 shown]
	v_add_nc_u32_e32 v30, s11, v28
	s_clause 0x2
	global_load_b128 v[68:71], v22, s[4:5] scale_offset
	global_load_b128 v[72:75], v24, s[4:5] scale_offset
	;; [unrolled: 1-line block ×3, first 2 shown]
	s_mov_b32 s20, s43
	s_clause 0x1
	global_load_b128 v[80:83], v28, s[4:5] scale_offset
	global_load_b128 v[84:87], v30, s[4:5] scale_offset
	v_add_nc_u32_e32 v32, s11, v30
	s_mov_b32 s14, s44
	s_mov_b32 s15, s45
	;; [unrolled: 1-line block ×4, first 2 shown]
	v_add_nc_u32_e32 v34, s11, v32
	s_bitcmp0_b32 s39, 0
	s_mov_b32 s3, -1
	s_delay_alu instid0(VALU_DEP_1) | instskip(NEXT) | instid1(VALU_DEP_1)
	v_add_nc_u32_e32 v36, s11, v34
	v_add_nc_u32_e32 v38, s11, v36
	global_load_b128 v[88:91], v32, s[4:5] scale_offset
	v_add_nc_u32_e32 v40, s11, v38
	s_delay_alu instid0(VALU_DEP_1)
	v_add_nc_u32_e32 v42, s11, v40
	s_clause 0x3
	global_load_b128 v[92:95], v34, s[4:5] scale_offset
	global_load_b128 v[96:99], v36, s[4:5] scale_offset
	;; [unrolled: 1-line block ×4, first 2 shown]
	v_add_nc_u32_e32 v44, s11, v42
	s_delay_alu instid0(VALU_DEP_1) | instskip(NEXT) | instid1(VALU_DEP_1)
	v_add_nc_u32_e32 v46, s11, v44
	v_add_nc_u32_e32 v48, s11, v46
	s_delay_alu instid0(VALU_DEP_1) | instskip(NEXT) | instid1(VALU_DEP_1)
	v_add_nc_u32_e32 v50, s11, v48
	v_add_nc_u32_e32 v52, s11, v50
	s_delay_alu instid0(VALU_DEP_1)
	v_add_nc_u32_e32 v54, s11, v52
	s_clause 0x3
	global_load_b128 v[108:111], v42, s[4:5] scale_offset
	global_load_b128 v[112:115], v44, s[4:5] scale_offset
	;; [unrolled: 1-line block ×4, first 2 shown]
	s_wait_loadcnt 0x11
	scratch_store_b128 off, v[2:5], off offset:32
	s_wait_loadcnt 0x10
	scratch_store_b128 off, v[6:9], off offset:48
	v_add_nc_u32_e32 v56, s11, v54
	s_clause 0x1
	global_load_b128 v[2:5], v50, s[4:5] scale_offset
	global_load_b128 v[6:9], v52, s[4:5] scale_offset
	s_wait_loadcnt 0x11
	scratch_store_b128 off, v[10:13], off
	s_wait_loadcnt 0x10
	scratch_store_b128 off, v[62:65], off offset:16
	v_add_nc_u32_e32 v58, s11, v56
	s_delay_alu instid0(VALU_DEP_1) | instskip(SKIP_1) | instid1(VALU_DEP_1)
	v_add_nc_u32_e32 v60, s11, v58
	s_wait_xcnt 0x0
	v_add_nc_u32_e32 v62, s11, v60
	s_clause 0x1
	global_load_b128 v[10:13], v54, s[4:5] scale_offset
	global_load_b128 v[124:127], v56, s[4:5] scale_offset
	s_wait_loadcnt 0x11
	scratch_store_b128 off, v[68:71], off offset:64
	s_wait_loadcnt 0x10
	scratch_store_b128 off, v[72:75], off offset:80
	v_add_nc_u32_e32 v64, s11, v62
	s_clause 0x1
	global_load_b128 v[68:71], v58, s[4:5] scale_offset
	global_load_b128 v[72:75], v60, s[4:5] scale_offset
	s_wait_loadcnt 0x11
	scratch_store_b128 off, v[76:79], off offset:96
	s_wait_loadcnt 0x10
	scratch_store_b128 off, v[80:83], off offset:112
	;; [unrolled: 2-line block ×3, first 2 shown]
	s_clause 0x1
	global_load_b128 v[76:79], v62, s[4:5] scale_offset
	global_load_b128 v[80:83], v64, s[4:5] scale_offset
	s_mov_b32 s11, s25
	s_movk_i32 s25, 0x190
	s_wait_loadcnt 0x10
	scratch_store_b128 off, v[88:91], off offset:144
	s_wait_loadcnt 0xf
	scratch_store_b128 off, v[92:95], off offset:160
	;; [unrolled: 2-line block ×17, first 2 shown]
	s_cbranch_scc1 .LBB25_116
; %bb.4:
	v_cmp_eq_u32_e64 s2, 0, v1
	s_wait_xcnt 0x0
	s_and_saveexec_b32 s3, s2
; %bb.5:
	v_mov_b32_e32 v2, 0
	ds_store_b32 v2, v2 offset:832
; %bb.6:
	s_or_b32 exec_lo, exec_lo, s3
	s_wait_storecnt_dscnt 0x0
	s_barrier_signal -1
	s_barrier_wait -1
	scratch_load_b128 v[2:5], v1, off scale_offset
	s_wait_loadcnt 0x0
	v_cmp_eq_f64_e32 vcc_lo, 0, v[2:3]
	v_cmp_eq_f64_e64 s3, 0, v[4:5]
	s_and_b32 s3, vcc_lo, s3
	s_delay_alu instid0(SALU_CYCLE_1)
	s_and_saveexec_b32 s39, s3
	s_cbranch_execz .LBB25_10
; %bb.7:
	v_mov_b32_e32 v2, 0
	s_mov_b32 s40, 0
	ds_load_b32 v3, v2 offset:832
	s_wait_dscnt 0x0
	v_readfirstlane_b32 s3, v3
	v_add_nc_u32_e32 v3, 1, v1
	s_cmp_eq_u32 s3, 0
	s_delay_alu instid0(VALU_DEP_1) | instskip(SKIP_1) | instid1(SALU_CYCLE_1)
	v_cmp_gt_i32_e32 vcc_lo, s3, v3
	s_cselect_b32 s41, -1, 0
	s_or_b32 s41, s41, vcc_lo
	s_delay_alu instid0(SALU_CYCLE_1)
	s_and_b32 exec_lo, exec_lo, s41
	s_cbranch_execz .LBB25_10
; %bb.8:
	v_mov_b32_e32 v4, s3
.LBB25_9:                               ; =>This Inner Loop Header: Depth=1
	ds_cmpstore_rtn_b32 v4, v2, v3, v4 offset:832
	s_wait_dscnt 0x0
	v_cmp_ne_u32_e32 vcc_lo, 0, v4
	v_cmp_le_i32_e64 s3, v4, v3
	s_and_b32 s3, vcc_lo, s3
	s_delay_alu instid0(SALU_CYCLE_1) | instskip(NEXT) | instid1(SALU_CYCLE_1)
	s_and_b32 s3, exec_lo, s3
	s_or_b32 s40, s3, s40
	s_delay_alu instid0(SALU_CYCLE_1)
	s_and_not1_b32 exec_lo, exec_lo, s40
	s_cbranch_execnz .LBB25_9
.LBB25_10:
	s_or_b32 exec_lo, exec_lo, s39
	v_mov_b32_e32 v2, 0
	s_barrier_signal -1
	s_barrier_wait -1
	ds_load_b32 v3, v2 offset:832
	s_and_saveexec_b32 s3, s2
	s_cbranch_execz .LBB25_12
; %bb.11:
	s_lshl_b64 s[40:41], s[18:19], 2
	s_delay_alu instid0(SALU_CYCLE_1)
	s_add_nc_u64 s[40:41], s[6:7], s[40:41]
	s_wait_dscnt 0x0
	global_store_b32 v2, v3, s[40:41]
.LBB25_12:
	s_wait_xcnt 0x0
	s_or_b32 exec_lo, exec_lo, s3
	s_wait_dscnt 0x0
	v_cmp_ne_u32_e32 vcc_lo, 0, v3
	s_mov_b32 s3, 0
	s_cbranch_vccnz .LBB25_116
; %bb.13:
	v_lshl_add_u32 v19, v1, 4, 0
                                        ; implicit-def: $vgpr6_vgpr7
                                        ; implicit-def: $vgpr10_vgpr11
	scratch_load_b128 v[2:5], v19, off
	s_wait_loadcnt 0x0
	v_cmp_ngt_f64_e64 s3, |v[2:3]|, |v[4:5]|
	s_wait_xcnt 0x0
	s_and_saveexec_b32 s39, s3
	s_delay_alu instid0(SALU_CYCLE_1)
	s_xor_b32 s3, exec_lo, s39
	s_cbranch_execz .LBB25_15
; %bb.14:
	v_div_scale_f64 v[6:7], null, v[4:5], v[4:5], v[2:3]
	v_div_scale_f64 v[12:13], vcc_lo, v[2:3], v[4:5], v[2:3]
	s_delay_alu instid0(VALU_DEP_2) | instskip(SKIP_1) | instid1(TRANS32_DEP_1)
	v_rcp_f64_e32 v[8:9], v[6:7]
	v_nop
	v_fma_f64 v[10:11], -v[6:7], v[8:9], 1.0
	s_delay_alu instid0(VALU_DEP_1) | instskip(NEXT) | instid1(VALU_DEP_1)
	v_fmac_f64_e32 v[8:9], v[8:9], v[10:11]
	v_fma_f64 v[10:11], -v[6:7], v[8:9], 1.0
	s_delay_alu instid0(VALU_DEP_1) | instskip(NEXT) | instid1(VALU_DEP_1)
	v_fmac_f64_e32 v[8:9], v[8:9], v[10:11]
	v_mul_f64_e32 v[10:11], v[12:13], v[8:9]
	s_delay_alu instid0(VALU_DEP_1) | instskip(NEXT) | instid1(VALU_DEP_1)
	v_fma_f64 v[6:7], -v[6:7], v[10:11], v[12:13]
	v_div_fmas_f64 v[6:7], v[6:7], v[8:9], v[10:11]
	s_delay_alu instid0(VALU_DEP_1) | instskip(NEXT) | instid1(VALU_DEP_1)
	v_div_fixup_f64 v[6:7], v[6:7], v[4:5], v[2:3]
	v_fmac_f64_e32 v[4:5], v[2:3], v[6:7]
	s_delay_alu instid0(VALU_DEP_1) | instskip(SKIP_1) | instid1(VALU_DEP_2)
	v_div_scale_f64 v[2:3], null, v[4:5], v[4:5], 1.0
	v_div_scale_f64 v[12:13], vcc_lo, 1.0, v[4:5], 1.0
	v_rcp_f64_e32 v[8:9], v[2:3]
	v_nop
	s_delay_alu instid0(TRANS32_DEP_1) | instskip(NEXT) | instid1(VALU_DEP_1)
	v_fma_f64 v[10:11], -v[2:3], v[8:9], 1.0
	v_fmac_f64_e32 v[8:9], v[8:9], v[10:11]
	s_delay_alu instid0(VALU_DEP_1) | instskip(NEXT) | instid1(VALU_DEP_1)
	v_fma_f64 v[10:11], -v[2:3], v[8:9], 1.0
	v_fmac_f64_e32 v[8:9], v[8:9], v[10:11]
	s_delay_alu instid0(VALU_DEP_1) | instskip(NEXT) | instid1(VALU_DEP_1)
	v_mul_f64_e32 v[10:11], v[12:13], v[8:9]
	v_fma_f64 v[2:3], -v[2:3], v[10:11], v[12:13]
	s_delay_alu instid0(VALU_DEP_1) | instskip(NEXT) | instid1(VALU_DEP_1)
	v_div_fmas_f64 v[2:3], v[2:3], v[8:9], v[10:11]
	v_div_fixup_f64 v[8:9], v[2:3], v[4:5], 1.0
                                        ; implicit-def: $vgpr2_vgpr3
	s_delay_alu instid0(VALU_DEP_1) | instskip(SKIP_1) | instid1(VALU_DEP_2)
	v_mul_f64_e32 v[6:7], v[6:7], v[8:9]
	v_xor_b32_e32 v9, 0x80000000, v9
	v_xor_b32_e32 v11, 0x80000000, v7
	s_delay_alu instid0(VALU_DEP_3)
	v_mov_b32_e32 v10, v6
.LBB25_15:
	s_and_not1_saveexec_b32 s3, s3
	s_cbranch_execz .LBB25_17
; %bb.16:
	v_div_scale_f64 v[6:7], null, v[2:3], v[2:3], v[4:5]
	v_div_scale_f64 v[12:13], vcc_lo, v[4:5], v[2:3], v[4:5]
	s_delay_alu instid0(VALU_DEP_2) | instskip(SKIP_1) | instid1(TRANS32_DEP_1)
	v_rcp_f64_e32 v[8:9], v[6:7]
	v_nop
	v_fma_f64 v[10:11], -v[6:7], v[8:9], 1.0
	s_delay_alu instid0(VALU_DEP_1) | instskip(NEXT) | instid1(VALU_DEP_1)
	v_fmac_f64_e32 v[8:9], v[8:9], v[10:11]
	v_fma_f64 v[10:11], -v[6:7], v[8:9], 1.0
	s_delay_alu instid0(VALU_DEP_1) | instskip(NEXT) | instid1(VALU_DEP_1)
	v_fmac_f64_e32 v[8:9], v[8:9], v[10:11]
	v_mul_f64_e32 v[10:11], v[12:13], v[8:9]
	s_delay_alu instid0(VALU_DEP_1) | instskip(NEXT) | instid1(VALU_DEP_1)
	v_fma_f64 v[6:7], -v[6:7], v[10:11], v[12:13]
	v_div_fmas_f64 v[6:7], v[6:7], v[8:9], v[10:11]
	s_delay_alu instid0(VALU_DEP_1) | instskip(NEXT) | instid1(VALU_DEP_1)
	v_div_fixup_f64 v[8:9], v[6:7], v[2:3], v[4:5]
	v_fmac_f64_e32 v[2:3], v[4:5], v[8:9]
	s_delay_alu instid0(VALU_DEP_1) | instskip(NEXT) | instid1(VALU_DEP_1)
	v_div_scale_f64 v[4:5], null, v[2:3], v[2:3], 1.0
	v_rcp_f64_e32 v[6:7], v[4:5]
	v_nop
	s_delay_alu instid0(TRANS32_DEP_1) | instskip(NEXT) | instid1(VALU_DEP_1)
	v_fma_f64 v[10:11], -v[4:5], v[6:7], 1.0
	v_fmac_f64_e32 v[6:7], v[6:7], v[10:11]
	s_delay_alu instid0(VALU_DEP_1) | instskip(NEXT) | instid1(VALU_DEP_1)
	v_fma_f64 v[10:11], -v[4:5], v[6:7], 1.0
	v_fmac_f64_e32 v[6:7], v[6:7], v[10:11]
	v_div_scale_f64 v[10:11], vcc_lo, 1.0, v[2:3], 1.0
	s_delay_alu instid0(VALU_DEP_1) | instskip(NEXT) | instid1(VALU_DEP_1)
	v_mul_f64_e32 v[12:13], v[10:11], v[6:7]
	v_fma_f64 v[4:5], -v[4:5], v[12:13], v[10:11]
	s_delay_alu instid0(VALU_DEP_1) | instskip(NEXT) | instid1(VALU_DEP_1)
	v_div_fmas_f64 v[4:5], v[4:5], v[6:7], v[12:13]
	v_div_fixup_f64 v[6:7], v[4:5], v[2:3], 1.0
	s_delay_alu instid0(VALU_DEP_1)
	v_mul_f64_e64 v[8:9], v[8:9], -v[6:7]
	v_xor_b32_e32 v11, 0x80000000, v7
	v_mov_b32_e32 v10, v6
.LBB25_17:
	s_or_b32 exec_lo, exec_lo, s3
	s_clause 0x1
	scratch_store_b128 v19, v[6:9], off
	scratch_load_b128 v[2:5], off, s24
	v_xor_b32_e32 v13, 0x80000000, v9
	v_mov_b32_e32 v12, v8
	s_wait_xcnt 0x1
	v_add_nc_u32_e32 v6, 0x1a0, v66
	ds_store_b128 v66, v[10:13]
	s_wait_loadcnt 0x0
	ds_store_b128 v66, v[2:5] offset:416
	s_wait_storecnt_dscnt 0x0
	s_barrier_signal -1
	s_barrier_wait -1
	s_wait_xcnt 0x0
	s_and_saveexec_b32 s3, s2
	s_cbranch_execz .LBB25_19
; %bb.18:
	scratch_load_b128 v[2:5], v19, off
	ds_load_b128 v[8:11], v6
	v_mov_b32_e32 v7, 0
	ds_load_b128 v[68:71], v7 offset:16
	s_wait_loadcnt_dscnt 0x1
	v_mul_f64_e32 v[12:13], v[8:9], v[4:5]
	v_mul_f64_e32 v[4:5], v[10:11], v[4:5]
	s_delay_alu instid0(VALU_DEP_2) | instskip(NEXT) | instid1(VALU_DEP_2)
	v_fmac_f64_e32 v[12:13], v[10:11], v[2:3]
	v_fma_f64 v[2:3], v[8:9], v[2:3], -v[4:5]
	s_delay_alu instid0(VALU_DEP_2) | instskip(NEXT) | instid1(VALU_DEP_2)
	v_add_f64_e32 v[8:9], 0, v[12:13]
	v_add_f64_e32 v[2:3], 0, v[2:3]
	s_wait_dscnt 0x0
	s_delay_alu instid0(VALU_DEP_2) | instskip(NEXT) | instid1(VALU_DEP_2)
	v_mul_f64_e32 v[10:11], v[8:9], v[70:71]
	v_mul_f64_e32 v[4:5], v[2:3], v[70:71]
	s_delay_alu instid0(VALU_DEP_2) | instskip(NEXT) | instid1(VALU_DEP_2)
	v_fma_f64 v[2:3], v[2:3], v[68:69], -v[10:11]
	v_fmac_f64_e32 v[4:5], v[8:9], v[68:69]
	scratch_store_b128 off, v[2:5], off offset:16
.LBB25_19:
	s_wait_xcnt 0x0
	s_or_b32 exec_lo, exec_lo, s3
	s_wait_storecnt 0x0
	s_barrier_signal -1
	s_barrier_wait -1
	scratch_load_b128 v[2:5], off, s21
	s_mov_b32 s3, exec_lo
	s_wait_loadcnt 0x0
	ds_store_b128 v6, v[2:5]
	s_wait_dscnt 0x0
	s_barrier_signal -1
	s_barrier_wait -1
	v_cmpx_gt_u32_e32 2, v1
	s_cbranch_execz .LBB25_23
; %bb.20:
	scratch_load_b128 v[2:5], v19, off
	ds_load_b128 v[8:11], v6
	s_wait_loadcnt_dscnt 0x0
	v_mul_f64_e32 v[12:13], v[10:11], v[4:5]
	v_mul_f64_e32 v[68:69], v[8:9], v[4:5]
	s_delay_alu instid0(VALU_DEP_2) | instskip(NEXT) | instid1(VALU_DEP_2)
	v_fma_f64 v[4:5], v[8:9], v[2:3], -v[12:13]
	v_fmac_f64_e32 v[68:69], v[10:11], v[2:3]
	s_delay_alu instid0(VALU_DEP_2) | instskip(NEXT) | instid1(VALU_DEP_2)
	v_add_f64_e32 v[4:5], 0, v[4:5]
	v_add_f64_e32 v[2:3], 0, v[68:69]
	s_and_saveexec_b32 s39, s2
	s_cbranch_execz .LBB25_22
; %bb.21:
	scratch_load_b128 v[8:11], off, off offset:16
	v_mov_b32_e32 v7, 0
	ds_load_b128 v[68:71], v7 offset:432
	s_wait_loadcnt_dscnt 0x0
	v_mul_f64_e32 v[12:13], v[68:69], v[10:11]
	v_mul_f64_e32 v[10:11], v[70:71], v[10:11]
	s_delay_alu instid0(VALU_DEP_2) | instskip(NEXT) | instid1(VALU_DEP_2)
	v_fmac_f64_e32 v[12:13], v[70:71], v[8:9]
	v_fma_f64 v[8:9], v[68:69], v[8:9], -v[10:11]
	s_delay_alu instid0(VALU_DEP_2) | instskip(NEXT) | instid1(VALU_DEP_2)
	v_add_f64_e32 v[2:3], v[2:3], v[12:13]
	v_add_f64_e32 v[4:5], v[4:5], v[8:9]
.LBB25_22:
	s_or_b32 exec_lo, exec_lo, s39
	v_mov_b32_e32 v7, 0
	ds_load_b128 v[8:11], v7 offset:32
	s_wait_dscnt 0x0
	v_mul_f64_e32 v[68:69], v[2:3], v[10:11]
	v_mul_f64_e32 v[12:13], v[4:5], v[10:11]
	s_delay_alu instid0(VALU_DEP_2) | instskip(NEXT) | instid1(VALU_DEP_2)
	v_fma_f64 v[10:11], v[4:5], v[8:9], -v[68:69]
	v_fmac_f64_e32 v[12:13], v[2:3], v[8:9]
	scratch_store_b128 off, v[10:13], off offset:32
.LBB25_23:
	s_wait_xcnt 0x0
	s_or_b32 exec_lo, exec_lo, s3
	s_wait_storecnt 0x0
	s_barrier_signal -1
	s_barrier_wait -1
	scratch_load_b128 v[2:5], off, s22
	v_add_nc_u32_e32 v7, -1, v1
	s_mov_b32 s2, exec_lo
	s_wait_loadcnt 0x0
	ds_store_b128 v6, v[2:5]
	s_wait_dscnt 0x0
	s_barrier_signal -1
	s_barrier_wait -1
	v_cmpx_gt_u32_e32 3, v1
	s_cbranch_execz .LBB25_27
; %bb.24:
	v_dual_mov_b32 v10, v66 :: v_dual_add_nc_u32 v8, -1, v1
	v_mov_b64_e32 v[2:3], 0
	v_mov_b64_e32 v[4:5], 0
	v_add_nc_u32_e32 v9, 0x1a0, v66
	s_delay_alu instid0(VALU_DEP_4)
	v_or_b32_e32 v10, 8, v10
	s_mov_b32 s3, 0
.LBB25_25:                              ; =>This Inner Loop Header: Depth=1
	scratch_load_b128 v[68:71], v10, off offset:-8
	ds_load_b128 v[72:75], v9
	v_dual_add_nc_u32 v8, 1, v8 :: v_dual_add_nc_u32 v9, 16, v9
	s_wait_xcnt 0x0
	v_add_nc_u32_e32 v10, 16, v10
	s_delay_alu instid0(VALU_DEP_2) | instskip(SKIP_4) | instid1(VALU_DEP_2)
	v_cmp_lt_u32_e32 vcc_lo, 1, v8
	s_or_b32 s3, vcc_lo, s3
	s_wait_loadcnt_dscnt 0x0
	v_mul_f64_e32 v[12:13], v[74:75], v[70:71]
	v_mul_f64_e32 v[70:71], v[72:73], v[70:71]
	v_fma_f64 v[12:13], v[72:73], v[68:69], -v[12:13]
	s_delay_alu instid0(VALU_DEP_2) | instskip(NEXT) | instid1(VALU_DEP_2)
	v_fmac_f64_e32 v[70:71], v[74:75], v[68:69]
	v_add_f64_e32 v[4:5], v[4:5], v[12:13]
	s_delay_alu instid0(VALU_DEP_2)
	v_add_f64_e32 v[2:3], v[2:3], v[70:71]
	s_and_not1_b32 exec_lo, exec_lo, s3
	s_cbranch_execnz .LBB25_25
; %bb.26:
	s_or_b32 exec_lo, exec_lo, s3
	v_mov_b32_e32 v8, 0
	ds_load_b128 v[8:11], v8 offset:48
	s_wait_dscnt 0x0
	v_mul_f64_e32 v[68:69], v[2:3], v[10:11]
	v_mul_f64_e32 v[12:13], v[4:5], v[10:11]
	s_delay_alu instid0(VALU_DEP_2) | instskip(NEXT) | instid1(VALU_DEP_2)
	v_fma_f64 v[10:11], v[4:5], v[8:9], -v[68:69]
	v_fmac_f64_e32 v[12:13], v[2:3], v[8:9]
	scratch_store_b128 off, v[10:13], off offset:48
.LBB25_27:
	s_wait_xcnt 0x0
	s_or_b32 exec_lo, exec_lo, s2
	s_wait_storecnt 0x0
	s_barrier_signal -1
	s_barrier_wait -1
	scratch_load_b128 v[2:5], off, s23
	s_mov_b32 s2, exec_lo
	s_wait_loadcnt 0x0
	ds_store_b128 v6, v[2:5]
	s_wait_dscnt 0x0
	s_barrier_signal -1
	s_barrier_wait -1
	v_cmpx_gt_u32_e32 4, v1
	s_cbranch_execz .LBB25_31
; %bb.28:
	v_dual_mov_b32 v10, v66 :: v_dual_add_nc_u32 v8, -1, v1
	v_mov_b64_e32 v[2:3], 0
	v_mov_b64_e32 v[4:5], 0
	v_add_nc_u32_e32 v9, 0x1a0, v66
	s_delay_alu instid0(VALU_DEP_4)
	v_or_b32_e32 v10, 8, v10
	s_mov_b32 s3, 0
.LBB25_29:                              ; =>This Inner Loop Header: Depth=1
	scratch_load_b128 v[68:71], v10, off offset:-8
	ds_load_b128 v[72:75], v9
	v_dual_add_nc_u32 v8, 1, v8 :: v_dual_add_nc_u32 v9, 16, v9
	s_wait_xcnt 0x0
	v_add_nc_u32_e32 v10, 16, v10
	s_delay_alu instid0(VALU_DEP_2) | instskip(SKIP_4) | instid1(VALU_DEP_2)
	v_cmp_lt_u32_e32 vcc_lo, 2, v8
	s_or_b32 s3, vcc_lo, s3
	s_wait_loadcnt_dscnt 0x0
	v_mul_f64_e32 v[12:13], v[74:75], v[70:71]
	v_mul_f64_e32 v[70:71], v[72:73], v[70:71]
	v_fma_f64 v[12:13], v[72:73], v[68:69], -v[12:13]
	s_delay_alu instid0(VALU_DEP_2) | instskip(NEXT) | instid1(VALU_DEP_2)
	v_fmac_f64_e32 v[70:71], v[74:75], v[68:69]
	v_add_f64_e32 v[4:5], v[4:5], v[12:13]
	s_delay_alu instid0(VALU_DEP_2)
	v_add_f64_e32 v[2:3], v[2:3], v[70:71]
	s_and_not1_b32 exec_lo, exec_lo, s3
	s_cbranch_execnz .LBB25_29
; %bb.30:
	s_or_b32 exec_lo, exec_lo, s3
	v_mov_b32_e32 v8, 0
	ds_load_b128 v[8:11], v8 offset:64
	s_wait_dscnt 0x0
	v_mul_f64_e32 v[68:69], v[2:3], v[10:11]
	v_mul_f64_e32 v[12:13], v[4:5], v[10:11]
	s_delay_alu instid0(VALU_DEP_2) | instskip(NEXT) | instid1(VALU_DEP_2)
	v_fma_f64 v[10:11], v[4:5], v[8:9], -v[68:69]
	v_fmac_f64_e32 v[12:13], v[2:3], v[8:9]
	scratch_store_b128 off, v[10:13], off offset:64
.LBB25_31:
	s_wait_xcnt 0x0
	s_or_b32 exec_lo, exec_lo, s2
	s_wait_storecnt 0x0
	s_barrier_signal -1
	s_barrier_wait -1
	scratch_load_b128 v[2:5], off, s28
	;; [unrolled: 54-line block ×19, first 2 shown]
	s_mov_b32 s2, exec_lo
	s_wait_loadcnt 0x0
	ds_store_b128 v6, v[2:5]
	s_wait_dscnt 0x0
	s_barrier_signal -1
	s_barrier_wait -1
	v_cmpx_gt_u32_e32 22, v1
	s_cbranch_execz .LBB25_103
; %bb.100:
	v_dual_mov_b32 v10, v66 :: v_dual_add_nc_u32 v8, -1, v1
	v_mov_b64_e32 v[2:3], 0
	v_mov_b64_e32 v[4:5], 0
	v_add_nc_u32_e32 v9, 0x1a0, v66
	s_delay_alu instid0(VALU_DEP_4)
	v_or_b32_e32 v10, 8, v10
	s_mov_b32 s3, 0
.LBB25_101:                             ; =>This Inner Loop Header: Depth=1
	scratch_load_b128 v[68:71], v10, off offset:-8
	ds_load_b128 v[72:75], v9
	v_dual_add_nc_u32 v8, 1, v8 :: v_dual_add_nc_u32 v9, 16, v9
	s_wait_xcnt 0x0
	v_add_nc_u32_e32 v10, 16, v10
	s_delay_alu instid0(VALU_DEP_2) | instskip(SKIP_4) | instid1(VALU_DEP_2)
	v_cmp_lt_u32_e32 vcc_lo, 20, v8
	s_or_b32 s3, vcc_lo, s3
	s_wait_loadcnt_dscnt 0x0
	v_mul_f64_e32 v[12:13], v[74:75], v[70:71]
	v_mul_f64_e32 v[70:71], v[72:73], v[70:71]
	v_fma_f64 v[12:13], v[72:73], v[68:69], -v[12:13]
	s_delay_alu instid0(VALU_DEP_2) | instskip(NEXT) | instid1(VALU_DEP_2)
	v_fmac_f64_e32 v[70:71], v[74:75], v[68:69]
	v_add_f64_e32 v[4:5], v[4:5], v[12:13]
	s_delay_alu instid0(VALU_DEP_2)
	v_add_f64_e32 v[2:3], v[2:3], v[70:71]
	s_and_not1_b32 exec_lo, exec_lo, s3
	s_cbranch_execnz .LBB25_101
; %bb.102:
	s_or_b32 exec_lo, exec_lo, s3
	v_mov_b32_e32 v8, 0
	ds_load_b128 v[8:11], v8 offset:352
	s_wait_dscnt 0x0
	v_mul_f64_e32 v[68:69], v[2:3], v[10:11]
	v_mul_f64_e32 v[12:13], v[4:5], v[10:11]
	s_delay_alu instid0(VALU_DEP_2) | instskip(NEXT) | instid1(VALU_DEP_2)
	v_fma_f64 v[10:11], v[4:5], v[8:9], -v[68:69]
	v_fmac_f64_e32 v[12:13], v[2:3], v[8:9]
	scratch_store_b128 off, v[10:13], off offset:352
.LBB25_103:
	s_wait_xcnt 0x0
	s_or_b32 exec_lo, exec_lo, s2
	s_wait_storecnt 0x0
	s_barrier_signal -1
	s_barrier_wait -1
	scratch_load_b128 v[2:5], off, s12
	s_mov_b32 s2, exec_lo
	s_wait_loadcnt 0x0
	ds_store_b128 v6, v[2:5]
	s_wait_dscnt 0x0
	s_barrier_signal -1
	s_barrier_wait -1
	v_cmpx_gt_u32_e32 23, v1
	s_cbranch_execz .LBB25_107
; %bb.104:
	v_dual_mov_b32 v10, v66 :: v_dual_add_nc_u32 v8, -1, v1
	v_mov_b64_e32 v[2:3], 0
	v_mov_b64_e32 v[4:5], 0
	v_add_nc_u32_e32 v9, 0x1a0, v66
	s_delay_alu instid0(VALU_DEP_4)
	v_or_b32_e32 v10, 8, v10
	s_mov_b32 s3, 0
.LBB25_105:                             ; =>This Inner Loop Header: Depth=1
	scratch_load_b128 v[68:71], v10, off offset:-8
	ds_load_b128 v[72:75], v9
	v_dual_add_nc_u32 v8, 1, v8 :: v_dual_add_nc_u32 v9, 16, v9
	s_wait_xcnt 0x0
	v_add_nc_u32_e32 v10, 16, v10
	s_delay_alu instid0(VALU_DEP_2) | instskip(SKIP_4) | instid1(VALU_DEP_2)
	v_cmp_lt_u32_e32 vcc_lo, 21, v8
	s_or_b32 s3, vcc_lo, s3
	s_wait_loadcnt_dscnt 0x0
	v_mul_f64_e32 v[12:13], v[74:75], v[70:71]
	v_mul_f64_e32 v[70:71], v[72:73], v[70:71]
	v_fma_f64 v[12:13], v[72:73], v[68:69], -v[12:13]
	s_delay_alu instid0(VALU_DEP_2) | instskip(NEXT) | instid1(VALU_DEP_2)
	v_fmac_f64_e32 v[70:71], v[74:75], v[68:69]
	v_add_f64_e32 v[4:5], v[4:5], v[12:13]
	s_delay_alu instid0(VALU_DEP_2)
	v_add_f64_e32 v[2:3], v[2:3], v[70:71]
	s_and_not1_b32 exec_lo, exec_lo, s3
	s_cbranch_execnz .LBB25_105
; %bb.106:
	s_or_b32 exec_lo, exec_lo, s3
	v_mov_b32_e32 v8, 0
	ds_load_b128 v[8:11], v8 offset:368
	s_wait_dscnt 0x0
	v_mul_f64_e32 v[68:69], v[2:3], v[10:11]
	v_mul_f64_e32 v[12:13], v[4:5], v[10:11]
	s_delay_alu instid0(VALU_DEP_2) | instskip(NEXT) | instid1(VALU_DEP_2)
	v_fma_f64 v[10:11], v[4:5], v[8:9], -v[68:69]
	v_fmac_f64_e32 v[12:13], v[2:3], v[8:9]
	scratch_store_b128 off, v[10:13], off offset:368
.LBB25_107:
	s_wait_xcnt 0x0
	s_or_b32 exec_lo, exec_lo, s2
	s_wait_storecnt 0x0
	s_barrier_signal -1
	s_barrier_wait -1
	scratch_load_b128 v[2:5], off, s13
	;; [unrolled: 54-line block ×3, first 2 shown]
	s_mov_b32 s2, exec_lo
	s_wait_loadcnt 0x0
	ds_store_b128 v6, v[2:5]
	s_wait_dscnt 0x0
	s_barrier_signal -1
	s_barrier_wait -1
	v_cmpx_ne_u32_e32 25, v1
	s_cbranch_execz .LBB25_115
; %bb.112:
	v_mov_b32_e32 v8, v66
	v_mov_b64_e32 v[2:3], 0
	v_mov_b64_e32 v[4:5], 0
	s_mov_b32 s3, 0
	s_delay_alu instid0(VALU_DEP_3)
	v_or_b32_e32 v8, 8, v8
.LBB25_113:                             ; =>This Inner Loop Header: Depth=1
	scratch_load_b128 v[10:13], v8, off offset:-8
	ds_load_b128 v[66:69], v6
	v_dual_add_nc_u32 v7, 1, v7 :: v_dual_add_nc_u32 v6, 16, v6
	s_wait_xcnt 0x0
	v_add_nc_u32_e32 v8, 16, v8
	s_delay_alu instid0(VALU_DEP_2) | instskip(SKIP_4) | instid1(VALU_DEP_2)
	v_cmp_lt_u32_e32 vcc_lo, 23, v7
	s_or_b32 s3, vcc_lo, s3
	s_wait_loadcnt_dscnt 0x0
	v_mul_f64_e32 v[70:71], v[68:69], v[12:13]
	v_mul_f64_e32 v[12:13], v[66:67], v[12:13]
	v_fma_f64 v[66:67], v[66:67], v[10:11], -v[70:71]
	s_delay_alu instid0(VALU_DEP_2) | instskip(NEXT) | instid1(VALU_DEP_2)
	v_fmac_f64_e32 v[12:13], v[68:69], v[10:11]
	v_add_f64_e32 v[4:5], v[4:5], v[66:67]
	s_delay_alu instid0(VALU_DEP_2)
	v_add_f64_e32 v[2:3], v[2:3], v[12:13]
	s_and_not1_b32 exec_lo, exec_lo, s3
	s_cbranch_execnz .LBB25_113
; %bb.114:
	s_or_b32 exec_lo, exec_lo, s3
	v_mov_b32_e32 v6, 0
	ds_load_b128 v[6:9], v6 offset:400
	s_wait_dscnt 0x0
	v_mul_f64_e32 v[12:13], v[2:3], v[8:9]
	v_mul_f64_e32 v[10:11], v[4:5], v[8:9]
	s_delay_alu instid0(VALU_DEP_2) | instskip(NEXT) | instid1(VALU_DEP_2)
	v_fma_f64 v[8:9], v[4:5], v[6:7], -v[12:13]
	v_fmac_f64_e32 v[10:11], v[2:3], v[6:7]
	scratch_store_b128 off, v[8:11], off offset:400
.LBB25_115:
	s_wait_xcnt 0x0
	s_or_b32 exec_lo, exec_lo, s2
	s_mov_b32 s3, -1
	s_wait_storecnt 0x0
	s_barrier_signal -1
	s_barrier_wait -1
.LBB25_116:
	s_and_b32 vcc_lo, exec_lo, s3
	s_cbranch_vccz .LBB25_118
; %bb.117:
	s_wait_xcnt 0x7
	v_mov_b32_e32 v2, 0
	s_lshl_b64 s[2:3], s[18:19], 2
	s_delay_alu instid0(SALU_CYCLE_1)
	s_add_nc_u64 s[2:3], s[6:7], s[2:3]
	global_load_b32 v2, v2, s[2:3]
	s_wait_loadcnt 0x0
	v_cmp_ne_u32_e32 vcc_lo, 0, v2
	s_cbranch_vccz .LBB25_119
.LBB25_118:
	s_sendmsg sendmsg(MSG_DEALLOC_VGPRS)
	s_endpgm
.LBB25_119:
	s_wait_xcnt 0x7
	v_lshl_add_u32 v6, v1, 4, 0x1a0
	s_wait_xcnt 0x0
	s_mov_b32 s2, exec_lo
	v_cmpx_eq_u32_e32 25, v1
	s_cbranch_execz .LBB25_121
; %bb.120:
	scratch_load_b128 v[2:5], off, s13
	v_mov_b32_e32 v8, 0
	s_delay_alu instid0(VALU_DEP_1)
	v_dual_mov_b32 v9, v8 :: v_dual_mov_b32 v10, v8
	v_mov_b32_e32 v11, v8
	scratch_store_b128 off, v[8:11], off offset:384
	s_wait_loadcnt 0x0
	ds_store_b128 v6, v[2:5]
.LBB25_121:
	s_wait_xcnt 0x0
	s_or_b32 exec_lo, exec_lo, s2
	s_wait_storecnt_dscnt 0x0
	s_barrier_signal -1
	s_barrier_wait -1
	s_clause 0x1
	scratch_load_b128 v[8:11], off, off offset:400
	scratch_load_b128 v[66:69], off, off offset:384
	v_mov_b32_e32 v2, 0
	s_mov_b32 s2, exec_lo
	ds_load_b128 v[70:73], v2 offset:816
	s_wait_loadcnt_dscnt 0x100
	v_mul_f64_e32 v[4:5], v[72:73], v[10:11]
	v_mul_f64_e32 v[10:11], v[70:71], v[10:11]
	s_delay_alu instid0(VALU_DEP_2) | instskip(NEXT) | instid1(VALU_DEP_2)
	v_fma_f64 v[4:5], v[70:71], v[8:9], -v[4:5]
	v_fmac_f64_e32 v[10:11], v[72:73], v[8:9]
	s_delay_alu instid0(VALU_DEP_2) | instskip(NEXT) | instid1(VALU_DEP_2)
	v_add_f64_e32 v[4:5], 0, v[4:5]
	v_add_f64_e32 v[10:11], 0, v[10:11]
	s_wait_loadcnt 0x0
	s_delay_alu instid0(VALU_DEP_2) | instskip(NEXT) | instid1(VALU_DEP_2)
	v_add_f64_e64 v[8:9], v[66:67], -v[4:5]
	v_add_f64_e64 v[10:11], v[68:69], -v[10:11]
	scratch_store_b128 off, v[8:11], off offset:384
	s_wait_xcnt 0x0
	v_cmpx_lt_u32_e32 23, v1
	s_cbranch_execz .LBB25_123
; %bb.122:
	scratch_load_b128 v[8:11], off, s12
	v_dual_mov_b32 v3, v2 :: v_dual_mov_b32 v4, v2
	v_mov_b32_e32 v5, v2
	scratch_store_b128 off, v[2:5], off offset:368
	s_wait_loadcnt 0x0
	ds_store_b128 v6, v[8:11]
.LBB25_123:
	s_wait_xcnt 0x0
	s_or_b32 exec_lo, exec_lo, s2
	s_wait_storecnt_dscnt 0x0
	s_barrier_signal -1
	s_barrier_wait -1
	s_clause 0x2
	scratch_load_b128 v[8:11], off, off offset:384
	scratch_load_b128 v[66:69], off, off offset:400
	;; [unrolled: 1-line block ×3, first 2 shown]
	ds_load_b128 v[74:77], v2 offset:800
	ds_load_b128 v[2:5], v2 offset:816
	s_mov_b32 s2, exec_lo
	s_wait_loadcnt_dscnt 0x201
	v_mul_f64_e32 v[12:13], v[76:77], v[10:11]
	v_mul_f64_e32 v[10:11], v[74:75], v[10:11]
	s_wait_loadcnt_dscnt 0x100
	v_mul_f64_e32 v[78:79], v[2:3], v[68:69]
	v_mul_f64_e32 v[68:69], v[4:5], v[68:69]
	s_delay_alu instid0(VALU_DEP_4) | instskip(NEXT) | instid1(VALU_DEP_4)
	v_fma_f64 v[12:13], v[74:75], v[8:9], -v[12:13]
	v_fmac_f64_e32 v[10:11], v[76:77], v[8:9]
	s_delay_alu instid0(VALU_DEP_4) | instskip(NEXT) | instid1(VALU_DEP_4)
	v_fmac_f64_e32 v[78:79], v[4:5], v[66:67]
	v_fma_f64 v[2:3], v[2:3], v[66:67], -v[68:69]
	s_delay_alu instid0(VALU_DEP_4) | instskip(NEXT) | instid1(VALU_DEP_4)
	v_add_f64_e32 v[4:5], 0, v[12:13]
	v_add_f64_e32 v[8:9], 0, v[10:11]
	s_delay_alu instid0(VALU_DEP_2) | instskip(NEXT) | instid1(VALU_DEP_2)
	v_add_f64_e32 v[2:3], v[4:5], v[2:3]
	v_add_f64_e32 v[4:5], v[8:9], v[78:79]
	s_wait_loadcnt 0x0
	s_delay_alu instid0(VALU_DEP_2) | instskip(NEXT) | instid1(VALU_DEP_2)
	v_add_f64_e64 v[2:3], v[70:71], -v[2:3]
	v_add_f64_e64 v[4:5], v[72:73], -v[4:5]
	scratch_store_b128 off, v[2:5], off offset:368
	s_wait_xcnt 0x0
	v_cmpx_lt_u32_e32 22, v1
	s_cbranch_execz .LBB25_125
; %bb.124:
	scratch_load_b128 v[2:5], off, s15
	v_mov_b32_e32 v8, 0
	s_delay_alu instid0(VALU_DEP_1)
	v_dual_mov_b32 v9, v8 :: v_dual_mov_b32 v10, v8
	v_mov_b32_e32 v11, v8
	scratch_store_b128 off, v[8:11], off offset:352
	s_wait_loadcnt 0x0
	ds_store_b128 v6, v[2:5]
.LBB25_125:
	s_wait_xcnt 0x0
	s_or_b32 exec_lo, exec_lo, s2
	s_wait_storecnt_dscnt 0x0
	s_barrier_signal -1
	s_barrier_wait -1
	s_clause 0x3
	scratch_load_b128 v[8:11], off, off offset:368
	scratch_load_b128 v[66:69], off, off offset:384
	;; [unrolled: 1-line block ×4, first 2 shown]
	v_mov_b32_e32 v2, 0
	ds_load_b128 v[78:81], v2 offset:784
	ds_load_b128 v[82:85], v2 offset:800
	s_mov_b32 s2, exec_lo
	s_wait_loadcnt_dscnt 0x301
	v_mul_f64_e32 v[4:5], v[80:81], v[10:11]
	v_mul_f64_e32 v[12:13], v[78:79], v[10:11]
	s_wait_loadcnt_dscnt 0x200
	v_mul_f64_e32 v[86:87], v[82:83], v[68:69]
	v_mul_f64_e32 v[68:69], v[84:85], v[68:69]
	s_delay_alu instid0(VALU_DEP_4) | instskip(NEXT) | instid1(VALU_DEP_4)
	v_fma_f64 v[4:5], v[78:79], v[8:9], -v[4:5]
	v_fmac_f64_e32 v[12:13], v[80:81], v[8:9]
	ds_load_b128 v[8:11], v2 offset:816
	v_fmac_f64_e32 v[86:87], v[84:85], v[66:67]
	v_fma_f64 v[66:67], v[82:83], v[66:67], -v[68:69]
	s_wait_loadcnt_dscnt 0x100
	v_mul_f64_e32 v[78:79], v[8:9], v[72:73]
	v_mul_f64_e32 v[72:73], v[10:11], v[72:73]
	v_add_f64_e32 v[4:5], 0, v[4:5]
	v_add_f64_e32 v[12:13], 0, v[12:13]
	s_delay_alu instid0(VALU_DEP_4) | instskip(NEXT) | instid1(VALU_DEP_4)
	v_fmac_f64_e32 v[78:79], v[10:11], v[70:71]
	v_fma_f64 v[8:9], v[8:9], v[70:71], -v[72:73]
	s_delay_alu instid0(VALU_DEP_4) | instskip(NEXT) | instid1(VALU_DEP_4)
	v_add_f64_e32 v[4:5], v[4:5], v[66:67]
	v_add_f64_e32 v[10:11], v[12:13], v[86:87]
	s_delay_alu instid0(VALU_DEP_2) | instskip(NEXT) | instid1(VALU_DEP_2)
	v_add_f64_e32 v[4:5], v[4:5], v[8:9]
	v_add_f64_e32 v[10:11], v[10:11], v[78:79]
	s_wait_loadcnt 0x0
	s_delay_alu instid0(VALU_DEP_2) | instskip(NEXT) | instid1(VALU_DEP_2)
	v_add_f64_e64 v[8:9], v[74:75], -v[4:5]
	v_add_f64_e64 v[10:11], v[76:77], -v[10:11]
	scratch_store_b128 off, v[8:11], off offset:352
	s_wait_xcnt 0x0
	v_cmpx_lt_u32_e32 21, v1
	s_cbranch_execz .LBB25_127
; %bb.126:
	scratch_load_b128 v[8:11], off, s14
	v_dual_mov_b32 v3, v2 :: v_dual_mov_b32 v4, v2
	v_mov_b32_e32 v5, v2
	scratch_store_b128 off, v[2:5], off offset:336
	s_wait_loadcnt 0x0
	ds_store_b128 v6, v[8:11]
.LBB25_127:
	s_wait_xcnt 0x0
	s_or_b32 exec_lo, exec_lo, s2
	s_wait_storecnt_dscnt 0x0
	s_barrier_signal -1
	s_barrier_wait -1
	s_clause 0x4
	scratch_load_b128 v[8:11], off, off offset:352
	scratch_load_b128 v[66:69], off, off offset:368
	;; [unrolled: 1-line block ×5, first 2 shown]
	ds_load_b128 v[82:85], v2 offset:768
	ds_load_b128 v[86:89], v2 offset:784
	s_mov_b32 s2, exec_lo
	s_wait_loadcnt_dscnt 0x401
	v_mul_f64_e32 v[4:5], v[84:85], v[10:11]
	v_mul_f64_e32 v[12:13], v[82:83], v[10:11]
	s_wait_loadcnt_dscnt 0x300
	v_mul_f64_e32 v[90:91], v[86:87], v[68:69]
	v_mul_f64_e32 v[68:69], v[88:89], v[68:69]
	s_delay_alu instid0(VALU_DEP_4) | instskip(NEXT) | instid1(VALU_DEP_4)
	v_fma_f64 v[82:83], v[82:83], v[8:9], -v[4:5]
	v_fmac_f64_e32 v[12:13], v[84:85], v[8:9]
	ds_load_b128 v[8:11], v2 offset:800
	ds_load_b128 v[2:5], v2 offset:816
	v_fmac_f64_e32 v[90:91], v[88:89], v[66:67]
	v_fma_f64 v[66:67], v[86:87], v[66:67], -v[68:69]
	s_wait_loadcnt_dscnt 0x201
	v_mul_f64_e32 v[84:85], v[8:9], v[72:73]
	v_mul_f64_e32 v[72:73], v[10:11], v[72:73]
	v_add_f64_e32 v[68:69], 0, v[82:83]
	v_add_f64_e32 v[12:13], 0, v[12:13]
	s_wait_loadcnt_dscnt 0x100
	v_mul_f64_e32 v[82:83], v[2:3], v[76:77]
	v_mul_f64_e32 v[76:77], v[4:5], v[76:77]
	v_fmac_f64_e32 v[84:85], v[10:11], v[70:71]
	v_fma_f64 v[8:9], v[8:9], v[70:71], -v[72:73]
	v_add_f64_e32 v[10:11], v[68:69], v[66:67]
	v_add_f64_e32 v[12:13], v[12:13], v[90:91]
	v_fmac_f64_e32 v[82:83], v[4:5], v[74:75]
	v_fma_f64 v[2:3], v[2:3], v[74:75], -v[76:77]
	s_delay_alu instid0(VALU_DEP_4) | instskip(NEXT) | instid1(VALU_DEP_4)
	v_add_f64_e32 v[4:5], v[10:11], v[8:9]
	v_add_f64_e32 v[8:9], v[12:13], v[84:85]
	s_delay_alu instid0(VALU_DEP_2) | instskip(NEXT) | instid1(VALU_DEP_2)
	v_add_f64_e32 v[2:3], v[4:5], v[2:3]
	v_add_f64_e32 v[4:5], v[8:9], v[82:83]
	s_wait_loadcnt 0x0
	s_delay_alu instid0(VALU_DEP_2) | instskip(NEXT) | instid1(VALU_DEP_2)
	v_add_f64_e64 v[2:3], v[78:79], -v[2:3]
	v_add_f64_e64 v[4:5], v[80:81], -v[4:5]
	scratch_store_b128 off, v[2:5], off offset:336
	s_wait_xcnt 0x0
	v_cmpx_lt_u32_e32 20, v1
	s_cbranch_execz .LBB25_129
; %bb.128:
	scratch_load_b128 v[2:5], off, s20
	v_mov_b32_e32 v8, 0
	s_delay_alu instid0(VALU_DEP_1)
	v_dual_mov_b32 v9, v8 :: v_dual_mov_b32 v10, v8
	v_mov_b32_e32 v11, v8
	scratch_store_b128 off, v[8:11], off offset:320
	s_wait_loadcnt 0x0
	ds_store_b128 v6, v[2:5]
.LBB25_129:
	s_wait_xcnt 0x0
	s_or_b32 exec_lo, exec_lo, s2
	s_wait_storecnt_dscnt 0x0
	s_barrier_signal -1
	s_barrier_wait -1
	s_clause 0x5
	scratch_load_b128 v[8:11], off, off offset:336
	scratch_load_b128 v[66:69], off, off offset:352
	;; [unrolled: 1-line block ×6, first 2 shown]
	v_mov_b32_e32 v2, 0
	ds_load_b128 v[86:89], v2 offset:752
	ds_load_b128 v[90:93], v2 offset:768
	s_mov_b32 s2, exec_lo
	s_wait_loadcnt_dscnt 0x501
	v_mul_f64_e32 v[4:5], v[88:89], v[10:11]
	v_mul_f64_e32 v[12:13], v[86:87], v[10:11]
	s_wait_loadcnt_dscnt 0x400
	v_mul_f64_e32 v[94:95], v[90:91], v[68:69]
	v_mul_f64_e32 v[68:69], v[92:93], v[68:69]
	s_delay_alu instid0(VALU_DEP_4) | instskip(NEXT) | instid1(VALU_DEP_4)
	v_fma_f64 v[4:5], v[86:87], v[8:9], -v[4:5]
	v_fmac_f64_e32 v[12:13], v[88:89], v[8:9]
	ds_load_b128 v[8:11], v2 offset:784
	ds_load_b128 v[86:89], v2 offset:800
	v_fmac_f64_e32 v[94:95], v[92:93], v[66:67]
	v_fma_f64 v[66:67], v[90:91], v[66:67], -v[68:69]
	s_wait_loadcnt_dscnt 0x301
	v_mul_f64_e32 v[96:97], v[8:9], v[72:73]
	v_mul_f64_e32 v[72:73], v[10:11], v[72:73]
	s_wait_loadcnt_dscnt 0x200
	v_mul_f64_e32 v[68:69], v[86:87], v[76:77]
	v_mul_f64_e32 v[76:77], v[88:89], v[76:77]
	v_add_f64_e32 v[4:5], 0, v[4:5]
	v_add_f64_e32 v[12:13], 0, v[12:13]
	v_fmac_f64_e32 v[96:97], v[10:11], v[70:71]
	v_fma_f64 v[70:71], v[8:9], v[70:71], -v[72:73]
	ds_load_b128 v[8:11], v2 offset:816
	v_fmac_f64_e32 v[68:69], v[88:89], v[74:75]
	v_fma_f64 v[74:75], v[86:87], v[74:75], -v[76:77]
	v_add_f64_e32 v[4:5], v[4:5], v[66:67]
	v_add_f64_e32 v[12:13], v[12:13], v[94:95]
	s_wait_loadcnt_dscnt 0x100
	v_mul_f64_e32 v[66:67], v[8:9], v[80:81]
	v_mul_f64_e32 v[72:73], v[10:11], v[80:81]
	s_delay_alu instid0(VALU_DEP_4) | instskip(NEXT) | instid1(VALU_DEP_4)
	v_add_f64_e32 v[4:5], v[4:5], v[70:71]
	v_add_f64_e32 v[12:13], v[12:13], v[96:97]
	s_delay_alu instid0(VALU_DEP_4) | instskip(NEXT) | instid1(VALU_DEP_4)
	v_fmac_f64_e32 v[66:67], v[10:11], v[78:79]
	v_fma_f64 v[8:9], v[8:9], v[78:79], -v[72:73]
	s_delay_alu instid0(VALU_DEP_4) | instskip(NEXT) | instid1(VALU_DEP_4)
	v_add_f64_e32 v[4:5], v[4:5], v[74:75]
	v_add_f64_e32 v[10:11], v[12:13], v[68:69]
	s_delay_alu instid0(VALU_DEP_2) | instskip(NEXT) | instid1(VALU_DEP_2)
	v_add_f64_e32 v[4:5], v[4:5], v[8:9]
	v_add_f64_e32 v[10:11], v[10:11], v[66:67]
	s_wait_loadcnt 0x0
	s_delay_alu instid0(VALU_DEP_2) | instskip(NEXT) | instid1(VALU_DEP_2)
	v_add_f64_e64 v[8:9], v[82:83], -v[4:5]
	v_add_f64_e64 v[10:11], v[84:85], -v[10:11]
	scratch_store_b128 off, v[8:11], off offset:320
	s_wait_xcnt 0x0
	v_cmpx_lt_u32_e32 19, v1
	s_cbranch_execz .LBB25_131
; %bb.130:
	scratch_load_b128 v[8:11], off, s8
	v_dual_mov_b32 v3, v2 :: v_dual_mov_b32 v4, v2
	v_mov_b32_e32 v5, v2
	scratch_store_b128 off, v[2:5], off offset:304
	s_wait_loadcnt 0x0
	ds_store_b128 v6, v[8:11]
.LBB25_131:
	s_wait_xcnt 0x0
	s_or_b32 exec_lo, exec_lo, s2
	s_wait_storecnt_dscnt 0x0
	s_barrier_signal -1
	s_barrier_wait -1
	s_clause 0x6
	scratch_load_b128 v[8:11], off, off offset:320
	scratch_load_b128 v[66:69], off, off offset:336
	;; [unrolled: 1-line block ×7, first 2 shown]
	ds_load_b128 v[90:93], v2 offset:736
	ds_load_b128 v[94:97], v2 offset:752
	s_mov_b32 s2, exec_lo
	s_wait_loadcnt_dscnt 0x601
	v_mul_f64_e32 v[4:5], v[92:93], v[10:11]
	v_mul_f64_e32 v[12:13], v[90:91], v[10:11]
	s_wait_loadcnt_dscnt 0x500
	v_mul_f64_e32 v[98:99], v[94:95], v[68:69]
	v_mul_f64_e32 v[68:69], v[96:97], v[68:69]
	s_delay_alu instid0(VALU_DEP_4) | instskip(NEXT) | instid1(VALU_DEP_4)
	v_fma_f64 v[4:5], v[90:91], v[8:9], -v[4:5]
	v_fmac_f64_e32 v[12:13], v[92:93], v[8:9]
	ds_load_b128 v[8:11], v2 offset:768
	ds_load_b128 v[90:93], v2 offset:784
	v_fmac_f64_e32 v[98:99], v[96:97], v[66:67]
	v_fma_f64 v[66:67], v[94:95], v[66:67], -v[68:69]
	s_wait_loadcnt_dscnt 0x401
	v_mul_f64_e32 v[100:101], v[8:9], v[72:73]
	v_mul_f64_e32 v[72:73], v[10:11], v[72:73]
	s_wait_loadcnt_dscnt 0x300
	v_mul_f64_e32 v[68:69], v[90:91], v[76:77]
	v_mul_f64_e32 v[76:77], v[92:93], v[76:77]
	v_add_f64_e32 v[4:5], 0, v[4:5]
	v_add_f64_e32 v[12:13], 0, v[12:13]
	v_fmac_f64_e32 v[100:101], v[10:11], v[70:71]
	v_fma_f64 v[70:71], v[8:9], v[70:71], -v[72:73]
	v_fmac_f64_e32 v[68:69], v[92:93], v[74:75]
	v_fma_f64 v[74:75], v[90:91], v[74:75], -v[76:77]
	v_add_f64_e32 v[66:67], v[4:5], v[66:67]
	v_add_f64_e32 v[12:13], v[12:13], v[98:99]
	ds_load_b128 v[8:11], v2 offset:800
	ds_load_b128 v[2:5], v2 offset:816
	s_wait_loadcnt_dscnt 0x201
	v_mul_f64_e32 v[72:73], v[8:9], v[80:81]
	v_mul_f64_e32 v[80:81], v[10:11], v[80:81]
	s_wait_loadcnt_dscnt 0x100
	v_mul_f64_e32 v[76:77], v[4:5], v[84:85]
	v_add_f64_e32 v[66:67], v[66:67], v[70:71]
	v_add_f64_e32 v[12:13], v[12:13], v[100:101]
	v_mul_f64_e32 v[70:71], v[2:3], v[84:85]
	v_fmac_f64_e32 v[72:73], v[10:11], v[78:79]
	v_fma_f64 v[8:9], v[8:9], v[78:79], -v[80:81]
	v_fma_f64 v[2:3], v[2:3], v[82:83], -v[76:77]
	v_add_f64_e32 v[10:11], v[66:67], v[74:75]
	v_add_f64_e32 v[12:13], v[12:13], v[68:69]
	v_fmac_f64_e32 v[70:71], v[4:5], v[82:83]
	s_delay_alu instid0(VALU_DEP_3) | instskip(NEXT) | instid1(VALU_DEP_3)
	v_add_f64_e32 v[4:5], v[10:11], v[8:9]
	v_add_f64_e32 v[8:9], v[12:13], v[72:73]
	s_delay_alu instid0(VALU_DEP_2) | instskip(NEXT) | instid1(VALU_DEP_2)
	v_add_f64_e32 v[2:3], v[4:5], v[2:3]
	v_add_f64_e32 v[4:5], v[8:9], v[70:71]
	s_wait_loadcnt 0x0
	s_delay_alu instid0(VALU_DEP_2) | instskip(NEXT) | instid1(VALU_DEP_2)
	v_add_f64_e64 v[2:3], v[86:87], -v[2:3]
	v_add_f64_e64 v[4:5], v[88:89], -v[4:5]
	scratch_store_b128 off, v[2:5], off offset:304
	s_wait_xcnt 0x0
	v_cmpx_lt_u32_e32 18, v1
	s_cbranch_execz .LBB25_133
; %bb.132:
	scratch_load_b128 v[2:5], off, s10
	v_mov_b32_e32 v8, 0
	s_delay_alu instid0(VALU_DEP_1)
	v_dual_mov_b32 v9, v8 :: v_dual_mov_b32 v10, v8
	v_mov_b32_e32 v11, v8
	scratch_store_b128 off, v[8:11], off offset:288
	s_wait_loadcnt 0x0
	ds_store_b128 v6, v[2:5]
.LBB25_133:
	s_wait_xcnt 0x0
	s_or_b32 exec_lo, exec_lo, s2
	s_wait_storecnt_dscnt 0x0
	s_barrier_signal -1
	s_barrier_wait -1
	s_clause 0x7
	scratch_load_b128 v[8:11], off, off offset:304
	scratch_load_b128 v[66:69], off, off offset:320
	scratch_load_b128 v[70:73], off, off offset:336
	scratch_load_b128 v[74:77], off, off offset:352
	scratch_load_b128 v[78:81], off, off offset:368
	scratch_load_b128 v[82:85], off, off offset:384
	scratch_load_b128 v[86:89], off, off offset:400
	scratch_load_b128 v[90:93], off, off offset:288
	v_mov_b32_e32 v2, 0
	ds_load_b128 v[94:97], v2 offset:720
	ds_load_b128 v[98:101], v2 offset:736
	s_mov_b32 s2, exec_lo
	s_wait_loadcnt_dscnt 0x701
	v_mul_f64_e32 v[4:5], v[96:97], v[10:11]
	v_mul_f64_e32 v[12:13], v[94:95], v[10:11]
	s_wait_loadcnt_dscnt 0x600
	v_mul_f64_e32 v[102:103], v[98:99], v[68:69]
	v_mul_f64_e32 v[68:69], v[100:101], v[68:69]
	s_delay_alu instid0(VALU_DEP_4) | instskip(NEXT) | instid1(VALU_DEP_4)
	v_fma_f64 v[4:5], v[94:95], v[8:9], -v[4:5]
	v_fmac_f64_e32 v[12:13], v[96:97], v[8:9]
	ds_load_b128 v[8:11], v2 offset:752
	ds_load_b128 v[94:97], v2 offset:768
	v_fmac_f64_e32 v[102:103], v[100:101], v[66:67]
	v_fma_f64 v[66:67], v[98:99], v[66:67], -v[68:69]
	s_wait_loadcnt_dscnt 0x501
	v_mul_f64_e32 v[104:105], v[8:9], v[72:73]
	v_mul_f64_e32 v[72:73], v[10:11], v[72:73]
	s_wait_loadcnt_dscnt 0x400
	v_mul_f64_e32 v[98:99], v[94:95], v[76:77]
	v_mul_f64_e32 v[76:77], v[96:97], v[76:77]
	v_add_f64_e32 v[4:5], 0, v[4:5]
	v_add_f64_e32 v[12:13], 0, v[12:13]
	v_fmac_f64_e32 v[104:105], v[10:11], v[70:71]
	v_fma_f64 v[70:71], v[8:9], v[70:71], -v[72:73]
	v_fmac_f64_e32 v[98:99], v[96:97], v[74:75]
	v_fma_f64 v[74:75], v[94:95], v[74:75], -v[76:77]
	v_add_f64_e32 v[4:5], v[4:5], v[66:67]
	v_add_f64_e32 v[12:13], v[12:13], v[102:103]
	ds_load_b128 v[8:11], v2 offset:784
	ds_load_b128 v[66:69], v2 offset:800
	s_wait_loadcnt_dscnt 0x301
	v_mul_f64_e32 v[72:73], v[8:9], v[80:81]
	v_mul_f64_e32 v[80:81], v[10:11], v[80:81]
	s_wait_loadcnt_dscnt 0x200
	v_mul_f64_e32 v[76:77], v[68:69], v[84:85]
	v_add_f64_e32 v[4:5], v[4:5], v[70:71]
	v_add_f64_e32 v[12:13], v[12:13], v[104:105]
	v_mul_f64_e32 v[70:71], v[66:67], v[84:85]
	v_fmac_f64_e32 v[72:73], v[10:11], v[78:79]
	v_fma_f64 v[78:79], v[8:9], v[78:79], -v[80:81]
	ds_load_b128 v[8:11], v2 offset:816
	v_fma_f64 v[66:67], v[66:67], v[82:83], -v[76:77]
	v_add_f64_e32 v[4:5], v[4:5], v[74:75]
	v_add_f64_e32 v[12:13], v[12:13], v[98:99]
	v_fmac_f64_e32 v[70:71], v[68:69], v[82:83]
	s_wait_loadcnt_dscnt 0x100
	v_mul_f64_e32 v[74:75], v[8:9], v[88:89]
	v_mul_f64_e32 v[80:81], v[10:11], v[88:89]
	v_add_f64_e32 v[4:5], v[4:5], v[78:79]
	v_add_f64_e32 v[12:13], v[12:13], v[72:73]
	s_delay_alu instid0(VALU_DEP_4) | instskip(NEXT) | instid1(VALU_DEP_4)
	v_fmac_f64_e32 v[74:75], v[10:11], v[86:87]
	v_fma_f64 v[8:9], v[8:9], v[86:87], -v[80:81]
	s_delay_alu instid0(VALU_DEP_4) | instskip(NEXT) | instid1(VALU_DEP_4)
	v_add_f64_e32 v[4:5], v[4:5], v[66:67]
	v_add_f64_e32 v[10:11], v[12:13], v[70:71]
	s_delay_alu instid0(VALU_DEP_2) | instskip(NEXT) | instid1(VALU_DEP_2)
	v_add_f64_e32 v[4:5], v[4:5], v[8:9]
	v_add_f64_e32 v[10:11], v[10:11], v[74:75]
	s_wait_loadcnt 0x0
	s_delay_alu instid0(VALU_DEP_2) | instskip(NEXT) | instid1(VALU_DEP_2)
	v_add_f64_e64 v[8:9], v[90:91], -v[4:5]
	v_add_f64_e64 v[10:11], v[92:93], -v[10:11]
	scratch_store_b128 off, v[8:11], off offset:288
	s_wait_xcnt 0x0
	v_cmpx_lt_u32_e32 17, v1
	s_cbranch_execz .LBB25_135
; %bb.134:
	scratch_load_b128 v[8:11], off, s9
	v_dual_mov_b32 v3, v2 :: v_dual_mov_b32 v4, v2
	v_mov_b32_e32 v5, v2
	scratch_store_b128 off, v[2:5], off offset:272
	s_wait_loadcnt 0x0
	ds_store_b128 v6, v[8:11]
.LBB25_135:
	s_wait_xcnt 0x0
	s_or_b32 exec_lo, exec_lo, s2
	s_wait_storecnt_dscnt 0x0
	s_barrier_signal -1
	s_barrier_wait -1
	s_clause 0x7
	scratch_load_b128 v[8:11], off, off offset:288
	scratch_load_b128 v[66:69], off, off offset:304
	;; [unrolled: 1-line block ×8, first 2 shown]
	ds_load_b128 v[94:97], v2 offset:704
	ds_load_b128 v[98:101], v2 offset:720
	scratch_load_b128 v[102:105], off, off offset:272
	s_mov_b32 s2, exec_lo
	s_wait_loadcnt_dscnt 0x801
	v_mul_f64_e32 v[4:5], v[96:97], v[10:11]
	v_mul_f64_e32 v[12:13], v[94:95], v[10:11]
	s_wait_loadcnt_dscnt 0x700
	v_mul_f64_e32 v[106:107], v[98:99], v[68:69]
	v_mul_f64_e32 v[68:69], v[100:101], v[68:69]
	s_delay_alu instid0(VALU_DEP_4) | instskip(NEXT) | instid1(VALU_DEP_4)
	v_fma_f64 v[4:5], v[94:95], v[8:9], -v[4:5]
	v_fmac_f64_e32 v[12:13], v[96:97], v[8:9]
	ds_load_b128 v[8:11], v2 offset:736
	ds_load_b128 v[94:97], v2 offset:752
	v_fmac_f64_e32 v[106:107], v[100:101], v[66:67]
	v_fma_f64 v[66:67], v[98:99], v[66:67], -v[68:69]
	s_wait_loadcnt_dscnt 0x601
	v_mul_f64_e32 v[108:109], v[8:9], v[72:73]
	v_mul_f64_e32 v[72:73], v[10:11], v[72:73]
	s_wait_loadcnt_dscnt 0x500
	v_mul_f64_e32 v[98:99], v[94:95], v[76:77]
	v_mul_f64_e32 v[76:77], v[96:97], v[76:77]
	v_add_f64_e32 v[4:5], 0, v[4:5]
	v_add_f64_e32 v[12:13], 0, v[12:13]
	v_fmac_f64_e32 v[108:109], v[10:11], v[70:71]
	v_fma_f64 v[70:71], v[8:9], v[70:71], -v[72:73]
	v_fmac_f64_e32 v[98:99], v[96:97], v[74:75]
	v_fma_f64 v[74:75], v[94:95], v[74:75], -v[76:77]
	v_add_f64_e32 v[4:5], v[4:5], v[66:67]
	v_add_f64_e32 v[12:13], v[12:13], v[106:107]
	ds_load_b128 v[8:11], v2 offset:768
	ds_load_b128 v[66:69], v2 offset:784
	s_wait_loadcnt_dscnt 0x401
	v_mul_f64_e32 v[72:73], v[8:9], v[80:81]
	v_mul_f64_e32 v[80:81], v[10:11], v[80:81]
	s_wait_loadcnt_dscnt 0x300
	v_mul_f64_e32 v[76:77], v[68:69], v[84:85]
	v_add_f64_e32 v[4:5], v[4:5], v[70:71]
	v_add_f64_e32 v[12:13], v[12:13], v[108:109]
	v_mul_f64_e32 v[70:71], v[66:67], v[84:85]
	v_fmac_f64_e32 v[72:73], v[10:11], v[78:79]
	v_fma_f64 v[78:79], v[8:9], v[78:79], -v[80:81]
	v_fma_f64 v[66:67], v[66:67], v[82:83], -v[76:77]
	v_add_f64_e32 v[74:75], v[4:5], v[74:75]
	v_add_f64_e32 v[12:13], v[12:13], v[98:99]
	ds_load_b128 v[8:11], v2 offset:800
	ds_load_b128 v[2:5], v2 offset:816
	v_fmac_f64_e32 v[70:71], v[68:69], v[82:83]
	s_wait_loadcnt_dscnt 0x201
	v_mul_f64_e32 v[80:81], v[8:9], v[88:89]
	v_mul_f64_e32 v[84:85], v[10:11], v[88:89]
	v_add_f64_e32 v[68:69], v[74:75], v[78:79]
	v_add_f64_e32 v[12:13], v[12:13], v[72:73]
	s_wait_loadcnt_dscnt 0x100
	v_mul_f64_e32 v[72:73], v[2:3], v[92:93]
	v_mul_f64_e32 v[74:75], v[4:5], v[92:93]
	v_fmac_f64_e32 v[80:81], v[10:11], v[86:87]
	v_fma_f64 v[8:9], v[8:9], v[86:87], -v[84:85]
	v_add_f64_e32 v[10:11], v[68:69], v[66:67]
	v_add_f64_e32 v[12:13], v[12:13], v[70:71]
	v_fmac_f64_e32 v[72:73], v[4:5], v[90:91]
	v_fma_f64 v[2:3], v[2:3], v[90:91], -v[74:75]
	s_delay_alu instid0(VALU_DEP_4) | instskip(NEXT) | instid1(VALU_DEP_4)
	v_add_f64_e32 v[4:5], v[10:11], v[8:9]
	v_add_f64_e32 v[8:9], v[12:13], v[80:81]
	s_delay_alu instid0(VALU_DEP_2) | instskip(NEXT) | instid1(VALU_DEP_2)
	v_add_f64_e32 v[2:3], v[4:5], v[2:3]
	v_add_f64_e32 v[4:5], v[8:9], v[72:73]
	s_wait_loadcnt 0x0
	s_delay_alu instid0(VALU_DEP_2) | instskip(NEXT) | instid1(VALU_DEP_2)
	v_add_f64_e64 v[2:3], v[102:103], -v[2:3]
	v_add_f64_e64 v[4:5], v[104:105], -v[4:5]
	scratch_store_b128 off, v[2:5], off offset:272
	s_wait_xcnt 0x0
	v_cmpx_lt_u32_e32 16, v1
	s_cbranch_execz .LBB25_137
; %bb.136:
	scratch_load_b128 v[2:5], off, s11
	v_mov_b32_e32 v8, 0
	s_delay_alu instid0(VALU_DEP_1)
	v_dual_mov_b32 v9, v8 :: v_dual_mov_b32 v10, v8
	v_mov_b32_e32 v11, v8
	scratch_store_b128 off, v[8:11], off offset:256
	s_wait_loadcnt 0x0
	ds_store_b128 v6, v[2:5]
.LBB25_137:
	s_wait_xcnt 0x0
	s_or_b32 exec_lo, exec_lo, s2
	s_wait_storecnt_dscnt 0x0
	s_barrier_signal -1
	s_barrier_wait -1
	s_clause 0x8
	scratch_load_b128 v[8:11], off, off offset:272
	scratch_load_b128 v[66:69], off, off offset:288
	;; [unrolled: 1-line block ×9, first 2 shown]
	v_mov_b32_e32 v2, 0
	scratch_load_b128 v[102:105], off, off offset:256
	s_mov_b32 s2, exec_lo
	ds_load_b128 v[98:101], v2 offset:688
	ds_load_b128 v[106:109], v2 offset:704
	s_wait_loadcnt_dscnt 0x901
	v_mul_f64_e32 v[4:5], v[100:101], v[10:11]
	v_mul_f64_e32 v[12:13], v[98:99], v[10:11]
	s_wait_loadcnt_dscnt 0x800
	v_mul_f64_e32 v[110:111], v[106:107], v[68:69]
	v_mul_f64_e32 v[68:69], v[108:109], v[68:69]
	s_delay_alu instid0(VALU_DEP_4) | instskip(NEXT) | instid1(VALU_DEP_4)
	v_fma_f64 v[4:5], v[98:99], v[8:9], -v[4:5]
	v_fmac_f64_e32 v[12:13], v[100:101], v[8:9]
	ds_load_b128 v[8:11], v2 offset:720
	ds_load_b128 v[98:101], v2 offset:736
	v_fmac_f64_e32 v[110:111], v[108:109], v[66:67]
	v_fma_f64 v[66:67], v[106:107], v[66:67], -v[68:69]
	s_wait_loadcnt_dscnt 0x701
	v_mul_f64_e32 v[112:113], v[8:9], v[72:73]
	v_mul_f64_e32 v[72:73], v[10:11], v[72:73]
	s_wait_loadcnt_dscnt 0x600
	v_mul_f64_e32 v[106:107], v[98:99], v[76:77]
	v_mul_f64_e32 v[76:77], v[100:101], v[76:77]
	v_add_f64_e32 v[4:5], 0, v[4:5]
	v_add_f64_e32 v[12:13], 0, v[12:13]
	v_fmac_f64_e32 v[112:113], v[10:11], v[70:71]
	v_fma_f64 v[70:71], v[8:9], v[70:71], -v[72:73]
	v_fmac_f64_e32 v[106:107], v[100:101], v[74:75]
	v_fma_f64 v[74:75], v[98:99], v[74:75], -v[76:77]
	v_add_f64_e32 v[4:5], v[4:5], v[66:67]
	v_add_f64_e32 v[12:13], v[12:13], v[110:111]
	ds_load_b128 v[8:11], v2 offset:752
	ds_load_b128 v[66:69], v2 offset:768
	s_wait_loadcnt_dscnt 0x501
	v_mul_f64_e32 v[108:109], v[8:9], v[80:81]
	v_mul_f64_e32 v[72:73], v[10:11], v[80:81]
	s_wait_loadcnt_dscnt 0x400
	v_mul_f64_e32 v[76:77], v[66:67], v[84:85]
	v_mul_f64_e32 v[80:81], v[68:69], v[84:85]
	v_add_f64_e32 v[4:5], v[4:5], v[70:71]
	v_add_f64_e32 v[12:13], v[12:13], v[112:113]
	v_fmac_f64_e32 v[108:109], v[10:11], v[78:79]
	v_fma_f64 v[78:79], v[8:9], v[78:79], -v[72:73]
	ds_load_b128 v[8:11], v2 offset:784
	ds_load_b128 v[70:73], v2 offset:800
	v_fmac_f64_e32 v[76:77], v[68:69], v[82:83]
	v_fma_f64 v[66:67], v[66:67], v[82:83], -v[80:81]
	v_add_f64_e32 v[4:5], v[4:5], v[74:75]
	v_add_f64_e32 v[12:13], v[12:13], v[106:107]
	s_wait_loadcnt_dscnt 0x301
	v_mul_f64_e32 v[74:75], v[8:9], v[88:89]
	v_mul_f64_e32 v[84:85], v[10:11], v[88:89]
	s_wait_loadcnt_dscnt 0x200
	v_mul_f64_e32 v[68:69], v[70:71], v[92:93]
	v_add_f64_e32 v[4:5], v[4:5], v[78:79]
	v_add_f64_e32 v[12:13], v[12:13], v[108:109]
	v_mul_f64_e32 v[78:79], v[72:73], v[92:93]
	v_fmac_f64_e32 v[74:75], v[10:11], v[86:87]
	v_fma_f64 v[80:81], v[8:9], v[86:87], -v[84:85]
	ds_load_b128 v[8:11], v2 offset:816
	v_fmac_f64_e32 v[68:69], v[72:73], v[90:91]
	v_add_f64_e32 v[4:5], v[4:5], v[66:67]
	v_add_f64_e32 v[12:13], v[12:13], v[76:77]
	s_wait_loadcnt_dscnt 0x100
	v_mul_f64_e32 v[66:67], v[8:9], v[96:97]
	v_mul_f64_e32 v[76:77], v[10:11], v[96:97]
	v_fma_f64 v[70:71], v[70:71], v[90:91], -v[78:79]
	v_add_f64_e32 v[4:5], v[4:5], v[80:81]
	v_add_f64_e32 v[12:13], v[12:13], v[74:75]
	v_fmac_f64_e32 v[66:67], v[10:11], v[94:95]
	v_fma_f64 v[8:9], v[8:9], v[94:95], -v[76:77]
	s_delay_alu instid0(VALU_DEP_4) | instskip(NEXT) | instid1(VALU_DEP_4)
	v_add_f64_e32 v[4:5], v[4:5], v[70:71]
	v_add_f64_e32 v[10:11], v[12:13], v[68:69]
	s_delay_alu instid0(VALU_DEP_2) | instskip(NEXT) | instid1(VALU_DEP_2)
	v_add_f64_e32 v[4:5], v[4:5], v[8:9]
	v_add_f64_e32 v[10:11], v[10:11], v[66:67]
	s_wait_loadcnt 0x0
	s_delay_alu instid0(VALU_DEP_2) | instskip(NEXT) | instid1(VALU_DEP_2)
	v_add_f64_e64 v[8:9], v[102:103], -v[4:5]
	v_add_f64_e64 v[10:11], v[104:105], -v[10:11]
	scratch_store_b128 off, v[8:11], off offset:256
	s_wait_xcnt 0x0
	v_cmpx_lt_u32_e32 15, v1
	s_cbranch_execz .LBB25_139
; %bb.138:
	scratch_load_b128 v[8:11], off, s31
	v_dual_mov_b32 v3, v2 :: v_dual_mov_b32 v4, v2
	v_mov_b32_e32 v5, v2
	scratch_store_b128 off, v[2:5], off offset:240
	s_wait_loadcnt 0x0
	ds_store_b128 v6, v[8:11]
.LBB25_139:
	s_wait_xcnt 0x0
	s_or_b32 exec_lo, exec_lo, s2
	s_wait_storecnt_dscnt 0x0
	s_barrier_signal -1
	s_barrier_wait -1
	s_clause 0x9
	scratch_load_b128 v[8:11], off, off offset:256
	scratch_load_b128 v[66:69], off, off offset:272
	scratch_load_b128 v[70:73], off, off offset:288
	scratch_load_b128 v[74:77], off, off offset:304
	scratch_load_b128 v[78:81], off, off offset:320
	scratch_load_b128 v[82:85], off, off offset:336
	scratch_load_b128 v[86:89], off, off offset:352
	scratch_load_b128 v[90:93], off, off offset:368
	scratch_load_b128 v[94:97], off, off offset:384
	scratch_load_b128 v[98:101], off, off offset:400
	ds_load_b128 v[102:105], v2 offset:672
	ds_load_b128 v[106:109], v2 offset:688
	scratch_load_b128 v[110:113], off, off offset:240
	s_mov_b32 s2, exec_lo
	s_wait_loadcnt_dscnt 0xa01
	v_mul_f64_e32 v[4:5], v[104:105], v[10:11]
	v_mul_f64_e32 v[12:13], v[102:103], v[10:11]
	s_wait_loadcnt_dscnt 0x900
	v_mul_f64_e32 v[114:115], v[106:107], v[68:69]
	v_mul_f64_e32 v[68:69], v[108:109], v[68:69]
	s_delay_alu instid0(VALU_DEP_4) | instskip(NEXT) | instid1(VALU_DEP_4)
	v_fma_f64 v[4:5], v[102:103], v[8:9], -v[4:5]
	v_fmac_f64_e32 v[12:13], v[104:105], v[8:9]
	ds_load_b128 v[8:11], v2 offset:704
	ds_load_b128 v[102:105], v2 offset:720
	v_fmac_f64_e32 v[114:115], v[108:109], v[66:67]
	v_fma_f64 v[66:67], v[106:107], v[66:67], -v[68:69]
	s_wait_loadcnt_dscnt 0x801
	v_mul_f64_e32 v[116:117], v[8:9], v[72:73]
	v_mul_f64_e32 v[72:73], v[10:11], v[72:73]
	s_wait_loadcnt_dscnt 0x700
	v_mul_f64_e32 v[106:107], v[102:103], v[76:77]
	v_mul_f64_e32 v[76:77], v[104:105], v[76:77]
	v_add_f64_e32 v[4:5], 0, v[4:5]
	v_add_f64_e32 v[12:13], 0, v[12:13]
	v_fmac_f64_e32 v[116:117], v[10:11], v[70:71]
	v_fma_f64 v[70:71], v[8:9], v[70:71], -v[72:73]
	v_fmac_f64_e32 v[106:107], v[104:105], v[74:75]
	v_fma_f64 v[74:75], v[102:103], v[74:75], -v[76:77]
	v_add_f64_e32 v[4:5], v[4:5], v[66:67]
	v_add_f64_e32 v[12:13], v[12:13], v[114:115]
	ds_load_b128 v[8:11], v2 offset:736
	ds_load_b128 v[66:69], v2 offset:752
	s_wait_loadcnt_dscnt 0x601
	v_mul_f64_e32 v[108:109], v[8:9], v[80:81]
	v_mul_f64_e32 v[72:73], v[10:11], v[80:81]
	s_wait_loadcnt_dscnt 0x500
	v_mul_f64_e32 v[76:77], v[66:67], v[84:85]
	v_mul_f64_e32 v[80:81], v[68:69], v[84:85]
	v_add_f64_e32 v[4:5], v[4:5], v[70:71]
	v_add_f64_e32 v[12:13], v[12:13], v[116:117]
	v_fmac_f64_e32 v[108:109], v[10:11], v[78:79]
	v_fma_f64 v[78:79], v[8:9], v[78:79], -v[72:73]
	ds_load_b128 v[8:11], v2 offset:768
	ds_load_b128 v[70:73], v2 offset:784
	v_fmac_f64_e32 v[76:77], v[68:69], v[82:83]
	v_fma_f64 v[66:67], v[66:67], v[82:83], -v[80:81]
	v_add_f64_e32 v[4:5], v[4:5], v[74:75]
	v_add_f64_e32 v[12:13], v[12:13], v[106:107]
	s_wait_loadcnt_dscnt 0x401
	v_mul_f64_e32 v[74:75], v[8:9], v[88:89]
	v_mul_f64_e32 v[84:85], v[10:11], v[88:89]
	s_wait_loadcnt_dscnt 0x300
	v_mul_f64_e32 v[68:69], v[70:71], v[92:93]
	v_add_f64_e32 v[4:5], v[4:5], v[78:79]
	v_add_f64_e32 v[12:13], v[12:13], v[108:109]
	v_mul_f64_e32 v[78:79], v[72:73], v[92:93]
	v_fmac_f64_e32 v[74:75], v[10:11], v[86:87]
	v_fma_f64 v[80:81], v[8:9], v[86:87], -v[84:85]
	v_fmac_f64_e32 v[68:69], v[72:73], v[90:91]
	v_add_f64_e32 v[66:67], v[4:5], v[66:67]
	v_add_f64_e32 v[12:13], v[12:13], v[76:77]
	ds_load_b128 v[8:11], v2 offset:800
	ds_load_b128 v[2:5], v2 offset:816
	v_fma_f64 v[70:71], v[70:71], v[90:91], -v[78:79]
	s_wait_loadcnt_dscnt 0x201
	v_mul_f64_e32 v[76:77], v[8:9], v[96:97]
	v_mul_f64_e32 v[82:83], v[10:11], v[96:97]
	s_wait_loadcnt_dscnt 0x100
	v_mul_f64_e32 v[72:73], v[2:3], v[100:101]
	v_add_f64_e32 v[66:67], v[66:67], v[80:81]
	v_add_f64_e32 v[12:13], v[12:13], v[74:75]
	v_mul_f64_e32 v[74:75], v[4:5], v[100:101]
	v_fmac_f64_e32 v[76:77], v[10:11], v[94:95]
	v_fma_f64 v[8:9], v[8:9], v[94:95], -v[82:83]
	v_fmac_f64_e32 v[72:73], v[4:5], v[98:99]
	v_add_f64_e32 v[10:11], v[66:67], v[70:71]
	v_add_f64_e32 v[12:13], v[12:13], v[68:69]
	v_fma_f64 v[2:3], v[2:3], v[98:99], -v[74:75]
	s_delay_alu instid0(VALU_DEP_3) | instskip(NEXT) | instid1(VALU_DEP_3)
	v_add_f64_e32 v[4:5], v[10:11], v[8:9]
	v_add_f64_e32 v[8:9], v[12:13], v[76:77]
	s_delay_alu instid0(VALU_DEP_2) | instskip(NEXT) | instid1(VALU_DEP_2)
	v_add_f64_e32 v[2:3], v[4:5], v[2:3]
	v_add_f64_e32 v[4:5], v[8:9], v[72:73]
	s_wait_loadcnt 0x0
	s_delay_alu instid0(VALU_DEP_2) | instskip(NEXT) | instid1(VALU_DEP_2)
	v_add_f64_e64 v[2:3], v[110:111], -v[2:3]
	v_add_f64_e64 v[4:5], v[112:113], -v[4:5]
	scratch_store_b128 off, v[2:5], off offset:240
	s_wait_xcnt 0x0
	v_cmpx_lt_u32_e32 14, v1
	s_cbranch_execz .LBB25_141
; %bb.140:
	scratch_load_b128 v[2:5], off, s37
	v_mov_b32_e32 v8, 0
	s_delay_alu instid0(VALU_DEP_1)
	v_dual_mov_b32 v9, v8 :: v_dual_mov_b32 v10, v8
	v_mov_b32_e32 v11, v8
	scratch_store_b128 off, v[8:11], off offset:224
	s_wait_loadcnt 0x0
	ds_store_b128 v6, v[2:5]
.LBB25_141:
	s_wait_xcnt 0x0
	s_or_b32 exec_lo, exec_lo, s2
	s_wait_storecnt_dscnt 0x0
	s_barrier_signal -1
	s_barrier_wait -1
	s_clause 0x9
	scratch_load_b128 v[8:11], off, off offset:240
	scratch_load_b128 v[66:69], off, off offset:256
	;; [unrolled: 1-line block ×10, first 2 shown]
	v_mov_b32_e32 v2, 0
	s_mov_b32 s2, exec_lo
	ds_load_b128 v[102:105], v2 offset:656
	s_clause 0x1
	scratch_load_b128 v[106:109], off, off offset:400
	scratch_load_b128 v[110:113], off, off offset:224
	s_wait_loadcnt_dscnt 0xb00
	v_mul_f64_e32 v[4:5], v[104:105], v[10:11]
	v_mul_f64_e32 v[12:13], v[102:103], v[10:11]
	ds_load_b128 v[114:117], v2 offset:672
	s_wait_loadcnt_dscnt 0xa00
	v_mul_f64_e32 v[118:119], v[114:115], v[68:69]
	v_mul_f64_e32 v[68:69], v[116:117], v[68:69]
	v_fma_f64 v[4:5], v[102:103], v[8:9], -v[4:5]
	v_fmac_f64_e32 v[12:13], v[104:105], v[8:9]
	ds_load_b128 v[8:11], v2 offset:688
	ds_load_b128 v[102:105], v2 offset:704
	s_wait_loadcnt_dscnt 0x901
	v_mul_f64_e32 v[120:121], v[8:9], v[72:73]
	v_mul_f64_e32 v[72:73], v[10:11], v[72:73]
	v_fmac_f64_e32 v[118:119], v[116:117], v[66:67]
	v_fma_f64 v[66:67], v[114:115], v[66:67], -v[68:69]
	s_wait_loadcnt_dscnt 0x800
	v_mul_f64_e32 v[114:115], v[102:103], v[76:77]
	v_mul_f64_e32 v[76:77], v[104:105], v[76:77]
	v_add_f64_e32 v[4:5], 0, v[4:5]
	v_add_f64_e32 v[12:13], 0, v[12:13]
	v_fmac_f64_e32 v[120:121], v[10:11], v[70:71]
	v_fma_f64 v[70:71], v[8:9], v[70:71], -v[72:73]
	v_fmac_f64_e32 v[114:115], v[104:105], v[74:75]
	v_fma_f64 v[74:75], v[102:103], v[74:75], -v[76:77]
	v_add_f64_e32 v[4:5], v[4:5], v[66:67]
	v_add_f64_e32 v[12:13], v[12:13], v[118:119]
	ds_load_b128 v[8:11], v2 offset:720
	ds_load_b128 v[66:69], v2 offset:736
	s_wait_loadcnt_dscnt 0x701
	v_mul_f64_e32 v[116:117], v[8:9], v[80:81]
	v_mul_f64_e32 v[72:73], v[10:11], v[80:81]
	s_wait_loadcnt_dscnt 0x600
	v_mul_f64_e32 v[76:77], v[66:67], v[84:85]
	v_mul_f64_e32 v[80:81], v[68:69], v[84:85]
	v_add_f64_e32 v[4:5], v[4:5], v[70:71]
	v_add_f64_e32 v[12:13], v[12:13], v[120:121]
	v_fmac_f64_e32 v[116:117], v[10:11], v[78:79]
	v_fma_f64 v[78:79], v[8:9], v[78:79], -v[72:73]
	ds_load_b128 v[8:11], v2 offset:752
	ds_load_b128 v[70:73], v2 offset:768
	v_fmac_f64_e32 v[76:77], v[68:69], v[82:83]
	v_fma_f64 v[66:67], v[66:67], v[82:83], -v[80:81]
	v_add_f64_e32 v[4:5], v[4:5], v[74:75]
	v_add_f64_e32 v[12:13], v[12:13], v[114:115]
	s_wait_loadcnt_dscnt 0x501
	v_mul_f64_e32 v[74:75], v[8:9], v[88:89]
	v_mul_f64_e32 v[84:85], v[10:11], v[88:89]
	s_wait_loadcnt_dscnt 0x400
	v_mul_f64_e32 v[80:81], v[72:73], v[92:93]
	v_add_f64_e32 v[4:5], v[4:5], v[78:79]
	v_add_f64_e32 v[12:13], v[12:13], v[116:117]
	v_mul_f64_e32 v[78:79], v[70:71], v[92:93]
	v_fmac_f64_e32 v[74:75], v[10:11], v[86:87]
	v_fma_f64 v[82:83], v[8:9], v[86:87], -v[84:85]
	v_fma_f64 v[70:71], v[70:71], v[90:91], -v[80:81]
	v_add_f64_e32 v[4:5], v[4:5], v[66:67]
	v_add_f64_e32 v[12:13], v[12:13], v[76:77]
	ds_load_b128 v[8:11], v2 offset:784
	ds_load_b128 v[66:69], v2 offset:800
	v_fmac_f64_e32 v[78:79], v[72:73], v[90:91]
	s_wait_loadcnt_dscnt 0x301
	v_mul_f64_e32 v[76:77], v[8:9], v[96:97]
	v_mul_f64_e32 v[84:85], v[10:11], v[96:97]
	s_wait_loadcnt_dscnt 0x200
	v_mul_f64_e32 v[72:73], v[66:67], v[100:101]
	v_add_f64_e32 v[4:5], v[4:5], v[82:83]
	v_add_f64_e32 v[12:13], v[12:13], v[74:75]
	v_mul_f64_e32 v[74:75], v[68:69], v[100:101]
	v_fmac_f64_e32 v[76:77], v[10:11], v[94:95]
	v_fma_f64 v[80:81], v[8:9], v[94:95], -v[84:85]
	ds_load_b128 v[8:11], v2 offset:816
	v_fmac_f64_e32 v[72:73], v[68:69], v[98:99]
	v_add_f64_e32 v[4:5], v[4:5], v[70:71]
	v_add_f64_e32 v[12:13], v[12:13], v[78:79]
	v_fma_f64 v[66:67], v[66:67], v[98:99], -v[74:75]
	s_wait_loadcnt_dscnt 0x100
	v_mul_f64_e32 v[70:71], v[8:9], v[108:109]
	v_mul_f64_e32 v[78:79], v[10:11], v[108:109]
	v_add_f64_e32 v[4:5], v[4:5], v[80:81]
	v_add_f64_e32 v[12:13], v[12:13], v[76:77]
	s_delay_alu instid0(VALU_DEP_4) | instskip(NEXT) | instid1(VALU_DEP_4)
	v_fmac_f64_e32 v[70:71], v[10:11], v[106:107]
	v_fma_f64 v[8:9], v[8:9], v[106:107], -v[78:79]
	s_delay_alu instid0(VALU_DEP_4) | instskip(NEXT) | instid1(VALU_DEP_4)
	v_add_f64_e32 v[4:5], v[4:5], v[66:67]
	v_add_f64_e32 v[10:11], v[12:13], v[72:73]
	s_delay_alu instid0(VALU_DEP_2) | instskip(NEXT) | instid1(VALU_DEP_2)
	v_add_f64_e32 v[4:5], v[4:5], v[8:9]
	v_add_f64_e32 v[10:11], v[10:11], v[70:71]
	s_wait_loadcnt 0x0
	s_delay_alu instid0(VALU_DEP_2) | instskip(NEXT) | instid1(VALU_DEP_2)
	v_add_f64_e64 v[8:9], v[110:111], -v[4:5]
	v_add_f64_e64 v[10:11], v[112:113], -v[10:11]
	scratch_store_b128 off, v[8:11], off offset:224
	s_wait_xcnt 0x0
	v_cmpx_lt_u32_e32 13, v1
	s_cbranch_execz .LBB25_143
; %bb.142:
	scratch_load_b128 v[8:11], off, s36
	v_dual_mov_b32 v3, v2 :: v_dual_mov_b32 v4, v2
	v_mov_b32_e32 v5, v2
	scratch_store_b128 off, v[2:5], off offset:208
	s_wait_loadcnt 0x0
	ds_store_b128 v6, v[8:11]
.LBB25_143:
	s_wait_xcnt 0x0
	s_or_b32 exec_lo, exec_lo, s2
	s_wait_storecnt_dscnt 0x0
	s_barrier_signal -1
	s_barrier_wait -1
	s_clause 0x9
	scratch_load_b128 v[8:11], off, off offset:224
	scratch_load_b128 v[66:69], off, off offset:240
	;; [unrolled: 1-line block ×10, first 2 shown]
	ds_load_b128 v[102:105], v2 offset:640
	ds_load_b128 v[110:113], v2 offset:656
	s_clause 0x1
	scratch_load_b128 v[106:109], off, off offset:384
	scratch_load_b128 v[114:117], off, off offset:208
	s_mov_b32 s2, exec_lo
	s_wait_loadcnt_dscnt 0xb01
	v_mul_f64_e32 v[4:5], v[104:105], v[10:11]
	v_mul_f64_e32 v[122:123], v[102:103], v[10:11]
	scratch_load_b128 v[10:13], off, off offset:400
	s_wait_loadcnt_dscnt 0xb00
	v_mul_f64_e32 v[124:125], v[110:111], v[68:69]
	v_mul_f64_e32 v[68:69], v[112:113], v[68:69]
	v_fma_f64 v[4:5], v[102:103], v[8:9], -v[4:5]
	v_fmac_f64_e32 v[122:123], v[104:105], v[8:9]
	ds_load_b128 v[102:105], v2 offset:672
	ds_load_b128 v[118:121], v2 offset:688
	v_fmac_f64_e32 v[124:125], v[112:113], v[66:67]
	v_fma_f64 v[66:67], v[110:111], v[66:67], -v[68:69]
	s_wait_loadcnt_dscnt 0xa01
	v_mul_f64_e32 v[8:9], v[102:103], v[72:73]
	v_mul_f64_e32 v[72:73], v[104:105], v[72:73]
	s_wait_loadcnt_dscnt 0x900
	v_mul_f64_e32 v[110:111], v[118:119], v[76:77]
	v_mul_f64_e32 v[76:77], v[120:121], v[76:77]
	v_add_f64_e32 v[4:5], 0, v[4:5]
	v_add_f64_e32 v[68:69], 0, v[122:123]
	v_fmac_f64_e32 v[8:9], v[104:105], v[70:71]
	v_fma_f64 v[102:103], v[102:103], v[70:71], -v[72:73]
	v_fmac_f64_e32 v[110:111], v[120:121], v[74:75]
	v_fma_f64 v[74:75], v[118:119], v[74:75], -v[76:77]
	v_add_f64_e32 v[4:5], v[4:5], v[66:67]
	v_add_f64_e32 v[104:105], v[68:69], v[124:125]
	ds_load_b128 v[66:69], v2 offset:704
	ds_load_b128 v[70:73], v2 offset:720
	s_wait_loadcnt_dscnt 0x801
	v_mul_f64_e32 v[112:113], v[66:67], v[80:81]
	v_mul_f64_e32 v[80:81], v[68:69], v[80:81]
	v_add_f64_e32 v[4:5], v[4:5], v[102:103]
	v_add_f64_e32 v[8:9], v[104:105], v[8:9]
	s_wait_loadcnt_dscnt 0x700
	v_mul_f64_e32 v[102:103], v[70:71], v[84:85]
	v_mul_f64_e32 v[84:85], v[72:73], v[84:85]
	v_fmac_f64_e32 v[112:113], v[68:69], v[78:79]
	v_fma_f64 v[78:79], v[66:67], v[78:79], -v[80:81]
	v_add_f64_e32 v[4:5], v[4:5], v[74:75]
	v_add_f64_e32 v[8:9], v[8:9], v[110:111]
	ds_load_b128 v[66:69], v2 offset:736
	ds_load_b128 v[74:77], v2 offset:752
	v_fmac_f64_e32 v[102:103], v[72:73], v[82:83]
	v_fma_f64 v[70:71], v[70:71], v[82:83], -v[84:85]
	s_wait_loadcnt_dscnt 0x601
	v_mul_f64_e32 v[80:81], v[66:67], v[88:89]
	v_mul_f64_e32 v[88:89], v[68:69], v[88:89]
	s_wait_loadcnt_dscnt 0x500
	v_mul_f64_e32 v[82:83], v[76:77], v[92:93]
	v_add_f64_e32 v[4:5], v[4:5], v[78:79]
	v_add_f64_e32 v[8:9], v[8:9], v[112:113]
	v_mul_f64_e32 v[78:79], v[74:75], v[92:93]
	v_fmac_f64_e32 v[80:81], v[68:69], v[86:87]
	v_fma_f64 v[84:85], v[66:67], v[86:87], -v[88:89]
	v_fma_f64 v[74:75], v[74:75], v[90:91], -v[82:83]
	v_add_f64_e32 v[4:5], v[4:5], v[70:71]
	v_add_f64_e32 v[8:9], v[8:9], v[102:103]
	ds_load_b128 v[66:69], v2 offset:768
	ds_load_b128 v[70:73], v2 offset:784
	v_fmac_f64_e32 v[78:79], v[76:77], v[90:91]
	s_wait_loadcnt_dscnt 0x401
	v_mul_f64_e32 v[86:87], v[66:67], v[96:97]
	v_mul_f64_e32 v[88:89], v[68:69], v[96:97]
	s_wait_loadcnt_dscnt 0x300
	v_mul_f64_e32 v[76:77], v[70:71], v[100:101]
	v_add_f64_e32 v[4:5], v[4:5], v[84:85]
	v_add_f64_e32 v[8:9], v[8:9], v[80:81]
	v_mul_f64_e32 v[80:81], v[72:73], v[100:101]
	v_fmac_f64_e32 v[86:87], v[68:69], v[94:95]
	v_fma_f64 v[82:83], v[66:67], v[94:95], -v[88:89]
	v_fmac_f64_e32 v[76:77], v[72:73], v[98:99]
	v_add_f64_e32 v[74:75], v[4:5], v[74:75]
	v_add_f64_e32 v[8:9], v[8:9], v[78:79]
	ds_load_b128 v[66:69], v2 offset:800
	ds_load_b128 v[2:5], v2 offset:816
	v_fma_f64 v[70:71], v[70:71], v[98:99], -v[80:81]
	s_wait_loadcnt_dscnt 0x201
	v_mul_f64_e32 v[78:79], v[66:67], v[108:109]
	v_mul_f64_e32 v[84:85], v[68:69], v[108:109]
	v_add_f64_e32 v[72:73], v[74:75], v[82:83]
	v_add_f64_e32 v[8:9], v[8:9], v[86:87]
	s_wait_loadcnt_dscnt 0x0
	v_mul_f64_e32 v[74:75], v[2:3], v[12:13]
	v_mul_f64_e32 v[12:13], v[4:5], v[12:13]
	v_fmac_f64_e32 v[78:79], v[68:69], v[106:107]
	v_fma_f64 v[66:67], v[66:67], v[106:107], -v[84:85]
	v_add_f64_e32 v[68:69], v[72:73], v[70:71]
	v_add_f64_e32 v[8:9], v[8:9], v[76:77]
	v_fmac_f64_e32 v[74:75], v[4:5], v[10:11]
	v_fma_f64 v[2:3], v[2:3], v[10:11], -v[12:13]
	s_delay_alu instid0(VALU_DEP_4) | instskip(NEXT) | instid1(VALU_DEP_4)
	v_add_f64_e32 v[4:5], v[68:69], v[66:67]
	v_add_f64_e32 v[8:9], v[8:9], v[78:79]
	s_delay_alu instid0(VALU_DEP_2) | instskip(NEXT) | instid1(VALU_DEP_2)
	v_add_f64_e32 v[2:3], v[4:5], v[2:3]
	v_add_f64_e32 v[4:5], v[8:9], v[74:75]
	s_delay_alu instid0(VALU_DEP_2) | instskip(NEXT) | instid1(VALU_DEP_2)
	v_add_f64_e64 v[2:3], v[114:115], -v[2:3]
	v_add_f64_e64 v[4:5], v[116:117], -v[4:5]
	scratch_store_b128 off, v[2:5], off offset:208
	s_wait_xcnt 0x0
	v_cmpx_lt_u32_e32 12, v1
	s_cbranch_execz .LBB25_145
; %bb.144:
	scratch_load_b128 v[2:5], off, s35
	v_mov_b32_e32 v8, 0
	s_delay_alu instid0(VALU_DEP_1)
	v_dual_mov_b32 v9, v8 :: v_dual_mov_b32 v10, v8
	v_mov_b32_e32 v11, v8
	scratch_store_b128 off, v[8:11], off offset:192
	s_wait_loadcnt 0x0
	ds_store_b128 v6, v[2:5]
.LBB25_145:
	s_wait_xcnt 0x0
	s_or_b32 exec_lo, exec_lo, s2
	s_wait_storecnt_dscnt 0x0
	s_barrier_signal -1
	s_barrier_wait -1
	s_clause 0x9
	scratch_load_b128 v[8:11], off, off offset:208
	scratch_load_b128 v[66:69], off, off offset:224
	;; [unrolled: 1-line block ×10, first 2 shown]
	v_mov_b32_e32 v2, 0
	s_mov_b32 s2, exec_lo
	ds_load_b128 v[102:105], v2 offset:624
	s_clause 0x2
	scratch_load_b128 v[106:109], off, off offset:368
	scratch_load_b128 v[110:113], off, off offset:192
	;; [unrolled: 1-line block ×3, first 2 shown]
	s_wait_loadcnt_dscnt 0xc00
	v_mul_f64_e32 v[4:5], v[104:105], v[10:11]
	v_mul_f64_e32 v[126:127], v[102:103], v[10:11]
	ds_load_b128 v[114:117], v2 offset:640
	scratch_load_b128 v[10:13], off, off offset:384
	ds_load_b128 v[122:125], v2 offset:672
	v_fma_f64 v[4:5], v[102:103], v[8:9], -v[4:5]
	v_fmac_f64_e32 v[126:127], v[104:105], v[8:9]
	ds_load_b128 v[102:105], v2 offset:656
	s_wait_loadcnt_dscnt 0xc02
	v_mul_f64_e32 v[128:129], v[114:115], v[68:69]
	v_mul_f64_e32 v[68:69], v[116:117], v[68:69]
	s_wait_loadcnt_dscnt 0xb00
	v_mul_f64_e32 v[8:9], v[102:103], v[72:73]
	v_mul_f64_e32 v[72:73], v[104:105], v[72:73]
	v_add_f64_e32 v[4:5], 0, v[4:5]
	v_fmac_f64_e32 v[128:129], v[116:117], v[66:67]
	v_fma_f64 v[66:67], v[114:115], v[66:67], -v[68:69]
	v_add_f64_e32 v[68:69], 0, v[126:127]
	s_wait_loadcnt 0xa
	v_mul_f64_e32 v[114:115], v[122:123], v[76:77]
	v_mul_f64_e32 v[76:77], v[124:125], v[76:77]
	v_fmac_f64_e32 v[8:9], v[104:105], v[70:71]
	v_fma_f64 v[102:103], v[102:103], v[70:71], -v[72:73]
	v_add_f64_e32 v[4:5], v[4:5], v[66:67]
	v_add_f64_e32 v[104:105], v[68:69], v[128:129]
	ds_load_b128 v[66:69], v2 offset:688
	ds_load_b128 v[70:73], v2 offset:704
	v_fmac_f64_e32 v[114:115], v[124:125], v[74:75]
	v_fma_f64 v[74:75], v[122:123], v[74:75], -v[76:77]
	s_wait_loadcnt_dscnt 0x901
	v_mul_f64_e32 v[116:117], v[66:67], v[80:81]
	v_mul_f64_e32 v[80:81], v[68:69], v[80:81]
	v_add_f64_e32 v[4:5], v[4:5], v[102:103]
	v_add_f64_e32 v[8:9], v[104:105], v[8:9]
	s_wait_loadcnt_dscnt 0x800
	v_mul_f64_e32 v[102:103], v[70:71], v[84:85]
	v_mul_f64_e32 v[84:85], v[72:73], v[84:85]
	v_fmac_f64_e32 v[116:117], v[68:69], v[78:79]
	v_fma_f64 v[78:79], v[66:67], v[78:79], -v[80:81]
	v_add_f64_e32 v[4:5], v[4:5], v[74:75]
	v_add_f64_e32 v[8:9], v[8:9], v[114:115]
	ds_load_b128 v[66:69], v2 offset:720
	ds_load_b128 v[74:77], v2 offset:736
	v_fmac_f64_e32 v[102:103], v[72:73], v[82:83]
	v_fma_f64 v[70:71], v[70:71], v[82:83], -v[84:85]
	s_wait_loadcnt_dscnt 0x701
	v_mul_f64_e32 v[80:81], v[66:67], v[88:89]
	v_mul_f64_e32 v[88:89], v[68:69], v[88:89]
	s_wait_loadcnt_dscnt 0x600
	v_mul_f64_e32 v[82:83], v[76:77], v[92:93]
	v_add_f64_e32 v[4:5], v[4:5], v[78:79]
	v_add_f64_e32 v[8:9], v[8:9], v[116:117]
	v_mul_f64_e32 v[78:79], v[74:75], v[92:93]
	v_fmac_f64_e32 v[80:81], v[68:69], v[86:87]
	v_fma_f64 v[84:85], v[66:67], v[86:87], -v[88:89]
	v_fma_f64 v[74:75], v[74:75], v[90:91], -v[82:83]
	v_add_f64_e32 v[4:5], v[4:5], v[70:71]
	v_add_f64_e32 v[8:9], v[8:9], v[102:103]
	ds_load_b128 v[66:69], v2 offset:752
	ds_load_b128 v[70:73], v2 offset:768
	v_fmac_f64_e32 v[78:79], v[76:77], v[90:91]
	s_wait_loadcnt_dscnt 0x501
	v_mul_f64_e32 v[86:87], v[66:67], v[96:97]
	v_mul_f64_e32 v[88:89], v[68:69], v[96:97]
	s_wait_loadcnt_dscnt 0x400
	v_mul_f64_e32 v[82:83], v[72:73], v[100:101]
	v_add_f64_e32 v[4:5], v[4:5], v[84:85]
	v_add_f64_e32 v[8:9], v[8:9], v[80:81]
	v_mul_f64_e32 v[80:81], v[70:71], v[100:101]
	v_fmac_f64_e32 v[86:87], v[68:69], v[94:95]
	v_fma_f64 v[84:85], v[66:67], v[94:95], -v[88:89]
	v_fma_f64 v[70:71], v[70:71], v[98:99], -v[82:83]
	v_add_f64_e32 v[4:5], v[4:5], v[74:75]
	v_add_f64_e32 v[8:9], v[8:9], v[78:79]
	ds_load_b128 v[66:69], v2 offset:784
	ds_load_b128 v[74:77], v2 offset:800
	v_fmac_f64_e32 v[80:81], v[72:73], v[98:99]
	s_wait_loadcnt_dscnt 0x301
	v_mul_f64_e32 v[78:79], v[66:67], v[108:109]
	v_mul_f64_e32 v[88:89], v[68:69], v[108:109]
	s_wait_loadcnt_dscnt 0x0
	v_mul_f64_e32 v[72:73], v[74:75], v[12:13]
	v_add_f64_e32 v[4:5], v[4:5], v[84:85]
	v_add_f64_e32 v[8:9], v[8:9], v[86:87]
	v_mul_f64_e32 v[12:13], v[76:77], v[12:13]
	v_fmac_f64_e32 v[78:79], v[68:69], v[106:107]
	v_fma_f64 v[82:83], v[66:67], v[106:107], -v[88:89]
	ds_load_b128 v[66:69], v2 offset:816
	v_fmac_f64_e32 v[72:73], v[76:77], v[10:11]
	v_add_f64_e32 v[4:5], v[4:5], v[70:71]
	v_add_f64_e32 v[8:9], v[8:9], v[80:81]
	v_fma_f64 v[10:11], v[74:75], v[10:11], -v[12:13]
	s_wait_dscnt 0x0
	v_mul_f64_e32 v[70:71], v[66:67], v[120:121]
	v_mul_f64_e32 v[80:81], v[68:69], v[120:121]
	v_add_f64_e32 v[4:5], v[4:5], v[82:83]
	v_add_f64_e32 v[8:9], v[8:9], v[78:79]
	s_delay_alu instid0(VALU_DEP_4) | instskip(NEXT) | instid1(VALU_DEP_4)
	v_fmac_f64_e32 v[70:71], v[68:69], v[118:119]
	v_fma_f64 v[12:13], v[66:67], v[118:119], -v[80:81]
	s_delay_alu instid0(VALU_DEP_4) | instskip(NEXT) | instid1(VALU_DEP_4)
	v_add_f64_e32 v[4:5], v[4:5], v[10:11]
	v_add_f64_e32 v[8:9], v[8:9], v[72:73]
	s_delay_alu instid0(VALU_DEP_2) | instskip(NEXT) | instid1(VALU_DEP_2)
	v_add_f64_e32 v[4:5], v[4:5], v[12:13]
	v_add_f64_e32 v[10:11], v[8:9], v[70:71]
	s_delay_alu instid0(VALU_DEP_2) | instskip(NEXT) | instid1(VALU_DEP_2)
	v_add_f64_e64 v[8:9], v[110:111], -v[4:5]
	v_add_f64_e64 v[10:11], v[112:113], -v[10:11]
	scratch_store_b128 off, v[8:11], off offset:192
	s_wait_xcnt 0x0
	v_cmpx_lt_u32_e32 11, v1
	s_cbranch_execz .LBB25_147
; %bb.146:
	scratch_load_b128 v[8:11], off, s33
	v_dual_mov_b32 v3, v2 :: v_dual_mov_b32 v4, v2
	v_mov_b32_e32 v5, v2
	scratch_store_b128 off, v[2:5], off offset:176
	s_wait_loadcnt 0x0
	ds_store_b128 v6, v[8:11]
.LBB25_147:
	s_wait_xcnt 0x0
	s_or_b32 exec_lo, exec_lo, s2
	s_wait_storecnt_dscnt 0x0
	s_barrier_signal -1
	s_barrier_wait -1
	s_clause 0x9
	scratch_load_b128 v[8:11], off, off offset:192
	scratch_load_b128 v[66:69], off, off offset:208
	;; [unrolled: 1-line block ×10, first 2 shown]
	ds_load_b128 v[102:105], v2 offset:608
	ds_load_b128 v[110:113], v2 offset:624
	s_clause 0x1
	scratch_load_b128 v[106:109], off, off offset:352
	scratch_load_b128 v[114:117], off, off offset:176
	s_mov_b32 s2, exec_lo
	s_wait_loadcnt_dscnt 0xb01
	v_mul_f64_e32 v[4:5], v[104:105], v[10:11]
	v_mul_f64_e32 v[126:127], v[102:103], v[10:11]
	scratch_load_b128 v[10:13], off, off offset:368
	s_wait_loadcnt_dscnt 0xb00
	v_mul_f64_e32 v[128:129], v[110:111], v[68:69]
	v_mul_f64_e32 v[68:69], v[112:113], v[68:69]
	v_fma_f64 v[4:5], v[102:103], v[8:9], -v[4:5]
	v_fmac_f64_e32 v[126:127], v[104:105], v[8:9]
	ds_load_b128 v[102:105], v2 offset:640
	ds_load_b128 v[118:121], v2 offset:656
	scratch_load_b128 v[122:125], off, off offset:384
	v_fmac_f64_e32 v[128:129], v[112:113], v[66:67]
	v_fma_f64 v[110:111], v[110:111], v[66:67], -v[68:69]
	scratch_load_b128 v[66:69], off, off offset:400
	s_wait_loadcnt_dscnt 0xc01
	v_mul_f64_e32 v[8:9], v[102:103], v[72:73]
	v_mul_f64_e32 v[72:73], v[104:105], v[72:73]
	v_add_f64_e32 v[4:5], 0, v[4:5]
	v_add_f64_e32 v[112:113], 0, v[126:127]
	s_wait_loadcnt_dscnt 0xb00
	v_mul_f64_e32 v[126:127], v[118:119], v[76:77]
	v_mul_f64_e32 v[76:77], v[120:121], v[76:77]
	v_fmac_f64_e32 v[8:9], v[104:105], v[70:71]
	v_fma_f64 v[130:131], v[102:103], v[70:71], -v[72:73]
	ds_load_b128 v[70:73], v2 offset:672
	ds_load_b128 v[102:105], v2 offset:688
	v_add_f64_e32 v[4:5], v[4:5], v[110:111]
	v_add_f64_e32 v[110:111], v[112:113], v[128:129]
	v_fmac_f64_e32 v[126:127], v[120:121], v[74:75]
	v_fma_f64 v[74:75], v[118:119], v[74:75], -v[76:77]
	s_wait_loadcnt_dscnt 0xa01
	v_mul_f64_e32 v[112:113], v[70:71], v[80:81]
	v_mul_f64_e32 v[80:81], v[72:73], v[80:81]
	v_add_f64_e32 v[4:5], v[4:5], v[130:131]
	v_add_f64_e32 v[8:9], v[110:111], v[8:9]
	s_wait_loadcnt_dscnt 0x900
	v_mul_f64_e32 v[110:111], v[102:103], v[84:85]
	v_mul_f64_e32 v[84:85], v[104:105], v[84:85]
	v_fmac_f64_e32 v[112:113], v[72:73], v[78:79]
	v_fma_f64 v[78:79], v[70:71], v[78:79], -v[80:81]
	v_add_f64_e32 v[4:5], v[4:5], v[74:75]
	v_add_f64_e32 v[8:9], v[8:9], v[126:127]
	ds_load_b128 v[70:73], v2 offset:704
	ds_load_b128 v[74:77], v2 offset:720
	v_fmac_f64_e32 v[110:111], v[104:105], v[82:83]
	v_fma_f64 v[82:83], v[102:103], v[82:83], -v[84:85]
	s_wait_loadcnt_dscnt 0x801
	v_mul_f64_e32 v[118:119], v[70:71], v[88:89]
	v_mul_f64_e32 v[80:81], v[72:73], v[88:89]
	s_wait_loadcnt_dscnt 0x700
	v_mul_f64_e32 v[84:85], v[74:75], v[92:93]
	v_mul_f64_e32 v[88:89], v[76:77], v[92:93]
	v_add_f64_e32 v[4:5], v[4:5], v[78:79]
	v_add_f64_e32 v[8:9], v[8:9], v[112:113]
	v_fmac_f64_e32 v[118:119], v[72:73], v[86:87]
	v_fma_f64 v[86:87], v[70:71], v[86:87], -v[80:81]
	ds_load_b128 v[70:73], v2 offset:736
	ds_load_b128 v[78:81], v2 offset:752
	v_fmac_f64_e32 v[84:85], v[76:77], v[90:91]
	v_fma_f64 v[74:75], v[74:75], v[90:91], -v[88:89]
	v_add_f64_e32 v[4:5], v[4:5], v[82:83]
	v_add_f64_e32 v[8:9], v[8:9], v[110:111]
	s_wait_loadcnt_dscnt 0x601
	v_mul_f64_e32 v[82:83], v[70:71], v[96:97]
	v_mul_f64_e32 v[92:93], v[72:73], v[96:97]
	s_wait_loadcnt_dscnt 0x500
	v_mul_f64_e32 v[88:89], v[80:81], v[100:101]
	v_add_f64_e32 v[4:5], v[4:5], v[86:87]
	v_add_f64_e32 v[8:9], v[8:9], v[118:119]
	v_mul_f64_e32 v[86:87], v[78:79], v[100:101]
	v_fmac_f64_e32 v[82:83], v[72:73], v[94:95]
	v_fma_f64 v[90:91], v[70:71], v[94:95], -v[92:93]
	v_fma_f64 v[78:79], v[78:79], v[98:99], -v[88:89]
	v_add_f64_e32 v[4:5], v[4:5], v[74:75]
	v_add_f64_e32 v[8:9], v[8:9], v[84:85]
	ds_load_b128 v[70:73], v2 offset:768
	ds_load_b128 v[74:77], v2 offset:784
	v_fmac_f64_e32 v[86:87], v[80:81], v[98:99]
	s_wait_loadcnt_dscnt 0x401
	v_mul_f64_e32 v[84:85], v[70:71], v[108:109]
	v_mul_f64_e32 v[92:93], v[72:73], v[108:109]
	v_add_f64_e32 v[4:5], v[4:5], v[90:91]
	v_add_f64_e32 v[8:9], v[8:9], v[82:83]
	s_wait_loadcnt_dscnt 0x200
	v_mul_f64_e32 v[80:81], v[74:75], v[12:13]
	v_mul_f64_e32 v[12:13], v[76:77], v[12:13]
	v_fmac_f64_e32 v[84:85], v[72:73], v[106:107]
	v_fma_f64 v[82:83], v[70:71], v[106:107], -v[92:93]
	v_add_f64_e32 v[78:79], v[4:5], v[78:79]
	v_add_f64_e32 v[8:9], v[8:9], v[86:87]
	ds_load_b128 v[70:73], v2 offset:800
	ds_load_b128 v[2:5], v2 offset:816
	v_fmac_f64_e32 v[80:81], v[76:77], v[10:11]
	v_fma_f64 v[10:11], v[74:75], v[10:11], -v[12:13]
	s_wait_loadcnt_dscnt 0x101
	v_mul_f64_e32 v[86:87], v[70:71], v[124:125]
	v_mul_f64_e32 v[88:89], v[72:73], v[124:125]
	s_wait_loadcnt_dscnt 0x0
	v_mul_f64_e32 v[74:75], v[2:3], v[68:69]
	v_mul_f64_e32 v[68:69], v[4:5], v[68:69]
	v_add_f64_e32 v[12:13], v[78:79], v[82:83]
	v_add_f64_e32 v[8:9], v[8:9], v[84:85]
	v_fmac_f64_e32 v[86:87], v[72:73], v[122:123]
	v_fma_f64 v[70:71], v[70:71], v[122:123], -v[88:89]
	v_fmac_f64_e32 v[74:75], v[4:5], v[66:67]
	v_fma_f64 v[2:3], v[2:3], v[66:67], -v[68:69]
	v_add_f64_e32 v[10:11], v[12:13], v[10:11]
	v_add_f64_e32 v[8:9], v[8:9], v[80:81]
	s_delay_alu instid0(VALU_DEP_2) | instskip(NEXT) | instid1(VALU_DEP_2)
	v_add_f64_e32 v[4:5], v[10:11], v[70:71]
	v_add_f64_e32 v[8:9], v[8:9], v[86:87]
	s_delay_alu instid0(VALU_DEP_2) | instskip(NEXT) | instid1(VALU_DEP_2)
	v_add_f64_e32 v[2:3], v[4:5], v[2:3]
	v_add_f64_e32 v[4:5], v[8:9], v[74:75]
	s_delay_alu instid0(VALU_DEP_2) | instskip(NEXT) | instid1(VALU_DEP_2)
	v_add_f64_e64 v[2:3], v[114:115], -v[2:3]
	v_add_f64_e64 v[4:5], v[116:117], -v[4:5]
	scratch_store_b128 off, v[2:5], off offset:176
	s_wait_xcnt 0x0
	v_cmpx_lt_u32_e32 10, v1
	s_cbranch_execz .LBB25_149
; %bb.148:
	scratch_load_b128 v[2:5], off, s29
	v_mov_b32_e32 v8, 0
	s_delay_alu instid0(VALU_DEP_1)
	v_dual_mov_b32 v9, v8 :: v_dual_mov_b32 v10, v8
	v_mov_b32_e32 v11, v8
	scratch_store_b128 off, v[8:11], off offset:160
	s_wait_loadcnt 0x0
	ds_store_b128 v6, v[2:5]
.LBB25_149:
	s_wait_xcnt 0x0
	s_or_b32 exec_lo, exec_lo, s2
	s_wait_storecnt_dscnt 0x0
	s_barrier_signal -1
	s_barrier_wait -1
	s_clause 0x9
	scratch_load_b128 v[8:11], off, off offset:176
	scratch_load_b128 v[66:69], off, off offset:192
	;; [unrolled: 1-line block ×10, first 2 shown]
	v_mov_b32_e32 v2, 0
	s_mov_b32 s2, exec_lo
	ds_load_b128 v[102:105], v2 offset:592
	s_clause 0x2
	scratch_load_b128 v[106:109], off, off offset:336
	scratch_load_b128 v[110:113], off, off offset:160
	;; [unrolled: 1-line block ×3, first 2 shown]
	s_wait_loadcnt_dscnt 0xc00
	v_mul_f64_e32 v[4:5], v[104:105], v[10:11]
	v_mul_f64_e32 v[126:127], v[102:103], v[10:11]
	ds_load_b128 v[114:117], v2 offset:608
	scratch_load_b128 v[10:13], off, off offset:352
	ds_load_b128 v[122:125], v2 offset:640
	v_fma_f64 v[4:5], v[102:103], v[8:9], -v[4:5]
	v_fmac_f64_e32 v[126:127], v[104:105], v[8:9]
	ds_load_b128 v[102:105], v2 offset:624
	s_wait_loadcnt_dscnt 0xc02
	v_mul_f64_e32 v[128:129], v[114:115], v[68:69]
	v_mul_f64_e32 v[68:69], v[116:117], v[68:69]
	s_wait_loadcnt_dscnt 0xb00
	v_mul_f64_e32 v[8:9], v[102:103], v[72:73]
	v_mul_f64_e32 v[72:73], v[104:105], v[72:73]
	v_add_f64_e32 v[4:5], 0, v[4:5]
	v_fmac_f64_e32 v[128:129], v[116:117], v[66:67]
	v_fma_f64 v[114:115], v[114:115], v[66:67], -v[68:69]
	v_add_f64_e32 v[116:117], 0, v[126:127]
	scratch_load_b128 v[66:69], off, off offset:384
	v_fmac_f64_e32 v[8:9], v[104:105], v[70:71]
	v_fma_f64 v[130:131], v[102:103], v[70:71], -v[72:73]
	ds_load_b128 v[70:73], v2 offset:656
	s_wait_loadcnt 0xb
	v_mul_f64_e32 v[126:127], v[122:123], v[76:77]
	v_mul_f64_e32 v[76:77], v[124:125], v[76:77]
	scratch_load_b128 v[102:105], off, off offset:400
	v_add_f64_e32 v[4:5], v[4:5], v[114:115]
	v_add_f64_e32 v[128:129], v[116:117], v[128:129]
	ds_load_b128 v[114:117], v2 offset:672
	s_wait_loadcnt_dscnt 0xb01
	v_mul_f64_e32 v[132:133], v[70:71], v[80:81]
	v_mul_f64_e32 v[80:81], v[72:73], v[80:81]
	v_fmac_f64_e32 v[126:127], v[124:125], v[74:75]
	v_fma_f64 v[74:75], v[122:123], v[74:75], -v[76:77]
	s_wait_loadcnt_dscnt 0xa00
	v_mul_f64_e32 v[122:123], v[114:115], v[84:85]
	v_mul_f64_e32 v[84:85], v[116:117], v[84:85]
	v_add_f64_e32 v[4:5], v[4:5], v[130:131]
	v_add_f64_e32 v[8:9], v[128:129], v[8:9]
	v_fmac_f64_e32 v[132:133], v[72:73], v[78:79]
	v_fma_f64 v[78:79], v[70:71], v[78:79], -v[80:81]
	v_fmac_f64_e32 v[122:123], v[116:117], v[82:83]
	v_fma_f64 v[82:83], v[114:115], v[82:83], -v[84:85]
	v_add_f64_e32 v[4:5], v[4:5], v[74:75]
	v_add_f64_e32 v[8:9], v[8:9], v[126:127]
	ds_load_b128 v[70:73], v2 offset:688
	ds_load_b128 v[74:77], v2 offset:704
	s_wait_loadcnt_dscnt 0x901
	v_mul_f64_e32 v[124:125], v[70:71], v[88:89]
	v_mul_f64_e32 v[80:81], v[72:73], v[88:89]
	s_wait_loadcnt_dscnt 0x800
	v_mul_f64_e32 v[84:85], v[74:75], v[92:93]
	v_mul_f64_e32 v[88:89], v[76:77], v[92:93]
	v_add_f64_e32 v[4:5], v[4:5], v[78:79]
	v_add_f64_e32 v[8:9], v[8:9], v[132:133]
	v_fmac_f64_e32 v[124:125], v[72:73], v[86:87]
	v_fma_f64 v[86:87], v[70:71], v[86:87], -v[80:81]
	ds_load_b128 v[70:73], v2 offset:720
	ds_load_b128 v[78:81], v2 offset:736
	v_fmac_f64_e32 v[84:85], v[76:77], v[90:91]
	v_fma_f64 v[74:75], v[74:75], v[90:91], -v[88:89]
	v_add_f64_e32 v[4:5], v[4:5], v[82:83]
	v_add_f64_e32 v[8:9], v[8:9], v[122:123]
	s_wait_loadcnt_dscnt 0x701
	v_mul_f64_e32 v[82:83], v[70:71], v[96:97]
	v_mul_f64_e32 v[92:93], v[72:73], v[96:97]
	s_wait_loadcnt_dscnt 0x600
	v_mul_f64_e32 v[88:89], v[80:81], v[100:101]
	v_add_f64_e32 v[4:5], v[4:5], v[86:87]
	v_add_f64_e32 v[8:9], v[8:9], v[124:125]
	v_mul_f64_e32 v[86:87], v[78:79], v[100:101]
	v_fmac_f64_e32 v[82:83], v[72:73], v[94:95]
	v_fma_f64 v[90:91], v[70:71], v[94:95], -v[92:93]
	v_fma_f64 v[78:79], v[78:79], v[98:99], -v[88:89]
	v_add_f64_e32 v[4:5], v[4:5], v[74:75]
	v_add_f64_e32 v[8:9], v[8:9], v[84:85]
	ds_load_b128 v[70:73], v2 offset:752
	ds_load_b128 v[74:77], v2 offset:768
	v_fmac_f64_e32 v[86:87], v[80:81], v[98:99]
	s_wait_loadcnt_dscnt 0x501
	v_mul_f64_e32 v[84:85], v[70:71], v[108:109]
	v_mul_f64_e32 v[92:93], v[72:73], v[108:109]
	v_add_f64_e32 v[4:5], v[4:5], v[90:91]
	v_add_f64_e32 v[8:9], v[8:9], v[82:83]
	s_wait_loadcnt_dscnt 0x200
	v_mul_f64_e32 v[82:83], v[74:75], v[12:13]
	v_mul_f64_e32 v[12:13], v[76:77], v[12:13]
	v_fmac_f64_e32 v[84:85], v[72:73], v[106:107]
	v_fma_f64 v[88:89], v[70:71], v[106:107], -v[92:93]
	v_add_f64_e32 v[4:5], v[4:5], v[78:79]
	v_add_f64_e32 v[8:9], v[8:9], v[86:87]
	ds_load_b128 v[70:73], v2 offset:784
	ds_load_b128 v[78:81], v2 offset:800
	v_fmac_f64_e32 v[82:83], v[76:77], v[10:11]
	v_fma_f64 v[10:11], v[74:75], v[10:11], -v[12:13]
	s_wait_dscnt 0x1
	v_mul_f64_e32 v[86:87], v[70:71], v[120:121]
	v_mul_f64_e32 v[90:91], v[72:73], v[120:121]
	v_add_f64_e32 v[4:5], v[4:5], v[88:89]
	v_add_f64_e32 v[8:9], v[8:9], v[84:85]
	s_wait_loadcnt_dscnt 0x100
	v_mul_f64_e32 v[12:13], v[78:79], v[68:69]
	v_mul_f64_e32 v[68:69], v[80:81], v[68:69]
	v_fmac_f64_e32 v[86:87], v[72:73], v[118:119]
	v_fma_f64 v[70:71], v[70:71], v[118:119], -v[90:91]
	v_add_f64_e32 v[4:5], v[4:5], v[10:11]
	v_add_f64_e32 v[72:73], v[8:9], v[82:83]
	ds_load_b128 v[8:11], v2 offset:816
	v_fmac_f64_e32 v[12:13], v[80:81], v[66:67]
	v_fma_f64 v[66:67], v[78:79], v[66:67], -v[68:69]
	s_wait_loadcnt_dscnt 0x0
	v_mul_f64_e32 v[74:75], v[8:9], v[104:105]
	v_mul_f64_e32 v[76:77], v[10:11], v[104:105]
	v_add_f64_e32 v[4:5], v[4:5], v[70:71]
	v_add_f64_e32 v[68:69], v[72:73], v[86:87]
	s_delay_alu instid0(VALU_DEP_4) | instskip(NEXT) | instid1(VALU_DEP_4)
	v_fmac_f64_e32 v[74:75], v[10:11], v[102:103]
	v_fma_f64 v[8:9], v[8:9], v[102:103], -v[76:77]
	s_delay_alu instid0(VALU_DEP_4) | instskip(NEXT) | instid1(VALU_DEP_4)
	v_add_f64_e32 v[4:5], v[4:5], v[66:67]
	v_add_f64_e32 v[10:11], v[68:69], v[12:13]
	s_delay_alu instid0(VALU_DEP_2) | instskip(NEXT) | instid1(VALU_DEP_2)
	v_add_f64_e32 v[4:5], v[4:5], v[8:9]
	v_add_f64_e32 v[10:11], v[10:11], v[74:75]
	s_delay_alu instid0(VALU_DEP_2) | instskip(NEXT) | instid1(VALU_DEP_2)
	v_add_f64_e64 v[8:9], v[110:111], -v[4:5]
	v_add_f64_e64 v[10:11], v[112:113], -v[10:11]
	scratch_store_b128 off, v[8:11], off offset:160
	s_wait_xcnt 0x0
	v_cmpx_lt_u32_e32 9, v1
	s_cbranch_execz .LBB25_151
; %bb.150:
	scratch_load_b128 v[8:11], off, s27
	v_dual_mov_b32 v3, v2 :: v_dual_mov_b32 v4, v2
	v_mov_b32_e32 v5, v2
	scratch_store_b128 off, v[2:5], off offset:144
	s_wait_loadcnt 0x0
	ds_store_b128 v6, v[8:11]
.LBB25_151:
	s_wait_xcnt 0x0
	s_or_b32 exec_lo, exec_lo, s2
	s_wait_storecnt_dscnt 0x0
	s_barrier_signal -1
	s_barrier_wait -1
	s_clause 0x9
	scratch_load_b128 v[8:11], off, off offset:160
	scratch_load_b128 v[66:69], off, off offset:176
	;; [unrolled: 1-line block ×10, first 2 shown]
	ds_load_b128 v[102:105], v2 offset:576
	ds_load_b128 v[110:113], v2 offset:592
	s_clause 0x1
	scratch_load_b128 v[106:109], off, off offset:320
	scratch_load_b128 v[114:117], off, off offset:144
	s_mov_b32 s2, exec_lo
	s_wait_loadcnt_dscnt 0xb01
	v_mul_f64_e32 v[4:5], v[104:105], v[10:11]
	v_mul_f64_e32 v[126:127], v[102:103], v[10:11]
	scratch_load_b128 v[10:13], off, off offset:336
	s_wait_loadcnt_dscnt 0xb00
	v_mul_f64_e32 v[128:129], v[110:111], v[68:69]
	v_mul_f64_e32 v[68:69], v[112:113], v[68:69]
	v_fma_f64 v[4:5], v[102:103], v[8:9], -v[4:5]
	v_fmac_f64_e32 v[126:127], v[104:105], v[8:9]
	ds_load_b128 v[102:105], v2 offset:608
	ds_load_b128 v[118:121], v2 offset:624
	scratch_load_b128 v[122:125], off, off offset:352
	v_fmac_f64_e32 v[128:129], v[112:113], v[66:67]
	v_fma_f64 v[110:111], v[110:111], v[66:67], -v[68:69]
	scratch_load_b128 v[66:69], off, off offset:368
	s_wait_loadcnt_dscnt 0xc01
	v_mul_f64_e32 v[8:9], v[102:103], v[72:73]
	v_mul_f64_e32 v[72:73], v[104:105], v[72:73]
	v_add_f64_e32 v[4:5], 0, v[4:5]
	v_add_f64_e32 v[112:113], 0, v[126:127]
	s_wait_loadcnt_dscnt 0xb00
	v_mul_f64_e32 v[126:127], v[118:119], v[76:77]
	v_mul_f64_e32 v[76:77], v[120:121], v[76:77]
	v_fmac_f64_e32 v[8:9], v[104:105], v[70:71]
	v_fma_f64 v[130:131], v[102:103], v[70:71], -v[72:73]
	ds_load_b128 v[70:73], v2 offset:640
	ds_load_b128 v[102:105], v2 offset:656
	v_add_f64_e32 v[4:5], v[4:5], v[110:111]
	v_add_f64_e32 v[128:129], v[112:113], v[128:129]
	scratch_load_b128 v[110:113], off, off offset:384
	v_fmac_f64_e32 v[126:127], v[120:121], v[74:75]
	v_fma_f64 v[118:119], v[118:119], v[74:75], -v[76:77]
	scratch_load_b128 v[74:77], off, off offset:400
	s_wait_loadcnt_dscnt 0xc01
	v_mul_f64_e32 v[132:133], v[70:71], v[80:81]
	v_mul_f64_e32 v[80:81], v[72:73], v[80:81]
	s_wait_loadcnt_dscnt 0xb00
	v_mul_f64_e32 v[120:121], v[102:103], v[84:85]
	v_mul_f64_e32 v[84:85], v[104:105], v[84:85]
	v_add_f64_e32 v[4:5], v[4:5], v[130:131]
	v_add_f64_e32 v[8:9], v[128:129], v[8:9]
	v_fmac_f64_e32 v[132:133], v[72:73], v[78:79]
	v_fma_f64 v[128:129], v[70:71], v[78:79], -v[80:81]
	ds_load_b128 v[70:73], v2 offset:672
	ds_load_b128 v[78:81], v2 offset:688
	v_fmac_f64_e32 v[120:121], v[104:105], v[82:83]
	v_fma_f64 v[82:83], v[102:103], v[82:83], -v[84:85]
	s_wait_loadcnt_dscnt 0x900
	v_mul_f64_e32 v[102:103], v[78:79], v[92:93]
	v_add_f64_e32 v[4:5], v[4:5], v[118:119]
	v_add_f64_e32 v[8:9], v[8:9], v[126:127]
	v_mul_f64_e32 v[118:119], v[70:71], v[88:89]
	v_mul_f64_e32 v[88:89], v[72:73], v[88:89]
	;; [unrolled: 1-line block ×3, first 2 shown]
	v_fmac_f64_e32 v[102:103], v[80:81], v[90:91]
	v_add_f64_e32 v[4:5], v[4:5], v[128:129]
	v_add_f64_e32 v[8:9], v[8:9], v[132:133]
	v_fmac_f64_e32 v[118:119], v[72:73], v[86:87]
	v_fma_f64 v[86:87], v[70:71], v[86:87], -v[88:89]
	v_fma_f64 v[78:79], v[78:79], v[90:91], -v[92:93]
	v_add_f64_e32 v[4:5], v[4:5], v[82:83]
	v_add_f64_e32 v[8:9], v[8:9], v[120:121]
	ds_load_b128 v[70:73], v2 offset:704
	ds_load_b128 v[82:85], v2 offset:720
	s_wait_loadcnt_dscnt 0x801
	v_mul_f64_e32 v[88:89], v[70:71], v[96:97]
	v_mul_f64_e32 v[96:97], v[72:73], v[96:97]
	s_wait_loadcnt_dscnt 0x700
	v_mul_f64_e32 v[90:91], v[84:85], v[100:101]
	v_add_f64_e32 v[4:5], v[4:5], v[86:87]
	v_add_f64_e32 v[8:9], v[8:9], v[118:119]
	v_mul_f64_e32 v[86:87], v[82:83], v[100:101]
	v_fmac_f64_e32 v[88:89], v[72:73], v[94:95]
	v_fma_f64 v[92:93], v[70:71], v[94:95], -v[96:97]
	v_fma_f64 v[82:83], v[82:83], v[98:99], -v[90:91]
	v_add_f64_e32 v[4:5], v[4:5], v[78:79]
	v_add_f64_e32 v[8:9], v[8:9], v[102:103]
	ds_load_b128 v[70:73], v2 offset:736
	ds_load_b128 v[78:81], v2 offset:752
	v_fmac_f64_e32 v[86:87], v[84:85], v[98:99]
	s_wait_loadcnt_dscnt 0x601
	v_mul_f64_e32 v[94:95], v[70:71], v[108:109]
	v_mul_f64_e32 v[96:97], v[72:73], v[108:109]
	v_add_f64_e32 v[4:5], v[4:5], v[92:93]
	v_add_f64_e32 v[8:9], v[8:9], v[88:89]
	s_wait_loadcnt_dscnt 0x400
	v_mul_f64_e32 v[88:89], v[78:79], v[12:13]
	v_mul_f64_e32 v[12:13], v[80:81], v[12:13]
	v_fmac_f64_e32 v[94:95], v[72:73], v[106:107]
	v_fma_f64 v[90:91], v[70:71], v[106:107], -v[96:97]
	v_add_f64_e32 v[4:5], v[4:5], v[82:83]
	v_add_f64_e32 v[8:9], v[8:9], v[86:87]
	ds_load_b128 v[70:73], v2 offset:768
	ds_load_b128 v[82:85], v2 offset:784
	v_fmac_f64_e32 v[88:89], v[80:81], v[10:11]
	v_fma_f64 v[10:11], v[78:79], v[10:11], -v[12:13]
	s_wait_loadcnt_dscnt 0x301
	v_mul_f64_e32 v[86:87], v[70:71], v[124:125]
	v_mul_f64_e32 v[92:93], v[72:73], v[124:125]
	s_wait_loadcnt_dscnt 0x200
	v_mul_f64_e32 v[12:13], v[82:83], v[68:69]
	v_mul_f64_e32 v[68:69], v[84:85], v[68:69]
	v_add_f64_e32 v[4:5], v[4:5], v[90:91]
	v_add_f64_e32 v[8:9], v[8:9], v[94:95]
	v_fmac_f64_e32 v[86:87], v[72:73], v[122:123]
	v_fma_f64 v[70:71], v[70:71], v[122:123], -v[92:93]
	v_fmac_f64_e32 v[12:13], v[84:85], v[66:67]
	v_fma_f64 v[66:67], v[82:83], v[66:67], -v[68:69]
	v_add_f64_e32 v[72:73], v[4:5], v[10:11]
	v_add_f64_e32 v[78:79], v[8:9], v[88:89]
	ds_load_b128 v[8:11], v2 offset:800
	ds_load_b128 v[2:5], v2 offset:816
	s_wait_loadcnt_dscnt 0x101
	v_mul_f64_e32 v[80:81], v[8:9], v[112:113]
	v_mul_f64_e32 v[88:89], v[10:11], v[112:113]
	v_add_f64_e32 v[68:69], v[72:73], v[70:71]
	v_add_f64_e32 v[70:71], v[78:79], v[86:87]
	s_wait_loadcnt_dscnt 0x0
	v_mul_f64_e32 v[72:73], v[2:3], v[76:77]
	v_mul_f64_e32 v[76:77], v[4:5], v[76:77]
	v_fmac_f64_e32 v[80:81], v[10:11], v[110:111]
	v_fma_f64 v[8:9], v[8:9], v[110:111], -v[88:89]
	v_add_f64_e32 v[10:11], v[68:69], v[66:67]
	v_add_f64_e32 v[12:13], v[70:71], v[12:13]
	v_fmac_f64_e32 v[72:73], v[4:5], v[74:75]
	v_fma_f64 v[2:3], v[2:3], v[74:75], -v[76:77]
	s_delay_alu instid0(VALU_DEP_4) | instskip(NEXT) | instid1(VALU_DEP_4)
	v_add_f64_e32 v[4:5], v[10:11], v[8:9]
	v_add_f64_e32 v[8:9], v[12:13], v[80:81]
	s_delay_alu instid0(VALU_DEP_2) | instskip(NEXT) | instid1(VALU_DEP_2)
	v_add_f64_e32 v[2:3], v[4:5], v[2:3]
	v_add_f64_e32 v[4:5], v[8:9], v[72:73]
	s_delay_alu instid0(VALU_DEP_2) | instskip(NEXT) | instid1(VALU_DEP_2)
	v_add_f64_e64 v[2:3], v[114:115], -v[2:3]
	v_add_f64_e64 v[4:5], v[116:117], -v[4:5]
	scratch_store_b128 off, v[2:5], off offset:144
	s_wait_xcnt 0x0
	v_cmpx_lt_u32_e32 8, v1
	s_cbranch_execz .LBB25_153
; %bb.152:
	scratch_load_b128 v[2:5], off, s26
	v_mov_b32_e32 v8, 0
	s_delay_alu instid0(VALU_DEP_1)
	v_dual_mov_b32 v9, v8 :: v_dual_mov_b32 v10, v8
	v_mov_b32_e32 v11, v8
	scratch_store_b128 off, v[8:11], off offset:128
	s_wait_loadcnt 0x0
	ds_store_b128 v6, v[2:5]
.LBB25_153:
	s_wait_xcnt 0x0
	s_or_b32 exec_lo, exec_lo, s2
	s_wait_storecnt_dscnt 0x0
	s_barrier_signal -1
	s_barrier_wait -1
	s_clause 0x9
	scratch_load_b128 v[8:11], off, off offset:144
	scratch_load_b128 v[66:69], off, off offset:160
	;; [unrolled: 1-line block ×10, first 2 shown]
	v_mov_b32_e32 v2, 0
	s_mov_b32 s2, exec_lo
	ds_load_b128 v[102:105], v2 offset:560
	s_clause 0x2
	scratch_load_b128 v[106:109], off, off offset:304
	scratch_load_b128 v[110:113], off, off offset:128
	;; [unrolled: 1-line block ×3, first 2 shown]
	s_wait_loadcnt_dscnt 0xc00
	v_mul_f64_e32 v[4:5], v[104:105], v[10:11]
	v_mul_f64_e32 v[126:127], v[102:103], v[10:11]
	ds_load_b128 v[114:117], v2 offset:576
	scratch_load_b128 v[10:13], off, off offset:320
	ds_load_b128 v[122:125], v2 offset:608
	v_fma_f64 v[4:5], v[102:103], v[8:9], -v[4:5]
	v_fmac_f64_e32 v[126:127], v[104:105], v[8:9]
	ds_load_b128 v[102:105], v2 offset:592
	s_wait_loadcnt_dscnt 0xc02
	v_mul_f64_e32 v[128:129], v[114:115], v[68:69]
	v_mul_f64_e32 v[68:69], v[116:117], v[68:69]
	s_wait_loadcnt_dscnt 0xb00
	v_mul_f64_e32 v[8:9], v[102:103], v[72:73]
	v_mul_f64_e32 v[72:73], v[104:105], v[72:73]
	v_add_f64_e32 v[4:5], 0, v[4:5]
	v_fmac_f64_e32 v[128:129], v[116:117], v[66:67]
	v_fma_f64 v[114:115], v[114:115], v[66:67], -v[68:69]
	v_add_f64_e32 v[116:117], 0, v[126:127]
	scratch_load_b128 v[66:69], off, off offset:352
	v_fmac_f64_e32 v[8:9], v[104:105], v[70:71]
	v_fma_f64 v[130:131], v[102:103], v[70:71], -v[72:73]
	ds_load_b128 v[70:73], v2 offset:624
	s_wait_loadcnt 0xb
	v_mul_f64_e32 v[126:127], v[122:123], v[76:77]
	v_mul_f64_e32 v[76:77], v[124:125], v[76:77]
	scratch_load_b128 v[102:105], off, off offset:368
	v_add_f64_e32 v[4:5], v[4:5], v[114:115]
	v_add_f64_e32 v[128:129], v[116:117], v[128:129]
	ds_load_b128 v[114:117], v2 offset:640
	s_wait_loadcnt_dscnt 0xb01
	v_mul_f64_e32 v[132:133], v[70:71], v[80:81]
	v_mul_f64_e32 v[80:81], v[72:73], v[80:81]
	v_fmac_f64_e32 v[126:127], v[124:125], v[74:75]
	v_fma_f64 v[122:123], v[122:123], v[74:75], -v[76:77]
	scratch_load_b128 v[74:77], off, off offset:384
	v_add_f64_e32 v[4:5], v[4:5], v[130:131]
	v_add_f64_e32 v[8:9], v[128:129], v[8:9]
	v_fmac_f64_e32 v[132:133], v[72:73], v[78:79]
	v_fma_f64 v[130:131], v[70:71], v[78:79], -v[80:81]
	ds_load_b128 v[70:73], v2 offset:656
	s_wait_loadcnt_dscnt 0xb01
	v_mul_f64_e32 v[128:129], v[114:115], v[84:85]
	v_mul_f64_e32 v[84:85], v[116:117], v[84:85]
	scratch_load_b128 v[78:81], off, off offset:400
	v_add_f64_e32 v[4:5], v[4:5], v[122:123]
	v_add_f64_e32 v[8:9], v[8:9], v[126:127]
	s_wait_loadcnt_dscnt 0xb00
	v_mul_f64_e32 v[126:127], v[70:71], v[88:89]
	v_mul_f64_e32 v[88:89], v[72:73], v[88:89]
	ds_load_b128 v[122:125], v2 offset:672
	v_fmac_f64_e32 v[128:129], v[116:117], v[82:83]
	v_fma_f64 v[82:83], v[114:115], v[82:83], -v[84:85]
	s_wait_loadcnt_dscnt 0xa00
	v_mul_f64_e32 v[114:115], v[122:123], v[92:93]
	v_mul_f64_e32 v[92:93], v[124:125], v[92:93]
	v_add_f64_e32 v[4:5], v[4:5], v[130:131]
	v_add_f64_e32 v[8:9], v[8:9], v[132:133]
	v_fmac_f64_e32 v[126:127], v[72:73], v[86:87]
	v_fma_f64 v[86:87], v[70:71], v[86:87], -v[88:89]
	v_fmac_f64_e32 v[114:115], v[124:125], v[90:91]
	v_fma_f64 v[90:91], v[122:123], v[90:91], -v[92:93]
	v_add_f64_e32 v[4:5], v[4:5], v[82:83]
	v_add_f64_e32 v[8:9], v[8:9], v[128:129]
	ds_load_b128 v[70:73], v2 offset:688
	ds_load_b128 v[82:85], v2 offset:704
	s_wait_loadcnt_dscnt 0x901
	v_mul_f64_e32 v[116:117], v[70:71], v[96:97]
	v_mul_f64_e32 v[88:89], v[72:73], v[96:97]
	s_wait_loadcnt_dscnt 0x800
	v_mul_f64_e32 v[92:93], v[82:83], v[100:101]
	v_mul_f64_e32 v[96:97], v[84:85], v[100:101]
	v_add_f64_e32 v[4:5], v[4:5], v[86:87]
	v_add_f64_e32 v[8:9], v[8:9], v[126:127]
	v_fmac_f64_e32 v[116:117], v[72:73], v[94:95]
	v_fma_f64 v[94:95], v[70:71], v[94:95], -v[88:89]
	ds_load_b128 v[70:73], v2 offset:720
	ds_load_b128 v[86:89], v2 offset:736
	v_fmac_f64_e32 v[92:93], v[84:85], v[98:99]
	v_fma_f64 v[82:83], v[82:83], v[98:99], -v[96:97]
	v_add_f64_e32 v[4:5], v[4:5], v[90:91]
	v_add_f64_e32 v[8:9], v[8:9], v[114:115]
	s_wait_loadcnt_dscnt 0x701
	v_mul_f64_e32 v[90:91], v[70:71], v[108:109]
	v_mul_f64_e32 v[100:101], v[72:73], v[108:109]
	s_delay_alu instid0(VALU_DEP_4) | instskip(NEXT) | instid1(VALU_DEP_4)
	v_add_f64_e32 v[4:5], v[4:5], v[94:95]
	v_add_f64_e32 v[8:9], v[8:9], v[116:117]
	s_wait_loadcnt_dscnt 0x400
	v_mul_f64_e32 v[94:95], v[86:87], v[12:13]
	v_mul_f64_e32 v[12:13], v[88:89], v[12:13]
	v_fmac_f64_e32 v[90:91], v[72:73], v[106:107]
	v_fma_f64 v[96:97], v[70:71], v[106:107], -v[100:101]
	v_add_f64_e32 v[4:5], v[4:5], v[82:83]
	v_add_f64_e32 v[8:9], v[8:9], v[92:93]
	ds_load_b128 v[70:73], v2 offset:752
	ds_load_b128 v[82:85], v2 offset:768
	v_fmac_f64_e32 v[94:95], v[88:89], v[10:11]
	v_fma_f64 v[10:11], v[86:87], v[10:11], -v[12:13]
	s_wait_dscnt 0x1
	v_mul_f64_e32 v[92:93], v[70:71], v[120:121]
	v_mul_f64_e32 v[98:99], v[72:73], v[120:121]
	v_add_f64_e32 v[4:5], v[4:5], v[96:97]
	v_add_f64_e32 v[8:9], v[8:9], v[90:91]
	s_wait_loadcnt_dscnt 0x300
	v_mul_f64_e32 v[12:13], v[82:83], v[68:69]
	v_mul_f64_e32 v[86:87], v[84:85], v[68:69]
	v_fmac_f64_e32 v[92:93], v[72:73], v[118:119]
	v_fma_f64 v[72:73], v[70:71], v[118:119], -v[98:99]
	v_add_f64_e32 v[4:5], v[4:5], v[10:11]
	v_add_f64_e32 v[88:89], v[8:9], v[94:95]
	ds_load_b128 v[8:11], v2 offset:784
	ds_load_b128 v[68:71], v2 offset:800
	v_fmac_f64_e32 v[12:13], v[84:85], v[66:67]
	v_fma_f64 v[66:67], v[82:83], v[66:67], -v[86:87]
	s_wait_loadcnt_dscnt 0x201
	v_mul_f64_e32 v[90:91], v[8:9], v[104:105]
	v_mul_f64_e32 v[94:95], v[10:11], v[104:105]
	s_wait_loadcnt_dscnt 0x100
	v_mul_f64_e32 v[82:83], v[68:69], v[76:77]
	v_mul_f64_e32 v[76:77], v[70:71], v[76:77]
	v_add_f64_e32 v[4:5], v[4:5], v[72:73]
	v_add_f64_e32 v[72:73], v[88:89], v[92:93]
	v_fmac_f64_e32 v[90:91], v[10:11], v[102:103]
	v_fma_f64 v[84:85], v[8:9], v[102:103], -v[94:95]
	ds_load_b128 v[8:11], v2 offset:816
	v_fmac_f64_e32 v[82:83], v[70:71], v[74:75]
	v_fma_f64 v[68:69], v[68:69], v[74:75], -v[76:77]
	v_add_f64_e32 v[4:5], v[4:5], v[66:67]
	v_add_f64_e32 v[12:13], v[72:73], v[12:13]
	s_wait_loadcnt_dscnt 0x0
	v_mul_f64_e32 v[66:67], v[8:9], v[80:81]
	v_mul_f64_e32 v[72:73], v[10:11], v[80:81]
	s_delay_alu instid0(VALU_DEP_4) | instskip(NEXT) | instid1(VALU_DEP_4)
	v_add_f64_e32 v[4:5], v[4:5], v[84:85]
	v_add_f64_e32 v[12:13], v[12:13], v[90:91]
	s_delay_alu instid0(VALU_DEP_4) | instskip(NEXT) | instid1(VALU_DEP_4)
	v_fmac_f64_e32 v[66:67], v[10:11], v[78:79]
	v_fma_f64 v[8:9], v[8:9], v[78:79], -v[72:73]
	s_delay_alu instid0(VALU_DEP_4) | instskip(NEXT) | instid1(VALU_DEP_4)
	v_add_f64_e32 v[4:5], v[4:5], v[68:69]
	v_add_f64_e32 v[10:11], v[12:13], v[82:83]
	s_delay_alu instid0(VALU_DEP_2) | instskip(NEXT) | instid1(VALU_DEP_2)
	v_add_f64_e32 v[4:5], v[4:5], v[8:9]
	v_add_f64_e32 v[10:11], v[10:11], v[66:67]
	s_delay_alu instid0(VALU_DEP_2) | instskip(NEXT) | instid1(VALU_DEP_2)
	v_add_f64_e64 v[8:9], v[110:111], -v[4:5]
	v_add_f64_e64 v[10:11], v[112:113], -v[10:11]
	scratch_store_b128 off, v[8:11], off offset:128
	s_wait_xcnt 0x0
	v_cmpx_lt_u32_e32 7, v1
	s_cbranch_execz .LBB25_155
; %bb.154:
	scratch_load_b128 v[8:11], off, s34
	v_dual_mov_b32 v3, v2 :: v_dual_mov_b32 v4, v2
	v_mov_b32_e32 v5, v2
	scratch_store_b128 off, v[2:5], off offset:112
	s_wait_loadcnt 0x0
	ds_store_b128 v6, v[8:11]
.LBB25_155:
	s_wait_xcnt 0x0
	s_or_b32 exec_lo, exec_lo, s2
	s_wait_storecnt_dscnt 0x0
	s_barrier_signal -1
	s_barrier_wait -1
	s_clause 0x9
	scratch_load_b128 v[8:11], off, off offset:128
	scratch_load_b128 v[66:69], off, off offset:144
	;; [unrolled: 1-line block ×10, first 2 shown]
	ds_load_b128 v[102:105], v2 offset:544
	ds_load_b128 v[110:113], v2 offset:560
	s_clause 0x1
	scratch_load_b128 v[106:109], off, off offset:288
	scratch_load_b128 v[114:117], off, off offset:112
	s_mov_b32 s2, exec_lo
	s_wait_loadcnt_dscnt 0xb01
	v_mul_f64_e32 v[4:5], v[104:105], v[10:11]
	v_mul_f64_e32 v[126:127], v[102:103], v[10:11]
	scratch_load_b128 v[10:13], off, off offset:304
	s_wait_loadcnt_dscnt 0xb00
	v_mul_f64_e32 v[128:129], v[110:111], v[68:69]
	v_mul_f64_e32 v[68:69], v[112:113], v[68:69]
	v_fma_f64 v[4:5], v[102:103], v[8:9], -v[4:5]
	v_fmac_f64_e32 v[126:127], v[104:105], v[8:9]
	ds_load_b128 v[102:105], v2 offset:576
	ds_load_b128 v[118:121], v2 offset:592
	scratch_load_b128 v[122:125], off, off offset:320
	v_fmac_f64_e32 v[128:129], v[112:113], v[66:67]
	v_fma_f64 v[110:111], v[110:111], v[66:67], -v[68:69]
	scratch_load_b128 v[66:69], off, off offset:336
	s_wait_loadcnt_dscnt 0xc01
	v_mul_f64_e32 v[8:9], v[102:103], v[72:73]
	v_mul_f64_e32 v[72:73], v[104:105], v[72:73]
	v_add_f64_e32 v[4:5], 0, v[4:5]
	v_add_f64_e32 v[112:113], 0, v[126:127]
	s_wait_loadcnt_dscnt 0xb00
	v_mul_f64_e32 v[126:127], v[118:119], v[76:77]
	v_mul_f64_e32 v[76:77], v[120:121], v[76:77]
	v_fmac_f64_e32 v[8:9], v[104:105], v[70:71]
	v_fma_f64 v[130:131], v[102:103], v[70:71], -v[72:73]
	ds_load_b128 v[70:73], v2 offset:608
	ds_load_b128 v[102:105], v2 offset:624
	v_add_f64_e32 v[4:5], v[4:5], v[110:111]
	v_add_f64_e32 v[128:129], v[112:113], v[128:129]
	scratch_load_b128 v[110:113], off, off offset:352
	v_fmac_f64_e32 v[126:127], v[120:121], v[74:75]
	v_fma_f64 v[118:119], v[118:119], v[74:75], -v[76:77]
	scratch_load_b128 v[74:77], off, off offset:368
	s_wait_loadcnt_dscnt 0xc01
	v_mul_f64_e32 v[132:133], v[70:71], v[80:81]
	v_mul_f64_e32 v[80:81], v[72:73], v[80:81]
	v_add_f64_e32 v[4:5], v[4:5], v[130:131]
	v_add_f64_e32 v[8:9], v[128:129], v[8:9]
	s_wait_loadcnt_dscnt 0xb00
	v_mul_f64_e32 v[128:129], v[102:103], v[84:85]
	v_mul_f64_e32 v[84:85], v[104:105], v[84:85]
	v_fmac_f64_e32 v[132:133], v[72:73], v[78:79]
	v_fma_f64 v[130:131], v[70:71], v[78:79], -v[80:81]
	ds_load_b128 v[70:73], v2 offset:640
	ds_load_b128 v[78:81], v2 offset:656
	v_add_f64_e32 v[4:5], v[4:5], v[118:119]
	v_add_f64_e32 v[8:9], v[8:9], v[126:127]
	scratch_load_b128 v[118:121], off, off offset:384
	s_wait_loadcnt_dscnt 0xb01
	v_mul_f64_e32 v[126:127], v[70:71], v[88:89]
	v_mul_f64_e32 v[88:89], v[72:73], v[88:89]
	v_fmac_f64_e32 v[128:129], v[104:105], v[82:83]
	v_fma_f64 v[102:103], v[102:103], v[82:83], -v[84:85]
	scratch_load_b128 v[82:85], off, off offset:400
	s_wait_loadcnt_dscnt 0xb00
	v_mul_f64_e32 v[104:105], v[78:79], v[92:93]
	v_mul_f64_e32 v[92:93], v[80:81], v[92:93]
	v_add_f64_e32 v[4:5], v[4:5], v[130:131]
	v_add_f64_e32 v[8:9], v[8:9], v[132:133]
	v_fmac_f64_e32 v[126:127], v[72:73], v[86:87]
	v_fma_f64 v[130:131], v[70:71], v[86:87], -v[88:89]
	ds_load_b128 v[70:73], v2 offset:672
	ds_load_b128 v[86:89], v2 offset:688
	v_fmac_f64_e32 v[104:105], v[80:81], v[90:91]
	v_fma_f64 v[78:79], v[78:79], v[90:91], -v[92:93]
	s_wait_loadcnt_dscnt 0x900
	v_mul_f64_e32 v[90:91], v[86:87], v[100:101]
	v_mul_f64_e32 v[92:93], v[88:89], v[100:101]
	v_add_f64_e32 v[4:5], v[4:5], v[102:103]
	v_add_f64_e32 v[8:9], v[8:9], v[128:129]
	v_mul_f64_e32 v[102:103], v[70:71], v[96:97]
	v_mul_f64_e32 v[96:97], v[72:73], v[96:97]
	v_fmac_f64_e32 v[90:91], v[88:89], v[98:99]
	v_fma_f64 v[86:87], v[86:87], v[98:99], -v[92:93]
	v_add_f64_e32 v[4:5], v[4:5], v[130:131]
	v_add_f64_e32 v[8:9], v[8:9], v[126:127]
	v_fmac_f64_e32 v[102:103], v[72:73], v[94:95]
	v_fma_f64 v[94:95], v[70:71], v[94:95], -v[96:97]
	s_delay_alu instid0(VALU_DEP_4) | instskip(NEXT) | instid1(VALU_DEP_4)
	v_add_f64_e32 v[4:5], v[4:5], v[78:79]
	v_add_f64_e32 v[8:9], v[8:9], v[104:105]
	ds_load_b128 v[70:73], v2 offset:704
	ds_load_b128 v[78:81], v2 offset:720
	s_wait_loadcnt_dscnt 0x801
	v_mul_f64_e32 v[96:97], v[70:71], v[108:109]
	v_mul_f64_e32 v[100:101], v[72:73], v[108:109]
	v_add_f64_e32 v[4:5], v[4:5], v[94:95]
	v_add_f64_e32 v[8:9], v[8:9], v[102:103]
	s_wait_loadcnt_dscnt 0x600
	v_mul_f64_e32 v[92:93], v[78:79], v[12:13]
	v_mul_f64_e32 v[12:13], v[80:81], v[12:13]
	v_fmac_f64_e32 v[96:97], v[72:73], v[106:107]
	v_fma_f64 v[94:95], v[70:71], v[106:107], -v[100:101]
	v_add_f64_e32 v[4:5], v[4:5], v[86:87]
	v_add_f64_e32 v[8:9], v[8:9], v[90:91]
	ds_load_b128 v[70:73], v2 offset:736
	ds_load_b128 v[86:89], v2 offset:752
	v_fmac_f64_e32 v[92:93], v[80:81], v[10:11]
	v_fma_f64 v[10:11], v[78:79], v[10:11], -v[12:13]
	s_wait_loadcnt_dscnt 0x501
	v_mul_f64_e32 v[90:91], v[70:71], v[124:125]
	v_mul_f64_e32 v[98:99], v[72:73], v[124:125]
	s_wait_loadcnt_dscnt 0x400
	v_mul_f64_e32 v[12:13], v[86:87], v[68:69]
	v_mul_f64_e32 v[78:79], v[88:89], v[68:69]
	v_add_f64_e32 v[4:5], v[4:5], v[94:95]
	v_add_f64_e32 v[8:9], v[8:9], v[96:97]
	v_fmac_f64_e32 v[90:91], v[72:73], v[122:123]
	v_fma_f64 v[72:73], v[70:71], v[122:123], -v[98:99]
	v_fmac_f64_e32 v[12:13], v[88:89], v[66:67]
	v_fma_f64 v[66:67], v[86:87], v[66:67], -v[78:79]
	v_add_f64_e32 v[4:5], v[4:5], v[10:11]
	v_add_f64_e32 v[80:81], v[8:9], v[92:93]
	ds_load_b128 v[8:11], v2 offset:768
	ds_load_b128 v[68:71], v2 offset:784
	s_wait_loadcnt_dscnt 0x301
	v_mul_f64_e32 v[92:93], v[8:9], v[112:113]
	v_mul_f64_e32 v[94:95], v[10:11], v[112:113]
	s_wait_loadcnt_dscnt 0x200
	v_mul_f64_e32 v[78:79], v[68:69], v[76:77]
	v_mul_f64_e32 v[76:77], v[70:71], v[76:77]
	v_add_f64_e32 v[4:5], v[4:5], v[72:73]
	v_add_f64_e32 v[72:73], v[80:81], v[90:91]
	v_fmac_f64_e32 v[92:93], v[10:11], v[110:111]
	v_fma_f64 v[80:81], v[8:9], v[110:111], -v[94:95]
	v_fmac_f64_e32 v[78:79], v[70:71], v[74:75]
	v_fma_f64 v[68:69], v[68:69], v[74:75], -v[76:77]
	v_add_f64_e32 v[66:67], v[4:5], v[66:67]
	v_add_f64_e32 v[12:13], v[72:73], v[12:13]
	ds_load_b128 v[8:11], v2 offset:800
	ds_load_b128 v[2:5], v2 offset:816
	s_wait_loadcnt_dscnt 0x101
	v_mul_f64_e32 v[72:73], v[8:9], v[120:121]
	v_mul_f64_e32 v[86:87], v[10:11], v[120:121]
	s_wait_loadcnt_dscnt 0x0
	v_mul_f64_e32 v[70:71], v[2:3], v[84:85]
	v_mul_f64_e32 v[74:75], v[4:5], v[84:85]
	v_add_f64_e32 v[66:67], v[66:67], v[80:81]
	v_add_f64_e32 v[12:13], v[12:13], v[92:93]
	v_fmac_f64_e32 v[72:73], v[10:11], v[118:119]
	v_fma_f64 v[8:9], v[8:9], v[118:119], -v[86:87]
	v_fmac_f64_e32 v[70:71], v[4:5], v[82:83]
	v_fma_f64 v[2:3], v[2:3], v[82:83], -v[74:75]
	v_add_f64_e32 v[10:11], v[66:67], v[68:69]
	v_add_f64_e32 v[12:13], v[12:13], v[78:79]
	s_delay_alu instid0(VALU_DEP_2) | instskip(NEXT) | instid1(VALU_DEP_2)
	v_add_f64_e32 v[4:5], v[10:11], v[8:9]
	v_add_f64_e32 v[8:9], v[12:13], v[72:73]
	s_delay_alu instid0(VALU_DEP_2) | instskip(NEXT) | instid1(VALU_DEP_2)
	;; [unrolled: 3-line block ×3, first 2 shown]
	v_add_f64_e64 v[2:3], v[114:115], -v[2:3]
	v_add_f64_e64 v[4:5], v[116:117], -v[4:5]
	scratch_store_b128 off, v[2:5], off offset:112
	s_wait_xcnt 0x0
	v_cmpx_lt_u32_e32 6, v1
	s_cbranch_execz .LBB25_157
; %bb.156:
	scratch_load_b128 v[2:5], off, s30
	v_mov_b32_e32 v8, 0
	s_delay_alu instid0(VALU_DEP_1)
	v_dual_mov_b32 v9, v8 :: v_dual_mov_b32 v10, v8
	v_mov_b32_e32 v11, v8
	scratch_store_b128 off, v[8:11], off offset:96
	s_wait_loadcnt 0x0
	ds_store_b128 v6, v[2:5]
.LBB25_157:
	s_wait_xcnt 0x0
	s_or_b32 exec_lo, exec_lo, s2
	s_wait_storecnt_dscnt 0x0
	s_barrier_signal -1
	s_barrier_wait -1
	s_clause 0x9
	scratch_load_b128 v[8:11], off, off offset:112
	scratch_load_b128 v[66:69], off, off offset:128
	;; [unrolled: 1-line block ×10, first 2 shown]
	v_mov_b32_e32 v2, 0
	s_mov_b32 s2, exec_lo
	ds_load_b128 v[102:105], v2 offset:528
	s_clause 0x2
	scratch_load_b128 v[106:109], off, off offset:272
	scratch_load_b128 v[110:113], off, off offset:96
	;; [unrolled: 1-line block ×3, first 2 shown]
	s_wait_loadcnt_dscnt 0xc00
	v_mul_f64_e32 v[4:5], v[104:105], v[10:11]
	v_mul_f64_e32 v[126:127], v[102:103], v[10:11]
	ds_load_b128 v[114:117], v2 offset:544
	scratch_load_b128 v[10:13], off, off offset:288
	ds_load_b128 v[122:125], v2 offset:576
	v_fma_f64 v[4:5], v[102:103], v[8:9], -v[4:5]
	v_fmac_f64_e32 v[126:127], v[104:105], v[8:9]
	ds_load_b128 v[102:105], v2 offset:560
	s_wait_loadcnt_dscnt 0xc02
	v_mul_f64_e32 v[128:129], v[114:115], v[68:69]
	v_mul_f64_e32 v[68:69], v[116:117], v[68:69]
	s_wait_loadcnt_dscnt 0xb00
	v_mul_f64_e32 v[8:9], v[102:103], v[72:73]
	v_mul_f64_e32 v[72:73], v[104:105], v[72:73]
	v_add_f64_e32 v[4:5], 0, v[4:5]
	v_fmac_f64_e32 v[128:129], v[116:117], v[66:67]
	v_fma_f64 v[114:115], v[114:115], v[66:67], -v[68:69]
	v_add_f64_e32 v[116:117], 0, v[126:127]
	scratch_load_b128 v[66:69], off, off offset:320
	v_fmac_f64_e32 v[8:9], v[104:105], v[70:71]
	v_fma_f64 v[130:131], v[102:103], v[70:71], -v[72:73]
	ds_load_b128 v[70:73], v2 offset:592
	s_wait_loadcnt 0xb
	v_mul_f64_e32 v[126:127], v[122:123], v[76:77]
	v_mul_f64_e32 v[76:77], v[124:125], v[76:77]
	scratch_load_b128 v[102:105], off, off offset:336
	v_add_f64_e32 v[4:5], v[4:5], v[114:115]
	v_add_f64_e32 v[128:129], v[116:117], v[128:129]
	ds_load_b128 v[114:117], v2 offset:608
	s_wait_loadcnt_dscnt 0xb01
	v_mul_f64_e32 v[132:133], v[70:71], v[80:81]
	v_mul_f64_e32 v[80:81], v[72:73], v[80:81]
	v_fmac_f64_e32 v[126:127], v[124:125], v[74:75]
	v_fma_f64 v[122:123], v[122:123], v[74:75], -v[76:77]
	scratch_load_b128 v[74:77], off, off offset:352
	v_add_f64_e32 v[4:5], v[4:5], v[130:131]
	v_add_f64_e32 v[8:9], v[128:129], v[8:9]
	v_fmac_f64_e32 v[132:133], v[72:73], v[78:79]
	v_fma_f64 v[130:131], v[70:71], v[78:79], -v[80:81]
	ds_load_b128 v[70:73], v2 offset:624
	s_wait_loadcnt_dscnt 0xb01
	v_mul_f64_e32 v[128:129], v[114:115], v[84:85]
	v_mul_f64_e32 v[84:85], v[116:117], v[84:85]
	scratch_load_b128 v[78:81], off, off offset:368
	v_add_f64_e32 v[4:5], v[4:5], v[122:123]
	v_add_f64_e32 v[8:9], v[8:9], v[126:127]
	s_wait_loadcnt_dscnt 0xb00
	v_mul_f64_e32 v[126:127], v[70:71], v[88:89]
	v_mul_f64_e32 v[88:89], v[72:73], v[88:89]
	ds_load_b128 v[122:125], v2 offset:640
	v_fmac_f64_e32 v[128:129], v[116:117], v[82:83]
	v_fma_f64 v[114:115], v[114:115], v[82:83], -v[84:85]
	scratch_load_b128 v[82:85], off, off offset:384
	v_add_f64_e32 v[4:5], v[4:5], v[130:131]
	v_add_f64_e32 v[8:9], v[8:9], v[132:133]
	v_fmac_f64_e32 v[126:127], v[72:73], v[86:87]
	v_fma_f64 v[132:133], v[70:71], v[86:87], -v[88:89]
	ds_load_b128 v[70:73], v2 offset:656
	s_wait_loadcnt_dscnt 0xb01
	v_mul_f64_e32 v[130:131], v[122:123], v[92:93]
	v_mul_f64_e32 v[92:93], v[124:125], v[92:93]
	scratch_load_b128 v[86:89], off, off offset:400
	v_add_f64_e32 v[4:5], v[4:5], v[114:115]
	v_add_f64_e32 v[8:9], v[8:9], v[128:129]
	s_wait_loadcnt_dscnt 0xb00
	v_mul_f64_e32 v[128:129], v[70:71], v[96:97]
	v_mul_f64_e32 v[96:97], v[72:73], v[96:97]
	ds_load_b128 v[114:117], v2 offset:672
	v_fmac_f64_e32 v[130:131], v[124:125], v[90:91]
	v_fma_f64 v[90:91], v[122:123], v[90:91], -v[92:93]
	s_wait_loadcnt_dscnt 0xa00
	v_mul_f64_e32 v[122:123], v[114:115], v[100:101]
	v_mul_f64_e32 v[100:101], v[116:117], v[100:101]
	v_add_f64_e32 v[4:5], v[4:5], v[132:133]
	v_add_f64_e32 v[8:9], v[8:9], v[126:127]
	v_fmac_f64_e32 v[128:129], v[72:73], v[94:95]
	v_fma_f64 v[94:95], v[70:71], v[94:95], -v[96:97]
	v_fmac_f64_e32 v[122:123], v[116:117], v[98:99]
	v_fma_f64 v[98:99], v[114:115], v[98:99], -v[100:101]
	v_add_f64_e32 v[4:5], v[4:5], v[90:91]
	v_add_f64_e32 v[8:9], v[8:9], v[130:131]
	ds_load_b128 v[70:73], v2 offset:688
	ds_load_b128 v[90:93], v2 offset:704
	s_wait_loadcnt_dscnt 0x901
	v_mul_f64_e32 v[124:125], v[70:71], v[108:109]
	v_mul_f64_e32 v[96:97], v[72:73], v[108:109]
	s_wait_loadcnt_dscnt 0x600
	v_mul_f64_e32 v[100:101], v[90:91], v[12:13]
	v_add_f64_e32 v[4:5], v[4:5], v[94:95]
	v_add_f64_e32 v[8:9], v[8:9], v[128:129]
	v_mul_f64_e32 v[12:13], v[92:93], v[12:13]
	v_fmac_f64_e32 v[124:125], v[72:73], v[106:107]
	v_fma_f64 v[106:107], v[70:71], v[106:107], -v[96:97]
	ds_load_b128 v[70:73], v2 offset:720
	ds_load_b128 v[94:97], v2 offset:736
	v_fmac_f64_e32 v[100:101], v[92:93], v[10:11]
	v_add_f64_e32 v[4:5], v[4:5], v[98:99]
	v_add_f64_e32 v[8:9], v[8:9], v[122:123]
	v_fma_f64 v[10:11], v[90:91], v[10:11], -v[12:13]
	s_wait_dscnt 0x1
	v_mul_f64_e32 v[98:99], v[70:71], v[120:121]
	v_mul_f64_e32 v[108:109], v[72:73], v[120:121]
	v_add_f64_e32 v[4:5], v[4:5], v[106:107]
	v_add_f64_e32 v[8:9], v[8:9], v[124:125]
	s_wait_loadcnt_dscnt 0x500
	v_mul_f64_e32 v[12:13], v[94:95], v[68:69]
	v_mul_f64_e32 v[90:91], v[96:97], v[68:69]
	v_fmac_f64_e32 v[98:99], v[72:73], v[118:119]
	v_fma_f64 v[72:73], v[70:71], v[118:119], -v[108:109]
	v_add_f64_e32 v[4:5], v[4:5], v[10:11]
	v_add_f64_e32 v[92:93], v[8:9], v[100:101]
	ds_load_b128 v[8:11], v2 offset:752
	ds_load_b128 v[68:71], v2 offset:768
	v_fmac_f64_e32 v[12:13], v[96:97], v[66:67]
	v_fma_f64 v[66:67], v[94:95], v[66:67], -v[90:91]
	s_wait_loadcnt_dscnt 0x401
	v_mul_f64_e32 v[100:101], v[8:9], v[104:105]
	v_mul_f64_e32 v[104:105], v[10:11], v[104:105]
	s_wait_loadcnt_dscnt 0x300
	v_mul_f64_e32 v[94:95], v[68:69], v[76:77]
	v_mul_f64_e32 v[76:77], v[70:71], v[76:77]
	v_add_f64_e32 v[4:5], v[4:5], v[72:73]
	v_add_f64_e32 v[72:73], v[92:93], v[98:99]
	v_fmac_f64_e32 v[100:101], v[10:11], v[102:103]
	v_fma_f64 v[96:97], v[8:9], v[102:103], -v[104:105]
	ds_load_b128 v[8:11], v2 offset:784
	ds_load_b128 v[90:93], v2 offset:800
	v_fmac_f64_e32 v[94:95], v[70:71], v[74:75]
	v_fma_f64 v[68:69], v[68:69], v[74:75], -v[76:77]
	v_add_f64_e32 v[4:5], v[4:5], v[66:67]
	v_add_f64_e32 v[12:13], v[72:73], v[12:13]
	s_wait_loadcnt_dscnt 0x201
	v_mul_f64_e32 v[66:67], v[8:9], v[80:81]
	v_mul_f64_e32 v[72:73], v[10:11], v[80:81]
	s_wait_loadcnt_dscnt 0x100
	v_mul_f64_e32 v[70:71], v[90:91], v[84:85]
	v_mul_f64_e32 v[74:75], v[92:93], v[84:85]
	v_add_f64_e32 v[4:5], v[4:5], v[96:97]
	v_add_f64_e32 v[12:13], v[12:13], v[100:101]
	v_fmac_f64_e32 v[66:67], v[10:11], v[78:79]
	v_fma_f64 v[72:73], v[8:9], v[78:79], -v[72:73]
	ds_load_b128 v[8:11], v2 offset:816
	v_fmac_f64_e32 v[70:71], v[92:93], v[82:83]
	v_fma_f64 v[74:75], v[90:91], v[82:83], -v[74:75]
	s_wait_loadcnt_dscnt 0x0
	v_mul_f64_e32 v[76:77], v[10:11], v[88:89]
	v_add_f64_e32 v[4:5], v[4:5], v[68:69]
	v_add_f64_e32 v[12:13], v[12:13], v[94:95]
	v_mul_f64_e32 v[68:69], v[8:9], v[88:89]
	s_delay_alu instid0(VALU_DEP_4) | instskip(NEXT) | instid1(VALU_DEP_4)
	v_fma_f64 v[8:9], v[8:9], v[86:87], -v[76:77]
	v_add_f64_e32 v[4:5], v[4:5], v[72:73]
	s_delay_alu instid0(VALU_DEP_4) | instskip(NEXT) | instid1(VALU_DEP_4)
	v_add_f64_e32 v[12:13], v[12:13], v[66:67]
	v_fmac_f64_e32 v[68:69], v[10:11], v[86:87]
	s_delay_alu instid0(VALU_DEP_3) | instskip(NEXT) | instid1(VALU_DEP_3)
	v_add_f64_e32 v[4:5], v[4:5], v[74:75]
	v_add_f64_e32 v[10:11], v[12:13], v[70:71]
	s_delay_alu instid0(VALU_DEP_2) | instskip(NEXT) | instid1(VALU_DEP_2)
	v_add_f64_e32 v[4:5], v[4:5], v[8:9]
	v_add_f64_e32 v[10:11], v[10:11], v[68:69]
	s_delay_alu instid0(VALU_DEP_2) | instskip(NEXT) | instid1(VALU_DEP_2)
	v_add_f64_e64 v[8:9], v[110:111], -v[4:5]
	v_add_f64_e64 v[10:11], v[112:113], -v[10:11]
	scratch_store_b128 off, v[8:11], off offset:96
	s_wait_xcnt 0x0
	v_cmpx_lt_u32_e32 5, v1
	s_cbranch_execz .LBB25_159
; %bb.158:
	scratch_load_b128 v[8:11], off, s28
	v_dual_mov_b32 v3, v2 :: v_dual_mov_b32 v4, v2
	v_mov_b32_e32 v5, v2
	scratch_store_b128 off, v[2:5], off offset:80
	s_wait_loadcnt 0x0
	ds_store_b128 v6, v[8:11]
.LBB25_159:
	s_wait_xcnt 0x0
	s_or_b32 exec_lo, exec_lo, s2
	s_wait_storecnt_dscnt 0x0
	s_barrier_signal -1
	s_barrier_wait -1
	s_clause 0x9
	scratch_load_b128 v[8:11], off, off offset:96
	scratch_load_b128 v[66:69], off, off offset:112
	;; [unrolled: 1-line block ×10, first 2 shown]
	ds_load_b128 v[102:105], v2 offset:512
	ds_load_b128 v[110:113], v2 offset:528
	s_clause 0x1
	scratch_load_b128 v[106:109], off, off offset:256
	scratch_load_b128 v[114:117], off, off offset:80
	s_mov_b32 s2, exec_lo
	s_wait_loadcnt_dscnt 0xb01
	v_mul_f64_e32 v[4:5], v[104:105], v[10:11]
	v_mul_f64_e32 v[126:127], v[102:103], v[10:11]
	scratch_load_b128 v[10:13], off, off offset:272
	s_wait_loadcnt_dscnt 0xb00
	v_mul_f64_e32 v[128:129], v[110:111], v[68:69]
	v_mul_f64_e32 v[68:69], v[112:113], v[68:69]
	v_fma_f64 v[4:5], v[102:103], v[8:9], -v[4:5]
	v_fmac_f64_e32 v[126:127], v[104:105], v[8:9]
	ds_load_b128 v[102:105], v2 offset:544
	ds_load_b128 v[118:121], v2 offset:560
	scratch_load_b128 v[122:125], off, off offset:288
	v_fmac_f64_e32 v[128:129], v[112:113], v[66:67]
	v_fma_f64 v[110:111], v[110:111], v[66:67], -v[68:69]
	scratch_load_b128 v[66:69], off, off offset:304
	s_wait_loadcnt_dscnt 0xc01
	v_mul_f64_e32 v[8:9], v[102:103], v[72:73]
	v_mul_f64_e32 v[72:73], v[104:105], v[72:73]
	v_add_f64_e32 v[4:5], 0, v[4:5]
	v_add_f64_e32 v[112:113], 0, v[126:127]
	s_wait_loadcnt_dscnt 0xb00
	v_mul_f64_e32 v[126:127], v[118:119], v[76:77]
	v_mul_f64_e32 v[76:77], v[120:121], v[76:77]
	v_fmac_f64_e32 v[8:9], v[104:105], v[70:71]
	v_fma_f64 v[130:131], v[102:103], v[70:71], -v[72:73]
	ds_load_b128 v[70:73], v2 offset:576
	ds_load_b128 v[102:105], v2 offset:592
	v_add_f64_e32 v[4:5], v[4:5], v[110:111]
	v_add_f64_e32 v[128:129], v[112:113], v[128:129]
	scratch_load_b128 v[110:113], off, off offset:320
	v_fmac_f64_e32 v[126:127], v[120:121], v[74:75]
	v_fma_f64 v[118:119], v[118:119], v[74:75], -v[76:77]
	scratch_load_b128 v[74:77], off, off offset:336
	s_wait_loadcnt_dscnt 0xc01
	v_mul_f64_e32 v[132:133], v[70:71], v[80:81]
	v_mul_f64_e32 v[80:81], v[72:73], v[80:81]
	v_add_f64_e32 v[4:5], v[4:5], v[130:131]
	v_add_f64_e32 v[8:9], v[128:129], v[8:9]
	s_wait_loadcnt_dscnt 0xb00
	v_mul_f64_e32 v[128:129], v[102:103], v[84:85]
	v_mul_f64_e32 v[84:85], v[104:105], v[84:85]
	v_fmac_f64_e32 v[132:133], v[72:73], v[78:79]
	v_fma_f64 v[130:131], v[70:71], v[78:79], -v[80:81]
	ds_load_b128 v[70:73], v2 offset:608
	ds_load_b128 v[78:81], v2 offset:624
	v_add_f64_e32 v[4:5], v[4:5], v[118:119]
	v_add_f64_e32 v[8:9], v[8:9], v[126:127]
	scratch_load_b128 v[118:121], off, off offset:352
	s_wait_loadcnt_dscnt 0xb01
	v_mul_f64_e32 v[126:127], v[70:71], v[88:89]
	v_mul_f64_e32 v[88:89], v[72:73], v[88:89]
	v_fmac_f64_e32 v[128:129], v[104:105], v[82:83]
	v_fma_f64 v[102:103], v[102:103], v[82:83], -v[84:85]
	scratch_load_b128 v[82:85], off, off offset:368
	v_add_f64_e32 v[4:5], v[4:5], v[130:131]
	v_add_f64_e32 v[8:9], v[8:9], v[132:133]
	s_wait_loadcnt_dscnt 0xb00
	v_mul_f64_e32 v[130:131], v[78:79], v[92:93]
	v_mul_f64_e32 v[92:93], v[80:81], v[92:93]
	v_fmac_f64_e32 v[126:127], v[72:73], v[86:87]
	v_fma_f64 v[132:133], v[70:71], v[86:87], -v[88:89]
	ds_load_b128 v[70:73], v2 offset:640
	ds_load_b128 v[86:89], v2 offset:656
	v_add_f64_e32 v[4:5], v[4:5], v[102:103]
	v_add_f64_e32 v[8:9], v[8:9], v[128:129]
	scratch_load_b128 v[102:105], off, off offset:384
	s_wait_loadcnt_dscnt 0xb01
	v_mul_f64_e32 v[128:129], v[70:71], v[96:97]
	v_mul_f64_e32 v[96:97], v[72:73], v[96:97]
	v_fmac_f64_e32 v[130:131], v[80:81], v[90:91]
	v_fma_f64 v[90:91], v[78:79], v[90:91], -v[92:93]
	scratch_load_b128 v[78:81], off, off offset:400
	v_add_f64_e32 v[4:5], v[4:5], v[132:133]
	v_add_f64_e32 v[8:9], v[8:9], v[126:127]
	s_wait_loadcnt_dscnt 0xb00
	v_mul_f64_e32 v[126:127], v[86:87], v[100:101]
	v_mul_f64_e32 v[100:101], v[88:89], v[100:101]
	v_fmac_f64_e32 v[128:129], v[72:73], v[94:95]
	v_fma_f64 v[94:95], v[70:71], v[94:95], -v[96:97]
	v_add_f64_e32 v[4:5], v[4:5], v[90:91]
	v_add_f64_e32 v[8:9], v[8:9], v[130:131]
	ds_load_b128 v[70:73], v2 offset:672
	ds_load_b128 v[90:93], v2 offset:688
	v_fmac_f64_e32 v[126:127], v[88:89], v[98:99]
	v_fma_f64 v[86:87], v[86:87], v[98:99], -v[100:101]
	s_wait_loadcnt_dscnt 0xa01
	v_mul_f64_e32 v[96:97], v[70:71], v[108:109]
	v_mul_f64_e32 v[108:109], v[72:73], v[108:109]
	v_add_f64_e32 v[4:5], v[4:5], v[94:95]
	v_add_f64_e32 v[8:9], v[8:9], v[128:129]
	s_wait_loadcnt_dscnt 0x800
	v_mul_f64_e32 v[94:95], v[90:91], v[12:13]
	v_mul_f64_e32 v[12:13], v[92:93], v[12:13]
	v_fmac_f64_e32 v[96:97], v[72:73], v[106:107]
	v_fma_f64 v[98:99], v[70:71], v[106:107], -v[108:109]
	v_add_f64_e32 v[4:5], v[4:5], v[86:87]
	v_add_f64_e32 v[8:9], v[8:9], v[126:127]
	ds_load_b128 v[70:73], v2 offset:704
	ds_load_b128 v[86:89], v2 offset:720
	v_fmac_f64_e32 v[94:95], v[92:93], v[10:11]
	v_fma_f64 v[10:11], v[90:91], v[10:11], -v[12:13]
	s_wait_loadcnt_dscnt 0x701
	v_mul_f64_e32 v[100:101], v[70:71], v[124:125]
	v_mul_f64_e32 v[106:107], v[72:73], v[124:125]
	s_wait_loadcnt_dscnt 0x600
	v_mul_f64_e32 v[12:13], v[86:87], v[68:69]
	v_mul_f64_e32 v[90:91], v[88:89], v[68:69]
	v_add_f64_e32 v[4:5], v[4:5], v[98:99]
	v_add_f64_e32 v[8:9], v[8:9], v[96:97]
	v_fmac_f64_e32 v[100:101], v[72:73], v[122:123]
	v_fma_f64 v[72:73], v[70:71], v[122:123], -v[106:107]
	v_fmac_f64_e32 v[12:13], v[88:89], v[66:67]
	v_fma_f64 v[66:67], v[86:87], v[66:67], -v[90:91]
	v_add_f64_e32 v[4:5], v[4:5], v[10:11]
	v_add_f64_e32 v[92:93], v[8:9], v[94:95]
	ds_load_b128 v[8:11], v2 offset:736
	ds_load_b128 v[68:71], v2 offset:752
	s_wait_loadcnt_dscnt 0x501
	v_mul_f64_e32 v[94:95], v[8:9], v[112:113]
	v_mul_f64_e32 v[96:97], v[10:11], v[112:113]
	s_wait_loadcnt_dscnt 0x400
	v_mul_f64_e32 v[90:91], v[68:69], v[76:77]
	v_mul_f64_e32 v[76:77], v[70:71], v[76:77]
	v_add_f64_e32 v[4:5], v[4:5], v[72:73]
	v_add_f64_e32 v[72:73], v[92:93], v[100:101]
	v_fmac_f64_e32 v[94:95], v[10:11], v[110:111]
	v_fma_f64 v[92:93], v[8:9], v[110:111], -v[96:97]
	ds_load_b128 v[8:11], v2 offset:768
	ds_load_b128 v[86:89], v2 offset:784
	v_fmac_f64_e32 v[90:91], v[70:71], v[74:75]
	v_fma_f64 v[68:69], v[68:69], v[74:75], -v[76:77]
	v_add_f64_e32 v[4:5], v[4:5], v[66:67]
	v_add_f64_e32 v[12:13], v[72:73], v[12:13]
	s_wait_loadcnt_dscnt 0x301
	v_mul_f64_e32 v[66:67], v[8:9], v[120:121]
	v_mul_f64_e32 v[72:73], v[10:11], v[120:121]
	s_wait_loadcnt_dscnt 0x200
	v_mul_f64_e32 v[70:71], v[86:87], v[84:85]
	v_mul_f64_e32 v[74:75], v[88:89], v[84:85]
	v_add_f64_e32 v[4:5], v[4:5], v[92:93]
	v_add_f64_e32 v[12:13], v[12:13], v[94:95]
	v_fmac_f64_e32 v[66:67], v[10:11], v[118:119]
	v_fma_f64 v[72:73], v[8:9], v[118:119], -v[72:73]
	v_fmac_f64_e32 v[70:71], v[88:89], v[82:83]
	v_fma_f64 v[74:75], v[86:87], v[82:83], -v[74:75]
	v_add_f64_e32 v[68:69], v[4:5], v[68:69]
	v_add_f64_e32 v[12:13], v[12:13], v[90:91]
	ds_load_b128 v[8:11], v2 offset:800
	ds_load_b128 v[2:5], v2 offset:816
	s_wait_loadcnt_dscnt 0x101
	v_mul_f64_e32 v[76:77], v[8:9], v[104:105]
	v_mul_f64_e32 v[84:85], v[10:11], v[104:105]
	v_add_f64_e32 v[68:69], v[68:69], v[72:73]
	v_add_f64_e32 v[12:13], v[12:13], v[66:67]
	s_wait_loadcnt_dscnt 0x0
	v_mul_f64_e32 v[66:67], v[2:3], v[80:81]
	v_mul_f64_e32 v[72:73], v[4:5], v[80:81]
	v_fmac_f64_e32 v[76:77], v[10:11], v[102:103]
	v_fma_f64 v[8:9], v[8:9], v[102:103], -v[84:85]
	v_add_f64_e32 v[10:11], v[68:69], v[74:75]
	v_add_f64_e32 v[12:13], v[12:13], v[70:71]
	v_fmac_f64_e32 v[66:67], v[4:5], v[78:79]
	v_fma_f64 v[2:3], v[2:3], v[78:79], -v[72:73]
	s_delay_alu instid0(VALU_DEP_4) | instskip(NEXT) | instid1(VALU_DEP_4)
	v_add_f64_e32 v[4:5], v[10:11], v[8:9]
	v_add_f64_e32 v[8:9], v[12:13], v[76:77]
	s_delay_alu instid0(VALU_DEP_2) | instskip(NEXT) | instid1(VALU_DEP_2)
	v_add_f64_e32 v[2:3], v[4:5], v[2:3]
	v_add_f64_e32 v[4:5], v[8:9], v[66:67]
	s_delay_alu instid0(VALU_DEP_2) | instskip(NEXT) | instid1(VALU_DEP_2)
	v_add_f64_e64 v[2:3], v[114:115], -v[2:3]
	v_add_f64_e64 v[4:5], v[116:117], -v[4:5]
	scratch_store_b128 off, v[2:5], off offset:80
	s_wait_xcnt 0x0
	v_cmpx_lt_u32_e32 4, v1
	s_cbranch_execz .LBB25_161
; %bb.160:
	scratch_load_b128 v[2:5], off, s23
	v_mov_b32_e32 v8, 0
	s_delay_alu instid0(VALU_DEP_1)
	v_dual_mov_b32 v9, v8 :: v_dual_mov_b32 v10, v8
	v_mov_b32_e32 v11, v8
	scratch_store_b128 off, v[8:11], off offset:64
	s_wait_loadcnt 0x0
	ds_store_b128 v6, v[2:5]
.LBB25_161:
	s_wait_xcnt 0x0
	s_or_b32 exec_lo, exec_lo, s2
	s_wait_storecnt_dscnt 0x0
	s_barrier_signal -1
	s_barrier_wait -1
	s_clause 0x9
	scratch_load_b128 v[8:11], off, off offset:80
	scratch_load_b128 v[66:69], off, off offset:96
	;; [unrolled: 1-line block ×10, first 2 shown]
	v_mov_b32_e32 v2, 0
	s_mov_b32 s2, exec_lo
	ds_load_b128 v[102:105], v2 offset:496
	s_clause 0x2
	scratch_load_b128 v[106:109], off, off offset:240
	scratch_load_b128 v[110:113], off, off offset:64
	;; [unrolled: 1-line block ×3, first 2 shown]
	s_wait_loadcnt_dscnt 0xc00
	v_mul_f64_e32 v[4:5], v[104:105], v[10:11]
	v_mul_f64_e32 v[126:127], v[102:103], v[10:11]
	ds_load_b128 v[114:117], v2 offset:512
	scratch_load_b128 v[10:13], off, off offset:256
	ds_load_b128 v[122:125], v2 offset:544
	v_fma_f64 v[4:5], v[102:103], v[8:9], -v[4:5]
	v_fmac_f64_e32 v[126:127], v[104:105], v[8:9]
	ds_load_b128 v[102:105], v2 offset:528
	s_wait_loadcnt_dscnt 0xc02
	v_mul_f64_e32 v[128:129], v[114:115], v[68:69]
	v_mul_f64_e32 v[68:69], v[116:117], v[68:69]
	s_wait_loadcnt_dscnt 0xb00
	v_mul_f64_e32 v[8:9], v[102:103], v[72:73]
	v_mul_f64_e32 v[72:73], v[104:105], v[72:73]
	v_add_f64_e32 v[4:5], 0, v[4:5]
	v_fmac_f64_e32 v[128:129], v[116:117], v[66:67]
	v_fma_f64 v[114:115], v[114:115], v[66:67], -v[68:69]
	v_add_f64_e32 v[116:117], 0, v[126:127]
	scratch_load_b128 v[66:69], off, off offset:288
	v_fmac_f64_e32 v[8:9], v[104:105], v[70:71]
	v_fma_f64 v[130:131], v[102:103], v[70:71], -v[72:73]
	ds_load_b128 v[70:73], v2 offset:560
	s_wait_loadcnt 0xb
	v_mul_f64_e32 v[126:127], v[122:123], v[76:77]
	v_mul_f64_e32 v[76:77], v[124:125], v[76:77]
	scratch_load_b128 v[102:105], off, off offset:304
	v_add_f64_e32 v[4:5], v[4:5], v[114:115]
	v_add_f64_e32 v[128:129], v[116:117], v[128:129]
	ds_load_b128 v[114:117], v2 offset:576
	s_wait_loadcnt_dscnt 0xb01
	v_mul_f64_e32 v[132:133], v[70:71], v[80:81]
	v_mul_f64_e32 v[80:81], v[72:73], v[80:81]
	v_fmac_f64_e32 v[126:127], v[124:125], v[74:75]
	v_fma_f64 v[122:123], v[122:123], v[74:75], -v[76:77]
	scratch_load_b128 v[74:77], off, off offset:320
	v_add_f64_e32 v[4:5], v[4:5], v[130:131]
	v_add_f64_e32 v[8:9], v[128:129], v[8:9]
	v_fmac_f64_e32 v[132:133], v[72:73], v[78:79]
	v_fma_f64 v[130:131], v[70:71], v[78:79], -v[80:81]
	ds_load_b128 v[70:73], v2 offset:592
	s_wait_loadcnt_dscnt 0xb01
	v_mul_f64_e32 v[128:129], v[114:115], v[84:85]
	v_mul_f64_e32 v[84:85], v[116:117], v[84:85]
	scratch_load_b128 v[78:81], off, off offset:336
	v_add_f64_e32 v[4:5], v[4:5], v[122:123]
	v_add_f64_e32 v[8:9], v[8:9], v[126:127]
	s_wait_loadcnt_dscnt 0xb00
	v_mul_f64_e32 v[126:127], v[70:71], v[88:89]
	v_mul_f64_e32 v[88:89], v[72:73], v[88:89]
	ds_load_b128 v[122:125], v2 offset:608
	v_fmac_f64_e32 v[128:129], v[116:117], v[82:83]
	v_fma_f64 v[114:115], v[114:115], v[82:83], -v[84:85]
	scratch_load_b128 v[82:85], off, off offset:352
	v_add_f64_e32 v[4:5], v[4:5], v[130:131]
	v_add_f64_e32 v[8:9], v[8:9], v[132:133]
	v_fmac_f64_e32 v[126:127], v[72:73], v[86:87]
	v_fma_f64 v[132:133], v[70:71], v[86:87], -v[88:89]
	ds_load_b128 v[70:73], v2 offset:624
	s_wait_loadcnt_dscnt 0xb01
	v_mul_f64_e32 v[130:131], v[122:123], v[92:93]
	v_mul_f64_e32 v[92:93], v[124:125], v[92:93]
	scratch_load_b128 v[86:89], off, off offset:368
	v_add_f64_e32 v[4:5], v[4:5], v[114:115]
	v_add_f64_e32 v[8:9], v[8:9], v[128:129]
	s_wait_loadcnt_dscnt 0xb00
	v_mul_f64_e32 v[128:129], v[70:71], v[96:97]
	v_mul_f64_e32 v[96:97], v[72:73], v[96:97]
	ds_load_b128 v[114:117], v2 offset:640
	;; [unrolled: 18-line block ×3, first 2 shown]
	v_fmac_f64_e32 v[126:127], v[116:117], v[98:99]
	v_fma_f64 v[98:99], v[114:115], v[98:99], -v[100:101]
	s_wait_loadcnt_dscnt 0x800
	v_mul_f64_e32 v[114:115], v[122:123], v[12:13]
	v_add_f64_e32 v[4:5], v[4:5], v[132:133]
	v_add_f64_e32 v[8:9], v[8:9], v[128:129]
	v_mul_f64_e32 v[12:13], v[124:125], v[12:13]
	v_fmac_f64_e32 v[130:131], v[72:73], v[106:107]
	v_fma_f64 v[106:107], v[70:71], v[106:107], -v[108:109]
	v_fmac_f64_e32 v[114:115], v[124:125], v[10:11]
	v_add_f64_e32 v[4:5], v[4:5], v[98:99]
	v_add_f64_e32 v[8:9], v[8:9], v[126:127]
	ds_load_b128 v[70:73], v2 offset:688
	ds_load_b128 v[98:101], v2 offset:704
	v_fma_f64 v[10:11], v[122:123], v[10:11], -v[12:13]
	s_wait_dscnt 0x1
	v_mul_f64_e32 v[108:109], v[70:71], v[120:121]
	v_mul_f64_e32 v[116:117], v[72:73], v[120:121]
	v_add_f64_e32 v[4:5], v[4:5], v[106:107]
	v_add_f64_e32 v[8:9], v[8:9], v[130:131]
	s_wait_loadcnt_dscnt 0x700
	v_mul_f64_e32 v[12:13], v[98:99], v[68:69]
	v_mul_f64_e32 v[106:107], v[100:101], v[68:69]
	v_fmac_f64_e32 v[108:109], v[72:73], v[118:119]
	v_fma_f64 v[72:73], v[70:71], v[118:119], -v[116:117]
	v_add_f64_e32 v[4:5], v[4:5], v[10:11]
	v_add_f64_e32 v[114:115], v[8:9], v[114:115]
	ds_load_b128 v[8:11], v2 offset:720
	ds_load_b128 v[68:71], v2 offset:736
	v_fmac_f64_e32 v[12:13], v[100:101], v[66:67]
	v_fma_f64 v[66:67], v[98:99], v[66:67], -v[106:107]
	s_wait_loadcnt_dscnt 0x601
	v_mul_f64_e32 v[116:117], v[8:9], v[104:105]
	v_mul_f64_e32 v[104:105], v[10:11], v[104:105]
	s_wait_loadcnt_dscnt 0x500
	v_mul_f64_e32 v[106:107], v[68:69], v[76:77]
	v_mul_f64_e32 v[76:77], v[70:71], v[76:77]
	v_add_f64_e32 v[4:5], v[4:5], v[72:73]
	v_add_f64_e32 v[72:73], v[114:115], v[108:109]
	v_fmac_f64_e32 v[116:117], v[10:11], v[102:103]
	v_fma_f64 v[102:103], v[8:9], v[102:103], -v[104:105]
	ds_load_b128 v[8:11], v2 offset:752
	ds_load_b128 v[98:101], v2 offset:768
	v_fmac_f64_e32 v[106:107], v[70:71], v[74:75]
	v_fma_f64 v[68:69], v[68:69], v[74:75], -v[76:77]
	v_add_f64_e32 v[4:5], v[4:5], v[66:67]
	v_add_f64_e32 v[12:13], v[72:73], v[12:13]
	s_wait_loadcnt_dscnt 0x401
	v_mul_f64_e32 v[72:73], v[8:9], v[80:81]
	v_mul_f64_e32 v[66:67], v[10:11], v[80:81]
	s_wait_loadcnt_dscnt 0x300
	v_mul_f64_e32 v[70:71], v[98:99], v[84:85]
	v_mul_f64_e32 v[74:75], v[100:101], v[84:85]
	v_add_f64_e32 v[4:5], v[4:5], v[102:103]
	v_add_f64_e32 v[12:13], v[12:13], v[116:117]
	v_fmac_f64_e32 v[72:73], v[10:11], v[78:79]
	v_fma_f64 v[76:77], v[8:9], v[78:79], -v[66:67]
	v_fmac_f64_e32 v[70:71], v[100:101], v[82:83]
	v_fma_f64 v[74:75], v[98:99], v[82:83], -v[74:75]
	v_add_f64_e32 v[4:5], v[4:5], v[68:69]
	v_add_f64_e32 v[12:13], v[12:13], v[106:107]
	ds_load_b128 v[8:11], v2 offset:784
	ds_load_b128 v[66:69], v2 offset:800
	s_wait_loadcnt_dscnt 0x201
	v_mul_f64_e32 v[78:79], v[8:9], v[88:89]
	v_mul_f64_e32 v[80:81], v[10:11], v[88:89]
	v_add_f64_e32 v[4:5], v[4:5], v[76:77]
	v_add_f64_e32 v[12:13], v[12:13], v[72:73]
	s_wait_loadcnt_dscnt 0x100
	v_mul_f64_e32 v[72:73], v[66:67], v[92:93]
	v_mul_f64_e32 v[76:77], v[68:69], v[92:93]
	v_fmac_f64_e32 v[78:79], v[10:11], v[86:87]
	v_fma_f64 v[80:81], v[8:9], v[86:87], -v[80:81]
	ds_load_b128 v[8:11], v2 offset:816
	v_add_f64_e32 v[4:5], v[4:5], v[74:75]
	v_add_f64_e32 v[12:13], v[12:13], v[70:71]
	v_fmac_f64_e32 v[72:73], v[68:69], v[90:91]
	v_fma_f64 v[66:67], v[66:67], v[90:91], -v[76:77]
	s_wait_loadcnt_dscnt 0x0
	v_mul_f64_e32 v[70:71], v[8:9], v[96:97]
	v_mul_f64_e32 v[74:75], v[10:11], v[96:97]
	v_add_f64_e32 v[4:5], v[4:5], v[80:81]
	v_add_f64_e32 v[12:13], v[12:13], v[78:79]
	s_delay_alu instid0(VALU_DEP_4) | instskip(NEXT) | instid1(VALU_DEP_4)
	v_fmac_f64_e32 v[70:71], v[10:11], v[94:95]
	v_fma_f64 v[8:9], v[8:9], v[94:95], -v[74:75]
	s_delay_alu instid0(VALU_DEP_4) | instskip(NEXT) | instid1(VALU_DEP_4)
	v_add_f64_e32 v[4:5], v[4:5], v[66:67]
	v_add_f64_e32 v[10:11], v[12:13], v[72:73]
	s_delay_alu instid0(VALU_DEP_2) | instskip(NEXT) | instid1(VALU_DEP_2)
	v_add_f64_e32 v[4:5], v[4:5], v[8:9]
	v_add_f64_e32 v[10:11], v[10:11], v[70:71]
	s_delay_alu instid0(VALU_DEP_2) | instskip(NEXT) | instid1(VALU_DEP_2)
	v_add_f64_e64 v[8:9], v[110:111], -v[4:5]
	v_add_f64_e64 v[10:11], v[112:113], -v[10:11]
	scratch_store_b128 off, v[8:11], off offset:64
	s_wait_xcnt 0x0
	v_cmpx_lt_u32_e32 3, v1
	s_cbranch_execz .LBB25_163
; %bb.162:
	scratch_load_b128 v[8:11], off, s22
	v_dual_mov_b32 v3, v2 :: v_dual_mov_b32 v4, v2
	v_mov_b32_e32 v5, v2
	scratch_store_b128 off, v[2:5], off offset:48
	s_wait_loadcnt 0x0
	ds_store_b128 v6, v[8:11]
.LBB25_163:
	s_wait_xcnt 0x0
	s_or_b32 exec_lo, exec_lo, s2
	s_wait_storecnt_dscnt 0x0
	s_barrier_signal -1
	s_barrier_wait -1
	s_clause 0x9
	scratch_load_b128 v[8:11], off, off offset:64
	scratch_load_b128 v[66:69], off, off offset:80
	;; [unrolled: 1-line block ×10, first 2 shown]
	ds_load_b128 v[102:105], v2 offset:480
	ds_load_b128 v[110:113], v2 offset:496
	s_clause 0x1
	scratch_load_b128 v[106:109], off, off offset:224
	scratch_load_b128 v[114:117], off, off offset:48
	s_mov_b32 s2, exec_lo
	s_wait_loadcnt_dscnt 0xb01
	v_mul_f64_e32 v[4:5], v[104:105], v[10:11]
	v_mul_f64_e32 v[126:127], v[102:103], v[10:11]
	scratch_load_b128 v[10:13], off, off offset:240
	s_wait_loadcnt_dscnt 0xb00
	v_mul_f64_e32 v[128:129], v[110:111], v[68:69]
	v_mul_f64_e32 v[68:69], v[112:113], v[68:69]
	v_fma_f64 v[4:5], v[102:103], v[8:9], -v[4:5]
	v_fmac_f64_e32 v[126:127], v[104:105], v[8:9]
	ds_load_b128 v[102:105], v2 offset:512
	ds_load_b128 v[118:121], v2 offset:528
	scratch_load_b128 v[122:125], off, off offset:256
	v_fmac_f64_e32 v[128:129], v[112:113], v[66:67]
	v_fma_f64 v[110:111], v[110:111], v[66:67], -v[68:69]
	scratch_load_b128 v[66:69], off, off offset:272
	s_wait_loadcnt_dscnt 0xc01
	v_mul_f64_e32 v[8:9], v[102:103], v[72:73]
	v_mul_f64_e32 v[72:73], v[104:105], v[72:73]
	v_add_f64_e32 v[4:5], 0, v[4:5]
	v_add_f64_e32 v[112:113], 0, v[126:127]
	s_wait_loadcnt_dscnt 0xb00
	v_mul_f64_e32 v[126:127], v[118:119], v[76:77]
	v_mul_f64_e32 v[76:77], v[120:121], v[76:77]
	v_fmac_f64_e32 v[8:9], v[104:105], v[70:71]
	v_fma_f64 v[130:131], v[102:103], v[70:71], -v[72:73]
	ds_load_b128 v[70:73], v2 offset:544
	ds_load_b128 v[102:105], v2 offset:560
	v_add_f64_e32 v[4:5], v[4:5], v[110:111]
	v_add_f64_e32 v[128:129], v[112:113], v[128:129]
	scratch_load_b128 v[110:113], off, off offset:288
	v_fmac_f64_e32 v[126:127], v[120:121], v[74:75]
	v_fma_f64 v[118:119], v[118:119], v[74:75], -v[76:77]
	scratch_load_b128 v[74:77], off, off offset:304
	s_wait_loadcnt_dscnt 0xc01
	v_mul_f64_e32 v[132:133], v[70:71], v[80:81]
	v_mul_f64_e32 v[80:81], v[72:73], v[80:81]
	v_add_f64_e32 v[4:5], v[4:5], v[130:131]
	v_add_f64_e32 v[8:9], v[128:129], v[8:9]
	s_wait_loadcnt_dscnt 0xb00
	v_mul_f64_e32 v[128:129], v[102:103], v[84:85]
	v_mul_f64_e32 v[84:85], v[104:105], v[84:85]
	v_fmac_f64_e32 v[132:133], v[72:73], v[78:79]
	v_fma_f64 v[130:131], v[70:71], v[78:79], -v[80:81]
	ds_load_b128 v[70:73], v2 offset:576
	ds_load_b128 v[78:81], v2 offset:592
	v_add_f64_e32 v[4:5], v[4:5], v[118:119]
	v_add_f64_e32 v[8:9], v[8:9], v[126:127]
	scratch_load_b128 v[118:121], off, off offset:320
	s_wait_loadcnt_dscnt 0xb01
	v_mul_f64_e32 v[126:127], v[70:71], v[88:89]
	v_mul_f64_e32 v[88:89], v[72:73], v[88:89]
	v_fmac_f64_e32 v[128:129], v[104:105], v[82:83]
	v_fma_f64 v[102:103], v[102:103], v[82:83], -v[84:85]
	scratch_load_b128 v[82:85], off, off offset:336
	v_add_f64_e32 v[4:5], v[4:5], v[130:131]
	v_add_f64_e32 v[8:9], v[8:9], v[132:133]
	s_wait_loadcnt_dscnt 0xb00
	v_mul_f64_e32 v[130:131], v[78:79], v[92:93]
	v_mul_f64_e32 v[92:93], v[80:81], v[92:93]
	v_fmac_f64_e32 v[126:127], v[72:73], v[86:87]
	v_fma_f64 v[132:133], v[70:71], v[86:87], -v[88:89]
	ds_load_b128 v[70:73], v2 offset:608
	ds_load_b128 v[86:89], v2 offset:624
	v_add_f64_e32 v[4:5], v[4:5], v[102:103]
	v_add_f64_e32 v[8:9], v[8:9], v[128:129]
	scratch_load_b128 v[102:105], off, off offset:352
	s_wait_loadcnt_dscnt 0xb01
	v_mul_f64_e32 v[128:129], v[70:71], v[96:97]
	v_mul_f64_e32 v[96:97], v[72:73], v[96:97]
	v_fmac_f64_e32 v[130:131], v[80:81], v[90:91]
	v_fma_f64 v[90:91], v[78:79], v[90:91], -v[92:93]
	scratch_load_b128 v[78:81], off, off offset:368
	v_add_f64_e32 v[4:5], v[4:5], v[132:133]
	v_add_f64_e32 v[8:9], v[8:9], v[126:127]
	s_wait_loadcnt_dscnt 0xb00
	v_mul_f64_e32 v[126:127], v[86:87], v[100:101]
	v_mul_f64_e32 v[100:101], v[88:89], v[100:101]
	v_fmac_f64_e32 v[128:129], v[72:73], v[94:95]
	v_fma_f64 v[132:133], v[70:71], v[94:95], -v[96:97]
	v_add_f64_e32 v[4:5], v[4:5], v[90:91]
	v_add_f64_e32 v[8:9], v[8:9], v[130:131]
	ds_load_b128 v[70:73], v2 offset:640
	ds_load_b128 v[90:93], v2 offset:656
	scratch_load_b128 v[94:97], off, off offset:384
	v_fmac_f64_e32 v[126:127], v[88:89], v[98:99]
	v_fma_f64 v[98:99], v[86:87], v[98:99], -v[100:101]
	scratch_load_b128 v[86:89], off, off offset:400
	s_wait_loadcnt_dscnt 0xc01
	v_mul_f64_e32 v[130:131], v[70:71], v[108:109]
	v_mul_f64_e32 v[108:109], v[72:73], v[108:109]
	v_add_f64_e32 v[4:5], v[4:5], v[132:133]
	v_add_f64_e32 v[8:9], v[8:9], v[128:129]
	s_wait_loadcnt_dscnt 0xa00
	v_mul_f64_e32 v[128:129], v[90:91], v[12:13]
	v_mul_f64_e32 v[12:13], v[92:93], v[12:13]
	v_fmac_f64_e32 v[130:131], v[72:73], v[106:107]
	v_fma_f64 v[106:107], v[70:71], v[106:107], -v[108:109]
	v_add_f64_e32 v[4:5], v[4:5], v[98:99]
	v_add_f64_e32 v[8:9], v[8:9], v[126:127]
	ds_load_b128 v[70:73], v2 offset:672
	ds_load_b128 v[98:101], v2 offset:688
	v_fmac_f64_e32 v[128:129], v[92:93], v[10:11]
	v_fma_f64 v[10:11], v[90:91], v[10:11], -v[12:13]
	s_wait_loadcnt_dscnt 0x901
	v_mul_f64_e32 v[108:109], v[70:71], v[124:125]
	v_mul_f64_e32 v[124:125], v[72:73], v[124:125]
	s_wait_loadcnt_dscnt 0x800
	v_mul_f64_e32 v[12:13], v[98:99], v[68:69]
	v_mul_f64_e32 v[90:91], v[100:101], v[68:69]
	v_add_f64_e32 v[4:5], v[4:5], v[106:107]
	v_add_f64_e32 v[8:9], v[8:9], v[130:131]
	v_fmac_f64_e32 v[108:109], v[72:73], v[122:123]
	v_fma_f64 v[72:73], v[70:71], v[122:123], -v[124:125]
	v_fmac_f64_e32 v[12:13], v[100:101], v[66:67]
	v_fma_f64 v[66:67], v[98:99], v[66:67], -v[90:91]
	v_add_f64_e32 v[4:5], v[4:5], v[10:11]
	v_add_f64_e32 v[92:93], v[8:9], v[128:129]
	ds_load_b128 v[8:11], v2 offset:704
	ds_load_b128 v[68:71], v2 offset:720
	s_wait_loadcnt_dscnt 0x701
	v_mul_f64_e32 v[106:107], v[8:9], v[112:113]
	v_mul_f64_e32 v[112:113], v[10:11], v[112:113]
	s_wait_loadcnt_dscnt 0x600
	v_mul_f64_e32 v[98:99], v[68:69], v[76:77]
	v_mul_f64_e32 v[76:77], v[70:71], v[76:77]
	v_add_f64_e32 v[4:5], v[4:5], v[72:73]
	v_add_f64_e32 v[72:73], v[92:93], v[108:109]
	v_fmac_f64_e32 v[106:107], v[10:11], v[110:111]
	v_fma_f64 v[100:101], v[8:9], v[110:111], -v[112:113]
	ds_load_b128 v[8:11], v2 offset:736
	ds_load_b128 v[90:93], v2 offset:752
	v_fmac_f64_e32 v[98:99], v[70:71], v[74:75]
	v_fma_f64 v[68:69], v[68:69], v[74:75], -v[76:77]
	v_add_f64_e32 v[4:5], v[4:5], v[66:67]
	v_add_f64_e32 v[12:13], v[72:73], v[12:13]
	s_wait_loadcnt_dscnt 0x501
	v_mul_f64_e32 v[72:73], v[8:9], v[120:121]
	v_mul_f64_e32 v[66:67], v[10:11], v[120:121]
	s_wait_loadcnt_dscnt 0x400
	v_mul_f64_e32 v[70:71], v[90:91], v[84:85]
	v_mul_f64_e32 v[74:75], v[92:93], v[84:85]
	v_add_f64_e32 v[4:5], v[4:5], v[100:101]
	v_add_f64_e32 v[12:13], v[12:13], v[106:107]
	v_fmac_f64_e32 v[72:73], v[10:11], v[118:119]
	v_fma_f64 v[76:77], v[8:9], v[118:119], -v[66:67]
	v_fmac_f64_e32 v[70:71], v[92:93], v[82:83]
	v_fma_f64 v[74:75], v[90:91], v[82:83], -v[74:75]
	v_add_f64_e32 v[4:5], v[4:5], v[68:69]
	v_add_f64_e32 v[12:13], v[12:13], v[98:99]
	ds_load_b128 v[8:11], v2 offset:768
	ds_load_b128 v[66:69], v2 offset:784
	s_wait_loadcnt_dscnt 0x301
	v_mul_f64_e32 v[84:85], v[8:9], v[104:105]
	v_mul_f64_e32 v[98:99], v[10:11], v[104:105]
	v_add_f64_e32 v[4:5], v[4:5], v[76:77]
	v_add_f64_e32 v[12:13], v[12:13], v[72:73]
	s_wait_loadcnt_dscnt 0x200
	v_mul_f64_e32 v[72:73], v[66:67], v[80:81]
	v_mul_f64_e32 v[76:77], v[68:69], v[80:81]
	v_fmac_f64_e32 v[84:85], v[10:11], v[102:103]
	v_fma_f64 v[80:81], v[8:9], v[102:103], -v[98:99]
	v_add_f64_e32 v[74:75], v[4:5], v[74:75]
	v_add_f64_e32 v[12:13], v[12:13], v[70:71]
	ds_load_b128 v[8:11], v2 offset:800
	ds_load_b128 v[2:5], v2 offset:816
	v_fmac_f64_e32 v[72:73], v[68:69], v[78:79]
	v_fma_f64 v[66:67], v[66:67], v[78:79], -v[76:77]
	s_wait_loadcnt_dscnt 0x101
	v_mul_f64_e32 v[70:71], v[8:9], v[96:97]
	v_mul_f64_e32 v[82:83], v[10:11], v[96:97]
	s_wait_loadcnt_dscnt 0x0
	v_mul_f64_e32 v[76:77], v[4:5], v[88:89]
	v_add_f64_e32 v[68:69], v[74:75], v[80:81]
	v_add_f64_e32 v[12:13], v[12:13], v[84:85]
	v_mul_f64_e32 v[74:75], v[2:3], v[88:89]
	v_fmac_f64_e32 v[70:71], v[10:11], v[94:95]
	v_fma_f64 v[8:9], v[8:9], v[94:95], -v[82:83]
	v_fma_f64 v[2:3], v[2:3], v[86:87], -v[76:77]
	v_add_f64_e32 v[10:11], v[68:69], v[66:67]
	v_add_f64_e32 v[12:13], v[12:13], v[72:73]
	v_fmac_f64_e32 v[74:75], v[4:5], v[86:87]
	s_delay_alu instid0(VALU_DEP_3) | instskip(NEXT) | instid1(VALU_DEP_3)
	v_add_f64_e32 v[4:5], v[10:11], v[8:9]
	v_add_f64_e32 v[8:9], v[12:13], v[70:71]
	s_delay_alu instid0(VALU_DEP_2) | instskip(NEXT) | instid1(VALU_DEP_2)
	v_add_f64_e32 v[2:3], v[4:5], v[2:3]
	v_add_f64_e32 v[4:5], v[8:9], v[74:75]
	s_delay_alu instid0(VALU_DEP_2) | instskip(NEXT) | instid1(VALU_DEP_2)
	v_add_f64_e64 v[2:3], v[114:115], -v[2:3]
	v_add_f64_e64 v[4:5], v[116:117], -v[4:5]
	scratch_store_b128 off, v[2:5], off offset:48
	s_wait_xcnt 0x0
	v_cmpx_lt_u32_e32 2, v1
	s_cbranch_execz .LBB25_165
; %bb.164:
	scratch_load_b128 v[2:5], off, s21
	v_mov_b32_e32 v8, 0
	s_delay_alu instid0(VALU_DEP_1)
	v_dual_mov_b32 v9, v8 :: v_dual_mov_b32 v10, v8
	v_mov_b32_e32 v11, v8
	scratch_store_b128 off, v[8:11], off offset:32
	s_wait_loadcnt 0x0
	ds_store_b128 v6, v[2:5]
.LBB25_165:
	s_wait_xcnt 0x0
	s_or_b32 exec_lo, exec_lo, s2
	s_wait_storecnt_dscnt 0x0
	s_barrier_signal -1
	s_barrier_wait -1
	s_clause 0x9
	scratch_load_b128 v[8:11], off, off offset:48
	scratch_load_b128 v[66:69], off, off offset:64
	;; [unrolled: 1-line block ×10, first 2 shown]
	v_mov_b32_e32 v2, 0
	ds_load_b128 v[102:105], v2 offset:464
	ds_load_b128 v[106:109], v2 offset:480
	scratch_load_b128 v[110:113], off, off offset:32
	s_mov_b32 s2, exec_lo
	v_dual_ashrrev_i32 v21, 31, v20 :: v_dual_ashrrev_i32 v19, 31, v18
	v_ashrrev_i32_e32 v23, 31, v22
	v_ashrrev_i32_e32 v27, 31, v26
	;; [unrolled: 1-line block ×3, first 2 shown]
	v_dual_ashrrev_i32 v35, 31, v34 :: v_dual_ashrrev_i32 v25, 31, v24
	v_ashrrev_i32_e32 v47, 31, v46
	v_ashrrev_i32_e32 v51, 31, v50
	;; [unrolled: 1-line block ×3, first 2 shown]
	v_dual_ashrrev_i32 v43, 31, v42 :: v_dual_ashrrev_i32 v29, 31, v28
	v_dual_ashrrev_i32 v41, 31, v40 :: v_dual_ashrrev_i32 v55, 31, v54
	;; [unrolled: 1-line block ×3, first 2 shown]
	v_ashrrev_i32_e32 v37, 31, v36
	v_dual_ashrrev_i32 v45, 31, v44 :: v_dual_ashrrev_i32 v63, 31, v62
	v_ashrrev_i32_e32 v49, 31, v48
	v_ashrrev_i32_e32 v53, 31, v52
	;; [unrolled: 1-line block ×4, first 2 shown]
	s_wait_loadcnt_dscnt 0xa01
	v_dual_mul_f64 v[4:5], v[102:103], v[10:11] :: v_dual_ashrrev_i32 v65, 31, v64
	v_mul_f64_e32 v[118:119], v[104:105], v[10:11]
	scratch_load_b128 v[10:13], off, off offset:208
	s_wait_loadcnt_dscnt 0xa00
	v_mul_f64_e32 v[122:123], v[106:107], v[68:69]
	v_mul_f64_e32 v[68:69], v[108:109], v[68:69]
	ds_load_b128 v[114:117], v2 offset:496
	v_fmac_f64_e32 v[4:5], v[104:105], v[8:9]
	v_fma_f64 v[8:9], v[102:103], v[8:9], -v[118:119]
	scratch_load_b128 v[102:105], off, off offset:224
	ds_load_b128 v[118:121], v2 offset:512
	s_wait_loadcnt_dscnt 0xa01
	v_mul_f64_e32 v[124:125], v[114:115], v[72:73]
	v_fmac_f64_e32 v[122:123], v[108:109], v[66:67]
	v_fma_f64 v[106:107], v[106:107], v[66:67], -v[68:69]
	v_mul_f64_e32 v[72:73], v[116:117], v[72:73]
	scratch_load_b128 v[66:69], off, off offset:240
	s_wait_loadcnt_dscnt 0xa00
	v_mul_f64_e32 v[126:127], v[118:119], v[76:77]
	v_mul_f64_e32 v[76:77], v[120:121], v[76:77]
	v_add_f64_e32 v[4:5], 0, v[4:5]
	v_add_f64_e32 v[8:9], 0, v[8:9]
	v_fmac_f64_e32 v[124:125], v[116:117], v[70:71]
	v_fma_f64 v[114:115], v[114:115], v[70:71], -v[72:73]
	ds_load_b128 v[70:73], v2 offset:528
	v_fmac_f64_e32 v[126:127], v[120:121], v[74:75]
	v_fma_f64 v[118:119], v[118:119], v[74:75], -v[76:77]
	ds_load_b128 v[74:77], v2 offset:544
	s_wait_loadcnt_dscnt 0x901
	v_mul_f64_e32 v[120:121], v[70:71], v[80:81]
	v_mul_f64_e32 v[80:81], v[72:73], v[80:81]
	v_add_f64_e32 v[4:5], v[4:5], v[122:123]
	v_add_f64_e32 v[8:9], v[8:9], v[106:107]
	scratch_load_b128 v[106:109], off, off offset:256
	s_wait_loadcnt_dscnt 0x900
	v_mul_f64_e32 v[122:123], v[74:75], v[84:85]
	v_mul_f64_e32 v[84:85], v[76:77], v[84:85]
	v_fmac_f64_e32 v[120:121], v[72:73], v[78:79]
	v_add_f64_e32 v[4:5], v[4:5], v[124:125]
	v_add_f64_e32 v[8:9], v[8:9], v[114:115]
	scratch_load_b128 v[114:117], off, off offset:272
	v_fma_f64 v[124:125], v[70:71], v[78:79], -v[80:81]
	scratch_load_b128 v[78:81], off, off offset:288
	ds_load_b128 v[70:73], v2 offset:560
	v_fmac_f64_e32 v[122:123], v[76:77], v[82:83]
	v_add_f64_e32 v[4:5], v[4:5], v[126:127]
	v_add_f64_e32 v[8:9], v[8:9], v[118:119]
	v_fma_f64 v[118:119], v[74:75], v[82:83], -v[84:85]
	ds_load_b128 v[74:77], v2 offset:576
	s_wait_loadcnt_dscnt 0xa01
	v_mul_f64_e32 v[126:127], v[70:71], v[88:89]
	v_mul_f64_e32 v[88:89], v[72:73], v[88:89]
	scratch_load_b128 v[82:85], off, off offset:304
	v_add_f64_e32 v[4:5], v[4:5], v[120:121]
	v_add_f64_e32 v[8:9], v[8:9], v[124:125]
	s_wait_loadcnt_dscnt 0xa00
	v_mul_f64_e32 v[120:121], v[74:75], v[92:93]
	v_mul_f64_e32 v[92:93], v[76:77], v[92:93]
	v_fmac_f64_e32 v[126:127], v[72:73], v[86:87]
	v_fma_f64 v[124:125], v[70:71], v[86:87], -v[88:89]
	scratch_load_b128 v[70:73], off, off offset:320
	ds_load_b128 v[86:89], v2 offset:592
	v_add_f64_e32 v[4:5], v[4:5], v[122:123]
	v_add_f64_e32 v[8:9], v[8:9], v[118:119]
	v_fmac_f64_e32 v[120:121], v[76:77], v[90:91]
	v_fma_f64 v[118:119], v[74:75], v[90:91], -v[92:93]
	ds_load_b128 v[74:77], v2 offset:608
	s_wait_loadcnt_dscnt 0xa01
	v_mul_f64_e32 v[122:123], v[86:87], v[96:97]
	v_mul_f64_e32 v[96:97], v[88:89], v[96:97]
	scratch_load_b128 v[90:93], off, off offset:336
	v_add_f64_e32 v[4:5], v[4:5], v[126:127]
	v_add_f64_e32 v[8:9], v[8:9], v[124:125]
	s_wait_loadcnt_dscnt 0xa00
	v_mul_f64_e32 v[124:125], v[74:75], v[100:101]
	v_mul_f64_e32 v[100:101], v[76:77], v[100:101]
	v_fmac_f64_e32 v[122:123], v[88:89], v[94:95]
	v_fma_f64 v[126:127], v[86:87], v[94:95], -v[96:97]
	scratch_load_b128 v[86:89], off, off offset:352
	ds_load_b128 v[94:97], v2 offset:624
	v_add_f64_e32 v[4:5], v[4:5], v[120:121]
	v_add_f64_e32 v[8:9], v[8:9], v[118:119]
	v_fmac_f64_e32 v[124:125], v[76:77], v[98:99]
	v_fma_f64 v[118:119], v[74:75], v[98:99], -v[100:101]
	ds_load_b128 v[74:77], v2 offset:640
	scratch_load_b128 v[98:101], off, off offset:368
	v_add_f64_e32 v[4:5], v[4:5], v[122:123]
	v_add_f64_e32 v[126:127], v[8:9], v[126:127]
	s_wait_loadcnt_dscnt 0xa01
	v_mul_f64_e32 v[120:121], v[94:95], v[12:13]
	v_mul_f64_e32 v[12:13], v[96:97], v[12:13]
	s_delay_alu instid0(VALU_DEP_4) | instskip(NEXT) | instid1(VALU_DEP_4)
	v_add_f64_e32 v[4:5], v[4:5], v[124:125]
	v_add_f64_e32 v[118:119], v[126:127], v[118:119]
	s_wait_loadcnt_dscnt 0x900
	v_mul_f64_e32 v[122:123], v[74:75], v[104:105]
	v_fmac_f64_e32 v[120:121], v[96:97], v[10:11]
	v_fma_f64 v[12:13], v[94:95], v[10:11], -v[12:13]
	v_mul_f64_e32 v[104:105], v[76:77], v[104:105]
	scratch_load_b128 v[8:11], off, off offset:384
	ds_load_b128 v[94:97], v2 offset:656
	v_fmac_f64_e32 v[122:123], v[76:77], v[102:103]
	v_add_f64_e32 v[4:5], v[4:5], v[120:121]
	v_add_f64_e32 v[12:13], v[118:119], v[12:13]
	v_fma_f64 v[124:125], v[74:75], v[102:103], -v[104:105]
	scratch_load_b128 v[74:77], off, off offset:400
	ds_load_b128 v[102:105], v2 offset:672
	s_wait_loadcnt_dscnt 0xa01
	v_mul_f64_e32 v[126:127], v[94:95], v[68:69]
	v_mul_f64_e32 v[68:69], v[96:97], v[68:69]
	s_wait_loadcnt_dscnt 0x900
	v_mul_f64_e32 v[118:119], v[102:103], v[108:109]
	v_mul_f64_e32 v[108:109], v[104:105], v[108:109]
	v_add_f64_e32 v[4:5], v[4:5], v[122:123]
	v_add_f64_e32 v[12:13], v[12:13], v[124:125]
	v_fmac_f64_e32 v[126:127], v[96:97], v[66:67]
	v_fma_f64 v[120:121], v[94:95], v[66:67], -v[68:69]
	ds_load_b128 v[66:69], v2 offset:688
	ds_load_b128 v[94:97], v2 offset:704
	s_wait_loadcnt_dscnt 0x801
	v_mul_f64_e32 v[122:123], v[66:67], v[116:117]
	v_fmac_f64_e32 v[118:119], v[104:105], v[106:107]
	v_fma_f64 v[102:103], v[102:103], v[106:107], -v[108:109]
	v_mul_f64_e32 v[104:105], v[68:69], v[116:117]
	s_wait_loadcnt_dscnt 0x700
	v_mul_f64_e32 v[106:107], v[94:95], v[80:81]
	v_mul_f64_e32 v[80:81], v[96:97], v[80:81]
	v_add_f64_e32 v[4:5], v[4:5], v[126:127]
	v_add_f64_e32 v[12:13], v[12:13], v[120:121]
	v_fmac_f64_e32 v[122:123], v[68:69], v[114:115]
	v_fma_f64 v[108:109], v[66:67], v[114:115], -v[104:105]
	v_fmac_f64_e32 v[106:107], v[96:97], v[78:79]
	v_fma_f64 v[78:79], v[94:95], v[78:79], -v[80:81]
	v_add_f64_e32 v[4:5], v[4:5], v[118:119]
	v_add_f64_e32 v[12:13], v[12:13], v[102:103]
	ds_load_b128 v[66:69], v2 offset:720
	ds_load_b128 v[102:105], v2 offset:736
	s_wait_loadcnt_dscnt 0x601
	v_mul_f64_e32 v[114:115], v[66:67], v[84:85]
	v_mul_f64_e32 v[84:85], v[68:69], v[84:85]
	s_wait_loadcnt_dscnt 0x500
	v_mul_f64_e32 v[94:95], v[102:103], v[72:73]
	v_mul_f64_e32 v[72:73], v[104:105], v[72:73]
	v_add_f64_e32 v[4:5], v[4:5], v[122:123]
	v_add_f64_e32 v[12:13], v[12:13], v[108:109]
	v_fmac_f64_e32 v[114:115], v[68:69], v[82:83]
	v_fma_f64 v[82:83], v[66:67], v[82:83], -v[84:85]
	v_fmac_f64_e32 v[94:95], v[104:105], v[70:71]
	v_fma_f64 v[70:71], v[102:103], v[70:71], -v[72:73]
	v_add_f64_e32 v[4:5], v[4:5], v[106:107]
	v_add_f64_e32 v[12:13], v[12:13], v[78:79]
	ds_load_b128 v[66:69], v2 offset:752
	ds_load_b128 v[78:81], v2 offset:768
	s_wait_loadcnt_dscnt 0x401
	v_mul_f64_e32 v[84:85], v[66:67], v[92:93]
	v_mul_f64_e32 v[92:93], v[68:69], v[92:93]
	v_add_f64_e32 v[4:5], v[4:5], v[114:115]
	v_add_f64_e32 v[12:13], v[12:13], v[82:83]
	s_wait_loadcnt_dscnt 0x300
	v_mul_f64_e32 v[82:83], v[78:79], v[88:89]
	v_mul_f64_e32 v[88:89], v[80:81], v[88:89]
	v_fmac_f64_e32 v[84:85], v[68:69], v[90:91]
	v_fma_f64 v[90:91], v[66:67], v[90:91], -v[92:93]
	v_add_f64_e32 v[4:5], v[4:5], v[94:95]
	v_add_f64_e32 v[12:13], v[12:13], v[70:71]
	ds_load_b128 v[66:69], v2 offset:784
	ds_load_b128 v[70:73], v2 offset:800
	v_fmac_f64_e32 v[82:83], v[80:81], v[86:87]
	v_fma_f64 v[78:79], v[78:79], v[86:87], -v[88:89]
	s_wait_loadcnt_dscnt 0x201
	v_mul_f64_e32 v[92:93], v[66:67], v[100:101]
	v_mul_f64_e32 v[94:95], v[68:69], v[100:101]
	v_add_f64_e32 v[4:5], v[4:5], v[84:85]
	v_add_f64_e32 v[12:13], v[12:13], v[90:91]
	s_delay_alu instid0(VALU_DEP_4) | instskip(NEXT) | instid1(VALU_DEP_4)
	v_fmac_f64_e32 v[92:93], v[68:69], v[98:99]
	v_fma_f64 v[66:67], v[66:67], v[98:99], -v[94:95]
	s_wait_loadcnt_dscnt 0x100
	v_mul_f64_e32 v[80:81], v[70:71], v[10:11]
	v_mul_f64_e32 v[84:85], v[72:73], v[10:11]
	v_add_f64_e32 v[4:5], v[4:5], v[82:83]
	v_add_f64_e32 v[68:69], v[12:13], v[78:79]
	ds_load_b128 v[10:13], v2 offset:816
	s_wait_loadcnt_dscnt 0x0
	v_mul_f64_e32 v[78:79], v[10:11], v[76:77]
	v_mul_f64_e32 v[76:77], v[12:13], v[76:77]
	v_fmac_f64_e32 v[80:81], v[72:73], v[8:9]
	v_fma_f64 v[8:9], v[70:71], v[8:9], -v[84:85]
	v_add_f64_e32 v[66:67], v[68:69], v[66:67]
	v_add_f64_e32 v[4:5], v[4:5], v[92:93]
	v_fmac_f64_e32 v[78:79], v[12:13], v[74:75]
	v_fma_f64 v[10:11], v[10:11], v[74:75], -v[76:77]
	s_delay_alu instid0(VALU_DEP_4) | instskip(NEXT) | instid1(VALU_DEP_4)
	v_add_f64_e32 v[8:9], v[66:67], v[8:9]
	v_add_f64_e32 v[4:5], v[4:5], v[80:81]
	s_delay_alu instid0(VALU_DEP_2) | instskip(NEXT) | instid1(VALU_DEP_2)
	v_add_f64_e32 v[8:9], v[8:9], v[10:11]
	v_add_f64_e32 v[4:5], v[4:5], v[78:79]
	s_delay_alu instid0(VALU_DEP_2) | instskip(NEXT) | instid1(VALU_DEP_2)
	v_add_f64_e64 v[8:9], v[110:111], -v[8:9]
	v_add_f64_e64 v[10:11], v[112:113], -v[4:5]
	scratch_store_b128 off, v[8:11], off offset:32
	s_wait_xcnt 0x0
	v_cmpx_lt_u32_e32 1, v1
	s_cbranch_execz .LBB25_167
; %bb.166:
	scratch_load_b128 v[8:11], off, s24
	v_dual_mov_b32 v3, v2 :: v_dual_mov_b32 v4, v2
	v_mov_b32_e32 v5, v2
	scratch_store_b128 off, v[2:5], off offset:16
	s_wait_loadcnt 0x0
	ds_store_b128 v6, v[8:11]
.LBB25_167:
	s_wait_xcnt 0x0
	s_or_b32 exec_lo, exec_lo, s2
	s_wait_storecnt_dscnt 0x0
	s_barrier_signal -1
	s_barrier_wait -1
	s_clause 0x9
	scratch_load_b128 v[8:11], off, off offset:32
	scratch_load_b128 v[66:69], off, off offset:48
	;; [unrolled: 1-line block ×10, first 2 shown]
	ds_load_b128 v[102:105], v2 offset:448
	s_clause 0x2
	scratch_load_b128 v[106:109], off, off offset:192
	scratch_load_b128 v[110:113], off, off offset:208
	;; [unrolled: 1-line block ×3, first 2 shown]
	s_mov_b32 s2, exec_lo
	s_wait_loadcnt_dscnt 0xc00
	v_mul_f64_e32 v[4:5], v[104:105], v[10:11]
	v_mul_f64_e32 v[118:119], v[102:103], v[10:11]
	ds_load_b128 v[10:13], v2 offset:464
	v_fma_f64 v[4:5], v[102:103], v[8:9], -v[4:5]
	v_fmac_f64_e32 v[118:119], v[104:105], v[8:9]
	ds_load_b128 v[102:105], v2 offset:480
	s_wait_loadcnt_dscnt 0xb01
	v_mul_f64_e32 v[120:121], v[10:11], v[68:69]
	v_mul_f64_e32 v[68:69], v[12:13], v[68:69]
	s_wait_loadcnt_dscnt 0xa00
	v_mul_f64_e32 v[122:123], v[102:103], v[72:73]
	v_mul_f64_e32 v[72:73], v[104:105], v[72:73]
	v_add_f64_e32 v[4:5], 0, v[4:5]
	v_add_f64_e32 v[118:119], 0, v[118:119]
	v_fmac_f64_e32 v[120:121], v[12:13], v[66:67]
	v_fma_f64 v[12:13], v[10:11], v[66:67], -v[68:69]
	ds_load_b128 v[8:11], v2 offset:496
	scratch_load_b128 v[66:69], off, off offset:240
	v_fmac_f64_e32 v[122:123], v[104:105], v[70:71]
	v_fma_f64 v[126:127], v[102:103], v[70:71], -v[72:73]
	ds_load_b128 v[70:73], v2 offset:512
	s_wait_loadcnt_dscnt 0xa01
	v_mul_f64_e32 v[124:125], v[8:9], v[76:77]
	v_mul_f64_e32 v[76:77], v[10:11], v[76:77]
	scratch_load_b128 v[102:105], off, off offset:256
	v_add_f64_e32 v[4:5], v[4:5], v[12:13]
	v_add_f64_e32 v[12:13], v[118:119], v[120:121]
	s_wait_loadcnt_dscnt 0xa00
	v_mul_f64_e32 v[118:119], v[70:71], v[80:81]
	v_mul_f64_e32 v[80:81], v[72:73], v[80:81]
	v_fmac_f64_e32 v[124:125], v[10:11], v[74:75]
	v_fma_f64 v[120:121], v[8:9], v[74:75], -v[76:77]
	ds_load_b128 v[8:11], v2 offset:528
	scratch_load_b128 v[74:77], off, off offset:272
	v_add_f64_e32 v[4:5], v[4:5], v[126:127]
	v_add_f64_e32 v[12:13], v[12:13], v[122:123]
	v_fmac_f64_e32 v[118:119], v[72:73], v[78:79]
	v_fma_f64 v[126:127], v[70:71], v[78:79], -v[80:81]
	ds_load_b128 v[70:73], v2 offset:544
	s_wait_loadcnt_dscnt 0xa01
	v_mul_f64_e32 v[122:123], v[8:9], v[84:85]
	v_mul_f64_e32 v[84:85], v[10:11], v[84:85]
	scratch_load_b128 v[78:81], off, off offset:288
	v_add_f64_e32 v[4:5], v[4:5], v[120:121]
	v_add_f64_e32 v[12:13], v[12:13], v[124:125]
	s_wait_loadcnt_dscnt 0xa00
	v_mul_f64_e32 v[120:121], v[70:71], v[88:89]
	v_mul_f64_e32 v[88:89], v[72:73], v[88:89]
	v_fmac_f64_e32 v[122:123], v[10:11], v[82:83]
	v_fma_f64 v[124:125], v[8:9], v[82:83], -v[84:85]
	ds_load_b128 v[8:11], v2 offset:560
	scratch_load_b128 v[82:85], off, off offset:304
	v_add_f64_e32 v[4:5], v[4:5], v[126:127]
	v_add_f64_e32 v[12:13], v[12:13], v[118:119]
	;; [unrolled: 18-line block ×5, first 2 shown]
	s_wait_loadcnt_dscnt 0xa00
	v_mul_f64_e32 v[118:119], v[8:9], v[68:69]
	v_mul_f64_e32 v[126:127], v[10:11], v[68:69]
	v_fmac_f64_e32 v[120:121], v[72:73], v[114:115]
	v_fma_f64 v[72:73], v[70:71], v[114:115], -v[116:117]
	ds_load_b128 v[68:71], v2 offset:672
	v_add_f64_e32 v[4:5], v[4:5], v[124:125]
	v_add_f64_e32 v[12:13], v[12:13], v[122:123]
	v_fmac_f64_e32 v[118:119], v[10:11], v[66:67]
	v_fma_f64 v[66:67], v[8:9], v[66:67], -v[126:127]
	ds_load_b128 v[8:11], v2 offset:688
	s_wait_loadcnt_dscnt 0x901
	v_mul_f64_e32 v[114:115], v[68:69], v[104:105]
	v_mul_f64_e32 v[104:105], v[70:71], v[104:105]
	v_add_f64_e32 v[4:5], v[4:5], v[72:73]
	v_add_f64_e32 v[12:13], v[12:13], v[120:121]
	s_delay_alu instid0(VALU_DEP_4) | instskip(NEXT) | instid1(VALU_DEP_4)
	v_fmac_f64_e32 v[114:115], v[70:71], v[102:103]
	v_fma_f64 v[102:103], v[68:69], v[102:103], -v[104:105]
	scratch_load_b128 v[70:73], off, off offset:16
	s_wait_loadcnt_dscnt 0x900
	v_mul_f64_e32 v[116:117], v[8:9], v[76:77]
	v_mul_f64_e32 v[76:77], v[10:11], v[76:77]
	v_add_f64_e32 v[4:5], v[4:5], v[66:67]
	v_add_f64_e32 v[12:13], v[12:13], v[118:119]
	ds_load_b128 v[66:69], v2 offset:704
	v_fmac_f64_e32 v[116:117], v[10:11], v[74:75]
	v_fma_f64 v[74:75], v[8:9], v[74:75], -v[76:77]
	ds_load_b128 v[8:11], v2 offset:720
	s_wait_loadcnt_dscnt 0x801
	v_mul_f64_e32 v[104:105], v[66:67], v[80:81]
	v_mul_f64_e32 v[80:81], v[68:69], v[80:81]
	s_wait_loadcnt_dscnt 0x700
	v_mul_f64_e32 v[76:77], v[8:9], v[84:85]
	v_mul_f64_e32 v[84:85], v[10:11], v[84:85]
	v_add_f64_e32 v[4:5], v[4:5], v[102:103]
	v_add_f64_e32 v[12:13], v[12:13], v[114:115]
	v_fmac_f64_e32 v[104:105], v[68:69], v[78:79]
	v_fma_f64 v[78:79], v[66:67], v[78:79], -v[80:81]
	ds_load_b128 v[66:69], v2 offset:736
	v_fmac_f64_e32 v[76:77], v[10:11], v[82:83]
	v_fma_f64 v[82:83], v[8:9], v[82:83], -v[84:85]
	v_add_f64_e32 v[4:5], v[4:5], v[74:75]
	v_add_f64_e32 v[12:13], v[12:13], v[116:117]
	ds_load_b128 v[8:11], v2 offset:752
	s_wait_loadcnt_dscnt 0x601
	v_mul_f64_e32 v[74:75], v[66:67], v[88:89]
	v_mul_f64_e32 v[80:81], v[68:69], v[88:89]
	s_wait_loadcnt_dscnt 0x500
	v_mul_f64_e32 v[84:85], v[10:11], v[92:93]
	v_add_f64_e32 v[4:5], v[4:5], v[78:79]
	v_add_f64_e32 v[12:13], v[12:13], v[104:105]
	v_mul_f64_e32 v[78:79], v[8:9], v[92:93]
	v_fmac_f64_e32 v[74:75], v[68:69], v[86:87]
	v_fma_f64 v[80:81], v[66:67], v[86:87], -v[80:81]
	ds_load_b128 v[66:69], v2 offset:768
	v_fma_f64 v[84:85], v[8:9], v[90:91], -v[84:85]
	v_add_f64_e32 v[4:5], v[4:5], v[82:83]
	v_add_f64_e32 v[12:13], v[12:13], v[76:77]
	v_fmac_f64_e32 v[78:79], v[10:11], v[90:91]
	ds_load_b128 v[8:11], v2 offset:784
	s_wait_loadcnt_dscnt 0x401
	v_mul_f64_e32 v[76:77], v[66:67], v[96:97]
	v_mul_f64_e32 v[82:83], v[68:69], v[96:97]
	v_add_f64_e32 v[4:5], v[4:5], v[80:81]
	v_add_f64_e32 v[12:13], v[12:13], v[74:75]
	s_wait_loadcnt_dscnt 0x300
	v_mul_f64_e32 v[74:75], v[8:9], v[100:101]
	v_mul_f64_e32 v[80:81], v[10:11], v[100:101]
	v_fmac_f64_e32 v[76:77], v[68:69], v[94:95]
	v_fma_f64 v[82:83], v[66:67], v[94:95], -v[82:83]
	ds_load_b128 v[66:69], v2 offset:800
	v_add_f64_e32 v[4:5], v[4:5], v[84:85]
	v_add_f64_e32 v[12:13], v[12:13], v[78:79]
	s_wait_loadcnt_dscnt 0x200
	v_mul_f64_e32 v[78:79], v[66:67], v[108:109]
	v_mul_f64_e32 v[84:85], v[68:69], v[108:109]
	v_fmac_f64_e32 v[74:75], v[10:11], v[98:99]
	v_fma_f64 v[8:9], v[8:9], v[98:99], -v[80:81]
	v_add_f64_e32 v[10:11], v[4:5], v[82:83]
	v_add_f64_e32 v[12:13], v[12:13], v[76:77]
	ds_load_b128 v[2:5], v2 offset:816
	v_fmac_f64_e32 v[78:79], v[68:69], v[106:107]
	v_fma_f64 v[66:67], v[66:67], v[106:107], -v[84:85]
	s_wait_loadcnt_dscnt 0x100
	v_mul_f64_e32 v[76:77], v[2:3], v[112:113]
	v_mul_f64_e32 v[80:81], v[4:5], v[112:113]
	v_add_f64_e32 v[8:9], v[10:11], v[8:9]
	v_add_f64_e32 v[10:11], v[12:13], v[74:75]
	s_delay_alu instid0(VALU_DEP_4) | instskip(NEXT) | instid1(VALU_DEP_4)
	v_fmac_f64_e32 v[76:77], v[4:5], v[110:111]
	v_fma_f64 v[2:3], v[2:3], v[110:111], -v[80:81]
	s_delay_alu instid0(VALU_DEP_4) | instskip(NEXT) | instid1(VALU_DEP_4)
	v_add_f64_e32 v[4:5], v[8:9], v[66:67]
	v_add_f64_e32 v[8:9], v[10:11], v[78:79]
	s_delay_alu instid0(VALU_DEP_2) | instskip(NEXT) | instid1(VALU_DEP_2)
	v_add_f64_e32 v[2:3], v[4:5], v[2:3]
	v_add_f64_e32 v[4:5], v[8:9], v[76:77]
	s_wait_loadcnt 0x0
	s_delay_alu instid0(VALU_DEP_2) | instskip(NEXT) | instid1(VALU_DEP_2)
	v_add_f64_e64 v[2:3], v[70:71], -v[2:3]
	v_add_f64_e64 v[4:5], v[72:73], -v[4:5]
	scratch_store_b128 off, v[2:5], off offset:16
	s_wait_xcnt 0x0
	v_cmpx_ne_u32_e32 0, v1
	s_cbranch_execz .LBB25_169
; %bb.168:
	scratch_load_b128 v[2:5], off, off
	v_mov_b32_e32 v8, 0
	s_delay_alu instid0(VALU_DEP_1)
	v_dual_mov_b32 v9, v8 :: v_dual_mov_b32 v10, v8
	v_mov_b32_e32 v11, v8
	scratch_store_b128 off, v[8:11], off
	s_wait_loadcnt 0x0
	ds_store_b128 v6, v[2:5]
.LBB25_169:
	s_wait_xcnt 0x0
	s_or_b32 exec_lo, exec_lo, s2
	s_wait_storecnt_dscnt 0x0
	s_barrier_signal -1
	s_barrier_wait -1
	s_clause 0x9
	scratch_load_b128 v[2:5], off, off offset:16
	scratch_load_b128 v[6:9], off, off offset:32
	;; [unrolled: 1-line block ×10, first 2 shown]
	v_mov_b32_e32 v74, 0
	s_and_b32 vcc_lo, exec_lo, s38
	ds_load_b128 v[96:99], v74 offset:432
	s_clause 0x2
	scratch_load_b128 v[100:103], off, off offset:176
	scratch_load_b128 v[104:107], off, off
	scratch_load_b128 v[112:115], off, off offset:192
	s_wait_loadcnt_dscnt 0xc00
	v_mul_f64_e32 v[116:117], v[98:99], v[4:5]
	v_mul_f64_e32 v[120:121], v[96:97], v[4:5]
	ds_load_b128 v[108:111], v74 offset:448
	v_fma_f64 v[124:125], v[96:97], v[2:3], -v[116:117]
	v_fmac_f64_e32 v[120:121], v[98:99], v[2:3]
	ds_load_b128 v[2:5], v74 offset:464
	s_wait_loadcnt_dscnt 0xb01
	v_mul_f64_e32 v[122:123], v[108:109], v[8:9]
	v_mul_f64_e32 v[8:9], v[110:111], v[8:9]
	scratch_load_b128 v[96:99], off, off offset:208
	ds_load_b128 v[116:119], v74 offset:480
	s_wait_loadcnt_dscnt 0xb01
	v_mul_f64_e32 v[126:127], v[2:3], v[12:13]
	v_mul_f64_e32 v[12:13], v[4:5], v[12:13]
	v_add_f64_e32 v[120:121], 0, v[120:121]
	v_fmac_f64_e32 v[122:123], v[110:111], v[6:7]
	v_fma_f64 v[108:109], v[108:109], v[6:7], -v[8:9]
	v_add_f64_e32 v[110:111], 0, v[124:125]
	scratch_load_b128 v[6:9], off, off offset:224
	s_wait_loadcnt_dscnt 0xb00
	v_mul_f64_e32 v[124:125], v[116:117], v[68:69]
	v_mul_f64_e32 v[68:69], v[118:119], v[68:69]
	v_fmac_f64_e32 v[126:127], v[4:5], v[10:11]
	v_fma_f64 v[128:129], v[2:3], v[10:11], -v[12:13]
	ds_load_b128 v[2:5], v74 offset:496
	ds_load_b128 v[10:13], v74 offset:512
	v_add_f64_e32 v[108:109], v[110:111], v[108:109]
	v_add_f64_e32 v[110:111], v[120:121], v[122:123]
	v_fmac_f64_e32 v[124:125], v[118:119], v[66:67]
	v_fma_f64 v[116:117], v[116:117], v[66:67], -v[68:69]
	scratch_load_b128 v[66:69], off, off offset:240
	s_wait_loadcnt_dscnt 0xb01
	v_mul_f64_e32 v[120:121], v[2:3], v[72:73]
	v_mul_f64_e32 v[72:73], v[4:5], v[72:73]
	s_wait_loadcnt_dscnt 0xa00
	v_mul_f64_e32 v[118:119], v[10:11], v[78:79]
	v_mul_f64_e32 v[78:79], v[12:13], v[78:79]
	v_add_f64_e32 v[108:109], v[108:109], v[128:129]
	v_add_f64_e32 v[110:111], v[110:111], v[126:127]
	v_fmac_f64_e32 v[120:121], v[4:5], v[70:71]
	v_fma_f64 v[122:123], v[2:3], v[70:71], -v[72:73]
	scratch_load_b128 v[2:5], off, off offset:256
	v_fmac_f64_e32 v[118:119], v[12:13], v[76:77]
	v_fma_f64 v[76:77], v[10:11], v[76:77], -v[78:79]
	v_add_f64_e32 v[116:117], v[108:109], v[116:117]
	v_add_f64_e32 v[124:125], v[110:111], v[124:125]
	ds_load_b128 v[70:73], v74 offset:528
	ds_load_b128 v[108:111], v74 offset:544
	scratch_load_b128 v[10:13], off, off offset:272
	s_wait_loadcnt_dscnt 0xb01
	v_mul_f64_e32 v[126:127], v[70:71], v[82:83]
	v_mul_f64_e32 v[78:79], v[72:73], v[82:83]
	v_add_f64_e32 v[82:83], v[116:117], v[122:123]
	v_add_f64_e32 v[116:117], v[124:125], v[120:121]
	s_wait_loadcnt_dscnt 0xa00
	v_mul_f64_e32 v[120:121], v[108:109], v[86:87]
	v_mul_f64_e32 v[86:87], v[110:111], v[86:87]
	v_fmac_f64_e32 v[126:127], v[72:73], v[80:81]
	v_fma_f64 v[122:123], v[70:71], v[80:81], -v[78:79]
	scratch_load_b128 v[70:73], off, off offset:288
	v_add_f64_e32 v[124:125], v[82:83], v[76:77]
	v_add_f64_e32 v[116:117], v[116:117], v[118:119]
	ds_load_b128 v[76:79], v74 offset:560
	ds_load_b128 v[80:83], v74 offset:576
	v_fmac_f64_e32 v[120:121], v[110:111], v[84:85]
	v_fma_f64 v[108:109], v[108:109], v[84:85], -v[86:87]
	scratch_load_b128 v[84:87], off, off offset:304
	s_wait_loadcnt_dscnt 0xb01
	v_mul_f64_e32 v[118:119], v[76:77], v[90:91]
	v_mul_f64_e32 v[90:91], v[78:79], v[90:91]
	v_add_f64_e32 v[110:111], v[124:125], v[122:123]
	v_add_f64_e32 v[116:117], v[116:117], v[126:127]
	s_wait_loadcnt_dscnt 0xa00
	v_mul_f64_e32 v[122:123], v[80:81], v[94:95]
	v_mul_f64_e32 v[94:95], v[82:83], v[94:95]
	v_fmac_f64_e32 v[118:119], v[78:79], v[88:89]
	v_fma_f64 v[124:125], v[76:77], v[88:89], -v[90:91]
	scratch_load_b128 v[76:79], off, off offset:320
	v_add_f64_e32 v[126:127], v[110:111], v[108:109]
	v_add_f64_e32 v[116:117], v[116:117], v[120:121]
	ds_load_b128 v[88:91], v74 offset:592
	ds_load_b128 v[108:111], v74 offset:608
	v_fmac_f64_e32 v[122:123], v[82:83], v[92:93]
	v_fma_f64 v[92:93], v[80:81], v[92:93], -v[94:95]
	;; [unrolled: 18-line block ×3, first 2 shown]
	s_clause 0x1
	scratch_load_b128 v[108:111], off, off offset:368
	scratch_load_b128 v[112:115], off, off offset:384
	s_wait_loadcnt_dscnt 0xb01
	v_mul_f64_e32 v[122:123], v[92:93], v[98:99]
	v_mul_f64_e32 v[98:99], v[94:95], v[98:99]
	v_add_f64_e32 v[124:125], v[126:127], v[124:125]
	v_add_f64_e32 v[116:117], v[116:117], v[120:121]
	s_wait_loadcnt_dscnt 0xa00
	v_mul_f64_e32 v[120:121], v[100:101], v[8:9]
	v_mul_f64_e32 v[8:9], v[102:103], v[8:9]
	v_fmac_f64_e32 v[122:123], v[94:95], v[96:97]
	v_fma_f64 v[126:127], v[92:93], v[96:97], -v[98:99]
	ds_load_b128 v[92:95], v74 offset:656
	scratch_load_b128 v[96:99], off, off offset:400
	v_add_f64_e32 v[124:125], v[124:125], v[128:129]
	v_add_f64_e32 v[116:117], v[116:117], v[118:119]
	v_fmac_f64_e32 v[120:121], v[102:103], v[6:7]
	v_fma_f64 v[100:101], v[100:101], v[6:7], -v[8:9]
	ds_load_b128 v[6:9], v74 offset:672
	s_wait_loadcnt_dscnt 0xa01
	v_mul_f64_e32 v[102:103], v[92:93], v[68:69]
	v_mul_f64_e32 v[68:69], v[94:95], v[68:69]
	v_add_f64_e32 v[118:119], v[124:125], v[126:127]
	v_add_f64_e32 v[116:117], v[116:117], v[122:123]
	s_wait_loadcnt_dscnt 0x900
	v_mul_f64_e32 v[122:123], v[6:7], v[4:5]
	v_mul_f64_e32 v[4:5], v[8:9], v[4:5]
	v_fmac_f64_e32 v[102:103], v[94:95], v[66:67]
	v_fma_f64 v[124:125], v[92:93], v[66:67], -v[68:69]
	ds_load_b128 v[66:69], v74 offset:688
	ds_load_b128 v[92:95], v74 offset:704
	v_add_f64_e32 v[100:101], v[118:119], v[100:101]
	v_add_f64_e32 v[116:117], v[116:117], v[120:121]
	s_wait_loadcnt_dscnt 0x801
	v_mul_f64_e32 v[118:119], v[66:67], v[12:13]
	v_mul_f64_e32 v[12:13], v[68:69], v[12:13]
	v_fmac_f64_e32 v[122:123], v[8:9], v[2:3]
	v_fma_f64 v[2:3], v[6:7], v[2:3], -v[4:5]
	v_add_f64_e32 v[4:5], v[100:101], v[124:125]
	v_add_f64_e32 v[6:7], v[116:117], v[102:103]
	v_fmac_f64_e32 v[118:119], v[68:69], v[10:11]
	v_fma_f64 v[10:11], v[66:67], v[10:11], -v[12:13]
	s_wait_loadcnt_dscnt 0x700
	v_mul_f64_e32 v[100:101], v[92:93], v[72:73]
	v_mul_f64_e32 v[72:73], v[94:95], v[72:73]
	v_add_f64_e32 v[12:13], v[4:5], v[2:3]
	v_add_f64_e32 v[66:67], v[6:7], v[122:123]
	ds_load_b128 v[2:5], v74 offset:720
	ds_load_b128 v[6:9], v74 offset:736
	s_wait_loadcnt_dscnt 0x601
	v_mul_f64_e32 v[68:69], v[2:3], v[86:87]
	v_mul_f64_e32 v[86:87], v[4:5], v[86:87]
	v_fmac_f64_e32 v[100:101], v[94:95], v[70:71]
	v_fma_f64 v[70:71], v[92:93], v[70:71], -v[72:73]
	v_add_f64_e32 v[10:11], v[12:13], v[10:11]
	v_add_f64_e32 v[12:13], v[66:67], v[118:119]
	v_fmac_f64_e32 v[68:69], v[4:5], v[84:85]
	s_wait_loadcnt_dscnt 0x500
	v_mul_f64_e32 v[66:67], v[6:7], v[78:79]
	v_mul_f64_e32 v[72:73], v[8:9], v[78:79]
	v_fma_f64 v[78:79], v[2:3], v[84:85], -v[86:87]
	v_add_f64_e32 v[70:71], v[10:11], v[70:71]
	v_add_f64_e32 v[84:85], v[12:13], v[100:101]
	ds_load_b128 v[2:5], v74 offset:752
	ds_load_b128 v[10:13], v74 offset:768
	s_wait_loadcnt_dscnt 0x401
	v_mul_f64_e32 v[86:87], v[2:3], v[82:83]
	v_mul_f64_e32 v[82:83], v[4:5], v[82:83]
	v_fmac_f64_e32 v[66:67], v[8:9], v[76:77]
	v_fma_f64 v[6:7], v[6:7], v[76:77], -v[72:73]
	v_add_f64_e32 v[8:9], v[70:71], v[78:79]
	v_add_f64_e32 v[68:69], v[84:85], v[68:69]
	v_fmac_f64_e32 v[86:87], v[4:5], v[80:81]
	v_fma_f64 v[76:77], v[2:3], v[80:81], -v[82:83]
	s_wait_loadcnt_dscnt 0x300
	v_mul_f64_e32 v[70:71], v[10:11], v[90:91]
	v_mul_f64_e32 v[72:73], v[12:13], v[90:91]
	v_add_f64_e32 v[78:79], v[8:9], v[6:7]
	v_add_f64_e32 v[66:67], v[68:69], v[66:67]
	ds_load_b128 v[2:5], v74 offset:784
	ds_load_b128 v[6:9], v74 offset:800
	s_wait_loadcnt_dscnt 0x201
	v_mul_f64_e32 v[68:69], v[2:3], v[110:111]
	v_mul_f64_e32 v[80:81], v[4:5], v[110:111]
	v_fmac_f64_e32 v[70:71], v[12:13], v[88:89]
	v_fma_f64 v[10:11], v[10:11], v[88:89], -v[72:73]
	s_wait_loadcnt_dscnt 0x100
	v_mul_f64_e32 v[72:73], v[6:7], v[114:115]
	v_add_f64_e32 v[12:13], v[78:79], v[76:77]
	v_add_f64_e32 v[66:67], v[66:67], v[86:87]
	v_mul_f64_e32 v[76:77], v[8:9], v[114:115]
	v_fmac_f64_e32 v[68:69], v[4:5], v[108:109]
	v_fma_f64 v[78:79], v[2:3], v[108:109], -v[80:81]
	ds_load_b128 v[2:5], v74 offset:816
	v_fmac_f64_e32 v[72:73], v[8:9], v[112:113]
	v_add_f64_e32 v[10:11], v[12:13], v[10:11]
	v_add_f64_e32 v[12:13], v[66:67], v[70:71]
	v_fma_f64 v[6:7], v[6:7], v[112:113], -v[76:77]
	s_wait_loadcnt_dscnt 0x0
	v_mul_f64_e32 v[66:67], v[2:3], v[98:99]
	v_mul_f64_e32 v[70:71], v[4:5], v[98:99]
	v_add_f64_e32 v[8:9], v[10:11], v[78:79]
	v_add_f64_e32 v[10:11], v[12:13], v[68:69]
	v_lshl_add_u64 v[68:69], v[24:25], 4, s[4:5]
	v_lshl_add_u64 v[12:13], v[36:37], 4, s[4:5]
	;; [unrolled: 1-line block ×5, first 2 shown]
	v_fmac_f64_e32 v[66:67], v[4:5], v[96:97]
	v_fma_f64 v[2:3], v[2:3], v[96:97], -v[70:71]
	v_lshl_add_u64 v[70:71], v[20:21], 4, s[4:5]
	v_lshl_add_u64 v[20:21], v[40:41], 4, s[4:5]
	;; [unrolled: 1-line block ×3, first 2 shown]
	v_add_f64_e32 v[4:5], v[8:9], v[6:7]
	v_add_f64_e32 v[6:7], v[10:11], v[72:73]
	v_lshl_add_u64 v[72:73], v[18:19], 4, s[4:5]
	v_lshl_add_u64 v[8:9], v[32:33], 4, s[4:5]
	;; [unrolled: 1-line block ×7, first 2 shown]
	v_add_f64_e32 v[2:3], v[4:5], v[2:3]
	v_add_f64_e32 v[4:5], v[6:7], v[66:67]
	v_lshl_add_u64 v[66:67], v[22:23], 4, s[4:5]
	v_lshl_add_u64 v[6:7], v[30:31], 4, s[4:5]
	;; [unrolled: 1-line block ×5, first 2 shown]
	v_add_f64_e64 v[76:77], v[104:105], -v[2:3]
	v_add_f64_e64 v[78:79], v[106:107], -v[4:5]
	v_lshl_add_u64 v[2:3], v[26:27], 4, s[4:5]
	v_lshl_add_u64 v[4:5], v[28:29], 4, s[4:5]
	;; [unrolled: 1-line block ×4, first 2 shown]
	scratch_store_b128 off, v[76:79], off
	s_cbranch_vccz .LBB25_220
; %bb.170:
	global_load_b32 v46, v74, s[16:17] offset:96
	s_load_b64 s[2:3], s[0:1], 0x4
	v_bfe_u32 v47, v0, 10, 10
	v_bfe_u32 v0, v0, 20, 10
	s_wait_kmcnt 0x0
	s_lshr_b32 s0, s2, 16
	s_delay_alu instid0(VALU_DEP_2) | instskip(SKIP_1) | instid1(SALU_CYCLE_1)
	v_mul_u32_u24_e32 v47, s3, v47
	s_mul_i32 s0, s0, s3
	v_mul_u32_u24_e32 v1, s0, v1
	s_delay_alu instid0(VALU_DEP_1) | instskip(NEXT) | instid1(VALU_DEP_1)
	v_add3_u32 v0, v1, v47, v0
	v_lshl_add_u32 v0, v0, 4, 0x348
	s_wait_loadcnt 0x0
	v_cmp_ne_u32_e32 vcc_lo, 25, v46
	s_cbranch_vccz .LBB25_172
; %bb.171:
	v_lshlrev_b32_e32 v1, 4, v46
	s_clause 0x1
	scratch_load_b128 v[46:49], off, s13
	scratch_load_b128 v[50:53], v1, off offset:-16
	s_wait_loadcnt 0x1
	ds_store_2addr_b64 v0, v[46:47], v[48:49] offset1:1
	s_wait_loadcnt 0x0
	s_clause 0x1
	scratch_store_b128 off, v[50:53], s13
	scratch_store_b128 v1, v[46:49], off offset:-16
.LBB25_172:
	s_wait_xcnt 0x0
	v_mov_b32_e32 v1, 0
	global_load_b32 v46, v1, s[16:17] offset:92
	s_wait_loadcnt 0x0
	v_cmp_eq_u32_e32 vcc_lo, 24, v46
	s_cbranch_vccnz .LBB25_174
; %bb.173:
	v_lshlrev_b32_e32 v46, 4, v46
	s_delay_alu instid0(VALU_DEP_1)
	v_mov_b32_e32 v54, v46
	s_clause 0x1
	scratch_load_b128 v[46:49], off, s12
	scratch_load_b128 v[50:53], v54, off offset:-16
	s_wait_loadcnt 0x1
	ds_store_2addr_b64 v0, v[46:47], v[48:49] offset1:1
	s_wait_loadcnt 0x0
	s_clause 0x1
	scratch_store_b128 off, v[50:53], s12
	scratch_store_b128 v54, v[46:49], off offset:-16
.LBB25_174:
	global_load_b32 v1, v1, s[16:17] offset:88
	s_wait_loadcnt 0x0
	v_cmp_eq_u32_e32 vcc_lo, 23, v1
	s_cbranch_vccnz .LBB25_176
; %bb.175:
	s_wait_xcnt 0x0
	v_lshlrev_b32_e32 v1, 4, v1
	s_clause 0x1
	scratch_load_b128 v[46:49], off, s15
	scratch_load_b128 v[50:53], v1, off offset:-16
	s_wait_loadcnt 0x1
	ds_store_2addr_b64 v0, v[46:47], v[48:49] offset1:1
	s_wait_loadcnt 0x0
	s_clause 0x1
	scratch_store_b128 off, v[50:53], s15
	scratch_store_b128 v1, v[46:49], off offset:-16
.LBB25_176:
	s_wait_xcnt 0x0
	v_mov_b32_e32 v1, 0
	global_load_b32 v46, v1, s[16:17] offset:84
	s_wait_loadcnt 0x0
	v_cmp_eq_u32_e32 vcc_lo, 22, v46
	s_cbranch_vccnz .LBB25_178
; %bb.177:
	v_lshlrev_b32_e32 v46, 4, v46
	s_delay_alu instid0(VALU_DEP_1)
	v_mov_b32_e32 v54, v46
	s_clause 0x1
	scratch_load_b128 v[46:49], off, s14
	scratch_load_b128 v[50:53], v54, off offset:-16
	s_wait_loadcnt 0x1
	ds_store_2addr_b64 v0, v[46:47], v[48:49] offset1:1
	s_wait_loadcnt 0x0
	s_clause 0x1
	scratch_store_b128 off, v[50:53], s14
	scratch_store_b128 v54, v[46:49], off offset:-16
.LBB25_178:
	global_load_b32 v1, v1, s[16:17] offset:80
	s_wait_loadcnt 0x0
	v_cmp_eq_u32_e32 vcc_lo, 21, v1
	s_cbranch_vccnz .LBB25_180
; %bb.179:
	s_wait_xcnt 0x0
	v_lshlrev_b32_e32 v1, 4, v1
	s_clause 0x1
	scratch_load_b128 v[46:49], off, s20
	scratch_load_b128 v[50:53], v1, off offset:-16
	s_wait_loadcnt 0x1
	ds_store_2addr_b64 v0, v[46:47], v[48:49] offset1:1
	s_wait_loadcnt 0x0
	s_clause 0x1
	scratch_store_b128 off, v[50:53], s20
	scratch_store_b128 v1, v[46:49], off offset:-16
.LBB25_180:
	;; [unrolled: 37-line block ×11, first 2 shown]
	s_wait_xcnt 0x0
	v_mov_b32_e32 v1, 0
	global_load_b32 v46, v1, s[16:17] offset:4
	s_wait_loadcnt 0x0
	v_cmp_eq_u32_e32 vcc_lo, 2, v46
	s_cbranch_vccnz .LBB25_218
; %bb.217:
	v_lshlrev_b32_e32 v46, 4, v46
	s_delay_alu instid0(VALU_DEP_1)
	v_mov_b32_e32 v54, v46
	s_clause 0x1
	scratch_load_b128 v[46:49], off, s24
	scratch_load_b128 v[50:53], v54, off offset:-16
	s_wait_loadcnt 0x1
	ds_store_2addr_b64 v0, v[46:47], v[48:49] offset1:1
	s_wait_loadcnt 0x0
	s_clause 0x1
	scratch_store_b128 off, v[50:53], s24
	scratch_store_b128 v54, v[46:49], off offset:-16
.LBB25_218:
	global_load_b32 v1, v1, s[16:17]
	s_wait_loadcnt 0x0
	v_cmp_eq_u32_e32 vcc_lo, 1, v1
	s_cbranch_vccnz .LBB25_220
; %bb.219:
	s_wait_xcnt 0x0
	v_lshlrev_b32_e32 v1, 4, v1
	scratch_load_b128 v[46:49], off, off
	scratch_load_b128 v[50:53], v1, off offset:-16
	s_wait_loadcnt 0x1
	ds_store_2addr_b64 v0, v[46:47], v[48:49] offset1:1
	s_wait_loadcnt 0x0
	scratch_store_b128 off, v[50:53], off
	scratch_store_b128 v1, v[46:49], off offset:-16
.LBB25_220:
	scratch_load_b128 v[46:49], off, off
	s_clause 0x10
	scratch_load_b128 v[50:53], off, s24
	scratch_load_b128 v[54:57], off, s21
	;; [unrolled: 1-line block ×15, first 2 shown]
	; meta instruction
	; meta instruction
	;; [unrolled: 1-line block ×15, first 2 shown]
	scratch_load_b128 v[118:121], off, s11
	scratch_load_b128 v[122:125], off, s25
	s_wait_loadcnt 0x11
	global_store_b128 v[14:15], v[46:49], off
	s_wait_loadcnt 0x10
	global_store_b128 v[16:17], v[50:53], off
	s_clause 0x1
	scratch_load_b128 v[14:17], off, s9
	scratch_load_b128 v[46:49], off, s10
	s_wait_loadcnt 0x11
	global_store_b128 v[72:73], v[54:57], off
	s_clause 0x1
	scratch_load_b128 v[50:53], off, s8
	scratch_load_b128 v[54:57], off, s20
	;; [unrolled: 5-line block ×3, first 2 shown]
	s_wait_loadcnt 0x13
	global_store_b128 v[66:67], v[62:65], off
	s_wait_loadcnt 0x12
	global_store_b128 v[68:69], v[74:77], off
	s_clause 0x1
	scratch_load_b128 v[62:65], off, s12
	scratch_load_b128 v[66:69], off, s13
	s_wait_loadcnt 0x13
	global_store_b128 v[2:3], v[78:81], off
	s_wait_loadcnt 0x12
	global_store_b128 v[4:5], v[82:85], off
	;; [unrolled: 2-line block ×18, first 2 shown]
	s_wait_loadcnt 0x0
	s_clause 0x1
	global_store_b128 v[42:43], v[66:69], off
	global_store_b128 v[44:45], v[122:125], off
	s_sendmsg sendmsg(MSG_DEALLOC_VGPRS)
	s_endpgm
	.section	.rodata,"a",@progbits
	.p2align	6, 0x0
	.amdhsa_kernel _ZN9rocsolver6v33100L18getri_kernel_smallILi26E19rocblas_complex_numIdEPS3_EEvT1_iilPiilS6_bb
		.amdhsa_group_segment_fixed_size 1864
		.amdhsa_private_segment_fixed_size 432
		.amdhsa_kernarg_size 60
		.amdhsa_user_sgpr_count 4
		.amdhsa_user_sgpr_dispatch_ptr 1
		.amdhsa_user_sgpr_queue_ptr 0
		.amdhsa_user_sgpr_kernarg_segment_ptr 1
		.amdhsa_user_sgpr_dispatch_id 0
		.amdhsa_user_sgpr_kernarg_preload_length 0
		.amdhsa_user_sgpr_kernarg_preload_offset 0
		.amdhsa_user_sgpr_private_segment_size 0
		.amdhsa_wavefront_size32 1
		.amdhsa_uses_dynamic_stack 0
		.amdhsa_enable_private_segment 1
		.amdhsa_system_sgpr_workgroup_id_x 1
		.amdhsa_system_sgpr_workgroup_id_y 0
		.amdhsa_system_sgpr_workgroup_id_z 0
		.amdhsa_system_sgpr_workgroup_info 0
		.amdhsa_system_vgpr_workitem_id 2
		.amdhsa_next_free_vgpr 134
		.amdhsa_next_free_sgpr 48
		.amdhsa_named_barrier_count 0
		.amdhsa_reserve_vcc 1
		.amdhsa_float_round_mode_32 0
		.amdhsa_float_round_mode_16_64 0
		.amdhsa_float_denorm_mode_32 3
		.amdhsa_float_denorm_mode_16_64 3
		.amdhsa_fp16_overflow 0
		.amdhsa_memory_ordered 1
		.amdhsa_forward_progress 1
		.amdhsa_inst_pref_size 255
		.amdhsa_round_robin_scheduling 0
		.amdhsa_exception_fp_ieee_invalid_op 0
		.amdhsa_exception_fp_denorm_src 0
		.amdhsa_exception_fp_ieee_div_zero 0
		.amdhsa_exception_fp_ieee_overflow 0
		.amdhsa_exception_fp_ieee_underflow 0
		.amdhsa_exception_fp_ieee_inexact 0
		.amdhsa_exception_int_div_zero 0
	.end_amdhsa_kernel
	.section	.text._ZN9rocsolver6v33100L18getri_kernel_smallILi26E19rocblas_complex_numIdEPS3_EEvT1_iilPiilS6_bb,"axG",@progbits,_ZN9rocsolver6v33100L18getri_kernel_smallILi26E19rocblas_complex_numIdEPS3_EEvT1_iilPiilS6_bb,comdat
.Lfunc_end25:
	.size	_ZN9rocsolver6v33100L18getri_kernel_smallILi26E19rocblas_complex_numIdEPS3_EEvT1_iilPiilS6_bb, .Lfunc_end25-_ZN9rocsolver6v33100L18getri_kernel_smallILi26E19rocblas_complex_numIdEPS3_EEvT1_iilPiilS6_bb
                                        ; -- End function
	.set _ZN9rocsolver6v33100L18getri_kernel_smallILi26E19rocblas_complex_numIdEPS3_EEvT1_iilPiilS6_bb.num_vgpr, 134
	.set _ZN9rocsolver6v33100L18getri_kernel_smallILi26E19rocblas_complex_numIdEPS3_EEvT1_iilPiilS6_bb.num_agpr, 0
	.set _ZN9rocsolver6v33100L18getri_kernel_smallILi26E19rocblas_complex_numIdEPS3_EEvT1_iilPiilS6_bb.numbered_sgpr, 48
	.set _ZN9rocsolver6v33100L18getri_kernel_smallILi26E19rocblas_complex_numIdEPS3_EEvT1_iilPiilS6_bb.num_named_barrier, 0
	.set _ZN9rocsolver6v33100L18getri_kernel_smallILi26E19rocblas_complex_numIdEPS3_EEvT1_iilPiilS6_bb.private_seg_size, 432
	.set _ZN9rocsolver6v33100L18getri_kernel_smallILi26E19rocblas_complex_numIdEPS3_EEvT1_iilPiilS6_bb.uses_vcc, 1
	.set _ZN9rocsolver6v33100L18getri_kernel_smallILi26E19rocblas_complex_numIdEPS3_EEvT1_iilPiilS6_bb.uses_flat_scratch, 1
	.set _ZN9rocsolver6v33100L18getri_kernel_smallILi26E19rocblas_complex_numIdEPS3_EEvT1_iilPiilS6_bb.has_dyn_sized_stack, 0
	.set _ZN9rocsolver6v33100L18getri_kernel_smallILi26E19rocblas_complex_numIdEPS3_EEvT1_iilPiilS6_bb.has_recursion, 0
	.set _ZN9rocsolver6v33100L18getri_kernel_smallILi26E19rocblas_complex_numIdEPS3_EEvT1_iilPiilS6_bb.has_indirect_call, 0
	.section	.AMDGPU.csdata,"",@progbits
; Kernel info:
; codeLenInByte = 33360
; TotalNumSgprs: 50
; NumVgprs: 134
; ScratchSize: 432
; MemoryBound: 0
; FloatMode: 240
; IeeeMode: 1
; LDSByteSize: 1864 bytes/workgroup (compile time only)
; SGPRBlocks: 0
; VGPRBlocks: 8
; NumSGPRsForWavesPerEU: 50
; NumVGPRsForWavesPerEU: 134
; NamedBarCnt: 0
; Occupancy: 7
; WaveLimiterHint : 1
; COMPUTE_PGM_RSRC2:SCRATCH_EN: 1
; COMPUTE_PGM_RSRC2:USER_SGPR: 4
; COMPUTE_PGM_RSRC2:TRAP_HANDLER: 0
; COMPUTE_PGM_RSRC2:TGID_X_EN: 1
; COMPUTE_PGM_RSRC2:TGID_Y_EN: 0
; COMPUTE_PGM_RSRC2:TGID_Z_EN: 0
; COMPUTE_PGM_RSRC2:TIDIG_COMP_CNT: 2
	.section	.text._ZN9rocsolver6v33100L18getri_kernel_smallILi27E19rocblas_complex_numIdEPS3_EEvT1_iilPiilS6_bb,"axG",@progbits,_ZN9rocsolver6v33100L18getri_kernel_smallILi27E19rocblas_complex_numIdEPS3_EEvT1_iilPiilS6_bb,comdat
	.globl	_ZN9rocsolver6v33100L18getri_kernel_smallILi27E19rocblas_complex_numIdEPS3_EEvT1_iilPiilS6_bb ; -- Begin function _ZN9rocsolver6v33100L18getri_kernel_smallILi27E19rocblas_complex_numIdEPS3_EEvT1_iilPiilS6_bb
	.p2align	8
	.type	_ZN9rocsolver6v33100L18getri_kernel_smallILi27E19rocblas_complex_numIdEPS3_EEvT1_iilPiilS6_bb,@function
_ZN9rocsolver6v33100L18getri_kernel_smallILi27E19rocblas_complex_numIdEPS3_EEvT1_iilPiilS6_bb: ; @_ZN9rocsolver6v33100L18getri_kernel_smallILi27E19rocblas_complex_numIdEPS3_EEvT1_iilPiilS6_bb
; %bb.0:
	v_and_b32_e32 v1, 0x3ff, v0
	s_mov_b32 s4, exec_lo
	s_delay_alu instid0(VALU_DEP_1)
	v_cmpx_gt_u32_e32 27, v1
	s_cbranch_execz .LBB26_122
; %bb.1:
	s_clause 0x2
	s_load_b32 s8, s[2:3], 0x38
	s_load_b128 s[12:15], s[2:3], 0x10
	s_load_b128 s[4:7], s[2:3], 0x28
	s_getreg_b32 s11, hwreg(HW_REG_IB_STS2, 6, 4)
                                        ; implicit-def: $sgpr16_sgpr17
	s_wait_kmcnt 0x0
	s_bitcmp1_b32 s8, 8
	s_cselect_b32 s39, -1, 0
	s_bfe_u32 s9, ttmp6, 0x4000c
	s_and_b32 s10, ttmp6, 15
	s_add_co_i32 s9, s9, 1
	s_delay_alu instid0(SALU_CYCLE_1) | instskip(NEXT) | instid1(SALU_CYCLE_1)
	s_mul_i32 s9, ttmp9, s9
	s_add_co_i32 s10, s10, s9
	s_cmp_eq_u32 s11, 0
	s_cselect_b32 s18, ttmp9, s10
	s_bfe_u32 s8, s8, 0x10008
	s_ashr_i32 s19, s18, 31
	s_cmp_eq_u32 s8, 0
	s_cbranch_scc1 .LBB26_3
; %bb.2:
	s_load_b32 s8, s[2:3], 0x20
	s_mul_u64 s[4:5], s[4:5], s[18:19]
	s_delay_alu instid0(SALU_CYCLE_1) | instskip(NEXT) | instid1(SALU_CYCLE_1)
	s_lshl_b64 s[4:5], s[4:5], 2
	s_add_nc_u64 s[4:5], s[14:15], s[4:5]
	s_wait_kmcnt 0x0
	s_ashr_i32 s9, s8, 31
	s_delay_alu instid0(SALU_CYCLE_1) | instskip(NEXT) | instid1(SALU_CYCLE_1)
	s_lshl_b64 s[8:9], s[8:9], 2
	s_add_nc_u64 s[16:17], s[4:5], s[8:9]
.LBB26_3:
	s_clause 0x1
	s_load_b128 s[8:11], s[2:3], 0x0
	s_load_b32 s40, s[2:3], 0x38
	s_wait_xcnt 0x0
	s_mul_u64 s[2:3], s[12:13], s[18:19]
	s_movk_i32 s41, 0x110
	s_lshl_b64 s[2:3], s[2:3], 4
	s_movk_i32 s42, 0x120
	s_movk_i32 s43, 0x130
	;; [unrolled: 1-line block ×9, first 2 shown]
	s_mov_b32 s14, 16
	s_movk_i32 s28, 0x50
	s_movk_i32 s31, 0x60
	;; [unrolled: 1-line block ×5, first 2 shown]
	s_wait_kmcnt 0x0
	v_add3_u32 v18, s11, s11, v1
	v_lshlrev_b32_e32 v68, 4, v1
	s_ashr_i32 s5, s10, 31
	s_mov_b32 s4, s10
	s_add_nc_u64 s[2:3], s[8:9], s[2:3]
	v_dual_mov_b32 v69, 0 :: v_dual_add_nc_u32 v20, s11, v18
	s_lshl_b64 s[4:5], s[4:5], 4
	s_mov_b32 s8, 32
	s_add_nc_u64 s[4:5], s[2:3], s[4:5]
	s_delay_alu instid0(VALU_DEP_1)
	v_add_nc_u32_e32 v22, s11, v20
	v_add_nc_u64_e32 v[14:15], s[4:5], v[68:69]
	s_ashr_i32 s3, s11, 31
	s_mov_b32 s2, s11
	s_clause 0x1
	global_load_b128 v[2:5], v18, s[4:5] scale_offset
	global_load_b128 v[6:9], v20, s[4:5] scale_offset
	v_add_nc_u32_e32 v24, s11, v22
	s_mov_b32 s10, 48
	s_movk_i32 s29, 0xa0
	v_lshl_add_u64 v[16:17], s[2:3], 4, v[14:15]
	s_movk_i32 s34, 0xb0
	v_add_nc_u32_e32 v26, s11, v24
	s_clause 0x2
	global_load_b128 v[10:13], v22, s[4:5] scale_offset
	global_load_b128 v[64:67], v1, s[4:5] scale_offset
	global_load_b128 v[70:73], v[16:17], off
	s_movk_i32 s36, 0xc0
	s_movk_i32 s37, 0xd0
	;; [unrolled: 1-line block ×3, first 2 shown]
	v_add_nc_u32_e32 v28, s11, v26
	s_movk_i32 s33, 0xf0
	s_movk_i32 s30, 0x100
	s_mov_b32 s24, s41
	s_mov_b32 s25, s42
	v_add_nc_u32_e32 v30, s11, v28
	s_mov_b32 s21, s43
	s_mov_b32 s22, s44
	;; [unrolled: 1-line block ×4, first 2 shown]
	v_add_nc_u32_e32 v32, s11, v30
	s_clause 0x1
	global_load_b128 v[74:77], v24, s[4:5] scale_offset
	global_load_b128 v[78:81], v26, s[4:5] scale_offset
	s_mov_b32 s9, s47
	s_mov_b32 s23, s48
	;; [unrolled: 1-line block ×3, first 2 shown]
	v_add_nc_u32_e32 v34, s11, v32
	s_clause 0x1
	global_load_b128 v[82:85], v28, s[4:5] scale_offset
	global_load_b128 v[86:89], v30, s[4:5] scale_offset
	s_mov_b32 s20, s50
	s_bitcmp0_b32 s40, 0
	s_clause 0x1
	global_load_b128 v[90:93], v32, s[4:5] scale_offset
	global_load_b128 v[94:97], v34, s[4:5] scale_offset
	v_add_nc_u32_e32 v36, s11, v34
	s_mov_b32 s3, -1
	s_delay_alu instid0(VALU_DEP_1) | instskip(NEXT) | instid1(VALU_DEP_1)
	v_add_nc_u32_e32 v38, s11, v36
	v_add_nc_u32_e32 v40, s11, v38
	s_delay_alu instid0(VALU_DEP_1) | instskip(NEXT) | instid1(VALU_DEP_1)
	v_add_nc_u32_e32 v42, s11, v40
	v_add_nc_u32_e32 v44, s11, v42
	s_delay_alu instid0(VALU_DEP_1)
	v_add_nc_u32_e32 v46, s11, v44
	s_clause 0x2
	global_load_b128 v[98:101], v36, s[4:5] scale_offset
	global_load_b128 v[102:105], v38, s[4:5] scale_offset
	;; [unrolled: 1-line block ×3, first 2 shown]
	v_add_nc_u32_e32 v48, s11, v46
	s_delay_alu instid0(VALU_DEP_1) | instskip(NEXT) | instid1(VALU_DEP_1)
	v_add_nc_u32_e32 v50, s11, v48
	v_add_nc_u32_e32 v52, s11, v50
	s_delay_alu instid0(VALU_DEP_1)
	v_add_nc_u32_e32 v54, s11, v52
	s_clause 0x3
	global_load_b128 v[110:113], v42, s[4:5] scale_offset
	global_load_b128 v[114:117], v44, s[4:5] scale_offset
	;; [unrolled: 1-line block ×4, first 2 shown]
	s_wait_loadcnt 0x11
	scratch_store_b128 off, v[2:5], off offset:32
	s_wait_loadcnt 0x10
	scratch_store_b128 off, v[6:9], off offset:48
	v_add_nc_u32_e32 v56, s11, v54
	s_delay_alu instid0(VALU_DEP_1)
	v_add_nc_u32_e32 v58, s11, v56
	s_clause 0x1
	global_load_b128 v[2:5], v50, s[4:5] scale_offset
	global_load_b128 v[6:9], v52, s[4:5] scale_offset
	s_wait_loadcnt 0x11
	scratch_store_b128 off, v[10:13], off offset:64
	s_wait_loadcnt 0x10
	scratch_store_b128 off, v[64:67], off
	s_wait_loadcnt 0xf
	scratch_store_b128 off, v[70:73], off offset:16
	s_clause 0x1
	global_load_b128 v[10:13], v54, s[4:5] scale_offset
	global_load_b128 v[70:73], v56, s[4:5] scale_offset
	v_add_nc_u32_e32 v60, s11, v58
	s_wait_loadcnt 0x10
	scratch_store_b128 off, v[74:77], off offset:80
	s_wait_loadcnt 0xf
	scratch_store_b128 off, v[78:81], off offset:96
	v_add_nc_u32_e32 v62, s11, v60
	s_delay_alu instid0(VALU_DEP_1) | instskip(NEXT) | instid1(VALU_DEP_1)
	v_add_nc_u32_e32 v64, s11, v62
	v_add_nc_u32_e32 v66, s11, v64
	s_clause 0x1
	global_load_b128 v[74:77], v58, s[4:5] scale_offset
	global_load_b128 v[78:81], v60, s[4:5] scale_offset
	s_wait_loadcnt 0x10
	scratch_store_b128 off, v[82:85], off offset:112
	s_wait_loadcnt 0xf
	scratch_store_b128 off, v[86:89], off offset:128
	s_clause 0x1
	global_load_b128 v[82:85], v62, s[4:5] scale_offset
	global_load_b128 v[86:89], v64, s[4:5] scale_offset
	s_wait_loadcnt 0x10
	scratch_store_b128 off, v[90:93], off offset:144
	s_wait_loadcnt 0xf
	scratch_store_b128 off, v[94:97], off offset:160
	global_load_b128 v[90:93], v66, s[4:5] scale_offset
	s_mov_b32 s11, 64
	s_wait_loadcnt 0xf
	scratch_store_b128 off, v[98:101], off offset:176
	s_wait_loadcnt 0xe
	scratch_store_b128 off, v[102:105], off offset:192
	;; [unrolled: 2-line block ×16, first 2 shown]
	s_cbranch_scc1 .LBB26_120
; %bb.4:
	v_cmp_eq_u32_e64 s2, 0, v1
	s_wait_xcnt 0x0
	s_and_saveexec_b32 s3, s2
; %bb.5:
	v_mov_b32_e32 v2, 0
	ds_store_b32 v2, v2 offset:864
; %bb.6:
	s_or_b32 exec_lo, exec_lo, s3
	s_wait_storecnt_dscnt 0x0
	s_barrier_signal -1
	s_barrier_wait -1
	scratch_load_b128 v[2:5], v1, off scale_offset
	s_wait_loadcnt 0x0
	v_cmp_eq_f64_e32 vcc_lo, 0, v[2:3]
	v_cmp_eq_f64_e64 s3, 0, v[4:5]
	s_and_b32 s3, vcc_lo, s3
	s_delay_alu instid0(SALU_CYCLE_1)
	s_and_saveexec_b32 s40, s3
	s_cbranch_execz .LBB26_10
; %bb.7:
	v_mov_b32_e32 v2, 0
	s_mov_b32 s41, 0
	ds_load_b32 v3, v2 offset:864
	s_wait_dscnt 0x0
	v_readfirstlane_b32 s3, v3
	v_add_nc_u32_e32 v3, 1, v1
	s_cmp_eq_u32 s3, 0
	s_delay_alu instid0(VALU_DEP_1) | instskip(SKIP_1) | instid1(SALU_CYCLE_1)
	v_cmp_gt_i32_e32 vcc_lo, s3, v3
	s_cselect_b32 s42, -1, 0
	s_or_b32 s42, s42, vcc_lo
	s_delay_alu instid0(SALU_CYCLE_1)
	s_and_b32 exec_lo, exec_lo, s42
	s_cbranch_execz .LBB26_10
; %bb.8:
	v_mov_b32_e32 v4, s3
.LBB26_9:                               ; =>This Inner Loop Header: Depth=1
	ds_cmpstore_rtn_b32 v4, v2, v3, v4 offset:864
	s_wait_dscnt 0x0
	v_cmp_ne_u32_e32 vcc_lo, 0, v4
	v_cmp_le_i32_e64 s3, v4, v3
	s_and_b32 s3, vcc_lo, s3
	s_delay_alu instid0(SALU_CYCLE_1) | instskip(NEXT) | instid1(SALU_CYCLE_1)
	s_and_b32 s3, exec_lo, s3
	s_or_b32 s41, s3, s41
	s_delay_alu instid0(SALU_CYCLE_1)
	s_and_not1_b32 exec_lo, exec_lo, s41
	s_cbranch_execnz .LBB26_9
.LBB26_10:
	s_or_b32 exec_lo, exec_lo, s40
	v_mov_b32_e32 v2, 0
	s_barrier_signal -1
	s_barrier_wait -1
	ds_load_b32 v3, v2 offset:864
	s_and_saveexec_b32 s3, s2
	s_cbranch_execz .LBB26_12
; %bb.11:
	s_lshl_b64 s[40:41], s[18:19], 2
	s_delay_alu instid0(SALU_CYCLE_1)
	s_add_nc_u64 s[40:41], s[6:7], s[40:41]
	s_wait_dscnt 0x0
	global_store_b32 v2, v3, s[40:41]
.LBB26_12:
	s_wait_xcnt 0x0
	s_or_b32 exec_lo, exec_lo, s3
	s_wait_dscnt 0x0
	v_cmp_ne_u32_e32 vcc_lo, 0, v3
	s_mov_b32 s3, 0
	s_cbranch_vccnz .LBB26_120
; %bb.13:
	v_lshl_add_u32 v19, v1, 4, 0
                                        ; implicit-def: $vgpr6_vgpr7
                                        ; implicit-def: $vgpr10_vgpr11
	scratch_load_b128 v[2:5], v19, off
	s_wait_loadcnt 0x0
	v_cmp_ngt_f64_e64 s3, |v[2:3]|, |v[4:5]|
	s_wait_xcnt 0x0
	s_and_saveexec_b32 s40, s3
	s_delay_alu instid0(SALU_CYCLE_1)
	s_xor_b32 s3, exec_lo, s40
	s_cbranch_execz .LBB26_15
; %bb.14:
	v_div_scale_f64 v[6:7], null, v[4:5], v[4:5], v[2:3]
	v_div_scale_f64 v[12:13], vcc_lo, v[2:3], v[4:5], v[2:3]
	s_delay_alu instid0(VALU_DEP_2) | instskip(SKIP_1) | instid1(TRANS32_DEP_1)
	v_rcp_f64_e32 v[8:9], v[6:7]
	v_nop
	v_fma_f64 v[10:11], -v[6:7], v[8:9], 1.0
	s_delay_alu instid0(VALU_DEP_1) | instskip(NEXT) | instid1(VALU_DEP_1)
	v_fmac_f64_e32 v[8:9], v[8:9], v[10:11]
	v_fma_f64 v[10:11], -v[6:7], v[8:9], 1.0
	s_delay_alu instid0(VALU_DEP_1) | instskip(NEXT) | instid1(VALU_DEP_1)
	v_fmac_f64_e32 v[8:9], v[8:9], v[10:11]
	v_mul_f64_e32 v[10:11], v[12:13], v[8:9]
	s_delay_alu instid0(VALU_DEP_1) | instskip(NEXT) | instid1(VALU_DEP_1)
	v_fma_f64 v[6:7], -v[6:7], v[10:11], v[12:13]
	v_div_fmas_f64 v[6:7], v[6:7], v[8:9], v[10:11]
	s_delay_alu instid0(VALU_DEP_1) | instskip(NEXT) | instid1(VALU_DEP_1)
	v_div_fixup_f64 v[6:7], v[6:7], v[4:5], v[2:3]
	v_fmac_f64_e32 v[4:5], v[2:3], v[6:7]
	s_delay_alu instid0(VALU_DEP_1) | instskip(SKIP_1) | instid1(VALU_DEP_2)
	v_div_scale_f64 v[2:3], null, v[4:5], v[4:5], 1.0
	v_div_scale_f64 v[12:13], vcc_lo, 1.0, v[4:5], 1.0
	v_rcp_f64_e32 v[8:9], v[2:3]
	v_nop
	s_delay_alu instid0(TRANS32_DEP_1) | instskip(NEXT) | instid1(VALU_DEP_1)
	v_fma_f64 v[10:11], -v[2:3], v[8:9], 1.0
	v_fmac_f64_e32 v[8:9], v[8:9], v[10:11]
	s_delay_alu instid0(VALU_DEP_1) | instskip(NEXT) | instid1(VALU_DEP_1)
	v_fma_f64 v[10:11], -v[2:3], v[8:9], 1.0
	v_fmac_f64_e32 v[8:9], v[8:9], v[10:11]
	s_delay_alu instid0(VALU_DEP_1) | instskip(NEXT) | instid1(VALU_DEP_1)
	v_mul_f64_e32 v[10:11], v[12:13], v[8:9]
	v_fma_f64 v[2:3], -v[2:3], v[10:11], v[12:13]
	s_delay_alu instid0(VALU_DEP_1) | instskip(NEXT) | instid1(VALU_DEP_1)
	v_div_fmas_f64 v[2:3], v[2:3], v[8:9], v[10:11]
	v_div_fixup_f64 v[8:9], v[2:3], v[4:5], 1.0
                                        ; implicit-def: $vgpr2_vgpr3
	s_delay_alu instid0(VALU_DEP_1) | instskip(SKIP_1) | instid1(VALU_DEP_2)
	v_mul_f64_e32 v[6:7], v[6:7], v[8:9]
	v_xor_b32_e32 v9, 0x80000000, v9
	v_xor_b32_e32 v11, 0x80000000, v7
	s_delay_alu instid0(VALU_DEP_3)
	v_mov_b32_e32 v10, v6
.LBB26_15:
	s_and_not1_saveexec_b32 s3, s3
	s_cbranch_execz .LBB26_17
; %bb.16:
	v_div_scale_f64 v[6:7], null, v[2:3], v[2:3], v[4:5]
	v_div_scale_f64 v[12:13], vcc_lo, v[4:5], v[2:3], v[4:5]
	s_delay_alu instid0(VALU_DEP_2) | instskip(SKIP_1) | instid1(TRANS32_DEP_1)
	v_rcp_f64_e32 v[8:9], v[6:7]
	v_nop
	v_fma_f64 v[10:11], -v[6:7], v[8:9], 1.0
	s_delay_alu instid0(VALU_DEP_1) | instskip(NEXT) | instid1(VALU_DEP_1)
	v_fmac_f64_e32 v[8:9], v[8:9], v[10:11]
	v_fma_f64 v[10:11], -v[6:7], v[8:9], 1.0
	s_delay_alu instid0(VALU_DEP_1) | instskip(NEXT) | instid1(VALU_DEP_1)
	v_fmac_f64_e32 v[8:9], v[8:9], v[10:11]
	v_mul_f64_e32 v[10:11], v[12:13], v[8:9]
	s_delay_alu instid0(VALU_DEP_1) | instskip(NEXT) | instid1(VALU_DEP_1)
	v_fma_f64 v[6:7], -v[6:7], v[10:11], v[12:13]
	v_div_fmas_f64 v[6:7], v[6:7], v[8:9], v[10:11]
	s_delay_alu instid0(VALU_DEP_1) | instskip(NEXT) | instid1(VALU_DEP_1)
	v_div_fixup_f64 v[8:9], v[6:7], v[2:3], v[4:5]
	v_fmac_f64_e32 v[2:3], v[4:5], v[8:9]
	s_delay_alu instid0(VALU_DEP_1) | instskip(NEXT) | instid1(VALU_DEP_1)
	v_div_scale_f64 v[4:5], null, v[2:3], v[2:3], 1.0
	v_rcp_f64_e32 v[6:7], v[4:5]
	v_nop
	s_delay_alu instid0(TRANS32_DEP_1) | instskip(NEXT) | instid1(VALU_DEP_1)
	v_fma_f64 v[10:11], -v[4:5], v[6:7], 1.0
	v_fmac_f64_e32 v[6:7], v[6:7], v[10:11]
	s_delay_alu instid0(VALU_DEP_1) | instskip(NEXT) | instid1(VALU_DEP_1)
	v_fma_f64 v[10:11], -v[4:5], v[6:7], 1.0
	v_fmac_f64_e32 v[6:7], v[6:7], v[10:11]
	v_div_scale_f64 v[10:11], vcc_lo, 1.0, v[2:3], 1.0
	s_delay_alu instid0(VALU_DEP_1) | instskip(NEXT) | instid1(VALU_DEP_1)
	v_mul_f64_e32 v[12:13], v[10:11], v[6:7]
	v_fma_f64 v[4:5], -v[4:5], v[12:13], v[10:11]
	s_delay_alu instid0(VALU_DEP_1) | instskip(NEXT) | instid1(VALU_DEP_1)
	v_div_fmas_f64 v[4:5], v[4:5], v[6:7], v[12:13]
	v_div_fixup_f64 v[6:7], v[4:5], v[2:3], 1.0
	s_delay_alu instid0(VALU_DEP_1)
	v_mul_f64_e64 v[8:9], v[8:9], -v[6:7]
	v_xor_b32_e32 v11, 0x80000000, v7
	v_mov_b32_e32 v10, v6
.LBB26_17:
	s_or_b32 exec_lo, exec_lo, s3
	s_clause 0x1
	scratch_store_b128 v19, v[6:9], off
	scratch_load_b128 v[2:5], off, s14
	v_xor_b32_e32 v13, 0x80000000, v9
	v_mov_b32_e32 v12, v8
	s_wait_xcnt 0x1
	v_add_nc_u32_e32 v6, 0x1b0, v68
	ds_store_b128 v68, v[10:13]
	s_wait_loadcnt 0x0
	ds_store_b128 v68, v[2:5] offset:432
	s_wait_storecnt_dscnt 0x0
	s_barrier_signal -1
	s_barrier_wait -1
	s_wait_xcnt 0x0
	s_and_saveexec_b32 s3, s2
	s_cbranch_execz .LBB26_19
; %bb.18:
	scratch_load_b128 v[2:5], v19, off
	ds_load_b128 v[8:11], v6
	v_mov_b32_e32 v7, 0
	ds_load_b128 v[70:73], v7 offset:16
	s_wait_loadcnt_dscnt 0x1
	v_mul_f64_e32 v[12:13], v[8:9], v[4:5]
	v_mul_f64_e32 v[4:5], v[10:11], v[4:5]
	s_delay_alu instid0(VALU_DEP_2) | instskip(NEXT) | instid1(VALU_DEP_2)
	v_fmac_f64_e32 v[12:13], v[10:11], v[2:3]
	v_fma_f64 v[2:3], v[8:9], v[2:3], -v[4:5]
	s_delay_alu instid0(VALU_DEP_2) | instskip(NEXT) | instid1(VALU_DEP_2)
	v_add_f64_e32 v[8:9], 0, v[12:13]
	v_add_f64_e32 v[2:3], 0, v[2:3]
	s_wait_dscnt 0x0
	s_delay_alu instid0(VALU_DEP_2) | instskip(NEXT) | instid1(VALU_DEP_2)
	v_mul_f64_e32 v[10:11], v[8:9], v[72:73]
	v_mul_f64_e32 v[4:5], v[2:3], v[72:73]
	s_delay_alu instid0(VALU_DEP_2) | instskip(NEXT) | instid1(VALU_DEP_2)
	v_fma_f64 v[2:3], v[2:3], v[70:71], -v[10:11]
	v_fmac_f64_e32 v[4:5], v[8:9], v[70:71]
	scratch_store_b128 off, v[2:5], off offset:16
.LBB26_19:
	s_wait_xcnt 0x0
	s_or_b32 exec_lo, exec_lo, s3
	s_wait_storecnt 0x0
	s_barrier_signal -1
	s_barrier_wait -1
	scratch_load_b128 v[2:5], off, s8
	s_mov_b32 s3, exec_lo
	s_wait_loadcnt 0x0
	ds_store_b128 v6, v[2:5]
	s_wait_dscnt 0x0
	s_barrier_signal -1
	s_barrier_wait -1
	v_cmpx_gt_u32_e32 2, v1
	s_cbranch_execz .LBB26_23
; %bb.20:
	scratch_load_b128 v[2:5], v19, off
	ds_load_b128 v[8:11], v6
	s_wait_loadcnt_dscnt 0x0
	v_mul_f64_e32 v[12:13], v[10:11], v[4:5]
	v_mul_f64_e32 v[70:71], v[8:9], v[4:5]
	s_delay_alu instid0(VALU_DEP_2) | instskip(NEXT) | instid1(VALU_DEP_2)
	v_fma_f64 v[4:5], v[8:9], v[2:3], -v[12:13]
	v_fmac_f64_e32 v[70:71], v[10:11], v[2:3]
	s_delay_alu instid0(VALU_DEP_2) | instskip(NEXT) | instid1(VALU_DEP_2)
	v_add_f64_e32 v[4:5], 0, v[4:5]
	v_add_f64_e32 v[2:3], 0, v[70:71]
	s_and_saveexec_b32 s40, s2
	s_cbranch_execz .LBB26_22
; %bb.21:
	scratch_load_b128 v[8:11], off, off offset:16
	v_mov_b32_e32 v7, 0
	ds_load_b128 v[70:73], v7 offset:448
	s_wait_loadcnt_dscnt 0x0
	v_mul_f64_e32 v[12:13], v[70:71], v[10:11]
	v_mul_f64_e32 v[10:11], v[72:73], v[10:11]
	s_delay_alu instid0(VALU_DEP_2) | instskip(NEXT) | instid1(VALU_DEP_2)
	v_fmac_f64_e32 v[12:13], v[72:73], v[8:9]
	v_fma_f64 v[8:9], v[70:71], v[8:9], -v[10:11]
	s_delay_alu instid0(VALU_DEP_2) | instskip(NEXT) | instid1(VALU_DEP_2)
	v_add_f64_e32 v[2:3], v[2:3], v[12:13]
	v_add_f64_e32 v[4:5], v[4:5], v[8:9]
.LBB26_22:
	s_or_b32 exec_lo, exec_lo, s40
	v_mov_b32_e32 v7, 0
	ds_load_b128 v[8:11], v7 offset:32
	s_wait_dscnt 0x0
	v_mul_f64_e32 v[70:71], v[2:3], v[10:11]
	v_mul_f64_e32 v[12:13], v[4:5], v[10:11]
	s_delay_alu instid0(VALU_DEP_2) | instskip(NEXT) | instid1(VALU_DEP_2)
	v_fma_f64 v[10:11], v[4:5], v[8:9], -v[70:71]
	v_fmac_f64_e32 v[12:13], v[2:3], v[8:9]
	scratch_store_b128 off, v[10:13], off offset:32
.LBB26_23:
	s_wait_xcnt 0x0
	s_or_b32 exec_lo, exec_lo, s3
	s_wait_storecnt 0x0
	s_barrier_signal -1
	s_barrier_wait -1
	scratch_load_b128 v[2:5], off, s10
	v_add_nc_u32_e32 v7, -1, v1
	s_mov_b32 s2, exec_lo
	s_wait_loadcnt 0x0
	ds_store_b128 v6, v[2:5]
	s_wait_dscnt 0x0
	s_barrier_signal -1
	s_barrier_wait -1
	v_cmpx_gt_u32_e32 3, v1
	s_cbranch_execz .LBB26_27
; %bb.24:
	v_dual_mov_b32 v10, v68 :: v_dual_add_nc_u32 v8, -1, v1
	v_mov_b64_e32 v[2:3], 0
	v_mov_b64_e32 v[4:5], 0
	v_add_nc_u32_e32 v9, 0x1b0, v68
	s_delay_alu instid0(VALU_DEP_4)
	v_or_b32_e32 v10, 8, v10
	s_mov_b32 s3, 0
.LBB26_25:                              ; =>This Inner Loop Header: Depth=1
	scratch_load_b128 v[70:73], v10, off offset:-8
	ds_load_b128 v[74:77], v9
	s_wait_xcnt 0x0
	v_dual_add_nc_u32 v9, 16, v9 :: v_dual_add_nc_u32 v10, 16, v10
	v_add_nc_u32_e32 v8, 1, v8
	s_delay_alu instid0(VALU_DEP_1) | instskip(SKIP_4) | instid1(VALU_DEP_2)
	v_cmp_lt_u32_e32 vcc_lo, 1, v8
	s_or_b32 s3, vcc_lo, s3
	s_wait_loadcnt_dscnt 0x0
	v_mul_f64_e32 v[12:13], v[76:77], v[72:73]
	v_mul_f64_e32 v[72:73], v[74:75], v[72:73]
	v_fma_f64 v[12:13], v[74:75], v[70:71], -v[12:13]
	s_delay_alu instid0(VALU_DEP_2) | instskip(NEXT) | instid1(VALU_DEP_2)
	v_fmac_f64_e32 v[72:73], v[76:77], v[70:71]
	v_add_f64_e32 v[4:5], v[4:5], v[12:13]
	s_delay_alu instid0(VALU_DEP_2)
	v_add_f64_e32 v[2:3], v[2:3], v[72:73]
	s_and_not1_b32 exec_lo, exec_lo, s3
	s_cbranch_execnz .LBB26_25
; %bb.26:
	s_or_b32 exec_lo, exec_lo, s3
	v_mov_b32_e32 v8, 0
	ds_load_b128 v[8:11], v8 offset:48
	s_wait_dscnt 0x0
	v_mul_f64_e32 v[70:71], v[2:3], v[10:11]
	v_mul_f64_e32 v[12:13], v[4:5], v[10:11]
	s_delay_alu instid0(VALU_DEP_2) | instskip(NEXT) | instid1(VALU_DEP_2)
	v_fma_f64 v[10:11], v[4:5], v[8:9], -v[70:71]
	v_fmac_f64_e32 v[12:13], v[2:3], v[8:9]
	scratch_store_b128 off, v[10:13], off offset:48
.LBB26_27:
	s_wait_xcnt 0x0
	s_or_b32 exec_lo, exec_lo, s2
	s_wait_storecnt 0x0
	s_barrier_signal -1
	s_barrier_wait -1
	scratch_load_b128 v[2:5], off, s11
	s_mov_b32 s2, exec_lo
	s_wait_loadcnt 0x0
	ds_store_b128 v6, v[2:5]
	s_wait_dscnt 0x0
	s_barrier_signal -1
	s_barrier_wait -1
	v_cmpx_gt_u32_e32 4, v1
	s_cbranch_execz .LBB26_31
; %bb.28:
	v_dual_mov_b32 v10, v68 :: v_dual_add_nc_u32 v8, -1, v1
	v_mov_b64_e32 v[2:3], 0
	v_mov_b64_e32 v[4:5], 0
	v_add_nc_u32_e32 v9, 0x1b0, v68
	s_delay_alu instid0(VALU_DEP_4)
	v_or_b32_e32 v10, 8, v10
	s_mov_b32 s3, 0
.LBB26_29:                              ; =>This Inner Loop Header: Depth=1
	scratch_load_b128 v[70:73], v10, off offset:-8
	ds_load_b128 v[74:77], v9
	s_wait_xcnt 0x0
	v_dual_add_nc_u32 v9, 16, v9 :: v_dual_add_nc_u32 v10, 16, v10
	v_add_nc_u32_e32 v8, 1, v8
	s_delay_alu instid0(VALU_DEP_1) | instskip(SKIP_4) | instid1(VALU_DEP_2)
	v_cmp_lt_u32_e32 vcc_lo, 2, v8
	s_or_b32 s3, vcc_lo, s3
	s_wait_loadcnt_dscnt 0x0
	v_mul_f64_e32 v[12:13], v[76:77], v[72:73]
	v_mul_f64_e32 v[72:73], v[74:75], v[72:73]
	v_fma_f64 v[12:13], v[74:75], v[70:71], -v[12:13]
	s_delay_alu instid0(VALU_DEP_2) | instskip(NEXT) | instid1(VALU_DEP_2)
	v_fmac_f64_e32 v[72:73], v[76:77], v[70:71]
	v_add_f64_e32 v[4:5], v[4:5], v[12:13]
	s_delay_alu instid0(VALU_DEP_2)
	v_add_f64_e32 v[2:3], v[2:3], v[72:73]
	s_and_not1_b32 exec_lo, exec_lo, s3
	s_cbranch_execnz .LBB26_29
; %bb.30:
	s_or_b32 exec_lo, exec_lo, s3
	v_mov_b32_e32 v8, 0
	ds_load_b128 v[8:11], v8 offset:64
	s_wait_dscnt 0x0
	v_mul_f64_e32 v[70:71], v[2:3], v[10:11]
	v_mul_f64_e32 v[12:13], v[4:5], v[10:11]
	s_delay_alu instid0(VALU_DEP_2) | instskip(NEXT) | instid1(VALU_DEP_2)
	v_fma_f64 v[10:11], v[4:5], v[8:9], -v[70:71]
	v_fmac_f64_e32 v[12:13], v[2:3], v[8:9]
	scratch_store_b128 off, v[10:13], off offset:64
.LBB26_31:
	s_wait_xcnt 0x0
	s_or_b32 exec_lo, exec_lo, s2
	s_wait_storecnt 0x0
	s_barrier_signal -1
	s_barrier_wait -1
	scratch_load_b128 v[2:5], off, s28
	;; [unrolled: 54-line block ×19, first 2 shown]
	s_mov_b32 s2, exec_lo
	s_wait_loadcnt 0x0
	ds_store_b128 v6, v[2:5]
	s_wait_dscnt 0x0
	s_barrier_signal -1
	s_barrier_wait -1
	v_cmpx_gt_u32_e32 22, v1
	s_cbranch_execz .LBB26_103
; %bb.100:
	v_dual_mov_b32 v10, v68 :: v_dual_add_nc_u32 v8, -1, v1
	v_mov_b64_e32 v[2:3], 0
	v_mov_b64_e32 v[4:5], 0
	v_add_nc_u32_e32 v9, 0x1b0, v68
	s_delay_alu instid0(VALU_DEP_4)
	v_or_b32_e32 v10, 8, v10
	s_mov_b32 s3, 0
.LBB26_101:                             ; =>This Inner Loop Header: Depth=1
	scratch_load_b128 v[70:73], v10, off offset:-8
	ds_load_b128 v[74:77], v9
	s_wait_xcnt 0x0
	v_dual_add_nc_u32 v9, 16, v9 :: v_dual_add_nc_u32 v10, 16, v10
	v_add_nc_u32_e32 v8, 1, v8
	s_delay_alu instid0(VALU_DEP_1) | instskip(SKIP_4) | instid1(VALU_DEP_2)
	v_cmp_lt_u32_e32 vcc_lo, 20, v8
	s_or_b32 s3, vcc_lo, s3
	s_wait_loadcnt_dscnt 0x0
	v_mul_f64_e32 v[12:13], v[76:77], v[72:73]
	v_mul_f64_e32 v[72:73], v[74:75], v[72:73]
	v_fma_f64 v[12:13], v[74:75], v[70:71], -v[12:13]
	s_delay_alu instid0(VALU_DEP_2) | instskip(NEXT) | instid1(VALU_DEP_2)
	v_fmac_f64_e32 v[72:73], v[76:77], v[70:71]
	v_add_f64_e32 v[4:5], v[4:5], v[12:13]
	s_delay_alu instid0(VALU_DEP_2)
	v_add_f64_e32 v[2:3], v[2:3], v[72:73]
	s_and_not1_b32 exec_lo, exec_lo, s3
	s_cbranch_execnz .LBB26_101
; %bb.102:
	s_or_b32 exec_lo, exec_lo, s3
	v_mov_b32_e32 v8, 0
	ds_load_b128 v[8:11], v8 offset:352
	s_wait_dscnt 0x0
	v_mul_f64_e32 v[70:71], v[2:3], v[10:11]
	v_mul_f64_e32 v[12:13], v[4:5], v[10:11]
	s_delay_alu instid0(VALU_DEP_2) | instskip(NEXT) | instid1(VALU_DEP_2)
	v_fma_f64 v[10:11], v[4:5], v[8:9], -v[70:71]
	v_fmac_f64_e32 v[12:13], v[2:3], v[8:9]
	scratch_store_b128 off, v[10:13], off offset:352
.LBB26_103:
	s_wait_xcnt 0x0
	s_or_b32 exec_lo, exec_lo, s2
	s_wait_storecnt 0x0
	s_barrier_signal -1
	s_barrier_wait -1
	scratch_load_b128 v[2:5], off, s9
	s_mov_b32 s2, exec_lo
	s_wait_loadcnt 0x0
	ds_store_b128 v6, v[2:5]
	s_wait_dscnt 0x0
	s_barrier_signal -1
	s_barrier_wait -1
	v_cmpx_gt_u32_e32 23, v1
	s_cbranch_execz .LBB26_107
; %bb.104:
	v_dual_mov_b32 v10, v68 :: v_dual_add_nc_u32 v8, -1, v1
	v_mov_b64_e32 v[2:3], 0
	v_mov_b64_e32 v[4:5], 0
	v_add_nc_u32_e32 v9, 0x1b0, v68
	s_delay_alu instid0(VALU_DEP_4)
	v_or_b32_e32 v10, 8, v10
	s_mov_b32 s3, 0
.LBB26_105:                             ; =>This Inner Loop Header: Depth=1
	scratch_load_b128 v[70:73], v10, off offset:-8
	ds_load_b128 v[74:77], v9
	s_wait_xcnt 0x0
	v_dual_add_nc_u32 v9, 16, v9 :: v_dual_add_nc_u32 v10, 16, v10
	v_add_nc_u32_e32 v8, 1, v8
	s_delay_alu instid0(VALU_DEP_1) | instskip(SKIP_4) | instid1(VALU_DEP_2)
	v_cmp_lt_u32_e32 vcc_lo, 21, v8
	s_or_b32 s3, vcc_lo, s3
	s_wait_loadcnt_dscnt 0x0
	v_mul_f64_e32 v[12:13], v[76:77], v[72:73]
	v_mul_f64_e32 v[72:73], v[74:75], v[72:73]
	v_fma_f64 v[12:13], v[74:75], v[70:71], -v[12:13]
	s_delay_alu instid0(VALU_DEP_2) | instskip(NEXT) | instid1(VALU_DEP_2)
	v_fmac_f64_e32 v[72:73], v[76:77], v[70:71]
	v_add_f64_e32 v[4:5], v[4:5], v[12:13]
	s_delay_alu instid0(VALU_DEP_2)
	v_add_f64_e32 v[2:3], v[2:3], v[72:73]
	s_and_not1_b32 exec_lo, exec_lo, s3
	s_cbranch_execnz .LBB26_105
; %bb.106:
	s_or_b32 exec_lo, exec_lo, s3
	v_mov_b32_e32 v8, 0
	ds_load_b128 v[8:11], v8 offset:368
	s_wait_dscnt 0x0
	v_mul_f64_e32 v[70:71], v[2:3], v[10:11]
	v_mul_f64_e32 v[12:13], v[4:5], v[10:11]
	s_delay_alu instid0(VALU_DEP_2) | instskip(NEXT) | instid1(VALU_DEP_2)
	v_fma_f64 v[10:11], v[4:5], v[8:9], -v[70:71]
	v_fmac_f64_e32 v[12:13], v[2:3], v[8:9]
	scratch_store_b128 off, v[10:13], off offset:368
.LBB26_107:
	s_wait_xcnt 0x0
	s_or_b32 exec_lo, exec_lo, s2
	s_wait_storecnt 0x0
	s_barrier_signal -1
	s_barrier_wait -1
	scratch_load_b128 v[2:5], off, s23
	s_mov_b32 s2, exec_lo
	s_wait_loadcnt 0x0
	ds_store_b128 v6, v[2:5]
	s_wait_dscnt 0x0
	s_barrier_signal -1
	s_barrier_wait -1
	v_cmpx_gt_u32_e32 24, v1
	s_cbranch_execz .LBB26_111
; %bb.108:
	v_dual_mov_b32 v10, v68 :: v_dual_add_nc_u32 v8, -1, v1
	v_mov_b64_e32 v[2:3], 0
	v_mov_b64_e32 v[4:5], 0
	v_add_nc_u32_e32 v9, 0x1b0, v68
	s_delay_alu instid0(VALU_DEP_4)
	v_or_b32_e32 v10, 8, v10
	s_mov_b32 s3, 0
.LBB26_109:                             ; =>This Inner Loop Header: Depth=1
	scratch_load_b128 v[70:73], v10, off offset:-8
	ds_load_b128 v[74:77], v9
	s_wait_xcnt 0x0
	v_dual_add_nc_u32 v9, 16, v9 :: v_dual_add_nc_u32 v10, 16, v10
	v_add_nc_u32_e32 v8, 1, v8
	s_delay_alu instid0(VALU_DEP_1) | instskip(SKIP_4) | instid1(VALU_DEP_2)
	v_cmp_lt_u32_e32 vcc_lo, 22, v8
	s_or_b32 s3, vcc_lo, s3
	s_wait_loadcnt_dscnt 0x0
	v_mul_f64_e32 v[12:13], v[76:77], v[72:73]
	v_mul_f64_e32 v[72:73], v[74:75], v[72:73]
	v_fma_f64 v[12:13], v[74:75], v[70:71], -v[12:13]
	s_delay_alu instid0(VALU_DEP_2) | instskip(NEXT) | instid1(VALU_DEP_2)
	v_fmac_f64_e32 v[72:73], v[76:77], v[70:71]
	v_add_f64_e32 v[4:5], v[4:5], v[12:13]
	s_delay_alu instid0(VALU_DEP_2)
	v_add_f64_e32 v[2:3], v[2:3], v[72:73]
	s_and_not1_b32 exec_lo, exec_lo, s3
	s_cbranch_execnz .LBB26_109
; %bb.110:
	s_or_b32 exec_lo, exec_lo, s3
	v_mov_b32_e32 v8, 0
	ds_load_b128 v[8:11], v8 offset:384
	s_wait_dscnt 0x0
	v_mul_f64_e32 v[70:71], v[2:3], v[10:11]
	v_mul_f64_e32 v[12:13], v[4:5], v[10:11]
	s_delay_alu instid0(VALU_DEP_2) | instskip(NEXT) | instid1(VALU_DEP_2)
	v_fma_f64 v[10:11], v[4:5], v[8:9], -v[70:71]
	v_fmac_f64_e32 v[12:13], v[2:3], v[8:9]
	scratch_store_b128 off, v[10:13], off offset:384
.LBB26_111:
	s_wait_xcnt 0x0
	s_or_b32 exec_lo, exec_lo, s2
	s_wait_storecnt 0x0
	s_barrier_signal -1
	s_barrier_wait -1
	scratch_load_b128 v[2:5], off, s15
	s_mov_b32 s2, exec_lo
	s_wait_loadcnt 0x0
	ds_store_b128 v6, v[2:5]
	s_wait_dscnt 0x0
	s_barrier_signal -1
	s_barrier_wait -1
	v_cmpx_gt_u32_e32 25, v1
	s_cbranch_execz .LBB26_115
; %bb.112:
	v_dual_mov_b32 v10, v68 :: v_dual_add_nc_u32 v8, -1, v1
	v_mov_b64_e32 v[2:3], 0
	v_mov_b64_e32 v[4:5], 0
	v_add_nc_u32_e32 v9, 0x1b0, v68
	s_delay_alu instid0(VALU_DEP_4)
	v_or_b32_e32 v10, 8, v10
	s_mov_b32 s3, 0
.LBB26_113:                             ; =>This Inner Loop Header: Depth=1
	scratch_load_b128 v[70:73], v10, off offset:-8
	ds_load_b128 v[74:77], v9
	s_wait_xcnt 0x0
	v_dual_add_nc_u32 v9, 16, v9 :: v_dual_add_nc_u32 v10, 16, v10
	v_add_nc_u32_e32 v8, 1, v8
	s_delay_alu instid0(VALU_DEP_1) | instskip(SKIP_4) | instid1(VALU_DEP_2)
	v_cmp_lt_u32_e32 vcc_lo, 23, v8
	s_or_b32 s3, vcc_lo, s3
	s_wait_loadcnt_dscnt 0x0
	v_mul_f64_e32 v[12:13], v[76:77], v[72:73]
	v_mul_f64_e32 v[72:73], v[74:75], v[72:73]
	v_fma_f64 v[12:13], v[74:75], v[70:71], -v[12:13]
	s_delay_alu instid0(VALU_DEP_2) | instskip(NEXT) | instid1(VALU_DEP_2)
	v_fmac_f64_e32 v[72:73], v[76:77], v[70:71]
	v_add_f64_e32 v[4:5], v[4:5], v[12:13]
	s_delay_alu instid0(VALU_DEP_2)
	v_add_f64_e32 v[2:3], v[2:3], v[72:73]
	s_and_not1_b32 exec_lo, exec_lo, s3
	s_cbranch_execnz .LBB26_113
; %bb.114:
	s_or_b32 exec_lo, exec_lo, s3
	v_mov_b32_e32 v8, 0
	ds_load_b128 v[8:11], v8 offset:400
	s_wait_dscnt 0x0
	v_mul_f64_e32 v[70:71], v[2:3], v[10:11]
	v_mul_f64_e32 v[12:13], v[4:5], v[10:11]
	s_delay_alu instid0(VALU_DEP_2) | instskip(NEXT) | instid1(VALU_DEP_2)
	v_fma_f64 v[10:11], v[4:5], v[8:9], -v[70:71]
	v_fmac_f64_e32 v[12:13], v[2:3], v[8:9]
	scratch_store_b128 off, v[10:13], off offset:400
.LBB26_115:
	s_wait_xcnt 0x0
	s_or_b32 exec_lo, exec_lo, s2
	s_wait_storecnt 0x0
	s_barrier_signal -1
	s_barrier_wait -1
	scratch_load_b128 v[2:5], off, s20
	s_mov_b32 s2, exec_lo
	s_wait_loadcnt 0x0
	ds_store_b128 v6, v[2:5]
	s_wait_dscnt 0x0
	s_barrier_signal -1
	s_barrier_wait -1
	v_cmpx_ne_u32_e32 26, v1
	s_cbranch_execz .LBB26_119
; %bb.116:
	v_mov_b32_e32 v8, v68
	v_mov_b64_e32 v[2:3], 0
	v_mov_b64_e32 v[4:5], 0
	s_mov_b32 s3, 0
	s_delay_alu instid0(VALU_DEP_3)
	v_or_b32_e32 v8, 8, v8
.LBB26_117:                             ; =>This Inner Loop Header: Depth=1
	scratch_load_b128 v[10:13], v8, off offset:-8
	ds_load_b128 v[68:71], v6
	v_dual_add_nc_u32 v7, 1, v7 :: v_dual_add_nc_u32 v6, 16, v6
	s_wait_xcnt 0x0
	v_add_nc_u32_e32 v8, 16, v8
	s_delay_alu instid0(VALU_DEP_2) | instskip(SKIP_4) | instid1(VALU_DEP_2)
	v_cmp_lt_u32_e32 vcc_lo, 24, v7
	s_or_b32 s3, vcc_lo, s3
	s_wait_loadcnt_dscnt 0x0
	v_mul_f64_e32 v[72:73], v[70:71], v[12:13]
	v_mul_f64_e32 v[12:13], v[68:69], v[12:13]
	v_fma_f64 v[68:69], v[68:69], v[10:11], -v[72:73]
	s_delay_alu instid0(VALU_DEP_2) | instskip(NEXT) | instid1(VALU_DEP_2)
	v_fmac_f64_e32 v[12:13], v[70:71], v[10:11]
	v_add_f64_e32 v[4:5], v[4:5], v[68:69]
	s_delay_alu instid0(VALU_DEP_2)
	v_add_f64_e32 v[2:3], v[2:3], v[12:13]
	s_and_not1_b32 exec_lo, exec_lo, s3
	s_cbranch_execnz .LBB26_117
; %bb.118:
	s_or_b32 exec_lo, exec_lo, s3
	v_mov_b32_e32 v6, 0
	ds_load_b128 v[6:9], v6 offset:416
	s_wait_dscnt 0x0
	v_mul_f64_e32 v[12:13], v[2:3], v[8:9]
	v_mul_f64_e32 v[10:11], v[4:5], v[8:9]
	s_delay_alu instid0(VALU_DEP_2) | instskip(NEXT) | instid1(VALU_DEP_2)
	v_fma_f64 v[8:9], v[4:5], v[6:7], -v[12:13]
	v_fmac_f64_e32 v[10:11], v[2:3], v[6:7]
	scratch_store_b128 off, v[8:11], off offset:416
.LBB26_119:
	s_wait_xcnt 0x0
	s_or_b32 exec_lo, exec_lo, s2
	s_mov_b32 s3, -1
	s_wait_storecnt 0x0
	s_barrier_signal -1
	s_barrier_wait -1
.LBB26_120:
	s_and_b32 vcc_lo, exec_lo, s3
	s_cbranch_vccz .LBB26_122
; %bb.121:
	s_wait_xcnt 0x8
	v_mov_b32_e32 v2, 0
	s_lshl_b64 s[2:3], s[18:19], 2
	s_delay_alu instid0(SALU_CYCLE_1)
	s_add_nc_u64 s[2:3], s[6:7], s[2:3]
	global_load_b32 v2, v2, s[2:3]
	s_wait_loadcnt 0x0
	v_cmp_ne_u32_e32 vcc_lo, 0, v2
	s_cbranch_vccz .LBB26_123
.LBB26_122:
	s_sendmsg sendmsg(MSG_DEALLOC_VGPRS)
	s_endpgm
.LBB26_123:
	s_wait_xcnt 0x8
	v_lshl_add_u32 v6, v1, 4, 0x1b0
	s_wait_xcnt 0x0
	s_mov_b32 s2, exec_lo
	v_cmpx_eq_u32_e32 26, v1
	s_cbranch_execz .LBB26_125
; %bb.124:
	scratch_load_b128 v[2:5], off, s15
	v_mov_b32_e32 v8, 0
	s_delay_alu instid0(VALU_DEP_1)
	v_dual_mov_b32 v9, v8 :: v_dual_mov_b32 v10, v8
	v_mov_b32_e32 v11, v8
	scratch_store_b128 off, v[8:11], off offset:400
	s_wait_loadcnt 0x0
	ds_store_b128 v6, v[2:5]
.LBB26_125:
	s_wait_xcnt 0x0
	s_or_b32 exec_lo, exec_lo, s2
	s_wait_storecnt_dscnt 0x0
	s_barrier_signal -1
	s_barrier_wait -1
	s_clause 0x1
	scratch_load_b128 v[8:11], off, off offset:416
	scratch_load_b128 v[68:71], off, off offset:400
	v_mov_b32_e32 v2, 0
	s_mov_b32 s2, exec_lo
	ds_load_b128 v[72:75], v2 offset:848
	s_wait_loadcnt_dscnt 0x100
	v_mul_f64_e32 v[4:5], v[74:75], v[10:11]
	v_mul_f64_e32 v[10:11], v[72:73], v[10:11]
	s_delay_alu instid0(VALU_DEP_2) | instskip(NEXT) | instid1(VALU_DEP_2)
	v_fma_f64 v[4:5], v[72:73], v[8:9], -v[4:5]
	v_fmac_f64_e32 v[10:11], v[74:75], v[8:9]
	s_delay_alu instid0(VALU_DEP_2) | instskip(NEXT) | instid1(VALU_DEP_2)
	v_add_f64_e32 v[4:5], 0, v[4:5]
	v_add_f64_e32 v[10:11], 0, v[10:11]
	s_wait_loadcnt 0x0
	s_delay_alu instid0(VALU_DEP_2) | instskip(NEXT) | instid1(VALU_DEP_2)
	v_add_f64_e64 v[8:9], v[68:69], -v[4:5]
	v_add_f64_e64 v[10:11], v[70:71], -v[10:11]
	scratch_store_b128 off, v[8:11], off offset:400
	s_wait_xcnt 0x0
	v_cmpx_lt_u32_e32 24, v1
	s_cbranch_execz .LBB26_127
; %bb.126:
	scratch_load_b128 v[8:11], off, s23
	v_dual_mov_b32 v3, v2 :: v_dual_mov_b32 v4, v2
	v_mov_b32_e32 v5, v2
	scratch_store_b128 off, v[2:5], off offset:384
	s_wait_loadcnt 0x0
	ds_store_b128 v6, v[8:11]
.LBB26_127:
	s_wait_xcnt 0x0
	s_or_b32 exec_lo, exec_lo, s2
	s_wait_storecnt_dscnt 0x0
	s_barrier_signal -1
	s_barrier_wait -1
	s_clause 0x2
	scratch_load_b128 v[8:11], off, off offset:400
	scratch_load_b128 v[68:71], off, off offset:416
	;; [unrolled: 1-line block ×3, first 2 shown]
	ds_load_b128 v[76:79], v2 offset:832
	ds_load_b128 v[2:5], v2 offset:848
	s_mov_b32 s2, exec_lo
	s_wait_loadcnt_dscnt 0x201
	v_mul_f64_e32 v[12:13], v[78:79], v[10:11]
	v_mul_f64_e32 v[10:11], v[76:77], v[10:11]
	s_wait_loadcnt_dscnt 0x100
	v_mul_f64_e32 v[80:81], v[2:3], v[70:71]
	v_mul_f64_e32 v[70:71], v[4:5], v[70:71]
	s_delay_alu instid0(VALU_DEP_4) | instskip(NEXT) | instid1(VALU_DEP_4)
	v_fma_f64 v[12:13], v[76:77], v[8:9], -v[12:13]
	v_fmac_f64_e32 v[10:11], v[78:79], v[8:9]
	s_delay_alu instid0(VALU_DEP_4) | instskip(NEXT) | instid1(VALU_DEP_4)
	v_fmac_f64_e32 v[80:81], v[4:5], v[68:69]
	v_fma_f64 v[2:3], v[2:3], v[68:69], -v[70:71]
	s_delay_alu instid0(VALU_DEP_4) | instskip(NEXT) | instid1(VALU_DEP_4)
	v_add_f64_e32 v[4:5], 0, v[12:13]
	v_add_f64_e32 v[8:9], 0, v[10:11]
	s_delay_alu instid0(VALU_DEP_2) | instskip(NEXT) | instid1(VALU_DEP_2)
	v_add_f64_e32 v[2:3], v[4:5], v[2:3]
	v_add_f64_e32 v[4:5], v[8:9], v[80:81]
	s_wait_loadcnt 0x0
	s_delay_alu instid0(VALU_DEP_2) | instskip(NEXT) | instid1(VALU_DEP_2)
	v_add_f64_e64 v[2:3], v[72:73], -v[2:3]
	v_add_f64_e64 v[4:5], v[74:75], -v[4:5]
	scratch_store_b128 off, v[2:5], off offset:384
	s_wait_xcnt 0x0
	v_cmpx_lt_u32_e32 23, v1
	s_cbranch_execz .LBB26_129
; %bb.128:
	scratch_load_b128 v[2:5], off, s9
	v_mov_b32_e32 v8, 0
	s_delay_alu instid0(VALU_DEP_1)
	v_dual_mov_b32 v9, v8 :: v_dual_mov_b32 v10, v8
	v_mov_b32_e32 v11, v8
	scratch_store_b128 off, v[8:11], off offset:368
	s_wait_loadcnt 0x0
	ds_store_b128 v6, v[2:5]
.LBB26_129:
	s_wait_xcnt 0x0
	s_or_b32 exec_lo, exec_lo, s2
	s_wait_storecnt_dscnt 0x0
	s_barrier_signal -1
	s_barrier_wait -1
	s_clause 0x3
	scratch_load_b128 v[8:11], off, off offset:384
	scratch_load_b128 v[68:71], off, off offset:400
	;; [unrolled: 1-line block ×4, first 2 shown]
	v_mov_b32_e32 v2, 0
	ds_load_b128 v[80:83], v2 offset:816
	ds_load_b128 v[84:87], v2 offset:832
	s_mov_b32 s2, exec_lo
	s_wait_loadcnt_dscnt 0x301
	v_mul_f64_e32 v[4:5], v[82:83], v[10:11]
	v_mul_f64_e32 v[12:13], v[80:81], v[10:11]
	s_wait_loadcnt_dscnt 0x200
	v_mul_f64_e32 v[88:89], v[84:85], v[70:71]
	v_mul_f64_e32 v[70:71], v[86:87], v[70:71]
	s_delay_alu instid0(VALU_DEP_4) | instskip(NEXT) | instid1(VALU_DEP_4)
	v_fma_f64 v[4:5], v[80:81], v[8:9], -v[4:5]
	v_fmac_f64_e32 v[12:13], v[82:83], v[8:9]
	ds_load_b128 v[8:11], v2 offset:848
	v_fmac_f64_e32 v[88:89], v[86:87], v[68:69]
	v_fma_f64 v[68:69], v[84:85], v[68:69], -v[70:71]
	s_wait_loadcnt_dscnt 0x100
	v_mul_f64_e32 v[80:81], v[8:9], v[74:75]
	v_mul_f64_e32 v[74:75], v[10:11], v[74:75]
	v_add_f64_e32 v[4:5], 0, v[4:5]
	v_add_f64_e32 v[12:13], 0, v[12:13]
	s_delay_alu instid0(VALU_DEP_4) | instskip(NEXT) | instid1(VALU_DEP_4)
	v_fmac_f64_e32 v[80:81], v[10:11], v[72:73]
	v_fma_f64 v[8:9], v[8:9], v[72:73], -v[74:75]
	s_delay_alu instid0(VALU_DEP_4) | instskip(NEXT) | instid1(VALU_DEP_4)
	v_add_f64_e32 v[4:5], v[4:5], v[68:69]
	v_add_f64_e32 v[10:11], v[12:13], v[88:89]
	s_delay_alu instid0(VALU_DEP_2) | instskip(NEXT) | instid1(VALU_DEP_2)
	v_add_f64_e32 v[4:5], v[4:5], v[8:9]
	v_add_f64_e32 v[10:11], v[10:11], v[80:81]
	s_wait_loadcnt 0x0
	s_delay_alu instid0(VALU_DEP_2) | instskip(NEXT) | instid1(VALU_DEP_2)
	v_add_f64_e64 v[8:9], v[76:77], -v[4:5]
	v_add_f64_e64 v[10:11], v[78:79], -v[10:11]
	scratch_store_b128 off, v[8:11], off offset:368
	s_wait_xcnt 0x0
	v_cmpx_lt_u32_e32 22, v1
	s_cbranch_execz .LBB26_131
; %bb.130:
	scratch_load_b128 v[8:11], off, s13
	v_dual_mov_b32 v3, v2 :: v_dual_mov_b32 v4, v2
	v_mov_b32_e32 v5, v2
	scratch_store_b128 off, v[2:5], off offset:352
	s_wait_loadcnt 0x0
	ds_store_b128 v6, v[8:11]
.LBB26_131:
	s_wait_xcnt 0x0
	s_or_b32 exec_lo, exec_lo, s2
	s_wait_storecnt_dscnt 0x0
	s_barrier_signal -1
	s_barrier_wait -1
	s_clause 0x4
	scratch_load_b128 v[8:11], off, off offset:368
	scratch_load_b128 v[68:71], off, off offset:384
	;; [unrolled: 1-line block ×5, first 2 shown]
	ds_load_b128 v[84:87], v2 offset:800
	ds_load_b128 v[88:91], v2 offset:816
	s_mov_b32 s2, exec_lo
	s_wait_loadcnt_dscnt 0x401
	v_mul_f64_e32 v[4:5], v[86:87], v[10:11]
	v_mul_f64_e32 v[12:13], v[84:85], v[10:11]
	s_wait_loadcnt_dscnt 0x300
	v_mul_f64_e32 v[92:93], v[88:89], v[70:71]
	v_mul_f64_e32 v[70:71], v[90:91], v[70:71]
	s_delay_alu instid0(VALU_DEP_4) | instskip(NEXT) | instid1(VALU_DEP_4)
	v_fma_f64 v[84:85], v[84:85], v[8:9], -v[4:5]
	v_fmac_f64_e32 v[12:13], v[86:87], v[8:9]
	ds_load_b128 v[8:11], v2 offset:832
	ds_load_b128 v[2:5], v2 offset:848
	v_fmac_f64_e32 v[92:93], v[90:91], v[68:69]
	v_fma_f64 v[68:69], v[88:89], v[68:69], -v[70:71]
	s_wait_loadcnt_dscnt 0x201
	v_mul_f64_e32 v[86:87], v[8:9], v[74:75]
	v_mul_f64_e32 v[74:75], v[10:11], v[74:75]
	v_add_f64_e32 v[70:71], 0, v[84:85]
	v_add_f64_e32 v[12:13], 0, v[12:13]
	s_wait_loadcnt_dscnt 0x100
	v_mul_f64_e32 v[84:85], v[2:3], v[78:79]
	v_mul_f64_e32 v[78:79], v[4:5], v[78:79]
	v_fmac_f64_e32 v[86:87], v[10:11], v[72:73]
	v_fma_f64 v[8:9], v[8:9], v[72:73], -v[74:75]
	v_add_f64_e32 v[10:11], v[70:71], v[68:69]
	v_add_f64_e32 v[12:13], v[12:13], v[92:93]
	v_fmac_f64_e32 v[84:85], v[4:5], v[76:77]
	v_fma_f64 v[2:3], v[2:3], v[76:77], -v[78:79]
	s_delay_alu instid0(VALU_DEP_4) | instskip(NEXT) | instid1(VALU_DEP_4)
	v_add_f64_e32 v[4:5], v[10:11], v[8:9]
	v_add_f64_e32 v[8:9], v[12:13], v[86:87]
	s_delay_alu instid0(VALU_DEP_2) | instskip(NEXT) | instid1(VALU_DEP_2)
	v_add_f64_e32 v[2:3], v[4:5], v[2:3]
	v_add_f64_e32 v[4:5], v[8:9], v[84:85]
	s_wait_loadcnt 0x0
	s_delay_alu instid0(VALU_DEP_2) | instskip(NEXT) | instid1(VALU_DEP_2)
	v_add_f64_e64 v[2:3], v[80:81], -v[2:3]
	v_add_f64_e64 v[4:5], v[82:83], -v[4:5]
	scratch_store_b128 off, v[2:5], off offset:352
	s_wait_xcnt 0x0
	v_cmpx_lt_u32_e32 21, v1
	s_cbranch_execz .LBB26_133
; %bb.132:
	scratch_load_b128 v[2:5], off, s12
	v_mov_b32_e32 v8, 0
	s_delay_alu instid0(VALU_DEP_1)
	v_dual_mov_b32 v9, v8 :: v_dual_mov_b32 v10, v8
	v_mov_b32_e32 v11, v8
	scratch_store_b128 off, v[8:11], off offset:336
	s_wait_loadcnt 0x0
	ds_store_b128 v6, v[2:5]
.LBB26_133:
	s_wait_xcnt 0x0
	s_or_b32 exec_lo, exec_lo, s2
	s_wait_storecnt_dscnt 0x0
	s_barrier_signal -1
	s_barrier_wait -1
	s_clause 0x5
	scratch_load_b128 v[8:11], off, off offset:352
	scratch_load_b128 v[68:71], off, off offset:368
	;; [unrolled: 1-line block ×6, first 2 shown]
	v_mov_b32_e32 v2, 0
	ds_load_b128 v[88:91], v2 offset:784
	ds_load_b128 v[92:95], v2 offset:800
	s_mov_b32 s2, exec_lo
	s_wait_loadcnt_dscnt 0x501
	v_mul_f64_e32 v[4:5], v[90:91], v[10:11]
	v_mul_f64_e32 v[12:13], v[88:89], v[10:11]
	s_wait_loadcnt_dscnt 0x400
	v_mul_f64_e32 v[96:97], v[92:93], v[70:71]
	v_mul_f64_e32 v[70:71], v[94:95], v[70:71]
	s_delay_alu instid0(VALU_DEP_4) | instskip(NEXT) | instid1(VALU_DEP_4)
	v_fma_f64 v[4:5], v[88:89], v[8:9], -v[4:5]
	v_fmac_f64_e32 v[12:13], v[90:91], v[8:9]
	ds_load_b128 v[8:11], v2 offset:816
	ds_load_b128 v[88:91], v2 offset:832
	v_fmac_f64_e32 v[96:97], v[94:95], v[68:69]
	v_fma_f64 v[68:69], v[92:93], v[68:69], -v[70:71]
	s_wait_loadcnt_dscnt 0x301
	v_mul_f64_e32 v[98:99], v[8:9], v[74:75]
	v_mul_f64_e32 v[74:75], v[10:11], v[74:75]
	s_wait_loadcnt_dscnt 0x200
	v_mul_f64_e32 v[70:71], v[88:89], v[78:79]
	v_mul_f64_e32 v[78:79], v[90:91], v[78:79]
	v_add_f64_e32 v[4:5], 0, v[4:5]
	v_add_f64_e32 v[12:13], 0, v[12:13]
	v_fmac_f64_e32 v[98:99], v[10:11], v[72:73]
	v_fma_f64 v[72:73], v[8:9], v[72:73], -v[74:75]
	ds_load_b128 v[8:11], v2 offset:848
	v_fmac_f64_e32 v[70:71], v[90:91], v[76:77]
	v_fma_f64 v[76:77], v[88:89], v[76:77], -v[78:79]
	v_add_f64_e32 v[4:5], v[4:5], v[68:69]
	v_add_f64_e32 v[12:13], v[12:13], v[96:97]
	s_wait_loadcnt_dscnt 0x100
	v_mul_f64_e32 v[68:69], v[8:9], v[82:83]
	v_mul_f64_e32 v[74:75], v[10:11], v[82:83]
	s_delay_alu instid0(VALU_DEP_4) | instskip(NEXT) | instid1(VALU_DEP_4)
	v_add_f64_e32 v[4:5], v[4:5], v[72:73]
	v_add_f64_e32 v[12:13], v[12:13], v[98:99]
	s_delay_alu instid0(VALU_DEP_4) | instskip(NEXT) | instid1(VALU_DEP_4)
	v_fmac_f64_e32 v[68:69], v[10:11], v[80:81]
	v_fma_f64 v[8:9], v[8:9], v[80:81], -v[74:75]
	s_delay_alu instid0(VALU_DEP_4) | instskip(NEXT) | instid1(VALU_DEP_4)
	v_add_f64_e32 v[4:5], v[4:5], v[76:77]
	v_add_f64_e32 v[10:11], v[12:13], v[70:71]
	s_delay_alu instid0(VALU_DEP_2) | instskip(NEXT) | instid1(VALU_DEP_2)
	v_add_f64_e32 v[4:5], v[4:5], v[8:9]
	v_add_f64_e32 v[10:11], v[10:11], v[68:69]
	s_wait_loadcnt 0x0
	s_delay_alu instid0(VALU_DEP_2) | instskip(NEXT) | instid1(VALU_DEP_2)
	v_add_f64_e64 v[8:9], v[84:85], -v[4:5]
	v_add_f64_e64 v[10:11], v[86:87], -v[10:11]
	scratch_store_b128 off, v[8:11], off offset:336
	s_wait_xcnt 0x0
	v_cmpx_lt_u32_e32 20, v1
	s_cbranch_execz .LBB26_135
; %bb.134:
	scratch_load_b128 v[8:11], off, s22
	v_dual_mov_b32 v3, v2 :: v_dual_mov_b32 v4, v2
	v_mov_b32_e32 v5, v2
	scratch_store_b128 off, v[2:5], off offset:320
	s_wait_loadcnt 0x0
	ds_store_b128 v6, v[8:11]
.LBB26_135:
	s_wait_xcnt 0x0
	s_or_b32 exec_lo, exec_lo, s2
	s_wait_storecnt_dscnt 0x0
	s_barrier_signal -1
	s_barrier_wait -1
	s_clause 0x6
	scratch_load_b128 v[8:11], off, off offset:336
	scratch_load_b128 v[68:71], off, off offset:352
	;; [unrolled: 1-line block ×7, first 2 shown]
	ds_load_b128 v[92:95], v2 offset:768
	ds_load_b128 v[96:99], v2 offset:784
	s_mov_b32 s2, exec_lo
	s_wait_loadcnt_dscnt 0x601
	v_mul_f64_e32 v[4:5], v[94:95], v[10:11]
	v_mul_f64_e32 v[12:13], v[92:93], v[10:11]
	s_wait_loadcnt_dscnt 0x500
	v_mul_f64_e32 v[100:101], v[96:97], v[70:71]
	v_mul_f64_e32 v[70:71], v[98:99], v[70:71]
	s_delay_alu instid0(VALU_DEP_4) | instskip(NEXT) | instid1(VALU_DEP_4)
	v_fma_f64 v[4:5], v[92:93], v[8:9], -v[4:5]
	v_fmac_f64_e32 v[12:13], v[94:95], v[8:9]
	ds_load_b128 v[8:11], v2 offset:800
	ds_load_b128 v[92:95], v2 offset:816
	v_fmac_f64_e32 v[100:101], v[98:99], v[68:69]
	v_fma_f64 v[68:69], v[96:97], v[68:69], -v[70:71]
	s_wait_loadcnt_dscnt 0x401
	v_mul_f64_e32 v[102:103], v[8:9], v[74:75]
	v_mul_f64_e32 v[74:75], v[10:11], v[74:75]
	s_wait_loadcnt_dscnt 0x300
	v_mul_f64_e32 v[70:71], v[92:93], v[78:79]
	v_mul_f64_e32 v[78:79], v[94:95], v[78:79]
	v_add_f64_e32 v[4:5], 0, v[4:5]
	v_add_f64_e32 v[12:13], 0, v[12:13]
	v_fmac_f64_e32 v[102:103], v[10:11], v[72:73]
	v_fma_f64 v[72:73], v[8:9], v[72:73], -v[74:75]
	v_fmac_f64_e32 v[70:71], v[94:95], v[76:77]
	v_fma_f64 v[76:77], v[92:93], v[76:77], -v[78:79]
	v_add_f64_e32 v[68:69], v[4:5], v[68:69]
	v_add_f64_e32 v[12:13], v[12:13], v[100:101]
	ds_load_b128 v[8:11], v2 offset:832
	ds_load_b128 v[2:5], v2 offset:848
	s_wait_loadcnt_dscnt 0x201
	v_mul_f64_e32 v[74:75], v[8:9], v[82:83]
	v_mul_f64_e32 v[82:83], v[10:11], v[82:83]
	s_wait_loadcnt_dscnt 0x100
	v_mul_f64_e32 v[78:79], v[4:5], v[86:87]
	v_add_f64_e32 v[68:69], v[68:69], v[72:73]
	v_add_f64_e32 v[12:13], v[12:13], v[102:103]
	v_mul_f64_e32 v[72:73], v[2:3], v[86:87]
	v_fmac_f64_e32 v[74:75], v[10:11], v[80:81]
	v_fma_f64 v[8:9], v[8:9], v[80:81], -v[82:83]
	v_fma_f64 v[2:3], v[2:3], v[84:85], -v[78:79]
	v_add_f64_e32 v[10:11], v[68:69], v[76:77]
	v_add_f64_e32 v[12:13], v[12:13], v[70:71]
	v_fmac_f64_e32 v[72:73], v[4:5], v[84:85]
	s_delay_alu instid0(VALU_DEP_3) | instskip(NEXT) | instid1(VALU_DEP_3)
	v_add_f64_e32 v[4:5], v[10:11], v[8:9]
	v_add_f64_e32 v[8:9], v[12:13], v[74:75]
	s_delay_alu instid0(VALU_DEP_2) | instskip(NEXT) | instid1(VALU_DEP_2)
	v_add_f64_e32 v[2:3], v[4:5], v[2:3]
	v_add_f64_e32 v[4:5], v[8:9], v[72:73]
	s_wait_loadcnt 0x0
	s_delay_alu instid0(VALU_DEP_2) | instskip(NEXT) | instid1(VALU_DEP_2)
	v_add_f64_e64 v[2:3], v[88:89], -v[2:3]
	v_add_f64_e64 v[4:5], v[90:91], -v[4:5]
	scratch_store_b128 off, v[2:5], off offset:320
	s_wait_xcnt 0x0
	v_cmpx_lt_u32_e32 19, v1
	s_cbranch_execz .LBB26_137
; %bb.136:
	scratch_load_b128 v[2:5], off, s21
	v_mov_b32_e32 v8, 0
	s_delay_alu instid0(VALU_DEP_1)
	v_dual_mov_b32 v9, v8 :: v_dual_mov_b32 v10, v8
	v_mov_b32_e32 v11, v8
	scratch_store_b128 off, v[8:11], off offset:304
	s_wait_loadcnt 0x0
	ds_store_b128 v6, v[2:5]
.LBB26_137:
	s_wait_xcnt 0x0
	s_or_b32 exec_lo, exec_lo, s2
	s_wait_storecnt_dscnt 0x0
	s_barrier_signal -1
	s_barrier_wait -1
	s_clause 0x7
	scratch_load_b128 v[8:11], off, off offset:320
	scratch_load_b128 v[68:71], off, off offset:336
	;; [unrolled: 1-line block ×8, first 2 shown]
	v_mov_b32_e32 v2, 0
	ds_load_b128 v[96:99], v2 offset:752
	ds_load_b128 v[100:103], v2 offset:768
	s_mov_b32 s2, exec_lo
	s_wait_loadcnt_dscnt 0x701
	v_mul_f64_e32 v[4:5], v[98:99], v[10:11]
	v_mul_f64_e32 v[12:13], v[96:97], v[10:11]
	s_wait_loadcnt_dscnt 0x600
	v_mul_f64_e32 v[104:105], v[100:101], v[70:71]
	v_mul_f64_e32 v[70:71], v[102:103], v[70:71]
	s_delay_alu instid0(VALU_DEP_4) | instskip(NEXT) | instid1(VALU_DEP_4)
	v_fma_f64 v[4:5], v[96:97], v[8:9], -v[4:5]
	v_fmac_f64_e32 v[12:13], v[98:99], v[8:9]
	ds_load_b128 v[8:11], v2 offset:784
	ds_load_b128 v[96:99], v2 offset:800
	v_fmac_f64_e32 v[104:105], v[102:103], v[68:69]
	v_fma_f64 v[68:69], v[100:101], v[68:69], -v[70:71]
	s_wait_loadcnt_dscnt 0x501
	v_mul_f64_e32 v[106:107], v[8:9], v[74:75]
	v_mul_f64_e32 v[74:75], v[10:11], v[74:75]
	s_wait_loadcnt_dscnt 0x400
	v_mul_f64_e32 v[100:101], v[96:97], v[78:79]
	v_mul_f64_e32 v[78:79], v[98:99], v[78:79]
	v_add_f64_e32 v[4:5], 0, v[4:5]
	v_add_f64_e32 v[12:13], 0, v[12:13]
	v_fmac_f64_e32 v[106:107], v[10:11], v[72:73]
	v_fma_f64 v[72:73], v[8:9], v[72:73], -v[74:75]
	v_fmac_f64_e32 v[100:101], v[98:99], v[76:77]
	v_fma_f64 v[76:77], v[96:97], v[76:77], -v[78:79]
	v_add_f64_e32 v[4:5], v[4:5], v[68:69]
	v_add_f64_e32 v[12:13], v[12:13], v[104:105]
	ds_load_b128 v[8:11], v2 offset:816
	ds_load_b128 v[68:71], v2 offset:832
	s_wait_loadcnt_dscnt 0x301
	v_mul_f64_e32 v[74:75], v[8:9], v[82:83]
	v_mul_f64_e32 v[82:83], v[10:11], v[82:83]
	s_wait_loadcnt_dscnt 0x200
	v_mul_f64_e32 v[78:79], v[70:71], v[86:87]
	v_add_f64_e32 v[4:5], v[4:5], v[72:73]
	v_add_f64_e32 v[12:13], v[12:13], v[106:107]
	v_mul_f64_e32 v[72:73], v[68:69], v[86:87]
	v_fmac_f64_e32 v[74:75], v[10:11], v[80:81]
	v_fma_f64 v[80:81], v[8:9], v[80:81], -v[82:83]
	ds_load_b128 v[8:11], v2 offset:848
	v_fma_f64 v[68:69], v[68:69], v[84:85], -v[78:79]
	v_add_f64_e32 v[4:5], v[4:5], v[76:77]
	v_add_f64_e32 v[12:13], v[12:13], v[100:101]
	v_fmac_f64_e32 v[72:73], v[70:71], v[84:85]
	s_wait_loadcnt_dscnt 0x100
	v_mul_f64_e32 v[76:77], v[8:9], v[90:91]
	v_mul_f64_e32 v[82:83], v[10:11], v[90:91]
	v_add_f64_e32 v[4:5], v[4:5], v[80:81]
	v_add_f64_e32 v[12:13], v[12:13], v[74:75]
	s_delay_alu instid0(VALU_DEP_4) | instskip(NEXT) | instid1(VALU_DEP_4)
	v_fmac_f64_e32 v[76:77], v[10:11], v[88:89]
	v_fma_f64 v[8:9], v[8:9], v[88:89], -v[82:83]
	s_delay_alu instid0(VALU_DEP_4) | instskip(NEXT) | instid1(VALU_DEP_4)
	v_add_f64_e32 v[4:5], v[4:5], v[68:69]
	v_add_f64_e32 v[10:11], v[12:13], v[72:73]
	s_delay_alu instid0(VALU_DEP_2) | instskip(NEXT) | instid1(VALU_DEP_2)
	v_add_f64_e32 v[4:5], v[4:5], v[8:9]
	v_add_f64_e32 v[10:11], v[10:11], v[76:77]
	s_wait_loadcnt 0x0
	s_delay_alu instid0(VALU_DEP_2) | instskip(NEXT) | instid1(VALU_DEP_2)
	v_add_f64_e64 v[8:9], v[92:93], -v[4:5]
	v_add_f64_e64 v[10:11], v[94:95], -v[10:11]
	scratch_store_b128 off, v[8:11], off offset:304
	s_wait_xcnt 0x0
	v_cmpx_lt_u32_e32 18, v1
	s_cbranch_execz .LBB26_139
; %bb.138:
	scratch_load_b128 v[8:11], off, s25
	v_dual_mov_b32 v3, v2 :: v_dual_mov_b32 v4, v2
	v_mov_b32_e32 v5, v2
	scratch_store_b128 off, v[2:5], off offset:288
	s_wait_loadcnt 0x0
	ds_store_b128 v6, v[8:11]
.LBB26_139:
	s_wait_xcnt 0x0
	s_or_b32 exec_lo, exec_lo, s2
	s_wait_storecnt_dscnt 0x0
	s_barrier_signal -1
	s_barrier_wait -1
	s_clause 0x7
	scratch_load_b128 v[8:11], off, off offset:304
	scratch_load_b128 v[68:71], off, off offset:320
	;; [unrolled: 1-line block ×8, first 2 shown]
	ds_load_b128 v[96:99], v2 offset:736
	ds_load_b128 v[100:103], v2 offset:752
	scratch_load_b128 v[104:107], off, off offset:288
	s_mov_b32 s2, exec_lo
	s_wait_loadcnt_dscnt 0x801
	v_mul_f64_e32 v[4:5], v[98:99], v[10:11]
	v_mul_f64_e32 v[12:13], v[96:97], v[10:11]
	s_wait_loadcnt_dscnt 0x700
	v_mul_f64_e32 v[108:109], v[100:101], v[70:71]
	v_mul_f64_e32 v[70:71], v[102:103], v[70:71]
	s_delay_alu instid0(VALU_DEP_4) | instskip(NEXT) | instid1(VALU_DEP_4)
	v_fma_f64 v[4:5], v[96:97], v[8:9], -v[4:5]
	v_fmac_f64_e32 v[12:13], v[98:99], v[8:9]
	ds_load_b128 v[8:11], v2 offset:768
	ds_load_b128 v[96:99], v2 offset:784
	v_fmac_f64_e32 v[108:109], v[102:103], v[68:69]
	v_fma_f64 v[68:69], v[100:101], v[68:69], -v[70:71]
	s_wait_loadcnt_dscnt 0x601
	v_mul_f64_e32 v[110:111], v[8:9], v[74:75]
	v_mul_f64_e32 v[74:75], v[10:11], v[74:75]
	s_wait_loadcnt_dscnt 0x500
	v_mul_f64_e32 v[100:101], v[96:97], v[78:79]
	v_mul_f64_e32 v[78:79], v[98:99], v[78:79]
	v_add_f64_e32 v[4:5], 0, v[4:5]
	v_add_f64_e32 v[12:13], 0, v[12:13]
	v_fmac_f64_e32 v[110:111], v[10:11], v[72:73]
	v_fma_f64 v[72:73], v[8:9], v[72:73], -v[74:75]
	v_fmac_f64_e32 v[100:101], v[98:99], v[76:77]
	v_fma_f64 v[76:77], v[96:97], v[76:77], -v[78:79]
	v_add_f64_e32 v[4:5], v[4:5], v[68:69]
	v_add_f64_e32 v[12:13], v[12:13], v[108:109]
	ds_load_b128 v[8:11], v2 offset:800
	ds_load_b128 v[68:71], v2 offset:816
	s_wait_loadcnt_dscnt 0x401
	v_mul_f64_e32 v[74:75], v[8:9], v[82:83]
	v_mul_f64_e32 v[82:83], v[10:11], v[82:83]
	s_wait_loadcnt_dscnt 0x300
	v_mul_f64_e32 v[78:79], v[70:71], v[86:87]
	v_add_f64_e32 v[4:5], v[4:5], v[72:73]
	v_add_f64_e32 v[12:13], v[12:13], v[110:111]
	v_mul_f64_e32 v[72:73], v[68:69], v[86:87]
	v_fmac_f64_e32 v[74:75], v[10:11], v[80:81]
	v_fma_f64 v[80:81], v[8:9], v[80:81], -v[82:83]
	v_fma_f64 v[68:69], v[68:69], v[84:85], -v[78:79]
	v_add_f64_e32 v[76:77], v[4:5], v[76:77]
	v_add_f64_e32 v[12:13], v[12:13], v[100:101]
	ds_load_b128 v[8:11], v2 offset:832
	ds_load_b128 v[2:5], v2 offset:848
	v_fmac_f64_e32 v[72:73], v[70:71], v[84:85]
	s_wait_loadcnt_dscnt 0x201
	v_mul_f64_e32 v[82:83], v[8:9], v[90:91]
	v_mul_f64_e32 v[86:87], v[10:11], v[90:91]
	v_add_f64_e32 v[70:71], v[76:77], v[80:81]
	v_add_f64_e32 v[12:13], v[12:13], v[74:75]
	s_wait_loadcnt_dscnt 0x100
	v_mul_f64_e32 v[74:75], v[2:3], v[94:95]
	v_mul_f64_e32 v[76:77], v[4:5], v[94:95]
	v_fmac_f64_e32 v[82:83], v[10:11], v[88:89]
	v_fma_f64 v[8:9], v[8:9], v[88:89], -v[86:87]
	v_add_f64_e32 v[10:11], v[70:71], v[68:69]
	v_add_f64_e32 v[12:13], v[12:13], v[72:73]
	v_fmac_f64_e32 v[74:75], v[4:5], v[92:93]
	v_fma_f64 v[2:3], v[2:3], v[92:93], -v[76:77]
	s_delay_alu instid0(VALU_DEP_4) | instskip(NEXT) | instid1(VALU_DEP_4)
	v_add_f64_e32 v[4:5], v[10:11], v[8:9]
	v_add_f64_e32 v[8:9], v[12:13], v[82:83]
	s_delay_alu instid0(VALU_DEP_2) | instskip(NEXT) | instid1(VALU_DEP_2)
	v_add_f64_e32 v[2:3], v[4:5], v[2:3]
	v_add_f64_e32 v[4:5], v[8:9], v[74:75]
	s_wait_loadcnt 0x0
	s_delay_alu instid0(VALU_DEP_2) | instskip(NEXT) | instid1(VALU_DEP_2)
	v_add_f64_e64 v[2:3], v[104:105], -v[2:3]
	v_add_f64_e64 v[4:5], v[106:107], -v[4:5]
	scratch_store_b128 off, v[2:5], off offset:288
	s_wait_xcnt 0x0
	v_cmpx_lt_u32_e32 17, v1
	s_cbranch_execz .LBB26_141
; %bb.140:
	scratch_load_b128 v[2:5], off, s24
	v_mov_b32_e32 v8, 0
	s_delay_alu instid0(VALU_DEP_1)
	v_dual_mov_b32 v9, v8 :: v_dual_mov_b32 v10, v8
	v_mov_b32_e32 v11, v8
	scratch_store_b128 off, v[8:11], off offset:272
	s_wait_loadcnt 0x0
	ds_store_b128 v6, v[2:5]
.LBB26_141:
	s_wait_xcnt 0x0
	s_or_b32 exec_lo, exec_lo, s2
	s_wait_storecnt_dscnt 0x0
	s_barrier_signal -1
	s_barrier_wait -1
	s_clause 0x8
	scratch_load_b128 v[8:11], off, off offset:288
	scratch_load_b128 v[68:71], off, off offset:304
	;; [unrolled: 1-line block ×9, first 2 shown]
	v_mov_b32_e32 v2, 0
	scratch_load_b128 v[104:107], off, off offset:272
	s_mov_b32 s2, exec_lo
	ds_load_b128 v[100:103], v2 offset:720
	ds_load_b128 v[108:111], v2 offset:736
	s_wait_loadcnt_dscnt 0x901
	v_mul_f64_e32 v[4:5], v[102:103], v[10:11]
	v_mul_f64_e32 v[12:13], v[100:101], v[10:11]
	s_wait_loadcnt_dscnt 0x800
	v_mul_f64_e32 v[112:113], v[108:109], v[70:71]
	v_mul_f64_e32 v[70:71], v[110:111], v[70:71]
	s_delay_alu instid0(VALU_DEP_4) | instskip(NEXT) | instid1(VALU_DEP_4)
	v_fma_f64 v[4:5], v[100:101], v[8:9], -v[4:5]
	v_fmac_f64_e32 v[12:13], v[102:103], v[8:9]
	ds_load_b128 v[8:11], v2 offset:752
	ds_load_b128 v[100:103], v2 offset:768
	v_fmac_f64_e32 v[112:113], v[110:111], v[68:69]
	v_fma_f64 v[68:69], v[108:109], v[68:69], -v[70:71]
	s_wait_loadcnt_dscnt 0x701
	v_mul_f64_e32 v[114:115], v[8:9], v[74:75]
	v_mul_f64_e32 v[74:75], v[10:11], v[74:75]
	s_wait_loadcnt_dscnt 0x600
	v_mul_f64_e32 v[108:109], v[100:101], v[78:79]
	v_mul_f64_e32 v[78:79], v[102:103], v[78:79]
	v_add_f64_e32 v[4:5], 0, v[4:5]
	v_add_f64_e32 v[12:13], 0, v[12:13]
	v_fmac_f64_e32 v[114:115], v[10:11], v[72:73]
	v_fma_f64 v[72:73], v[8:9], v[72:73], -v[74:75]
	v_fmac_f64_e32 v[108:109], v[102:103], v[76:77]
	v_fma_f64 v[76:77], v[100:101], v[76:77], -v[78:79]
	v_add_f64_e32 v[4:5], v[4:5], v[68:69]
	v_add_f64_e32 v[12:13], v[12:13], v[112:113]
	ds_load_b128 v[8:11], v2 offset:784
	ds_load_b128 v[68:71], v2 offset:800
	s_wait_loadcnt_dscnt 0x501
	v_mul_f64_e32 v[110:111], v[8:9], v[82:83]
	v_mul_f64_e32 v[74:75], v[10:11], v[82:83]
	s_wait_loadcnt_dscnt 0x400
	v_mul_f64_e32 v[78:79], v[68:69], v[86:87]
	v_mul_f64_e32 v[82:83], v[70:71], v[86:87]
	v_add_f64_e32 v[4:5], v[4:5], v[72:73]
	v_add_f64_e32 v[12:13], v[12:13], v[114:115]
	v_fmac_f64_e32 v[110:111], v[10:11], v[80:81]
	v_fma_f64 v[80:81], v[8:9], v[80:81], -v[74:75]
	ds_load_b128 v[8:11], v2 offset:816
	ds_load_b128 v[72:75], v2 offset:832
	v_fmac_f64_e32 v[78:79], v[70:71], v[84:85]
	v_fma_f64 v[68:69], v[68:69], v[84:85], -v[82:83]
	v_add_f64_e32 v[4:5], v[4:5], v[76:77]
	v_add_f64_e32 v[12:13], v[12:13], v[108:109]
	s_wait_loadcnt_dscnt 0x301
	v_mul_f64_e32 v[76:77], v[8:9], v[90:91]
	v_mul_f64_e32 v[86:87], v[10:11], v[90:91]
	s_wait_loadcnt_dscnt 0x200
	v_mul_f64_e32 v[70:71], v[72:73], v[94:95]
	v_add_f64_e32 v[4:5], v[4:5], v[80:81]
	v_add_f64_e32 v[12:13], v[12:13], v[110:111]
	v_mul_f64_e32 v[80:81], v[74:75], v[94:95]
	v_fmac_f64_e32 v[76:77], v[10:11], v[88:89]
	v_fma_f64 v[82:83], v[8:9], v[88:89], -v[86:87]
	ds_load_b128 v[8:11], v2 offset:848
	v_fmac_f64_e32 v[70:71], v[74:75], v[92:93]
	v_add_f64_e32 v[4:5], v[4:5], v[68:69]
	v_add_f64_e32 v[12:13], v[12:13], v[78:79]
	s_wait_loadcnt_dscnt 0x100
	v_mul_f64_e32 v[68:69], v[8:9], v[98:99]
	v_mul_f64_e32 v[78:79], v[10:11], v[98:99]
	v_fma_f64 v[72:73], v[72:73], v[92:93], -v[80:81]
	v_add_f64_e32 v[4:5], v[4:5], v[82:83]
	v_add_f64_e32 v[12:13], v[12:13], v[76:77]
	v_fmac_f64_e32 v[68:69], v[10:11], v[96:97]
	v_fma_f64 v[8:9], v[8:9], v[96:97], -v[78:79]
	s_delay_alu instid0(VALU_DEP_4) | instskip(NEXT) | instid1(VALU_DEP_4)
	v_add_f64_e32 v[4:5], v[4:5], v[72:73]
	v_add_f64_e32 v[10:11], v[12:13], v[70:71]
	s_delay_alu instid0(VALU_DEP_2) | instskip(NEXT) | instid1(VALU_DEP_2)
	v_add_f64_e32 v[4:5], v[4:5], v[8:9]
	v_add_f64_e32 v[10:11], v[10:11], v[68:69]
	s_wait_loadcnt 0x0
	s_delay_alu instid0(VALU_DEP_2) | instskip(NEXT) | instid1(VALU_DEP_2)
	v_add_f64_e64 v[8:9], v[104:105], -v[4:5]
	v_add_f64_e64 v[10:11], v[106:107], -v[10:11]
	scratch_store_b128 off, v[8:11], off offset:272
	s_wait_xcnt 0x0
	v_cmpx_lt_u32_e32 16, v1
	s_cbranch_execz .LBB26_143
; %bb.142:
	scratch_load_b128 v[8:11], off, s30
	v_dual_mov_b32 v3, v2 :: v_dual_mov_b32 v4, v2
	v_mov_b32_e32 v5, v2
	scratch_store_b128 off, v[2:5], off offset:256
	s_wait_loadcnt 0x0
	ds_store_b128 v6, v[8:11]
.LBB26_143:
	s_wait_xcnt 0x0
	s_or_b32 exec_lo, exec_lo, s2
	s_wait_storecnt_dscnt 0x0
	s_barrier_signal -1
	s_barrier_wait -1
	s_clause 0x9
	scratch_load_b128 v[8:11], off, off offset:272
	scratch_load_b128 v[68:71], off, off offset:288
	;; [unrolled: 1-line block ×10, first 2 shown]
	ds_load_b128 v[104:107], v2 offset:704
	ds_load_b128 v[108:111], v2 offset:720
	scratch_load_b128 v[112:115], off, off offset:256
	s_mov_b32 s2, exec_lo
	s_wait_loadcnt_dscnt 0xa01
	v_mul_f64_e32 v[4:5], v[106:107], v[10:11]
	v_mul_f64_e32 v[12:13], v[104:105], v[10:11]
	s_wait_loadcnt_dscnt 0x900
	v_mul_f64_e32 v[116:117], v[108:109], v[70:71]
	v_mul_f64_e32 v[70:71], v[110:111], v[70:71]
	s_delay_alu instid0(VALU_DEP_4) | instskip(NEXT) | instid1(VALU_DEP_4)
	v_fma_f64 v[4:5], v[104:105], v[8:9], -v[4:5]
	v_fmac_f64_e32 v[12:13], v[106:107], v[8:9]
	ds_load_b128 v[8:11], v2 offset:736
	ds_load_b128 v[104:107], v2 offset:752
	v_fmac_f64_e32 v[116:117], v[110:111], v[68:69]
	v_fma_f64 v[68:69], v[108:109], v[68:69], -v[70:71]
	s_wait_loadcnt_dscnt 0x801
	v_mul_f64_e32 v[118:119], v[8:9], v[74:75]
	v_mul_f64_e32 v[74:75], v[10:11], v[74:75]
	s_wait_loadcnt_dscnt 0x700
	v_mul_f64_e32 v[108:109], v[104:105], v[78:79]
	v_mul_f64_e32 v[78:79], v[106:107], v[78:79]
	v_add_f64_e32 v[4:5], 0, v[4:5]
	v_add_f64_e32 v[12:13], 0, v[12:13]
	v_fmac_f64_e32 v[118:119], v[10:11], v[72:73]
	v_fma_f64 v[72:73], v[8:9], v[72:73], -v[74:75]
	v_fmac_f64_e32 v[108:109], v[106:107], v[76:77]
	v_fma_f64 v[76:77], v[104:105], v[76:77], -v[78:79]
	v_add_f64_e32 v[4:5], v[4:5], v[68:69]
	v_add_f64_e32 v[12:13], v[12:13], v[116:117]
	ds_load_b128 v[8:11], v2 offset:768
	ds_load_b128 v[68:71], v2 offset:784
	s_wait_loadcnt_dscnt 0x601
	v_mul_f64_e32 v[110:111], v[8:9], v[82:83]
	v_mul_f64_e32 v[74:75], v[10:11], v[82:83]
	s_wait_loadcnt_dscnt 0x500
	v_mul_f64_e32 v[78:79], v[68:69], v[86:87]
	v_mul_f64_e32 v[82:83], v[70:71], v[86:87]
	v_add_f64_e32 v[4:5], v[4:5], v[72:73]
	v_add_f64_e32 v[12:13], v[12:13], v[118:119]
	v_fmac_f64_e32 v[110:111], v[10:11], v[80:81]
	v_fma_f64 v[80:81], v[8:9], v[80:81], -v[74:75]
	ds_load_b128 v[8:11], v2 offset:800
	ds_load_b128 v[72:75], v2 offset:816
	v_fmac_f64_e32 v[78:79], v[70:71], v[84:85]
	v_fma_f64 v[68:69], v[68:69], v[84:85], -v[82:83]
	v_add_f64_e32 v[4:5], v[4:5], v[76:77]
	v_add_f64_e32 v[12:13], v[12:13], v[108:109]
	s_wait_loadcnt_dscnt 0x401
	v_mul_f64_e32 v[76:77], v[8:9], v[90:91]
	v_mul_f64_e32 v[86:87], v[10:11], v[90:91]
	s_wait_loadcnt_dscnt 0x300
	v_mul_f64_e32 v[70:71], v[72:73], v[94:95]
	v_add_f64_e32 v[4:5], v[4:5], v[80:81]
	v_add_f64_e32 v[12:13], v[12:13], v[110:111]
	v_mul_f64_e32 v[80:81], v[74:75], v[94:95]
	v_fmac_f64_e32 v[76:77], v[10:11], v[88:89]
	v_fma_f64 v[82:83], v[8:9], v[88:89], -v[86:87]
	v_fmac_f64_e32 v[70:71], v[74:75], v[92:93]
	v_add_f64_e32 v[68:69], v[4:5], v[68:69]
	v_add_f64_e32 v[12:13], v[12:13], v[78:79]
	ds_load_b128 v[8:11], v2 offset:832
	ds_load_b128 v[2:5], v2 offset:848
	v_fma_f64 v[72:73], v[72:73], v[92:93], -v[80:81]
	s_wait_loadcnt_dscnt 0x201
	v_mul_f64_e32 v[78:79], v[8:9], v[98:99]
	v_mul_f64_e32 v[84:85], v[10:11], v[98:99]
	s_wait_loadcnt_dscnt 0x100
	v_mul_f64_e32 v[74:75], v[2:3], v[102:103]
	v_add_f64_e32 v[68:69], v[68:69], v[82:83]
	v_add_f64_e32 v[12:13], v[12:13], v[76:77]
	v_mul_f64_e32 v[76:77], v[4:5], v[102:103]
	v_fmac_f64_e32 v[78:79], v[10:11], v[96:97]
	v_fma_f64 v[8:9], v[8:9], v[96:97], -v[84:85]
	v_fmac_f64_e32 v[74:75], v[4:5], v[100:101]
	v_add_f64_e32 v[10:11], v[68:69], v[72:73]
	v_add_f64_e32 v[12:13], v[12:13], v[70:71]
	v_fma_f64 v[2:3], v[2:3], v[100:101], -v[76:77]
	s_delay_alu instid0(VALU_DEP_3) | instskip(NEXT) | instid1(VALU_DEP_3)
	v_add_f64_e32 v[4:5], v[10:11], v[8:9]
	v_add_f64_e32 v[8:9], v[12:13], v[78:79]
	s_delay_alu instid0(VALU_DEP_2) | instskip(NEXT) | instid1(VALU_DEP_2)
	v_add_f64_e32 v[2:3], v[4:5], v[2:3]
	v_add_f64_e32 v[4:5], v[8:9], v[74:75]
	s_wait_loadcnt 0x0
	s_delay_alu instid0(VALU_DEP_2) | instskip(NEXT) | instid1(VALU_DEP_2)
	v_add_f64_e64 v[2:3], v[112:113], -v[2:3]
	v_add_f64_e64 v[4:5], v[114:115], -v[4:5]
	scratch_store_b128 off, v[2:5], off offset:256
	s_wait_xcnt 0x0
	v_cmpx_lt_u32_e32 15, v1
	s_cbranch_execz .LBB26_145
; %bb.144:
	scratch_load_b128 v[2:5], off, s33
	v_mov_b32_e32 v8, 0
	s_delay_alu instid0(VALU_DEP_1)
	v_dual_mov_b32 v9, v8 :: v_dual_mov_b32 v10, v8
	v_mov_b32_e32 v11, v8
	scratch_store_b128 off, v[8:11], off offset:240
	s_wait_loadcnt 0x0
	ds_store_b128 v6, v[2:5]
.LBB26_145:
	s_wait_xcnt 0x0
	s_or_b32 exec_lo, exec_lo, s2
	s_wait_storecnt_dscnt 0x0
	s_barrier_signal -1
	s_barrier_wait -1
	s_clause 0x9
	scratch_load_b128 v[8:11], off, off offset:256
	scratch_load_b128 v[68:71], off, off offset:272
	;; [unrolled: 1-line block ×10, first 2 shown]
	v_mov_b32_e32 v2, 0
	s_mov_b32 s2, exec_lo
	ds_load_b128 v[104:107], v2 offset:688
	s_clause 0x1
	scratch_load_b128 v[108:111], off, off offset:416
	scratch_load_b128 v[112:115], off, off offset:240
	s_wait_loadcnt_dscnt 0xb00
	v_mul_f64_e32 v[4:5], v[106:107], v[10:11]
	v_mul_f64_e32 v[12:13], v[104:105], v[10:11]
	ds_load_b128 v[116:119], v2 offset:704
	s_wait_loadcnt_dscnt 0xa00
	v_mul_f64_e32 v[120:121], v[116:117], v[70:71]
	v_mul_f64_e32 v[70:71], v[118:119], v[70:71]
	v_fma_f64 v[4:5], v[104:105], v[8:9], -v[4:5]
	v_fmac_f64_e32 v[12:13], v[106:107], v[8:9]
	ds_load_b128 v[8:11], v2 offset:720
	ds_load_b128 v[104:107], v2 offset:736
	s_wait_loadcnt_dscnt 0x901
	v_mul_f64_e32 v[122:123], v[8:9], v[74:75]
	v_mul_f64_e32 v[74:75], v[10:11], v[74:75]
	v_fmac_f64_e32 v[120:121], v[118:119], v[68:69]
	v_fma_f64 v[68:69], v[116:117], v[68:69], -v[70:71]
	s_wait_loadcnt_dscnt 0x800
	v_mul_f64_e32 v[116:117], v[104:105], v[78:79]
	v_mul_f64_e32 v[78:79], v[106:107], v[78:79]
	v_add_f64_e32 v[4:5], 0, v[4:5]
	v_add_f64_e32 v[12:13], 0, v[12:13]
	v_fmac_f64_e32 v[122:123], v[10:11], v[72:73]
	v_fma_f64 v[72:73], v[8:9], v[72:73], -v[74:75]
	v_fmac_f64_e32 v[116:117], v[106:107], v[76:77]
	v_fma_f64 v[76:77], v[104:105], v[76:77], -v[78:79]
	v_add_f64_e32 v[4:5], v[4:5], v[68:69]
	v_add_f64_e32 v[12:13], v[12:13], v[120:121]
	ds_load_b128 v[8:11], v2 offset:752
	ds_load_b128 v[68:71], v2 offset:768
	s_wait_loadcnt_dscnt 0x701
	v_mul_f64_e32 v[118:119], v[8:9], v[82:83]
	v_mul_f64_e32 v[74:75], v[10:11], v[82:83]
	s_wait_loadcnt_dscnt 0x600
	v_mul_f64_e32 v[78:79], v[68:69], v[86:87]
	v_mul_f64_e32 v[82:83], v[70:71], v[86:87]
	v_add_f64_e32 v[4:5], v[4:5], v[72:73]
	v_add_f64_e32 v[12:13], v[12:13], v[122:123]
	v_fmac_f64_e32 v[118:119], v[10:11], v[80:81]
	v_fma_f64 v[80:81], v[8:9], v[80:81], -v[74:75]
	ds_load_b128 v[8:11], v2 offset:784
	ds_load_b128 v[72:75], v2 offset:800
	v_fmac_f64_e32 v[78:79], v[70:71], v[84:85]
	v_fma_f64 v[68:69], v[68:69], v[84:85], -v[82:83]
	v_add_f64_e32 v[4:5], v[4:5], v[76:77]
	v_add_f64_e32 v[12:13], v[12:13], v[116:117]
	s_wait_loadcnt_dscnt 0x501
	v_mul_f64_e32 v[76:77], v[8:9], v[90:91]
	v_mul_f64_e32 v[86:87], v[10:11], v[90:91]
	s_wait_loadcnt_dscnt 0x400
	v_mul_f64_e32 v[82:83], v[74:75], v[94:95]
	v_add_f64_e32 v[4:5], v[4:5], v[80:81]
	v_add_f64_e32 v[12:13], v[12:13], v[118:119]
	v_mul_f64_e32 v[80:81], v[72:73], v[94:95]
	v_fmac_f64_e32 v[76:77], v[10:11], v[88:89]
	v_fma_f64 v[84:85], v[8:9], v[88:89], -v[86:87]
	v_fma_f64 v[72:73], v[72:73], v[92:93], -v[82:83]
	v_add_f64_e32 v[4:5], v[4:5], v[68:69]
	v_add_f64_e32 v[12:13], v[12:13], v[78:79]
	ds_load_b128 v[8:11], v2 offset:816
	ds_load_b128 v[68:71], v2 offset:832
	v_fmac_f64_e32 v[80:81], v[74:75], v[92:93]
	s_wait_loadcnt_dscnt 0x301
	v_mul_f64_e32 v[78:79], v[8:9], v[98:99]
	v_mul_f64_e32 v[86:87], v[10:11], v[98:99]
	s_wait_loadcnt_dscnt 0x200
	v_mul_f64_e32 v[74:75], v[68:69], v[102:103]
	v_add_f64_e32 v[4:5], v[4:5], v[84:85]
	v_add_f64_e32 v[12:13], v[12:13], v[76:77]
	v_mul_f64_e32 v[76:77], v[70:71], v[102:103]
	v_fmac_f64_e32 v[78:79], v[10:11], v[96:97]
	v_fma_f64 v[82:83], v[8:9], v[96:97], -v[86:87]
	ds_load_b128 v[8:11], v2 offset:848
	v_fmac_f64_e32 v[74:75], v[70:71], v[100:101]
	v_add_f64_e32 v[4:5], v[4:5], v[72:73]
	v_add_f64_e32 v[12:13], v[12:13], v[80:81]
	v_fma_f64 v[68:69], v[68:69], v[100:101], -v[76:77]
	s_wait_loadcnt_dscnt 0x100
	v_mul_f64_e32 v[72:73], v[8:9], v[110:111]
	v_mul_f64_e32 v[80:81], v[10:11], v[110:111]
	v_add_f64_e32 v[4:5], v[4:5], v[82:83]
	v_add_f64_e32 v[12:13], v[12:13], v[78:79]
	s_delay_alu instid0(VALU_DEP_4) | instskip(NEXT) | instid1(VALU_DEP_4)
	v_fmac_f64_e32 v[72:73], v[10:11], v[108:109]
	v_fma_f64 v[8:9], v[8:9], v[108:109], -v[80:81]
	s_delay_alu instid0(VALU_DEP_4) | instskip(NEXT) | instid1(VALU_DEP_4)
	v_add_f64_e32 v[4:5], v[4:5], v[68:69]
	v_add_f64_e32 v[10:11], v[12:13], v[74:75]
	s_delay_alu instid0(VALU_DEP_2) | instskip(NEXT) | instid1(VALU_DEP_2)
	v_add_f64_e32 v[4:5], v[4:5], v[8:9]
	v_add_f64_e32 v[10:11], v[10:11], v[72:73]
	s_wait_loadcnt 0x0
	s_delay_alu instid0(VALU_DEP_2) | instskip(NEXT) | instid1(VALU_DEP_2)
	v_add_f64_e64 v[8:9], v[112:113], -v[4:5]
	v_add_f64_e64 v[10:11], v[114:115], -v[10:11]
	scratch_store_b128 off, v[8:11], off offset:240
	s_wait_xcnt 0x0
	v_cmpx_lt_u32_e32 14, v1
	s_cbranch_execz .LBB26_147
; %bb.146:
	scratch_load_b128 v[8:11], off, s38
	v_dual_mov_b32 v3, v2 :: v_dual_mov_b32 v4, v2
	v_mov_b32_e32 v5, v2
	scratch_store_b128 off, v[2:5], off offset:224
	s_wait_loadcnt 0x0
	ds_store_b128 v6, v[8:11]
.LBB26_147:
	s_wait_xcnt 0x0
	s_or_b32 exec_lo, exec_lo, s2
	s_wait_storecnt_dscnt 0x0
	s_barrier_signal -1
	s_barrier_wait -1
	s_clause 0x9
	scratch_load_b128 v[8:11], off, off offset:240
	scratch_load_b128 v[68:71], off, off offset:256
	;; [unrolled: 1-line block ×10, first 2 shown]
	ds_load_b128 v[104:107], v2 offset:672
	ds_load_b128 v[112:115], v2 offset:688
	s_clause 0x1
	scratch_load_b128 v[108:111], off, off offset:400
	scratch_load_b128 v[116:119], off, off offset:224
	s_mov_b32 s2, exec_lo
	s_wait_loadcnt_dscnt 0xb01
	v_mul_f64_e32 v[4:5], v[106:107], v[10:11]
	v_mul_f64_e32 v[124:125], v[104:105], v[10:11]
	scratch_load_b128 v[10:13], off, off offset:416
	s_wait_loadcnt_dscnt 0xb00
	v_mul_f64_e32 v[126:127], v[112:113], v[70:71]
	v_mul_f64_e32 v[70:71], v[114:115], v[70:71]
	v_fma_f64 v[4:5], v[104:105], v[8:9], -v[4:5]
	v_fmac_f64_e32 v[124:125], v[106:107], v[8:9]
	ds_load_b128 v[104:107], v2 offset:704
	ds_load_b128 v[120:123], v2 offset:720
	v_fmac_f64_e32 v[126:127], v[114:115], v[68:69]
	v_fma_f64 v[68:69], v[112:113], v[68:69], -v[70:71]
	s_wait_loadcnt_dscnt 0xa01
	v_mul_f64_e32 v[8:9], v[104:105], v[74:75]
	v_mul_f64_e32 v[74:75], v[106:107], v[74:75]
	s_wait_loadcnt_dscnt 0x900
	v_mul_f64_e32 v[112:113], v[120:121], v[78:79]
	v_mul_f64_e32 v[78:79], v[122:123], v[78:79]
	v_add_f64_e32 v[4:5], 0, v[4:5]
	v_add_f64_e32 v[70:71], 0, v[124:125]
	v_fmac_f64_e32 v[8:9], v[106:107], v[72:73]
	v_fma_f64 v[104:105], v[104:105], v[72:73], -v[74:75]
	v_fmac_f64_e32 v[112:113], v[122:123], v[76:77]
	v_fma_f64 v[76:77], v[120:121], v[76:77], -v[78:79]
	v_add_f64_e32 v[4:5], v[4:5], v[68:69]
	v_add_f64_e32 v[106:107], v[70:71], v[126:127]
	ds_load_b128 v[68:71], v2 offset:736
	ds_load_b128 v[72:75], v2 offset:752
	s_wait_loadcnt_dscnt 0x801
	v_mul_f64_e32 v[114:115], v[68:69], v[82:83]
	v_mul_f64_e32 v[82:83], v[70:71], v[82:83]
	v_add_f64_e32 v[4:5], v[4:5], v[104:105]
	v_add_f64_e32 v[8:9], v[106:107], v[8:9]
	s_wait_loadcnt_dscnt 0x700
	v_mul_f64_e32 v[104:105], v[72:73], v[86:87]
	v_mul_f64_e32 v[86:87], v[74:75], v[86:87]
	v_fmac_f64_e32 v[114:115], v[70:71], v[80:81]
	v_fma_f64 v[80:81], v[68:69], v[80:81], -v[82:83]
	v_add_f64_e32 v[4:5], v[4:5], v[76:77]
	v_add_f64_e32 v[8:9], v[8:9], v[112:113]
	ds_load_b128 v[68:71], v2 offset:768
	ds_load_b128 v[76:79], v2 offset:784
	v_fmac_f64_e32 v[104:105], v[74:75], v[84:85]
	v_fma_f64 v[72:73], v[72:73], v[84:85], -v[86:87]
	s_wait_loadcnt_dscnt 0x601
	v_mul_f64_e32 v[82:83], v[68:69], v[90:91]
	v_mul_f64_e32 v[90:91], v[70:71], v[90:91]
	s_wait_loadcnt_dscnt 0x500
	v_mul_f64_e32 v[84:85], v[78:79], v[94:95]
	v_add_f64_e32 v[4:5], v[4:5], v[80:81]
	v_add_f64_e32 v[8:9], v[8:9], v[114:115]
	v_mul_f64_e32 v[80:81], v[76:77], v[94:95]
	v_fmac_f64_e32 v[82:83], v[70:71], v[88:89]
	v_fma_f64 v[86:87], v[68:69], v[88:89], -v[90:91]
	v_fma_f64 v[76:77], v[76:77], v[92:93], -v[84:85]
	v_add_f64_e32 v[4:5], v[4:5], v[72:73]
	v_add_f64_e32 v[8:9], v[8:9], v[104:105]
	ds_load_b128 v[68:71], v2 offset:800
	ds_load_b128 v[72:75], v2 offset:816
	v_fmac_f64_e32 v[80:81], v[78:79], v[92:93]
	s_wait_loadcnt_dscnt 0x401
	v_mul_f64_e32 v[88:89], v[68:69], v[98:99]
	v_mul_f64_e32 v[90:91], v[70:71], v[98:99]
	s_wait_loadcnt_dscnt 0x300
	v_mul_f64_e32 v[78:79], v[72:73], v[102:103]
	v_add_f64_e32 v[4:5], v[4:5], v[86:87]
	v_add_f64_e32 v[8:9], v[8:9], v[82:83]
	v_mul_f64_e32 v[82:83], v[74:75], v[102:103]
	v_fmac_f64_e32 v[88:89], v[70:71], v[96:97]
	v_fma_f64 v[84:85], v[68:69], v[96:97], -v[90:91]
	v_fmac_f64_e32 v[78:79], v[74:75], v[100:101]
	v_add_f64_e32 v[76:77], v[4:5], v[76:77]
	v_add_f64_e32 v[8:9], v[8:9], v[80:81]
	ds_load_b128 v[68:71], v2 offset:832
	ds_load_b128 v[2:5], v2 offset:848
	v_fma_f64 v[72:73], v[72:73], v[100:101], -v[82:83]
	s_wait_loadcnt_dscnt 0x201
	v_mul_f64_e32 v[80:81], v[68:69], v[110:111]
	v_mul_f64_e32 v[86:87], v[70:71], v[110:111]
	v_add_f64_e32 v[74:75], v[76:77], v[84:85]
	v_add_f64_e32 v[8:9], v[8:9], v[88:89]
	s_wait_loadcnt_dscnt 0x0
	v_mul_f64_e32 v[76:77], v[2:3], v[12:13]
	v_mul_f64_e32 v[12:13], v[4:5], v[12:13]
	v_fmac_f64_e32 v[80:81], v[70:71], v[108:109]
	v_fma_f64 v[68:69], v[68:69], v[108:109], -v[86:87]
	v_add_f64_e32 v[70:71], v[74:75], v[72:73]
	v_add_f64_e32 v[8:9], v[8:9], v[78:79]
	v_fmac_f64_e32 v[76:77], v[4:5], v[10:11]
	v_fma_f64 v[2:3], v[2:3], v[10:11], -v[12:13]
	s_delay_alu instid0(VALU_DEP_4) | instskip(NEXT) | instid1(VALU_DEP_4)
	v_add_f64_e32 v[4:5], v[70:71], v[68:69]
	v_add_f64_e32 v[8:9], v[8:9], v[80:81]
	s_delay_alu instid0(VALU_DEP_2) | instskip(NEXT) | instid1(VALU_DEP_2)
	v_add_f64_e32 v[2:3], v[4:5], v[2:3]
	v_add_f64_e32 v[4:5], v[8:9], v[76:77]
	s_delay_alu instid0(VALU_DEP_2) | instskip(NEXT) | instid1(VALU_DEP_2)
	v_add_f64_e64 v[2:3], v[116:117], -v[2:3]
	v_add_f64_e64 v[4:5], v[118:119], -v[4:5]
	scratch_store_b128 off, v[2:5], off offset:224
	s_wait_xcnt 0x0
	v_cmpx_lt_u32_e32 13, v1
	s_cbranch_execz .LBB26_149
; %bb.148:
	scratch_load_b128 v[2:5], off, s37
	v_mov_b32_e32 v8, 0
	s_delay_alu instid0(VALU_DEP_1)
	v_dual_mov_b32 v9, v8 :: v_dual_mov_b32 v10, v8
	v_mov_b32_e32 v11, v8
	scratch_store_b128 off, v[8:11], off offset:208
	s_wait_loadcnt 0x0
	ds_store_b128 v6, v[2:5]
.LBB26_149:
	s_wait_xcnt 0x0
	s_or_b32 exec_lo, exec_lo, s2
	s_wait_storecnt_dscnt 0x0
	s_barrier_signal -1
	s_barrier_wait -1
	s_clause 0x9
	scratch_load_b128 v[8:11], off, off offset:224
	scratch_load_b128 v[68:71], off, off offset:240
	;; [unrolled: 1-line block ×10, first 2 shown]
	v_mov_b32_e32 v2, 0
	s_mov_b32 s2, exec_lo
	ds_load_b128 v[104:107], v2 offset:656
	s_clause 0x2
	scratch_load_b128 v[108:111], off, off offset:384
	scratch_load_b128 v[112:115], off, off offset:208
	;; [unrolled: 1-line block ×3, first 2 shown]
	s_wait_loadcnt_dscnt 0xc00
	v_mul_f64_e32 v[4:5], v[106:107], v[10:11]
	v_mul_f64_e32 v[128:129], v[104:105], v[10:11]
	ds_load_b128 v[116:119], v2 offset:672
	scratch_load_b128 v[10:13], off, off offset:400
	ds_load_b128 v[124:127], v2 offset:704
	v_fma_f64 v[4:5], v[104:105], v[8:9], -v[4:5]
	v_fmac_f64_e32 v[128:129], v[106:107], v[8:9]
	ds_load_b128 v[104:107], v2 offset:688
	s_wait_loadcnt_dscnt 0xc02
	v_mul_f64_e32 v[130:131], v[116:117], v[70:71]
	v_mul_f64_e32 v[70:71], v[118:119], v[70:71]
	s_wait_loadcnt_dscnt 0xb00
	v_mul_f64_e32 v[8:9], v[104:105], v[74:75]
	v_mul_f64_e32 v[74:75], v[106:107], v[74:75]
	v_add_f64_e32 v[4:5], 0, v[4:5]
	v_fmac_f64_e32 v[130:131], v[118:119], v[68:69]
	v_fma_f64 v[68:69], v[116:117], v[68:69], -v[70:71]
	v_add_f64_e32 v[70:71], 0, v[128:129]
	s_wait_loadcnt 0xa
	v_mul_f64_e32 v[116:117], v[124:125], v[78:79]
	v_mul_f64_e32 v[78:79], v[126:127], v[78:79]
	v_fmac_f64_e32 v[8:9], v[106:107], v[72:73]
	v_fma_f64 v[104:105], v[104:105], v[72:73], -v[74:75]
	v_add_f64_e32 v[4:5], v[4:5], v[68:69]
	v_add_f64_e32 v[106:107], v[70:71], v[130:131]
	ds_load_b128 v[68:71], v2 offset:720
	ds_load_b128 v[72:75], v2 offset:736
	v_fmac_f64_e32 v[116:117], v[126:127], v[76:77]
	v_fma_f64 v[76:77], v[124:125], v[76:77], -v[78:79]
	s_wait_loadcnt_dscnt 0x901
	v_mul_f64_e32 v[118:119], v[68:69], v[82:83]
	v_mul_f64_e32 v[82:83], v[70:71], v[82:83]
	v_add_f64_e32 v[4:5], v[4:5], v[104:105]
	v_add_f64_e32 v[8:9], v[106:107], v[8:9]
	s_wait_loadcnt_dscnt 0x800
	v_mul_f64_e32 v[104:105], v[72:73], v[86:87]
	v_mul_f64_e32 v[86:87], v[74:75], v[86:87]
	v_fmac_f64_e32 v[118:119], v[70:71], v[80:81]
	v_fma_f64 v[80:81], v[68:69], v[80:81], -v[82:83]
	v_add_f64_e32 v[4:5], v[4:5], v[76:77]
	v_add_f64_e32 v[8:9], v[8:9], v[116:117]
	ds_load_b128 v[68:71], v2 offset:752
	ds_load_b128 v[76:79], v2 offset:768
	v_fmac_f64_e32 v[104:105], v[74:75], v[84:85]
	v_fma_f64 v[72:73], v[72:73], v[84:85], -v[86:87]
	s_wait_loadcnt_dscnt 0x701
	v_mul_f64_e32 v[82:83], v[68:69], v[90:91]
	v_mul_f64_e32 v[90:91], v[70:71], v[90:91]
	s_wait_loadcnt_dscnt 0x600
	v_mul_f64_e32 v[84:85], v[78:79], v[94:95]
	v_add_f64_e32 v[4:5], v[4:5], v[80:81]
	v_add_f64_e32 v[8:9], v[8:9], v[118:119]
	v_mul_f64_e32 v[80:81], v[76:77], v[94:95]
	v_fmac_f64_e32 v[82:83], v[70:71], v[88:89]
	v_fma_f64 v[86:87], v[68:69], v[88:89], -v[90:91]
	v_fma_f64 v[76:77], v[76:77], v[92:93], -v[84:85]
	v_add_f64_e32 v[4:5], v[4:5], v[72:73]
	v_add_f64_e32 v[8:9], v[8:9], v[104:105]
	ds_load_b128 v[68:71], v2 offset:784
	ds_load_b128 v[72:75], v2 offset:800
	v_fmac_f64_e32 v[80:81], v[78:79], v[92:93]
	s_wait_loadcnt_dscnt 0x501
	v_mul_f64_e32 v[88:89], v[68:69], v[98:99]
	v_mul_f64_e32 v[90:91], v[70:71], v[98:99]
	s_wait_loadcnt_dscnt 0x400
	v_mul_f64_e32 v[84:85], v[74:75], v[102:103]
	v_add_f64_e32 v[4:5], v[4:5], v[86:87]
	v_add_f64_e32 v[8:9], v[8:9], v[82:83]
	v_mul_f64_e32 v[82:83], v[72:73], v[102:103]
	v_fmac_f64_e32 v[88:89], v[70:71], v[96:97]
	v_fma_f64 v[86:87], v[68:69], v[96:97], -v[90:91]
	v_fma_f64 v[72:73], v[72:73], v[100:101], -v[84:85]
	v_add_f64_e32 v[4:5], v[4:5], v[76:77]
	v_add_f64_e32 v[8:9], v[8:9], v[80:81]
	ds_load_b128 v[68:71], v2 offset:816
	ds_load_b128 v[76:79], v2 offset:832
	v_fmac_f64_e32 v[82:83], v[74:75], v[100:101]
	s_wait_loadcnt_dscnt 0x301
	v_mul_f64_e32 v[80:81], v[68:69], v[110:111]
	v_mul_f64_e32 v[90:91], v[70:71], v[110:111]
	s_wait_loadcnt_dscnt 0x0
	v_mul_f64_e32 v[74:75], v[76:77], v[12:13]
	v_add_f64_e32 v[4:5], v[4:5], v[86:87]
	v_add_f64_e32 v[8:9], v[8:9], v[88:89]
	v_mul_f64_e32 v[12:13], v[78:79], v[12:13]
	v_fmac_f64_e32 v[80:81], v[70:71], v[108:109]
	v_fma_f64 v[84:85], v[68:69], v[108:109], -v[90:91]
	ds_load_b128 v[68:71], v2 offset:848
	v_fmac_f64_e32 v[74:75], v[78:79], v[10:11]
	v_add_f64_e32 v[4:5], v[4:5], v[72:73]
	v_add_f64_e32 v[8:9], v[8:9], v[82:83]
	v_fma_f64 v[10:11], v[76:77], v[10:11], -v[12:13]
	s_wait_dscnt 0x0
	v_mul_f64_e32 v[72:73], v[68:69], v[122:123]
	v_mul_f64_e32 v[82:83], v[70:71], v[122:123]
	v_add_f64_e32 v[4:5], v[4:5], v[84:85]
	v_add_f64_e32 v[8:9], v[8:9], v[80:81]
	s_delay_alu instid0(VALU_DEP_4) | instskip(NEXT) | instid1(VALU_DEP_4)
	v_fmac_f64_e32 v[72:73], v[70:71], v[120:121]
	v_fma_f64 v[12:13], v[68:69], v[120:121], -v[82:83]
	s_delay_alu instid0(VALU_DEP_4) | instskip(NEXT) | instid1(VALU_DEP_4)
	v_add_f64_e32 v[4:5], v[4:5], v[10:11]
	v_add_f64_e32 v[8:9], v[8:9], v[74:75]
	s_delay_alu instid0(VALU_DEP_2) | instskip(NEXT) | instid1(VALU_DEP_2)
	v_add_f64_e32 v[4:5], v[4:5], v[12:13]
	v_add_f64_e32 v[10:11], v[8:9], v[72:73]
	s_delay_alu instid0(VALU_DEP_2) | instskip(NEXT) | instid1(VALU_DEP_2)
	v_add_f64_e64 v[8:9], v[112:113], -v[4:5]
	v_add_f64_e64 v[10:11], v[114:115], -v[10:11]
	scratch_store_b128 off, v[8:11], off offset:208
	s_wait_xcnt 0x0
	v_cmpx_lt_u32_e32 12, v1
	s_cbranch_execz .LBB26_151
; %bb.150:
	scratch_load_b128 v[8:11], off, s36
	v_dual_mov_b32 v3, v2 :: v_dual_mov_b32 v4, v2
	v_mov_b32_e32 v5, v2
	scratch_store_b128 off, v[2:5], off offset:192
	s_wait_loadcnt 0x0
	ds_store_b128 v6, v[8:11]
.LBB26_151:
	s_wait_xcnt 0x0
	s_or_b32 exec_lo, exec_lo, s2
	s_wait_storecnt_dscnt 0x0
	s_barrier_signal -1
	s_barrier_wait -1
	s_clause 0x9
	scratch_load_b128 v[8:11], off, off offset:208
	scratch_load_b128 v[68:71], off, off offset:224
	;; [unrolled: 1-line block ×10, first 2 shown]
	ds_load_b128 v[104:107], v2 offset:640
	ds_load_b128 v[112:115], v2 offset:656
	s_clause 0x1
	scratch_load_b128 v[108:111], off, off offset:368
	scratch_load_b128 v[116:119], off, off offset:192
	s_mov_b32 s2, exec_lo
	s_wait_loadcnt_dscnt 0xb01
	v_mul_f64_e32 v[4:5], v[106:107], v[10:11]
	v_mul_f64_e32 v[128:129], v[104:105], v[10:11]
	scratch_load_b128 v[10:13], off, off offset:384
	s_wait_loadcnt_dscnt 0xb00
	v_mul_f64_e32 v[130:131], v[112:113], v[70:71]
	v_mul_f64_e32 v[70:71], v[114:115], v[70:71]
	v_fma_f64 v[4:5], v[104:105], v[8:9], -v[4:5]
	v_fmac_f64_e32 v[128:129], v[106:107], v[8:9]
	ds_load_b128 v[104:107], v2 offset:672
	ds_load_b128 v[120:123], v2 offset:688
	scratch_load_b128 v[124:127], off, off offset:400
	v_fmac_f64_e32 v[130:131], v[114:115], v[68:69]
	v_fma_f64 v[112:113], v[112:113], v[68:69], -v[70:71]
	scratch_load_b128 v[68:71], off, off offset:416
	s_wait_loadcnt_dscnt 0xc01
	v_mul_f64_e32 v[8:9], v[104:105], v[74:75]
	v_mul_f64_e32 v[74:75], v[106:107], v[74:75]
	v_add_f64_e32 v[4:5], 0, v[4:5]
	v_add_f64_e32 v[114:115], 0, v[128:129]
	s_wait_loadcnt_dscnt 0xb00
	v_mul_f64_e32 v[128:129], v[120:121], v[78:79]
	v_mul_f64_e32 v[78:79], v[122:123], v[78:79]
	v_fmac_f64_e32 v[8:9], v[106:107], v[72:73]
	v_fma_f64 v[132:133], v[104:105], v[72:73], -v[74:75]
	ds_load_b128 v[72:75], v2 offset:704
	ds_load_b128 v[104:107], v2 offset:720
	v_add_f64_e32 v[4:5], v[4:5], v[112:113]
	v_add_f64_e32 v[112:113], v[114:115], v[130:131]
	v_fmac_f64_e32 v[128:129], v[122:123], v[76:77]
	v_fma_f64 v[76:77], v[120:121], v[76:77], -v[78:79]
	s_wait_loadcnt_dscnt 0xa01
	v_mul_f64_e32 v[114:115], v[72:73], v[82:83]
	v_mul_f64_e32 v[82:83], v[74:75], v[82:83]
	v_add_f64_e32 v[4:5], v[4:5], v[132:133]
	v_add_f64_e32 v[8:9], v[112:113], v[8:9]
	s_wait_loadcnt_dscnt 0x900
	v_mul_f64_e32 v[112:113], v[104:105], v[86:87]
	v_mul_f64_e32 v[86:87], v[106:107], v[86:87]
	v_fmac_f64_e32 v[114:115], v[74:75], v[80:81]
	v_fma_f64 v[80:81], v[72:73], v[80:81], -v[82:83]
	v_add_f64_e32 v[4:5], v[4:5], v[76:77]
	v_add_f64_e32 v[8:9], v[8:9], v[128:129]
	ds_load_b128 v[72:75], v2 offset:736
	ds_load_b128 v[76:79], v2 offset:752
	v_fmac_f64_e32 v[112:113], v[106:107], v[84:85]
	v_fma_f64 v[84:85], v[104:105], v[84:85], -v[86:87]
	s_wait_loadcnt_dscnt 0x801
	v_mul_f64_e32 v[120:121], v[72:73], v[90:91]
	v_mul_f64_e32 v[82:83], v[74:75], v[90:91]
	s_wait_loadcnt_dscnt 0x700
	v_mul_f64_e32 v[86:87], v[76:77], v[94:95]
	v_mul_f64_e32 v[90:91], v[78:79], v[94:95]
	v_add_f64_e32 v[4:5], v[4:5], v[80:81]
	v_add_f64_e32 v[8:9], v[8:9], v[114:115]
	v_fmac_f64_e32 v[120:121], v[74:75], v[88:89]
	v_fma_f64 v[88:89], v[72:73], v[88:89], -v[82:83]
	ds_load_b128 v[72:75], v2 offset:768
	ds_load_b128 v[80:83], v2 offset:784
	v_fmac_f64_e32 v[86:87], v[78:79], v[92:93]
	v_fma_f64 v[76:77], v[76:77], v[92:93], -v[90:91]
	v_add_f64_e32 v[4:5], v[4:5], v[84:85]
	v_add_f64_e32 v[8:9], v[8:9], v[112:113]
	s_wait_loadcnt_dscnt 0x601
	v_mul_f64_e32 v[84:85], v[72:73], v[98:99]
	v_mul_f64_e32 v[94:95], v[74:75], v[98:99]
	s_wait_loadcnt_dscnt 0x500
	v_mul_f64_e32 v[90:91], v[82:83], v[102:103]
	v_add_f64_e32 v[4:5], v[4:5], v[88:89]
	v_add_f64_e32 v[8:9], v[8:9], v[120:121]
	v_mul_f64_e32 v[88:89], v[80:81], v[102:103]
	v_fmac_f64_e32 v[84:85], v[74:75], v[96:97]
	v_fma_f64 v[92:93], v[72:73], v[96:97], -v[94:95]
	v_fma_f64 v[80:81], v[80:81], v[100:101], -v[90:91]
	v_add_f64_e32 v[4:5], v[4:5], v[76:77]
	v_add_f64_e32 v[8:9], v[8:9], v[86:87]
	ds_load_b128 v[72:75], v2 offset:800
	ds_load_b128 v[76:79], v2 offset:816
	v_fmac_f64_e32 v[88:89], v[82:83], v[100:101]
	s_wait_loadcnt_dscnt 0x401
	v_mul_f64_e32 v[86:87], v[72:73], v[110:111]
	v_mul_f64_e32 v[94:95], v[74:75], v[110:111]
	v_add_f64_e32 v[4:5], v[4:5], v[92:93]
	v_add_f64_e32 v[8:9], v[8:9], v[84:85]
	s_wait_loadcnt_dscnt 0x200
	v_mul_f64_e32 v[82:83], v[76:77], v[12:13]
	v_mul_f64_e32 v[12:13], v[78:79], v[12:13]
	v_fmac_f64_e32 v[86:87], v[74:75], v[108:109]
	v_fma_f64 v[84:85], v[72:73], v[108:109], -v[94:95]
	v_add_f64_e32 v[80:81], v[4:5], v[80:81]
	v_add_f64_e32 v[8:9], v[8:9], v[88:89]
	ds_load_b128 v[72:75], v2 offset:832
	ds_load_b128 v[2:5], v2 offset:848
	v_fmac_f64_e32 v[82:83], v[78:79], v[10:11]
	v_fma_f64 v[10:11], v[76:77], v[10:11], -v[12:13]
	s_wait_loadcnt_dscnt 0x101
	v_mul_f64_e32 v[88:89], v[72:73], v[126:127]
	v_mul_f64_e32 v[90:91], v[74:75], v[126:127]
	s_wait_loadcnt_dscnt 0x0
	v_mul_f64_e32 v[76:77], v[2:3], v[70:71]
	v_mul_f64_e32 v[70:71], v[4:5], v[70:71]
	v_add_f64_e32 v[12:13], v[80:81], v[84:85]
	v_add_f64_e32 v[8:9], v[8:9], v[86:87]
	v_fmac_f64_e32 v[88:89], v[74:75], v[124:125]
	v_fma_f64 v[72:73], v[72:73], v[124:125], -v[90:91]
	v_fmac_f64_e32 v[76:77], v[4:5], v[68:69]
	v_fma_f64 v[2:3], v[2:3], v[68:69], -v[70:71]
	v_add_f64_e32 v[10:11], v[12:13], v[10:11]
	v_add_f64_e32 v[8:9], v[8:9], v[82:83]
	s_delay_alu instid0(VALU_DEP_2) | instskip(NEXT) | instid1(VALU_DEP_2)
	v_add_f64_e32 v[4:5], v[10:11], v[72:73]
	v_add_f64_e32 v[8:9], v[8:9], v[88:89]
	s_delay_alu instid0(VALU_DEP_2) | instskip(NEXT) | instid1(VALU_DEP_2)
	;; [unrolled: 3-line block ×3, first 2 shown]
	v_add_f64_e64 v[2:3], v[116:117], -v[2:3]
	v_add_f64_e64 v[4:5], v[118:119], -v[4:5]
	scratch_store_b128 off, v[2:5], off offset:192
	s_wait_xcnt 0x0
	v_cmpx_lt_u32_e32 11, v1
	s_cbranch_execz .LBB26_153
; %bb.152:
	scratch_load_b128 v[2:5], off, s34
	v_mov_b32_e32 v8, 0
	s_delay_alu instid0(VALU_DEP_1)
	v_dual_mov_b32 v9, v8 :: v_dual_mov_b32 v10, v8
	v_mov_b32_e32 v11, v8
	scratch_store_b128 off, v[8:11], off offset:176
	s_wait_loadcnt 0x0
	ds_store_b128 v6, v[2:5]
.LBB26_153:
	s_wait_xcnt 0x0
	s_or_b32 exec_lo, exec_lo, s2
	s_wait_storecnt_dscnt 0x0
	s_barrier_signal -1
	s_barrier_wait -1
	s_clause 0x9
	scratch_load_b128 v[8:11], off, off offset:192
	scratch_load_b128 v[68:71], off, off offset:208
	;; [unrolled: 1-line block ×10, first 2 shown]
	v_mov_b32_e32 v2, 0
	s_mov_b32 s2, exec_lo
	ds_load_b128 v[104:107], v2 offset:624
	s_clause 0x2
	scratch_load_b128 v[108:111], off, off offset:352
	scratch_load_b128 v[112:115], off, off offset:176
	;; [unrolled: 1-line block ×3, first 2 shown]
	s_wait_loadcnt_dscnt 0xc00
	v_mul_f64_e32 v[4:5], v[106:107], v[10:11]
	v_mul_f64_e32 v[128:129], v[104:105], v[10:11]
	ds_load_b128 v[116:119], v2 offset:640
	scratch_load_b128 v[10:13], off, off offset:368
	ds_load_b128 v[124:127], v2 offset:672
	v_fma_f64 v[4:5], v[104:105], v[8:9], -v[4:5]
	v_fmac_f64_e32 v[128:129], v[106:107], v[8:9]
	ds_load_b128 v[104:107], v2 offset:656
	s_wait_loadcnt_dscnt 0xc02
	v_mul_f64_e32 v[130:131], v[116:117], v[70:71]
	v_mul_f64_e32 v[70:71], v[118:119], v[70:71]
	s_wait_loadcnt_dscnt 0xb00
	v_mul_f64_e32 v[8:9], v[104:105], v[74:75]
	v_mul_f64_e32 v[74:75], v[106:107], v[74:75]
	v_add_f64_e32 v[4:5], 0, v[4:5]
	v_fmac_f64_e32 v[130:131], v[118:119], v[68:69]
	v_fma_f64 v[116:117], v[116:117], v[68:69], -v[70:71]
	v_add_f64_e32 v[118:119], 0, v[128:129]
	scratch_load_b128 v[68:71], off, off offset:400
	v_fmac_f64_e32 v[8:9], v[106:107], v[72:73]
	v_fma_f64 v[132:133], v[104:105], v[72:73], -v[74:75]
	ds_load_b128 v[72:75], v2 offset:688
	s_wait_loadcnt 0xb
	v_mul_f64_e32 v[128:129], v[124:125], v[78:79]
	v_mul_f64_e32 v[78:79], v[126:127], v[78:79]
	scratch_load_b128 v[104:107], off, off offset:416
	v_add_f64_e32 v[4:5], v[4:5], v[116:117]
	v_add_f64_e32 v[130:131], v[118:119], v[130:131]
	ds_load_b128 v[116:119], v2 offset:704
	s_wait_loadcnt_dscnt 0xb01
	v_mul_f64_e32 v[134:135], v[72:73], v[82:83]
	v_mul_f64_e32 v[82:83], v[74:75], v[82:83]
	v_fmac_f64_e32 v[128:129], v[126:127], v[76:77]
	v_fma_f64 v[76:77], v[124:125], v[76:77], -v[78:79]
	s_wait_loadcnt_dscnt 0xa00
	v_mul_f64_e32 v[124:125], v[116:117], v[86:87]
	v_mul_f64_e32 v[86:87], v[118:119], v[86:87]
	v_add_f64_e32 v[4:5], v[4:5], v[132:133]
	v_add_f64_e32 v[8:9], v[130:131], v[8:9]
	v_fmac_f64_e32 v[134:135], v[74:75], v[80:81]
	v_fma_f64 v[80:81], v[72:73], v[80:81], -v[82:83]
	v_fmac_f64_e32 v[124:125], v[118:119], v[84:85]
	v_fma_f64 v[84:85], v[116:117], v[84:85], -v[86:87]
	v_add_f64_e32 v[4:5], v[4:5], v[76:77]
	v_add_f64_e32 v[8:9], v[8:9], v[128:129]
	ds_load_b128 v[72:75], v2 offset:720
	ds_load_b128 v[76:79], v2 offset:736
	s_wait_loadcnt_dscnt 0x901
	v_mul_f64_e32 v[126:127], v[72:73], v[90:91]
	v_mul_f64_e32 v[82:83], v[74:75], v[90:91]
	s_wait_loadcnt_dscnt 0x800
	v_mul_f64_e32 v[86:87], v[76:77], v[94:95]
	v_mul_f64_e32 v[90:91], v[78:79], v[94:95]
	v_add_f64_e32 v[4:5], v[4:5], v[80:81]
	v_add_f64_e32 v[8:9], v[8:9], v[134:135]
	v_fmac_f64_e32 v[126:127], v[74:75], v[88:89]
	v_fma_f64 v[88:89], v[72:73], v[88:89], -v[82:83]
	ds_load_b128 v[72:75], v2 offset:752
	ds_load_b128 v[80:83], v2 offset:768
	v_fmac_f64_e32 v[86:87], v[78:79], v[92:93]
	v_fma_f64 v[76:77], v[76:77], v[92:93], -v[90:91]
	v_add_f64_e32 v[4:5], v[4:5], v[84:85]
	v_add_f64_e32 v[8:9], v[8:9], v[124:125]
	s_wait_loadcnt_dscnt 0x701
	v_mul_f64_e32 v[84:85], v[72:73], v[98:99]
	v_mul_f64_e32 v[94:95], v[74:75], v[98:99]
	s_wait_loadcnt_dscnt 0x600
	v_mul_f64_e32 v[90:91], v[82:83], v[102:103]
	v_add_f64_e32 v[4:5], v[4:5], v[88:89]
	v_add_f64_e32 v[8:9], v[8:9], v[126:127]
	v_mul_f64_e32 v[88:89], v[80:81], v[102:103]
	v_fmac_f64_e32 v[84:85], v[74:75], v[96:97]
	v_fma_f64 v[92:93], v[72:73], v[96:97], -v[94:95]
	v_fma_f64 v[80:81], v[80:81], v[100:101], -v[90:91]
	v_add_f64_e32 v[4:5], v[4:5], v[76:77]
	v_add_f64_e32 v[8:9], v[8:9], v[86:87]
	ds_load_b128 v[72:75], v2 offset:784
	ds_load_b128 v[76:79], v2 offset:800
	v_fmac_f64_e32 v[88:89], v[82:83], v[100:101]
	s_wait_loadcnt_dscnt 0x501
	v_mul_f64_e32 v[86:87], v[72:73], v[110:111]
	v_mul_f64_e32 v[94:95], v[74:75], v[110:111]
	v_add_f64_e32 v[4:5], v[4:5], v[92:93]
	v_add_f64_e32 v[8:9], v[8:9], v[84:85]
	s_wait_loadcnt_dscnt 0x200
	v_mul_f64_e32 v[84:85], v[76:77], v[12:13]
	v_mul_f64_e32 v[12:13], v[78:79], v[12:13]
	v_fmac_f64_e32 v[86:87], v[74:75], v[108:109]
	v_fma_f64 v[90:91], v[72:73], v[108:109], -v[94:95]
	v_add_f64_e32 v[4:5], v[4:5], v[80:81]
	v_add_f64_e32 v[8:9], v[8:9], v[88:89]
	ds_load_b128 v[72:75], v2 offset:816
	ds_load_b128 v[80:83], v2 offset:832
	v_fmac_f64_e32 v[84:85], v[78:79], v[10:11]
	v_fma_f64 v[10:11], v[76:77], v[10:11], -v[12:13]
	s_wait_dscnt 0x1
	v_mul_f64_e32 v[88:89], v[72:73], v[122:123]
	v_mul_f64_e32 v[92:93], v[74:75], v[122:123]
	v_add_f64_e32 v[4:5], v[4:5], v[90:91]
	v_add_f64_e32 v[8:9], v[8:9], v[86:87]
	s_wait_loadcnt_dscnt 0x100
	v_mul_f64_e32 v[12:13], v[80:81], v[70:71]
	v_mul_f64_e32 v[70:71], v[82:83], v[70:71]
	v_fmac_f64_e32 v[88:89], v[74:75], v[120:121]
	v_fma_f64 v[72:73], v[72:73], v[120:121], -v[92:93]
	v_add_f64_e32 v[4:5], v[4:5], v[10:11]
	v_add_f64_e32 v[74:75], v[8:9], v[84:85]
	ds_load_b128 v[8:11], v2 offset:848
	v_fmac_f64_e32 v[12:13], v[82:83], v[68:69]
	v_fma_f64 v[68:69], v[80:81], v[68:69], -v[70:71]
	s_wait_loadcnt_dscnt 0x0
	v_mul_f64_e32 v[76:77], v[8:9], v[106:107]
	v_mul_f64_e32 v[78:79], v[10:11], v[106:107]
	v_add_f64_e32 v[4:5], v[4:5], v[72:73]
	v_add_f64_e32 v[70:71], v[74:75], v[88:89]
	s_delay_alu instid0(VALU_DEP_4) | instskip(NEXT) | instid1(VALU_DEP_4)
	v_fmac_f64_e32 v[76:77], v[10:11], v[104:105]
	v_fma_f64 v[8:9], v[8:9], v[104:105], -v[78:79]
	s_delay_alu instid0(VALU_DEP_4) | instskip(NEXT) | instid1(VALU_DEP_4)
	v_add_f64_e32 v[4:5], v[4:5], v[68:69]
	v_add_f64_e32 v[10:11], v[70:71], v[12:13]
	s_delay_alu instid0(VALU_DEP_2) | instskip(NEXT) | instid1(VALU_DEP_2)
	v_add_f64_e32 v[4:5], v[4:5], v[8:9]
	v_add_f64_e32 v[10:11], v[10:11], v[76:77]
	s_delay_alu instid0(VALU_DEP_2) | instskip(NEXT) | instid1(VALU_DEP_2)
	v_add_f64_e64 v[8:9], v[112:113], -v[4:5]
	v_add_f64_e64 v[10:11], v[114:115], -v[10:11]
	scratch_store_b128 off, v[8:11], off offset:176
	s_wait_xcnt 0x0
	v_cmpx_lt_u32_e32 10, v1
	s_cbranch_execz .LBB26_155
; %bb.154:
	scratch_load_b128 v[8:11], off, s29
	v_dual_mov_b32 v3, v2 :: v_dual_mov_b32 v4, v2
	v_mov_b32_e32 v5, v2
	scratch_store_b128 off, v[2:5], off offset:160
	s_wait_loadcnt 0x0
	ds_store_b128 v6, v[8:11]
.LBB26_155:
	s_wait_xcnt 0x0
	s_or_b32 exec_lo, exec_lo, s2
	s_wait_storecnt_dscnt 0x0
	s_barrier_signal -1
	s_barrier_wait -1
	s_clause 0x9
	scratch_load_b128 v[8:11], off, off offset:176
	scratch_load_b128 v[68:71], off, off offset:192
	;; [unrolled: 1-line block ×10, first 2 shown]
	ds_load_b128 v[104:107], v2 offset:608
	ds_load_b128 v[112:115], v2 offset:624
	s_clause 0x1
	scratch_load_b128 v[108:111], off, off offset:336
	scratch_load_b128 v[116:119], off, off offset:160
	s_mov_b32 s2, exec_lo
	s_wait_loadcnt_dscnt 0xb01
	v_mul_f64_e32 v[4:5], v[106:107], v[10:11]
	v_mul_f64_e32 v[128:129], v[104:105], v[10:11]
	scratch_load_b128 v[10:13], off, off offset:352
	s_wait_loadcnt_dscnt 0xb00
	v_mul_f64_e32 v[130:131], v[112:113], v[70:71]
	v_mul_f64_e32 v[70:71], v[114:115], v[70:71]
	v_fma_f64 v[4:5], v[104:105], v[8:9], -v[4:5]
	v_fmac_f64_e32 v[128:129], v[106:107], v[8:9]
	ds_load_b128 v[104:107], v2 offset:640
	ds_load_b128 v[120:123], v2 offset:656
	scratch_load_b128 v[124:127], off, off offset:368
	v_fmac_f64_e32 v[130:131], v[114:115], v[68:69]
	v_fma_f64 v[112:113], v[112:113], v[68:69], -v[70:71]
	scratch_load_b128 v[68:71], off, off offset:384
	s_wait_loadcnt_dscnt 0xc01
	v_mul_f64_e32 v[8:9], v[104:105], v[74:75]
	v_mul_f64_e32 v[74:75], v[106:107], v[74:75]
	v_add_f64_e32 v[4:5], 0, v[4:5]
	v_add_f64_e32 v[114:115], 0, v[128:129]
	s_wait_loadcnt_dscnt 0xb00
	v_mul_f64_e32 v[128:129], v[120:121], v[78:79]
	v_mul_f64_e32 v[78:79], v[122:123], v[78:79]
	v_fmac_f64_e32 v[8:9], v[106:107], v[72:73]
	v_fma_f64 v[132:133], v[104:105], v[72:73], -v[74:75]
	ds_load_b128 v[72:75], v2 offset:672
	ds_load_b128 v[104:107], v2 offset:688
	v_add_f64_e32 v[4:5], v[4:5], v[112:113]
	v_add_f64_e32 v[130:131], v[114:115], v[130:131]
	scratch_load_b128 v[112:115], off, off offset:400
	v_fmac_f64_e32 v[128:129], v[122:123], v[76:77]
	v_fma_f64 v[120:121], v[120:121], v[76:77], -v[78:79]
	scratch_load_b128 v[76:79], off, off offset:416
	s_wait_loadcnt_dscnt 0xc01
	v_mul_f64_e32 v[134:135], v[72:73], v[82:83]
	v_mul_f64_e32 v[82:83], v[74:75], v[82:83]
	s_wait_loadcnt_dscnt 0xb00
	v_mul_f64_e32 v[122:123], v[104:105], v[86:87]
	v_mul_f64_e32 v[86:87], v[106:107], v[86:87]
	v_add_f64_e32 v[4:5], v[4:5], v[132:133]
	v_add_f64_e32 v[8:9], v[130:131], v[8:9]
	v_fmac_f64_e32 v[134:135], v[74:75], v[80:81]
	v_fma_f64 v[130:131], v[72:73], v[80:81], -v[82:83]
	ds_load_b128 v[72:75], v2 offset:704
	ds_load_b128 v[80:83], v2 offset:720
	v_fmac_f64_e32 v[122:123], v[106:107], v[84:85]
	v_fma_f64 v[84:85], v[104:105], v[84:85], -v[86:87]
	s_wait_loadcnt_dscnt 0x900
	v_mul_f64_e32 v[104:105], v[80:81], v[94:95]
	v_add_f64_e32 v[4:5], v[4:5], v[120:121]
	v_add_f64_e32 v[8:9], v[8:9], v[128:129]
	v_mul_f64_e32 v[120:121], v[72:73], v[90:91]
	v_mul_f64_e32 v[90:91], v[74:75], v[90:91]
	;; [unrolled: 1-line block ×3, first 2 shown]
	v_fmac_f64_e32 v[104:105], v[82:83], v[92:93]
	v_add_f64_e32 v[4:5], v[4:5], v[130:131]
	v_add_f64_e32 v[8:9], v[8:9], v[134:135]
	v_fmac_f64_e32 v[120:121], v[74:75], v[88:89]
	v_fma_f64 v[88:89], v[72:73], v[88:89], -v[90:91]
	v_fma_f64 v[80:81], v[80:81], v[92:93], -v[94:95]
	v_add_f64_e32 v[4:5], v[4:5], v[84:85]
	v_add_f64_e32 v[8:9], v[8:9], v[122:123]
	ds_load_b128 v[72:75], v2 offset:736
	ds_load_b128 v[84:87], v2 offset:752
	s_wait_loadcnt_dscnt 0x801
	v_mul_f64_e32 v[90:91], v[72:73], v[98:99]
	v_mul_f64_e32 v[98:99], v[74:75], v[98:99]
	s_wait_loadcnt_dscnt 0x700
	v_mul_f64_e32 v[92:93], v[86:87], v[102:103]
	v_add_f64_e32 v[4:5], v[4:5], v[88:89]
	v_add_f64_e32 v[8:9], v[8:9], v[120:121]
	v_mul_f64_e32 v[88:89], v[84:85], v[102:103]
	v_fmac_f64_e32 v[90:91], v[74:75], v[96:97]
	v_fma_f64 v[94:95], v[72:73], v[96:97], -v[98:99]
	v_fma_f64 v[84:85], v[84:85], v[100:101], -v[92:93]
	v_add_f64_e32 v[4:5], v[4:5], v[80:81]
	v_add_f64_e32 v[8:9], v[8:9], v[104:105]
	ds_load_b128 v[72:75], v2 offset:768
	ds_load_b128 v[80:83], v2 offset:784
	v_fmac_f64_e32 v[88:89], v[86:87], v[100:101]
	s_wait_loadcnt_dscnt 0x601
	v_mul_f64_e32 v[96:97], v[72:73], v[110:111]
	v_mul_f64_e32 v[98:99], v[74:75], v[110:111]
	v_add_f64_e32 v[4:5], v[4:5], v[94:95]
	v_add_f64_e32 v[8:9], v[8:9], v[90:91]
	s_wait_loadcnt_dscnt 0x400
	v_mul_f64_e32 v[90:91], v[80:81], v[12:13]
	v_mul_f64_e32 v[12:13], v[82:83], v[12:13]
	v_fmac_f64_e32 v[96:97], v[74:75], v[108:109]
	v_fma_f64 v[92:93], v[72:73], v[108:109], -v[98:99]
	v_add_f64_e32 v[4:5], v[4:5], v[84:85]
	v_add_f64_e32 v[8:9], v[8:9], v[88:89]
	ds_load_b128 v[72:75], v2 offset:800
	ds_load_b128 v[84:87], v2 offset:816
	v_fmac_f64_e32 v[90:91], v[82:83], v[10:11]
	v_fma_f64 v[10:11], v[80:81], v[10:11], -v[12:13]
	s_wait_loadcnt_dscnt 0x301
	v_mul_f64_e32 v[88:89], v[72:73], v[126:127]
	v_mul_f64_e32 v[94:95], v[74:75], v[126:127]
	s_wait_loadcnt_dscnt 0x200
	v_mul_f64_e32 v[12:13], v[84:85], v[70:71]
	v_mul_f64_e32 v[70:71], v[86:87], v[70:71]
	v_add_f64_e32 v[4:5], v[4:5], v[92:93]
	v_add_f64_e32 v[8:9], v[8:9], v[96:97]
	v_fmac_f64_e32 v[88:89], v[74:75], v[124:125]
	v_fma_f64 v[72:73], v[72:73], v[124:125], -v[94:95]
	v_fmac_f64_e32 v[12:13], v[86:87], v[68:69]
	v_fma_f64 v[68:69], v[84:85], v[68:69], -v[70:71]
	v_add_f64_e32 v[74:75], v[4:5], v[10:11]
	v_add_f64_e32 v[80:81], v[8:9], v[90:91]
	ds_load_b128 v[8:11], v2 offset:832
	ds_load_b128 v[2:5], v2 offset:848
	s_wait_loadcnt_dscnt 0x101
	v_mul_f64_e32 v[82:83], v[8:9], v[114:115]
	v_mul_f64_e32 v[90:91], v[10:11], v[114:115]
	v_add_f64_e32 v[70:71], v[74:75], v[72:73]
	v_add_f64_e32 v[72:73], v[80:81], v[88:89]
	s_wait_loadcnt_dscnt 0x0
	v_mul_f64_e32 v[74:75], v[2:3], v[78:79]
	v_mul_f64_e32 v[78:79], v[4:5], v[78:79]
	v_fmac_f64_e32 v[82:83], v[10:11], v[112:113]
	v_fma_f64 v[8:9], v[8:9], v[112:113], -v[90:91]
	v_add_f64_e32 v[10:11], v[70:71], v[68:69]
	v_add_f64_e32 v[12:13], v[72:73], v[12:13]
	v_fmac_f64_e32 v[74:75], v[4:5], v[76:77]
	v_fma_f64 v[2:3], v[2:3], v[76:77], -v[78:79]
	s_delay_alu instid0(VALU_DEP_4) | instskip(NEXT) | instid1(VALU_DEP_4)
	v_add_f64_e32 v[4:5], v[10:11], v[8:9]
	v_add_f64_e32 v[8:9], v[12:13], v[82:83]
	s_delay_alu instid0(VALU_DEP_2) | instskip(NEXT) | instid1(VALU_DEP_2)
	v_add_f64_e32 v[2:3], v[4:5], v[2:3]
	v_add_f64_e32 v[4:5], v[8:9], v[74:75]
	s_delay_alu instid0(VALU_DEP_2) | instskip(NEXT) | instid1(VALU_DEP_2)
	v_add_f64_e64 v[2:3], v[116:117], -v[2:3]
	v_add_f64_e64 v[4:5], v[118:119], -v[4:5]
	scratch_store_b128 off, v[2:5], off offset:160
	s_wait_xcnt 0x0
	v_cmpx_lt_u32_e32 9, v1
	s_cbranch_execz .LBB26_157
; %bb.156:
	scratch_load_b128 v[2:5], off, s27
	v_mov_b32_e32 v8, 0
	s_delay_alu instid0(VALU_DEP_1)
	v_dual_mov_b32 v9, v8 :: v_dual_mov_b32 v10, v8
	v_mov_b32_e32 v11, v8
	scratch_store_b128 off, v[8:11], off offset:144
	s_wait_loadcnt 0x0
	ds_store_b128 v6, v[2:5]
.LBB26_157:
	s_wait_xcnt 0x0
	s_or_b32 exec_lo, exec_lo, s2
	s_wait_storecnt_dscnt 0x0
	s_barrier_signal -1
	s_barrier_wait -1
	s_clause 0x9
	scratch_load_b128 v[8:11], off, off offset:160
	scratch_load_b128 v[68:71], off, off offset:176
	;; [unrolled: 1-line block ×10, first 2 shown]
	v_mov_b32_e32 v2, 0
	s_mov_b32 s2, exec_lo
	ds_load_b128 v[104:107], v2 offset:592
	s_clause 0x2
	scratch_load_b128 v[108:111], off, off offset:320
	scratch_load_b128 v[112:115], off, off offset:144
	;; [unrolled: 1-line block ×3, first 2 shown]
	s_wait_loadcnt_dscnt 0xc00
	v_mul_f64_e32 v[4:5], v[106:107], v[10:11]
	v_mul_f64_e32 v[128:129], v[104:105], v[10:11]
	ds_load_b128 v[116:119], v2 offset:608
	scratch_load_b128 v[10:13], off, off offset:336
	ds_load_b128 v[124:127], v2 offset:640
	v_fma_f64 v[4:5], v[104:105], v[8:9], -v[4:5]
	v_fmac_f64_e32 v[128:129], v[106:107], v[8:9]
	ds_load_b128 v[104:107], v2 offset:624
	s_wait_loadcnt_dscnt 0xc02
	v_mul_f64_e32 v[130:131], v[116:117], v[70:71]
	v_mul_f64_e32 v[70:71], v[118:119], v[70:71]
	s_wait_loadcnt_dscnt 0xb00
	v_mul_f64_e32 v[8:9], v[104:105], v[74:75]
	v_mul_f64_e32 v[74:75], v[106:107], v[74:75]
	v_add_f64_e32 v[4:5], 0, v[4:5]
	v_fmac_f64_e32 v[130:131], v[118:119], v[68:69]
	v_fma_f64 v[116:117], v[116:117], v[68:69], -v[70:71]
	v_add_f64_e32 v[118:119], 0, v[128:129]
	scratch_load_b128 v[68:71], off, off offset:368
	v_fmac_f64_e32 v[8:9], v[106:107], v[72:73]
	v_fma_f64 v[132:133], v[104:105], v[72:73], -v[74:75]
	ds_load_b128 v[72:75], v2 offset:656
	s_wait_loadcnt 0xb
	v_mul_f64_e32 v[128:129], v[124:125], v[78:79]
	v_mul_f64_e32 v[78:79], v[126:127], v[78:79]
	scratch_load_b128 v[104:107], off, off offset:384
	v_add_f64_e32 v[4:5], v[4:5], v[116:117]
	v_add_f64_e32 v[130:131], v[118:119], v[130:131]
	ds_load_b128 v[116:119], v2 offset:672
	s_wait_loadcnt_dscnt 0xb01
	v_mul_f64_e32 v[134:135], v[72:73], v[82:83]
	v_mul_f64_e32 v[82:83], v[74:75], v[82:83]
	v_fmac_f64_e32 v[128:129], v[126:127], v[76:77]
	v_fma_f64 v[124:125], v[124:125], v[76:77], -v[78:79]
	scratch_load_b128 v[76:79], off, off offset:400
	v_add_f64_e32 v[4:5], v[4:5], v[132:133]
	v_add_f64_e32 v[8:9], v[130:131], v[8:9]
	v_fmac_f64_e32 v[134:135], v[74:75], v[80:81]
	v_fma_f64 v[132:133], v[72:73], v[80:81], -v[82:83]
	ds_load_b128 v[72:75], v2 offset:688
	s_wait_loadcnt_dscnt 0xb01
	v_mul_f64_e32 v[130:131], v[116:117], v[86:87]
	v_mul_f64_e32 v[86:87], v[118:119], v[86:87]
	scratch_load_b128 v[80:83], off, off offset:416
	v_add_f64_e32 v[4:5], v[4:5], v[124:125]
	v_add_f64_e32 v[8:9], v[8:9], v[128:129]
	s_wait_loadcnt_dscnt 0xb00
	v_mul_f64_e32 v[128:129], v[72:73], v[90:91]
	v_mul_f64_e32 v[90:91], v[74:75], v[90:91]
	ds_load_b128 v[124:127], v2 offset:704
	v_fmac_f64_e32 v[130:131], v[118:119], v[84:85]
	v_fma_f64 v[84:85], v[116:117], v[84:85], -v[86:87]
	s_wait_loadcnt_dscnt 0xa00
	v_mul_f64_e32 v[116:117], v[124:125], v[94:95]
	v_mul_f64_e32 v[94:95], v[126:127], v[94:95]
	v_add_f64_e32 v[4:5], v[4:5], v[132:133]
	v_add_f64_e32 v[8:9], v[8:9], v[134:135]
	v_fmac_f64_e32 v[128:129], v[74:75], v[88:89]
	v_fma_f64 v[88:89], v[72:73], v[88:89], -v[90:91]
	v_fmac_f64_e32 v[116:117], v[126:127], v[92:93]
	v_fma_f64 v[92:93], v[124:125], v[92:93], -v[94:95]
	v_add_f64_e32 v[4:5], v[4:5], v[84:85]
	v_add_f64_e32 v[8:9], v[8:9], v[130:131]
	ds_load_b128 v[72:75], v2 offset:720
	ds_load_b128 v[84:87], v2 offset:736
	s_wait_loadcnt_dscnt 0x901
	v_mul_f64_e32 v[118:119], v[72:73], v[98:99]
	v_mul_f64_e32 v[90:91], v[74:75], v[98:99]
	s_wait_loadcnt_dscnt 0x800
	v_mul_f64_e32 v[94:95], v[84:85], v[102:103]
	v_mul_f64_e32 v[98:99], v[86:87], v[102:103]
	v_add_f64_e32 v[4:5], v[4:5], v[88:89]
	v_add_f64_e32 v[8:9], v[8:9], v[128:129]
	v_fmac_f64_e32 v[118:119], v[74:75], v[96:97]
	v_fma_f64 v[96:97], v[72:73], v[96:97], -v[90:91]
	ds_load_b128 v[72:75], v2 offset:752
	ds_load_b128 v[88:91], v2 offset:768
	v_fmac_f64_e32 v[94:95], v[86:87], v[100:101]
	v_fma_f64 v[84:85], v[84:85], v[100:101], -v[98:99]
	v_add_f64_e32 v[4:5], v[4:5], v[92:93]
	v_add_f64_e32 v[8:9], v[8:9], v[116:117]
	s_wait_loadcnt_dscnt 0x701
	v_mul_f64_e32 v[92:93], v[72:73], v[110:111]
	v_mul_f64_e32 v[102:103], v[74:75], v[110:111]
	s_delay_alu instid0(VALU_DEP_4) | instskip(NEXT) | instid1(VALU_DEP_4)
	v_add_f64_e32 v[4:5], v[4:5], v[96:97]
	v_add_f64_e32 v[8:9], v[8:9], v[118:119]
	s_wait_loadcnt_dscnt 0x400
	v_mul_f64_e32 v[96:97], v[88:89], v[12:13]
	v_mul_f64_e32 v[12:13], v[90:91], v[12:13]
	v_fmac_f64_e32 v[92:93], v[74:75], v[108:109]
	v_fma_f64 v[98:99], v[72:73], v[108:109], -v[102:103]
	v_add_f64_e32 v[4:5], v[4:5], v[84:85]
	v_add_f64_e32 v[8:9], v[8:9], v[94:95]
	ds_load_b128 v[72:75], v2 offset:784
	ds_load_b128 v[84:87], v2 offset:800
	v_fmac_f64_e32 v[96:97], v[90:91], v[10:11]
	v_fma_f64 v[10:11], v[88:89], v[10:11], -v[12:13]
	s_wait_dscnt 0x1
	v_mul_f64_e32 v[94:95], v[72:73], v[122:123]
	v_mul_f64_e32 v[100:101], v[74:75], v[122:123]
	v_add_f64_e32 v[4:5], v[4:5], v[98:99]
	v_add_f64_e32 v[8:9], v[8:9], v[92:93]
	s_wait_loadcnt_dscnt 0x300
	v_mul_f64_e32 v[12:13], v[84:85], v[70:71]
	v_mul_f64_e32 v[88:89], v[86:87], v[70:71]
	v_fmac_f64_e32 v[94:95], v[74:75], v[120:121]
	v_fma_f64 v[74:75], v[72:73], v[120:121], -v[100:101]
	v_add_f64_e32 v[4:5], v[4:5], v[10:11]
	v_add_f64_e32 v[90:91], v[8:9], v[96:97]
	ds_load_b128 v[8:11], v2 offset:816
	ds_load_b128 v[70:73], v2 offset:832
	v_fmac_f64_e32 v[12:13], v[86:87], v[68:69]
	v_fma_f64 v[68:69], v[84:85], v[68:69], -v[88:89]
	s_wait_loadcnt_dscnt 0x201
	v_mul_f64_e32 v[92:93], v[8:9], v[106:107]
	v_mul_f64_e32 v[96:97], v[10:11], v[106:107]
	s_wait_loadcnt_dscnt 0x100
	v_mul_f64_e32 v[84:85], v[70:71], v[78:79]
	v_mul_f64_e32 v[78:79], v[72:73], v[78:79]
	v_add_f64_e32 v[4:5], v[4:5], v[74:75]
	v_add_f64_e32 v[74:75], v[90:91], v[94:95]
	v_fmac_f64_e32 v[92:93], v[10:11], v[104:105]
	v_fma_f64 v[86:87], v[8:9], v[104:105], -v[96:97]
	ds_load_b128 v[8:11], v2 offset:848
	v_fmac_f64_e32 v[84:85], v[72:73], v[76:77]
	v_fma_f64 v[70:71], v[70:71], v[76:77], -v[78:79]
	v_add_f64_e32 v[4:5], v[4:5], v[68:69]
	v_add_f64_e32 v[12:13], v[74:75], v[12:13]
	s_wait_loadcnt_dscnt 0x0
	v_mul_f64_e32 v[68:69], v[8:9], v[82:83]
	v_mul_f64_e32 v[74:75], v[10:11], v[82:83]
	s_delay_alu instid0(VALU_DEP_4) | instskip(NEXT) | instid1(VALU_DEP_4)
	v_add_f64_e32 v[4:5], v[4:5], v[86:87]
	v_add_f64_e32 v[12:13], v[12:13], v[92:93]
	s_delay_alu instid0(VALU_DEP_4) | instskip(NEXT) | instid1(VALU_DEP_4)
	v_fmac_f64_e32 v[68:69], v[10:11], v[80:81]
	v_fma_f64 v[8:9], v[8:9], v[80:81], -v[74:75]
	s_delay_alu instid0(VALU_DEP_4) | instskip(NEXT) | instid1(VALU_DEP_4)
	v_add_f64_e32 v[4:5], v[4:5], v[70:71]
	v_add_f64_e32 v[10:11], v[12:13], v[84:85]
	s_delay_alu instid0(VALU_DEP_2) | instskip(NEXT) | instid1(VALU_DEP_2)
	v_add_f64_e32 v[4:5], v[4:5], v[8:9]
	v_add_f64_e32 v[10:11], v[10:11], v[68:69]
	s_delay_alu instid0(VALU_DEP_2) | instskip(NEXT) | instid1(VALU_DEP_2)
	v_add_f64_e64 v[8:9], v[112:113], -v[4:5]
	v_add_f64_e64 v[10:11], v[114:115], -v[10:11]
	scratch_store_b128 off, v[8:11], off offset:144
	s_wait_xcnt 0x0
	v_cmpx_lt_u32_e32 8, v1
	s_cbranch_execz .LBB26_159
; %bb.158:
	scratch_load_b128 v[8:11], off, s26
	v_dual_mov_b32 v3, v2 :: v_dual_mov_b32 v4, v2
	v_mov_b32_e32 v5, v2
	scratch_store_b128 off, v[2:5], off offset:128
	s_wait_loadcnt 0x0
	ds_store_b128 v6, v[8:11]
.LBB26_159:
	s_wait_xcnt 0x0
	s_or_b32 exec_lo, exec_lo, s2
	s_wait_storecnt_dscnt 0x0
	s_barrier_signal -1
	s_barrier_wait -1
	s_clause 0x9
	scratch_load_b128 v[8:11], off, off offset:144
	scratch_load_b128 v[68:71], off, off offset:160
	;; [unrolled: 1-line block ×10, first 2 shown]
	ds_load_b128 v[104:107], v2 offset:576
	ds_load_b128 v[112:115], v2 offset:592
	s_clause 0x1
	scratch_load_b128 v[108:111], off, off offset:304
	scratch_load_b128 v[116:119], off, off offset:128
	s_mov_b32 s2, exec_lo
	s_wait_loadcnt_dscnt 0xb01
	v_mul_f64_e32 v[4:5], v[106:107], v[10:11]
	v_mul_f64_e32 v[128:129], v[104:105], v[10:11]
	scratch_load_b128 v[10:13], off, off offset:320
	s_wait_loadcnt_dscnt 0xb00
	v_mul_f64_e32 v[130:131], v[112:113], v[70:71]
	v_mul_f64_e32 v[70:71], v[114:115], v[70:71]
	v_fma_f64 v[4:5], v[104:105], v[8:9], -v[4:5]
	v_fmac_f64_e32 v[128:129], v[106:107], v[8:9]
	ds_load_b128 v[104:107], v2 offset:608
	ds_load_b128 v[120:123], v2 offset:624
	scratch_load_b128 v[124:127], off, off offset:336
	v_fmac_f64_e32 v[130:131], v[114:115], v[68:69]
	v_fma_f64 v[112:113], v[112:113], v[68:69], -v[70:71]
	scratch_load_b128 v[68:71], off, off offset:352
	s_wait_loadcnt_dscnt 0xc01
	v_mul_f64_e32 v[8:9], v[104:105], v[74:75]
	v_mul_f64_e32 v[74:75], v[106:107], v[74:75]
	v_add_f64_e32 v[4:5], 0, v[4:5]
	v_add_f64_e32 v[114:115], 0, v[128:129]
	s_wait_loadcnt_dscnt 0xb00
	v_mul_f64_e32 v[128:129], v[120:121], v[78:79]
	v_mul_f64_e32 v[78:79], v[122:123], v[78:79]
	v_fmac_f64_e32 v[8:9], v[106:107], v[72:73]
	v_fma_f64 v[132:133], v[104:105], v[72:73], -v[74:75]
	ds_load_b128 v[72:75], v2 offset:640
	ds_load_b128 v[104:107], v2 offset:656
	v_add_f64_e32 v[4:5], v[4:5], v[112:113]
	v_add_f64_e32 v[130:131], v[114:115], v[130:131]
	scratch_load_b128 v[112:115], off, off offset:368
	v_fmac_f64_e32 v[128:129], v[122:123], v[76:77]
	v_fma_f64 v[120:121], v[120:121], v[76:77], -v[78:79]
	scratch_load_b128 v[76:79], off, off offset:384
	s_wait_loadcnt_dscnt 0xc01
	v_mul_f64_e32 v[134:135], v[72:73], v[82:83]
	v_mul_f64_e32 v[82:83], v[74:75], v[82:83]
	v_add_f64_e32 v[4:5], v[4:5], v[132:133]
	v_add_f64_e32 v[8:9], v[130:131], v[8:9]
	s_wait_loadcnt_dscnt 0xb00
	v_mul_f64_e32 v[130:131], v[104:105], v[86:87]
	v_mul_f64_e32 v[86:87], v[106:107], v[86:87]
	v_fmac_f64_e32 v[134:135], v[74:75], v[80:81]
	v_fma_f64 v[132:133], v[72:73], v[80:81], -v[82:83]
	ds_load_b128 v[72:75], v2 offset:672
	ds_load_b128 v[80:83], v2 offset:688
	v_add_f64_e32 v[4:5], v[4:5], v[120:121]
	v_add_f64_e32 v[8:9], v[8:9], v[128:129]
	scratch_load_b128 v[120:123], off, off offset:400
	s_wait_loadcnt_dscnt 0xb01
	v_mul_f64_e32 v[128:129], v[72:73], v[90:91]
	v_mul_f64_e32 v[90:91], v[74:75], v[90:91]
	v_fmac_f64_e32 v[130:131], v[106:107], v[84:85]
	v_fma_f64 v[104:105], v[104:105], v[84:85], -v[86:87]
	scratch_load_b128 v[84:87], off, off offset:416
	s_wait_loadcnt_dscnt 0xb00
	v_mul_f64_e32 v[106:107], v[80:81], v[94:95]
	v_mul_f64_e32 v[94:95], v[82:83], v[94:95]
	v_add_f64_e32 v[4:5], v[4:5], v[132:133]
	v_add_f64_e32 v[8:9], v[8:9], v[134:135]
	v_fmac_f64_e32 v[128:129], v[74:75], v[88:89]
	v_fma_f64 v[132:133], v[72:73], v[88:89], -v[90:91]
	ds_load_b128 v[72:75], v2 offset:704
	ds_load_b128 v[88:91], v2 offset:720
	v_fmac_f64_e32 v[106:107], v[82:83], v[92:93]
	v_fma_f64 v[80:81], v[80:81], v[92:93], -v[94:95]
	s_wait_loadcnt_dscnt 0x900
	v_mul_f64_e32 v[92:93], v[88:89], v[102:103]
	v_mul_f64_e32 v[94:95], v[90:91], v[102:103]
	v_add_f64_e32 v[4:5], v[4:5], v[104:105]
	v_add_f64_e32 v[8:9], v[8:9], v[130:131]
	v_mul_f64_e32 v[104:105], v[72:73], v[98:99]
	v_mul_f64_e32 v[98:99], v[74:75], v[98:99]
	v_fmac_f64_e32 v[92:93], v[90:91], v[100:101]
	v_fma_f64 v[88:89], v[88:89], v[100:101], -v[94:95]
	v_add_f64_e32 v[4:5], v[4:5], v[132:133]
	v_add_f64_e32 v[8:9], v[8:9], v[128:129]
	v_fmac_f64_e32 v[104:105], v[74:75], v[96:97]
	v_fma_f64 v[96:97], v[72:73], v[96:97], -v[98:99]
	s_delay_alu instid0(VALU_DEP_4) | instskip(NEXT) | instid1(VALU_DEP_4)
	v_add_f64_e32 v[4:5], v[4:5], v[80:81]
	v_add_f64_e32 v[8:9], v[8:9], v[106:107]
	ds_load_b128 v[72:75], v2 offset:736
	ds_load_b128 v[80:83], v2 offset:752
	s_wait_loadcnt_dscnt 0x801
	v_mul_f64_e32 v[98:99], v[72:73], v[110:111]
	v_mul_f64_e32 v[102:103], v[74:75], v[110:111]
	v_add_f64_e32 v[4:5], v[4:5], v[96:97]
	v_add_f64_e32 v[8:9], v[8:9], v[104:105]
	s_wait_loadcnt_dscnt 0x600
	v_mul_f64_e32 v[94:95], v[80:81], v[12:13]
	v_mul_f64_e32 v[12:13], v[82:83], v[12:13]
	v_fmac_f64_e32 v[98:99], v[74:75], v[108:109]
	v_fma_f64 v[96:97], v[72:73], v[108:109], -v[102:103]
	v_add_f64_e32 v[4:5], v[4:5], v[88:89]
	v_add_f64_e32 v[8:9], v[8:9], v[92:93]
	ds_load_b128 v[72:75], v2 offset:768
	ds_load_b128 v[88:91], v2 offset:784
	v_fmac_f64_e32 v[94:95], v[82:83], v[10:11]
	v_fma_f64 v[10:11], v[80:81], v[10:11], -v[12:13]
	s_wait_loadcnt_dscnt 0x501
	v_mul_f64_e32 v[92:93], v[72:73], v[126:127]
	v_mul_f64_e32 v[100:101], v[74:75], v[126:127]
	s_wait_loadcnt_dscnt 0x400
	v_mul_f64_e32 v[12:13], v[88:89], v[70:71]
	v_mul_f64_e32 v[80:81], v[90:91], v[70:71]
	v_add_f64_e32 v[4:5], v[4:5], v[96:97]
	v_add_f64_e32 v[8:9], v[8:9], v[98:99]
	v_fmac_f64_e32 v[92:93], v[74:75], v[124:125]
	v_fma_f64 v[74:75], v[72:73], v[124:125], -v[100:101]
	v_fmac_f64_e32 v[12:13], v[90:91], v[68:69]
	v_fma_f64 v[68:69], v[88:89], v[68:69], -v[80:81]
	v_add_f64_e32 v[4:5], v[4:5], v[10:11]
	v_add_f64_e32 v[82:83], v[8:9], v[94:95]
	ds_load_b128 v[8:11], v2 offset:800
	ds_load_b128 v[70:73], v2 offset:816
	s_wait_loadcnt_dscnt 0x301
	v_mul_f64_e32 v[94:95], v[8:9], v[114:115]
	v_mul_f64_e32 v[96:97], v[10:11], v[114:115]
	s_wait_loadcnt_dscnt 0x200
	v_mul_f64_e32 v[80:81], v[70:71], v[78:79]
	v_mul_f64_e32 v[78:79], v[72:73], v[78:79]
	v_add_f64_e32 v[4:5], v[4:5], v[74:75]
	v_add_f64_e32 v[74:75], v[82:83], v[92:93]
	v_fmac_f64_e32 v[94:95], v[10:11], v[112:113]
	v_fma_f64 v[82:83], v[8:9], v[112:113], -v[96:97]
	v_fmac_f64_e32 v[80:81], v[72:73], v[76:77]
	v_fma_f64 v[70:71], v[70:71], v[76:77], -v[78:79]
	v_add_f64_e32 v[68:69], v[4:5], v[68:69]
	v_add_f64_e32 v[12:13], v[74:75], v[12:13]
	ds_load_b128 v[8:11], v2 offset:832
	ds_load_b128 v[2:5], v2 offset:848
	s_wait_loadcnt_dscnt 0x101
	v_mul_f64_e32 v[74:75], v[8:9], v[122:123]
	v_mul_f64_e32 v[88:89], v[10:11], v[122:123]
	s_wait_loadcnt_dscnt 0x0
	v_mul_f64_e32 v[72:73], v[2:3], v[86:87]
	v_mul_f64_e32 v[76:77], v[4:5], v[86:87]
	v_add_f64_e32 v[68:69], v[68:69], v[82:83]
	v_add_f64_e32 v[12:13], v[12:13], v[94:95]
	v_fmac_f64_e32 v[74:75], v[10:11], v[120:121]
	v_fma_f64 v[8:9], v[8:9], v[120:121], -v[88:89]
	v_fmac_f64_e32 v[72:73], v[4:5], v[84:85]
	v_fma_f64 v[2:3], v[2:3], v[84:85], -v[76:77]
	v_add_f64_e32 v[10:11], v[68:69], v[70:71]
	v_add_f64_e32 v[12:13], v[12:13], v[80:81]
	s_delay_alu instid0(VALU_DEP_2) | instskip(NEXT) | instid1(VALU_DEP_2)
	v_add_f64_e32 v[4:5], v[10:11], v[8:9]
	v_add_f64_e32 v[8:9], v[12:13], v[74:75]
	s_delay_alu instid0(VALU_DEP_2) | instskip(NEXT) | instid1(VALU_DEP_2)
	;; [unrolled: 3-line block ×3, first 2 shown]
	v_add_f64_e64 v[2:3], v[116:117], -v[2:3]
	v_add_f64_e64 v[4:5], v[118:119], -v[4:5]
	scratch_store_b128 off, v[2:5], off offset:128
	s_wait_xcnt 0x0
	v_cmpx_lt_u32_e32 7, v1
	s_cbranch_execz .LBB26_161
; %bb.160:
	scratch_load_b128 v[2:5], off, s35
	v_mov_b32_e32 v8, 0
	s_delay_alu instid0(VALU_DEP_1)
	v_dual_mov_b32 v9, v8 :: v_dual_mov_b32 v10, v8
	v_mov_b32_e32 v11, v8
	scratch_store_b128 off, v[8:11], off offset:112
	s_wait_loadcnt 0x0
	ds_store_b128 v6, v[2:5]
.LBB26_161:
	s_wait_xcnt 0x0
	s_or_b32 exec_lo, exec_lo, s2
	s_wait_storecnt_dscnt 0x0
	s_barrier_signal -1
	s_barrier_wait -1
	s_clause 0x9
	scratch_load_b128 v[8:11], off, off offset:128
	scratch_load_b128 v[68:71], off, off offset:144
	;; [unrolled: 1-line block ×10, first 2 shown]
	v_mov_b32_e32 v2, 0
	s_mov_b32 s2, exec_lo
	ds_load_b128 v[104:107], v2 offset:560
	s_clause 0x2
	scratch_load_b128 v[108:111], off, off offset:288
	scratch_load_b128 v[112:115], off, off offset:112
	;; [unrolled: 1-line block ×3, first 2 shown]
	s_wait_loadcnt_dscnt 0xc00
	v_mul_f64_e32 v[4:5], v[106:107], v[10:11]
	v_mul_f64_e32 v[128:129], v[104:105], v[10:11]
	ds_load_b128 v[116:119], v2 offset:576
	scratch_load_b128 v[10:13], off, off offset:304
	ds_load_b128 v[124:127], v2 offset:608
	v_fma_f64 v[4:5], v[104:105], v[8:9], -v[4:5]
	v_fmac_f64_e32 v[128:129], v[106:107], v[8:9]
	ds_load_b128 v[104:107], v2 offset:592
	s_wait_loadcnt_dscnt 0xc02
	v_mul_f64_e32 v[130:131], v[116:117], v[70:71]
	v_mul_f64_e32 v[70:71], v[118:119], v[70:71]
	s_wait_loadcnt_dscnt 0xb00
	v_mul_f64_e32 v[8:9], v[104:105], v[74:75]
	v_mul_f64_e32 v[74:75], v[106:107], v[74:75]
	v_add_f64_e32 v[4:5], 0, v[4:5]
	v_fmac_f64_e32 v[130:131], v[118:119], v[68:69]
	v_fma_f64 v[116:117], v[116:117], v[68:69], -v[70:71]
	v_add_f64_e32 v[118:119], 0, v[128:129]
	scratch_load_b128 v[68:71], off, off offset:336
	v_fmac_f64_e32 v[8:9], v[106:107], v[72:73]
	v_fma_f64 v[132:133], v[104:105], v[72:73], -v[74:75]
	ds_load_b128 v[72:75], v2 offset:624
	s_wait_loadcnt 0xb
	v_mul_f64_e32 v[128:129], v[124:125], v[78:79]
	v_mul_f64_e32 v[78:79], v[126:127], v[78:79]
	scratch_load_b128 v[104:107], off, off offset:352
	v_add_f64_e32 v[4:5], v[4:5], v[116:117]
	v_add_f64_e32 v[130:131], v[118:119], v[130:131]
	ds_load_b128 v[116:119], v2 offset:640
	s_wait_loadcnt_dscnt 0xb01
	v_mul_f64_e32 v[134:135], v[72:73], v[82:83]
	v_mul_f64_e32 v[82:83], v[74:75], v[82:83]
	v_fmac_f64_e32 v[128:129], v[126:127], v[76:77]
	v_fma_f64 v[124:125], v[124:125], v[76:77], -v[78:79]
	scratch_load_b128 v[76:79], off, off offset:368
	v_add_f64_e32 v[4:5], v[4:5], v[132:133]
	v_add_f64_e32 v[8:9], v[130:131], v[8:9]
	v_fmac_f64_e32 v[134:135], v[74:75], v[80:81]
	v_fma_f64 v[132:133], v[72:73], v[80:81], -v[82:83]
	ds_load_b128 v[72:75], v2 offset:656
	s_wait_loadcnt_dscnt 0xb01
	v_mul_f64_e32 v[130:131], v[116:117], v[86:87]
	v_mul_f64_e32 v[86:87], v[118:119], v[86:87]
	scratch_load_b128 v[80:83], off, off offset:384
	v_add_f64_e32 v[4:5], v[4:5], v[124:125]
	v_add_f64_e32 v[8:9], v[8:9], v[128:129]
	s_wait_loadcnt_dscnt 0xb00
	v_mul_f64_e32 v[128:129], v[72:73], v[90:91]
	v_mul_f64_e32 v[90:91], v[74:75], v[90:91]
	ds_load_b128 v[124:127], v2 offset:672
	v_fmac_f64_e32 v[130:131], v[118:119], v[84:85]
	v_fma_f64 v[116:117], v[116:117], v[84:85], -v[86:87]
	scratch_load_b128 v[84:87], off, off offset:400
	v_add_f64_e32 v[4:5], v[4:5], v[132:133]
	v_add_f64_e32 v[8:9], v[8:9], v[134:135]
	v_fmac_f64_e32 v[128:129], v[74:75], v[88:89]
	v_fma_f64 v[134:135], v[72:73], v[88:89], -v[90:91]
	ds_load_b128 v[72:75], v2 offset:688
	s_wait_loadcnt_dscnt 0xb01
	v_mul_f64_e32 v[132:133], v[124:125], v[94:95]
	v_mul_f64_e32 v[94:95], v[126:127], v[94:95]
	scratch_load_b128 v[88:91], off, off offset:416
	v_add_f64_e32 v[4:5], v[4:5], v[116:117]
	v_add_f64_e32 v[8:9], v[8:9], v[130:131]
	s_wait_loadcnt_dscnt 0xb00
	v_mul_f64_e32 v[130:131], v[72:73], v[98:99]
	v_mul_f64_e32 v[98:99], v[74:75], v[98:99]
	ds_load_b128 v[116:119], v2 offset:704
	v_fmac_f64_e32 v[132:133], v[126:127], v[92:93]
	v_fma_f64 v[92:93], v[124:125], v[92:93], -v[94:95]
	s_wait_loadcnt_dscnt 0xa00
	v_mul_f64_e32 v[124:125], v[116:117], v[102:103]
	v_mul_f64_e32 v[102:103], v[118:119], v[102:103]
	v_add_f64_e32 v[4:5], v[4:5], v[134:135]
	v_add_f64_e32 v[8:9], v[8:9], v[128:129]
	v_fmac_f64_e32 v[130:131], v[74:75], v[96:97]
	v_fma_f64 v[96:97], v[72:73], v[96:97], -v[98:99]
	v_fmac_f64_e32 v[124:125], v[118:119], v[100:101]
	v_fma_f64 v[100:101], v[116:117], v[100:101], -v[102:103]
	v_add_f64_e32 v[4:5], v[4:5], v[92:93]
	v_add_f64_e32 v[8:9], v[8:9], v[132:133]
	ds_load_b128 v[72:75], v2 offset:720
	ds_load_b128 v[92:95], v2 offset:736
	s_wait_loadcnt_dscnt 0x901
	v_mul_f64_e32 v[126:127], v[72:73], v[110:111]
	v_mul_f64_e32 v[98:99], v[74:75], v[110:111]
	s_wait_loadcnt_dscnt 0x600
	v_mul_f64_e32 v[102:103], v[92:93], v[12:13]
	v_add_f64_e32 v[4:5], v[4:5], v[96:97]
	v_add_f64_e32 v[8:9], v[8:9], v[130:131]
	v_mul_f64_e32 v[12:13], v[94:95], v[12:13]
	v_fmac_f64_e32 v[126:127], v[74:75], v[108:109]
	v_fma_f64 v[108:109], v[72:73], v[108:109], -v[98:99]
	ds_load_b128 v[72:75], v2 offset:752
	ds_load_b128 v[96:99], v2 offset:768
	v_fmac_f64_e32 v[102:103], v[94:95], v[10:11]
	v_add_f64_e32 v[4:5], v[4:5], v[100:101]
	v_add_f64_e32 v[8:9], v[8:9], v[124:125]
	v_fma_f64 v[10:11], v[92:93], v[10:11], -v[12:13]
	s_wait_dscnt 0x1
	v_mul_f64_e32 v[100:101], v[72:73], v[122:123]
	v_mul_f64_e32 v[110:111], v[74:75], v[122:123]
	v_add_f64_e32 v[4:5], v[4:5], v[108:109]
	v_add_f64_e32 v[8:9], v[8:9], v[126:127]
	s_wait_loadcnt_dscnt 0x500
	v_mul_f64_e32 v[12:13], v[96:97], v[70:71]
	v_mul_f64_e32 v[92:93], v[98:99], v[70:71]
	v_fmac_f64_e32 v[100:101], v[74:75], v[120:121]
	v_fma_f64 v[74:75], v[72:73], v[120:121], -v[110:111]
	v_add_f64_e32 v[4:5], v[4:5], v[10:11]
	v_add_f64_e32 v[94:95], v[8:9], v[102:103]
	ds_load_b128 v[8:11], v2 offset:784
	ds_load_b128 v[70:73], v2 offset:800
	v_fmac_f64_e32 v[12:13], v[98:99], v[68:69]
	v_fma_f64 v[68:69], v[96:97], v[68:69], -v[92:93]
	s_wait_loadcnt_dscnt 0x401
	v_mul_f64_e32 v[102:103], v[8:9], v[106:107]
	v_mul_f64_e32 v[106:107], v[10:11], v[106:107]
	s_wait_loadcnt_dscnt 0x300
	v_mul_f64_e32 v[96:97], v[70:71], v[78:79]
	v_mul_f64_e32 v[78:79], v[72:73], v[78:79]
	v_add_f64_e32 v[4:5], v[4:5], v[74:75]
	v_add_f64_e32 v[74:75], v[94:95], v[100:101]
	v_fmac_f64_e32 v[102:103], v[10:11], v[104:105]
	v_fma_f64 v[98:99], v[8:9], v[104:105], -v[106:107]
	ds_load_b128 v[8:11], v2 offset:816
	ds_load_b128 v[92:95], v2 offset:832
	v_fmac_f64_e32 v[96:97], v[72:73], v[76:77]
	v_fma_f64 v[70:71], v[70:71], v[76:77], -v[78:79]
	v_add_f64_e32 v[4:5], v[4:5], v[68:69]
	v_add_f64_e32 v[12:13], v[74:75], v[12:13]
	s_wait_loadcnt_dscnt 0x201
	v_mul_f64_e32 v[68:69], v[8:9], v[82:83]
	v_mul_f64_e32 v[74:75], v[10:11], v[82:83]
	s_wait_loadcnt_dscnt 0x100
	v_mul_f64_e32 v[72:73], v[92:93], v[86:87]
	v_mul_f64_e32 v[76:77], v[94:95], v[86:87]
	v_add_f64_e32 v[4:5], v[4:5], v[98:99]
	v_add_f64_e32 v[12:13], v[12:13], v[102:103]
	v_fmac_f64_e32 v[68:69], v[10:11], v[80:81]
	v_fma_f64 v[74:75], v[8:9], v[80:81], -v[74:75]
	ds_load_b128 v[8:11], v2 offset:848
	v_fmac_f64_e32 v[72:73], v[94:95], v[84:85]
	v_fma_f64 v[76:77], v[92:93], v[84:85], -v[76:77]
	s_wait_loadcnt_dscnt 0x0
	v_mul_f64_e32 v[78:79], v[10:11], v[90:91]
	v_add_f64_e32 v[4:5], v[4:5], v[70:71]
	v_add_f64_e32 v[12:13], v[12:13], v[96:97]
	v_mul_f64_e32 v[70:71], v[8:9], v[90:91]
	s_delay_alu instid0(VALU_DEP_4) | instskip(NEXT) | instid1(VALU_DEP_4)
	v_fma_f64 v[8:9], v[8:9], v[88:89], -v[78:79]
	v_add_f64_e32 v[4:5], v[4:5], v[74:75]
	s_delay_alu instid0(VALU_DEP_4) | instskip(NEXT) | instid1(VALU_DEP_4)
	v_add_f64_e32 v[12:13], v[12:13], v[68:69]
	v_fmac_f64_e32 v[70:71], v[10:11], v[88:89]
	s_delay_alu instid0(VALU_DEP_3) | instskip(NEXT) | instid1(VALU_DEP_3)
	v_add_f64_e32 v[4:5], v[4:5], v[76:77]
	v_add_f64_e32 v[10:11], v[12:13], v[72:73]
	s_delay_alu instid0(VALU_DEP_2) | instskip(NEXT) | instid1(VALU_DEP_2)
	v_add_f64_e32 v[4:5], v[4:5], v[8:9]
	v_add_f64_e32 v[10:11], v[10:11], v[70:71]
	s_delay_alu instid0(VALU_DEP_2) | instskip(NEXT) | instid1(VALU_DEP_2)
	v_add_f64_e64 v[8:9], v[112:113], -v[4:5]
	v_add_f64_e64 v[10:11], v[114:115], -v[10:11]
	scratch_store_b128 off, v[8:11], off offset:112
	s_wait_xcnt 0x0
	v_cmpx_lt_u32_e32 6, v1
	s_cbranch_execz .LBB26_163
; %bb.162:
	scratch_load_b128 v[8:11], off, s31
	v_dual_mov_b32 v3, v2 :: v_dual_mov_b32 v4, v2
	v_mov_b32_e32 v5, v2
	scratch_store_b128 off, v[2:5], off offset:96
	s_wait_loadcnt 0x0
	ds_store_b128 v6, v[8:11]
.LBB26_163:
	s_wait_xcnt 0x0
	s_or_b32 exec_lo, exec_lo, s2
	s_wait_storecnt_dscnt 0x0
	s_barrier_signal -1
	s_barrier_wait -1
	s_clause 0x9
	scratch_load_b128 v[8:11], off, off offset:112
	scratch_load_b128 v[68:71], off, off offset:128
	;; [unrolled: 1-line block ×10, first 2 shown]
	ds_load_b128 v[104:107], v2 offset:544
	ds_load_b128 v[112:115], v2 offset:560
	s_clause 0x1
	scratch_load_b128 v[108:111], off, off offset:272
	scratch_load_b128 v[116:119], off, off offset:96
	s_mov_b32 s2, exec_lo
	s_wait_loadcnt_dscnt 0xb01
	v_mul_f64_e32 v[4:5], v[106:107], v[10:11]
	v_mul_f64_e32 v[128:129], v[104:105], v[10:11]
	scratch_load_b128 v[10:13], off, off offset:288
	s_wait_loadcnt_dscnt 0xb00
	v_mul_f64_e32 v[130:131], v[112:113], v[70:71]
	v_mul_f64_e32 v[70:71], v[114:115], v[70:71]
	v_fma_f64 v[4:5], v[104:105], v[8:9], -v[4:5]
	v_fmac_f64_e32 v[128:129], v[106:107], v[8:9]
	ds_load_b128 v[104:107], v2 offset:576
	ds_load_b128 v[120:123], v2 offset:592
	scratch_load_b128 v[124:127], off, off offset:304
	v_fmac_f64_e32 v[130:131], v[114:115], v[68:69]
	v_fma_f64 v[112:113], v[112:113], v[68:69], -v[70:71]
	scratch_load_b128 v[68:71], off, off offset:320
	s_wait_loadcnt_dscnt 0xc01
	v_mul_f64_e32 v[8:9], v[104:105], v[74:75]
	v_mul_f64_e32 v[74:75], v[106:107], v[74:75]
	v_add_f64_e32 v[4:5], 0, v[4:5]
	v_add_f64_e32 v[114:115], 0, v[128:129]
	s_wait_loadcnt_dscnt 0xb00
	v_mul_f64_e32 v[128:129], v[120:121], v[78:79]
	v_mul_f64_e32 v[78:79], v[122:123], v[78:79]
	v_fmac_f64_e32 v[8:9], v[106:107], v[72:73]
	v_fma_f64 v[132:133], v[104:105], v[72:73], -v[74:75]
	ds_load_b128 v[72:75], v2 offset:608
	ds_load_b128 v[104:107], v2 offset:624
	v_add_f64_e32 v[4:5], v[4:5], v[112:113]
	v_add_f64_e32 v[130:131], v[114:115], v[130:131]
	scratch_load_b128 v[112:115], off, off offset:336
	v_fmac_f64_e32 v[128:129], v[122:123], v[76:77]
	v_fma_f64 v[120:121], v[120:121], v[76:77], -v[78:79]
	scratch_load_b128 v[76:79], off, off offset:352
	s_wait_loadcnt_dscnt 0xc01
	v_mul_f64_e32 v[134:135], v[72:73], v[82:83]
	v_mul_f64_e32 v[82:83], v[74:75], v[82:83]
	v_add_f64_e32 v[4:5], v[4:5], v[132:133]
	v_add_f64_e32 v[8:9], v[130:131], v[8:9]
	s_wait_loadcnt_dscnt 0xb00
	v_mul_f64_e32 v[130:131], v[104:105], v[86:87]
	v_mul_f64_e32 v[86:87], v[106:107], v[86:87]
	v_fmac_f64_e32 v[134:135], v[74:75], v[80:81]
	v_fma_f64 v[132:133], v[72:73], v[80:81], -v[82:83]
	ds_load_b128 v[72:75], v2 offset:640
	ds_load_b128 v[80:83], v2 offset:656
	v_add_f64_e32 v[4:5], v[4:5], v[120:121]
	v_add_f64_e32 v[8:9], v[8:9], v[128:129]
	scratch_load_b128 v[120:123], off, off offset:368
	s_wait_loadcnt_dscnt 0xb01
	v_mul_f64_e32 v[128:129], v[72:73], v[90:91]
	v_mul_f64_e32 v[90:91], v[74:75], v[90:91]
	v_fmac_f64_e32 v[130:131], v[106:107], v[84:85]
	v_fma_f64 v[104:105], v[104:105], v[84:85], -v[86:87]
	scratch_load_b128 v[84:87], off, off offset:384
	v_add_f64_e32 v[4:5], v[4:5], v[132:133]
	v_add_f64_e32 v[8:9], v[8:9], v[134:135]
	s_wait_loadcnt_dscnt 0xb00
	v_mul_f64_e32 v[132:133], v[80:81], v[94:95]
	v_mul_f64_e32 v[94:95], v[82:83], v[94:95]
	v_fmac_f64_e32 v[128:129], v[74:75], v[88:89]
	v_fma_f64 v[134:135], v[72:73], v[88:89], -v[90:91]
	ds_load_b128 v[72:75], v2 offset:672
	ds_load_b128 v[88:91], v2 offset:688
	v_add_f64_e32 v[4:5], v[4:5], v[104:105]
	v_add_f64_e32 v[8:9], v[8:9], v[130:131]
	scratch_load_b128 v[104:107], off, off offset:400
	s_wait_loadcnt_dscnt 0xb01
	v_mul_f64_e32 v[130:131], v[72:73], v[98:99]
	v_mul_f64_e32 v[98:99], v[74:75], v[98:99]
	v_fmac_f64_e32 v[132:133], v[82:83], v[92:93]
	v_fma_f64 v[92:93], v[80:81], v[92:93], -v[94:95]
	scratch_load_b128 v[80:83], off, off offset:416
	v_add_f64_e32 v[4:5], v[4:5], v[134:135]
	v_add_f64_e32 v[8:9], v[8:9], v[128:129]
	s_wait_loadcnt_dscnt 0xb00
	v_mul_f64_e32 v[128:129], v[88:89], v[102:103]
	v_mul_f64_e32 v[102:103], v[90:91], v[102:103]
	v_fmac_f64_e32 v[130:131], v[74:75], v[96:97]
	v_fma_f64 v[96:97], v[72:73], v[96:97], -v[98:99]
	v_add_f64_e32 v[4:5], v[4:5], v[92:93]
	v_add_f64_e32 v[8:9], v[8:9], v[132:133]
	ds_load_b128 v[72:75], v2 offset:704
	ds_load_b128 v[92:95], v2 offset:720
	v_fmac_f64_e32 v[128:129], v[90:91], v[100:101]
	v_fma_f64 v[88:89], v[88:89], v[100:101], -v[102:103]
	s_wait_loadcnt_dscnt 0xa01
	v_mul_f64_e32 v[98:99], v[72:73], v[110:111]
	v_mul_f64_e32 v[110:111], v[74:75], v[110:111]
	v_add_f64_e32 v[4:5], v[4:5], v[96:97]
	v_add_f64_e32 v[8:9], v[8:9], v[130:131]
	s_wait_loadcnt_dscnt 0x800
	v_mul_f64_e32 v[96:97], v[92:93], v[12:13]
	v_mul_f64_e32 v[12:13], v[94:95], v[12:13]
	v_fmac_f64_e32 v[98:99], v[74:75], v[108:109]
	v_fma_f64 v[100:101], v[72:73], v[108:109], -v[110:111]
	v_add_f64_e32 v[4:5], v[4:5], v[88:89]
	v_add_f64_e32 v[8:9], v[8:9], v[128:129]
	ds_load_b128 v[72:75], v2 offset:736
	ds_load_b128 v[88:91], v2 offset:752
	v_fmac_f64_e32 v[96:97], v[94:95], v[10:11]
	v_fma_f64 v[10:11], v[92:93], v[10:11], -v[12:13]
	s_wait_loadcnt_dscnt 0x701
	v_mul_f64_e32 v[102:103], v[72:73], v[126:127]
	v_mul_f64_e32 v[108:109], v[74:75], v[126:127]
	s_wait_loadcnt_dscnt 0x600
	v_mul_f64_e32 v[12:13], v[88:89], v[70:71]
	v_mul_f64_e32 v[92:93], v[90:91], v[70:71]
	v_add_f64_e32 v[4:5], v[4:5], v[100:101]
	v_add_f64_e32 v[8:9], v[8:9], v[98:99]
	v_fmac_f64_e32 v[102:103], v[74:75], v[124:125]
	v_fma_f64 v[74:75], v[72:73], v[124:125], -v[108:109]
	v_fmac_f64_e32 v[12:13], v[90:91], v[68:69]
	v_fma_f64 v[68:69], v[88:89], v[68:69], -v[92:93]
	v_add_f64_e32 v[4:5], v[4:5], v[10:11]
	v_add_f64_e32 v[94:95], v[8:9], v[96:97]
	ds_load_b128 v[8:11], v2 offset:768
	ds_load_b128 v[70:73], v2 offset:784
	s_wait_loadcnt_dscnt 0x501
	v_mul_f64_e32 v[96:97], v[8:9], v[114:115]
	v_mul_f64_e32 v[98:99], v[10:11], v[114:115]
	s_wait_loadcnt_dscnt 0x400
	v_mul_f64_e32 v[92:93], v[70:71], v[78:79]
	v_mul_f64_e32 v[78:79], v[72:73], v[78:79]
	v_add_f64_e32 v[4:5], v[4:5], v[74:75]
	v_add_f64_e32 v[74:75], v[94:95], v[102:103]
	v_fmac_f64_e32 v[96:97], v[10:11], v[112:113]
	v_fma_f64 v[94:95], v[8:9], v[112:113], -v[98:99]
	ds_load_b128 v[8:11], v2 offset:800
	ds_load_b128 v[88:91], v2 offset:816
	v_fmac_f64_e32 v[92:93], v[72:73], v[76:77]
	v_fma_f64 v[70:71], v[70:71], v[76:77], -v[78:79]
	v_add_f64_e32 v[4:5], v[4:5], v[68:69]
	v_add_f64_e32 v[12:13], v[74:75], v[12:13]
	s_wait_loadcnt_dscnt 0x301
	v_mul_f64_e32 v[68:69], v[8:9], v[122:123]
	v_mul_f64_e32 v[74:75], v[10:11], v[122:123]
	s_wait_loadcnt_dscnt 0x200
	v_mul_f64_e32 v[72:73], v[88:89], v[86:87]
	v_mul_f64_e32 v[76:77], v[90:91], v[86:87]
	v_add_f64_e32 v[4:5], v[4:5], v[94:95]
	v_add_f64_e32 v[12:13], v[12:13], v[96:97]
	v_fmac_f64_e32 v[68:69], v[10:11], v[120:121]
	v_fma_f64 v[74:75], v[8:9], v[120:121], -v[74:75]
	v_fmac_f64_e32 v[72:73], v[90:91], v[84:85]
	v_fma_f64 v[76:77], v[88:89], v[84:85], -v[76:77]
	v_add_f64_e32 v[70:71], v[4:5], v[70:71]
	v_add_f64_e32 v[12:13], v[12:13], v[92:93]
	ds_load_b128 v[8:11], v2 offset:832
	ds_load_b128 v[2:5], v2 offset:848
	s_wait_loadcnt_dscnt 0x101
	v_mul_f64_e32 v[78:79], v[8:9], v[106:107]
	v_mul_f64_e32 v[86:87], v[10:11], v[106:107]
	v_add_f64_e32 v[70:71], v[70:71], v[74:75]
	v_add_f64_e32 v[12:13], v[12:13], v[68:69]
	s_wait_loadcnt_dscnt 0x0
	v_mul_f64_e32 v[68:69], v[2:3], v[82:83]
	v_mul_f64_e32 v[74:75], v[4:5], v[82:83]
	v_fmac_f64_e32 v[78:79], v[10:11], v[104:105]
	v_fma_f64 v[8:9], v[8:9], v[104:105], -v[86:87]
	v_add_f64_e32 v[10:11], v[70:71], v[76:77]
	v_add_f64_e32 v[12:13], v[12:13], v[72:73]
	v_fmac_f64_e32 v[68:69], v[4:5], v[80:81]
	v_fma_f64 v[2:3], v[2:3], v[80:81], -v[74:75]
	s_delay_alu instid0(VALU_DEP_4) | instskip(NEXT) | instid1(VALU_DEP_4)
	v_add_f64_e32 v[4:5], v[10:11], v[8:9]
	v_add_f64_e32 v[8:9], v[12:13], v[78:79]
	s_delay_alu instid0(VALU_DEP_2) | instskip(NEXT) | instid1(VALU_DEP_2)
	v_add_f64_e32 v[2:3], v[4:5], v[2:3]
	v_add_f64_e32 v[4:5], v[8:9], v[68:69]
	s_delay_alu instid0(VALU_DEP_2) | instskip(NEXT) | instid1(VALU_DEP_2)
	v_add_f64_e64 v[2:3], v[116:117], -v[2:3]
	v_add_f64_e64 v[4:5], v[118:119], -v[4:5]
	scratch_store_b128 off, v[2:5], off offset:96
	s_wait_xcnt 0x0
	v_cmpx_lt_u32_e32 5, v1
	s_cbranch_execz .LBB26_165
; %bb.164:
	scratch_load_b128 v[2:5], off, s28
	v_mov_b32_e32 v8, 0
	s_delay_alu instid0(VALU_DEP_1)
	v_dual_mov_b32 v9, v8 :: v_dual_mov_b32 v10, v8
	v_mov_b32_e32 v11, v8
	scratch_store_b128 off, v[8:11], off offset:80
	s_wait_loadcnt 0x0
	ds_store_b128 v6, v[2:5]
.LBB26_165:
	s_wait_xcnt 0x0
	s_or_b32 exec_lo, exec_lo, s2
	s_wait_storecnt_dscnt 0x0
	s_barrier_signal -1
	s_barrier_wait -1
	s_clause 0x9
	scratch_load_b128 v[8:11], off, off offset:96
	scratch_load_b128 v[68:71], off, off offset:112
	;; [unrolled: 1-line block ×10, first 2 shown]
	v_mov_b32_e32 v2, 0
	s_mov_b32 s2, exec_lo
	ds_load_b128 v[104:107], v2 offset:528
	s_clause 0x2
	scratch_load_b128 v[108:111], off, off offset:256
	scratch_load_b128 v[112:115], off, off offset:80
	;; [unrolled: 1-line block ×3, first 2 shown]
	s_wait_loadcnt_dscnt 0xc00
	v_mul_f64_e32 v[4:5], v[106:107], v[10:11]
	v_mul_f64_e32 v[128:129], v[104:105], v[10:11]
	ds_load_b128 v[116:119], v2 offset:544
	scratch_load_b128 v[10:13], off, off offset:272
	ds_load_b128 v[124:127], v2 offset:576
	v_fma_f64 v[4:5], v[104:105], v[8:9], -v[4:5]
	v_fmac_f64_e32 v[128:129], v[106:107], v[8:9]
	ds_load_b128 v[104:107], v2 offset:560
	s_wait_loadcnt_dscnt 0xc02
	v_mul_f64_e32 v[130:131], v[116:117], v[70:71]
	v_mul_f64_e32 v[70:71], v[118:119], v[70:71]
	s_wait_loadcnt_dscnt 0xb00
	v_mul_f64_e32 v[8:9], v[104:105], v[74:75]
	v_mul_f64_e32 v[74:75], v[106:107], v[74:75]
	v_add_f64_e32 v[4:5], 0, v[4:5]
	v_fmac_f64_e32 v[130:131], v[118:119], v[68:69]
	v_fma_f64 v[116:117], v[116:117], v[68:69], -v[70:71]
	v_add_f64_e32 v[118:119], 0, v[128:129]
	scratch_load_b128 v[68:71], off, off offset:304
	v_fmac_f64_e32 v[8:9], v[106:107], v[72:73]
	v_fma_f64 v[132:133], v[104:105], v[72:73], -v[74:75]
	ds_load_b128 v[72:75], v2 offset:592
	s_wait_loadcnt 0xb
	v_mul_f64_e32 v[128:129], v[124:125], v[78:79]
	v_mul_f64_e32 v[78:79], v[126:127], v[78:79]
	scratch_load_b128 v[104:107], off, off offset:320
	v_add_f64_e32 v[4:5], v[4:5], v[116:117]
	v_add_f64_e32 v[130:131], v[118:119], v[130:131]
	ds_load_b128 v[116:119], v2 offset:608
	s_wait_loadcnt_dscnt 0xb01
	v_mul_f64_e32 v[134:135], v[72:73], v[82:83]
	v_mul_f64_e32 v[82:83], v[74:75], v[82:83]
	v_fmac_f64_e32 v[128:129], v[126:127], v[76:77]
	v_fma_f64 v[124:125], v[124:125], v[76:77], -v[78:79]
	scratch_load_b128 v[76:79], off, off offset:336
	v_add_f64_e32 v[4:5], v[4:5], v[132:133]
	v_add_f64_e32 v[8:9], v[130:131], v[8:9]
	v_fmac_f64_e32 v[134:135], v[74:75], v[80:81]
	v_fma_f64 v[132:133], v[72:73], v[80:81], -v[82:83]
	ds_load_b128 v[72:75], v2 offset:624
	s_wait_loadcnt_dscnt 0xb01
	v_mul_f64_e32 v[130:131], v[116:117], v[86:87]
	v_mul_f64_e32 v[86:87], v[118:119], v[86:87]
	scratch_load_b128 v[80:83], off, off offset:352
	v_add_f64_e32 v[4:5], v[4:5], v[124:125]
	v_add_f64_e32 v[8:9], v[8:9], v[128:129]
	s_wait_loadcnt_dscnt 0xb00
	v_mul_f64_e32 v[128:129], v[72:73], v[90:91]
	v_mul_f64_e32 v[90:91], v[74:75], v[90:91]
	ds_load_b128 v[124:127], v2 offset:640
	v_fmac_f64_e32 v[130:131], v[118:119], v[84:85]
	v_fma_f64 v[116:117], v[116:117], v[84:85], -v[86:87]
	scratch_load_b128 v[84:87], off, off offset:368
	v_add_f64_e32 v[4:5], v[4:5], v[132:133]
	v_add_f64_e32 v[8:9], v[8:9], v[134:135]
	v_fmac_f64_e32 v[128:129], v[74:75], v[88:89]
	v_fma_f64 v[134:135], v[72:73], v[88:89], -v[90:91]
	ds_load_b128 v[72:75], v2 offset:656
	s_wait_loadcnt_dscnt 0xb01
	v_mul_f64_e32 v[132:133], v[124:125], v[94:95]
	v_mul_f64_e32 v[94:95], v[126:127], v[94:95]
	scratch_load_b128 v[88:91], off, off offset:384
	v_add_f64_e32 v[4:5], v[4:5], v[116:117]
	v_add_f64_e32 v[8:9], v[8:9], v[130:131]
	s_wait_loadcnt_dscnt 0xb00
	v_mul_f64_e32 v[130:131], v[72:73], v[98:99]
	v_mul_f64_e32 v[98:99], v[74:75], v[98:99]
	ds_load_b128 v[116:119], v2 offset:672
	v_fmac_f64_e32 v[132:133], v[126:127], v[92:93]
	v_fma_f64 v[124:125], v[124:125], v[92:93], -v[94:95]
	scratch_load_b128 v[92:95], off, off offset:400
	v_add_f64_e32 v[4:5], v[4:5], v[134:135]
	v_add_f64_e32 v[8:9], v[8:9], v[128:129]
	v_fmac_f64_e32 v[130:131], v[74:75], v[96:97]
	v_fma_f64 v[134:135], v[72:73], v[96:97], -v[98:99]
	ds_load_b128 v[72:75], v2 offset:688
	s_wait_loadcnt_dscnt 0xb01
	v_mul_f64_e32 v[128:129], v[116:117], v[102:103]
	v_mul_f64_e32 v[102:103], v[118:119], v[102:103]
	scratch_load_b128 v[96:99], off, off offset:416
	v_add_f64_e32 v[4:5], v[4:5], v[124:125]
	v_add_f64_e32 v[8:9], v[8:9], v[132:133]
	s_wait_loadcnt_dscnt 0xb00
	v_mul_f64_e32 v[132:133], v[72:73], v[110:111]
	v_mul_f64_e32 v[110:111], v[74:75], v[110:111]
	ds_load_b128 v[124:127], v2 offset:704
	v_fmac_f64_e32 v[128:129], v[118:119], v[100:101]
	v_fma_f64 v[100:101], v[116:117], v[100:101], -v[102:103]
	s_wait_loadcnt_dscnt 0x800
	v_mul_f64_e32 v[116:117], v[124:125], v[12:13]
	v_add_f64_e32 v[4:5], v[4:5], v[134:135]
	v_add_f64_e32 v[8:9], v[8:9], v[130:131]
	v_mul_f64_e32 v[12:13], v[126:127], v[12:13]
	v_fmac_f64_e32 v[132:133], v[74:75], v[108:109]
	v_fma_f64 v[108:109], v[72:73], v[108:109], -v[110:111]
	v_fmac_f64_e32 v[116:117], v[126:127], v[10:11]
	v_add_f64_e32 v[4:5], v[4:5], v[100:101]
	v_add_f64_e32 v[8:9], v[8:9], v[128:129]
	ds_load_b128 v[72:75], v2 offset:720
	ds_load_b128 v[100:103], v2 offset:736
	v_fma_f64 v[10:11], v[124:125], v[10:11], -v[12:13]
	s_wait_dscnt 0x1
	v_mul_f64_e32 v[110:111], v[72:73], v[122:123]
	v_mul_f64_e32 v[118:119], v[74:75], v[122:123]
	v_add_f64_e32 v[4:5], v[4:5], v[108:109]
	v_add_f64_e32 v[8:9], v[8:9], v[132:133]
	s_wait_loadcnt_dscnt 0x700
	v_mul_f64_e32 v[12:13], v[100:101], v[70:71]
	v_mul_f64_e32 v[108:109], v[102:103], v[70:71]
	v_fmac_f64_e32 v[110:111], v[74:75], v[120:121]
	v_fma_f64 v[74:75], v[72:73], v[120:121], -v[118:119]
	v_add_f64_e32 v[4:5], v[4:5], v[10:11]
	v_add_f64_e32 v[116:117], v[8:9], v[116:117]
	ds_load_b128 v[8:11], v2 offset:752
	ds_load_b128 v[70:73], v2 offset:768
	v_fmac_f64_e32 v[12:13], v[102:103], v[68:69]
	v_fma_f64 v[68:69], v[100:101], v[68:69], -v[108:109]
	s_wait_loadcnt_dscnt 0x601
	v_mul_f64_e32 v[118:119], v[8:9], v[106:107]
	v_mul_f64_e32 v[106:107], v[10:11], v[106:107]
	s_wait_loadcnt_dscnt 0x500
	v_mul_f64_e32 v[108:109], v[70:71], v[78:79]
	v_mul_f64_e32 v[78:79], v[72:73], v[78:79]
	v_add_f64_e32 v[4:5], v[4:5], v[74:75]
	v_add_f64_e32 v[74:75], v[116:117], v[110:111]
	v_fmac_f64_e32 v[118:119], v[10:11], v[104:105]
	v_fma_f64 v[104:105], v[8:9], v[104:105], -v[106:107]
	ds_load_b128 v[8:11], v2 offset:784
	ds_load_b128 v[100:103], v2 offset:800
	v_fmac_f64_e32 v[108:109], v[72:73], v[76:77]
	v_fma_f64 v[70:71], v[70:71], v[76:77], -v[78:79]
	v_add_f64_e32 v[4:5], v[4:5], v[68:69]
	v_add_f64_e32 v[12:13], v[74:75], v[12:13]
	s_wait_loadcnt_dscnt 0x401
	v_mul_f64_e32 v[74:75], v[8:9], v[82:83]
	v_mul_f64_e32 v[68:69], v[10:11], v[82:83]
	s_wait_loadcnt_dscnt 0x300
	v_mul_f64_e32 v[72:73], v[100:101], v[86:87]
	v_mul_f64_e32 v[76:77], v[102:103], v[86:87]
	v_add_f64_e32 v[4:5], v[4:5], v[104:105]
	v_add_f64_e32 v[12:13], v[12:13], v[118:119]
	v_fmac_f64_e32 v[74:75], v[10:11], v[80:81]
	v_fma_f64 v[78:79], v[8:9], v[80:81], -v[68:69]
	v_fmac_f64_e32 v[72:73], v[102:103], v[84:85]
	v_fma_f64 v[76:77], v[100:101], v[84:85], -v[76:77]
	v_add_f64_e32 v[4:5], v[4:5], v[70:71]
	v_add_f64_e32 v[12:13], v[12:13], v[108:109]
	ds_load_b128 v[8:11], v2 offset:816
	ds_load_b128 v[68:71], v2 offset:832
	s_wait_loadcnt_dscnt 0x201
	v_mul_f64_e32 v[80:81], v[8:9], v[90:91]
	v_mul_f64_e32 v[82:83], v[10:11], v[90:91]
	v_add_f64_e32 v[4:5], v[4:5], v[78:79]
	v_add_f64_e32 v[12:13], v[12:13], v[74:75]
	s_wait_loadcnt_dscnt 0x100
	v_mul_f64_e32 v[74:75], v[68:69], v[94:95]
	v_mul_f64_e32 v[78:79], v[70:71], v[94:95]
	v_fmac_f64_e32 v[80:81], v[10:11], v[88:89]
	v_fma_f64 v[82:83], v[8:9], v[88:89], -v[82:83]
	ds_load_b128 v[8:11], v2 offset:848
	v_add_f64_e32 v[4:5], v[4:5], v[76:77]
	v_add_f64_e32 v[12:13], v[12:13], v[72:73]
	v_fmac_f64_e32 v[74:75], v[70:71], v[92:93]
	v_fma_f64 v[68:69], v[68:69], v[92:93], -v[78:79]
	s_wait_loadcnt_dscnt 0x0
	v_mul_f64_e32 v[72:73], v[8:9], v[98:99]
	v_mul_f64_e32 v[76:77], v[10:11], v[98:99]
	v_add_f64_e32 v[4:5], v[4:5], v[82:83]
	v_add_f64_e32 v[12:13], v[12:13], v[80:81]
	s_delay_alu instid0(VALU_DEP_4) | instskip(NEXT) | instid1(VALU_DEP_4)
	v_fmac_f64_e32 v[72:73], v[10:11], v[96:97]
	v_fma_f64 v[8:9], v[8:9], v[96:97], -v[76:77]
	s_delay_alu instid0(VALU_DEP_4) | instskip(NEXT) | instid1(VALU_DEP_4)
	v_add_f64_e32 v[4:5], v[4:5], v[68:69]
	v_add_f64_e32 v[10:11], v[12:13], v[74:75]
	s_delay_alu instid0(VALU_DEP_2) | instskip(NEXT) | instid1(VALU_DEP_2)
	v_add_f64_e32 v[4:5], v[4:5], v[8:9]
	v_add_f64_e32 v[10:11], v[10:11], v[72:73]
	s_delay_alu instid0(VALU_DEP_2) | instskip(NEXT) | instid1(VALU_DEP_2)
	v_add_f64_e64 v[8:9], v[112:113], -v[4:5]
	v_add_f64_e64 v[10:11], v[114:115], -v[10:11]
	scratch_store_b128 off, v[8:11], off offset:80
	s_wait_xcnt 0x0
	v_cmpx_lt_u32_e32 4, v1
	s_cbranch_execz .LBB26_167
; %bb.166:
	scratch_load_b128 v[8:11], off, s11
	v_dual_mov_b32 v3, v2 :: v_dual_mov_b32 v4, v2
	v_mov_b32_e32 v5, v2
	scratch_store_b128 off, v[2:5], off offset:64
	s_wait_loadcnt 0x0
	ds_store_b128 v6, v[8:11]
.LBB26_167:
	s_wait_xcnt 0x0
	s_or_b32 exec_lo, exec_lo, s2
	s_wait_storecnt_dscnt 0x0
	s_barrier_signal -1
	s_barrier_wait -1
	s_clause 0x9
	scratch_load_b128 v[8:11], off, off offset:80
	scratch_load_b128 v[68:71], off, off offset:96
	;; [unrolled: 1-line block ×10, first 2 shown]
	ds_load_b128 v[104:107], v2 offset:512
	ds_load_b128 v[112:115], v2 offset:528
	s_clause 0x1
	scratch_load_b128 v[108:111], off, off offset:240
	scratch_load_b128 v[116:119], off, off offset:64
	s_mov_b32 s2, exec_lo
	s_wait_loadcnt_dscnt 0xb01
	v_mul_f64_e32 v[4:5], v[106:107], v[10:11]
	v_mul_f64_e32 v[128:129], v[104:105], v[10:11]
	scratch_load_b128 v[10:13], off, off offset:256
	s_wait_loadcnt_dscnt 0xb00
	v_mul_f64_e32 v[130:131], v[112:113], v[70:71]
	v_mul_f64_e32 v[70:71], v[114:115], v[70:71]
	v_fma_f64 v[4:5], v[104:105], v[8:9], -v[4:5]
	v_fmac_f64_e32 v[128:129], v[106:107], v[8:9]
	ds_load_b128 v[104:107], v2 offset:544
	ds_load_b128 v[120:123], v2 offset:560
	scratch_load_b128 v[124:127], off, off offset:272
	v_fmac_f64_e32 v[130:131], v[114:115], v[68:69]
	v_fma_f64 v[112:113], v[112:113], v[68:69], -v[70:71]
	scratch_load_b128 v[68:71], off, off offset:288
	s_wait_loadcnt_dscnt 0xc01
	v_mul_f64_e32 v[8:9], v[104:105], v[74:75]
	v_mul_f64_e32 v[74:75], v[106:107], v[74:75]
	v_add_f64_e32 v[4:5], 0, v[4:5]
	v_add_f64_e32 v[114:115], 0, v[128:129]
	s_wait_loadcnt_dscnt 0xb00
	v_mul_f64_e32 v[128:129], v[120:121], v[78:79]
	v_mul_f64_e32 v[78:79], v[122:123], v[78:79]
	v_fmac_f64_e32 v[8:9], v[106:107], v[72:73]
	v_fma_f64 v[132:133], v[104:105], v[72:73], -v[74:75]
	ds_load_b128 v[72:75], v2 offset:576
	ds_load_b128 v[104:107], v2 offset:592
	v_add_f64_e32 v[4:5], v[4:5], v[112:113]
	v_add_f64_e32 v[130:131], v[114:115], v[130:131]
	scratch_load_b128 v[112:115], off, off offset:304
	v_fmac_f64_e32 v[128:129], v[122:123], v[76:77]
	v_fma_f64 v[120:121], v[120:121], v[76:77], -v[78:79]
	scratch_load_b128 v[76:79], off, off offset:320
	s_wait_loadcnt_dscnt 0xc01
	v_mul_f64_e32 v[134:135], v[72:73], v[82:83]
	v_mul_f64_e32 v[82:83], v[74:75], v[82:83]
	v_add_f64_e32 v[4:5], v[4:5], v[132:133]
	v_add_f64_e32 v[8:9], v[130:131], v[8:9]
	s_wait_loadcnt_dscnt 0xb00
	v_mul_f64_e32 v[130:131], v[104:105], v[86:87]
	v_mul_f64_e32 v[86:87], v[106:107], v[86:87]
	v_fmac_f64_e32 v[134:135], v[74:75], v[80:81]
	v_fma_f64 v[132:133], v[72:73], v[80:81], -v[82:83]
	ds_load_b128 v[72:75], v2 offset:608
	ds_load_b128 v[80:83], v2 offset:624
	v_add_f64_e32 v[4:5], v[4:5], v[120:121]
	v_add_f64_e32 v[8:9], v[8:9], v[128:129]
	scratch_load_b128 v[120:123], off, off offset:336
	s_wait_loadcnt_dscnt 0xb01
	v_mul_f64_e32 v[128:129], v[72:73], v[90:91]
	v_mul_f64_e32 v[90:91], v[74:75], v[90:91]
	v_fmac_f64_e32 v[130:131], v[106:107], v[84:85]
	v_fma_f64 v[104:105], v[104:105], v[84:85], -v[86:87]
	scratch_load_b128 v[84:87], off, off offset:352
	v_add_f64_e32 v[4:5], v[4:5], v[132:133]
	v_add_f64_e32 v[8:9], v[8:9], v[134:135]
	s_wait_loadcnt_dscnt 0xb00
	v_mul_f64_e32 v[132:133], v[80:81], v[94:95]
	v_mul_f64_e32 v[94:95], v[82:83], v[94:95]
	v_fmac_f64_e32 v[128:129], v[74:75], v[88:89]
	v_fma_f64 v[134:135], v[72:73], v[88:89], -v[90:91]
	ds_load_b128 v[72:75], v2 offset:640
	ds_load_b128 v[88:91], v2 offset:656
	v_add_f64_e32 v[4:5], v[4:5], v[104:105]
	v_add_f64_e32 v[8:9], v[8:9], v[130:131]
	scratch_load_b128 v[104:107], off, off offset:368
	s_wait_loadcnt_dscnt 0xb01
	v_mul_f64_e32 v[130:131], v[72:73], v[98:99]
	v_mul_f64_e32 v[98:99], v[74:75], v[98:99]
	v_fmac_f64_e32 v[132:133], v[82:83], v[92:93]
	v_fma_f64 v[92:93], v[80:81], v[92:93], -v[94:95]
	scratch_load_b128 v[80:83], off, off offset:384
	v_add_f64_e32 v[4:5], v[4:5], v[134:135]
	v_add_f64_e32 v[8:9], v[8:9], v[128:129]
	s_wait_loadcnt_dscnt 0xb00
	v_mul_f64_e32 v[128:129], v[88:89], v[102:103]
	v_mul_f64_e32 v[102:103], v[90:91], v[102:103]
	v_fmac_f64_e32 v[130:131], v[74:75], v[96:97]
	v_fma_f64 v[134:135], v[72:73], v[96:97], -v[98:99]
	v_add_f64_e32 v[4:5], v[4:5], v[92:93]
	v_add_f64_e32 v[8:9], v[8:9], v[132:133]
	ds_load_b128 v[72:75], v2 offset:672
	ds_load_b128 v[92:95], v2 offset:688
	scratch_load_b128 v[96:99], off, off offset:400
	v_fmac_f64_e32 v[128:129], v[90:91], v[100:101]
	v_fma_f64 v[100:101], v[88:89], v[100:101], -v[102:103]
	scratch_load_b128 v[88:91], off, off offset:416
	s_wait_loadcnt_dscnt 0xc01
	v_mul_f64_e32 v[132:133], v[72:73], v[110:111]
	v_mul_f64_e32 v[110:111], v[74:75], v[110:111]
	v_add_f64_e32 v[4:5], v[4:5], v[134:135]
	v_add_f64_e32 v[8:9], v[8:9], v[130:131]
	s_wait_loadcnt_dscnt 0xa00
	v_mul_f64_e32 v[130:131], v[92:93], v[12:13]
	v_mul_f64_e32 v[12:13], v[94:95], v[12:13]
	v_fmac_f64_e32 v[132:133], v[74:75], v[108:109]
	v_fma_f64 v[108:109], v[72:73], v[108:109], -v[110:111]
	v_add_f64_e32 v[4:5], v[4:5], v[100:101]
	v_add_f64_e32 v[8:9], v[8:9], v[128:129]
	ds_load_b128 v[72:75], v2 offset:704
	ds_load_b128 v[100:103], v2 offset:720
	v_fmac_f64_e32 v[130:131], v[94:95], v[10:11]
	v_fma_f64 v[10:11], v[92:93], v[10:11], -v[12:13]
	s_wait_loadcnt_dscnt 0x901
	v_mul_f64_e32 v[110:111], v[72:73], v[126:127]
	v_mul_f64_e32 v[126:127], v[74:75], v[126:127]
	s_wait_loadcnt_dscnt 0x800
	v_mul_f64_e32 v[12:13], v[100:101], v[70:71]
	v_mul_f64_e32 v[92:93], v[102:103], v[70:71]
	v_add_f64_e32 v[4:5], v[4:5], v[108:109]
	v_add_f64_e32 v[8:9], v[8:9], v[132:133]
	v_fmac_f64_e32 v[110:111], v[74:75], v[124:125]
	v_fma_f64 v[74:75], v[72:73], v[124:125], -v[126:127]
	v_fmac_f64_e32 v[12:13], v[102:103], v[68:69]
	v_fma_f64 v[68:69], v[100:101], v[68:69], -v[92:93]
	v_add_f64_e32 v[4:5], v[4:5], v[10:11]
	v_add_f64_e32 v[94:95], v[8:9], v[130:131]
	ds_load_b128 v[8:11], v2 offset:736
	ds_load_b128 v[70:73], v2 offset:752
	s_wait_loadcnt_dscnt 0x701
	v_mul_f64_e32 v[108:109], v[8:9], v[114:115]
	v_mul_f64_e32 v[114:115], v[10:11], v[114:115]
	s_wait_loadcnt_dscnt 0x600
	v_mul_f64_e32 v[100:101], v[70:71], v[78:79]
	v_mul_f64_e32 v[78:79], v[72:73], v[78:79]
	v_add_f64_e32 v[4:5], v[4:5], v[74:75]
	v_add_f64_e32 v[74:75], v[94:95], v[110:111]
	v_fmac_f64_e32 v[108:109], v[10:11], v[112:113]
	v_fma_f64 v[102:103], v[8:9], v[112:113], -v[114:115]
	ds_load_b128 v[8:11], v2 offset:768
	ds_load_b128 v[92:95], v2 offset:784
	v_fmac_f64_e32 v[100:101], v[72:73], v[76:77]
	v_fma_f64 v[70:71], v[70:71], v[76:77], -v[78:79]
	v_add_f64_e32 v[4:5], v[4:5], v[68:69]
	v_add_f64_e32 v[12:13], v[74:75], v[12:13]
	s_wait_loadcnt_dscnt 0x501
	v_mul_f64_e32 v[74:75], v[8:9], v[122:123]
	v_mul_f64_e32 v[68:69], v[10:11], v[122:123]
	s_wait_loadcnt_dscnt 0x400
	v_mul_f64_e32 v[72:73], v[92:93], v[86:87]
	v_mul_f64_e32 v[76:77], v[94:95], v[86:87]
	v_add_f64_e32 v[4:5], v[4:5], v[102:103]
	v_add_f64_e32 v[12:13], v[12:13], v[108:109]
	v_fmac_f64_e32 v[74:75], v[10:11], v[120:121]
	v_fma_f64 v[78:79], v[8:9], v[120:121], -v[68:69]
	v_fmac_f64_e32 v[72:73], v[94:95], v[84:85]
	v_fma_f64 v[76:77], v[92:93], v[84:85], -v[76:77]
	v_add_f64_e32 v[4:5], v[4:5], v[70:71]
	v_add_f64_e32 v[12:13], v[12:13], v[100:101]
	ds_load_b128 v[8:11], v2 offset:800
	ds_load_b128 v[68:71], v2 offset:816
	s_wait_loadcnt_dscnt 0x301
	v_mul_f64_e32 v[86:87], v[8:9], v[106:107]
	v_mul_f64_e32 v[100:101], v[10:11], v[106:107]
	v_add_f64_e32 v[4:5], v[4:5], v[78:79]
	v_add_f64_e32 v[12:13], v[12:13], v[74:75]
	s_wait_loadcnt_dscnt 0x200
	v_mul_f64_e32 v[74:75], v[68:69], v[82:83]
	v_mul_f64_e32 v[78:79], v[70:71], v[82:83]
	v_fmac_f64_e32 v[86:87], v[10:11], v[104:105]
	v_fma_f64 v[82:83], v[8:9], v[104:105], -v[100:101]
	v_add_f64_e32 v[76:77], v[4:5], v[76:77]
	v_add_f64_e32 v[12:13], v[12:13], v[72:73]
	ds_load_b128 v[8:11], v2 offset:832
	ds_load_b128 v[2:5], v2 offset:848
	v_fmac_f64_e32 v[74:75], v[70:71], v[80:81]
	v_fma_f64 v[68:69], v[68:69], v[80:81], -v[78:79]
	s_wait_loadcnt_dscnt 0x101
	v_mul_f64_e32 v[72:73], v[8:9], v[98:99]
	v_mul_f64_e32 v[84:85], v[10:11], v[98:99]
	s_wait_loadcnt_dscnt 0x0
	v_mul_f64_e32 v[78:79], v[4:5], v[90:91]
	v_add_f64_e32 v[70:71], v[76:77], v[82:83]
	v_add_f64_e32 v[12:13], v[12:13], v[86:87]
	v_mul_f64_e32 v[76:77], v[2:3], v[90:91]
	v_fmac_f64_e32 v[72:73], v[10:11], v[96:97]
	v_fma_f64 v[8:9], v[8:9], v[96:97], -v[84:85]
	v_fma_f64 v[2:3], v[2:3], v[88:89], -v[78:79]
	v_add_f64_e32 v[10:11], v[70:71], v[68:69]
	v_add_f64_e32 v[12:13], v[12:13], v[74:75]
	v_fmac_f64_e32 v[76:77], v[4:5], v[88:89]
	s_delay_alu instid0(VALU_DEP_3) | instskip(NEXT) | instid1(VALU_DEP_3)
	v_add_f64_e32 v[4:5], v[10:11], v[8:9]
	v_add_f64_e32 v[8:9], v[12:13], v[72:73]
	s_delay_alu instid0(VALU_DEP_2) | instskip(NEXT) | instid1(VALU_DEP_2)
	v_add_f64_e32 v[2:3], v[4:5], v[2:3]
	v_add_f64_e32 v[4:5], v[8:9], v[76:77]
	s_delay_alu instid0(VALU_DEP_2) | instskip(NEXT) | instid1(VALU_DEP_2)
	v_add_f64_e64 v[2:3], v[116:117], -v[2:3]
	v_add_f64_e64 v[4:5], v[118:119], -v[4:5]
	scratch_store_b128 off, v[2:5], off offset:64
	s_wait_xcnt 0x0
	v_cmpx_lt_u32_e32 3, v1
	s_cbranch_execz .LBB26_169
; %bb.168:
	scratch_load_b128 v[2:5], off, s10
	v_mov_b32_e32 v8, 0
	s_delay_alu instid0(VALU_DEP_1)
	v_dual_mov_b32 v9, v8 :: v_dual_mov_b32 v10, v8
	v_mov_b32_e32 v11, v8
	scratch_store_b128 off, v[8:11], off offset:48
	s_wait_loadcnt 0x0
	ds_store_b128 v6, v[2:5]
.LBB26_169:
	s_wait_xcnt 0x0
	s_or_b32 exec_lo, exec_lo, s2
	s_wait_storecnt_dscnt 0x0
	s_barrier_signal -1
	s_barrier_wait -1
	s_clause 0x9
	scratch_load_b128 v[8:11], off, off offset:64
	scratch_load_b128 v[68:71], off, off offset:80
	;; [unrolled: 1-line block ×10, first 2 shown]
	v_mov_b32_e32 v2, 0
	s_mov_b32 s2, exec_lo
	ds_load_b128 v[104:107], v2 offset:496
	s_clause 0x2
	scratch_load_b128 v[108:111], off, off offset:224
	scratch_load_b128 v[112:115], off, off offset:48
	;; [unrolled: 1-line block ×3, first 2 shown]
	s_wait_loadcnt_dscnt 0xc00
	v_mul_f64_e32 v[4:5], v[106:107], v[10:11]
	v_mul_f64_e32 v[128:129], v[104:105], v[10:11]
	ds_load_b128 v[116:119], v2 offset:512
	scratch_load_b128 v[10:13], off, off offset:240
	ds_load_b128 v[124:127], v2 offset:544
	v_fma_f64 v[4:5], v[104:105], v[8:9], -v[4:5]
	v_fmac_f64_e32 v[128:129], v[106:107], v[8:9]
	ds_load_b128 v[104:107], v2 offset:528
	s_wait_loadcnt_dscnt 0xc02
	v_mul_f64_e32 v[130:131], v[116:117], v[70:71]
	v_mul_f64_e32 v[70:71], v[118:119], v[70:71]
	s_wait_loadcnt_dscnt 0xb00
	v_mul_f64_e32 v[8:9], v[104:105], v[74:75]
	v_mul_f64_e32 v[74:75], v[106:107], v[74:75]
	v_add_f64_e32 v[4:5], 0, v[4:5]
	v_fmac_f64_e32 v[130:131], v[118:119], v[68:69]
	v_fma_f64 v[116:117], v[116:117], v[68:69], -v[70:71]
	v_add_f64_e32 v[118:119], 0, v[128:129]
	scratch_load_b128 v[68:71], off, off offset:272
	v_fmac_f64_e32 v[8:9], v[106:107], v[72:73]
	v_fma_f64 v[132:133], v[104:105], v[72:73], -v[74:75]
	ds_load_b128 v[72:75], v2 offset:560
	s_wait_loadcnt 0xb
	v_mul_f64_e32 v[128:129], v[124:125], v[78:79]
	v_mul_f64_e32 v[78:79], v[126:127], v[78:79]
	scratch_load_b128 v[104:107], off, off offset:288
	v_add_f64_e32 v[4:5], v[4:5], v[116:117]
	v_add_f64_e32 v[130:131], v[118:119], v[130:131]
	ds_load_b128 v[116:119], v2 offset:576
	s_wait_loadcnt_dscnt 0xb01
	v_mul_f64_e32 v[134:135], v[72:73], v[82:83]
	v_mul_f64_e32 v[82:83], v[74:75], v[82:83]
	v_fmac_f64_e32 v[128:129], v[126:127], v[76:77]
	v_fma_f64 v[124:125], v[124:125], v[76:77], -v[78:79]
	scratch_load_b128 v[76:79], off, off offset:304
	v_add_f64_e32 v[4:5], v[4:5], v[132:133]
	v_add_f64_e32 v[8:9], v[130:131], v[8:9]
	v_fmac_f64_e32 v[134:135], v[74:75], v[80:81]
	v_fma_f64 v[132:133], v[72:73], v[80:81], -v[82:83]
	ds_load_b128 v[72:75], v2 offset:592
	s_wait_loadcnt_dscnt 0xb01
	v_mul_f64_e32 v[130:131], v[116:117], v[86:87]
	v_mul_f64_e32 v[86:87], v[118:119], v[86:87]
	scratch_load_b128 v[80:83], off, off offset:320
	v_add_f64_e32 v[4:5], v[4:5], v[124:125]
	v_add_f64_e32 v[8:9], v[8:9], v[128:129]
	s_wait_loadcnt_dscnt 0xb00
	v_mul_f64_e32 v[128:129], v[72:73], v[90:91]
	v_mul_f64_e32 v[90:91], v[74:75], v[90:91]
	ds_load_b128 v[124:127], v2 offset:608
	v_fmac_f64_e32 v[130:131], v[118:119], v[84:85]
	v_fma_f64 v[116:117], v[116:117], v[84:85], -v[86:87]
	scratch_load_b128 v[84:87], off, off offset:336
	v_add_f64_e32 v[4:5], v[4:5], v[132:133]
	v_add_f64_e32 v[8:9], v[8:9], v[134:135]
	v_fmac_f64_e32 v[128:129], v[74:75], v[88:89]
	v_fma_f64 v[134:135], v[72:73], v[88:89], -v[90:91]
	ds_load_b128 v[72:75], v2 offset:624
	s_wait_loadcnt_dscnt 0xb01
	v_mul_f64_e32 v[132:133], v[124:125], v[94:95]
	v_mul_f64_e32 v[94:95], v[126:127], v[94:95]
	scratch_load_b128 v[88:91], off, off offset:352
	v_add_f64_e32 v[4:5], v[4:5], v[116:117]
	v_add_f64_e32 v[8:9], v[8:9], v[130:131]
	s_wait_loadcnt_dscnt 0xb00
	v_mul_f64_e32 v[130:131], v[72:73], v[98:99]
	v_mul_f64_e32 v[98:99], v[74:75], v[98:99]
	ds_load_b128 v[116:119], v2 offset:640
	;; [unrolled: 18-line block ×3, first 2 shown]
	v_fmac_f64_e32 v[128:129], v[118:119], v[100:101]
	v_fma_f64 v[116:117], v[116:117], v[100:101], -v[102:103]
	scratch_load_b128 v[100:103], off, off offset:400
	v_add_f64_e32 v[4:5], v[4:5], v[134:135]
	v_add_f64_e32 v[8:9], v[8:9], v[130:131]
	v_fmac_f64_e32 v[132:133], v[74:75], v[108:109]
	v_fma_f64 v[134:135], v[72:73], v[108:109], -v[110:111]
	ds_load_b128 v[72:75], v2 offset:688
	s_wait_loadcnt_dscnt 0x901
	v_mul_f64_e32 v[130:131], v[124:125], v[12:13]
	v_mul_f64_e32 v[12:13], v[126:127], v[12:13]
	scratch_load_b128 v[108:111], off, off offset:416
	v_add_f64_e32 v[4:5], v[4:5], v[116:117]
	v_add_f64_e32 v[8:9], v[8:9], v[128:129]
	s_wait_dscnt 0x0
	v_mul_f64_e32 v[128:129], v[72:73], v[122:123]
	v_mul_f64_e32 v[122:123], v[74:75], v[122:123]
	ds_load_b128 v[116:119], v2 offset:704
	v_fmac_f64_e32 v[130:131], v[126:127], v[10:11]
	v_fma_f64 v[10:11], v[124:125], v[10:11], -v[12:13]
	v_add_f64_e32 v[4:5], v[4:5], v[134:135]
	v_add_f64_e32 v[8:9], v[8:9], v[132:133]
	s_wait_loadcnt_dscnt 0x900
	v_mul_f64_e32 v[12:13], v[116:117], v[70:71]
	v_mul_f64_e32 v[124:125], v[118:119], v[70:71]
	v_fmac_f64_e32 v[128:129], v[74:75], v[120:121]
	v_fma_f64 v[74:75], v[72:73], v[120:121], -v[122:123]
	v_add_f64_e32 v[4:5], v[4:5], v[10:11]
	v_add_f64_e32 v[120:121], v[8:9], v[130:131]
	ds_load_b128 v[8:11], v2 offset:720
	ds_load_b128 v[70:73], v2 offset:736
	v_fmac_f64_e32 v[12:13], v[118:119], v[68:69]
	v_fma_f64 v[68:69], v[116:117], v[68:69], -v[124:125]
	s_wait_loadcnt_dscnt 0x801
	v_mul_f64_e32 v[122:123], v[8:9], v[106:107]
	v_mul_f64_e32 v[106:107], v[10:11], v[106:107]
	s_wait_loadcnt_dscnt 0x700
	v_mul_f64_e32 v[116:117], v[70:71], v[78:79]
	v_mul_f64_e32 v[78:79], v[72:73], v[78:79]
	v_add_f64_e32 v[4:5], v[4:5], v[74:75]
	v_add_f64_e32 v[74:75], v[120:121], v[128:129]
	v_fmac_f64_e32 v[122:123], v[10:11], v[104:105]
	v_fma_f64 v[118:119], v[8:9], v[104:105], -v[106:107]
	ds_load_b128 v[8:11], v2 offset:752
	ds_load_b128 v[104:107], v2 offset:768
	v_fmac_f64_e32 v[116:117], v[72:73], v[76:77]
	v_fma_f64 v[70:71], v[70:71], v[76:77], -v[78:79]
	v_add_f64_e32 v[4:5], v[4:5], v[68:69]
	v_add_f64_e32 v[12:13], v[74:75], v[12:13]
	s_wait_loadcnt_dscnt 0x601
	v_mul_f64_e32 v[74:75], v[8:9], v[82:83]
	v_mul_f64_e32 v[68:69], v[10:11], v[82:83]
	s_wait_loadcnt_dscnt 0x500
	v_mul_f64_e32 v[72:73], v[104:105], v[86:87]
	v_mul_f64_e32 v[76:77], v[106:107], v[86:87]
	v_add_f64_e32 v[4:5], v[4:5], v[118:119]
	v_add_f64_e32 v[12:13], v[12:13], v[122:123]
	v_fmac_f64_e32 v[74:75], v[10:11], v[80:81]
	v_fma_f64 v[78:79], v[8:9], v[80:81], -v[68:69]
	v_fmac_f64_e32 v[72:73], v[106:107], v[84:85]
	v_fma_f64 v[76:77], v[104:105], v[84:85], -v[76:77]
	v_add_f64_e32 v[4:5], v[4:5], v[70:71]
	v_add_f64_e32 v[12:13], v[12:13], v[116:117]
	ds_load_b128 v[8:11], v2 offset:784
	ds_load_b128 v[68:71], v2 offset:800
	s_wait_loadcnt_dscnt 0x401
	v_mul_f64_e32 v[80:81], v[8:9], v[90:91]
	v_mul_f64_e32 v[82:83], v[10:11], v[90:91]
	s_wait_loadcnt_dscnt 0x300
	v_mul_f64_e32 v[84:85], v[70:71], v[94:95]
	v_add_f64_e32 v[4:5], v[4:5], v[78:79]
	v_add_f64_e32 v[12:13], v[12:13], v[74:75]
	v_mul_f64_e32 v[78:79], v[68:69], v[94:95]
	v_fmac_f64_e32 v[80:81], v[10:11], v[88:89]
	v_fma_f64 v[82:83], v[8:9], v[88:89], -v[82:83]
	v_fma_f64 v[68:69], v[68:69], v[92:93], -v[84:85]
	v_add_f64_e32 v[4:5], v[4:5], v[76:77]
	v_add_f64_e32 v[12:13], v[12:13], v[72:73]
	ds_load_b128 v[8:11], v2 offset:816
	ds_load_b128 v[72:75], v2 offset:832
	v_fmac_f64_e32 v[78:79], v[70:71], v[92:93]
	s_wait_loadcnt_dscnt 0x201
	v_mul_f64_e32 v[76:77], v[8:9], v[98:99]
	v_mul_f64_e32 v[86:87], v[10:11], v[98:99]
	s_wait_loadcnt_dscnt 0x100
	v_mul_f64_e32 v[70:71], v[72:73], v[102:103]
	v_add_f64_e32 v[4:5], v[4:5], v[82:83]
	v_add_f64_e32 v[12:13], v[12:13], v[80:81]
	v_mul_f64_e32 v[80:81], v[74:75], v[102:103]
	v_fmac_f64_e32 v[76:77], v[10:11], v[96:97]
	v_fma_f64 v[82:83], v[8:9], v[96:97], -v[86:87]
	ds_load_b128 v[8:11], v2 offset:848
	v_fmac_f64_e32 v[70:71], v[74:75], v[100:101]
	v_add_f64_e32 v[4:5], v[4:5], v[68:69]
	v_add_f64_e32 v[12:13], v[12:13], v[78:79]
	v_fma_f64 v[72:73], v[72:73], v[100:101], -v[80:81]
	s_wait_loadcnt_dscnt 0x0
	v_mul_f64_e32 v[68:69], v[8:9], v[110:111]
	v_mul_f64_e32 v[78:79], v[10:11], v[110:111]
	v_add_f64_e32 v[4:5], v[4:5], v[82:83]
	v_add_f64_e32 v[12:13], v[12:13], v[76:77]
	s_delay_alu instid0(VALU_DEP_4) | instskip(NEXT) | instid1(VALU_DEP_4)
	v_fmac_f64_e32 v[68:69], v[10:11], v[108:109]
	v_fma_f64 v[8:9], v[8:9], v[108:109], -v[78:79]
	s_delay_alu instid0(VALU_DEP_4) | instskip(NEXT) | instid1(VALU_DEP_4)
	v_add_f64_e32 v[4:5], v[4:5], v[72:73]
	v_add_f64_e32 v[10:11], v[12:13], v[70:71]
	s_delay_alu instid0(VALU_DEP_2) | instskip(NEXT) | instid1(VALU_DEP_2)
	v_add_f64_e32 v[4:5], v[4:5], v[8:9]
	v_add_f64_e32 v[10:11], v[10:11], v[68:69]
	s_delay_alu instid0(VALU_DEP_2) | instskip(NEXT) | instid1(VALU_DEP_2)
	v_add_f64_e64 v[8:9], v[112:113], -v[4:5]
	v_add_f64_e64 v[10:11], v[114:115], -v[10:11]
	scratch_store_b128 off, v[8:11], off offset:48
	s_wait_xcnt 0x0
	v_cmpx_lt_u32_e32 2, v1
	s_cbranch_execz .LBB26_171
; %bb.170:
	scratch_load_b128 v[8:11], off, s8
	v_dual_mov_b32 v3, v2 :: v_dual_mov_b32 v4, v2
	v_mov_b32_e32 v5, v2
	scratch_store_b128 off, v[2:5], off offset:32
	s_wait_loadcnt 0x0
	ds_store_b128 v6, v[8:11]
.LBB26_171:
	s_wait_xcnt 0x0
	s_or_b32 exec_lo, exec_lo, s2
	s_wait_storecnt_dscnt 0x0
	s_barrier_signal -1
	s_barrier_wait -1
	s_clause 0x9
	scratch_load_b128 v[8:11], off, off offset:48
	scratch_load_b128 v[68:71], off, off offset:64
	;; [unrolled: 1-line block ×10, first 2 shown]
	ds_load_b128 v[104:107], v2 offset:480
	ds_load_b128 v[108:111], v2 offset:496
	s_clause 0x1
	scratch_load_b128 v[112:115], off, off offset:32
	scratch_load_b128 v[116:119], off, off offset:208
	s_mov_b32 s2, exec_lo
	v_ashrrev_i32_e32 v21, 31, v20
	v_ashrrev_i32_e32 v25, 31, v24
	;; [unrolled: 1-line block ×3, first 2 shown]
	v_dual_ashrrev_i32 v33, 31, v32 :: v_dual_ashrrev_i32 v19, 31, v18
	v_dual_ashrrev_i32 v23, 31, v22 :: v_dual_ashrrev_i32 v37, 31, v36
	v_ashrrev_i32_e32 v41, 31, v40
	v_ashrrev_i32_e32 v45, 31, v44
	v_dual_ashrrev_i32 v49, 31, v48 :: v_dual_ashrrev_i32 v27, 31, v26
	v_ashrrev_i32_e32 v31, 31, v30
	v_ashrrev_i32_e32 v35, 31, v34
	v_dual_ashrrev_i32 v47, 31, v46 :: v_dual_ashrrev_i32 v53, 31, v52
	v_dual_ashrrev_i32 v57, 31, v56 :: v_dual_ashrrev_i32 v39, 31, v38
	;; [unrolled: 1-line block ×3, first 2 shown]
	v_ashrrev_i32_e32 v55, 31, v54
	v_dual_ashrrev_i32 v51, 31, v50 :: v_dual_ashrrev_i32 v61, 31, v60
	v_ashrrev_i32_e32 v59, 31, v58
	v_ashrrev_i32_e32 v63, 31, v62
	v_ashrrev_i32_e32 v67, 31, v66
	s_wait_loadcnt_dscnt 0xb01
	v_mul_f64_e32 v[4:5], v[104:105], v[10:11]
	v_mul_f64_e32 v[120:121], v[106:107], v[10:11]
	s_wait_loadcnt_dscnt 0xa00
	v_mul_f64_e32 v[124:125], v[108:109], v[70:71]
	v_mul_f64_e32 v[70:71], v[110:111], v[70:71]
	ds_load_b128 v[10:13], v2 offset:512
	v_fmac_f64_e32 v[4:5], v[106:107], v[8:9]
	v_fma_f64 v[8:9], v[104:105], v[8:9], -v[120:121]
	scratch_load_b128 v[104:107], off, off offset:224
	ds_load_b128 v[120:123], v2 offset:528
	v_fmac_f64_e32 v[124:125], v[110:111], v[68:69]
	v_fma_f64 v[108:109], v[108:109], v[68:69], -v[70:71]
	s_wait_loadcnt_dscnt 0xa01
	v_mul_f64_e32 v[110:111], v[10:11], v[74:75]
	v_mul_f64_e32 v[74:75], v[12:13], v[74:75]
	scratch_load_b128 v[68:71], off, off offset:240
	s_wait_loadcnt_dscnt 0xa00
	v_mul_f64_e32 v[128:129], v[120:121], v[78:79]
	v_mul_f64_e32 v[78:79], v[122:123], v[78:79]
	v_add_f64_e32 v[4:5], 0, v[4:5]
	v_add_f64_e32 v[126:127], 0, v[8:9]
	v_fmac_f64_e32 v[110:111], v[12:13], v[72:73]
	v_fma_f64 v[12:13], v[10:11], v[72:73], -v[74:75]
	scratch_load_b128 v[72:75], off, off offset:256
	ds_load_b128 v[8:11], v2 offset:544
	v_fmac_f64_e32 v[128:129], v[122:123], v[76:77]
	v_fma_f64 v[120:121], v[120:121], v[76:77], -v[78:79]
	ds_load_b128 v[76:79], v2 offset:560
	s_wait_loadcnt_dscnt 0xa01
	v_mul_f64_e32 v[122:123], v[8:9], v[82:83]
	v_mul_f64_e32 v[82:83], v[10:11], v[82:83]
	v_add_f64_e32 v[4:5], v[4:5], v[124:125]
	v_add_f64_e32 v[108:109], v[126:127], v[108:109]
	s_wait_loadcnt_dscnt 0x900
	v_mul_f64_e32 v[126:127], v[76:77], v[86:87]
	v_mul_f64_e32 v[86:87], v[78:79], v[86:87]
	v_fmac_f64_e32 v[122:123], v[10:11], v[80:81]
	v_fma_f64 v[124:125], v[8:9], v[80:81], -v[82:83]
	scratch_load_b128 v[80:83], off, off offset:288
	v_add_f64_e32 v[4:5], v[4:5], v[110:111]
	v_add_f64_e32 v[12:13], v[108:109], v[12:13]
	scratch_load_b128 v[108:111], off, off offset:272
	ds_load_b128 v[8:11], v2 offset:576
	v_fmac_f64_e32 v[126:127], v[78:79], v[84:85]
	v_add_f64_e32 v[4:5], v[4:5], v[128:129]
	v_add_f64_e32 v[12:13], v[12:13], v[120:121]
	v_fma_f64 v[120:121], v[76:77], v[84:85], -v[86:87]
	ds_load_b128 v[76:79], v2 offset:592
	s_wait_loadcnt_dscnt 0xa01
	v_mul_f64_e32 v[128:129], v[8:9], v[90:91]
	v_mul_f64_e32 v[90:91], v[10:11], v[90:91]
	scratch_load_b128 v[84:87], off, off offset:304
	v_add_f64_e32 v[4:5], v[4:5], v[122:123]
	v_add_f64_e32 v[12:13], v[12:13], v[124:125]
	s_wait_loadcnt_dscnt 0xa00
	v_mul_f64_e32 v[124:125], v[76:77], v[94:95]
	v_mul_f64_e32 v[94:95], v[78:79], v[94:95]
	v_fmac_f64_e32 v[128:129], v[10:11], v[88:89]
	v_fma_f64 v[122:123], v[8:9], v[88:89], -v[90:91]
	scratch_load_b128 v[88:91], off, off offset:320
	ds_load_b128 v[8:11], v2 offset:608
	v_add_f64_e32 v[4:5], v[4:5], v[126:127]
	v_add_f64_e32 v[12:13], v[12:13], v[120:121]
	v_fmac_f64_e32 v[124:125], v[78:79], v[92:93]
	v_fma_f64 v[120:121], v[76:77], v[92:93], -v[94:95]
	ds_load_b128 v[76:79], v2 offset:624
	s_wait_loadcnt_dscnt 0xa01
	v_mul_f64_e32 v[126:127], v[8:9], v[98:99]
	v_mul_f64_e32 v[98:99], v[10:11], v[98:99]
	scratch_load_b128 v[92:95], off, off offset:336
	v_add_f64_e32 v[4:5], v[4:5], v[128:129]
	v_add_f64_e32 v[12:13], v[12:13], v[122:123]
	s_wait_loadcnt_dscnt 0xa00
	v_mul_f64_e32 v[128:129], v[76:77], v[102:103]
	v_mul_f64_e32 v[102:103], v[78:79], v[102:103]
	v_fmac_f64_e32 v[126:127], v[10:11], v[96:97]
	v_fma_f64 v[122:123], v[8:9], v[96:97], -v[98:99]
	scratch_load_b128 v[8:11], off, off offset:352
	ds_load_b128 v[96:99], v2 offset:640
	v_add_f64_e32 v[4:5], v[4:5], v[124:125]
	v_add_f64_e32 v[12:13], v[12:13], v[120:121]
	v_fmac_f64_e32 v[128:129], v[78:79], v[100:101]
	v_fma_f64 v[120:121], v[76:77], v[100:101], -v[102:103]
	ds_load_b128 v[76:79], v2 offset:656
	s_wait_loadcnt_dscnt 0x901
	v_mul_f64_e32 v[124:125], v[96:97], v[118:119]
	v_mul_f64_e32 v[118:119], v[98:99], v[118:119]
	scratch_load_b128 v[100:103], off, off offset:368
	v_add_f64_e32 v[4:5], v[4:5], v[126:127]
	v_add_f64_e32 v[12:13], v[12:13], v[122:123]
	v_fmac_f64_e32 v[124:125], v[98:99], v[116:117]
	v_fma_f64 v[122:123], v[96:97], v[116:117], -v[118:119]
	scratch_load_b128 v[96:99], off, off offset:384
	ds_load_b128 v[116:119], v2 offset:672
	v_add_f64_e32 v[4:5], v[4:5], v[128:129]
	v_add_f64_e32 v[12:13], v[12:13], v[120:121]
	s_wait_loadcnt_dscnt 0xa01
	v_mul_f64_e32 v[126:127], v[76:77], v[106:107]
	v_mul_f64_e32 v[106:107], v[78:79], v[106:107]
	s_delay_alu instid0(VALU_DEP_4) | instskip(NEXT) | instid1(VALU_DEP_4)
	v_add_f64_e32 v[4:5], v[4:5], v[124:125]
	v_add_f64_e32 v[12:13], v[12:13], v[122:123]
	s_delay_alu instid0(VALU_DEP_4) | instskip(NEXT) | instid1(VALU_DEP_4)
	v_fmac_f64_e32 v[126:127], v[78:79], v[104:105]
	v_fma_f64 v[120:121], v[76:77], v[104:105], -v[106:107]
	ds_load_b128 v[76:79], v2 offset:688
	s_wait_loadcnt_dscnt 0x901
	v_mul_f64_e32 v[128:129], v[116:117], v[70:71]
	v_mul_f64_e32 v[70:71], v[118:119], v[70:71]
	scratch_load_b128 v[104:107], off, off offset:400
	s_wait_loadcnt_dscnt 0x900
	v_mul_f64_e32 v[124:125], v[76:77], v[74:75]
	v_mul_f64_e32 v[74:75], v[78:79], v[74:75]
	v_add_f64_e32 v[4:5], v[4:5], v[126:127]
	v_add_f64_e32 v[12:13], v[12:13], v[120:121]
	v_fmac_f64_e32 v[128:129], v[118:119], v[68:69]
	v_fma_f64 v[122:123], v[116:117], v[68:69], -v[70:71]
	scratch_load_b128 v[68:71], off, off offset:416
	ds_load_b128 v[116:119], v2 offset:704
	v_fmac_f64_e32 v[124:125], v[78:79], v[72:73]
	v_fma_f64 v[76:77], v[76:77], v[72:73], -v[74:75]
	ds_load_b128 v[72:75], v2 offset:720
	s_wait_loadcnt_dscnt 0x801
	v_mul_f64_e32 v[120:121], v[116:117], v[110:111]
	v_mul_f64_e32 v[78:79], v[118:119], v[110:111]
	v_add_f64_e32 v[4:5], v[4:5], v[128:129]
	v_add_f64_e32 v[12:13], v[12:13], v[122:123]
	s_wait_dscnt 0x0
	v_mul_f64_e32 v[122:123], v[72:73], v[82:83]
	v_mul_f64_e32 v[82:83], v[74:75], v[82:83]
	v_fmac_f64_e32 v[120:121], v[118:119], v[108:109]
	v_fma_f64 v[116:117], v[116:117], v[108:109], -v[78:79]
	v_add_f64_e32 v[4:5], v[4:5], v[124:125]
	v_add_f64_e32 v[12:13], v[12:13], v[76:77]
	ds_load_b128 v[76:79], v2 offset:736
	ds_load_b128 v[108:111], v2 offset:752
	v_fmac_f64_e32 v[122:123], v[74:75], v[80:81]
	v_fma_f64 v[72:73], v[72:73], v[80:81], -v[82:83]
	s_wait_loadcnt_dscnt 0x701
	v_mul_f64_e32 v[118:119], v[76:77], v[86:87]
	v_mul_f64_e32 v[86:87], v[78:79], v[86:87]
	v_add_f64_e32 v[4:5], v[4:5], v[120:121]
	v_add_f64_e32 v[12:13], v[12:13], v[116:117]
	s_wait_loadcnt_dscnt 0x600
	v_mul_f64_e32 v[80:81], v[108:109], v[90:91]
	v_mul_f64_e32 v[82:83], v[110:111], v[90:91]
	v_fmac_f64_e32 v[118:119], v[78:79], v[84:85]
	v_fma_f64 v[84:85], v[76:77], v[84:85], -v[86:87]
	v_add_f64_e32 v[4:5], v[4:5], v[122:123]
	v_add_f64_e32 v[12:13], v[12:13], v[72:73]
	ds_load_b128 v[72:75], v2 offset:768
	ds_load_b128 v[76:79], v2 offset:784
	v_fmac_f64_e32 v[80:81], v[110:111], v[88:89]
	v_fma_f64 v[82:83], v[108:109], v[88:89], -v[82:83]
	s_wait_loadcnt_dscnt 0x501
	v_mul_f64_e32 v[86:87], v[72:73], v[94:95]
	v_mul_f64_e32 v[90:91], v[74:75], v[94:95]
	v_add_f64_e32 v[4:5], v[4:5], v[118:119]
	v_add_f64_e32 v[12:13], v[12:13], v[84:85]
	s_wait_loadcnt_dscnt 0x400
	v_mul_f64_e32 v[84:85], v[76:77], v[10:11]
	v_mul_f64_e32 v[88:89], v[78:79], v[10:11]
	v_fmac_f64_e32 v[86:87], v[74:75], v[92:93]
	v_fma_f64 v[90:91], v[72:73], v[92:93], -v[90:91]
	v_add_f64_e32 v[4:5], v[4:5], v[80:81]
	v_add_f64_e32 v[82:83], v[12:13], v[82:83]
	ds_load_b128 v[10:13], v2 offset:800
	ds_load_b128 v[72:75], v2 offset:816
	v_fmac_f64_e32 v[84:85], v[78:79], v[8:9]
	v_fma_f64 v[8:9], v[76:77], v[8:9], -v[88:89]
	s_wait_loadcnt_dscnt 0x301
	v_mul_f64_e32 v[80:81], v[10:11], v[102:103]
	v_mul_f64_e32 v[92:93], v[12:13], v[102:103]
	v_add_f64_e32 v[4:5], v[4:5], v[86:87]
	v_add_f64_e32 v[76:77], v[82:83], v[90:91]
	s_wait_loadcnt_dscnt 0x200
	v_mul_f64_e32 v[78:79], v[72:73], v[98:99]
	v_mul_f64_e32 v[82:83], v[74:75], v[98:99]
	v_fmac_f64_e32 v[80:81], v[12:13], v[100:101]
	v_fma_f64 v[12:13], v[10:11], v[100:101], -v[92:93]
	v_add_f64_e32 v[84:85], v[4:5], v[84:85]
	v_add_f64_e32 v[76:77], v[76:77], v[8:9]
	ds_load_b128 v[8:11], v2 offset:832
	ds_load_b128 v[2:5], v2 offset:848
	v_fmac_f64_e32 v[78:79], v[74:75], v[96:97]
	v_fma_f64 v[72:73], v[72:73], v[96:97], -v[82:83]
	v_add_f64_e32 v[74:75], v[84:85], v[80:81]
	v_add_f64_e32 v[12:13], v[76:77], v[12:13]
	s_wait_loadcnt_dscnt 0x101
	v_mul_f64_e32 v[86:87], v[8:9], v[106:107]
	v_mul_f64_e32 v[88:89], v[10:11], v[106:107]
	s_wait_loadcnt_dscnt 0x0
	v_mul_f64_e32 v[76:77], v[2:3], v[70:71]
	v_mul_f64_e32 v[70:71], v[4:5], v[70:71]
	s_delay_alu instid0(VALU_DEP_4) | instskip(NEXT) | instid1(VALU_DEP_4)
	v_fmac_f64_e32 v[86:87], v[10:11], v[104:105]
	v_fma_f64 v[8:9], v[8:9], v[104:105], -v[88:89]
	v_add_f64_e32 v[10:11], v[12:13], v[72:73]
	v_add_f64_e32 v[12:13], v[74:75], v[78:79]
	v_fmac_f64_e32 v[76:77], v[4:5], v[68:69]
	v_fma_f64 v[2:3], v[2:3], v[68:69], -v[70:71]
	s_delay_alu instid0(VALU_DEP_4) | instskip(NEXT) | instid1(VALU_DEP_4)
	v_add_f64_e32 v[4:5], v[10:11], v[8:9]
	v_add_f64_e32 v[8:9], v[12:13], v[86:87]
	s_delay_alu instid0(VALU_DEP_2) | instskip(NEXT) | instid1(VALU_DEP_2)
	v_add_f64_e32 v[2:3], v[4:5], v[2:3]
	v_add_f64_e32 v[4:5], v[8:9], v[76:77]
	s_delay_alu instid0(VALU_DEP_2) | instskip(NEXT) | instid1(VALU_DEP_2)
	v_add_f64_e64 v[2:3], v[112:113], -v[2:3]
	v_add_f64_e64 v[4:5], v[114:115], -v[4:5]
	scratch_store_b128 off, v[2:5], off offset:32
	s_wait_xcnt 0x0
	v_cmpx_lt_u32_e32 1, v1
	s_cbranch_execz .LBB26_173
; %bb.172:
	scratch_load_b128 v[2:5], off, s14
	v_mov_b32_e32 v8, 0
	s_delay_alu instid0(VALU_DEP_1)
	v_dual_mov_b32 v9, v8 :: v_dual_mov_b32 v10, v8
	v_mov_b32_e32 v11, v8
	scratch_store_b128 off, v[8:11], off offset:16
	s_wait_loadcnt 0x0
	ds_store_b128 v6, v[2:5]
.LBB26_173:
	s_wait_xcnt 0x0
	s_or_b32 exec_lo, exec_lo, s2
	s_wait_storecnt_dscnt 0x0
	s_barrier_signal -1
	s_barrier_wait -1
	s_clause 0x9
	scratch_load_b128 v[8:11], off, off offset:32
	scratch_load_b128 v[68:71], off, off offset:48
	;; [unrolled: 1-line block ×10, first 2 shown]
	v_mov_b32_e32 v2, 0
	s_clause 0x2
	scratch_load_b128 v[108:111], off, off offset:192
	scratch_load_b128 v[112:115], off, off offset:208
	;; [unrolled: 1-line block ×3, first 2 shown]
	s_mov_b32 s2, exec_lo
	ds_load_b128 v[104:107], v2 offset:464
	s_wait_loadcnt_dscnt 0xc00
	v_mul_f64_e32 v[4:5], v[106:107], v[10:11]
	v_mul_f64_e32 v[120:121], v[104:105], v[10:11]
	ds_load_b128 v[10:13], v2 offset:480
	v_fma_f64 v[4:5], v[104:105], v[8:9], -v[4:5]
	v_fmac_f64_e32 v[120:121], v[106:107], v[8:9]
	ds_load_b128 v[104:107], v2 offset:496
	s_wait_loadcnt_dscnt 0xb01
	v_mul_f64_e32 v[122:123], v[10:11], v[70:71]
	v_mul_f64_e32 v[70:71], v[12:13], v[70:71]
	s_wait_loadcnt_dscnt 0xa00
	v_mul_f64_e32 v[124:125], v[104:105], v[74:75]
	v_mul_f64_e32 v[74:75], v[106:107], v[74:75]
	v_add_f64_e32 v[4:5], 0, v[4:5]
	v_add_f64_e32 v[120:121], 0, v[120:121]
	v_fmac_f64_e32 v[122:123], v[12:13], v[68:69]
	v_fma_f64 v[12:13], v[10:11], v[68:69], -v[70:71]
	ds_load_b128 v[8:11], v2 offset:512
	scratch_load_b128 v[68:71], off, off offset:240
	v_fmac_f64_e32 v[124:125], v[106:107], v[72:73]
	v_fma_f64 v[128:129], v[104:105], v[72:73], -v[74:75]
	ds_load_b128 v[72:75], v2 offset:528
	s_wait_loadcnt_dscnt 0xa01
	v_mul_f64_e32 v[126:127], v[8:9], v[78:79]
	v_mul_f64_e32 v[78:79], v[10:11], v[78:79]
	scratch_load_b128 v[104:107], off, off offset:256
	v_add_f64_e32 v[4:5], v[4:5], v[12:13]
	v_add_f64_e32 v[12:13], v[120:121], v[122:123]
	s_wait_loadcnt_dscnt 0xa00
	v_mul_f64_e32 v[120:121], v[72:73], v[82:83]
	v_mul_f64_e32 v[82:83], v[74:75], v[82:83]
	v_fmac_f64_e32 v[126:127], v[10:11], v[76:77]
	v_fma_f64 v[122:123], v[8:9], v[76:77], -v[78:79]
	ds_load_b128 v[8:11], v2 offset:544
	scratch_load_b128 v[76:79], off, off offset:272
	v_add_f64_e32 v[4:5], v[4:5], v[128:129]
	v_add_f64_e32 v[12:13], v[12:13], v[124:125]
	v_fmac_f64_e32 v[120:121], v[74:75], v[80:81]
	v_fma_f64 v[128:129], v[72:73], v[80:81], -v[82:83]
	ds_load_b128 v[72:75], v2 offset:560
	s_wait_loadcnt_dscnt 0xa01
	v_mul_f64_e32 v[124:125], v[8:9], v[86:87]
	v_mul_f64_e32 v[86:87], v[10:11], v[86:87]
	scratch_load_b128 v[80:83], off, off offset:288
	v_add_f64_e32 v[4:5], v[4:5], v[122:123]
	v_add_f64_e32 v[12:13], v[12:13], v[126:127]
	s_wait_loadcnt_dscnt 0xa00
	v_mul_f64_e32 v[122:123], v[72:73], v[90:91]
	v_mul_f64_e32 v[90:91], v[74:75], v[90:91]
	v_fmac_f64_e32 v[124:125], v[10:11], v[84:85]
	v_fma_f64 v[126:127], v[8:9], v[84:85], -v[86:87]
	ds_load_b128 v[8:11], v2 offset:576
	scratch_load_b128 v[84:87], off, off offset:304
	v_add_f64_e32 v[4:5], v[4:5], v[128:129]
	v_add_f64_e32 v[12:13], v[12:13], v[120:121]
	;; [unrolled: 18-line block ×5, first 2 shown]
	s_wait_loadcnt_dscnt 0xa00
	v_mul_f64_e32 v[120:121], v[8:9], v[70:71]
	v_mul_f64_e32 v[128:129], v[10:11], v[70:71]
	v_fmac_f64_e32 v[122:123], v[74:75], v[116:117]
	v_fma_f64 v[74:75], v[72:73], v[116:117], -v[118:119]
	ds_load_b128 v[70:73], v2 offset:688
	scratch_load_b128 v[116:119], off, off offset:416
	v_add_f64_e32 v[4:5], v[4:5], v[126:127]
	v_add_f64_e32 v[12:13], v[12:13], v[124:125]
	v_fmac_f64_e32 v[120:121], v[10:11], v[68:69]
	v_fma_f64 v[68:69], v[8:9], v[68:69], -v[128:129]
	ds_load_b128 v[8:11], v2 offset:704
	s_wait_loadcnt_dscnt 0xa01
	v_mul_f64_e32 v[124:125], v[70:71], v[106:107]
	v_mul_f64_e32 v[106:107], v[72:73], v[106:107]
	v_add_f64_e32 v[4:5], v[4:5], v[74:75]
	v_add_f64_e32 v[12:13], v[12:13], v[122:123]
	s_wait_loadcnt_dscnt 0x900
	v_mul_f64_e32 v[122:123], v[8:9], v[78:79]
	v_mul_f64_e32 v[74:75], v[10:11], v[78:79]
	v_fmac_f64_e32 v[124:125], v[72:73], v[104:105]
	v_fma_f64 v[72:73], v[70:71], v[104:105], -v[106:107]
	v_add_f64_e32 v[4:5], v[4:5], v[68:69]
	v_add_f64_e32 v[12:13], v[12:13], v[120:121]
	ds_load_b128 v[68:71], v2 offset:720
	v_fmac_f64_e32 v[122:123], v[10:11], v[76:77]
	v_fma_f64 v[76:77], v[8:9], v[76:77], -v[74:75]
	ds_load_b128 v[8:11], v2 offset:736
	s_wait_loadcnt_dscnt 0x700
	v_mul_f64_e32 v[104:105], v[8:9], v[86:87]
	v_mul_f64_e32 v[86:87], v[10:11], v[86:87]
	v_add_f64_e32 v[4:5], v[4:5], v[72:73]
	v_add_f64_e32 v[12:13], v[12:13], v[124:125]
	scratch_load_b128 v[72:75], off, off offset:16
	v_mul_f64_e32 v[78:79], v[68:69], v[82:83]
	v_mul_f64_e32 v[82:83], v[70:71], v[82:83]
	v_fmac_f64_e32 v[104:105], v[10:11], v[84:85]
	v_fma_f64 v[84:85], v[8:9], v[84:85], -v[86:87]
	ds_load_b128 v[8:11], v2 offset:768
	v_add_f64_e32 v[4:5], v[4:5], v[76:77]
	v_add_f64_e32 v[12:13], v[12:13], v[122:123]
	v_fmac_f64_e32 v[78:79], v[70:71], v[80:81]
	v_fma_f64 v[80:81], v[68:69], v[80:81], -v[82:83]
	ds_load_b128 v[68:71], v2 offset:752
	s_wait_loadcnt_dscnt 0x700
	v_mul_f64_e32 v[76:77], v[68:69], v[90:91]
	v_mul_f64_e32 v[82:83], v[70:71], v[90:91]
	v_add_f64_e32 v[12:13], v[12:13], v[78:79]
	v_add_f64_e32 v[4:5], v[4:5], v[80:81]
	s_wait_loadcnt 0x6
	v_mul_f64_e32 v[78:79], v[8:9], v[94:95]
	v_mul_f64_e32 v[80:81], v[10:11], v[94:95]
	v_fmac_f64_e32 v[76:77], v[70:71], v[88:89]
	v_fma_f64 v[82:83], v[68:69], v[88:89], -v[82:83]
	ds_load_b128 v[68:71], v2 offset:784
	v_add_f64_e32 v[12:13], v[12:13], v[104:105]
	v_add_f64_e32 v[4:5], v[4:5], v[84:85]
	v_fmac_f64_e32 v[78:79], v[10:11], v[92:93]
	v_fma_f64 v[80:81], v[8:9], v[92:93], -v[80:81]
	ds_load_b128 v[8:11], v2 offset:800
	s_wait_loadcnt_dscnt 0x501
	v_mul_f64_e32 v[84:85], v[68:69], v[98:99]
	v_mul_f64_e32 v[86:87], v[70:71], v[98:99]
	v_add_f64_e32 v[12:13], v[12:13], v[76:77]
	v_add_f64_e32 v[4:5], v[4:5], v[82:83]
	s_wait_loadcnt_dscnt 0x400
	v_mul_f64_e32 v[76:77], v[8:9], v[102:103]
	v_mul_f64_e32 v[82:83], v[10:11], v[102:103]
	v_fmac_f64_e32 v[84:85], v[70:71], v[96:97]
	v_fma_f64 v[86:87], v[68:69], v[96:97], -v[86:87]
	ds_load_b128 v[68:71], v2 offset:816
	v_add_f64_e32 v[12:13], v[12:13], v[78:79]
	v_add_f64_e32 v[4:5], v[4:5], v[80:81]
	v_fmac_f64_e32 v[76:77], v[10:11], v[100:101]
	v_fma_f64 v[82:83], v[8:9], v[100:101], -v[82:83]
	ds_load_b128 v[8:11], v2 offset:832
	s_wait_loadcnt_dscnt 0x301
	v_mul_f64_e32 v[78:79], v[68:69], v[110:111]
	v_mul_f64_e32 v[80:81], v[70:71], v[110:111]
	v_add_f64_e32 v[12:13], v[12:13], v[84:85]
	v_add_f64_e32 v[4:5], v[4:5], v[86:87]
	s_wait_loadcnt_dscnt 0x200
	v_mul_f64_e32 v[84:85], v[8:9], v[114:115]
	v_mul_f64_e32 v[86:87], v[10:11], v[114:115]
	v_fmac_f64_e32 v[78:79], v[70:71], v[108:109]
	v_fma_f64 v[80:81], v[68:69], v[108:109], -v[80:81]
	ds_load_b128 v[68:71], v2 offset:848
	v_add_f64_e32 v[12:13], v[12:13], v[76:77]
	v_add_f64_e32 v[4:5], v[4:5], v[82:83]
	s_wait_loadcnt_dscnt 0x100
	v_mul_f64_e32 v[76:77], v[68:69], v[118:119]
	v_mul_f64_e32 v[82:83], v[70:71], v[118:119]
	v_fmac_f64_e32 v[84:85], v[10:11], v[112:113]
	v_fma_f64 v[8:9], v[8:9], v[112:113], -v[86:87]
	v_add_f64_e32 v[10:11], v[12:13], v[78:79]
	v_add_f64_e32 v[4:5], v[4:5], v[80:81]
	v_fmac_f64_e32 v[76:77], v[70:71], v[116:117]
	v_fma_f64 v[12:13], v[68:69], v[116:117], -v[82:83]
	s_delay_alu instid0(VALU_DEP_3) | instskip(SKIP_1) | instid1(VALU_DEP_2)
	v_add_f64_e32 v[4:5], v[4:5], v[8:9]
	v_add_f64_e32 v[8:9], v[10:11], v[84:85]
	;; [unrolled: 1-line block ×3, first 2 shown]
	s_delay_alu instid0(VALU_DEP_2) | instskip(SKIP_1) | instid1(VALU_DEP_2)
	v_add_f64_e32 v[10:11], v[8:9], v[76:77]
	s_wait_loadcnt 0x0
	v_add_f64_e64 v[8:9], v[72:73], -v[4:5]
	s_delay_alu instid0(VALU_DEP_2)
	v_add_f64_e64 v[10:11], v[74:75], -v[10:11]
	scratch_store_b128 off, v[8:11], off offset:16
	s_wait_xcnt 0x0
	v_cmpx_ne_u32_e32 0, v1
	s_cbranch_execz .LBB26_175
; %bb.174:
	scratch_load_b128 v[8:11], off, off
	v_dual_mov_b32 v3, v2 :: v_dual_mov_b32 v4, v2
	v_mov_b32_e32 v5, v2
	scratch_store_b128 off, v[2:5], off
	s_wait_loadcnt 0x0
	ds_store_b128 v6, v[8:11]
.LBB26_175:
	s_wait_xcnt 0x0
	s_or_b32 exec_lo, exec_lo, s2
	s_wait_storecnt_dscnt 0x0
	s_barrier_signal -1
	s_barrier_wait -1
	s_clause 0x9
	scratch_load_b128 v[4:7], off, off offset:16
	scratch_load_b128 v[8:11], off, off offset:32
	;; [unrolled: 1-line block ×10, first 2 shown]
	ds_load_b128 v[100:103], v2 offset:448
	ds_load_b128 v[104:107], v2 offset:464
	s_clause 0x1
	scratch_load_b128 v[108:111], off, off
	scratch_load_b128 v[112:115], off, off offset:176
	s_and_b32 vcc_lo, exec_lo, s39
	s_wait_loadcnt_dscnt 0xb01
	v_mul_f64_e32 v[116:117], v[102:103], v[6:7]
	v_mul_f64_e32 v[118:119], v[100:101], v[6:7]
	s_wait_loadcnt_dscnt 0xa00
	v_mul_f64_e32 v[120:121], v[104:105], v[10:11]
	v_mul_f64_e32 v[122:123], v[106:107], v[10:11]
	ds_load_b128 v[10:13], v2 offset:480
	v_fma_f64 v[116:117], v[100:101], v[4:5], -v[116:117]
	v_fmac_f64_e32 v[118:119], v[102:103], v[4:5]
	scratch_load_b128 v[4:7], off, off offset:192
	ds_load_b128 v[100:103], v2 offset:496
	s_wait_loadcnt_dscnt 0xa01
	v_mul_f64_e32 v[124:125], v[10:11], v[70:71]
	v_fmac_f64_e32 v[120:121], v[106:107], v[8:9]
	v_fma_f64 v[122:123], v[104:105], v[8:9], -v[122:123]
	v_mul_f64_e32 v[8:9], v[12:13], v[70:71]
	scratch_load_b128 v[104:107], off, off offset:208
	v_add_f64_e32 v[70:71], 0, v[116:117]
	v_add_f64_e32 v[118:119], 0, v[118:119]
	s_wait_loadcnt_dscnt 0xa00
	v_mul_f64_e32 v[116:117], v[100:101], v[74:75]
	v_mul_f64_e32 v[74:75], v[102:103], v[74:75]
	v_fmac_f64_e32 v[124:125], v[12:13], v[68:69]
	v_fma_f64 v[12:13], v[10:11], v[68:69], -v[8:9]
	ds_load_b128 v[8:11], v2 offset:512
	v_add_f64_e32 v[122:123], v[70:71], v[122:123]
	scratch_load_b128 v[68:71], off, off offset:224
	v_add_f64_e32 v[118:119], v[118:119], v[120:121]
	v_fmac_f64_e32 v[116:117], v[102:103], v[72:73]
	v_fma_f64 v[120:121], v[100:101], v[72:73], -v[74:75]
	ds_load_b128 v[72:75], v2 offset:528
	s_wait_loadcnt_dscnt 0xa01
	v_mul_f64_e32 v[126:127], v[8:9], v[78:79]
	v_mul_f64_e32 v[78:79], v[10:11], v[78:79]
	scratch_load_b128 v[100:103], off, off offset:240
	v_add_f64_e32 v[12:13], v[122:123], v[12:13]
	s_wait_loadcnt_dscnt 0xa00
	v_mul_f64_e32 v[122:123], v[72:73], v[82:83]
	v_add_f64_e32 v[118:119], v[118:119], v[124:125]
	v_mul_f64_e32 v[82:83], v[74:75], v[82:83]
	v_fmac_f64_e32 v[126:127], v[10:11], v[76:77]
	v_fma_f64 v[124:125], v[8:9], v[76:77], -v[78:79]
	scratch_load_b128 v[76:79], off, off offset:256
	ds_load_b128 v[8:11], v2 offset:544
	v_add_f64_e32 v[12:13], v[12:13], v[120:121]
	v_fmac_f64_e32 v[122:123], v[74:75], v[80:81]
	v_add_f64_e32 v[116:117], v[118:119], v[116:117]
	v_fma_f64 v[118:119], v[72:73], v[80:81], -v[82:83]
	ds_load_b128 v[72:75], v2 offset:560
	s_wait_loadcnt_dscnt 0xa01
	v_mul_f64_e32 v[120:121], v[8:9], v[86:87]
	v_mul_f64_e32 v[86:87], v[10:11], v[86:87]
	scratch_load_b128 v[80:83], off, off offset:272
	v_add_f64_e32 v[12:13], v[12:13], v[124:125]
	s_wait_loadcnt_dscnt 0xa00
	v_mul_f64_e32 v[124:125], v[72:73], v[90:91]
	v_add_f64_e32 v[116:117], v[116:117], v[126:127]
	v_mul_f64_e32 v[90:91], v[74:75], v[90:91]
	v_fmac_f64_e32 v[120:121], v[10:11], v[84:85]
	v_fma_f64 v[126:127], v[8:9], v[84:85], -v[86:87]
	scratch_load_b128 v[84:87], off, off offset:288
	ds_load_b128 v[8:11], v2 offset:576
	v_add_f64_e32 v[12:13], v[12:13], v[118:119]
	v_fmac_f64_e32 v[124:125], v[74:75], v[88:89]
	v_add_f64_e32 v[116:117], v[116:117], v[122:123]
	v_fma_f64 v[118:119], v[72:73], v[88:89], -v[90:91]
	ds_load_b128 v[72:75], v2 offset:592
	s_wait_loadcnt_dscnt 0xa01
	v_mul_f64_e32 v[122:123], v[8:9], v[94:95]
	v_mul_f64_e32 v[94:95], v[10:11], v[94:95]
	scratch_load_b128 v[88:91], off, off offset:304
	v_add_f64_e32 v[12:13], v[12:13], v[126:127]
	v_add_f64_e32 v[116:117], v[116:117], v[120:121]
	s_wait_loadcnt_dscnt 0xa00
	v_mul_f64_e32 v[120:121], v[72:73], v[98:99]
	v_mul_f64_e32 v[98:99], v[74:75], v[98:99]
	v_fmac_f64_e32 v[122:123], v[10:11], v[92:93]
	v_fma_f64 v[126:127], v[8:9], v[92:93], -v[94:95]
	scratch_load_b128 v[92:95], off, off offset:320
	ds_load_b128 v[8:11], v2 offset:608
	v_add_f64_e32 v[12:13], v[12:13], v[118:119]
	v_add_f64_e32 v[116:117], v[116:117], v[124:125]
	v_fmac_f64_e32 v[120:121], v[74:75], v[96:97]
	v_fma_f64 v[118:119], v[72:73], v[96:97], -v[98:99]
	ds_load_b128 v[72:75], v2 offset:624
	s_wait_loadcnt_dscnt 0x901
	v_mul_f64_e32 v[124:125], v[8:9], v[114:115]
	v_mul_f64_e32 v[114:115], v[10:11], v[114:115]
	scratch_load_b128 v[96:99], off, off offset:336
	v_add_f64_e32 v[12:13], v[12:13], v[126:127]
	v_add_f64_e32 v[116:117], v[116:117], v[122:123]
	v_fmac_f64_e32 v[124:125], v[10:11], v[112:113]
	v_fma_f64 v[112:113], v[8:9], v[112:113], -v[114:115]
	s_delay_alu instid0(VALU_DEP_4)
	v_add_f64_e32 v[118:119], v[12:13], v[118:119]
	ds_load_b128 v[10:13], v2 offset:640
	s_wait_loadcnt_dscnt 0x901
	v_mul_f64_e32 v[122:123], v[72:73], v[6:7]
	v_mul_f64_e32 v[114:115], v[74:75], v[6:7]
	scratch_load_b128 v[6:9], off, off offset:352
	v_add_f64_e32 v[116:117], v[116:117], v[120:121]
	v_add_f64_e32 v[118:119], v[118:119], v[112:113]
	v_fmac_f64_e32 v[122:123], v[74:75], v[4:5]
	v_fma_f64 v[4:5], v[72:73], v[4:5], -v[114:115]
	ds_load_b128 v[72:75], v2 offset:656
	s_wait_loadcnt_dscnt 0x901
	v_mul_f64_e32 v[120:121], v[10:11], v[106:107]
	v_mul_f64_e32 v[106:107], v[12:13], v[106:107]
	scratch_load_b128 v[112:115], off, off offset:368
	v_add_f64_e32 v[116:117], v[116:117], v[124:125]
	s_wait_loadcnt_dscnt 0x900
	v_mul_f64_e32 v[124:125], v[72:73], v[70:71]
	v_mul_f64_e32 v[70:71], v[74:75], v[70:71]
	v_add_f64_e32 v[4:5], v[118:119], v[4:5]
	v_fmac_f64_e32 v[120:121], v[12:13], v[104:105]
	v_fma_f64 v[126:127], v[10:11], v[104:105], -v[106:107]
	scratch_load_b128 v[10:13], off, off offset:384
	v_add_f64_e32 v[116:117], v[116:117], v[122:123]
	ds_load_b128 v[104:107], v2 offset:672
	v_fmac_f64_e32 v[124:125], v[74:75], v[68:69]
	v_fma_f64 v[118:119], v[72:73], v[68:69], -v[70:71]
	ds_load_b128 v[68:71], v2 offset:688
	s_wait_loadcnt_dscnt 0x901
	v_mul_f64_e32 v[122:123], v[104:105], v[102:103]
	v_mul_f64_e32 v[102:103], v[106:107], v[102:103]
	v_add_f64_e32 v[4:5], v[4:5], v[126:127]
	scratch_load_b128 v[72:75], off, off offset:400
	v_add_f64_e32 v[116:117], v[116:117], v[120:121]
	s_wait_loadcnt_dscnt 0x900
	v_mul_f64_e32 v[126:127], v[68:69], v[78:79]
	v_mul_f64_e32 v[78:79], v[70:71], v[78:79]
	v_fmac_f64_e32 v[122:123], v[106:107], v[100:101]
	v_fma_f64 v[120:121], v[104:105], v[100:101], -v[102:103]
	scratch_load_b128 v[100:103], off, off offset:416
	v_add_f64_e32 v[4:5], v[4:5], v[118:119]
	v_add_f64_e32 v[116:117], v[116:117], v[124:125]
	ds_load_b128 v[104:107], v2 offset:704
	v_fmac_f64_e32 v[126:127], v[70:71], v[76:77]
	v_fma_f64 v[76:77], v[68:69], v[76:77], -v[78:79]
	ds_load_b128 v[68:71], v2 offset:720
	s_wait_loadcnt_dscnt 0x901
	v_mul_f64_e32 v[118:119], v[104:105], v[82:83]
	v_mul_f64_e32 v[78:79], v[106:107], v[82:83]
	v_add_f64_e32 v[4:5], v[4:5], v[120:121]
	v_add_f64_e32 v[82:83], v[116:117], v[122:123]
	s_wait_loadcnt_dscnt 0x800
	v_mul_f64_e32 v[116:117], v[68:69], v[86:87]
	v_mul_f64_e32 v[86:87], v[70:71], v[86:87]
	v_fmac_f64_e32 v[118:119], v[106:107], v[80:81]
	v_fma_f64 v[104:105], v[104:105], v[80:81], -v[78:79]
	v_add_f64_e32 v[4:5], v[4:5], v[76:77]
	v_add_f64_e32 v[106:107], v[82:83], v[126:127]
	ds_load_b128 v[76:79], v2 offset:736
	ds_load_b128 v[80:83], v2 offset:752
	v_fmac_f64_e32 v[116:117], v[70:71], v[84:85]
	v_fma_f64 v[68:69], v[68:69], v[84:85], -v[86:87]
	s_wait_loadcnt_dscnt 0x701
	v_mul_f64_e32 v[120:121], v[76:77], v[90:91]
	v_mul_f64_e32 v[90:91], v[78:79], v[90:91]
	v_add_f64_e32 v[4:5], v[4:5], v[104:105]
	v_add_f64_e32 v[70:71], v[106:107], v[118:119]
	s_wait_loadcnt_dscnt 0x600
	v_mul_f64_e32 v[84:85], v[80:81], v[94:95]
	v_mul_f64_e32 v[86:87], v[82:83], v[94:95]
	v_fmac_f64_e32 v[120:121], v[78:79], v[88:89]
	v_fma_f64 v[88:89], v[76:77], v[88:89], -v[90:91]
	v_add_f64_e32 v[4:5], v[4:5], v[68:69]
	v_add_f64_e32 v[90:91], v[70:71], v[116:117]
	ds_load_b128 v[68:71], v2 offset:768
	ds_load_b128 v[76:79], v2 offset:784
	v_fmac_f64_e32 v[84:85], v[82:83], v[92:93]
	v_fma_f64 v[80:81], v[80:81], v[92:93], -v[86:87]
	s_wait_loadcnt_dscnt 0x501
	v_mul_f64_e32 v[94:95], v[68:69], v[98:99]
	v_mul_f64_e32 v[98:99], v[70:71], v[98:99]
	v_add_f64_e32 v[4:5], v[4:5], v[88:89]
	v_add_f64_e32 v[82:83], v[90:91], v[120:121]
	s_delay_alu instid0(VALU_DEP_4) | instskip(NEXT) | instid1(VALU_DEP_4)
	v_fmac_f64_e32 v[94:95], v[70:71], v[96:97]
	v_fma_f64 v[88:89], v[68:69], v[96:97], -v[98:99]
	s_wait_loadcnt_dscnt 0x400
	v_mul_f64_e32 v[86:87], v[76:77], v[8:9]
	v_mul_f64_e32 v[8:9], v[78:79], v[8:9]
	v_add_f64_e32 v[4:5], v[4:5], v[80:81]
	v_add_f64_e32 v[84:85], v[82:83], v[84:85]
	ds_load_b128 v[68:71], v2 offset:800
	ds_load_b128 v[80:83], v2 offset:816
	v_fmac_f64_e32 v[86:87], v[78:79], v[6:7]
	v_fma_f64 v[6:7], v[76:77], v[6:7], -v[8:9]
	s_wait_loadcnt_dscnt 0x301
	v_mul_f64_e32 v[90:91], v[68:69], v[114:115]
	v_mul_f64_e32 v[92:93], v[70:71], v[114:115]
	v_add_f64_e32 v[4:5], v[4:5], v[88:89]
	v_add_f64_e32 v[8:9], v[84:85], v[94:95]
	s_wait_loadcnt_dscnt 0x200
	v_mul_f64_e32 v[76:77], v[80:81], v[12:13]
	v_mul_f64_e32 v[12:13], v[82:83], v[12:13]
	v_fmac_f64_e32 v[90:91], v[70:71], v[112:113]
	v_fma_f64 v[78:79], v[68:69], v[112:113], -v[92:93]
	v_add_f64_e32 v[84:85], v[4:5], v[6:7]
	v_add_f64_e32 v[8:9], v[8:9], v[86:87]
	ds_load_b128 v[4:7], v2 offset:832
	ds_load_b128 v[68:71], v2 offset:848
	s_wait_loadcnt_dscnt 0x101
	v_mul_f64_e32 v[2:3], v[4:5], v[74:75]
	v_mul_f64_e32 v[74:75], v[6:7], v[74:75]
	v_fmac_f64_e32 v[76:77], v[82:83], v[10:11]
	v_fma_f64 v[10:11], v[80:81], v[10:11], -v[12:13]
	v_add_f64_e32 v[12:13], v[84:85], v[78:79]
	v_add_f64_e32 v[8:9], v[8:9], v[90:91]
	s_wait_loadcnt_dscnt 0x0
	v_mul_f64_e32 v[78:79], v[68:69], v[102:103]
	v_mul_f64_e32 v[80:81], v[70:71], v[102:103]
	v_fmac_f64_e32 v[2:3], v[6:7], v[72:73]
	v_fma_f64 v[4:5], v[4:5], v[72:73], -v[74:75]
	v_lshl_add_u64 v[74:75], v[20:21], 4, s[4:5]
	v_add_f64_e32 v[6:7], v[12:13], v[10:11]
	v_add_f64_e32 v[8:9], v[8:9], v[76:77]
	v_lshl_add_u64 v[76:77], v[18:19], 4, s[4:5]
	v_lshl_add_u64 v[72:73], v[22:23], 4, s[4:5]
	;; [unrolled: 1-line block ×10, first 2 shown]
	v_fmac_f64_e32 v[78:79], v[70:71], v[100:101]
	v_fma_f64 v[10:11], v[68:69], v[100:101], -v[80:81]
	v_lshl_add_u64 v[68:69], v[24:25], 4, s[4:5]
	v_lshl_add_u64 v[70:71], v[26:27], 4, s[4:5]
	;; [unrolled: 1-line block ×3, first 2 shown]
	v_add_f64_e32 v[4:5], v[6:7], v[4:5]
	v_add_f64_e32 v[2:3], v[8:9], v[2:3]
	v_lshl_add_u64 v[6:7], v[32:33], 4, s[4:5]
	v_lshl_add_u64 v[8:9], v[34:35], 4, s[4:5]
	;; [unrolled: 1-line block ×5, first 2 shown]
	v_add_f64_e32 v[4:5], v[4:5], v[10:11]
	v_add_f64_e32 v[2:3], v[2:3], v[78:79]
	v_lshl_add_u64 v[10:11], v[36:37], 4, s[4:5]
	v_lshl_add_u64 v[36:37], v[58:59], 4, s[4:5]
	s_delay_alu instid0(VALU_DEP_4) | instskip(NEXT) | instid1(VALU_DEP_4)
	v_add_f64_e64 v[78:79], v[108:109], -v[4:5]
	v_add_f64_e64 v[80:81], v[110:111], -v[2:3]
	v_lshl_add_u64 v[2:3], v[28:29], 4, s[4:5]
	v_lshl_add_u64 v[4:5], v[30:31], 4, s[4:5]
	;; [unrolled: 1-line block ×4, first 2 shown]
	scratch_store_b128 off, v[78:81], off
	s_cbranch_vccz .LBB26_228
; %bb.176:
	v_mov_b32_e32 v46, 0
	s_load_b64 s[2:3], s[0:1], 0x4
	v_bfe_u32 v48, v0, 10, 10
	v_bfe_u32 v0, v0, 20, 10
	global_load_b32 v47, v46, s[16:17] offset:100
	s_wait_kmcnt 0x0
	s_lshr_b32 s0, s2, 16
	v_mul_u32_u24_e32 v48, s3, v48
	s_mul_i32 s0, s0, s3
	s_delay_alu instid0(SALU_CYCLE_1) | instskip(NEXT) | instid1(VALU_DEP_1)
	v_mul_u32_u24_e32 v1, s0, v1
	v_add3_u32 v0, v1, v48, v0
	s_delay_alu instid0(VALU_DEP_1)
	v_lshl_add_u32 v0, v0, 4, 0x368
	s_wait_loadcnt 0x0
	v_cmp_ne_u32_e32 vcc_lo, 26, v47
	s_cbranch_vccz .LBB26_178
; %bb.177:
	v_lshlrev_b32_e32 v1, 4, v47
	s_clause 0x1
	scratch_load_b128 v[48:51], off, s15
	scratch_load_b128 v[52:55], v1, off offset:-16
	s_wait_loadcnt 0x1
	ds_store_2addr_b64 v0, v[48:49], v[50:51] offset1:1
	s_wait_loadcnt 0x0
	s_clause 0x1
	scratch_store_b128 off, v[52:55], s15
	scratch_store_b128 v1, v[48:51], off offset:-16
.LBB26_178:
	global_load_b32 v1, v46, s[16:17] offset:96
	s_wait_loadcnt 0x0
	v_cmp_eq_u32_e32 vcc_lo, 25, v1
	s_cbranch_vccnz .LBB26_180
; %bb.179:
	v_lshlrev_b32_e32 v1, 4, v1
	s_clause 0x1
	scratch_load_b128 v[46:49], off, s23
	scratch_load_b128 v[50:53], v1, off offset:-16
	s_wait_loadcnt 0x1
	ds_store_2addr_b64 v0, v[46:47], v[48:49] offset1:1
	s_wait_loadcnt 0x0
	s_clause 0x1
	scratch_store_b128 off, v[50:53], s23
	scratch_store_b128 v1, v[46:49], off offset:-16
.LBB26_180:
	s_wait_xcnt 0x0
	v_mov_b32_e32 v1, 0
	global_load_b32 v46, v1, s[16:17] offset:92
	s_wait_loadcnt 0x0
	v_cmp_eq_u32_e32 vcc_lo, 24, v46
	s_cbranch_vccnz .LBB26_182
; %bb.181:
	v_lshlrev_b32_e32 v46, 4, v46
	s_delay_alu instid0(VALU_DEP_1)
	v_mov_b32_e32 v54, v46
	s_clause 0x1
	scratch_load_b128 v[46:49], off, s9
	scratch_load_b128 v[50:53], v54, off offset:-16
	s_wait_loadcnt 0x1
	ds_store_2addr_b64 v0, v[46:47], v[48:49] offset1:1
	s_wait_loadcnt 0x0
	s_clause 0x1
	scratch_store_b128 off, v[50:53], s9
	scratch_store_b128 v54, v[46:49], off offset:-16
.LBB26_182:
	global_load_b32 v1, v1, s[16:17] offset:88
	s_wait_loadcnt 0x0
	v_cmp_eq_u32_e32 vcc_lo, 23, v1
	s_cbranch_vccnz .LBB26_184
; %bb.183:
	s_wait_xcnt 0x0
	v_lshlrev_b32_e32 v1, 4, v1
	s_clause 0x1
	scratch_load_b128 v[46:49], off, s13
	scratch_load_b128 v[50:53], v1, off offset:-16
	s_wait_loadcnt 0x1
	ds_store_2addr_b64 v0, v[46:47], v[48:49] offset1:1
	s_wait_loadcnt 0x0
	s_clause 0x1
	scratch_store_b128 off, v[50:53], s13
	scratch_store_b128 v1, v[46:49], off offset:-16
.LBB26_184:
	s_wait_xcnt 0x0
	v_mov_b32_e32 v1, 0
	global_load_b32 v46, v1, s[16:17] offset:84
	s_wait_loadcnt 0x0
	v_cmp_eq_u32_e32 vcc_lo, 22, v46
	s_cbranch_vccnz .LBB26_186
; %bb.185:
	v_lshlrev_b32_e32 v46, 4, v46
	s_delay_alu instid0(VALU_DEP_1)
	v_mov_b32_e32 v54, v46
	s_clause 0x1
	scratch_load_b128 v[46:49], off, s12
	scratch_load_b128 v[50:53], v54, off offset:-16
	s_wait_loadcnt 0x1
	ds_store_2addr_b64 v0, v[46:47], v[48:49] offset1:1
	s_wait_loadcnt 0x0
	s_clause 0x1
	scratch_store_b128 off, v[50:53], s12
	scratch_store_b128 v54, v[46:49], off offset:-16
.LBB26_186:
	global_load_b32 v1, v1, s[16:17] offset:80
	s_wait_loadcnt 0x0
	v_cmp_eq_u32_e32 vcc_lo, 21, v1
	s_cbranch_vccnz .LBB26_188
; %bb.187:
	s_wait_xcnt 0x0
	v_lshlrev_b32_e32 v1, 4, v1
	s_clause 0x1
	scratch_load_b128 v[46:49], off, s22
	scratch_load_b128 v[50:53], v1, off offset:-16
	s_wait_loadcnt 0x1
	ds_store_2addr_b64 v0, v[46:47], v[48:49] offset1:1
	s_wait_loadcnt 0x0
	s_clause 0x1
	scratch_store_b128 off, v[50:53], s22
	scratch_store_b128 v1, v[46:49], off offset:-16
.LBB26_188:
	;; [unrolled: 37-line block ×11, first 2 shown]
	s_wait_xcnt 0x0
	v_mov_b32_e32 v1, 0
	global_load_b32 v46, v1, s[16:17] offset:4
	s_wait_loadcnt 0x0
	v_cmp_eq_u32_e32 vcc_lo, 2, v46
	s_cbranch_vccnz .LBB26_226
; %bb.225:
	v_lshlrev_b32_e32 v46, 4, v46
	s_delay_alu instid0(VALU_DEP_1)
	v_mov_b32_e32 v54, v46
	s_clause 0x1
	scratch_load_b128 v[46:49], off, s14
	scratch_load_b128 v[50:53], v54, off offset:-16
	s_wait_loadcnt 0x1
	ds_store_2addr_b64 v0, v[46:47], v[48:49] offset1:1
	s_wait_loadcnt 0x0
	s_clause 0x1
	scratch_store_b128 off, v[50:53], s14
	scratch_store_b128 v54, v[46:49], off offset:-16
.LBB26_226:
	global_load_b32 v1, v1, s[16:17]
	s_wait_loadcnt 0x0
	v_cmp_eq_u32_e32 vcc_lo, 1, v1
	s_cbranch_vccnz .LBB26_228
; %bb.227:
	s_wait_xcnt 0x0
	v_lshlrev_b32_e32 v1, 4, v1
	scratch_load_b128 v[46:49], off, off
	scratch_load_b128 v[50:53], v1, off offset:-16
	s_wait_loadcnt 0x1
	ds_store_2addr_b64 v0, v[46:47], v[48:49] offset1:1
	s_wait_loadcnt 0x0
	scratch_store_b128 off, v[50:53], off
	scratch_store_b128 v1, v[46:49], off offset:-16
.LBB26_228:
	scratch_load_b128 v[46:49], off, off
	s_clause 0xf
	scratch_load_b128 v[50:53], off, s14
	scratch_load_b128 v[54:57], off, s8
	;; [unrolled: 1-line block ×15, first 2 shown]
	; meta instruction
	; meta instruction
	; meta instruction
	; meta instruction
	; meta instruction
	; meta instruction
	; meta instruction
	; meta instruction
	; meta instruction
	; meta instruction
	; meta instruction
	; meta instruction
	; meta instruction
	; meta instruction
	; meta instruction
	scratch_load_b128 v[122:125], off, s30
	s_wait_loadcnt 0x10
	global_store_b128 v[14:15], v[46:49], off
	s_clause 0x1
	scratch_load_b128 v[46:49], off, s24
	scratch_load_b128 v[126:129], off, s25
	s_wait_loadcnt 0x11
	global_store_b128 v[16:17], v[50:53], off
	s_wait_loadcnt 0x10
	global_store_b128 v[76:77], v[54:57], off
	s_clause 0x1
	scratch_load_b128 v[14:17], off, s21
	scratch_load_b128 v[50:53], off, s22
	s_wait_loadcnt 0x11
	global_store_b128 v[74:75], v[58:61], off
	s_clause 0x1
	scratch_load_b128 v[54:57], off, s12
	scratch_load_b128 v[58:61], off, s13
	;; [unrolled: 5-line block ×3, first 2 shown]
	s_wait_loadcnt 0x13
	global_store_b128 v[68:69], v[78:81], off
	s_wait_loadcnt 0x12
	global_store_b128 v[70:71], v[82:85], off
	s_clause 0x1
	scratch_load_b128 v[66:69], off, s15
	scratch_load_b128 v[76:79], off, s20
	s_wait_loadcnt 0x13
	global_store_b128 v[2:3], v[86:89], off
	s_wait_loadcnt 0x12
	global_store_b128 v[4:5], v[90:93], off
	;; [unrolled: 2-line block ×20, first 2 shown]
	s_sendmsg sendmsg(MSG_DEALLOC_VGPRS)
	s_endpgm
	.section	.rodata,"a",@progbits
	.p2align	6, 0x0
	.amdhsa_kernel _ZN9rocsolver6v33100L18getri_kernel_smallILi27E19rocblas_complex_numIdEPS3_EEvT1_iilPiilS6_bb
		.amdhsa_group_segment_fixed_size 1896
		.amdhsa_private_segment_fixed_size 448
		.amdhsa_kernarg_size 60
		.amdhsa_user_sgpr_count 4
		.amdhsa_user_sgpr_dispatch_ptr 1
		.amdhsa_user_sgpr_queue_ptr 0
		.amdhsa_user_sgpr_kernarg_segment_ptr 1
		.amdhsa_user_sgpr_dispatch_id 0
		.amdhsa_user_sgpr_kernarg_preload_length 0
		.amdhsa_user_sgpr_kernarg_preload_offset 0
		.amdhsa_user_sgpr_private_segment_size 0
		.amdhsa_wavefront_size32 1
		.amdhsa_uses_dynamic_stack 0
		.amdhsa_enable_private_segment 1
		.amdhsa_system_sgpr_workgroup_id_x 1
		.amdhsa_system_sgpr_workgroup_id_y 0
		.amdhsa_system_sgpr_workgroup_id_z 0
		.amdhsa_system_sgpr_workgroup_info 0
		.amdhsa_system_vgpr_workitem_id 2
		.amdhsa_next_free_vgpr 136
		.amdhsa_next_free_sgpr 51
		.amdhsa_named_barrier_count 0
		.amdhsa_reserve_vcc 1
		.amdhsa_float_round_mode_32 0
		.amdhsa_float_round_mode_16_64 0
		.amdhsa_float_denorm_mode_32 3
		.amdhsa_float_denorm_mode_16_64 3
		.amdhsa_fp16_overflow 0
		.amdhsa_memory_ordered 1
		.amdhsa_forward_progress 1
		.amdhsa_inst_pref_size 255
		.amdhsa_round_robin_scheduling 0
		.amdhsa_exception_fp_ieee_invalid_op 0
		.amdhsa_exception_fp_denorm_src 0
		.amdhsa_exception_fp_ieee_div_zero 0
		.amdhsa_exception_fp_ieee_overflow 0
		.amdhsa_exception_fp_ieee_underflow 0
		.amdhsa_exception_fp_ieee_inexact 0
		.amdhsa_exception_int_div_zero 0
	.end_amdhsa_kernel
	.section	.text._ZN9rocsolver6v33100L18getri_kernel_smallILi27E19rocblas_complex_numIdEPS3_EEvT1_iilPiilS6_bb,"axG",@progbits,_ZN9rocsolver6v33100L18getri_kernel_smallILi27E19rocblas_complex_numIdEPS3_EEvT1_iilPiilS6_bb,comdat
.Lfunc_end26:
	.size	_ZN9rocsolver6v33100L18getri_kernel_smallILi27E19rocblas_complex_numIdEPS3_EEvT1_iilPiilS6_bb, .Lfunc_end26-_ZN9rocsolver6v33100L18getri_kernel_smallILi27E19rocblas_complex_numIdEPS3_EEvT1_iilPiilS6_bb
                                        ; -- End function
	.set _ZN9rocsolver6v33100L18getri_kernel_smallILi27E19rocblas_complex_numIdEPS3_EEvT1_iilPiilS6_bb.num_vgpr, 136
	.set _ZN9rocsolver6v33100L18getri_kernel_smallILi27E19rocblas_complex_numIdEPS3_EEvT1_iilPiilS6_bb.num_agpr, 0
	.set _ZN9rocsolver6v33100L18getri_kernel_smallILi27E19rocblas_complex_numIdEPS3_EEvT1_iilPiilS6_bb.numbered_sgpr, 51
	.set _ZN9rocsolver6v33100L18getri_kernel_smallILi27E19rocblas_complex_numIdEPS3_EEvT1_iilPiilS6_bb.num_named_barrier, 0
	.set _ZN9rocsolver6v33100L18getri_kernel_smallILi27E19rocblas_complex_numIdEPS3_EEvT1_iilPiilS6_bb.private_seg_size, 448
	.set _ZN9rocsolver6v33100L18getri_kernel_smallILi27E19rocblas_complex_numIdEPS3_EEvT1_iilPiilS6_bb.uses_vcc, 1
	.set _ZN9rocsolver6v33100L18getri_kernel_smallILi27E19rocblas_complex_numIdEPS3_EEvT1_iilPiilS6_bb.uses_flat_scratch, 1
	.set _ZN9rocsolver6v33100L18getri_kernel_smallILi27E19rocblas_complex_numIdEPS3_EEvT1_iilPiilS6_bb.has_dyn_sized_stack, 0
	.set _ZN9rocsolver6v33100L18getri_kernel_smallILi27E19rocblas_complex_numIdEPS3_EEvT1_iilPiilS6_bb.has_recursion, 0
	.set _ZN9rocsolver6v33100L18getri_kernel_smallILi27E19rocblas_complex_numIdEPS3_EEvT1_iilPiilS6_bb.has_indirect_call, 0
	.section	.AMDGPU.csdata,"",@progbits
; Kernel info:
; codeLenInByte = 35328
; TotalNumSgprs: 53
; NumVgprs: 136
; ScratchSize: 448
; MemoryBound: 0
; FloatMode: 240
; IeeeMode: 1
; LDSByteSize: 1896 bytes/workgroup (compile time only)
; SGPRBlocks: 0
; VGPRBlocks: 8
; NumSGPRsForWavesPerEU: 53
; NumVGPRsForWavesPerEU: 136
; NamedBarCnt: 0
; Occupancy: 7
; WaveLimiterHint : 1
; COMPUTE_PGM_RSRC2:SCRATCH_EN: 1
; COMPUTE_PGM_RSRC2:USER_SGPR: 4
; COMPUTE_PGM_RSRC2:TRAP_HANDLER: 0
; COMPUTE_PGM_RSRC2:TGID_X_EN: 1
; COMPUTE_PGM_RSRC2:TGID_Y_EN: 0
; COMPUTE_PGM_RSRC2:TGID_Z_EN: 0
; COMPUTE_PGM_RSRC2:TIDIG_COMP_CNT: 2
	.section	.text._ZN9rocsolver6v33100L18getri_kernel_smallILi28E19rocblas_complex_numIdEPS3_EEvT1_iilPiilS6_bb,"axG",@progbits,_ZN9rocsolver6v33100L18getri_kernel_smallILi28E19rocblas_complex_numIdEPS3_EEvT1_iilPiilS6_bb,comdat
	.globl	_ZN9rocsolver6v33100L18getri_kernel_smallILi28E19rocblas_complex_numIdEPS3_EEvT1_iilPiilS6_bb ; -- Begin function _ZN9rocsolver6v33100L18getri_kernel_smallILi28E19rocblas_complex_numIdEPS3_EEvT1_iilPiilS6_bb
	.p2align	8
	.type	_ZN9rocsolver6v33100L18getri_kernel_smallILi28E19rocblas_complex_numIdEPS3_EEvT1_iilPiilS6_bb,@function
_ZN9rocsolver6v33100L18getri_kernel_smallILi28E19rocblas_complex_numIdEPS3_EEvT1_iilPiilS6_bb: ; @_ZN9rocsolver6v33100L18getri_kernel_smallILi28E19rocblas_complex_numIdEPS3_EEvT1_iilPiilS6_bb
; %bb.0:
	v_and_b32_e32 v1, 0x3ff, v0
	s_mov_b32 s4, exec_lo
	s_delay_alu instid0(VALU_DEP_1)
	v_cmpx_gt_u32_e32 28, v1
	s_cbranch_execz .LBB27_126
; %bb.1:
	s_clause 0x2
	s_load_b32 s8, s[2:3], 0x38
	s_load_b128 s[12:15], s[2:3], 0x10
	s_load_b128 s[4:7], s[2:3], 0x28
	s_getreg_b32 s11, hwreg(HW_REG_IB_STS2, 6, 4)
                                        ; implicit-def: $sgpr16_sgpr17
	s_wait_kmcnt 0x0
	s_bitcmp1_b32 s8, 8
	s_cselect_b32 s40, -1, 0
	s_bfe_u32 s9, ttmp6, 0x4000c
	s_and_b32 s10, ttmp6, 15
	s_add_co_i32 s9, s9, 1
	s_delay_alu instid0(SALU_CYCLE_1) | instskip(NEXT) | instid1(SALU_CYCLE_1)
	s_mul_i32 s9, ttmp9, s9
	s_add_co_i32 s10, s10, s9
	s_cmp_eq_u32 s11, 0
	s_cselect_b32 s18, ttmp9, s10
	s_bfe_u32 s8, s8, 0x10008
	s_ashr_i32 s19, s18, 31
	s_cmp_eq_u32 s8, 0
	s_cbranch_scc1 .LBB27_3
; %bb.2:
	s_load_b32 s8, s[2:3], 0x20
	s_mul_u64 s[4:5], s[4:5], s[18:19]
	s_delay_alu instid0(SALU_CYCLE_1) | instskip(NEXT) | instid1(SALU_CYCLE_1)
	s_lshl_b64 s[4:5], s[4:5], 2
	s_add_nc_u64 s[4:5], s[14:15], s[4:5]
	s_wait_kmcnt 0x0
	s_ashr_i32 s9, s8, 31
	s_delay_alu instid0(SALU_CYCLE_1) | instskip(NEXT) | instid1(SALU_CYCLE_1)
	s_lshl_b64 s[8:9], s[8:9], 2
	s_add_nc_u64 s[16:17], s[4:5], s[8:9]
.LBB27_3:
	s_clause 0x1
	s_load_b128 s[8:11], s[2:3], 0x0
	s_load_b32 s41, s[2:3], 0x38
	s_wait_xcnt 0x0
	s_mul_u64 s[2:3], s[12:13], s[18:19]
	v_dual_mov_b32 v71, 0 :: v_dual_lshlrev_b32 v70, 4, v1
	s_lshl_b64 s[2:3], s[2:3], 4
	s_movk_i32 s25, 0x100
	s_movk_i32 s26, 0x110
	;; [unrolled: 1-line block ×12, first 2 shown]
	s_mov_b32 s14, 16
	s_movk_i32 s29, 0x50
	s_wait_kmcnt 0x0
	v_add3_u32 v18, s11, s11, v1
	s_ashr_i32 s5, s10, 31
	s_mov_b32 s4, s10
	s_add_nc_u64 s[2:3], s[8:9], s[2:3]
	s_lshl_b64 s[4:5], s[4:5], 4
	v_add_nc_u32_e32 v20, s11, v18
	s_add_nc_u64 s[4:5], s[2:3], s[4:5]
	s_ashr_i32 s3, s11, 31
	v_add_nc_u64_e32 v[14:15], s[4:5], v[70:71]
	s_mov_b32 s2, s11
	v_add_nc_u32_e32 v22, s11, v20
	global_load_b128 v[2:5], v18, s[4:5] scale_offset
	s_mov_b32 s8, 32
	s_mov_b32 s9, 48
	s_movk_i32 s31, 0x60
	v_add_nc_u32_e32 v24, s11, v22
	v_lshl_add_u64 v[16:17], s[2:3], 4, v[14:15]
	s_movk_i32 s36, 0x70
	s_movk_i32 s27, 0x80
	;; [unrolled: 1-line block ×3, first 2 shown]
	v_add_nc_u32_e32 v26, s11, v24
	global_load_b128 v[6:9], v20, s[4:5] scale_offset
	s_movk_i32 s30, 0xa0
	s_movk_i32 s35, 0xb0
	;; [unrolled: 1-line block ×3, first 2 shown]
	v_add_nc_u32_e32 v28, s11, v26
	s_clause 0x2
	global_load_b128 v[10:13], v22, s[4:5] scale_offset
	global_load_b128 v[66:69], v1, s[4:5] scale_offset
	global_load_b128 v[72:75], v[16:17], off
	s_movk_i32 s38, 0xd0
	s_movk_i32 s39, 0xe0
	v_add_nc_u32_e32 v30, s11, v28
	s_clause 0x2
	global_load_b128 v[76:79], v24, s[4:5] scale_offset
	global_load_b128 v[80:83], v26, s[4:5] scale_offset
	;; [unrolled: 1-line block ×3, first 2 shown]
	s_movk_i32 s33, 0xf0
	s_mov_b32 s13, s25
	v_add_nc_u32_e32 v32, s11, v30
	s_mov_b32 s15, s26
	s_mov_b32 s20, s34
	s_mov_b32 s10, s42
	s_mov_b32 s12, s43
	v_add_nc_u32_e32 v34, s11, v32
	s_mov_b32 s25, s44
	s_mov_b32 s26, s45
	s_mov_b32 s23, s46
	;; [unrolled: 5-line block ×3, first 2 shown]
	s_bitcmp0_b32 s41, 0
	v_add_nc_u32_e32 v38, s11, v36
	s_clause 0x1
	global_load_b128 v[88:91], v30, s[4:5] scale_offset
	global_load_b128 v[92:95], v32, s[4:5] scale_offset
	s_mov_b32 s3, -1
	v_add_nc_u32_e32 v40, s11, v38
	s_delay_alu instid0(VALU_DEP_1)
	v_add_nc_u32_e32 v42, s11, v40
	s_clause 0x3
	global_load_b128 v[96:99], v34, s[4:5] scale_offset
	global_load_b128 v[100:103], v36, s[4:5] scale_offset
	;; [unrolled: 1-line block ×4, first 2 shown]
	v_add_nc_u32_e32 v44, s11, v42
	s_delay_alu instid0(VALU_DEP_1) | instskip(NEXT) | instid1(VALU_DEP_1)
	v_add_nc_u32_e32 v46, s11, v44
	v_add_nc_u32_e32 v48, s11, v46
	s_delay_alu instid0(VALU_DEP_1) | instskip(NEXT) | instid1(VALU_DEP_1)
	v_add_nc_u32_e32 v50, s11, v48
	v_add_nc_u32_e32 v52, s11, v50
	s_delay_alu instid0(VALU_DEP_1)
	v_add_nc_u32_e32 v54, s11, v52
	s_clause 0x5
	global_load_b128 v[112:115], v42, s[4:5] scale_offset
	global_load_b128 v[116:119], v44, s[4:5] scale_offset
	;; [unrolled: 1-line block ×6, first 2 shown]
	v_add_nc_u32_e32 v56, s11, v54
	s_delay_alu instid0(VALU_DEP_1) | instskip(NEXT) | instid1(VALU_DEP_1)
	v_add_nc_u32_e32 v58, s11, v56
	v_add_nc_u32_e32 v60, s11, v58
	s_delay_alu instid0(VALU_DEP_1) | instskip(NEXT) | instid1(VALU_DEP_1)
	v_add_nc_u32_e32 v62, s11, v60
	v_add_nc_u32_e32 v64, s11, v62
	s_wait_loadcnt 0x13
	scratch_store_b128 off, v[2:5], off offset:32
	s_clause 0x1
	global_load_b128 v[2:5], v54, s[4:5] scale_offset
	global_load_b128 v[136:139], v56, s[4:5] scale_offset
	s_wait_loadcnt 0x14
	scratch_store_b128 off, v[6:9], off offset:48
	s_wait_loadcnt 0x13
	scratch_store_b128 off, v[10:13], off offset:64
	s_clause 0x1
	global_load_b128 v[6:9], v58, s[4:5] scale_offset
	global_load_b128 v[10:13], v60, s[4:5] scale_offset
	s_wait_loadcnt 0x14
	scratch_store_b128 off, v[66:69], off
	s_wait_loadcnt 0x13
	scratch_store_b128 off, v[72:75], off offset:16
	s_wait_xcnt 0x1
	v_add_nc_u32_e32 v66, s11, v64
	s_clause 0x1
	global_load_b128 v[72:75], v62, s[4:5] scale_offset
	global_load_b128 v[140:143], v64, s[4:5] scale_offset
	s_wait_loadcnt 0x14
	scratch_store_b128 off, v[76:79], off offset:80
	s_wait_loadcnt 0x13
	scratch_store_b128 off, v[80:83], off offset:96
	;; [unrolled: 2-line block ×3, first 2 shown]
	v_add_nc_u32_e32 v68, s11, v66
	s_clause 0x1
	global_load_b128 v[76:79], v66, s[4:5] scale_offset
	global_load_b128 v[80:83], v68, s[4:5] scale_offset
	s_mov_b32 s11, 64
	s_wait_loadcnt 0x13
	scratch_store_b128 off, v[88:91], off offset:128
	s_wait_loadcnt 0x12
	scratch_store_b128 off, v[92:95], off offset:144
	;; [unrolled: 2-line block ×20, first 2 shown]
	s_cbranch_scc1 .LBB27_124
; %bb.4:
	v_cmp_eq_u32_e64 s2, 0, v1
	s_wait_xcnt 0x0
	s_and_saveexec_b32 s3, s2
; %bb.5:
	v_mov_b32_e32 v2, 0
	ds_store_b32 v2, v2 offset:896
; %bb.6:
	s_or_b32 exec_lo, exec_lo, s3
	s_wait_storecnt_dscnt 0x0
	s_barrier_signal -1
	s_barrier_wait -1
	scratch_load_b128 v[2:5], v1, off scale_offset
	s_wait_loadcnt 0x0
	v_cmp_eq_f64_e32 vcc_lo, 0, v[2:3]
	v_cmp_eq_f64_e64 s3, 0, v[4:5]
	s_and_b32 s3, vcc_lo, s3
	s_delay_alu instid0(SALU_CYCLE_1)
	s_and_saveexec_b32 s41, s3
	s_cbranch_execz .LBB27_10
; %bb.7:
	v_mov_b32_e32 v2, 0
	s_mov_b32 s42, 0
	ds_load_b32 v3, v2 offset:896
	s_wait_dscnt 0x0
	v_readfirstlane_b32 s3, v3
	v_add_nc_u32_e32 v3, 1, v1
	s_cmp_eq_u32 s3, 0
	s_delay_alu instid0(VALU_DEP_1) | instskip(SKIP_1) | instid1(SALU_CYCLE_1)
	v_cmp_gt_i32_e32 vcc_lo, s3, v3
	s_cselect_b32 s43, -1, 0
	s_or_b32 s43, s43, vcc_lo
	s_delay_alu instid0(SALU_CYCLE_1)
	s_and_b32 exec_lo, exec_lo, s43
	s_cbranch_execz .LBB27_10
; %bb.8:
	v_mov_b32_e32 v4, s3
.LBB27_9:                               ; =>This Inner Loop Header: Depth=1
	ds_cmpstore_rtn_b32 v4, v2, v3, v4 offset:896
	s_wait_dscnt 0x0
	v_cmp_ne_u32_e32 vcc_lo, 0, v4
	v_cmp_le_i32_e64 s3, v4, v3
	s_and_b32 s3, vcc_lo, s3
	s_delay_alu instid0(SALU_CYCLE_1) | instskip(NEXT) | instid1(SALU_CYCLE_1)
	s_and_b32 s3, exec_lo, s3
	s_or_b32 s42, s3, s42
	s_delay_alu instid0(SALU_CYCLE_1)
	s_and_not1_b32 exec_lo, exec_lo, s42
	s_cbranch_execnz .LBB27_9
.LBB27_10:
	s_or_b32 exec_lo, exec_lo, s41
	v_mov_b32_e32 v2, 0
	s_barrier_signal -1
	s_barrier_wait -1
	ds_load_b32 v3, v2 offset:896
	s_and_saveexec_b32 s3, s2
	s_cbranch_execz .LBB27_12
; %bb.11:
	s_lshl_b64 s[42:43], s[18:19], 2
	s_delay_alu instid0(SALU_CYCLE_1)
	s_add_nc_u64 s[42:43], s[6:7], s[42:43]
	s_wait_dscnt 0x0
	global_store_b32 v2, v3, s[42:43]
.LBB27_12:
	s_wait_xcnt 0x0
	s_or_b32 exec_lo, exec_lo, s3
	s_wait_dscnt 0x0
	v_cmp_ne_u32_e32 vcc_lo, 0, v3
	s_mov_b32 s3, 0
	s_cbranch_vccnz .LBB27_124
; %bb.13:
	v_lshl_add_u32 v19, v1, 4, 0
                                        ; implicit-def: $vgpr6_vgpr7
                                        ; implicit-def: $vgpr10_vgpr11
	scratch_load_b128 v[2:5], v19, off
	s_wait_loadcnt 0x0
	v_cmp_ngt_f64_e64 s3, |v[2:3]|, |v[4:5]|
	s_wait_xcnt 0x0
	s_and_saveexec_b32 s41, s3
	s_delay_alu instid0(SALU_CYCLE_1)
	s_xor_b32 s3, exec_lo, s41
	s_cbranch_execz .LBB27_15
; %bb.14:
	v_div_scale_f64 v[6:7], null, v[4:5], v[4:5], v[2:3]
	v_div_scale_f64 v[12:13], vcc_lo, v[2:3], v[4:5], v[2:3]
	s_delay_alu instid0(VALU_DEP_2) | instskip(SKIP_1) | instid1(TRANS32_DEP_1)
	v_rcp_f64_e32 v[8:9], v[6:7]
	v_nop
	v_fma_f64 v[10:11], -v[6:7], v[8:9], 1.0
	s_delay_alu instid0(VALU_DEP_1) | instskip(NEXT) | instid1(VALU_DEP_1)
	v_fmac_f64_e32 v[8:9], v[8:9], v[10:11]
	v_fma_f64 v[10:11], -v[6:7], v[8:9], 1.0
	s_delay_alu instid0(VALU_DEP_1) | instskip(NEXT) | instid1(VALU_DEP_1)
	v_fmac_f64_e32 v[8:9], v[8:9], v[10:11]
	v_mul_f64_e32 v[10:11], v[12:13], v[8:9]
	s_delay_alu instid0(VALU_DEP_1) | instskip(NEXT) | instid1(VALU_DEP_1)
	v_fma_f64 v[6:7], -v[6:7], v[10:11], v[12:13]
	v_div_fmas_f64 v[6:7], v[6:7], v[8:9], v[10:11]
	s_delay_alu instid0(VALU_DEP_1) | instskip(NEXT) | instid1(VALU_DEP_1)
	v_div_fixup_f64 v[6:7], v[6:7], v[4:5], v[2:3]
	v_fmac_f64_e32 v[4:5], v[2:3], v[6:7]
	s_delay_alu instid0(VALU_DEP_1) | instskip(SKIP_1) | instid1(VALU_DEP_2)
	v_div_scale_f64 v[2:3], null, v[4:5], v[4:5], 1.0
	v_div_scale_f64 v[12:13], vcc_lo, 1.0, v[4:5], 1.0
	v_rcp_f64_e32 v[8:9], v[2:3]
	v_nop
	s_delay_alu instid0(TRANS32_DEP_1) | instskip(NEXT) | instid1(VALU_DEP_1)
	v_fma_f64 v[10:11], -v[2:3], v[8:9], 1.0
	v_fmac_f64_e32 v[8:9], v[8:9], v[10:11]
	s_delay_alu instid0(VALU_DEP_1) | instskip(NEXT) | instid1(VALU_DEP_1)
	v_fma_f64 v[10:11], -v[2:3], v[8:9], 1.0
	v_fmac_f64_e32 v[8:9], v[8:9], v[10:11]
	s_delay_alu instid0(VALU_DEP_1) | instskip(NEXT) | instid1(VALU_DEP_1)
	v_mul_f64_e32 v[10:11], v[12:13], v[8:9]
	v_fma_f64 v[2:3], -v[2:3], v[10:11], v[12:13]
	s_delay_alu instid0(VALU_DEP_1) | instskip(NEXT) | instid1(VALU_DEP_1)
	v_div_fmas_f64 v[2:3], v[2:3], v[8:9], v[10:11]
	v_div_fixup_f64 v[8:9], v[2:3], v[4:5], 1.0
                                        ; implicit-def: $vgpr2_vgpr3
	s_delay_alu instid0(VALU_DEP_1) | instskip(SKIP_1) | instid1(VALU_DEP_2)
	v_mul_f64_e32 v[6:7], v[6:7], v[8:9]
	v_xor_b32_e32 v9, 0x80000000, v9
	v_xor_b32_e32 v11, 0x80000000, v7
	s_delay_alu instid0(VALU_DEP_3)
	v_mov_b32_e32 v10, v6
.LBB27_15:
	s_and_not1_saveexec_b32 s3, s3
	s_cbranch_execz .LBB27_17
; %bb.16:
	v_div_scale_f64 v[6:7], null, v[2:3], v[2:3], v[4:5]
	v_div_scale_f64 v[12:13], vcc_lo, v[4:5], v[2:3], v[4:5]
	s_delay_alu instid0(VALU_DEP_2) | instskip(SKIP_1) | instid1(TRANS32_DEP_1)
	v_rcp_f64_e32 v[8:9], v[6:7]
	v_nop
	v_fma_f64 v[10:11], -v[6:7], v[8:9], 1.0
	s_delay_alu instid0(VALU_DEP_1) | instskip(NEXT) | instid1(VALU_DEP_1)
	v_fmac_f64_e32 v[8:9], v[8:9], v[10:11]
	v_fma_f64 v[10:11], -v[6:7], v[8:9], 1.0
	s_delay_alu instid0(VALU_DEP_1) | instskip(NEXT) | instid1(VALU_DEP_1)
	v_fmac_f64_e32 v[8:9], v[8:9], v[10:11]
	v_mul_f64_e32 v[10:11], v[12:13], v[8:9]
	s_delay_alu instid0(VALU_DEP_1) | instskip(NEXT) | instid1(VALU_DEP_1)
	v_fma_f64 v[6:7], -v[6:7], v[10:11], v[12:13]
	v_div_fmas_f64 v[6:7], v[6:7], v[8:9], v[10:11]
	s_delay_alu instid0(VALU_DEP_1) | instskip(NEXT) | instid1(VALU_DEP_1)
	v_div_fixup_f64 v[8:9], v[6:7], v[2:3], v[4:5]
	v_fmac_f64_e32 v[2:3], v[4:5], v[8:9]
	s_delay_alu instid0(VALU_DEP_1) | instskip(NEXT) | instid1(VALU_DEP_1)
	v_div_scale_f64 v[4:5], null, v[2:3], v[2:3], 1.0
	v_rcp_f64_e32 v[6:7], v[4:5]
	v_nop
	s_delay_alu instid0(TRANS32_DEP_1) | instskip(NEXT) | instid1(VALU_DEP_1)
	v_fma_f64 v[10:11], -v[4:5], v[6:7], 1.0
	v_fmac_f64_e32 v[6:7], v[6:7], v[10:11]
	s_delay_alu instid0(VALU_DEP_1) | instskip(NEXT) | instid1(VALU_DEP_1)
	v_fma_f64 v[10:11], -v[4:5], v[6:7], 1.0
	v_fmac_f64_e32 v[6:7], v[6:7], v[10:11]
	v_div_scale_f64 v[10:11], vcc_lo, 1.0, v[2:3], 1.0
	s_delay_alu instid0(VALU_DEP_1) | instskip(NEXT) | instid1(VALU_DEP_1)
	v_mul_f64_e32 v[12:13], v[10:11], v[6:7]
	v_fma_f64 v[4:5], -v[4:5], v[12:13], v[10:11]
	s_delay_alu instid0(VALU_DEP_1) | instskip(NEXT) | instid1(VALU_DEP_1)
	v_div_fmas_f64 v[4:5], v[4:5], v[6:7], v[12:13]
	v_div_fixup_f64 v[6:7], v[4:5], v[2:3], 1.0
	s_delay_alu instid0(VALU_DEP_1)
	v_mul_f64_e64 v[8:9], v[8:9], -v[6:7]
	v_xor_b32_e32 v11, 0x80000000, v7
	v_mov_b32_e32 v10, v6
.LBB27_17:
	s_or_b32 exec_lo, exec_lo, s3
	s_clause 0x1
	scratch_store_b128 v19, v[6:9], off
	scratch_load_b128 v[2:5], off, s14
	v_xor_b32_e32 v13, 0x80000000, v9
	v_mov_b32_e32 v12, v8
	s_wait_xcnt 0x1
	v_add_nc_u32_e32 v6, 0x1c0, v70
	ds_store_b128 v70, v[10:13]
	s_wait_loadcnt 0x0
	ds_store_b128 v70, v[2:5] offset:448
	s_wait_storecnt_dscnt 0x0
	s_barrier_signal -1
	s_barrier_wait -1
	s_wait_xcnt 0x0
	s_and_saveexec_b32 s3, s2
	s_cbranch_execz .LBB27_19
; %bb.18:
	scratch_load_b128 v[2:5], v19, off
	ds_load_b128 v[8:11], v6
	v_mov_b32_e32 v7, 0
	ds_load_b128 v[72:75], v7 offset:16
	s_wait_loadcnt_dscnt 0x1
	v_mul_f64_e32 v[12:13], v[8:9], v[4:5]
	v_mul_f64_e32 v[4:5], v[10:11], v[4:5]
	s_delay_alu instid0(VALU_DEP_2) | instskip(NEXT) | instid1(VALU_DEP_2)
	v_fmac_f64_e32 v[12:13], v[10:11], v[2:3]
	v_fma_f64 v[2:3], v[8:9], v[2:3], -v[4:5]
	s_delay_alu instid0(VALU_DEP_2) | instskip(NEXT) | instid1(VALU_DEP_2)
	v_add_f64_e32 v[8:9], 0, v[12:13]
	v_add_f64_e32 v[2:3], 0, v[2:3]
	s_wait_dscnt 0x0
	s_delay_alu instid0(VALU_DEP_2) | instskip(NEXT) | instid1(VALU_DEP_2)
	v_mul_f64_e32 v[10:11], v[8:9], v[74:75]
	v_mul_f64_e32 v[4:5], v[2:3], v[74:75]
	s_delay_alu instid0(VALU_DEP_2) | instskip(NEXT) | instid1(VALU_DEP_2)
	v_fma_f64 v[2:3], v[2:3], v[72:73], -v[10:11]
	v_fmac_f64_e32 v[4:5], v[8:9], v[72:73]
	scratch_store_b128 off, v[2:5], off offset:16
.LBB27_19:
	s_wait_xcnt 0x0
	s_or_b32 exec_lo, exec_lo, s3
	s_wait_storecnt 0x0
	s_barrier_signal -1
	s_barrier_wait -1
	scratch_load_b128 v[2:5], off, s8
	s_mov_b32 s3, exec_lo
	s_wait_loadcnt 0x0
	ds_store_b128 v6, v[2:5]
	s_wait_dscnt 0x0
	s_barrier_signal -1
	s_barrier_wait -1
	v_cmpx_gt_u32_e32 2, v1
	s_cbranch_execz .LBB27_23
; %bb.20:
	scratch_load_b128 v[2:5], v19, off
	ds_load_b128 v[8:11], v6
	s_wait_loadcnt_dscnt 0x0
	v_mul_f64_e32 v[12:13], v[10:11], v[4:5]
	v_mul_f64_e32 v[72:73], v[8:9], v[4:5]
	s_delay_alu instid0(VALU_DEP_2) | instskip(NEXT) | instid1(VALU_DEP_2)
	v_fma_f64 v[4:5], v[8:9], v[2:3], -v[12:13]
	v_fmac_f64_e32 v[72:73], v[10:11], v[2:3]
	s_delay_alu instid0(VALU_DEP_2) | instskip(NEXT) | instid1(VALU_DEP_2)
	v_add_f64_e32 v[4:5], 0, v[4:5]
	v_add_f64_e32 v[2:3], 0, v[72:73]
	s_and_saveexec_b32 s41, s2
	s_cbranch_execz .LBB27_22
; %bb.21:
	scratch_load_b128 v[8:11], off, off offset:16
	v_mov_b32_e32 v7, 0
	ds_load_b128 v[72:75], v7 offset:464
	s_wait_loadcnt_dscnt 0x0
	v_mul_f64_e32 v[12:13], v[72:73], v[10:11]
	v_mul_f64_e32 v[10:11], v[74:75], v[10:11]
	s_delay_alu instid0(VALU_DEP_2) | instskip(NEXT) | instid1(VALU_DEP_2)
	v_fmac_f64_e32 v[12:13], v[74:75], v[8:9]
	v_fma_f64 v[8:9], v[72:73], v[8:9], -v[10:11]
	s_delay_alu instid0(VALU_DEP_2) | instskip(NEXT) | instid1(VALU_DEP_2)
	v_add_f64_e32 v[2:3], v[2:3], v[12:13]
	v_add_f64_e32 v[4:5], v[4:5], v[8:9]
.LBB27_22:
	s_or_b32 exec_lo, exec_lo, s41
	v_mov_b32_e32 v7, 0
	ds_load_b128 v[8:11], v7 offset:32
	s_wait_dscnt 0x0
	v_mul_f64_e32 v[72:73], v[2:3], v[10:11]
	v_mul_f64_e32 v[12:13], v[4:5], v[10:11]
	s_delay_alu instid0(VALU_DEP_2) | instskip(NEXT) | instid1(VALU_DEP_2)
	v_fma_f64 v[10:11], v[4:5], v[8:9], -v[72:73]
	v_fmac_f64_e32 v[12:13], v[2:3], v[8:9]
	scratch_store_b128 off, v[10:13], off offset:32
.LBB27_23:
	s_wait_xcnt 0x0
	s_or_b32 exec_lo, exec_lo, s3
	s_wait_storecnt 0x0
	s_barrier_signal -1
	s_barrier_wait -1
	scratch_load_b128 v[2:5], off, s9
	v_add_nc_u32_e32 v7, -1, v1
	s_mov_b32 s2, exec_lo
	s_wait_loadcnt 0x0
	ds_store_b128 v6, v[2:5]
	s_wait_dscnt 0x0
	s_barrier_signal -1
	s_barrier_wait -1
	v_cmpx_gt_u32_e32 3, v1
	s_cbranch_execz .LBB27_27
; %bb.24:
	v_dual_mov_b32 v10, v70 :: v_dual_add_nc_u32 v8, -1, v1
	v_mov_b64_e32 v[2:3], 0
	v_mov_b64_e32 v[4:5], 0
	v_add_nc_u32_e32 v9, 0x1c0, v70
	s_delay_alu instid0(VALU_DEP_4)
	v_or_b32_e32 v10, 8, v10
	s_mov_b32 s3, 0
.LBB27_25:                              ; =>This Inner Loop Header: Depth=1
	scratch_load_b128 v[72:75], v10, off offset:-8
	ds_load_b128 v[76:79], v9
	v_dual_add_nc_u32 v8, 1, v8 :: v_dual_add_nc_u32 v9, 16, v9
	s_wait_xcnt 0x0
	v_add_nc_u32_e32 v10, 16, v10
	s_delay_alu instid0(VALU_DEP_2) | instskip(SKIP_4) | instid1(VALU_DEP_2)
	v_cmp_lt_u32_e32 vcc_lo, 1, v8
	s_or_b32 s3, vcc_lo, s3
	s_wait_loadcnt_dscnt 0x0
	v_mul_f64_e32 v[12:13], v[78:79], v[74:75]
	v_mul_f64_e32 v[74:75], v[76:77], v[74:75]
	v_fma_f64 v[12:13], v[76:77], v[72:73], -v[12:13]
	s_delay_alu instid0(VALU_DEP_2) | instskip(NEXT) | instid1(VALU_DEP_2)
	v_fmac_f64_e32 v[74:75], v[78:79], v[72:73]
	v_add_f64_e32 v[4:5], v[4:5], v[12:13]
	s_delay_alu instid0(VALU_DEP_2)
	v_add_f64_e32 v[2:3], v[2:3], v[74:75]
	s_and_not1_b32 exec_lo, exec_lo, s3
	s_cbranch_execnz .LBB27_25
; %bb.26:
	s_or_b32 exec_lo, exec_lo, s3
	v_mov_b32_e32 v8, 0
	ds_load_b128 v[8:11], v8 offset:48
	s_wait_dscnt 0x0
	v_mul_f64_e32 v[72:73], v[2:3], v[10:11]
	v_mul_f64_e32 v[12:13], v[4:5], v[10:11]
	s_delay_alu instid0(VALU_DEP_2) | instskip(NEXT) | instid1(VALU_DEP_2)
	v_fma_f64 v[10:11], v[4:5], v[8:9], -v[72:73]
	v_fmac_f64_e32 v[12:13], v[2:3], v[8:9]
	scratch_store_b128 off, v[10:13], off offset:48
.LBB27_27:
	s_wait_xcnt 0x0
	s_or_b32 exec_lo, exec_lo, s2
	s_wait_storecnt 0x0
	s_barrier_signal -1
	s_barrier_wait -1
	scratch_load_b128 v[2:5], off, s11
	s_mov_b32 s2, exec_lo
	s_wait_loadcnt 0x0
	ds_store_b128 v6, v[2:5]
	s_wait_dscnt 0x0
	s_barrier_signal -1
	s_barrier_wait -1
	v_cmpx_gt_u32_e32 4, v1
	s_cbranch_execz .LBB27_31
; %bb.28:
	v_dual_mov_b32 v10, v70 :: v_dual_add_nc_u32 v8, -1, v1
	v_mov_b64_e32 v[2:3], 0
	v_mov_b64_e32 v[4:5], 0
	v_add_nc_u32_e32 v9, 0x1c0, v70
	s_delay_alu instid0(VALU_DEP_4)
	v_or_b32_e32 v10, 8, v10
	s_mov_b32 s3, 0
.LBB27_29:                              ; =>This Inner Loop Header: Depth=1
	scratch_load_b128 v[72:75], v10, off offset:-8
	ds_load_b128 v[76:79], v9
	v_dual_add_nc_u32 v8, 1, v8 :: v_dual_add_nc_u32 v9, 16, v9
	s_wait_xcnt 0x0
	v_add_nc_u32_e32 v10, 16, v10
	s_delay_alu instid0(VALU_DEP_2) | instskip(SKIP_4) | instid1(VALU_DEP_2)
	v_cmp_lt_u32_e32 vcc_lo, 2, v8
	s_or_b32 s3, vcc_lo, s3
	s_wait_loadcnt_dscnt 0x0
	v_mul_f64_e32 v[12:13], v[78:79], v[74:75]
	v_mul_f64_e32 v[74:75], v[76:77], v[74:75]
	v_fma_f64 v[12:13], v[76:77], v[72:73], -v[12:13]
	s_delay_alu instid0(VALU_DEP_2) | instskip(NEXT) | instid1(VALU_DEP_2)
	v_fmac_f64_e32 v[74:75], v[78:79], v[72:73]
	v_add_f64_e32 v[4:5], v[4:5], v[12:13]
	s_delay_alu instid0(VALU_DEP_2)
	v_add_f64_e32 v[2:3], v[2:3], v[74:75]
	s_and_not1_b32 exec_lo, exec_lo, s3
	s_cbranch_execnz .LBB27_29
; %bb.30:
	s_or_b32 exec_lo, exec_lo, s3
	v_mov_b32_e32 v8, 0
	ds_load_b128 v[8:11], v8 offset:64
	s_wait_dscnt 0x0
	v_mul_f64_e32 v[72:73], v[2:3], v[10:11]
	v_mul_f64_e32 v[12:13], v[4:5], v[10:11]
	s_delay_alu instid0(VALU_DEP_2) | instskip(NEXT) | instid1(VALU_DEP_2)
	v_fma_f64 v[10:11], v[4:5], v[8:9], -v[72:73]
	v_fmac_f64_e32 v[12:13], v[2:3], v[8:9]
	scratch_store_b128 off, v[10:13], off offset:64
.LBB27_31:
	s_wait_xcnt 0x0
	s_or_b32 exec_lo, exec_lo, s2
	s_wait_storecnt 0x0
	s_barrier_signal -1
	s_barrier_wait -1
	scratch_load_b128 v[2:5], off, s29
	;; [unrolled: 54-line block ×19, first 2 shown]
	s_mov_b32 s2, exec_lo
	s_wait_loadcnt 0x0
	ds_store_b128 v6, v[2:5]
	s_wait_dscnt 0x0
	s_barrier_signal -1
	s_barrier_wait -1
	v_cmpx_gt_u32_e32 22, v1
	s_cbranch_execz .LBB27_103
; %bb.100:
	v_dual_mov_b32 v10, v70 :: v_dual_add_nc_u32 v8, -1, v1
	v_mov_b64_e32 v[2:3], 0
	v_mov_b64_e32 v[4:5], 0
	v_add_nc_u32_e32 v9, 0x1c0, v70
	s_delay_alu instid0(VALU_DEP_4)
	v_or_b32_e32 v10, 8, v10
	s_mov_b32 s3, 0
.LBB27_101:                             ; =>This Inner Loop Header: Depth=1
	scratch_load_b128 v[72:75], v10, off offset:-8
	ds_load_b128 v[76:79], v9
	v_dual_add_nc_u32 v8, 1, v8 :: v_dual_add_nc_u32 v9, 16, v9
	s_wait_xcnt 0x0
	v_add_nc_u32_e32 v10, 16, v10
	s_delay_alu instid0(VALU_DEP_2) | instskip(SKIP_4) | instid1(VALU_DEP_2)
	v_cmp_lt_u32_e32 vcc_lo, 20, v8
	s_or_b32 s3, vcc_lo, s3
	s_wait_loadcnt_dscnt 0x0
	v_mul_f64_e32 v[12:13], v[78:79], v[74:75]
	v_mul_f64_e32 v[74:75], v[76:77], v[74:75]
	v_fma_f64 v[12:13], v[76:77], v[72:73], -v[12:13]
	s_delay_alu instid0(VALU_DEP_2) | instskip(NEXT) | instid1(VALU_DEP_2)
	v_fmac_f64_e32 v[74:75], v[78:79], v[72:73]
	v_add_f64_e32 v[4:5], v[4:5], v[12:13]
	s_delay_alu instid0(VALU_DEP_2)
	v_add_f64_e32 v[2:3], v[2:3], v[74:75]
	s_and_not1_b32 exec_lo, exec_lo, s3
	s_cbranch_execnz .LBB27_101
; %bb.102:
	s_or_b32 exec_lo, exec_lo, s3
	v_mov_b32_e32 v8, 0
	ds_load_b128 v[8:11], v8 offset:352
	s_wait_dscnt 0x0
	v_mul_f64_e32 v[72:73], v[2:3], v[10:11]
	v_mul_f64_e32 v[12:13], v[4:5], v[10:11]
	s_delay_alu instid0(VALU_DEP_2) | instskip(NEXT) | instid1(VALU_DEP_2)
	v_fma_f64 v[10:11], v[4:5], v[8:9], -v[72:73]
	v_fmac_f64_e32 v[12:13], v[2:3], v[8:9]
	scratch_store_b128 off, v[10:13], off offset:352
.LBB27_103:
	s_wait_xcnt 0x0
	s_or_b32 exec_lo, exec_lo, s2
	s_wait_storecnt 0x0
	s_barrier_signal -1
	s_barrier_wait -1
	scratch_load_b128 v[2:5], off, s23
	s_mov_b32 s2, exec_lo
	s_wait_loadcnt 0x0
	ds_store_b128 v6, v[2:5]
	s_wait_dscnt 0x0
	s_barrier_signal -1
	s_barrier_wait -1
	v_cmpx_gt_u32_e32 23, v1
	s_cbranch_execz .LBB27_107
; %bb.104:
	v_dual_mov_b32 v10, v70 :: v_dual_add_nc_u32 v8, -1, v1
	v_mov_b64_e32 v[2:3], 0
	v_mov_b64_e32 v[4:5], 0
	v_add_nc_u32_e32 v9, 0x1c0, v70
	s_delay_alu instid0(VALU_DEP_4)
	v_or_b32_e32 v10, 8, v10
	s_mov_b32 s3, 0
.LBB27_105:                             ; =>This Inner Loop Header: Depth=1
	scratch_load_b128 v[72:75], v10, off offset:-8
	ds_load_b128 v[76:79], v9
	v_dual_add_nc_u32 v8, 1, v8 :: v_dual_add_nc_u32 v9, 16, v9
	s_wait_xcnt 0x0
	v_add_nc_u32_e32 v10, 16, v10
	s_delay_alu instid0(VALU_DEP_2) | instskip(SKIP_4) | instid1(VALU_DEP_2)
	v_cmp_lt_u32_e32 vcc_lo, 21, v8
	s_or_b32 s3, vcc_lo, s3
	s_wait_loadcnt_dscnt 0x0
	v_mul_f64_e32 v[12:13], v[78:79], v[74:75]
	v_mul_f64_e32 v[74:75], v[76:77], v[74:75]
	v_fma_f64 v[12:13], v[76:77], v[72:73], -v[12:13]
	s_delay_alu instid0(VALU_DEP_2) | instskip(NEXT) | instid1(VALU_DEP_2)
	v_fmac_f64_e32 v[74:75], v[78:79], v[72:73]
	v_add_f64_e32 v[4:5], v[4:5], v[12:13]
	s_delay_alu instid0(VALU_DEP_2)
	v_add_f64_e32 v[2:3], v[2:3], v[74:75]
	s_and_not1_b32 exec_lo, exec_lo, s3
	s_cbranch_execnz .LBB27_105
; %bb.106:
	s_or_b32 exec_lo, exec_lo, s3
	v_mov_b32_e32 v8, 0
	ds_load_b128 v[8:11], v8 offset:368
	s_wait_dscnt 0x0
	v_mul_f64_e32 v[72:73], v[2:3], v[10:11]
	v_mul_f64_e32 v[12:13], v[4:5], v[10:11]
	s_delay_alu instid0(VALU_DEP_2) | instskip(NEXT) | instid1(VALU_DEP_2)
	v_fma_f64 v[10:11], v[4:5], v[8:9], -v[72:73]
	v_fmac_f64_e32 v[12:13], v[2:3], v[8:9]
	scratch_store_b128 off, v[10:13], off offset:368
.LBB27_107:
	s_wait_xcnt 0x0
	s_or_b32 exec_lo, exec_lo, s2
	s_wait_storecnt 0x0
	s_barrier_signal -1
	s_barrier_wait -1
	scratch_load_b128 v[2:5], off, s24
	;; [unrolled: 54-line block ×5, first 2 shown]
	s_mov_b32 s2, exec_lo
	s_wait_loadcnt 0x0
	ds_store_b128 v6, v[2:5]
	s_wait_dscnt 0x0
	s_barrier_signal -1
	s_barrier_wait -1
	v_cmpx_ne_u32_e32 27, v1
	s_cbranch_execz .LBB27_123
; %bb.120:
	v_mov_b32_e32 v8, v70
	v_mov_b64_e32 v[2:3], 0
	v_mov_b64_e32 v[4:5], 0
	s_mov_b32 s3, 0
	s_delay_alu instid0(VALU_DEP_3)
	v_or_b32_e32 v8, 8, v8
.LBB27_121:                             ; =>This Inner Loop Header: Depth=1
	scratch_load_b128 v[10:13], v8, off offset:-8
	ds_load_b128 v[70:73], v6
	v_dual_add_nc_u32 v7, 1, v7 :: v_dual_add_nc_u32 v6, 16, v6
	s_wait_xcnt 0x0
	v_add_nc_u32_e32 v8, 16, v8
	s_delay_alu instid0(VALU_DEP_2) | instskip(SKIP_4) | instid1(VALU_DEP_2)
	v_cmp_lt_u32_e32 vcc_lo, 25, v7
	s_or_b32 s3, vcc_lo, s3
	s_wait_loadcnt_dscnt 0x0
	v_mul_f64_e32 v[74:75], v[72:73], v[12:13]
	v_mul_f64_e32 v[12:13], v[70:71], v[12:13]
	v_fma_f64 v[70:71], v[70:71], v[10:11], -v[74:75]
	s_delay_alu instid0(VALU_DEP_2) | instskip(NEXT) | instid1(VALU_DEP_2)
	v_fmac_f64_e32 v[12:13], v[72:73], v[10:11]
	v_add_f64_e32 v[4:5], v[4:5], v[70:71]
	s_delay_alu instid0(VALU_DEP_2)
	v_add_f64_e32 v[2:3], v[2:3], v[12:13]
	s_and_not1_b32 exec_lo, exec_lo, s3
	s_cbranch_execnz .LBB27_121
; %bb.122:
	s_or_b32 exec_lo, exec_lo, s3
	v_mov_b32_e32 v6, 0
	ds_load_b128 v[6:9], v6 offset:432
	s_wait_dscnt 0x0
	v_mul_f64_e32 v[12:13], v[2:3], v[8:9]
	v_mul_f64_e32 v[10:11], v[4:5], v[8:9]
	s_delay_alu instid0(VALU_DEP_2) | instskip(NEXT) | instid1(VALU_DEP_2)
	v_fma_f64 v[8:9], v[4:5], v[6:7], -v[12:13]
	v_fmac_f64_e32 v[10:11], v[2:3], v[6:7]
	scratch_store_b128 off, v[8:11], off offset:432
.LBB27_123:
	s_wait_xcnt 0x0
	s_or_b32 exec_lo, exec_lo, s2
	s_mov_b32 s3, -1
	s_wait_storecnt 0x0
	s_barrier_signal -1
	s_barrier_wait -1
.LBB27_124:
	s_and_b32 vcc_lo, exec_lo, s3
	s_cbranch_vccz .LBB27_126
; %bb.125:
	s_wait_xcnt 0x7
	v_mov_b32_e32 v2, 0
	s_lshl_b64 s[2:3], s[18:19], 2
	s_delay_alu instid0(SALU_CYCLE_1)
	s_add_nc_u64 s[2:3], s[6:7], s[2:3]
	global_load_b32 v2, v2, s[2:3]
	s_wait_loadcnt 0x0
	v_cmp_ne_u32_e32 vcc_lo, 0, v2
	s_cbranch_vccz .LBB27_127
.LBB27_126:
	s_sendmsg sendmsg(MSG_DEALLOC_VGPRS)
	s_endpgm
.LBB27_127:
	s_wait_xcnt 0x6
	v_lshl_add_u32 v6, v1, 4, 0x1c0
	s_wait_xcnt 0x0
	s_mov_b32 s2, exec_lo
	v_cmpx_eq_u32_e32 27, v1
	s_cbranch_execz .LBB27_129
; %bb.128:
	scratch_load_b128 v[2:5], off, s22
	v_mov_b32_e32 v8, 0
	s_delay_alu instid0(VALU_DEP_1)
	v_dual_mov_b32 v9, v8 :: v_dual_mov_b32 v10, v8
	v_mov_b32_e32 v11, v8
	scratch_store_b128 off, v[8:11], off offset:416
	s_wait_loadcnt 0x0
	ds_store_b128 v6, v[2:5]
.LBB27_129:
	s_wait_xcnt 0x0
	s_or_b32 exec_lo, exec_lo, s2
	s_wait_storecnt_dscnt 0x0
	s_barrier_signal -1
	s_barrier_wait -1
	s_clause 0x1
	scratch_load_b128 v[8:11], off, off offset:432
	scratch_load_b128 v[70:73], off, off offset:416
	v_mov_b32_e32 v2, 0
	s_mov_b32 s2, exec_lo
	ds_load_b128 v[74:77], v2 offset:880
	s_wait_loadcnt_dscnt 0x100
	v_mul_f64_e32 v[4:5], v[76:77], v[10:11]
	v_mul_f64_e32 v[10:11], v[74:75], v[10:11]
	s_delay_alu instid0(VALU_DEP_2) | instskip(NEXT) | instid1(VALU_DEP_2)
	v_fma_f64 v[4:5], v[74:75], v[8:9], -v[4:5]
	v_fmac_f64_e32 v[10:11], v[76:77], v[8:9]
	s_delay_alu instid0(VALU_DEP_2) | instskip(NEXT) | instid1(VALU_DEP_2)
	v_add_f64_e32 v[4:5], 0, v[4:5]
	v_add_f64_e32 v[10:11], 0, v[10:11]
	s_wait_loadcnt 0x0
	s_delay_alu instid0(VALU_DEP_2) | instskip(NEXT) | instid1(VALU_DEP_2)
	v_add_f64_e64 v[8:9], v[70:71], -v[4:5]
	v_add_f64_e64 v[10:11], v[72:73], -v[10:11]
	scratch_store_b128 off, v[8:11], off offset:416
	s_wait_xcnt 0x0
	v_cmpx_lt_u32_e32 25, v1
	s_cbranch_execz .LBB27_131
; %bb.130:
	scratch_load_b128 v[8:11], off, s21
	v_dual_mov_b32 v3, v2 :: v_dual_mov_b32 v4, v2
	v_mov_b32_e32 v5, v2
	scratch_store_b128 off, v[2:5], off offset:400
	s_wait_loadcnt 0x0
	ds_store_b128 v6, v[8:11]
.LBB27_131:
	s_wait_xcnt 0x0
	s_or_b32 exec_lo, exec_lo, s2
	s_wait_storecnt_dscnt 0x0
	s_barrier_signal -1
	s_barrier_wait -1
	s_clause 0x2
	scratch_load_b128 v[8:11], off, off offset:416
	scratch_load_b128 v[70:73], off, off offset:432
	;; [unrolled: 1-line block ×3, first 2 shown]
	ds_load_b128 v[78:81], v2 offset:864
	ds_load_b128 v[2:5], v2 offset:880
	s_mov_b32 s2, exec_lo
	s_wait_loadcnt_dscnt 0x201
	v_mul_f64_e32 v[12:13], v[80:81], v[10:11]
	v_mul_f64_e32 v[10:11], v[78:79], v[10:11]
	s_wait_loadcnt_dscnt 0x100
	v_mul_f64_e32 v[82:83], v[2:3], v[72:73]
	v_mul_f64_e32 v[72:73], v[4:5], v[72:73]
	s_delay_alu instid0(VALU_DEP_4) | instskip(NEXT) | instid1(VALU_DEP_4)
	v_fma_f64 v[12:13], v[78:79], v[8:9], -v[12:13]
	v_fmac_f64_e32 v[10:11], v[80:81], v[8:9]
	s_delay_alu instid0(VALU_DEP_4) | instskip(NEXT) | instid1(VALU_DEP_4)
	v_fmac_f64_e32 v[82:83], v[4:5], v[70:71]
	v_fma_f64 v[2:3], v[2:3], v[70:71], -v[72:73]
	s_delay_alu instid0(VALU_DEP_4) | instskip(NEXT) | instid1(VALU_DEP_4)
	v_add_f64_e32 v[4:5], 0, v[12:13]
	v_add_f64_e32 v[8:9], 0, v[10:11]
	s_delay_alu instid0(VALU_DEP_2) | instskip(NEXT) | instid1(VALU_DEP_2)
	v_add_f64_e32 v[2:3], v[4:5], v[2:3]
	v_add_f64_e32 v[4:5], v[8:9], v[82:83]
	s_wait_loadcnt 0x0
	s_delay_alu instid0(VALU_DEP_2) | instskip(NEXT) | instid1(VALU_DEP_2)
	v_add_f64_e64 v[2:3], v[74:75], -v[2:3]
	v_add_f64_e64 v[4:5], v[76:77], -v[4:5]
	scratch_store_b128 off, v[2:5], off offset:400
	s_wait_xcnt 0x0
	v_cmpx_lt_u32_e32 24, v1
	s_cbranch_execz .LBB27_133
; %bb.132:
	scratch_load_b128 v[2:5], off, s24
	v_mov_b32_e32 v8, 0
	s_delay_alu instid0(VALU_DEP_1)
	v_dual_mov_b32 v9, v8 :: v_dual_mov_b32 v10, v8
	v_mov_b32_e32 v11, v8
	scratch_store_b128 off, v[8:11], off offset:384
	s_wait_loadcnt 0x0
	ds_store_b128 v6, v[2:5]
.LBB27_133:
	s_wait_xcnt 0x0
	s_or_b32 exec_lo, exec_lo, s2
	s_wait_storecnt_dscnt 0x0
	s_barrier_signal -1
	s_barrier_wait -1
	s_clause 0x3
	scratch_load_b128 v[8:11], off, off offset:400
	scratch_load_b128 v[70:73], off, off offset:416
	;; [unrolled: 1-line block ×4, first 2 shown]
	v_mov_b32_e32 v2, 0
	ds_load_b128 v[82:85], v2 offset:848
	ds_load_b128 v[86:89], v2 offset:864
	s_mov_b32 s2, exec_lo
	s_wait_loadcnt_dscnt 0x301
	v_mul_f64_e32 v[4:5], v[84:85], v[10:11]
	v_mul_f64_e32 v[12:13], v[82:83], v[10:11]
	s_wait_loadcnt_dscnt 0x200
	v_mul_f64_e32 v[90:91], v[86:87], v[72:73]
	v_mul_f64_e32 v[72:73], v[88:89], v[72:73]
	s_delay_alu instid0(VALU_DEP_4) | instskip(NEXT) | instid1(VALU_DEP_4)
	v_fma_f64 v[4:5], v[82:83], v[8:9], -v[4:5]
	v_fmac_f64_e32 v[12:13], v[84:85], v[8:9]
	ds_load_b128 v[8:11], v2 offset:880
	v_fmac_f64_e32 v[90:91], v[88:89], v[70:71]
	v_fma_f64 v[70:71], v[86:87], v[70:71], -v[72:73]
	s_wait_loadcnt_dscnt 0x100
	v_mul_f64_e32 v[82:83], v[8:9], v[76:77]
	v_mul_f64_e32 v[76:77], v[10:11], v[76:77]
	v_add_f64_e32 v[4:5], 0, v[4:5]
	v_add_f64_e32 v[12:13], 0, v[12:13]
	s_delay_alu instid0(VALU_DEP_4) | instskip(NEXT) | instid1(VALU_DEP_4)
	v_fmac_f64_e32 v[82:83], v[10:11], v[74:75]
	v_fma_f64 v[8:9], v[8:9], v[74:75], -v[76:77]
	s_delay_alu instid0(VALU_DEP_4) | instskip(NEXT) | instid1(VALU_DEP_4)
	v_add_f64_e32 v[4:5], v[4:5], v[70:71]
	v_add_f64_e32 v[10:11], v[12:13], v[90:91]
	s_delay_alu instid0(VALU_DEP_2) | instskip(NEXT) | instid1(VALU_DEP_2)
	v_add_f64_e32 v[4:5], v[4:5], v[8:9]
	v_add_f64_e32 v[10:11], v[10:11], v[82:83]
	s_wait_loadcnt 0x0
	s_delay_alu instid0(VALU_DEP_2) | instskip(NEXT) | instid1(VALU_DEP_2)
	v_add_f64_e64 v[8:9], v[78:79], -v[4:5]
	v_add_f64_e64 v[10:11], v[80:81], -v[10:11]
	scratch_store_b128 off, v[8:11], off offset:384
	s_wait_xcnt 0x0
	v_cmpx_lt_u32_e32 23, v1
	s_cbranch_execz .LBB27_135
; %bb.134:
	scratch_load_b128 v[8:11], off, s23
	v_dual_mov_b32 v3, v2 :: v_dual_mov_b32 v4, v2
	v_mov_b32_e32 v5, v2
	scratch_store_b128 off, v[2:5], off offset:368
	s_wait_loadcnt 0x0
	ds_store_b128 v6, v[8:11]
.LBB27_135:
	s_wait_xcnt 0x0
	s_or_b32 exec_lo, exec_lo, s2
	s_wait_storecnt_dscnt 0x0
	s_barrier_signal -1
	s_barrier_wait -1
	s_clause 0x4
	scratch_load_b128 v[8:11], off, off offset:384
	scratch_load_b128 v[70:73], off, off offset:400
	;; [unrolled: 1-line block ×5, first 2 shown]
	ds_load_b128 v[86:89], v2 offset:832
	ds_load_b128 v[90:93], v2 offset:848
	s_mov_b32 s2, exec_lo
	s_wait_loadcnt_dscnt 0x401
	v_mul_f64_e32 v[4:5], v[88:89], v[10:11]
	v_mul_f64_e32 v[12:13], v[86:87], v[10:11]
	s_wait_loadcnt_dscnt 0x300
	v_mul_f64_e32 v[94:95], v[90:91], v[72:73]
	v_mul_f64_e32 v[72:73], v[92:93], v[72:73]
	s_delay_alu instid0(VALU_DEP_4) | instskip(NEXT) | instid1(VALU_DEP_4)
	v_fma_f64 v[86:87], v[86:87], v[8:9], -v[4:5]
	v_fmac_f64_e32 v[12:13], v[88:89], v[8:9]
	ds_load_b128 v[8:11], v2 offset:864
	ds_load_b128 v[2:5], v2 offset:880
	v_fmac_f64_e32 v[94:95], v[92:93], v[70:71]
	v_fma_f64 v[70:71], v[90:91], v[70:71], -v[72:73]
	s_wait_loadcnt_dscnt 0x201
	v_mul_f64_e32 v[88:89], v[8:9], v[76:77]
	v_mul_f64_e32 v[76:77], v[10:11], v[76:77]
	v_add_f64_e32 v[72:73], 0, v[86:87]
	v_add_f64_e32 v[12:13], 0, v[12:13]
	s_wait_loadcnt_dscnt 0x100
	v_mul_f64_e32 v[86:87], v[2:3], v[80:81]
	v_mul_f64_e32 v[80:81], v[4:5], v[80:81]
	v_fmac_f64_e32 v[88:89], v[10:11], v[74:75]
	v_fma_f64 v[8:9], v[8:9], v[74:75], -v[76:77]
	v_add_f64_e32 v[10:11], v[72:73], v[70:71]
	v_add_f64_e32 v[12:13], v[12:13], v[94:95]
	v_fmac_f64_e32 v[86:87], v[4:5], v[78:79]
	v_fma_f64 v[2:3], v[2:3], v[78:79], -v[80:81]
	s_delay_alu instid0(VALU_DEP_4) | instskip(NEXT) | instid1(VALU_DEP_4)
	v_add_f64_e32 v[4:5], v[10:11], v[8:9]
	v_add_f64_e32 v[8:9], v[12:13], v[88:89]
	s_delay_alu instid0(VALU_DEP_2) | instskip(NEXT) | instid1(VALU_DEP_2)
	v_add_f64_e32 v[2:3], v[4:5], v[2:3]
	v_add_f64_e32 v[4:5], v[8:9], v[86:87]
	s_wait_loadcnt 0x0
	s_delay_alu instid0(VALU_DEP_2) | instskip(NEXT) | instid1(VALU_DEP_2)
	v_add_f64_e64 v[2:3], v[82:83], -v[2:3]
	v_add_f64_e64 v[4:5], v[84:85], -v[4:5]
	scratch_store_b128 off, v[2:5], off offset:368
	s_wait_xcnt 0x0
	v_cmpx_lt_u32_e32 22, v1
	s_cbranch_execz .LBB27_137
; %bb.136:
	scratch_load_b128 v[2:5], off, s26
	v_mov_b32_e32 v8, 0
	s_delay_alu instid0(VALU_DEP_1)
	v_dual_mov_b32 v9, v8 :: v_dual_mov_b32 v10, v8
	v_mov_b32_e32 v11, v8
	scratch_store_b128 off, v[8:11], off offset:352
	s_wait_loadcnt 0x0
	ds_store_b128 v6, v[2:5]
.LBB27_137:
	s_wait_xcnt 0x0
	s_or_b32 exec_lo, exec_lo, s2
	s_wait_storecnt_dscnt 0x0
	s_barrier_signal -1
	s_barrier_wait -1
	s_clause 0x5
	scratch_load_b128 v[8:11], off, off offset:368
	scratch_load_b128 v[70:73], off, off offset:384
	;; [unrolled: 1-line block ×6, first 2 shown]
	v_mov_b32_e32 v2, 0
	ds_load_b128 v[90:93], v2 offset:816
	ds_load_b128 v[94:97], v2 offset:832
	s_mov_b32 s2, exec_lo
	s_wait_loadcnt_dscnt 0x501
	v_mul_f64_e32 v[4:5], v[92:93], v[10:11]
	v_mul_f64_e32 v[12:13], v[90:91], v[10:11]
	s_wait_loadcnt_dscnt 0x400
	v_mul_f64_e32 v[98:99], v[94:95], v[72:73]
	v_mul_f64_e32 v[72:73], v[96:97], v[72:73]
	s_delay_alu instid0(VALU_DEP_4) | instskip(NEXT) | instid1(VALU_DEP_4)
	v_fma_f64 v[4:5], v[90:91], v[8:9], -v[4:5]
	v_fmac_f64_e32 v[12:13], v[92:93], v[8:9]
	ds_load_b128 v[8:11], v2 offset:848
	ds_load_b128 v[90:93], v2 offset:864
	v_fmac_f64_e32 v[98:99], v[96:97], v[70:71]
	v_fma_f64 v[70:71], v[94:95], v[70:71], -v[72:73]
	s_wait_loadcnt_dscnt 0x301
	v_mul_f64_e32 v[100:101], v[8:9], v[76:77]
	v_mul_f64_e32 v[76:77], v[10:11], v[76:77]
	s_wait_loadcnt_dscnt 0x200
	v_mul_f64_e32 v[72:73], v[90:91], v[80:81]
	v_mul_f64_e32 v[80:81], v[92:93], v[80:81]
	v_add_f64_e32 v[4:5], 0, v[4:5]
	v_add_f64_e32 v[12:13], 0, v[12:13]
	v_fmac_f64_e32 v[100:101], v[10:11], v[74:75]
	v_fma_f64 v[74:75], v[8:9], v[74:75], -v[76:77]
	ds_load_b128 v[8:11], v2 offset:880
	v_fmac_f64_e32 v[72:73], v[92:93], v[78:79]
	v_fma_f64 v[78:79], v[90:91], v[78:79], -v[80:81]
	v_add_f64_e32 v[4:5], v[4:5], v[70:71]
	v_add_f64_e32 v[12:13], v[12:13], v[98:99]
	s_wait_loadcnt_dscnt 0x100
	v_mul_f64_e32 v[70:71], v[8:9], v[84:85]
	v_mul_f64_e32 v[76:77], v[10:11], v[84:85]
	s_delay_alu instid0(VALU_DEP_4) | instskip(NEXT) | instid1(VALU_DEP_4)
	v_add_f64_e32 v[4:5], v[4:5], v[74:75]
	v_add_f64_e32 v[12:13], v[12:13], v[100:101]
	s_delay_alu instid0(VALU_DEP_4) | instskip(NEXT) | instid1(VALU_DEP_4)
	v_fmac_f64_e32 v[70:71], v[10:11], v[82:83]
	v_fma_f64 v[8:9], v[8:9], v[82:83], -v[76:77]
	s_delay_alu instid0(VALU_DEP_4) | instskip(NEXT) | instid1(VALU_DEP_4)
	v_add_f64_e32 v[4:5], v[4:5], v[78:79]
	v_add_f64_e32 v[10:11], v[12:13], v[72:73]
	s_delay_alu instid0(VALU_DEP_2) | instskip(NEXT) | instid1(VALU_DEP_2)
	v_add_f64_e32 v[4:5], v[4:5], v[8:9]
	v_add_f64_e32 v[10:11], v[10:11], v[70:71]
	s_wait_loadcnt 0x0
	s_delay_alu instid0(VALU_DEP_2) | instskip(NEXT) | instid1(VALU_DEP_2)
	v_add_f64_e64 v[8:9], v[86:87], -v[4:5]
	v_add_f64_e64 v[10:11], v[88:89], -v[10:11]
	scratch_store_b128 off, v[8:11], off offset:352
	s_wait_xcnt 0x0
	v_cmpx_lt_u32_e32 21, v1
	s_cbranch_execz .LBB27_139
; %bb.138:
	scratch_load_b128 v[8:11], off, s25
	v_dual_mov_b32 v3, v2 :: v_dual_mov_b32 v4, v2
	v_mov_b32_e32 v5, v2
	scratch_store_b128 off, v[2:5], off offset:336
	s_wait_loadcnt 0x0
	ds_store_b128 v6, v[8:11]
.LBB27_139:
	s_wait_xcnt 0x0
	s_or_b32 exec_lo, exec_lo, s2
	s_wait_storecnt_dscnt 0x0
	s_barrier_signal -1
	s_barrier_wait -1
	s_clause 0x6
	scratch_load_b128 v[8:11], off, off offset:352
	scratch_load_b128 v[70:73], off, off offset:368
	;; [unrolled: 1-line block ×7, first 2 shown]
	ds_load_b128 v[94:97], v2 offset:800
	ds_load_b128 v[98:101], v2 offset:816
	s_mov_b32 s2, exec_lo
	s_wait_loadcnt_dscnt 0x601
	v_mul_f64_e32 v[4:5], v[96:97], v[10:11]
	v_mul_f64_e32 v[12:13], v[94:95], v[10:11]
	s_wait_loadcnt_dscnt 0x500
	v_mul_f64_e32 v[102:103], v[98:99], v[72:73]
	v_mul_f64_e32 v[72:73], v[100:101], v[72:73]
	s_delay_alu instid0(VALU_DEP_4) | instskip(NEXT) | instid1(VALU_DEP_4)
	v_fma_f64 v[4:5], v[94:95], v[8:9], -v[4:5]
	v_fmac_f64_e32 v[12:13], v[96:97], v[8:9]
	ds_load_b128 v[8:11], v2 offset:832
	ds_load_b128 v[94:97], v2 offset:848
	v_fmac_f64_e32 v[102:103], v[100:101], v[70:71]
	v_fma_f64 v[70:71], v[98:99], v[70:71], -v[72:73]
	s_wait_loadcnt_dscnt 0x401
	v_mul_f64_e32 v[104:105], v[8:9], v[76:77]
	v_mul_f64_e32 v[76:77], v[10:11], v[76:77]
	s_wait_loadcnt_dscnt 0x300
	v_mul_f64_e32 v[72:73], v[94:95], v[80:81]
	v_mul_f64_e32 v[80:81], v[96:97], v[80:81]
	v_add_f64_e32 v[4:5], 0, v[4:5]
	v_add_f64_e32 v[12:13], 0, v[12:13]
	v_fmac_f64_e32 v[104:105], v[10:11], v[74:75]
	v_fma_f64 v[74:75], v[8:9], v[74:75], -v[76:77]
	v_fmac_f64_e32 v[72:73], v[96:97], v[78:79]
	v_fma_f64 v[78:79], v[94:95], v[78:79], -v[80:81]
	v_add_f64_e32 v[70:71], v[4:5], v[70:71]
	v_add_f64_e32 v[12:13], v[12:13], v[102:103]
	ds_load_b128 v[8:11], v2 offset:864
	ds_load_b128 v[2:5], v2 offset:880
	s_wait_loadcnt_dscnt 0x201
	v_mul_f64_e32 v[76:77], v[8:9], v[84:85]
	v_mul_f64_e32 v[84:85], v[10:11], v[84:85]
	s_wait_loadcnt_dscnt 0x100
	v_mul_f64_e32 v[80:81], v[4:5], v[88:89]
	v_add_f64_e32 v[70:71], v[70:71], v[74:75]
	v_add_f64_e32 v[12:13], v[12:13], v[104:105]
	v_mul_f64_e32 v[74:75], v[2:3], v[88:89]
	v_fmac_f64_e32 v[76:77], v[10:11], v[82:83]
	v_fma_f64 v[8:9], v[8:9], v[82:83], -v[84:85]
	v_fma_f64 v[2:3], v[2:3], v[86:87], -v[80:81]
	v_add_f64_e32 v[10:11], v[70:71], v[78:79]
	v_add_f64_e32 v[12:13], v[12:13], v[72:73]
	v_fmac_f64_e32 v[74:75], v[4:5], v[86:87]
	s_delay_alu instid0(VALU_DEP_3) | instskip(NEXT) | instid1(VALU_DEP_3)
	v_add_f64_e32 v[4:5], v[10:11], v[8:9]
	v_add_f64_e32 v[8:9], v[12:13], v[76:77]
	s_delay_alu instid0(VALU_DEP_2) | instskip(NEXT) | instid1(VALU_DEP_2)
	v_add_f64_e32 v[2:3], v[4:5], v[2:3]
	v_add_f64_e32 v[4:5], v[8:9], v[74:75]
	s_wait_loadcnt 0x0
	s_delay_alu instid0(VALU_DEP_2) | instskip(NEXT) | instid1(VALU_DEP_2)
	v_add_f64_e64 v[2:3], v[90:91], -v[2:3]
	v_add_f64_e64 v[4:5], v[92:93], -v[4:5]
	scratch_store_b128 off, v[2:5], off offset:336
	s_wait_xcnt 0x0
	v_cmpx_lt_u32_e32 20, v1
	s_cbranch_execz .LBB27_141
; %bb.140:
	scratch_load_b128 v[2:5], off, s12
	v_mov_b32_e32 v8, 0
	s_delay_alu instid0(VALU_DEP_1)
	v_dual_mov_b32 v9, v8 :: v_dual_mov_b32 v10, v8
	v_mov_b32_e32 v11, v8
	scratch_store_b128 off, v[8:11], off offset:320
	s_wait_loadcnt 0x0
	ds_store_b128 v6, v[2:5]
.LBB27_141:
	s_wait_xcnt 0x0
	s_or_b32 exec_lo, exec_lo, s2
	s_wait_storecnt_dscnt 0x0
	s_barrier_signal -1
	s_barrier_wait -1
	s_clause 0x7
	scratch_load_b128 v[8:11], off, off offset:336
	scratch_load_b128 v[70:73], off, off offset:352
	;; [unrolled: 1-line block ×8, first 2 shown]
	v_mov_b32_e32 v2, 0
	ds_load_b128 v[98:101], v2 offset:784
	ds_load_b128 v[102:105], v2 offset:800
	s_mov_b32 s2, exec_lo
	s_wait_loadcnt_dscnt 0x701
	v_mul_f64_e32 v[4:5], v[100:101], v[10:11]
	v_mul_f64_e32 v[12:13], v[98:99], v[10:11]
	s_wait_loadcnt_dscnt 0x600
	v_mul_f64_e32 v[106:107], v[102:103], v[72:73]
	v_mul_f64_e32 v[72:73], v[104:105], v[72:73]
	s_delay_alu instid0(VALU_DEP_4) | instskip(NEXT) | instid1(VALU_DEP_4)
	v_fma_f64 v[4:5], v[98:99], v[8:9], -v[4:5]
	v_fmac_f64_e32 v[12:13], v[100:101], v[8:9]
	ds_load_b128 v[8:11], v2 offset:816
	ds_load_b128 v[98:101], v2 offset:832
	v_fmac_f64_e32 v[106:107], v[104:105], v[70:71]
	v_fma_f64 v[70:71], v[102:103], v[70:71], -v[72:73]
	s_wait_loadcnt_dscnt 0x501
	v_mul_f64_e32 v[108:109], v[8:9], v[76:77]
	v_mul_f64_e32 v[76:77], v[10:11], v[76:77]
	s_wait_loadcnt_dscnt 0x400
	v_mul_f64_e32 v[102:103], v[98:99], v[80:81]
	v_mul_f64_e32 v[80:81], v[100:101], v[80:81]
	v_add_f64_e32 v[4:5], 0, v[4:5]
	v_add_f64_e32 v[12:13], 0, v[12:13]
	v_fmac_f64_e32 v[108:109], v[10:11], v[74:75]
	v_fma_f64 v[74:75], v[8:9], v[74:75], -v[76:77]
	v_fmac_f64_e32 v[102:103], v[100:101], v[78:79]
	v_fma_f64 v[78:79], v[98:99], v[78:79], -v[80:81]
	v_add_f64_e32 v[4:5], v[4:5], v[70:71]
	v_add_f64_e32 v[12:13], v[12:13], v[106:107]
	ds_load_b128 v[8:11], v2 offset:848
	ds_load_b128 v[70:73], v2 offset:864
	s_wait_loadcnt_dscnt 0x301
	v_mul_f64_e32 v[76:77], v[8:9], v[84:85]
	v_mul_f64_e32 v[84:85], v[10:11], v[84:85]
	s_wait_loadcnt_dscnt 0x200
	v_mul_f64_e32 v[80:81], v[72:73], v[88:89]
	v_add_f64_e32 v[4:5], v[4:5], v[74:75]
	v_add_f64_e32 v[12:13], v[12:13], v[108:109]
	v_mul_f64_e32 v[74:75], v[70:71], v[88:89]
	v_fmac_f64_e32 v[76:77], v[10:11], v[82:83]
	v_fma_f64 v[82:83], v[8:9], v[82:83], -v[84:85]
	ds_load_b128 v[8:11], v2 offset:880
	v_fma_f64 v[70:71], v[70:71], v[86:87], -v[80:81]
	v_add_f64_e32 v[4:5], v[4:5], v[78:79]
	v_add_f64_e32 v[12:13], v[12:13], v[102:103]
	v_fmac_f64_e32 v[74:75], v[72:73], v[86:87]
	s_wait_loadcnt_dscnt 0x100
	v_mul_f64_e32 v[78:79], v[8:9], v[92:93]
	v_mul_f64_e32 v[84:85], v[10:11], v[92:93]
	v_add_f64_e32 v[4:5], v[4:5], v[82:83]
	v_add_f64_e32 v[12:13], v[12:13], v[76:77]
	s_delay_alu instid0(VALU_DEP_4) | instskip(NEXT) | instid1(VALU_DEP_4)
	v_fmac_f64_e32 v[78:79], v[10:11], v[90:91]
	v_fma_f64 v[8:9], v[8:9], v[90:91], -v[84:85]
	s_delay_alu instid0(VALU_DEP_4) | instskip(NEXT) | instid1(VALU_DEP_4)
	v_add_f64_e32 v[4:5], v[4:5], v[70:71]
	v_add_f64_e32 v[10:11], v[12:13], v[74:75]
	s_delay_alu instid0(VALU_DEP_2) | instskip(NEXT) | instid1(VALU_DEP_2)
	v_add_f64_e32 v[4:5], v[4:5], v[8:9]
	v_add_f64_e32 v[10:11], v[10:11], v[78:79]
	s_wait_loadcnt 0x0
	s_delay_alu instid0(VALU_DEP_2) | instskip(NEXT) | instid1(VALU_DEP_2)
	v_add_f64_e64 v[8:9], v[94:95], -v[4:5]
	v_add_f64_e64 v[10:11], v[96:97], -v[10:11]
	scratch_store_b128 off, v[8:11], off offset:320
	s_wait_xcnt 0x0
	v_cmpx_lt_u32_e32 19, v1
	s_cbranch_execz .LBB27_143
; %bb.142:
	scratch_load_b128 v[8:11], off, s10
	v_dual_mov_b32 v3, v2 :: v_dual_mov_b32 v4, v2
	v_mov_b32_e32 v5, v2
	scratch_store_b128 off, v[2:5], off offset:304
	s_wait_loadcnt 0x0
	ds_store_b128 v6, v[8:11]
.LBB27_143:
	s_wait_xcnt 0x0
	s_or_b32 exec_lo, exec_lo, s2
	s_wait_storecnt_dscnt 0x0
	s_barrier_signal -1
	s_barrier_wait -1
	s_clause 0x7
	scratch_load_b128 v[8:11], off, off offset:320
	scratch_load_b128 v[70:73], off, off offset:336
	;; [unrolled: 1-line block ×8, first 2 shown]
	ds_load_b128 v[98:101], v2 offset:768
	ds_load_b128 v[102:105], v2 offset:784
	scratch_load_b128 v[106:109], off, off offset:304
	s_mov_b32 s2, exec_lo
	s_wait_loadcnt_dscnt 0x801
	v_mul_f64_e32 v[4:5], v[100:101], v[10:11]
	v_mul_f64_e32 v[12:13], v[98:99], v[10:11]
	s_wait_loadcnt_dscnt 0x700
	v_mul_f64_e32 v[110:111], v[102:103], v[72:73]
	v_mul_f64_e32 v[72:73], v[104:105], v[72:73]
	s_delay_alu instid0(VALU_DEP_4) | instskip(NEXT) | instid1(VALU_DEP_4)
	v_fma_f64 v[4:5], v[98:99], v[8:9], -v[4:5]
	v_fmac_f64_e32 v[12:13], v[100:101], v[8:9]
	ds_load_b128 v[8:11], v2 offset:800
	ds_load_b128 v[98:101], v2 offset:816
	v_fmac_f64_e32 v[110:111], v[104:105], v[70:71]
	v_fma_f64 v[70:71], v[102:103], v[70:71], -v[72:73]
	s_wait_loadcnt_dscnt 0x601
	v_mul_f64_e32 v[112:113], v[8:9], v[76:77]
	v_mul_f64_e32 v[76:77], v[10:11], v[76:77]
	s_wait_loadcnt_dscnt 0x500
	v_mul_f64_e32 v[102:103], v[98:99], v[80:81]
	v_mul_f64_e32 v[80:81], v[100:101], v[80:81]
	v_add_f64_e32 v[4:5], 0, v[4:5]
	v_add_f64_e32 v[12:13], 0, v[12:13]
	v_fmac_f64_e32 v[112:113], v[10:11], v[74:75]
	v_fma_f64 v[74:75], v[8:9], v[74:75], -v[76:77]
	v_fmac_f64_e32 v[102:103], v[100:101], v[78:79]
	v_fma_f64 v[78:79], v[98:99], v[78:79], -v[80:81]
	v_add_f64_e32 v[4:5], v[4:5], v[70:71]
	v_add_f64_e32 v[12:13], v[12:13], v[110:111]
	ds_load_b128 v[8:11], v2 offset:832
	ds_load_b128 v[70:73], v2 offset:848
	s_wait_loadcnt_dscnt 0x401
	v_mul_f64_e32 v[76:77], v[8:9], v[84:85]
	v_mul_f64_e32 v[84:85], v[10:11], v[84:85]
	s_wait_loadcnt_dscnt 0x300
	v_mul_f64_e32 v[80:81], v[72:73], v[88:89]
	v_add_f64_e32 v[4:5], v[4:5], v[74:75]
	v_add_f64_e32 v[12:13], v[12:13], v[112:113]
	v_mul_f64_e32 v[74:75], v[70:71], v[88:89]
	v_fmac_f64_e32 v[76:77], v[10:11], v[82:83]
	v_fma_f64 v[82:83], v[8:9], v[82:83], -v[84:85]
	v_fma_f64 v[70:71], v[70:71], v[86:87], -v[80:81]
	v_add_f64_e32 v[78:79], v[4:5], v[78:79]
	v_add_f64_e32 v[12:13], v[12:13], v[102:103]
	ds_load_b128 v[8:11], v2 offset:864
	ds_load_b128 v[2:5], v2 offset:880
	v_fmac_f64_e32 v[74:75], v[72:73], v[86:87]
	s_wait_loadcnt_dscnt 0x201
	v_mul_f64_e32 v[84:85], v[8:9], v[92:93]
	v_mul_f64_e32 v[88:89], v[10:11], v[92:93]
	v_add_f64_e32 v[72:73], v[78:79], v[82:83]
	v_add_f64_e32 v[12:13], v[12:13], v[76:77]
	s_wait_loadcnt_dscnt 0x100
	v_mul_f64_e32 v[76:77], v[2:3], v[96:97]
	v_mul_f64_e32 v[78:79], v[4:5], v[96:97]
	v_fmac_f64_e32 v[84:85], v[10:11], v[90:91]
	v_fma_f64 v[8:9], v[8:9], v[90:91], -v[88:89]
	v_add_f64_e32 v[10:11], v[72:73], v[70:71]
	v_add_f64_e32 v[12:13], v[12:13], v[74:75]
	v_fmac_f64_e32 v[76:77], v[4:5], v[94:95]
	v_fma_f64 v[2:3], v[2:3], v[94:95], -v[78:79]
	s_delay_alu instid0(VALU_DEP_4) | instskip(NEXT) | instid1(VALU_DEP_4)
	v_add_f64_e32 v[4:5], v[10:11], v[8:9]
	v_add_f64_e32 v[8:9], v[12:13], v[84:85]
	s_delay_alu instid0(VALU_DEP_2) | instskip(NEXT) | instid1(VALU_DEP_2)
	v_add_f64_e32 v[2:3], v[4:5], v[2:3]
	v_add_f64_e32 v[4:5], v[8:9], v[76:77]
	s_wait_loadcnt 0x0
	s_delay_alu instid0(VALU_DEP_2) | instskip(NEXT) | instid1(VALU_DEP_2)
	v_add_f64_e64 v[2:3], v[106:107], -v[2:3]
	v_add_f64_e64 v[4:5], v[108:109], -v[4:5]
	scratch_store_b128 off, v[2:5], off offset:304
	s_wait_xcnt 0x0
	v_cmpx_lt_u32_e32 18, v1
	s_cbranch_execz .LBB27_145
; %bb.144:
	scratch_load_b128 v[2:5], off, s20
	v_mov_b32_e32 v8, 0
	s_delay_alu instid0(VALU_DEP_1)
	v_dual_mov_b32 v9, v8 :: v_dual_mov_b32 v10, v8
	v_mov_b32_e32 v11, v8
	scratch_store_b128 off, v[8:11], off offset:288
	s_wait_loadcnt 0x0
	ds_store_b128 v6, v[2:5]
.LBB27_145:
	s_wait_xcnt 0x0
	s_or_b32 exec_lo, exec_lo, s2
	s_wait_storecnt_dscnt 0x0
	s_barrier_signal -1
	s_barrier_wait -1
	s_clause 0x8
	scratch_load_b128 v[8:11], off, off offset:304
	scratch_load_b128 v[70:73], off, off offset:320
	;; [unrolled: 1-line block ×9, first 2 shown]
	v_mov_b32_e32 v2, 0
	scratch_load_b128 v[106:109], off, off offset:288
	s_mov_b32 s2, exec_lo
	ds_load_b128 v[102:105], v2 offset:752
	ds_load_b128 v[110:113], v2 offset:768
	s_wait_loadcnt_dscnt 0x901
	v_mul_f64_e32 v[4:5], v[104:105], v[10:11]
	v_mul_f64_e32 v[12:13], v[102:103], v[10:11]
	s_wait_loadcnt_dscnt 0x800
	v_mul_f64_e32 v[114:115], v[110:111], v[72:73]
	v_mul_f64_e32 v[72:73], v[112:113], v[72:73]
	s_delay_alu instid0(VALU_DEP_4) | instskip(NEXT) | instid1(VALU_DEP_4)
	v_fma_f64 v[4:5], v[102:103], v[8:9], -v[4:5]
	v_fmac_f64_e32 v[12:13], v[104:105], v[8:9]
	ds_load_b128 v[8:11], v2 offset:784
	ds_load_b128 v[102:105], v2 offset:800
	v_fmac_f64_e32 v[114:115], v[112:113], v[70:71]
	v_fma_f64 v[70:71], v[110:111], v[70:71], -v[72:73]
	s_wait_loadcnt_dscnt 0x701
	v_mul_f64_e32 v[116:117], v[8:9], v[76:77]
	v_mul_f64_e32 v[76:77], v[10:11], v[76:77]
	s_wait_loadcnt_dscnt 0x600
	v_mul_f64_e32 v[110:111], v[102:103], v[80:81]
	v_mul_f64_e32 v[80:81], v[104:105], v[80:81]
	v_add_f64_e32 v[4:5], 0, v[4:5]
	v_add_f64_e32 v[12:13], 0, v[12:13]
	v_fmac_f64_e32 v[116:117], v[10:11], v[74:75]
	v_fma_f64 v[74:75], v[8:9], v[74:75], -v[76:77]
	v_fmac_f64_e32 v[110:111], v[104:105], v[78:79]
	v_fma_f64 v[78:79], v[102:103], v[78:79], -v[80:81]
	v_add_f64_e32 v[4:5], v[4:5], v[70:71]
	v_add_f64_e32 v[12:13], v[12:13], v[114:115]
	ds_load_b128 v[8:11], v2 offset:816
	ds_load_b128 v[70:73], v2 offset:832
	s_wait_loadcnt_dscnt 0x501
	v_mul_f64_e32 v[112:113], v[8:9], v[84:85]
	v_mul_f64_e32 v[76:77], v[10:11], v[84:85]
	s_wait_loadcnt_dscnt 0x400
	v_mul_f64_e32 v[80:81], v[70:71], v[88:89]
	v_mul_f64_e32 v[84:85], v[72:73], v[88:89]
	v_add_f64_e32 v[4:5], v[4:5], v[74:75]
	v_add_f64_e32 v[12:13], v[12:13], v[116:117]
	v_fmac_f64_e32 v[112:113], v[10:11], v[82:83]
	v_fma_f64 v[82:83], v[8:9], v[82:83], -v[76:77]
	ds_load_b128 v[8:11], v2 offset:848
	ds_load_b128 v[74:77], v2 offset:864
	v_fmac_f64_e32 v[80:81], v[72:73], v[86:87]
	v_fma_f64 v[70:71], v[70:71], v[86:87], -v[84:85]
	v_add_f64_e32 v[4:5], v[4:5], v[78:79]
	v_add_f64_e32 v[12:13], v[12:13], v[110:111]
	s_wait_loadcnt_dscnt 0x301
	v_mul_f64_e32 v[78:79], v[8:9], v[92:93]
	v_mul_f64_e32 v[88:89], v[10:11], v[92:93]
	s_wait_loadcnt_dscnt 0x200
	v_mul_f64_e32 v[72:73], v[74:75], v[96:97]
	v_add_f64_e32 v[4:5], v[4:5], v[82:83]
	v_add_f64_e32 v[12:13], v[12:13], v[112:113]
	v_mul_f64_e32 v[82:83], v[76:77], v[96:97]
	v_fmac_f64_e32 v[78:79], v[10:11], v[90:91]
	v_fma_f64 v[84:85], v[8:9], v[90:91], -v[88:89]
	ds_load_b128 v[8:11], v2 offset:880
	v_fmac_f64_e32 v[72:73], v[76:77], v[94:95]
	v_add_f64_e32 v[4:5], v[4:5], v[70:71]
	v_add_f64_e32 v[12:13], v[12:13], v[80:81]
	s_wait_loadcnt_dscnt 0x100
	v_mul_f64_e32 v[70:71], v[8:9], v[100:101]
	v_mul_f64_e32 v[80:81], v[10:11], v[100:101]
	v_fma_f64 v[74:75], v[74:75], v[94:95], -v[82:83]
	v_add_f64_e32 v[4:5], v[4:5], v[84:85]
	v_add_f64_e32 v[12:13], v[12:13], v[78:79]
	v_fmac_f64_e32 v[70:71], v[10:11], v[98:99]
	v_fma_f64 v[8:9], v[8:9], v[98:99], -v[80:81]
	s_delay_alu instid0(VALU_DEP_4) | instskip(NEXT) | instid1(VALU_DEP_4)
	v_add_f64_e32 v[4:5], v[4:5], v[74:75]
	v_add_f64_e32 v[10:11], v[12:13], v[72:73]
	s_delay_alu instid0(VALU_DEP_2) | instskip(NEXT) | instid1(VALU_DEP_2)
	v_add_f64_e32 v[4:5], v[4:5], v[8:9]
	v_add_f64_e32 v[10:11], v[10:11], v[70:71]
	s_wait_loadcnt 0x0
	s_delay_alu instid0(VALU_DEP_2) | instskip(NEXT) | instid1(VALU_DEP_2)
	v_add_f64_e64 v[8:9], v[106:107], -v[4:5]
	v_add_f64_e64 v[10:11], v[108:109], -v[10:11]
	scratch_store_b128 off, v[8:11], off offset:288
	s_wait_xcnt 0x0
	v_cmpx_lt_u32_e32 17, v1
	s_cbranch_execz .LBB27_147
; %bb.146:
	scratch_load_b128 v[8:11], off, s15
	v_dual_mov_b32 v3, v2 :: v_dual_mov_b32 v4, v2
	v_mov_b32_e32 v5, v2
	scratch_store_b128 off, v[2:5], off offset:272
	s_wait_loadcnt 0x0
	ds_store_b128 v6, v[8:11]
.LBB27_147:
	s_wait_xcnt 0x0
	s_or_b32 exec_lo, exec_lo, s2
	s_wait_storecnt_dscnt 0x0
	s_barrier_signal -1
	s_barrier_wait -1
	s_clause 0x9
	scratch_load_b128 v[8:11], off, off offset:288
	scratch_load_b128 v[70:73], off, off offset:304
	;; [unrolled: 1-line block ×10, first 2 shown]
	ds_load_b128 v[106:109], v2 offset:736
	ds_load_b128 v[110:113], v2 offset:752
	scratch_load_b128 v[114:117], off, off offset:272
	s_mov_b32 s2, exec_lo
	s_wait_loadcnt_dscnt 0xa01
	v_mul_f64_e32 v[4:5], v[108:109], v[10:11]
	v_mul_f64_e32 v[12:13], v[106:107], v[10:11]
	s_wait_loadcnt_dscnt 0x900
	v_mul_f64_e32 v[118:119], v[110:111], v[72:73]
	v_mul_f64_e32 v[72:73], v[112:113], v[72:73]
	s_delay_alu instid0(VALU_DEP_4) | instskip(NEXT) | instid1(VALU_DEP_4)
	v_fma_f64 v[4:5], v[106:107], v[8:9], -v[4:5]
	v_fmac_f64_e32 v[12:13], v[108:109], v[8:9]
	ds_load_b128 v[8:11], v2 offset:768
	ds_load_b128 v[106:109], v2 offset:784
	v_fmac_f64_e32 v[118:119], v[112:113], v[70:71]
	v_fma_f64 v[70:71], v[110:111], v[70:71], -v[72:73]
	s_wait_loadcnt_dscnt 0x801
	v_mul_f64_e32 v[120:121], v[8:9], v[76:77]
	v_mul_f64_e32 v[76:77], v[10:11], v[76:77]
	s_wait_loadcnt_dscnt 0x700
	v_mul_f64_e32 v[110:111], v[106:107], v[80:81]
	v_mul_f64_e32 v[80:81], v[108:109], v[80:81]
	v_add_f64_e32 v[4:5], 0, v[4:5]
	v_add_f64_e32 v[12:13], 0, v[12:13]
	v_fmac_f64_e32 v[120:121], v[10:11], v[74:75]
	v_fma_f64 v[74:75], v[8:9], v[74:75], -v[76:77]
	v_fmac_f64_e32 v[110:111], v[108:109], v[78:79]
	v_fma_f64 v[78:79], v[106:107], v[78:79], -v[80:81]
	v_add_f64_e32 v[4:5], v[4:5], v[70:71]
	v_add_f64_e32 v[12:13], v[12:13], v[118:119]
	ds_load_b128 v[8:11], v2 offset:800
	ds_load_b128 v[70:73], v2 offset:816
	s_wait_loadcnt_dscnt 0x601
	v_mul_f64_e32 v[112:113], v[8:9], v[84:85]
	v_mul_f64_e32 v[76:77], v[10:11], v[84:85]
	s_wait_loadcnt_dscnt 0x500
	v_mul_f64_e32 v[80:81], v[70:71], v[88:89]
	v_mul_f64_e32 v[84:85], v[72:73], v[88:89]
	v_add_f64_e32 v[4:5], v[4:5], v[74:75]
	v_add_f64_e32 v[12:13], v[12:13], v[120:121]
	v_fmac_f64_e32 v[112:113], v[10:11], v[82:83]
	v_fma_f64 v[82:83], v[8:9], v[82:83], -v[76:77]
	ds_load_b128 v[8:11], v2 offset:832
	ds_load_b128 v[74:77], v2 offset:848
	v_fmac_f64_e32 v[80:81], v[72:73], v[86:87]
	v_fma_f64 v[70:71], v[70:71], v[86:87], -v[84:85]
	v_add_f64_e32 v[4:5], v[4:5], v[78:79]
	v_add_f64_e32 v[12:13], v[12:13], v[110:111]
	s_wait_loadcnt_dscnt 0x401
	v_mul_f64_e32 v[78:79], v[8:9], v[92:93]
	v_mul_f64_e32 v[88:89], v[10:11], v[92:93]
	s_wait_loadcnt_dscnt 0x300
	v_mul_f64_e32 v[72:73], v[74:75], v[96:97]
	v_add_f64_e32 v[4:5], v[4:5], v[82:83]
	v_add_f64_e32 v[12:13], v[12:13], v[112:113]
	v_mul_f64_e32 v[82:83], v[76:77], v[96:97]
	v_fmac_f64_e32 v[78:79], v[10:11], v[90:91]
	v_fma_f64 v[84:85], v[8:9], v[90:91], -v[88:89]
	v_fmac_f64_e32 v[72:73], v[76:77], v[94:95]
	v_add_f64_e32 v[70:71], v[4:5], v[70:71]
	v_add_f64_e32 v[12:13], v[12:13], v[80:81]
	ds_load_b128 v[8:11], v2 offset:864
	ds_load_b128 v[2:5], v2 offset:880
	v_fma_f64 v[74:75], v[74:75], v[94:95], -v[82:83]
	s_wait_loadcnt_dscnt 0x201
	v_mul_f64_e32 v[80:81], v[8:9], v[100:101]
	v_mul_f64_e32 v[86:87], v[10:11], v[100:101]
	s_wait_loadcnt_dscnt 0x100
	v_mul_f64_e32 v[76:77], v[2:3], v[104:105]
	v_add_f64_e32 v[70:71], v[70:71], v[84:85]
	v_add_f64_e32 v[12:13], v[12:13], v[78:79]
	v_mul_f64_e32 v[78:79], v[4:5], v[104:105]
	v_fmac_f64_e32 v[80:81], v[10:11], v[98:99]
	v_fma_f64 v[8:9], v[8:9], v[98:99], -v[86:87]
	v_fmac_f64_e32 v[76:77], v[4:5], v[102:103]
	v_add_f64_e32 v[10:11], v[70:71], v[74:75]
	v_add_f64_e32 v[12:13], v[12:13], v[72:73]
	v_fma_f64 v[2:3], v[2:3], v[102:103], -v[78:79]
	s_delay_alu instid0(VALU_DEP_3) | instskip(NEXT) | instid1(VALU_DEP_3)
	v_add_f64_e32 v[4:5], v[10:11], v[8:9]
	v_add_f64_e32 v[8:9], v[12:13], v[80:81]
	s_delay_alu instid0(VALU_DEP_2) | instskip(NEXT) | instid1(VALU_DEP_2)
	v_add_f64_e32 v[2:3], v[4:5], v[2:3]
	v_add_f64_e32 v[4:5], v[8:9], v[76:77]
	s_wait_loadcnt 0x0
	s_delay_alu instid0(VALU_DEP_2) | instskip(NEXT) | instid1(VALU_DEP_2)
	v_add_f64_e64 v[2:3], v[114:115], -v[2:3]
	v_add_f64_e64 v[4:5], v[116:117], -v[4:5]
	scratch_store_b128 off, v[2:5], off offset:272
	s_wait_xcnt 0x0
	v_cmpx_lt_u32_e32 16, v1
	s_cbranch_execz .LBB27_149
; %bb.148:
	scratch_load_b128 v[2:5], off, s13
	v_mov_b32_e32 v8, 0
	s_delay_alu instid0(VALU_DEP_1)
	v_dual_mov_b32 v9, v8 :: v_dual_mov_b32 v10, v8
	v_mov_b32_e32 v11, v8
	scratch_store_b128 off, v[8:11], off offset:256
	s_wait_loadcnt 0x0
	ds_store_b128 v6, v[2:5]
.LBB27_149:
	s_wait_xcnt 0x0
	s_or_b32 exec_lo, exec_lo, s2
	s_wait_storecnt_dscnt 0x0
	s_barrier_signal -1
	s_barrier_wait -1
	s_clause 0x9
	scratch_load_b128 v[8:11], off, off offset:272
	scratch_load_b128 v[70:73], off, off offset:288
	;; [unrolled: 1-line block ×10, first 2 shown]
	v_mov_b32_e32 v2, 0
	s_mov_b32 s2, exec_lo
	ds_load_b128 v[106:109], v2 offset:720
	s_clause 0x1
	scratch_load_b128 v[110:113], off, off offset:432
	scratch_load_b128 v[114:117], off, off offset:256
	s_wait_loadcnt_dscnt 0xb00
	v_mul_f64_e32 v[4:5], v[108:109], v[10:11]
	v_mul_f64_e32 v[12:13], v[106:107], v[10:11]
	ds_load_b128 v[118:121], v2 offset:736
	s_wait_loadcnt_dscnt 0xa00
	v_mul_f64_e32 v[122:123], v[118:119], v[72:73]
	v_mul_f64_e32 v[72:73], v[120:121], v[72:73]
	v_fma_f64 v[4:5], v[106:107], v[8:9], -v[4:5]
	v_fmac_f64_e32 v[12:13], v[108:109], v[8:9]
	ds_load_b128 v[8:11], v2 offset:752
	ds_load_b128 v[106:109], v2 offset:768
	s_wait_loadcnt_dscnt 0x901
	v_mul_f64_e32 v[124:125], v[8:9], v[76:77]
	v_mul_f64_e32 v[76:77], v[10:11], v[76:77]
	v_fmac_f64_e32 v[122:123], v[120:121], v[70:71]
	v_fma_f64 v[70:71], v[118:119], v[70:71], -v[72:73]
	s_wait_loadcnt_dscnt 0x800
	v_mul_f64_e32 v[118:119], v[106:107], v[80:81]
	v_mul_f64_e32 v[80:81], v[108:109], v[80:81]
	v_add_f64_e32 v[4:5], 0, v[4:5]
	v_add_f64_e32 v[12:13], 0, v[12:13]
	v_fmac_f64_e32 v[124:125], v[10:11], v[74:75]
	v_fma_f64 v[74:75], v[8:9], v[74:75], -v[76:77]
	v_fmac_f64_e32 v[118:119], v[108:109], v[78:79]
	v_fma_f64 v[78:79], v[106:107], v[78:79], -v[80:81]
	v_add_f64_e32 v[4:5], v[4:5], v[70:71]
	v_add_f64_e32 v[12:13], v[12:13], v[122:123]
	ds_load_b128 v[8:11], v2 offset:784
	ds_load_b128 v[70:73], v2 offset:800
	s_wait_loadcnt_dscnt 0x701
	v_mul_f64_e32 v[120:121], v[8:9], v[84:85]
	v_mul_f64_e32 v[76:77], v[10:11], v[84:85]
	s_wait_loadcnt_dscnt 0x600
	v_mul_f64_e32 v[80:81], v[70:71], v[88:89]
	v_mul_f64_e32 v[84:85], v[72:73], v[88:89]
	v_add_f64_e32 v[4:5], v[4:5], v[74:75]
	v_add_f64_e32 v[12:13], v[12:13], v[124:125]
	v_fmac_f64_e32 v[120:121], v[10:11], v[82:83]
	v_fma_f64 v[82:83], v[8:9], v[82:83], -v[76:77]
	ds_load_b128 v[8:11], v2 offset:816
	ds_load_b128 v[74:77], v2 offset:832
	v_fmac_f64_e32 v[80:81], v[72:73], v[86:87]
	v_fma_f64 v[70:71], v[70:71], v[86:87], -v[84:85]
	v_add_f64_e32 v[4:5], v[4:5], v[78:79]
	v_add_f64_e32 v[12:13], v[12:13], v[118:119]
	s_wait_loadcnt_dscnt 0x501
	v_mul_f64_e32 v[78:79], v[8:9], v[92:93]
	v_mul_f64_e32 v[88:89], v[10:11], v[92:93]
	s_wait_loadcnt_dscnt 0x400
	v_mul_f64_e32 v[84:85], v[76:77], v[96:97]
	v_add_f64_e32 v[4:5], v[4:5], v[82:83]
	v_add_f64_e32 v[12:13], v[12:13], v[120:121]
	v_mul_f64_e32 v[82:83], v[74:75], v[96:97]
	v_fmac_f64_e32 v[78:79], v[10:11], v[90:91]
	v_fma_f64 v[86:87], v[8:9], v[90:91], -v[88:89]
	v_fma_f64 v[74:75], v[74:75], v[94:95], -v[84:85]
	v_add_f64_e32 v[4:5], v[4:5], v[70:71]
	v_add_f64_e32 v[12:13], v[12:13], v[80:81]
	ds_load_b128 v[8:11], v2 offset:848
	ds_load_b128 v[70:73], v2 offset:864
	v_fmac_f64_e32 v[82:83], v[76:77], v[94:95]
	s_wait_loadcnt_dscnt 0x301
	v_mul_f64_e32 v[80:81], v[8:9], v[100:101]
	v_mul_f64_e32 v[88:89], v[10:11], v[100:101]
	s_wait_loadcnt_dscnt 0x200
	v_mul_f64_e32 v[76:77], v[70:71], v[104:105]
	v_add_f64_e32 v[4:5], v[4:5], v[86:87]
	v_add_f64_e32 v[12:13], v[12:13], v[78:79]
	v_mul_f64_e32 v[78:79], v[72:73], v[104:105]
	v_fmac_f64_e32 v[80:81], v[10:11], v[98:99]
	v_fma_f64 v[84:85], v[8:9], v[98:99], -v[88:89]
	ds_load_b128 v[8:11], v2 offset:880
	v_fmac_f64_e32 v[76:77], v[72:73], v[102:103]
	v_add_f64_e32 v[4:5], v[4:5], v[74:75]
	v_add_f64_e32 v[12:13], v[12:13], v[82:83]
	v_fma_f64 v[70:71], v[70:71], v[102:103], -v[78:79]
	s_wait_loadcnt_dscnt 0x100
	v_mul_f64_e32 v[74:75], v[8:9], v[112:113]
	v_mul_f64_e32 v[82:83], v[10:11], v[112:113]
	v_add_f64_e32 v[4:5], v[4:5], v[84:85]
	v_add_f64_e32 v[12:13], v[12:13], v[80:81]
	s_delay_alu instid0(VALU_DEP_4) | instskip(NEXT) | instid1(VALU_DEP_4)
	v_fmac_f64_e32 v[74:75], v[10:11], v[110:111]
	v_fma_f64 v[8:9], v[8:9], v[110:111], -v[82:83]
	s_delay_alu instid0(VALU_DEP_4) | instskip(NEXT) | instid1(VALU_DEP_4)
	v_add_f64_e32 v[4:5], v[4:5], v[70:71]
	v_add_f64_e32 v[10:11], v[12:13], v[76:77]
	s_delay_alu instid0(VALU_DEP_2) | instskip(NEXT) | instid1(VALU_DEP_2)
	v_add_f64_e32 v[4:5], v[4:5], v[8:9]
	v_add_f64_e32 v[10:11], v[10:11], v[74:75]
	s_wait_loadcnt 0x0
	s_delay_alu instid0(VALU_DEP_2) | instskip(NEXT) | instid1(VALU_DEP_2)
	v_add_f64_e64 v[8:9], v[114:115], -v[4:5]
	v_add_f64_e64 v[10:11], v[116:117], -v[10:11]
	scratch_store_b128 off, v[8:11], off offset:256
	s_wait_xcnt 0x0
	v_cmpx_lt_u32_e32 15, v1
	s_cbranch_execz .LBB27_151
; %bb.150:
	scratch_load_b128 v[8:11], off, s33
	v_dual_mov_b32 v3, v2 :: v_dual_mov_b32 v4, v2
	v_mov_b32_e32 v5, v2
	scratch_store_b128 off, v[2:5], off offset:240
	s_wait_loadcnt 0x0
	ds_store_b128 v6, v[8:11]
.LBB27_151:
	s_wait_xcnt 0x0
	s_or_b32 exec_lo, exec_lo, s2
	s_wait_storecnt_dscnt 0x0
	s_barrier_signal -1
	s_barrier_wait -1
	s_clause 0x9
	scratch_load_b128 v[8:11], off, off offset:256
	scratch_load_b128 v[70:73], off, off offset:272
	;; [unrolled: 1-line block ×10, first 2 shown]
	ds_load_b128 v[106:109], v2 offset:704
	ds_load_b128 v[114:117], v2 offset:720
	s_clause 0x1
	scratch_load_b128 v[110:113], off, off offset:416
	scratch_load_b128 v[118:121], off, off offset:240
	s_mov_b32 s2, exec_lo
	s_wait_loadcnt_dscnt 0xb01
	v_mul_f64_e32 v[4:5], v[108:109], v[10:11]
	v_mul_f64_e32 v[126:127], v[106:107], v[10:11]
	scratch_load_b128 v[10:13], off, off offset:432
	s_wait_loadcnt_dscnt 0xb00
	v_mul_f64_e32 v[128:129], v[114:115], v[72:73]
	v_mul_f64_e32 v[72:73], v[116:117], v[72:73]
	v_fma_f64 v[4:5], v[106:107], v[8:9], -v[4:5]
	v_fmac_f64_e32 v[126:127], v[108:109], v[8:9]
	ds_load_b128 v[106:109], v2 offset:736
	ds_load_b128 v[122:125], v2 offset:752
	v_fmac_f64_e32 v[128:129], v[116:117], v[70:71]
	v_fma_f64 v[70:71], v[114:115], v[70:71], -v[72:73]
	s_wait_loadcnt_dscnt 0xa01
	v_mul_f64_e32 v[8:9], v[106:107], v[76:77]
	v_mul_f64_e32 v[76:77], v[108:109], v[76:77]
	s_wait_loadcnt_dscnt 0x900
	v_mul_f64_e32 v[114:115], v[122:123], v[80:81]
	v_mul_f64_e32 v[80:81], v[124:125], v[80:81]
	v_add_f64_e32 v[4:5], 0, v[4:5]
	v_add_f64_e32 v[72:73], 0, v[126:127]
	v_fmac_f64_e32 v[8:9], v[108:109], v[74:75]
	v_fma_f64 v[106:107], v[106:107], v[74:75], -v[76:77]
	v_fmac_f64_e32 v[114:115], v[124:125], v[78:79]
	v_fma_f64 v[78:79], v[122:123], v[78:79], -v[80:81]
	v_add_f64_e32 v[4:5], v[4:5], v[70:71]
	v_add_f64_e32 v[108:109], v[72:73], v[128:129]
	ds_load_b128 v[70:73], v2 offset:768
	ds_load_b128 v[74:77], v2 offset:784
	s_wait_loadcnt_dscnt 0x801
	v_mul_f64_e32 v[116:117], v[70:71], v[84:85]
	v_mul_f64_e32 v[84:85], v[72:73], v[84:85]
	v_add_f64_e32 v[4:5], v[4:5], v[106:107]
	v_add_f64_e32 v[8:9], v[108:109], v[8:9]
	s_wait_loadcnt_dscnt 0x700
	v_mul_f64_e32 v[106:107], v[74:75], v[88:89]
	v_mul_f64_e32 v[88:89], v[76:77], v[88:89]
	v_fmac_f64_e32 v[116:117], v[72:73], v[82:83]
	v_fma_f64 v[82:83], v[70:71], v[82:83], -v[84:85]
	v_add_f64_e32 v[4:5], v[4:5], v[78:79]
	v_add_f64_e32 v[8:9], v[8:9], v[114:115]
	ds_load_b128 v[70:73], v2 offset:800
	ds_load_b128 v[78:81], v2 offset:816
	v_fmac_f64_e32 v[106:107], v[76:77], v[86:87]
	v_fma_f64 v[74:75], v[74:75], v[86:87], -v[88:89]
	s_wait_loadcnt_dscnt 0x601
	v_mul_f64_e32 v[84:85], v[70:71], v[92:93]
	v_mul_f64_e32 v[92:93], v[72:73], v[92:93]
	s_wait_loadcnt_dscnt 0x500
	v_mul_f64_e32 v[86:87], v[80:81], v[96:97]
	v_add_f64_e32 v[4:5], v[4:5], v[82:83]
	v_add_f64_e32 v[8:9], v[8:9], v[116:117]
	v_mul_f64_e32 v[82:83], v[78:79], v[96:97]
	v_fmac_f64_e32 v[84:85], v[72:73], v[90:91]
	v_fma_f64 v[88:89], v[70:71], v[90:91], -v[92:93]
	v_fma_f64 v[78:79], v[78:79], v[94:95], -v[86:87]
	v_add_f64_e32 v[4:5], v[4:5], v[74:75]
	v_add_f64_e32 v[8:9], v[8:9], v[106:107]
	ds_load_b128 v[70:73], v2 offset:832
	ds_load_b128 v[74:77], v2 offset:848
	v_fmac_f64_e32 v[82:83], v[80:81], v[94:95]
	s_wait_loadcnt_dscnt 0x401
	v_mul_f64_e32 v[90:91], v[70:71], v[100:101]
	v_mul_f64_e32 v[92:93], v[72:73], v[100:101]
	s_wait_loadcnt_dscnt 0x300
	v_mul_f64_e32 v[80:81], v[74:75], v[104:105]
	v_add_f64_e32 v[4:5], v[4:5], v[88:89]
	v_add_f64_e32 v[8:9], v[8:9], v[84:85]
	v_mul_f64_e32 v[84:85], v[76:77], v[104:105]
	v_fmac_f64_e32 v[90:91], v[72:73], v[98:99]
	v_fma_f64 v[86:87], v[70:71], v[98:99], -v[92:93]
	v_fmac_f64_e32 v[80:81], v[76:77], v[102:103]
	v_add_f64_e32 v[78:79], v[4:5], v[78:79]
	v_add_f64_e32 v[8:9], v[8:9], v[82:83]
	ds_load_b128 v[70:73], v2 offset:864
	ds_load_b128 v[2:5], v2 offset:880
	v_fma_f64 v[74:75], v[74:75], v[102:103], -v[84:85]
	s_wait_loadcnt_dscnt 0x201
	v_mul_f64_e32 v[82:83], v[70:71], v[112:113]
	v_mul_f64_e32 v[88:89], v[72:73], v[112:113]
	v_add_f64_e32 v[76:77], v[78:79], v[86:87]
	v_add_f64_e32 v[8:9], v[8:9], v[90:91]
	s_wait_loadcnt_dscnt 0x0
	v_mul_f64_e32 v[78:79], v[2:3], v[12:13]
	v_mul_f64_e32 v[12:13], v[4:5], v[12:13]
	v_fmac_f64_e32 v[82:83], v[72:73], v[110:111]
	v_fma_f64 v[70:71], v[70:71], v[110:111], -v[88:89]
	v_add_f64_e32 v[72:73], v[76:77], v[74:75]
	v_add_f64_e32 v[8:9], v[8:9], v[80:81]
	v_fmac_f64_e32 v[78:79], v[4:5], v[10:11]
	v_fma_f64 v[2:3], v[2:3], v[10:11], -v[12:13]
	s_delay_alu instid0(VALU_DEP_4) | instskip(NEXT) | instid1(VALU_DEP_4)
	v_add_f64_e32 v[4:5], v[72:73], v[70:71]
	v_add_f64_e32 v[8:9], v[8:9], v[82:83]
	s_delay_alu instid0(VALU_DEP_2) | instskip(NEXT) | instid1(VALU_DEP_2)
	v_add_f64_e32 v[2:3], v[4:5], v[2:3]
	v_add_f64_e32 v[4:5], v[8:9], v[78:79]
	s_delay_alu instid0(VALU_DEP_2) | instskip(NEXT) | instid1(VALU_DEP_2)
	v_add_f64_e64 v[2:3], v[118:119], -v[2:3]
	v_add_f64_e64 v[4:5], v[120:121], -v[4:5]
	scratch_store_b128 off, v[2:5], off offset:240
	s_wait_xcnt 0x0
	v_cmpx_lt_u32_e32 14, v1
	s_cbranch_execz .LBB27_153
; %bb.152:
	scratch_load_b128 v[2:5], off, s39
	v_mov_b32_e32 v8, 0
	s_delay_alu instid0(VALU_DEP_1)
	v_dual_mov_b32 v9, v8 :: v_dual_mov_b32 v10, v8
	v_mov_b32_e32 v11, v8
	scratch_store_b128 off, v[8:11], off offset:224
	s_wait_loadcnt 0x0
	ds_store_b128 v6, v[2:5]
.LBB27_153:
	s_wait_xcnt 0x0
	s_or_b32 exec_lo, exec_lo, s2
	s_wait_storecnt_dscnt 0x0
	s_barrier_signal -1
	s_barrier_wait -1
	s_clause 0x9
	scratch_load_b128 v[8:11], off, off offset:240
	scratch_load_b128 v[70:73], off, off offset:256
	scratch_load_b128 v[74:77], off, off offset:272
	scratch_load_b128 v[78:81], off, off offset:288
	scratch_load_b128 v[82:85], off, off offset:304
	scratch_load_b128 v[86:89], off, off offset:320
	scratch_load_b128 v[90:93], off, off offset:336
	scratch_load_b128 v[94:97], off, off offset:352
	scratch_load_b128 v[98:101], off, off offset:368
	scratch_load_b128 v[102:105], off, off offset:384
	v_mov_b32_e32 v2, 0
	s_mov_b32 s2, exec_lo
	ds_load_b128 v[106:109], v2 offset:688
	s_clause 0x2
	scratch_load_b128 v[110:113], off, off offset:400
	scratch_load_b128 v[114:117], off, off offset:224
	;; [unrolled: 1-line block ×3, first 2 shown]
	s_wait_loadcnt_dscnt 0xc00
	v_mul_f64_e32 v[4:5], v[108:109], v[10:11]
	v_mul_f64_e32 v[130:131], v[106:107], v[10:11]
	ds_load_b128 v[118:121], v2 offset:704
	scratch_load_b128 v[10:13], off, off offset:416
	ds_load_b128 v[126:129], v2 offset:736
	v_fma_f64 v[4:5], v[106:107], v[8:9], -v[4:5]
	v_fmac_f64_e32 v[130:131], v[108:109], v[8:9]
	ds_load_b128 v[106:109], v2 offset:720
	s_wait_loadcnt_dscnt 0xc02
	v_mul_f64_e32 v[132:133], v[118:119], v[72:73]
	v_mul_f64_e32 v[72:73], v[120:121], v[72:73]
	s_wait_loadcnt_dscnt 0xb00
	v_mul_f64_e32 v[8:9], v[106:107], v[76:77]
	v_mul_f64_e32 v[76:77], v[108:109], v[76:77]
	v_add_f64_e32 v[4:5], 0, v[4:5]
	v_fmac_f64_e32 v[132:133], v[120:121], v[70:71]
	v_fma_f64 v[70:71], v[118:119], v[70:71], -v[72:73]
	v_add_f64_e32 v[72:73], 0, v[130:131]
	s_wait_loadcnt 0xa
	v_mul_f64_e32 v[118:119], v[126:127], v[80:81]
	v_mul_f64_e32 v[80:81], v[128:129], v[80:81]
	v_fmac_f64_e32 v[8:9], v[108:109], v[74:75]
	v_fma_f64 v[106:107], v[106:107], v[74:75], -v[76:77]
	v_add_f64_e32 v[4:5], v[4:5], v[70:71]
	v_add_f64_e32 v[108:109], v[72:73], v[132:133]
	ds_load_b128 v[70:73], v2 offset:752
	ds_load_b128 v[74:77], v2 offset:768
	v_fmac_f64_e32 v[118:119], v[128:129], v[78:79]
	v_fma_f64 v[78:79], v[126:127], v[78:79], -v[80:81]
	s_wait_loadcnt_dscnt 0x901
	v_mul_f64_e32 v[120:121], v[70:71], v[84:85]
	v_mul_f64_e32 v[84:85], v[72:73], v[84:85]
	v_add_f64_e32 v[4:5], v[4:5], v[106:107]
	v_add_f64_e32 v[8:9], v[108:109], v[8:9]
	s_wait_loadcnt_dscnt 0x800
	v_mul_f64_e32 v[106:107], v[74:75], v[88:89]
	v_mul_f64_e32 v[88:89], v[76:77], v[88:89]
	v_fmac_f64_e32 v[120:121], v[72:73], v[82:83]
	v_fma_f64 v[82:83], v[70:71], v[82:83], -v[84:85]
	v_add_f64_e32 v[4:5], v[4:5], v[78:79]
	v_add_f64_e32 v[8:9], v[8:9], v[118:119]
	ds_load_b128 v[70:73], v2 offset:784
	ds_load_b128 v[78:81], v2 offset:800
	v_fmac_f64_e32 v[106:107], v[76:77], v[86:87]
	v_fma_f64 v[74:75], v[74:75], v[86:87], -v[88:89]
	s_wait_loadcnt_dscnt 0x701
	v_mul_f64_e32 v[84:85], v[70:71], v[92:93]
	v_mul_f64_e32 v[92:93], v[72:73], v[92:93]
	s_wait_loadcnt_dscnt 0x600
	v_mul_f64_e32 v[86:87], v[80:81], v[96:97]
	v_add_f64_e32 v[4:5], v[4:5], v[82:83]
	v_add_f64_e32 v[8:9], v[8:9], v[120:121]
	v_mul_f64_e32 v[82:83], v[78:79], v[96:97]
	v_fmac_f64_e32 v[84:85], v[72:73], v[90:91]
	v_fma_f64 v[88:89], v[70:71], v[90:91], -v[92:93]
	v_fma_f64 v[78:79], v[78:79], v[94:95], -v[86:87]
	v_add_f64_e32 v[4:5], v[4:5], v[74:75]
	v_add_f64_e32 v[8:9], v[8:9], v[106:107]
	ds_load_b128 v[70:73], v2 offset:816
	ds_load_b128 v[74:77], v2 offset:832
	v_fmac_f64_e32 v[82:83], v[80:81], v[94:95]
	s_wait_loadcnt_dscnt 0x501
	v_mul_f64_e32 v[90:91], v[70:71], v[100:101]
	v_mul_f64_e32 v[92:93], v[72:73], v[100:101]
	s_wait_loadcnt_dscnt 0x400
	v_mul_f64_e32 v[86:87], v[76:77], v[104:105]
	v_add_f64_e32 v[4:5], v[4:5], v[88:89]
	v_add_f64_e32 v[8:9], v[8:9], v[84:85]
	v_mul_f64_e32 v[84:85], v[74:75], v[104:105]
	v_fmac_f64_e32 v[90:91], v[72:73], v[98:99]
	v_fma_f64 v[88:89], v[70:71], v[98:99], -v[92:93]
	v_fma_f64 v[74:75], v[74:75], v[102:103], -v[86:87]
	v_add_f64_e32 v[4:5], v[4:5], v[78:79]
	v_add_f64_e32 v[8:9], v[8:9], v[82:83]
	ds_load_b128 v[70:73], v2 offset:848
	ds_load_b128 v[78:81], v2 offset:864
	v_fmac_f64_e32 v[84:85], v[76:77], v[102:103]
	s_wait_loadcnt_dscnt 0x301
	v_mul_f64_e32 v[82:83], v[70:71], v[112:113]
	v_mul_f64_e32 v[92:93], v[72:73], v[112:113]
	s_wait_loadcnt_dscnt 0x0
	v_mul_f64_e32 v[76:77], v[78:79], v[12:13]
	v_add_f64_e32 v[4:5], v[4:5], v[88:89]
	v_add_f64_e32 v[8:9], v[8:9], v[90:91]
	v_mul_f64_e32 v[12:13], v[80:81], v[12:13]
	v_fmac_f64_e32 v[82:83], v[72:73], v[110:111]
	v_fma_f64 v[86:87], v[70:71], v[110:111], -v[92:93]
	ds_load_b128 v[70:73], v2 offset:880
	v_fmac_f64_e32 v[76:77], v[80:81], v[10:11]
	v_add_f64_e32 v[4:5], v[4:5], v[74:75]
	v_add_f64_e32 v[8:9], v[8:9], v[84:85]
	v_fma_f64 v[10:11], v[78:79], v[10:11], -v[12:13]
	s_wait_dscnt 0x0
	v_mul_f64_e32 v[74:75], v[70:71], v[124:125]
	v_mul_f64_e32 v[84:85], v[72:73], v[124:125]
	v_add_f64_e32 v[4:5], v[4:5], v[86:87]
	v_add_f64_e32 v[8:9], v[8:9], v[82:83]
	s_delay_alu instid0(VALU_DEP_4) | instskip(NEXT) | instid1(VALU_DEP_4)
	v_fmac_f64_e32 v[74:75], v[72:73], v[122:123]
	v_fma_f64 v[12:13], v[70:71], v[122:123], -v[84:85]
	s_delay_alu instid0(VALU_DEP_4) | instskip(NEXT) | instid1(VALU_DEP_4)
	v_add_f64_e32 v[4:5], v[4:5], v[10:11]
	v_add_f64_e32 v[8:9], v[8:9], v[76:77]
	s_delay_alu instid0(VALU_DEP_2) | instskip(NEXT) | instid1(VALU_DEP_2)
	v_add_f64_e32 v[4:5], v[4:5], v[12:13]
	v_add_f64_e32 v[10:11], v[8:9], v[74:75]
	s_delay_alu instid0(VALU_DEP_2) | instskip(NEXT) | instid1(VALU_DEP_2)
	v_add_f64_e64 v[8:9], v[114:115], -v[4:5]
	v_add_f64_e64 v[10:11], v[116:117], -v[10:11]
	scratch_store_b128 off, v[8:11], off offset:224
	s_wait_xcnt 0x0
	v_cmpx_lt_u32_e32 13, v1
	s_cbranch_execz .LBB27_155
; %bb.154:
	scratch_load_b128 v[8:11], off, s38
	v_dual_mov_b32 v3, v2 :: v_dual_mov_b32 v4, v2
	v_mov_b32_e32 v5, v2
	scratch_store_b128 off, v[2:5], off offset:208
	s_wait_loadcnt 0x0
	ds_store_b128 v6, v[8:11]
.LBB27_155:
	s_wait_xcnt 0x0
	s_or_b32 exec_lo, exec_lo, s2
	s_wait_storecnt_dscnt 0x0
	s_barrier_signal -1
	s_barrier_wait -1
	s_clause 0x9
	scratch_load_b128 v[8:11], off, off offset:224
	scratch_load_b128 v[70:73], off, off offset:240
	;; [unrolled: 1-line block ×10, first 2 shown]
	ds_load_b128 v[106:109], v2 offset:672
	ds_load_b128 v[114:117], v2 offset:688
	s_clause 0x1
	scratch_load_b128 v[110:113], off, off offset:384
	scratch_load_b128 v[118:121], off, off offset:208
	s_mov_b32 s2, exec_lo
	s_wait_loadcnt_dscnt 0xb01
	v_mul_f64_e32 v[4:5], v[108:109], v[10:11]
	v_mul_f64_e32 v[130:131], v[106:107], v[10:11]
	scratch_load_b128 v[10:13], off, off offset:400
	s_wait_loadcnt_dscnt 0xb00
	v_mul_f64_e32 v[132:133], v[114:115], v[72:73]
	v_mul_f64_e32 v[72:73], v[116:117], v[72:73]
	v_fma_f64 v[4:5], v[106:107], v[8:9], -v[4:5]
	v_fmac_f64_e32 v[130:131], v[108:109], v[8:9]
	ds_load_b128 v[106:109], v2 offset:704
	ds_load_b128 v[122:125], v2 offset:720
	scratch_load_b128 v[126:129], off, off offset:416
	v_fmac_f64_e32 v[132:133], v[116:117], v[70:71]
	v_fma_f64 v[114:115], v[114:115], v[70:71], -v[72:73]
	scratch_load_b128 v[70:73], off, off offset:432
	s_wait_loadcnt_dscnt 0xc01
	v_mul_f64_e32 v[8:9], v[106:107], v[76:77]
	v_mul_f64_e32 v[76:77], v[108:109], v[76:77]
	v_add_f64_e32 v[4:5], 0, v[4:5]
	v_add_f64_e32 v[116:117], 0, v[130:131]
	s_wait_loadcnt_dscnt 0xb00
	v_mul_f64_e32 v[130:131], v[122:123], v[80:81]
	v_mul_f64_e32 v[80:81], v[124:125], v[80:81]
	v_fmac_f64_e32 v[8:9], v[108:109], v[74:75]
	v_fma_f64 v[134:135], v[106:107], v[74:75], -v[76:77]
	ds_load_b128 v[74:77], v2 offset:736
	ds_load_b128 v[106:109], v2 offset:752
	v_add_f64_e32 v[4:5], v[4:5], v[114:115]
	v_add_f64_e32 v[114:115], v[116:117], v[132:133]
	v_fmac_f64_e32 v[130:131], v[124:125], v[78:79]
	v_fma_f64 v[78:79], v[122:123], v[78:79], -v[80:81]
	s_wait_loadcnt_dscnt 0xa01
	v_mul_f64_e32 v[116:117], v[74:75], v[84:85]
	v_mul_f64_e32 v[84:85], v[76:77], v[84:85]
	v_add_f64_e32 v[4:5], v[4:5], v[134:135]
	v_add_f64_e32 v[8:9], v[114:115], v[8:9]
	s_wait_loadcnt_dscnt 0x900
	v_mul_f64_e32 v[114:115], v[106:107], v[88:89]
	v_mul_f64_e32 v[88:89], v[108:109], v[88:89]
	v_fmac_f64_e32 v[116:117], v[76:77], v[82:83]
	v_fma_f64 v[82:83], v[74:75], v[82:83], -v[84:85]
	v_add_f64_e32 v[4:5], v[4:5], v[78:79]
	v_add_f64_e32 v[8:9], v[8:9], v[130:131]
	ds_load_b128 v[74:77], v2 offset:768
	ds_load_b128 v[78:81], v2 offset:784
	v_fmac_f64_e32 v[114:115], v[108:109], v[86:87]
	v_fma_f64 v[86:87], v[106:107], v[86:87], -v[88:89]
	s_wait_loadcnt_dscnt 0x801
	v_mul_f64_e32 v[122:123], v[74:75], v[92:93]
	v_mul_f64_e32 v[84:85], v[76:77], v[92:93]
	s_wait_loadcnt_dscnt 0x700
	v_mul_f64_e32 v[88:89], v[78:79], v[96:97]
	v_mul_f64_e32 v[92:93], v[80:81], v[96:97]
	v_add_f64_e32 v[4:5], v[4:5], v[82:83]
	v_add_f64_e32 v[8:9], v[8:9], v[116:117]
	v_fmac_f64_e32 v[122:123], v[76:77], v[90:91]
	v_fma_f64 v[90:91], v[74:75], v[90:91], -v[84:85]
	ds_load_b128 v[74:77], v2 offset:800
	ds_load_b128 v[82:85], v2 offset:816
	v_fmac_f64_e32 v[88:89], v[80:81], v[94:95]
	v_fma_f64 v[78:79], v[78:79], v[94:95], -v[92:93]
	v_add_f64_e32 v[4:5], v[4:5], v[86:87]
	v_add_f64_e32 v[8:9], v[8:9], v[114:115]
	s_wait_loadcnt_dscnt 0x601
	v_mul_f64_e32 v[86:87], v[74:75], v[100:101]
	v_mul_f64_e32 v[96:97], v[76:77], v[100:101]
	s_wait_loadcnt_dscnt 0x500
	v_mul_f64_e32 v[92:93], v[84:85], v[104:105]
	v_add_f64_e32 v[4:5], v[4:5], v[90:91]
	v_add_f64_e32 v[8:9], v[8:9], v[122:123]
	v_mul_f64_e32 v[90:91], v[82:83], v[104:105]
	v_fmac_f64_e32 v[86:87], v[76:77], v[98:99]
	v_fma_f64 v[94:95], v[74:75], v[98:99], -v[96:97]
	v_fma_f64 v[82:83], v[82:83], v[102:103], -v[92:93]
	v_add_f64_e32 v[4:5], v[4:5], v[78:79]
	v_add_f64_e32 v[8:9], v[8:9], v[88:89]
	ds_load_b128 v[74:77], v2 offset:832
	ds_load_b128 v[78:81], v2 offset:848
	v_fmac_f64_e32 v[90:91], v[84:85], v[102:103]
	s_wait_loadcnt_dscnt 0x401
	v_mul_f64_e32 v[88:89], v[74:75], v[112:113]
	v_mul_f64_e32 v[96:97], v[76:77], v[112:113]
	v_add_f64_e32 v[4:5], v[4:5], v[94:95]
	v_add_f64_e32 v[8:9], v[8:9], v[86:87]
	s_wait_loadcnt_dscnt 0x200
	v_mul_f64_e32 v[84:85], v[78:79], v[12:13]
	v_mul_f64_e32 v[12:13], v[80:81], v[12:13]
	v_fmac_f64_e32 v[88:89], v[76:77], v[110:111]
	v_fma_f64 v[86:87], v[74:75], v[110:111], -v[96:97]
	v_add_f64_e32 v[82:83], v[4:5], v[82:83]
	v_add_f64_e32 v[8:9], v[8:9], v[90:91]
	ds_load_b128 v[74:77], v2 offset:864
	ds_load_b128 v[2:5], v2 offset:880
	v_fmac_f64_e32 v[84:85], v[80:81], v[10:11]
	v_fma_f64 v[10:11], v[78:79], v[10:11], -v[12:13]
	s_wait_loadcnt_dscnt 0x101
	v_mul_f64_e32 v[90:91], v[74:75], v[128:129]
	v_mul_f64_e32 v[92:93], v[76:77], v[128:129]
	s_wait_loadcnt_dscnt 0x0
	v_mul_f64_e32 v[78:79], v[2:3], v[72:73]
	v_mul_f64_e32 v[72:73], v[4:5], v[72:73]
	v_add_f64_e32 v[12:13], v[82:83], v[86:87]
	v_add_f64_e32 v[8:9], v[8:9], v[88:89]
	v_fmac_f64_e32 v[90:91], v[76:77], v[126:127]
	v_fma_f64 v[74:75], v[74:75], v[126:127], -v[92:93]
	v_fmac_f64_e32 v[78:79], v[4:5], v[70:71]
	v_fma_f64 v[2:3], v[2:3], v[70:71], -v[72:73]
	v_add_f64_e32 v[10:11], v[12:13], v[10:11]
	v_add_f64_e32 v[8:9], v[8:9], v[84:85]
	s_delay_alu instid0(VALU_DEP_2) | instskip(NEXT) | instid1(VALU_DEP_2)
	v_add_f64_e32 v[4:5], v[10:11], v[74:75]
	v_add_f64_e32 v[8:9], v[8:9], v[90:91]
	s_delay_alu instid0(VALU_DEP_2) | instskip(NEXT) | instid1(VALU_DEP_2)
	;; [unrolled: 3-line block ×3, first 2 shown]
	v_add_f64_e64 v[2:3], v[118:119], -v[2:3]
	v_add_f64_e64 v[4:5], v[120:121], -v[4:5]
	scratch_store_b128 off, v[2:5], off offset:208
	s_wait_xcnt 0x0
	v_cmpx_lt_u32_e32 12, v1
	s_cbranch_execz .LBB27_157
; %bb.156:
	scratch_load_b128 v[2:5], off, s37
	v_mov_b32_e32 v8, 0
	s_delay_alu instid0(VALU_DEP_1)
	v_dual_mov_b32 v9, v8 :: v_dual_mov_b32 v10, v8
	v_mov_b32_e32 v11, v8
	scratch_store_b128 off, v[8:11], off offset:192
	s_wait_loadcnt 0x0
	ds_store_b128 v6, v[2:5]
.LBB27_157:
	s_wait_xcnt 0x0
	s_or_b32 exec_lo, exec_lo, s2
	s_wait_storecnt_dscnt 0x0
	s_barrier_signal -1
	s_barrier_wait -1
	s_clause 0x9
	scratch_load_b128 v[8:11], off, off offset:208
	scratch_load_b128 v[70:73], off, off offset:224
	;; [unrolled: 1-line block ×10, first 2 shown]
	v_mov_b32_e32 v2, 0
	s_mov_b32 s2, exec_lo
	ds_load_b128 v[106:109], v2 offset:656
	s_clause 0x2
	scratch_load_b128 v[110:113], off, off offset:368
	scratch_load_b128 v[114:117], off, off offset:192
	;; [unrolled: 1-line block ×3, first 2 shown]
	s_wait_loadcnt_dscnt 0xc00
	v_mul_f64_e32 v[4:5], v[108:109], v[10:11]
	v_mul_f64_e32 v[130:131], v[106:107], v[10:11]
	ds_load_b128 v[118:121], v2 offset:672
	scratch_load_b128 v[10:13], off, off offset:384
	ds_load_b128 v[126:129], v2 offset:704
	v_fma_f64 v[4:5], v[106:107], v[8:9], -v[4:5]
	v_fmac_f64_e32 v[130:131], v[108:109], v[8:9]
	ds_load_b128 v[106:109], v2 offset:688
	s_wait_loadcnt_dscnt 0xc02
	v_mul_f64_e32 v[132:133], v[118:119], v[72:73]
	v_mul_f64_e32 v[72:73], v[120:121], v[72:73]
	s_wait_loadcnt_dscnt 0xb00
	v_mul_f64_e32 v[8:9], v[106:107], v[76:77]
	v_mul_f64_e32 v[76:77], v[108:109], v[76:77]
	v_add_f64_e32 v[4:5], 0, v[4:5]
	v_fmac_f64_e32 v[132:133], v[120:121], v[70:71]
	v_fma_f64 v[118:119], v[118:119], v[70:71], -v[72:73]
	v_add_f64_e32 v[120:121], 0, v[130:131]
	scratch_load_b128 v[70:73], off, off offset:416
	v_fmac_f64_e32 v[8:9], v[108:109], v[74:75]
	v_fma_f64 v[134:135], v[106:107], v[74:75], -v[76:77]
	ds_load_b128 v[74:77], v2 offset:720
	s_wait_loadcnt 0xb
	v_mul_f64_e32 v[130:131], v[126:127], v[80:81]
	v_mul_f64_e32 v[80:81], v[128:129], v[80:81]
	scratch_load_b128 v[106:109], off, off offset:432
	v_add_f64_e32 v[4:5], v[4:5], v[118:119]
	v_add_f64_e32 v[132:133], v[120:121], v[132:133]
	ds_load_b128 v[118:121], v2 offset:736
	s_wait_loadcnt_dscnt 0xb01
	v_mul_f64_e32 v[136:137], v[74:75], v[84:85]
	v_mul_f64_e32 v[84:85], v[76:77], v[84:85]
	v_fmac_f64_e32 v[130:131], v[128:129], v[78:79]
	v_fma_f64 v[78:79], v[126:127], v[78:79], -v[80:81]
	s_wait_loadcnt_dscnt 0xa00
	v_mul_f64_e32 v[126:127], v[118:119], v[88:89]
	v_mul_f64_e32 v[88:89], v[120:121], v[88:89]
	v_add_f64_e32 v[4:5], v[4:5], v[134:135]
	v_add_f64_e32 v[8:9], v[132:133], v[8:9]
	v_fmac_f64_e32 v[136:137], v[76:77], v[82:83]
	v_fma_f64 v[82:83], v[74:75], v[82:83], -v[84:85]
	v_fmac_f64_e32 v[126:127], v[120:121], v[86:87]
	v_fma_f64 v[86:87], v[118:119], v[86:87], -v[88:89]
	v_add_f64_e32 v[4:5], v[4:5], v[78:79]
	v_add_f64_e32 v[8:9], v[8:9], v[130:131]
	ds_load_b128 v[74:77], v2 offset:752
	ds_load_b128 v[78:81], v2 offset:768
	s_wait_loadcnt_dscnt 0x901
	v_mul_f64_e32 v[128:129], v[74:75], v[92:93]
	v_mul_f64_e32 v[84:85], v[76:77], v[92:93]
	s_wait_loadcnt_dscnt 0x800
	v_mul_f64_e32 v[88:89], v[78:79], v[96:97]
	v_mul_f64_e32 v[92:93], v[80:81], v[96:97]
	v_add_f64_e32 v[4:5], v[4:5], v[82:83]
	v_add_f64_e32 v[8:9], v[8:9], v[136:137]
	v_fmac_f64_e32 v[128:129], v[76:77], v[90:91]
	v_fma_f64 v[90:91], v[74:75], v[90:91], -v[84:85]
	ds_load_b128 v[74:77], v2 offset:784
	ds_load_b128 v[82:85], v2 offset:800
	v_fmac_f64_e32 v[88:89], v[80:81], v[94:95]
	v_fma_f64 v[78:79], v[78:79], v[94:95], -v[92:93]
	v_add_f64_e32 v[4:5], v[4:5], v[86:87]
	v_add_f64_e32 v[8:9], v[8:9], v[126:127]
	s_wait_loadcnt_dscnt 0x701
	v_mul_f64_e32 v[86:87], v[74:75], v[100:101]
	v_mul_f64_e32 v[96:97], v[76:77], v[100:101]
	s_wait_loadcnt_dscnt 0x600
	v_mul_f64_e32 v[92:93], v[84:85], v[104:105]
	v_add_f64_e32 v[4:5], v[4:5], v[90:91]
	v_add_f64_e32 v[8:9], v[8:9], v[128:129]
	v_mul_f64_e32 v[90:91], v[82:83], v[104:105]
	v_fmac_f64_e32 v[86:87], v[76:77], v[98:99]
	v_fma_f64 v[94:95], v[74:75], v[98:99], -v[96:97]
	v_fma_f64 v[82:83], v[82:83], v[102:103], -v[92:93]
	v_add_f64_e32 v[4:5], v[4:5], v[78:79]
	v_add_f64_e32 v[8:9], v[8:9], v[88:89]
	ds_load_b128 v[74:77], v2 offset:816
	ds_load_b128 v[78:81], v2 offset:832
	v_fmac_f64_e32 v[90:91], v[84:85], v[102:103]
	s_wait_loadcnt_dscnt 0x501
	v_mul_f64_e32 v[88:89], v[74:75], v[112:113]
	v_mul_f64_e32 v[96:97], v[76:77], v[112:113]
	v_add_f64_e32 v[4:5], v[4:5], v[94:95]
	v_add_f64_e32 v[8:9], v[8:9], v[86:87]
	s_wait_loadcnt_dscnt 0x200
	v_mul_f64_e32 v[86:87], v[78:79], v[12:13]
	v_mul_f64_e32 v[12:13], v[80:81], v[12:13]
	v_fmac_f64_e32 v[88:89], v[76:77], v[110:111]
	v_fma_f64 v[92:93], v[74:75], v[110:111], -v[96:97]
	v_add_f64_e32 v[4:5], v[4:5], v[82:83]
	v_add_f64_e32 v[8:9], v[8:9], v[90:91]
	ds_load_b128 v[74:77], v2 offset:848
	ds_load_b128 v[82:85], v2 offset:864
	v_fmac_f64_e32 v[86:87], v[80:81], v[10:11]
	v_fma_f64 v[10:11], v[78:79], v[10:11], -v[12:13]
	s_wait_dscnt 0x1
	v_mul_f64_e32 v[90:91], v[74:75], v[124:125]
	v_mul_f64_e32 v[94:95], v[76:77], v[124:125]
	v_add_f64_e32 v[4:5], v[4:5], v[92:93]
	v_add_f64_e32 v[8:9], v[8:9], v[88:89]
	s_wait_loadcnt_dscnt 0x100
	v_mul_f64_e32 v[12:13], v[82:83], v[72:73]
	v_mul_f64_e32 v[72:73], v[84:85], v[72:73]
	v_fmac_f64_e32 v[90:91], v[76:77], v[122:123]
	v_fma_f64 v[74:75], v[74:75], v[122:123], -v[94:95]
	v_add_f64_e32 v[4:5], v[4:5], v[10:11]
	v_add_f64_e32 v[76:77], v[8:9], v[86:87]
	ds_load_b128 v[8:11], v2 offset:880
	v_fmac_f64_e32 v[12:13], v[84:85], v[70:71]
	v_fma_f64 v[70:71], v[82:83], v[70:71], -v[72:73]
	s_wait_loadcnt_dscnt 0x0
	v_mul_f64_e32 v[78:79], v[8:9], v[108:109]
	v_mul_f64_e32 v[80:81], v[10:11], v[108:109]
	v_add_f64_e32 v[4:5], v[4:5], v[74:75]
	v_add_f64_e32 v[72:73], v[76:77], v[90:91]
	s_delay_alu instid0(VALU_DEP_4) | instskip(NEXT) | instid1(VALU_DEP_4)
	v_fmac_f64_e32 v[78:79], v[10:11], v[106:107]
	v_fma_f64 v[8:9], v[8:9], v[106:107], -v[80:81]
	s_delay_alu instid0(VALU_DEP_4) | instskip(NEXT) | instid1(VALU_DEP_4)
	v_add_f64_e32 v[4:5], v[4:5], v[70:71]
	v_add_f64_e32 v[10:11], v[72:73], v[12:13]
	s_delay_alu instid0(VALU_DEP_2) | instskip(NEXT) | instid1(VALU_DEP_2)
	v_add_f64_e32 v[4:5], v[4:5], v[8:9]
	v_add_f64_e32 v[10:11], v[10:11], v[78:79]
	s_delay_alu instid0(VALU_DEP_2) | instskip(NEXT) | instid1(VALU_DEP_2)
	v_add_f64_e64 v[8:9], v[114:115], -v[4:5]
	v_add_f64_e64 v[10:11], v[116:117], -v[10:11]
	scratch_store_b128 off, v[8:11], off offset:192
	s_wait_xcnt 0x0
	v_cmpx_lt_u32_e32 11, v1
	s_cbranch_execz .LBB27_159
; %bb.158:
	scratch_load_b128 v[8:11], off, s35
	v_dual_mov_b32 v3, v2 :: v_dual_mov_b32 v4, v2
	v_mov_b32_e32 v5, v2
	scratch_store_b128 off, v[2:5], off offset:176
	s_wait_loadcnt 0x0
	ds_store_b128 v6, v[8:11]
.LBB27_159:
	s_wait_xcnt 0x0
	s_or_b32 exec_lo, exec_lo, s2
	s_wait_storecnt_dscnt 0x0
	s_barrier_signal -1
	s_barrier_wait -1
	s_clause 0x9
	scratch_load_b128 v[8:11], off, off offset:192
	scratch_load_b128 v[70:73], off, off offset:208
	;; [unrolled: 1-line block ×10, first 2 shown]
	ds_load_b128 v[106:109], v2 offset:640
	ds_load_b128 v[114:117], v2 offset:656
	s_clause 0x1
	scratch_load_b128 v[110:113], off, off offset:352
	scratch_load_b128 v[118:121], off, off offset:176
	s_mov_b32 s2, exec_lo
	s_wait_loadcnt_dscnt 0xb01
	v_mul_f64_e32 v[4:5], v[108:109], v[10:11]
	v_mul_f64_e32 v[130:131], v[106:107], v[10:11]
	scratch_load_b128 v[10:13], off, off offset:368
	s_wait_loadcnt_dscnt 0xb00
	v_mul_f64_e32 v[132:133], v[114:115], v[72:73]
	v_mul_f64_e32 v[72:73], v[116:117], v[72:73]
	v_fma_f64 v[4:5], v[106:107], v[8:9], -v[4:5]
	v_fmac_f64_e32 v[130:131], v[108:109], v[8:9]
	ds_load_b128 v[106:109], v2 offset:672
	ds_load_b128 v[122:125], v2 offset:688
	scratch_load_b128 v[126:129], off, off offset:384
	v_fmac_f64_e32 v[132:133], v[116:117], v[70:71]
	v_fma_f64 v[114:115], v[114:115], v[70:71], -v[72:73]
	scratch_load_b128 v[70:73], off, off offset:400
	s_wait_loadcnt_dscnt 0xc01
	v_mul_f64_e32 v[8:9], v[106:107], v[76:77]
	v_mul_f64_e32 v[76:77], v[108:109], v[76:77]
	v_add_f64_e32 v[4:5], 0, v[4:5]
	v_add_f64_e32 v[116:117], 0, v[130:131]
	s_wait_loadcnt_dscnt 0xb00
	v_mul_f64_e32 v[130:131], v[122:123], v[80:81]
	v_mul_f64_e32 v[80:81], v[124:125], v[80:81]
	v_fmac_f64_e32 v[8:9], v[108:109], v[74:75]
	v_fma_f64 v[134:135], v[106:107], v[74:75], -v[76:77]
	ds_load_b128 v[74:77], v2 offset:704
	ds_load_b128 v[106:109], v2 offset:720
	v_add_f64_e32 v[4:5], v[4:5], v[114:115]
	v_add_f64_e32 v[132:133], v[116:117], v[132:133]
	scratch_load_b128 v[114:117], off, off offset:416
	v_fmac_f64_e32 v[130:131], v[124:125], v[78:79]
	v_fma_f64 v[122:123], v[122:123], v[78:79], -v[80:81]
	scratch_load_b128 v[78:81], off, off offset:432
	s_wait_loadcnt_dscnt 0xc01
	v_mul_f64_e32 v[136:137], v[74:75], v[84:85]
	v_mul_f64_e32 v[84:85], v[76:77], v[84:85]
	s_wait_loadcnt_dscnt 0xb00
	v_mul_f64_e32 v[124:125], v[106:107], v[88:89]
	v_mul_f64_e32 v[88:89], v[108:109], v[88:89]
	v_add_f64_e32 v[4:5], v[4:5], v[134:135]
	v_add_f64_e32 v[8:9], v[132:133], v[8:9]
	v_fmac_f64_e32 v[136:137], v[76:77], v[82:83]
	v_fma_f64 v[132:133], v[74:75], v[82:83], -v[84:85]
	ds_load_b128 v[74:77], v2 offset:736
	ds_load_b128 v[82:85], v2 offset:752
	v_fmac_f64_e32 v[124:125], v[108:109], v[86:87]
	v_fma_f64 v[86:87], v[106:107], v[86:87], -v[88:89]
	s_wait_loadcnt_dscnt 0x900
	v_mul_f64_e32 v[106:107], v[82:83], v[96:97]
	v_add_f64_e32 v[4:5], v[4:5], v[122:123]
	v_add_f64_e32 v[8:9], v[8:9], v[130:131]
	v_mul_f64_e32 v[122:123], v[74:75], v[92:93]
	v_mul_f64_e32 v[92:93], v[76:77], v[92:93]
	;; [unrolled: 1-line block ×3, first 2 shown]
	v_fmac_f64_e32 v[106:107], v[84:85], v[94:95]
	v_add_f64_e32 v[4:5], v[4:5], v[132:133]
	v_add_f64_e32 v[8:9], v[8:9], v[136:137]
	v_fmac_f64_e32 v[122:123], v[76:77], v[90:91]
	v_fma_f64 v[90:91], v[74:75], v[90:91], -v[92:93]
	v_fma_f64 v[82:83], v[82:83], v[94:95], -v[96:97]
	v_add_f64_e32 v[4:5], v[4:5], v[86:87]
	v_add_f64_e32 v[8:9], v[8:9], v[124:125]
	ds_load_b128 v[74:77], v2 offset:768
	ds_load_b128 v[86:89], v2 offset:784
	s_wait_loadcnt_dscnt 0x801
	v_mul_f64_e32 v[92:93], v[74:75], v[100:101]
	v_mul_f64_e32 v[100:101], v[76:77], v[100:101]
	s_wait_loadcnt_dscnt 0x700
	v_mul_f64_e32 v[94:95], v[88:89], v[104:105]
	v_add_f64_e32 v[4:5], v[4:5], v[90:91]
	v_add_f64_e32 v[8:9], v[8:9], v[122:123]
	v_mul_f64_e32 v[90:91], v[86:87], v[104:105]
	v_fmac_f64_e32 v[92:93], v[76:77], v[98:99]
	v_fma_f64 v[96:97], v[74:75], v[98:99], -v[100:101]
	v_fma_f64 v[86:87], v[86:87], v[102:103], -v[94:95]
	v_add_f64_e32 v[4:5], v[4:5], v[82:83]
	v_add_f64_e32 v[8:9], v[8:9], v[106:107]
	ds_load_b128 v[74:77], v2 offset:800
	ds_load_b128 v[82:85], v2 offset:816
	v_fmac_f64_e32 v[90:91], v[88:89], v[102:103]
	s_wait_loadcnt_dscnt 0x601
	v_mul_f64_e32 v[98:99], v[74:75], v[112:113]
	v_mul_f64_e32 v[100:101], v[76:77], v[112:113]
	v_add_f64_e32 v[4:5], v[4:5], v[96:97]
	v_add_f64_e32 v[8:9], v[8:9], v[92:93]
	s_wait_loadcnt_dscnt 0x400
	v_mul_f64_e32 v[92:93], v[82:83], v[12:13]
	v_mul_f64_e32 v[12:13], v[84:85], v[12:13]
	v_fmac_f64_e32 v[98:99], v[76:77], v[110:111]
	v_fma_f64 v[94:95], v[74:75], v[110:111], -v[100:101]
	v_add_f64_e32 v[4:5], v[4:5], v[86:87]
	v_add_f64_e32 v[8:9], v[8:9], v[90:91]
	ds_load_b128 v[74:77], v2 offset:832
	ds_load_b128 v[86:89], v2 offset:848
	v_fmac_f64_e32 v[92:93], v[84:85], v[10:11]
	v_fma_f64 v[10:11], v[82:83], v[10:11], -v[12:13]
	s_wait_loadcnt_dscnt 0x301
	v_mul_f64_e32 v[90:91], v[74:75], v[128:129]
	v_mul_f64_e32 v[96:97], v[76:77], v[128:129]
	s_wait_loadcnt_dscnt 0x200
	v_mul_f64_e32 v[12:13], v[86:87], v[72:73]
	v_mul_f64_e32 v[72:73], v[88:89], v[72:73]
	v_add_f64_e32 v[4:5], v[4:5], v[94:95]
	v_add_f64_e32 v[8:9], v[8:9], v[98:99]
	v_fmac_f64_e32 v[90:91], v[76:77], v[126:127]
	v_fma_f64 v[74:75], v[74:75], v[126:127], -v[96:97]
	v_fmac_f64_e32 v[12:13], v[88:89], v[70:71]
	v_fma_f64 v[70:71], v[86:87], v[70:71], -v[72:73]
	v_add_f64_e32 v[76:77], v[4:5], v[10:11]
	v_add_f64_e32 v[82:83], v[8:9], v[92:93]
	ds_load_b128 v[8:11], v2 offset:864
	ds_load_b128 v[2:5], v2 offset:880
	s_wait_loadcnt_dscnt 0x101
	v_mul_f64_e32 v[84:85], v[8:9], v[116:117]
	v_mul_f64_e32 v[92:93], v[10:11], v[116:117]
	v_add_f64_e32 v[72:73], v[76:77], v[74:75]
	v_add_f64_e32 v[74:75], v[82:83], v[90:91]
	s_wait_loadcnt_dscnt 0x0
	v_mul_f64_e32 v[76:77], v[2:3], v[80:81]
	v_mul_f64_e32 v[80:81], v[4:5], v[80:81]
	v_fmac_f64_e32 v[84:85], v[10:11], v[114:115]
	v_fma_f64 v[8:9], v[8:9], v[114:115], -v[92:93]
	v_add_f64_e32 v[10:11], v[72:73], v[70:71]
	v_add_f64_e32 v[12:13], v[74:75], v[12:13]
	v_fmac_f64_e32 v[76:77], v[4:5], v[78:79]
	v_fma_f64 v[2:3], v[2:3], v[78:79], -v[80:81]
	s_delay_alu instid0(VALU_DEP_4) | instskip(NEXT) | instid1(VALU_DEP_4)
	v_add_f64_e32 v[4:5], v[10:11], v[8:9]
	v_add_f64_e32 v[8:9], v[12:13], v[84:85]
	s_delay_alu instid0(VALU_DEP_2) | instskip(NEXT) | instid1(VALU_DEP_2)
	v_add_f64_e32 v[2:3], v[4:5], v[2:3]
	v_add_f64_e32 v[4:5], v[8:9], v[76:77]
	s_delay_alu instid0(VALU_DEP_2) | instskip(NEXT) | instid1(VALU_DEP_2)
	v_add_f64_e64 v[2:3], v[118:119], -v[2:3]
	v_add_f64_e64 v[4:5], v[120:121], -v[4:5]
	scratch_store_b128 off, v[2:5], off offset:176
	s_wait_xcnt 0x0
	v_cmpx_lt_u32_e32 10, v1
	s_cbranch_execz .LBB27_161
; %bb.160:
	scratch_load_b128 v[2:5], off, s30
	v_mov_b32_e32 v8, 0
	s_delay_alu instid0(VALU_DEP_1)
	v_dual_mov_b32 v9, v8 :: v_dual_mov_b32 v10, v8
	v_mov_b32_e32 v11, v8
	scratch_store_b128 off, v[8:11], off offset:160
	s_wait_loadcnt 0x0
	ds_store_b128 v6, v[2:5]
.LBB27_161:
	s_wait_xcnt 0x0
	s_or_b32 exec_lo, exec_lo, s2
	s_wait_storecnt_dscnt 0x0
	s_barrier_signal -1
	s_barrier_wait -1
	s_clause 0x9
	scratch_load_b128 v[8:11], off, off offset:176
	scratch_load_b128 v[70:73], off, off offset:192
	scratch_load_b128 v[74:77], off, off offset:208
	scratch_load_b128 v[78:81], off, off offset:224
	scratch_load_b128 v[82:85], off, off offset:240
	scratch_load_b128 v[86:89], off, off offset:256
	scratch_load_b128 v[90:93], off, off offset:272
	scratch_load_b128 v[94:97], off, off offset:288
	scratch_load_b128 v[98:101], off, off offset:304
	scratch_load_b128 v[102:105], off, off offset:320
	v_mov_b32_e32 v2, 0
	s_mov_b32 s2, exec_lo
	ds_load_b128 v[106:109], v2 offset:624
	s_clause 0x2
	scratch_load_b128 v[110:113], off, off offset:336
	scratch_load_b128 v[114:117], off, off offset:160
	;; [unrolled: 1-line block ×3, first 2 shown]
	s_wait_loadcnt_dscnt 0xc00
	v_mul_f64_e32 v[4:5], v[108:109], v[10:11]
	v_mul_f64_e32 v[130:131], v[106:107], v[10:11]
	ds_load_b128 v[118:121], v2 offset:640
	scratch_load_b128 v[10:13], off, off offset:352
	ds_load_b128 v[126:129], v2 offset:672
	v_fma_f64 v[4:5], v[106:107], v[8:9], -v[4:5]
	v_fmac_f64_e32 v[130:131], v[108:109], v[8:9]
	ds_load_b128 v[106:109], v2 offset:656
	s_wait_loadcnt_dscnt 0xc02
	v_mul_f64_e32 v[132:133], v[118:119], v[72:73]
	v_mul_f64_e32 v[72:73], v[120:121], v[72:73]
	s_wait_loadcnt_dscnt 0xb00
	v_mul_f64_e32 v[8:9], v[106:107], v[76:77]
	v_mul_f64_e32 v[76:77], v[108:109], v[76:77]
	v_add_f64_e32 v[4:5], 0, v[4:5]
	v_fmac_f64_e32 v[132:133], v[120:121], v[70:71]
	v_fma_f64 v[118:119], v[118:119], v[70:71], -v[72:73]
	v_add_f64_e32 v[120:121], 0, v[130:131]
	scratch_load_b128 v[70:73], off, off offset:384
	v_fmac_f64_e32 v[8:9], v[108:109], v[74:75]
	v_fma_f64 v[134:135], v[106:107], v[74:75], -v[76:77]
	ds_load_b128 v[74:77], v2 offset:688
	s_wait_loadcnt 0xb
	v_mul_f64_e32 v[130:131], v[126:127], v[80:81]
	v_mul_f64_e32 v[80:81], v[128:129], v[80:81]
	scratch_load_b128 v[106:109], off, off offset:400
	v_add_f64_e32 v[4:5], v[4:5], v[118:119]
	v_add_f64_e32 v[132:133], v[120:121], v[132:133]
	ds_load_b128 v[118:121], v2 offset:704
	s_wait_loadcnt_dscnt 0xb01
	v_mul_f64_e32 v[136:137], v[74:75], v[84:85]
	v_mul_f64_e32 v[84:85], v[76:77], v[84:85]
	v_fmac_f64_e32 v[130:131], v[128:129], v[78:79]
	v_fma_f64 v[126:127], v[126:127], v[78:79], -v[80:81]
	scratch_load_b128 v[78:81], off, off offset:416
	v_add_f64_e32 v[4:5], v[4:5], v[134:135]
	v_add_f64_e32 v[8:9], v[132:133], v[8:9]
	v_fmac_f64_e32 v[136:137], v[76:77], v[82:83]
	v_fma_f64 v[134:135], v[74:75], v[82:83], -v[84:85]
	ds_load_b128 v[74:77], v2 offset:720
	s_wait_loadcnt_dscnt 0xb01
	v_mul_f64_e32 v[132:133], v[118:119], v[88:89]
	v_mul_f64_e32 v[88:89], v[120:121], v[88:89]
	scratch_load_b128 v[82:85], off, off offset:432
	v_add_f64_e32 v[4:5], v[4:5], v[126:127]
	v_add_f64_e32 v[8:9], v[8:9], v[130:131]
	s_wait_loadcnt_dscnt 0xb00
	v_mul_f64_e32 v[130:131], v[74:75], v[92:93]
	v_mul_f64_e32 v[92:93], v[76:77], v[92:93]
	ds_load_b128 v[126:129], v2 offset:736
	v_fmac_f64_e32 v[132:133], v[120:121], v[86:87]
	v_fma_f64 v[86:87], v[118:119], v[86:87], -v[88:89]
	s_wait_loadcnt_dscnt 0xa00
	v_mul_f64_e32 v[118:119], v[126:127], v[96:97]
	v_mul_f64_e32 v[96:97], v[128:129], v[96:97]
	v_add_f64_e32 v[4:5], v[4:5], v[134:135]
	v_add_f64_e32 v[8:9], v[8:9], v[136:137]
	v_fmac_f64_e32 v[130:131], v[76:77], v[90:91]
	v_fma_f64 v[90:91], v[74:75], v[90:91], -v[92:93]
	v_fmac_f64_e32 v[118:119], v[128:129], v[94:95]
	v_fma_f64 v[94:95], v[126:127], v[94:95], -v[96:97]
	v_add_f64_e32 v[4:5], v[4:5], v[86:87]
	v_add_f64_e32 v[8:9], v[8:9], v[132:133]
	ds_load_b128 v[74:77], v2 offset:752
	ds_load_b128 v[86:89], v2 offset:768
	s_wait_loadcnt_dscnt 0x901
	v_mul_f64_e32 v[120:121], v[74:75], v[100:101]
	v_mul_f64_e32 v[92:93], v[76:77], v[100:101]
	s_wait_loadcnt_dscnt 0x800
	v_mul_f64_e32 v[96:97], v[86:87], v[104:105]
	v_mul_f64_e32 v[100:101], v[88:89], v[104:105]
	v_add_f64_e32 v[4:5], v[4:5], v[90:91]
	v_add_f64_e32 v[8:9], v[8:9], v[130:131]
	v_fmac_f64_e32 v[120:121], v[76:77], v[98:99]
	v_fma_f64 v[98:99], v[74:75], v[98:99], -v[92:93]
	ds_load_b128 v[74:77], v2 offset:784
	ds_load_b128 v[90:93], v2 offset:800
	v_fmac_f64_e32 v[96:97], v[88:89], v[102:103]
	v_fma_f64 v[86:87], v[86:87], v[102:103], -v[100:101]
	v_add_f64_e32 v[4:5], v[4:5], v[94:95]
	v_add_f64_e32 v[8:9], v[8:9], v[118:119]
	s_wait_loadcnt_dscnt 0x701
	v_mul_f64_e32 v[94:95], v[74:75], v[112:113]
	v_mul_f64_e32 v[104:105], v[76:77], v[112:113]
	s_delay_alu instid0(VALU_DEP_4) | instskip(NEXT) | instid1(VALU_DEP_4)
	v_add_f64_e32 v[4:5], v[4:5], v[98:99]
	v_add_f64_e32 v[8:9], v[8:9], v[120:121]
	s_wait_loadcnt_dscnt 0x400
	v_mul_f64_e32 v[98:99], v[90:91], v[12:13]
	v_mul_f64_e32 v[12:13], v[92:93], v[12:13]
	v_fmac_f64_e32 v[94:95], v[76:77], v[110:111]
	v_fma_f64 v[100:101], v[74:75], v[110:111], -v[104:105]
	v_add_f64_e32 v[4:5], v[4:5], v[86:87]
	v_add_f64_e32 v[8:9], v[8:9], v[96:97]
	ds_load_b128 v[74:77], v2 offset:816
	ds_load_b128 v[86:89], v2 offset:832
	v_fmac_f64_e32 v[98:99], v[92:93], v[10:11]
	v_fma_f64 v[10:11], v[90:91], v[10:11], -v[12:13]
	s_wait_dscnt 0x1
	v_mul_f64_e32 v[96:97], v[74:75], v[124:125]
	v_mul_f64_e32 v[102:103], v[76:77], v[124:125]
	v_add_f64_e32 v[4:5], v[4:5], v[100:101]
	v_add_f64_e32 v[8:9], v[8:9], v[94:95]
	s_wait_loadcnt_dscnt 0x300
	v_mul_f64_e32 v[12:13], v[86:87], v[72:73]
	v_mul_f64_e32 v[90:91], v[88:89], v[72:73]
	v_fmac_f64_e32 v[96:97], v[76:77], v[122:123]
	v_fma_f64 v[76:77], v[74:75], v[122:123], -v[102:103]
	v_add_f64_e32 v[4:5], v[4:5], v[10:11]
	v_add_f64_e32 v[92:93], v[8:9], v[98:99]
	ds_load_b128 v[8:11], v2 offset:848
	ds_load_b128 v[72:75], v2 offset:864
	v_fmac_f64_e32 v[12:13], v[88:89], v[70:71]
	v_fma_f64 v[70:71], v[86:87], v[70:71], -v[90:91]
	s_wait_loadcnt_dscnt 0x201
	v_mul_f64_e32 v[94:95], v[8:9], v[108:109]
	v_mul_f64_e32 v[98:99], v[10:11], v[108:109]
	s_wait_loadcnt_dscnt 0x100
	v_mul_f64_e32 v[86:87], v[72:73], v[80:81]
	v_mul_f64_e32 v[80:81], v[74:75], v[80:81]
	v_add_f64_e32 v[4:5], v[4:5], v[76:77]
	v_add_f64_e32 v[76:77], v[92:93], v[96:97]
	v_fmac_f64_e32 v[94:95], v[10:11], v[106:107]
	v_fma_f64 v[88:89], v[8:9], v[106:107], -v[98:99]
	ds_load_b128 v[8:11], v2 offset:880
	v_fmac_f64_e32 v[86:87], v[74:75], v[78:79]
	v_fma_f64 v[72:73], v[72:73], v[78:79], -v[80:81]
	v_add_f64_e32 v[4:5], v[4:5], v[70:71]
	v_add_f64_e32 v[12:13], v[76:77], v[12:13]
	s_wait_loadcnt_dscnt 0x0
	v_mul_f64_e32 v[70:71], v[8:9], v[84:85]
	v_mul_f64_e32 v[76:77], v[10:11], v[84:85]
	s_delay_alu instid0(VALU_DEP_4) | instskip(NEXT) | instid1(VALU_DEP_4)
	v_add_f64_e32 v[4:5], v[4:5], v[88:89]
	v_add_f64_e32 v[12:13], v[12:13], v[94:95]
	s_delay_alu instid0(VALU_DEP_4) | instskip(NEXT) | instid1(VALU_DEP_4)
	v_fmac_f64_e32 v[70:71], v[10:11], v[82:83]
	v_fma_f64 v[8:9], v[8:9], v[82:83], -v[76:77]
	s_delay_alu instid0(VALU_DEP_4) | instskip(NEXT) | instid1(VALU_DEP_4)
	v_add_f64_e32 v[4:5], v[4:5], v[72:73]
	v_add_f64_e32 v[10:11], v[12:13], v[86:87]
	s_delay_alu instid0(VALU_DEP_2) | instskip(NEXT) | instid1(VALU_DEP_2)
	v_add_f64_e32 v[4:5], v[4:5], v[8:9]
	v_add_f64_e32 v[10:11], v[10:11], v[70:71]
	s_delay_alu instid0(VALU_DEP_2) | instskip(NEXT) | instid1(VALU_DEP_2)
	v_add_f64_e64 v[8:9], v[114:115], -v[4:5]
	v_add_f64_e64 v[10:11], v[116:117], -v[10:11]
	scratch_store_b128 off, v[8:11], off offset:160
	s_wait_xcnt 0x0
	v_cmpx_lt_u32_e32 9, v1
	s_cbranch_execz .LBB27_163
; %bb.162:
	scratch_load_b128 v[8:11], off, s28
	v_dual_mov_b32 v3, v2 :: v_dual_mov_b32 v4, v2
	v_mov_b32_e32 v5, v2
	scratch_store_b128 off, v[2:5], off offset:144
	s_wait_loadcnt 0x0
	ds_store_b128 v6, v[8:11]
.LBB27_163:
	s_wait_xcnt 0x0
	s_or_b32 exec_lo, exec_lo, s2
	s_wait_storecnt_dscnt 0x0
	s_barrier_signal -1
	s_barrier_wait -1
	s_clause 0x9
	scratch_load_b128 v[8:11], off, off offset:160
	scratch_load_b128 v[70:73], off, off offset:176
	;; [unrolled: 1-line block ×10, first 2 shown]
	ds_load_b128 v[106:109], v2 offset:608
	ds_load_b128 v[114:117], v2 offset:624
	s_clause 0x1
	scratch_load_b128 v[110:113], off, off offset:320
	scratch_load_b128 v[118:121], off, off offset:144
	s_mov_b32 s2, exec_lo
	s_wait_loadcnt_dscnt 0xb01
	v_mul_f64_e32 v[4:5], v[108:109], v[10:11]
	v_mul_f64_e32 v[130:131], v[106:107], v[10:11]
	scratch_load_b128 v[10:13], off, off offset:336
	s_wait_loadcnt_dscnt 0xb00
	v_mul_f64_e32 v[132:133], v[114:115], v[72:73]
	v_mul_f64_e32 v[72:73], v[116:117], v[72:73]
	v_fma_f64 v[4:5], v[106:107], v[8:9], -v[4:5]
	v_fmac_f64_e32 v[130:131], v[108:109], v[8:9]
	ds_load_b128 v[106:109], v2 offset:640
	ds_load_b128 v[122:125], v2 offset:656
	scratch_load_b128 v[126:129], off, off offset:352
	v_fmac_f64_e32 v[132:133], v[116:117], v[70:71]
	v_fma_f64 v[114:115], v[114:115], v[70:71], -v[72:73]
	scratch_load_b128 v[70:73], off, off offset:368
	s_wait_loadcnt_dscnt 0xc01
	v_mul_f64_e32 v[8:9], v[106:107], v[76:77]
	v_mul_f64_e32 v[76:77], v[108:109], v[76:77]
	v_add_f64_e32 v[4:5], 0, v[4:5]
	v_add_f64_e32 v[116:117], 0, v[130:131]
	s_wait_loadcnt_dscnt 0xb00
	v_mul_f64_e32 v[130:131], v[122:123], v[80:81]
	v_mul_f64_e32 v[80:81], v[124:125], v[80:81]
	v_fmac_f64_e32 v[8:9], v[108:109], v[74:75]
	v_fma_f64 v[134:135], v[106:107], v[74:75], -v[76:77]
	ds_load_b128 v[74:77], v2 offset:672
	ds_load_b128 v[106:109], v2 offset:688
	v_add_f64_e32 v[4:5], v[4:5], v[114:115]
	v_add_f64_e32 v[132:133], v[116:117], v[132:133]
	scratch_load_b128 v[114:117], off, off offset:384
	v_fmac_f64_e32 v[130:131], v[124:125], v[78:79]
	v_fma_f64 v[122:123], v[122:123], v[78:79], -v[80:81]
	scratch_load_b128 v[78:81], off, off offset:400
	s_wait_loadcnt_dscnt 0xc01
	v_mul_f64_e32 v[136:137], v[74:75], v[84:85]
	v_mul_f64_e32 v[84:85], v[76:77], v[84:85]
	v_add_f64_e32 v[4:5], v[4:5], v[134:135]
	v_add_f64_e32 v[8:9], v[132:133], v[8:9]
	s_wait_loadcnt_dscnt 0xb00
	v_mul_f64_e32 v[132:133], v[106:107], v[88:89]
	v_mul_f64_e32 v[88:89], v[108:109], v[88:89]
	v_fmac_f64_e32 v[136:137], v[76:77], v[82:83]
	v_fma_f64 v[134:135], v[74:75], v[82:83], -v[84:85]
	ds_load_b128 v[74:77], v2 offset:704
	ds_load_b128 v[82:85], v2 offset:720
	v_add_f64_e32 v[4:5], v[4:5], v[122:123]
	v_add_f64_e32 v[8:9], v[8:9], v[130:131]
	scratch_load_b128 v[122:125], off, off offset:416
	s_wait_loadcnt_dscnt 0xb01
	v_mul_f64_e32 v[130:131], v[74:75], v[92:93]
	v_mul_f64_e32 v[92:93], v[76:77], v[92:93]
	v_fmac_f64_e32 v[132:133], v[108:109], v[86:87]
	v_fma_f64 v[106:107], v[106:107], v[86:87], -v[88:89]
	scratch_load_b128 v[86:89], off, off offset:432
	s_wait_loadcnt_dscnt 0xb00
	v_mul_f64_e32 v[108:109], v[82:83], v[96:97]
	v_mul_f64_e32 v[96:97], v[84:85], v[96:97]
	v_add_f64_e32 v[4:5], v[4:5], v[134:135]
	v_add_f64_e32 v[8:9], v[8:9], v[136:137]
	v_fmac_f64_e32 v[130:131], v[76:77], v[90:91]
	v_fma_f64 v[134:135], v[74:75], v[90:91], -v[92:93]
	ds_load_b128 v[74:77], v2 offset:736
	ds_load_b128 v[90:93], v2 offset:752
	v_fmac_f64_e32 v[108:109], v[84:85], v[94:95]
	v_fma_f64 v[82:83], v[82:83], v[94:95], -v[96:97]
	s_wait_loadcnt_dscnt 0x900
	v_mul_f64_e32 v[94:95], v[90:91], v[104:105]
	v_mul_f64_e32 v[96:97], v[92:93], v[104:105]
	v_add_f64_e32 v[4:5], v[4:5], v[106:107]
	v_add_f64_e32 v[8:9], v[8:9], v[132:133]
	v_mul_f64_e32 v[106:107], v[74:75], v[100:101]
	v_mul_f64_e32 v[100:101], v[76:77], v[100:101]
	v_fmac_f64_e32 v[94:95], v[92:93], v[102:103]
	v_fma_f64 v[90:91], v[90:91], v[102:103], -v[96:97]
	v_add_f64_e32 v[4:5], v[4:5], v[134:135]
	v_add_f64_e32 v[8:9], v[8:9], v[130:131]
	v_fmac_f64_e32 v[106:107], v[76:77], v[98:99]
	v_fma_f64 v[98:99], v[74:75], v[98:99], -v[100:101]
	s_delay_alu instid0(VALU_DEP_4) | instskip(NEXT) | instid1(VALU_DEP_4)
	v_add_f64_e32 v[4:5], v[4:5], v[82:83]
	v_add_f64_e32 v[8:9], v[8:9], v[108:109]
	ds_load_b128 v[74:77], v2 offset:768
	ds_load_b128 v[82:85], v2 offset:784
	s_wait_loadcnt_dscnt 0x801
	v_mul_f64_e32 v[100:101], v[74:75], v[112:113]
	v_mul_f64_e32 v[104:105], v[76:77], v[112:113]
	v_add_f64_e32 v[4:5], v[4:5], v[98:99]
	v_add_f64_e32 v[8:9], v[8:9], v[106:107]
	s_wait_loadcnt_dscnt 0x600
	v_mul_f64_e32 v[96:97], v[82:83], v[12:13]
	v_mul_f64_e32 v[12:13], v[84:85], v[12:13]
	v_fmac_f64_e32 v[100:101], v[76:77], v[110:111]
	v_fma_f64 v[98:99], v[74:75], v[110:111], -v[104:105]
	v_add_f64_e32 v[4:5], v[4:5], v[90:91]
	v_add_f64_e32 v[8:9], v[8:9], v[94:95]
	ds_load_b128 v[74:77], v2 offset:800
	ds_load_b128 v[90:93], v2 offset:816
	v_fmac_f64_e32 v[96:97], v[84:85], v[10:11]
	v_fma_f64 v[10:11], v[82:83], v[10:11], -v[12:13]
	s_wait_loadcnt_dscnt 0x501
	v_mul_f64_e32 v[94:95], v[74:75], v[128:129]
	v_mul_f64_e32 v[102:103], v[76:77], v[128:129]
	s_wait_loadcnt_dscnt 0x400
	v_mul_f64_e32 v[12:13], v[90:91], v[72:73]
	v_mul_f64_e32 v[82:83], v[92:93], v[72:73]
	v_add_f64_e32 v[4:5], v[4:5], v[98:99]
	v_add_f64_e32 v[8:9], v[8:9], v[100:101]
	v_fmac_f64_e32 v[94:95], v[76:77], v[126:127]
	v_fma_f64 v[76:77], v[74:75], v[126:127], -v[102:103]
	v_fmac_f64_e32 v[12:13], v[92:93], v[70:71]
	v_fma_f64 v[70:71], v[90:91], v[70:71], -v[82:83]
	v_add_f64_e32 v[4:5], v[4:5], v[10:11]
	v_add_f64_e32 v[84:85], v[8:9], v[96:97]
	ds_load_b128 v[8:11], v2 offset:832
	ds_load_b128 v[72:75], v2 offset:848
	s_wait_loadcnt_dscnt 0x301
	v_mul_f64_e32 v[96:97], v[8:9], v[116:117]
	v_mul_f64_e32 v[98:99], v[10:11], v[116:117]
	s_wait_loadcnt_dscnt 0x200
	v_mul_f64_e32 v[82:83], v[72:73], v[80:81]
	v_mul_f64_e32 v[80:81], v[74:75], v[80:81]
	v_add_f64_e32 v[4:5], v[4:5], v[76:77]
	v_add_f64_e32 v[76:77], v[84:85], v[94:95]
	v_fmac_f64_e32 v[96:97], v[10:11], v[114:115]
	v_fma_f64 v[84:85], v[8:9], v[114:115], -v[98:99]
	v_fmac_f64_e32 v[82:83], v[74:75], v[78:79]
	v_fma_f64 v[72:73], v[72:73], v[78:79], -v[80:81]
	v_add_f64_e32 v[70:71], v[4:5], v[70:71]
	v_add_f64_e32 v[12:13], v[76:77], v[12:13]
	ds_load_b128 v[8:11], v2 offset:864
	ds_load_b128 v[2:5], v2 offset:880
	s_wait_loadcnt_dscnt 0x101
	v_mul_f64_e32 v[76:77], v[8:9], v[124:125]
	v_mul_f64_e32 v[90:91], v[10:11], v[124:125]
	s_wait_loadcnt_dscnt 0x0
	v_mul_f64_e32 v[74:75], v[2:3], v[88:89]
	v_mul_f64_e32 v[78:79], v[4:5], v[88:89]
	v_add_f64_e32 v[70:71], v[70:71], v[84:85]
	v_add_f64_e32 v[12:13], v[12:13], v[96:97]
	v_fmac_f64_e32 v[76:77], v[10:11], v[122:123]
	v_fma_f64 v[8:9], v[8:9], v[122:123], -v[90:91]
	v_fmac_f64_e32 v[74:75], v[4:5], v[86:87]
	v_fma_f64 v[2:3], v[2:3], v[86:87], -v[78:79]
	v_add_f64_e32 v[10:11], v[70:71], v[72:73]
	v_add_f64_e32 v[12:13], v[12:13], v[82:83]
	s_delay_alu instid0(VALU_DEP_2) | instskip(NEXT) | instid1(VALU_DEP_2)
	v_add_f64_e32 v[4:5], v[10:11], v[8:9]
	v_add_f64_e32 v[8:9], v[12:13], v[76:77]
	s_delay_alu instid0(VALU_DEP_2) | instskip(NEXT) | instid1(VALU_DEP_2)
	v_add_f64_e32 v[2:3], v[4:5], v[2:3]
	v_add_f64_e32 v[4:5], v[8:9], v[74:75]
	s_delay_alu instid0(VALU_DEP_2) | instskip(NEXT) | instid1(VALU_DEP_2)
	v_add_f64_e64 v[2:3], v[118:119], -v[2:3]
	v_add_f64_e64 v[4:5], v[120:121], -v[4:5]
	scratch_store_b128 off, v[2:5], off offset:144
	s_wait_xcnt 0x0
	v_cmpx_lt_u32_e32 8, v1
	s_cbranch_execz .LBB27_165
; %bb.164:
	scratch_load_b128 v[2:5], off, s27
	v_mov_b32_e32 v8, 0
	s_delay_alu instid0(VALU_DEP_1)
	v_dual_mov_b32 v9, v8 :: v_dual_mov_b32 v10, v8
	v_mov_b32_e32 v11, v8
	scratch_store_b128 off, v[8:11], off offset:128
	s_wait_loadcnt 0x0
	ds_store_b128 v6, v[2:5]
.LBB27_165:
	s_wait_xcnt 0x0
	s_or_b32 exec_lo, exec_lo, s2
	s_wait_storecnt_dscnt 0x0
	s_barrier_signal -1
	s_barrier_wait -1
	s_clause 0x9
	scratch_load_b128 v[8:11], off, off offset:144
	scratch_load_b128 v[70:73], off, off offset:160
	;; [unrolled: 1-line block ×10, first 2 shown]
	v_mov_b32_e32 v2, 0
	s_mov_b32 s2, exec_lo
	ds_load_b128 v[106:109], v2 offset:592
	s_clause 0x2
	scratch_load_b128 v[110:113], off, off offset:304
	scratch_load_b128 v[114:117], off, off offset:128
	;; [unrolled: 1-line block ×3, first 2 shown]
	s_wait_loadcnt_dscnt 0xc00
	v_mul_f64_e32 v[4:5], v[108:109], v[10:11]
	v_mul_f64_e32 v[130:131], v[106:107], v[10:11]
	ds_load_b128 v[118:121], v2 offset:608
	scratch_load_b128 v[10:13], off, off offset:320
	ds_load_b128 v[126:129], v2 offset:640
	v_fma_f64 v[4:5], v[106:107], v[8:9], -v[4:5]
	v_fmac_f64_e32 v[130:131], v[108:109], v[8:9]
	ds_load_b128 v[106:109], v2 offset:624
	s_wait_loadcnt_dscnt 0xc02
	v_mul_f64_e32 v[132:133], v[118:119], v[72:73]
	v_mul_f64_e32 v[72:73], v[120:121], v[72:73]
	s_wait_loadcnt_dscnt 0xb00
	v_mul_f64_e32 v[8:9], v[106:107], v[76:77]
	v_mul_f64_e32 v[76:77], v[108:109], v[76:77]
	v_add_f64_e32 v[4:5], 0, v[4:5]
	v_fmac_f64_e32 v[132:133], v[120:121], v[70:71]
	v_fma_f64 v[118:119], v[118:119], v[70:71], -v[72:73]
	v_add_f64_e32 v[120:121], 0, v[130:131]
	scratch_load_b128 v[70:73], off, off offset:352
	v_fmac_f64_e32 v[8:9], v[108:109], v[74:75]
	v_fma_f64 v[134:135], v[106:107], v[74:75], -v[76:77]
	ds_load_b128 v[74:77], v2 offset:656
	s_wait_loadcnt 0xb
	v_mul_f64_e32 v[130:131], v[126:127], v[80:81]
	v_mul_f64_e32 v[80:81], v[128:129], v[80:81]
	scratch_load_b128 v[106:109], off, off offset:368
	v_add_f64_e32 v[4:5], v[4:5], v[118:119]
	v_add_f64_e32 v[132:133], v[120:121], v[132:133]
	ds_load_b128 v[118:121], v2 offset:672
	s_wait_loadcnt_dscnt 0xb01
	v_mul_f64_e32 v[136:137], v[74:75], v[84:85]
	v_mul_f64_e32 v[84:85], v[76:77], v[84:85]
	v_fmac_f64_e32 v[130:131], v[128:129], v[78:79]
	v_fma_f64 v[126:127], v[126:127], v[78:79], -v[80:81]
	scratch_load_b128 v[78:81], off, off offset:384
	v_add_f64_e32 v[4:5], v[4:5], v[134:135]
	v_add_f64_e32 v[8:9], v[132:133], v[8:9]
	v_fmac_f64_e32 v[136:137], v[76:77], v[82:83]
	v_fma_f64 v[134:135], v[74:75], v[82:83], -v[84:85]
	ds_load_b128 v[74:77], v2 offset:688
	s_wait_loadcnt_dscnt 0xb01
	v_mul_f64_e32 v[132:133], v[118:119], v[88:89]
	v_mul_f64_e32 v[88:89], v[120:121], v[88:89]
	scratch_load_b128 v[82:85], off, off offset:400
	v_add_f64_e32 v[4:5], v[4:5], v[126:127]
	v_add_f64_e32 v[8:9], v[8:9], v[130:131]
	s_wait_loadcnt_dscnt 0xb00
	v_mul_f64_e32 v[130:131], v[74:75], v[92:93]
	v_mul_f64_e32 v[92:93], v[76:77], v[92:93]
	ds_load_b128 v[126:129], v2 offset:704
	v_fmac_f64_e32 v[132:133], v[120:121], v[86:87]
	v_fma_f64 v[118:119], v[118:119], v[86:87], -v[88:89]
	scratch_load_b128 v[86:89], off, off offset:416
	v_add_f64_e32 v[4:5], v[4:5], v[134:135]
	v_add_f64_e32 v[8:9], v[8:9], v[136:137]
	v_fmac_f64_e32 v[130:131], v[76:77], v[90:91]
	v_fma_f64 v[136:137], v[74:75], v[90:91], -v[92:93]
	ds_load_b128 v[74:77], v2 offset:720
	s_wait_loadcnt_dscnt 0xb01
	v_mul_f64_e32 v[134:135], v[126:127], v[96:97]
	v_mul_f64_e32 v[96:97], v[128:129], v[96:97]
	scratch_load_b128 v[90:93], off, off offset:432
	v_add_f64_e32 v[4:5], v[4:5], v[118:119]
	v_add_f64_e32 v[8:9], v[8:9], v[132:133]
	s_wait_loadcnt_dscnt 0xb00
	v_mul_f64_e32 v[132:133], v[74:75], v[100:101]
	v_mul_f64_e32 v[100:101], v[76:77], v[100:101]
	ds_load_b128 v[118:121], v2 offset:736
	v_fmac_f64_e32 v[134:135], v[128:129], v[94:95]
	v_fma_f64 v[94:95], v[126:127], v[94:95], -v[96:97]
	s_wait_loadcnt_dscnt 0xa00
	v_mul_f64_e32 v[126:127], v[118:119], v[104:105]
	v_mul_f64_e32 v[104:105], v[120:121], v[104:105]
	v_add_f64_e32 v[4:5], v[4:5], v[136:137]
	v_add_f64_e32 v[8:9], v[8:9], v[130:131]
	v_fmac_f64_e32 v[132:133], v[76:77], v[98:99]
	v_fma_f64 v[98:99], v[74:75], v[98:99], -v[100:101]
	v_fmac_f64_e32 v[126:127], v[120:121], v[102:103]
	v_fma_f64 v[102:103], v[118:119], v[102:103], -v[104:105]
	v_add_f64_e32 v[4:5], v[4:5], v[94:95]
	v_add_f64_e32 v[8:9], v[8:9], v[134:135]
	ds_load_b128 v[74:77], v2 offset:752
	ds_load_b128 v[94:97], v2 offset:768
	s_wait_loadcnt_dscnt 0x901
	v_mul_f64_e32 v[128:129], v[74:75], v[112:113]
	v_mul_f64_e32 v[100:101], v[76:77], v[112:113]
	s_wait_loadcnt_dscnt 0x600
	v_mul_f64_e32 v[104:105], v[94:95], v[12:13]
	v_add_f64_e32 v[4:5], v[4:5], v[98:99]
	v_add_f64_e32 v[8:9], v[8:9], v[132:133]
	v_mul_f64_e32 v[12:13], v[96:97], v[12:13]
	v_fmac_f64_e32 v[128:129], v[76:77], v[110:111]
	v_fma_f64 v[110:111], v[74:75], v[110:111], -v[100:101]
	ds_load_b128 v[74:77], v2 offset:784
	ds_load_b128 v[98:101], v2 offset:800
	v_fmac_f64_e32 v[104:105], v[96:97], v[10:11]
	v_add_f64_e32 v[4:5], v[4:5], v[102:103]
	v_add_f64_e32 v[8:9], v[8:9], v[126:127]
	v_fma_f64 v[10:11], v[94:95], v[10:11], -v[12:13]
	s_wait_dscnt 0x1
	v_mul_f64_e32 v[102:103], v[74:75], v[124:125]
	v_mul_f64_e32 v[112:113], v[76:77], v[124:125]
	v_add_f64_e32 v[4:5], v[4:5], v[110:111]
	v_add_f64_e32 v[8:9], v[8:9], v[128:129]
	s_wait_loadcnt_dscnt 0x500
	v_mul_f64_e32 v[12:13], v[98:99], v[72:73]
	v_mul_f64_e32 v[94:95], v[100:101], v[72:73]
	v_fmac_f64_e32 v[102:103], v[76:77], v[122:123]
	v_fma_f64 v[76:77], v[74:75], v[122:123], -v[112:113]
	v_add_f64_e32 v[4:5], v[4:5], v[10:11]
	v_add_f64_e32 v[96:97], v[8:9], v[104:105]
	ds_load_b128 v[8:11], v2 offset:816
	ds_load_b128 v[72:75], v2 offset:832
	v_fmac_f64_e32 v[12:13], v[100:101], v[70:71]
	v_fma_f64 v[70:71], v[98:99], v[70:71], -v[94:95]
	s_wait_loadcnt_dscnt 0x401
	v_mul_f64_e32 v[104:105], v[8:9], v[108:109]
	v_mul_f64_e32 v[108:109], v[10:11], v[108:109]
	s_wait_loadcnt_dscnt 0x300
	v_mul_f64_e32 v[98:99], v[72:73], v[80:81]
	v_mul_f64_e32 v[80:81], v[74:75], v[80:81]
	v_add_f64_e32 v[4:5], v[4:5], v[76:77]
	v_add_f64_e32 v[76:77], v[96:97], v[102:103]
	v_fmac_f64_e32 v[104:105], v[10:11], v[106:107]
	v_fma_f64 v[100:101], v[8:9], v[106:107], -v[108:109]
	ds_load_b128 v[8:11], v2 offset:848
	ds_load_b128 v[94:97], v2 offset:864
	v_fmac_f64_e32 v[98:99], v[74:75], v[78:79]
	v_fma_f64 v[72:73], v[72:73], v[78:79], -v[80:81]
	v_add_f64_e32 v[4:5], v[4:5], v[70:71]
	v_add_f64_e32 v[12:13], v[76:77], v[12:13]
	s_wait_loadcnt_dscnt 0x201
	v_mul_f64_e32 v[70:71], v[8:9], v[84:85]
	v_mul_f64_e32 v[76:77], v[10:11], v[84:85]
	s_wait_loadcnt_dscnt 0x100
	v_mul_f64_e32 v[74:75], v[94:95], v[88:89]
	v_mul_f64_e32 v[78:79], v[96:97], v[88:89]
	v_add_f64_e32 v[4:5], v[4:5], v[100:101]
	v_add_f64_e32 v[12:13], v[12:13], v[104:105]
	v_fmac_f64_e32 v[70:71], v[10:11], v[82:83]
	v_fma_f64 v[76:77], v[8:9], v[82:83], -v[76:77]
	ds_load_b128 v[8:11], v2 offset:880
	v_fmac_f64_e32 v[74:75], v[96:97], v[86:87]
	v_fma_f64 v[78:79], v[94:95], v[86:87], -v[78:79]
	s_wait_loadcnt_dscnt 0x0
	v_mul_f64_e32 v[80:81], v[10:11], v[92:93]
	v_add_f64_e32 v[4:5], v[4:5], v[72:73]
	v_add_f64_e32 v[12:13], v[12:13], v[98:99]
	v_mul_f64_e32 v[72:73], v[8:9], v[92:93]
	s_delay_alu instid0(VALU_DEP_4) | instskip(NEXT) | instid1(VALU_DEP_4)
	v_fma_f64 v[8:9], v[8:9], v[90:91], -v[80:81]
	v_add_f64_e32 v[4:5], v[4:5], v[76:77]
	s_delay_alu instid0(VALU_DEP_4) | instskip(NEXT) | instid1(VALU_DEP_4)
	v_add_f64_e32 v[12:13], v[12:13], v[70:71]
	v_fmac_f64_e32 v[72:73], v[10:11], v[90:91]
	s_delay_alu instid0(VALU_DEP_3) | instskip(NEXT) | instid1(VALU_DEP_3)
	v_add_f64_e32 v[4:5], v[4:5], v[78:79]
	v_add_f64_e32 v[10:11], v[12:13], v[74:75]
	s_delay_alu instid0(VALU_DEP_2) | instskip(NEXT) | instid1(VALU_DEP_2)
	v_add_f64_e32 v[4:5], v[4:5], v[8:9]
	v_add_f64_e32 v[10:11], v[10:11], v[72:73]
	s_delay_alu instid0(VALU_DEP_2) | instskip(NEXT) | instid1(VALU_DEP_2)
	v_add_f64_e64 v[8:9], v[114:115], -v[4:5]
	v_add_f64_e64 v[10:11], v[116:117], -v[10:11]
	scratch_store_b128 off, v[8:11], off offset:128
	s_wait_xcnt 0x0
	v_cmpx_lt_u32_e32 7, v1
	s_cbranch_execz .LBB27_167
; %bb.166:
	scratch_load_b128 v[8:11], off, s36
	v_dual_mov_b32 v3, v2 :: v_dual_mov_b32 v4, v2
	v_mov_b32_e32 v5, v2
	scratch_store_b128 off, v[2:5], off offset:112
	s_wait_loadcnt 0x0
	ds_store_b128 v6, v[8:11]
.LBB27_167:
	s_wait_xcnt 0x0
	s_or_b32 exec_lo, exec_lo, s2
	s_wait_storecnt_dscnt 0x0
	s_barrier_signal -1
	s_barrier_wait -1
	s_clause 0x9
	scratch_load_b128 v[8:11], off, off offset:128
	scratch_load_b128 v[70:73], off, off offset:144
	;; [unrolled: 1-line block ×10, first 2 shown]
	ds_load_b128 v[106:109], v2 offset:576
	ds_load_b128 v[114:117], v2 offset:592
	s_clause 0x1
	scratch_load_b128 v[110:113], off, off offset:288
	scratch_load_b128 v[118:121], off, off offset:112
	s_mov_b32 s2, exec_lo
	s_wait_loadcnt_dscnt 0xb01
	v_mul_f64_e32 v[4:5], v[108:109], v[10:11]
	v_mul_f64_e32 v[130:131], v[106:107], v[10:11]
	scratch_load_b128 v[10:13], off, off offset:304
	s_wait_loadcnt_dscnt 0xb00
	v_mul_f64_e32 v[132:133], v[114:115], v[72:73]
	v_mul_f64_e32 v[72:73], v[116:117], v[72:73]
	v_fma_f64 v[4:5], v[106:107], v[8:9], -v[4:5]
	v_fmac_f64_e32 v[130:131], v[108:109], v[8:9]
	ds_load_b128 v[106:109], v2 offset:608
	ds_load_b128 v[122:125], v2 offset:624
	scratch_load_b128 v[126:129], off, off offset:320
	v_fmac_f64_e32 v[132:133], v[116:117], v[70:71]
	v_fma_f64 v[114:115], v[114:115], v[70:71], -v[72:73]
	scratch_load_b128 v[70:73], off, off offset:336
	s_wait_loadcnt_dscnt 0xc01
	v_mul_f64_e32 v[8:9], v[106:107], v[76:77]
	v_mul_f64_e32 v[76:77], v[108:109], v[76:77]
	v_add_f64_e32 v[4:5], 0, v[4:5]
	v_add_f64_e32 v[116:117], 0, v[130:131]
	s_wait_loadcnt_dscnt 0xb00
	v_mul_f64_e32 v[130:131], v[122:123], v[80:81]
	v_mul_f64_e32 v[80:81], v[124:125], v[80:81]
	v_fmac_f64_e32 v[8:9], v[108:109], v[74:75]
	v_fma_f64 v[134:135], v[106:107], v[74:75], -v[76:77]
	ds_load_b128 v[74:77], v2 offset:640
	ds_load_b128 v[106:109], v2 offset:656
	v_add_f64_e32 v[4:5], v[4:5], v[114:115]
	v_add_f64_e32 v[132:133], v[116:117], v[132:133]
	scratch_load_b128 v[114:117], off, off offset:352
	v_fmac_f64_e32 v[130:131], v[124:125], v[78:79]
	v_fma_f64 v[122:123], v[122:123], v[78:79], -v[80:81]
	scratch_load_b128 v[78:81], off, off offset:368
	s_wait_loadcnt_dscnt 0xc01
	v_mul_f64_e32 v[136:137], v[74:75], v[84:85]
	v_mul_f64_e32 v[84:85], v[76:77], v[84:85]
	v_add_f64_e32 v[4:5], v[4:5], v[134:135]
	v_add_f64_e32 v[8:9], v[132:133], v[8:9]
	s_wait_loadcnt_dscnt 0xb00
	v_mul_f64_e32 v[132:133], v[106:107], v[88:89]
	v_mul_f64_e32 v[88:89], v[108:109], v[88:89]
	v_fmac_f64_e32 v[136:137], v[76:77], v[82:83]
	v_fma_f64 v[134:135], v[74:75], v[82:83], -v[84:85]
	ds_load_b128 v[74:77], v2 offset:672
	ds_load_b128 v[82:85], v2 offset:688
	v_add_f64_e32 v[4:5], v[4:5], v[122:123]
	v_add_f64_e32 v[8:9], v[8:9], v[130:131]
	scratch_load_b128 v[122:125], off, off offset:384
	s_wait_loadcnt_dscnt 0xb01
	v_mul_f64_e32 v[130:131], v[74:75], v[92:93]
	v_mul_f64_e32 v[92:93], v[76:77], v[92:93]
	v_fmac_f64_e32 v[132:133], v[108:109], v[86:87]
	v_fma_f64 v[106:107], v[106:107], v[86:87], -v[88:89]
	scratch_load_b128 v[86:89], off, off offset:400
	v_add_f64_e32 v[4:5], v[4:5], v[134:135]
	v_add_f64_e32 v[8:9], v[8:9], v[136:137]
	s_wait_loadcnt_dscnt 0xb00
	v_mul_f64_e32 v[134:135], v[82:83], v[96:97]
	v_mul_f64_e32 v[96:97], v[84:85], v[96:97]
	v_fmac_f64_e32 v[130:131], v[76:77], v[90:91]
	v_fma_f64 v[136:137], v[74:75], v[90:91], -v[92:93]
	ds_load_b128 v[74:77], v2 offset:704
	ds_load_b128 v[90:93], v2 offset:720
	v_add_f64_e32 v[4:5], v[4:5], v[106:107]
	v_add_f64_e32 v[8:9], v[8:9], v[132:133]
	scratch_load_b128 v[106:109], off, off offset:416
	s_wait_loadcnt_dscnt 0xb01
	v_mul_f64_e32 v[132:133], v[74:75], v[100:101]
	v_mul_f64_e32 v[100:101], v[76:77], v[100:101]
	v_fmac_f64_e32 v[134:135], v[84:85], v[94:95]
	v_fma_f64 v[94:95], v[82:83], v[94:95], -v[96:97]
	scratch_load_b128 v[82:85], off, off offset:432
	v_add_f64_e32 v[4:5], v[4:5], v[136:137]
	v_add_f64_e32 v[8:9], v[8:9], v[130:131]
	s_wait_loadcnt_dscnt 0xb00
	v_mul_f64_e32 v[130:131], v[90:91], v[104:105]
	v_mul_f64_e32 v[104:105], v[92:93], v[104:105]
	v_fmac_f64_e32 v[132:133], v[76:77], v[98:99]
	v_fma_f64 v[98:99], v[74:75], v[98:99], -v[100:101]
	v_add_f64_e32 v[4:5], v[4:5], v[94:95]
	v_add_f64_e32 v[8:9], v[8:9], v[134:135]
	ds_load_b128 v[74:77], v2 offset:736
	ds_load_b128 v[94:97], v2 offset:752
	v_fmac_f64_e32 v[130:131], v[92:93], v[102:103]
	v_fma_f64 v[90:91], v[90:91], v[102:103], -v[104:105]
	s_wait_loadcnt_dscnt 0xa01
	v_mul_f64_e32 v[100:101], v[74:75], v[112:113]
	v_mul_f64_e32 v[112:113], v[76:77], v[112:113]
	v_add_f64_e32 v[4:5], v[4:5], v[98:99]
	v_add_f64_e32 v[8:9], v[8:9], v[132:133]
	s_wait_loadcnt_dscnt 0x800
	v_mul_f64_e32 v[98:99], v[94:95], v[12:13]
	v_mul_f64_e32 v[12:13], v[96:97], v[12:13]
	v_fmac_f64_e32 v[100:101], v[76:77], v[110:111]
	v_fma_f64 v[102:103], v[74:75], v[110:111], -v[112:113]
	v_add_f64_e32 v[4:5], v[4:5], v[90:91]
	v_add_f64_e32 v[8:9], v[8:9], v[130:131]
	ds_load_b128 v[74:77], v2 offset:768
	ds_load_b128 v[90:93], v2 offset:784
	v_fmac_f64_e32 v[98:99], v[96:97], v[10:11]
	v_fma_f64 v[10:11], v[94:95], v[10:11], -v[12:13]
	s_wait_loadcnt_dscnt 0x701
	v_mul_f64_e32 v[104:105], v[74:75], v[128:129]
	v_mul_f64_e32 v[110:111], v[76:77], v[128:129]
	s_wait_loadcnt_dscnt 0x600
	v_mul_f64_e32 v[12:13], v[90:91], v[72:73]
	v_mul_f64_e32 v[94:95], v[92:93], v[72:73]
	v_add_f64_e32 v[4:5], v[4:5], v[102:103]
	v_add_f64_e32 v[8:9], v[8:9], v[100:101]
	v_fmac_f64_e32 v[104:105], v[76:77], v[126:127]
	v_fma_f64 v[76:77], v[74:75], v[126:127], -v[110:111]
	v_fmac_f64_e32 v[12:13], v[92:93], v[70:71]
	v_fma_f64 v[70:71], v[90:91], v[70:71], -v[94:95]
	v_add_f64_e32 v[4:5], v[4:5], v[10:11]
	v_add_f64_e32 v[96:97], v[8:9], v[98:99]
	ds_load_b128 v[8:11], v2 offset:800
	ds_load_b128 v[72:75], v2 offset:816
	s_wait_loadcnt_dscnt 0x501
	v_mul_f64_e32 v[98:99], v[8:9], v[116:117]
	v_mul_f64_e32 v[100:101], v[10:11], v[116:117]
	s_wait_loadcnt_dscnt 0x400
	v_mul_f64_e32 v[94:95], v[72:73], v[80:81]
	v_mul_f64_e32 v[80:81], v[74:75], v[80:81]
	v_add_f64_e32 v[4:5], v[4:5], v[76:77]
	v_add_f64_e32 v[76:77], v[96:97], v[104:105]
	v_fmac_f64_e32 v[98:99], v[10:11], v[114:115]
	v_fma_f64 v[96:97], v[8:9], v[114:115], -v[100:101]
	ds_load_b128 v[8:11], v2 offset:832
	ds_load_b128 v[90:93], v2 offset:848
	v_fmac_f64_e32 v[94:95], v[74:75], v[78:79]
	v_fma_f64 v[72:73], v[72:73], v[78:79], -v[80:81]
	v_add_f64_e32 v[4:5], v[4:5], v[70:71]
	v_add_f64_e32 v[12:13], v[76:77], v[12:13]
	s_wait_loadcnt_dscnt 0x301
	v_mul_f64_e32 v[70:71], v[8:9], v[124:125]
	v_mul_f64_e32 v[76:77], v[10:11], v[124:125]
	s_wait_loadcnt_dscnt 0x200
	v_mul_f64_e32 v[74:75], v[90:91], v[88:89]
	v_mul_f64_e32 v[78:79], v[92:93], v[88:89]
	v_add_f64_e32 v[4:5], v[4:5], v[96:97]
	v_add_f64_e32 v[12:13], v[12:13], v[98:99]
	v_fmac_f64_e32 v[70:71], v[10:11], v[122:123]
	v_fma_f64 v[76:77], v[8:9], v[122:123], -v[76:77]
	v_fmac_f64_e32 v[74:75], v[92:93], v[86:87]
	v_fma_f64 v[78:79], v[90:91], v[86:87], -v[78:79]
	v_add_f64_e32 v[72:73], v[4:5], v[72:73]
	v_add_f64_e32 v[12:13], v[12:13], v[94:95]
	ds_load_b128 v[8:11], v2 offset:864
	ds_load_b128 v[2:5], v2 offset:880
	s_wait_loadcnt_dscnt 0x101
	v_mul_f64_e32 v[80:81], v[8:9], v[108:109]
	v_mul_f64_e32 v[88:89], v[10:11], v[108:109]
	v_add_f64_e32 v[72:73], v[72:73], v[76:77]
	v_add_f64_e32 v[12:13], v[12:13], v[70:71]
	s_wait_loadcnt_dscnt 0x0
	v_mul_f64_e32 v[70:71], v[2:3], v[84:85]
	v_mul_f64_e32 v[76:77], v[4:5], v[84:85]
	v_fmac_f64_e32 v[80:81], v[10:11], v[106:107]
	v_fma_f64 v[8:9], v[8:9], v[106:107], -v[88:89]
	v_add_f64_e32 v[10:11], v[72:73], v[78:79]
	v_add_f64_e32 v[12:13], v[12:13], v[74:75]
	v_fmac_f64_e32 v[70:71], v[4:5], v[82:83]
	v_fma_f64 v[2:3], v[2:3], v[82:83], -v[76:77]
	s_delay_alu instid0(VALU_DEP_4) | instskip(NEXT) | instid1(VALU_DEP_4)
	v_add_f64_e32 v[4:5], v[10:11], v[8:9]
	v_add_f64_e32 v[8:9], v[12:13], v[80:81]
	s_delay_alu instid0(VALU_DEP_2) | instskip(NEXT) | instid1(VALU_DEP_2)
	v_add_f64_e32 v[2:3], v[4:5], v[2:3]
	v_add_f64_e32 v[4:5], v[8:9], v[70:71]
	s_delay_alu instid0(VALU_DEP_2) | instskip(NEXT) | instid1(VALU_DEP_2)
	v_add_f64_e64 v[2:3], v[118:119], -v[2:3]
	v_add_f64_e64 v[4:5], v[120:121], -v[4:5]
	scratch_store_b128 off, v[2:5], off offset:112
	s_wait_xcnt 0x0
	v_cmpx_lt_u32_e32 6, v1
	s_cbranch_execz .LBB27_169
; %bb.168:
	scratch_load_b128 v[2:5], off, s31
	v_mov_b32_e32 v8, 0
	s_delay_alu instid0(VALU_DEP_1)
	v_dual_mov_b32 v9, v8 :: v_dual_mov_b32 v10, v8
	v_mov_b32_e32 v11, v8
	scratch_store_b128 off, v[8:11], off offset:96
	s_wait_loadcnt 0x0
	ds_store_b128 v6, v[2:5]
.LBB27_169:
	s_wait_xcnt 0x0
	s_or_b32 exec_lo, exec_lo, s2
	s_wait_storecnt_dscnt 0x0
	s_barrier_signal -1
	s_barrier_wait -1
	s_clause 0x9
	scratch_load_b128 v[8:11], off, off offset:112
	scratch_load_b128 v[70:73], off, off offset:128
	;; [unrolled: 1-line block ×10, first 2 shown]
	v_mov_b32_e32 v2, 0
	s_mov_b32 s2, exec_lo
	ds_load_b128 v[106:109], v2 offset:560
	s_clause 0x2
	scratch_load_b128 v[110:113], off, off offset:272
	scratch_load_b128 v[114:117], off, off offset:96
	;; [unrolled: 1-line block ×3, first 2 shown]
	s_wait_loadcnt_dscnt 0xc00
	v_mul_f64_e32 v[4:5], v[108:109], v[10:11]
	v_mul_f64_e32 v[130:131], v[106:107], v[10:11]
	ds_load_b128 v[118:121], v2 offset:576
	scratch_load_b128 v[10:13], off, off offset:288
	ds_load_b128 v[126:129], v2 offset:608
	v_fma_f64 v[4:5], v[106:107], v[8:9], -v[4:5]
	v_fmac_f64_e32 v[130:131], v[108:109], v[8:9]
	ds_load_b128 v[106:109], v2 offset:592
	s_wait_loadcnt_dscnt 0xc02
	v_mul_f64_e32 v[132:133], v[118:119], v[72:73]
	v_mul_f64_e32 v[72:73], v[120:121], v[72:73]
	s_wait_loadcnt_dscnt 0xb00
	v_mul_f64_e32 v[8:9], v[106:107], v[76:77]
	v_mul_f64_e32 v[76:77], v[108:109], v[76:77]
	v_add_f64_e32 v[4:5], 0, v[4:5]
	v_fmac_f64_e32 v[132:133], v[120:121], v[70:71]
	v_fma_f64 v[118:119], v[118:119], v[70:71], -v[72:73]
	v_add_f64_e32 v[120:121], 0, v[130:131]
	scratch_load_b128 v[70:73], off, off offset:320
	v_fmac_f64_e32 v[8:9], v[108:109], v[74:75]
	v_fma_f64 v[134:135], v[106:107], v[74:75], -v[76:77]
	ds_load_b128 v[74:77], v2 offset:624
	s_wait_loadcnt 0xb
	v_mul_f64_e32 v[130:131], v[126:127], v[80:81]
	v_mul_f64_e32 v[80:81], v[128:129], v[80:81]
	scratch_load_b128 v[106:109], off, off offset:336
	v_add_f64_e32 v[4:5], v[4:5], v[118:119]
	v_add_f64_e32 v[132:133], v[120:121], v[132:133]
	ds_load_b128 v[118:121], v2 offset:640
	s_wait_loadcnt_dscnt 0xb01
	v_mul_f64_e32 v[136:137], v[74:75], v[84:85]
	v_mul_f64_e32 v[84:85], v[76:77], v[84:85]
	v_fmac_f64_e32 v[130:131], v[128:129], v[78:79]
	v_fma_f64 v[126:127], v[126:127], v[78:79], -v[80:81]
	scratch_load_b128 v[78:81], off, off offset:352
	v_add_f64_e32 v[4:5], v[4:5], v[134:135]
	v_add_f64_e32 v[8:9], v[132:133], v[8:9]
	v_fmac_f64_e32 v[136:137], v[76:77], v[82:83]
	v_fma_f64 v[134:135], v[74:75], v[82:83], -v[84:85]
	ds_load_b128 v[74:77], v2 offset:656
	s_wait_loadcnt_dscnt 0xb01
	v_mul_f64_e32 v[132:133], v[118:119], v[88:89]
	v_mul_f64_e32 v[88:89], v[120:121], v[88:89]
	scratch_load_b128 v[82:85], off, off offset:368
	v_add_f64_e32 v[4:5], v[4:5], v[126:127]
	v_add_f64_e32 v[8:9], v[8:9], v[130:131]
	s_wait_loadcnt_dscnt 0xb00
	v_mul_f64_e32 v[130:131], v[74:75], v[92:93]
	v_mul_f64_e32 v[92:93], v[76:77], v[92:93]
	ds_load_b128 v[126:129], v2 offset:672
	v_fmac_f64_e32 v[132:133], v[120:121], v[86:87]
	v_fma_f64 v[118:119], v[118:119], v[86:87], -v[88:89]
	scratch_load_b128 v[86:89], off, off offset:384
	v_add_f64_e32 v[4:5], v[4:5], v[134:135]
	v_add_f64_e32 v[8:9], v[8:9], v[136:137]
	v_fmac_f64_e32 v[130:131], v[76:77], v[90:91]
	v_fma_f64 v[136:137], v[74:75], v[90:91], -v[92:93]
	ds_load_b128 v[74:77], v2 offset:688
	s_wait_loadcnt_dscnt 0xb01
	v_mul_f64_e32 v[134:135], v[126:127], v[96:97]
	v_mul_f64_e32 v[96:97], v[128:129], v[96:97]
	scratch_load_b128 v[90:93], off, off offset:400
	v_add_f64_e32 v[4:5], v[4:5], v[118:119]
	v_add_f64_e32 v[8:9], v[8:9], v[132:133]
	s_wait_loadcnt_dscnt 0xb00
	v_mul_f64_e32 v[132:133], v[74:75], v[100:101]
	v_mul_f64_e32 v[100:101], v[76:77], v[100:101]
	ds_load_b128 v[118:121], v2 offset:704
	;; [unrolled: 18-line block ×3, first 2 shown]
	v_fmac_f64_e32 v[130:131], v[120:121], v[102:103]
	v_fma_f64 v[102:103], v[118:119], v[102:103], -v[104:105]
	s_wait_loadcnt_dscnt 0x800
	v_mul_f64_e32 v[118:119], v[126:127], v[12:13]
	v_add_f64_e32 v[4:5], v[4:5], v[136:137]
	v_add_f64_e32 v[8:9], v[8:9], v[132:133]
	v_mul_f64_e32 v[12:13], v[128:129], v[12:13]
	v_fmac_f64_e32 v[134:135], v[76:77], v[110:111]
	v_fma_f64 v[110:111], v[74:75], v[110:111], -v[112:113]
	v_fmac_f64_e32 v[118:119], v[128:129], v[10:11]
	v_add_f64_e32 v[4:5], v[4:5], v[102:103]
	v_add_f64_e32 v[8:9], v[8:9], v[130:131]
	ds_load_b128 v[74:77], v2 offset:752
	ds_load_b128 v[102:105], v2 offset:768
	v_fma_f64 v[10:11], v[126:127], v[10:11], -v[12:13]
	s_wait_dscnt 0x1
	v_mul_f64_e32 v[112:113], v[74:75], v[124:125]
	v_mul_f64_e32 v[120:121], v[76:77], v[124:125]
	v_add_f64_e32 v[4:5], v[4:5], v[110:111]
	v_add_f64_e32 v[8:9], v[8:9], v[134:135]
	s_wait_loadcnt_dscnt 0x700
	v_mul_f64_e32 v[12:13], v[102:103], v[72:73]
	v_mul_f64_e32 v[110:111], v[104:105], v[72:73]
	v_fmac_f64_e32 v[112:113], v[76:77], v[122:123]
	v_fma_f64 v[76:77], v[74:75], v[122:123], -v[120:121]
	v_add_f64_e32 v[4:5], v[4:5], v[10:11]
	v_add_f64_e32 v[118:119], v[8:9], v[118:119]
	ds_load_b128 v[8:11], v2 offset:784
	ds_load_b128 v[72:75], v2 offset:800
	v_fmac_f64_e32 v[12:13], v[104:105], v[70:71]
	v_fma_f64 v[70:71], v[102:103], v[70:71], -v[110:111]
	s_wait_loadcnt_dscnt 0x601
	v_mul_f64_e32 v[120:121], v[8:9], v[108:109]
	v_mul_f64_e32 v[108:109], v[10:11], v[108:109]
	s_wait_loadcnt_dscnt 0x500
	v_mul_f64_e32 v[110:111], v[72:73], v[80:81]
	v_mul_f64_e32 v[80:81], v[74:75], v[80:81]
	v_add_f64_e32 v[4:5], v[4:5], v[76:77]
	v_add_f64_e32 v[76:77], v[118:119], v[112:113]
	v_fmac_f64_e32 v[120:121], v[10:11], v[106:107]
	v_fma_f64 v[106:107], v[8:9], v[106:107], -v[108:109]
	ds_load_b128 v[8:11], v2 offset:816
	ds_load_b128 v[102:105], v2 offset:832
	v_fmac_f64_e32 v[110:111], v[74:75], v[78:79]
	v_fma_f64 v[72:73], v[72:73], v[78:79], -v[80:81]
	v_add_f64_e32 v[4:5], v[4:5], v[70:71]
	v_add_f64_e32 v[12:13], v[76:77], v[12:13]
	s_wait_loadcnt_dscnt 0x401
	v_mul_f64_e32 v[76:77], v[8:9], v[84:85]
	v_mul_f64_e32 v[70:71], v[10:11], v[84:85]
	s_wait_loadcnt_dscnt 0x300
	v_mul_f64_e32 v[74:75], v[102:103], v[88:89]
	v_mul_f64_e32 v[78:79], v[104:105], v[88:89]
	v_add_f64_e32 v[4:5], v[4:5], v[106:107]
	v_add_f64_e32 v[12:13], v[12:13], v[120:121]
	v_fmac_f64_e32 v[76:77], v[10:11], v[82:83]
	v_fma_f64 v[80:81], v[8:9], v[82:83], -v[70:71]
	v_fmac_f64_e32 v[74:75], v[104:105], v[86:87]
	v_fma_f64 v[78:79], v[102:103], v[86:87], -v[78:79]
	v_add_f64_e32 v[4:5], v[4:5], v[72:73]
	v_add_f64_e32 v[12:13], v[12:13], v[110:111]
	ds_load_b128 v[8:11], v2 offset:848
	ds_load_b128 v[70:73], v2 offset:864
	s_wait_loadcnt_dscnt 0x201
	v_mul_f64_e32 v[82:83], v[8:9], v[92:93]
	v_mul_f64_e32 v[84:85], v[10:11], v[92:93]
	v_add_f64_e32 v[4:5], v[4:5], v[80:81]
	v_add_f64_e32 v[12:13], v[12:13], v[76:77]
	s_wait_loadcnt_dscnt 0x100
	v_mul_f64_e32 v[76:77], v[70:71], v[96:97]
	v_mul_f64_e32 v[80:81], v[72:73], v[96:97]
	v_fmac_f64_e32 v[82:83], v[10:11], v[90:91]
	v_fma_f64 v[84:85], v[8:9], v[90:91], -v[84:85]
	ds_load_b128 v[8:11], v2 offset:880
	v_add_f64_e32 v[4:5], v[4:5], v[78:79]
	v_add_f64_e32 v[12:13], v[12:13], v[74:75]
	v_fmac_f64_e32 v[76:77], v[72:73], v[94:95]
	v_fma_f64 v[70:71], v[70:71], v[94:95], -v[80:81]
	s_wait_loadcnt_dscnt 0x0
	v_mul_f64_e32 v[74:75], v[8:9], v[100:101]
	v_mul_f64_e32 v[78:79], v[10:11], v[100:101]
	v_add_f64_e32 v[4:5], v[4:5], v[84:85]
	v_add_f64_e32 v[12:13], v[12:13], v[82:83]
	s_delay_alu instid0(VALU_DEP_4) | instskip(NEXT) | instid1(VALU_DEP_4)
	v_fmac_f64_e32 v[74:75], v[10:11], v[98:99]
	v_fma_f64 v[8:9], v[8:9], v[98:99], -v[78:79]
	s_delay_alu instid0(VALU_DEP_4) | instskip(NEXT) | instid1(VALU_DEP_4)
	v_add_f64_e32 v[4:5], v[4:5], v[70:71]
	v_add_f64_e32 v[10:11], v[12:13], v[76:77]
	s_delay_alu instid0(VALU_DEP_2) | instskip(NEXT) | instid1(VALU_DEP_2)
	v_add_f64_e32 v[4:5], v[4:5], v[8:9]
	v_add_f64_e32 v[10:11], v[10:11], v[74:75]
	s_delay_alu instid0(VALU_DEP_2) | instskip(NEXT) | instid1(VALU_DEP_2)
	v_add_f64_e64 v[8:9], v[114:115], -v[4:5]
	v_add_f64_e64 v[10:11], v[116:117], -v[10:11]
	scratch_store_b128 off, v[8:11], off offset:96
	s_wait_xcnt 0x0
	v_cmpx_lt_u32_e32 5, v1
	s_cbranch_execz .LBB27_171
; %bb.170:
	scratch_load_b128 v[8:11], off, s29
	v_dual_mov_b32 v3, v2 :: v_dual_mov_b32 v4, v2
	v_mov_b32_e32 v5, v2
	scratch_store_b128 off, v[2:5], off offset:80
	s_wait_loadcnt 0x0
	ds_store_b128 v6, v[8:11]
.LBB27_171:
	s_wait_xcnt 0x0
	s_or_b32 exec_lo, exec_lo, s2
	s_wait_storecnt_dscnt 0x0
	s_barrier_signal -1
	s_barrier_wait -1
	s_clause 0x9
	scratch_load_b128 v[8:11], off, off offset:96
	scratch_load_b128 v[70:73], off, off offset:112
	;; [unrolled: 1-line block ×10, first 2 shown]
	ds_load_b128 v[106:109], v2 offset:544
	ds_load_b128 v[114:117], v2 offset:560
	s_clause 0x1
	scratch_load_b128 v[110:113], off, off offset:256
	scratch_load_b128 v[118:121], off, off offset:80
	s_mov_b32 s2, exec_lo
	s_wait_loadcnt_dscnt 0xb01
	v_mul_f64_e32 v[4:5], v[108:109], v[10:11]
	v_mul_f64_e32 v[130:131], v[106:107], v[10:11]
	scratch_load_b128 v[10:13], off, off offset:272
	s_wait_loadcnt_dscnt 0xb00
	v_mul_f64_e32 v[132:133], v[114:115], v[72:73]
	v_mul_f64_e32 v[72:73], v[116:117], v[72:73]
	v_fma_f64 v[4:5], v[106:107], v[8:9], -v[4:5]
	v_fmac_f64_e32 v[130:131], v[108:109], v[8:9]
	ds_load_b128 v[106:109], v2 offset:576
	ds_load_b128 v[122:125], v2 offset:592
	scratch_load_b128 v[126:129], off, off offset:288
	v_fmac_f64_e32 v[132:133], v[116:117], v[70:71]
	v_fma_f64 v[114:115], v[114:115], v[70:71], -v[72:73]
	scratch_load_b128 v[70:73], off, off offset:304
	s_wait_loadcnt_dscnt 0xc01
	v_mul_f64_e32 v[8:9], v[106:107], v[76:77]
	v_mul_f64_e32 v[76:77], v[108:109], v[76:77]
	v_add_f64_e32 v[4:5], 0, v[4:5]
	v_add_f64_e32 v[116:117], 0, v[130:131]
	s_wait_loadcnt_dscnt 0xb00
	v_mul_f64_e32 v[130:131], v[122:123], v[80:81]
	v_mul_f64_e32 v[80:81], v[124:125], v[80:81]
	v_fmac_f64_e32 v[8:9], v[108:109], v[74:75]
	v_fma_f64 v[134:135], v[106:107], v[74:75], -v[76:77]
	ds_load_b128 v[74:77], v2 offset:608
	ds_load_b128 v[106:109], v2 offset:624
	v_add_f64_e32 v[4:5], v[4:5], v[114:115]
	v_add_f64_e32 v[132:133], v[116:117], v[132:133]
	scratch_load_b128 v[114:117], off, off offset:320
	v_fmac_f64_e32 v[130:131], v[124:125], v[78:79]
	v_fma_f64 v[122:123], v[122:123], v[78:79], -v[80:81]
	scratch_load_b128 v[78:81], off, off offset:336
	s_wait_loadcnt_dscnt 0xc01
	v_mul_f64_e32 v[136:137], v[74:75], v[84:85]
	v_mul_f64_e32 v[84:85], v[76:77], v[84:85]
	v_add_f64_e32 v[4:5], v[4:5], v[134:135]
	v_add_f64_e32 v[8:9], v[132:133], v[8:9]
	s_wait_loadcnt_dscnt 0xb00
	v_mul_f64_e32 v[132:133], v[106:107], v[88:89]
	v_mul_f64_e32 v[88:89], v[108:109], v[88:89]
	v_fmac_f64_e32 v[136:137], v[76:77], v[82:83]
	v_fma_f64 v[134:135], v[74:75], v[82:83], -v[84:85]
	ds_load_b128 v[74:77], v2 offset:640
	ds_load_b128 v[82:85], v2 offset:656
	v_add_f64_e32 v[4:5], v[4:5], v[122:123]
	v_add_f64_e32 v[8:9], v[8:9], v[130:131]
	scratch_load_b128 v[122:125], off, off offset:352
	s_wait_loadcnt_dscnt 0xb01
	v_mul_f64_e32 v[130:131], v[74:75], v[92:93]
	v_mul_f64_e32 v[92:93], v[76:77], v[92:93]
	v_fmac_f64_e32 v[132:133], v[108:109], v[86:87]
	v_fma_f64 v[106:107], v[106:107], v[86:87], -v[88:89]
	scratch_load_b128 v[86:89], off, off offset:368
	v_add_f64_e32 v[4:5], v[4:5], v[134:135]
	v_add_f64_e32 v[8:9], v[8:9], v[136:137]
	s_wait_loadcnt_dscnt 0xb00
	v_mul_f64_e32 v[134:135], v[82:83], v[96:97]
	v_mul_f64_e32 v[96:97], v[84:85], v[96:97]
	v_fmac_f64_e32 v[130:131], v[76:77], v[90:91]
	v_fma_f64 v[136:137], v[74:75], v[90:91], -v[92:93]
	ds_load_b128 v[74:77], v2 offset:672
	ds_load_b128 v[90:93], v2 offset:688
	v_add_f64_e32 v[4:5], v[4:5], v[106:107]
	v_add_f64_e32 v[8:9], v[8:9], v[132:133]
	scratch_load_b128 v[106:109], off, off offset:384
	s_wait_loadcnt_dscnt 0xb01
	v_mul_f64_e32 v[132:133], v[74:75], v[100:101]
	v_mul_f64_e32 v[100:101], v[76:77], v[100:101]
	v_fmac_f64_e32 v[134:135], v[84:85], v[94:95]
	v_fma_f64 v[94:95], v[82:83], v[94:95], -v[96:97]
	scratch_load_b128 v[82:85], off, off offset:400
	v_add_f64_e32 v[4:5], v[4:5], v[136:137]
	v_add_f64_e32 v[8:9], v[8:9], v[130:131]
	s_wait_loadcnt_dscnt 0xb00
	v_mul_f64_e32 v[130:131], v[90:91], v[104:105]
	v_mul_f64_e32 v[104:105], v[92:93], v[104:105]
	v_fmac_f64_e32 v[132:133], v[76:77], v[98:99]
	v_fma_f64 v[136:137], v[74:75], v[98:99], -v[100:101]
	v_add_f64_e32 v[4:5], v[4:5], v[94:95]
	v_add_f64_e32 v[8:9], v[8:9], v[134:135]
	ds_load_b128 v[74:77], v2 offset:704
	ds_load_b128 v[94:97], v2 offset:720
	scratch_load_b128 v[98:101], off, off offset:416
	v_fmac_f64_e32 v[130:131], v[92:93], v[102:103]
	v_fma_f64 v[102:103], v[90:91], v[102:103], -v[104:105]
	scratch_load_b128 v[90:93], off, off offset:432
	s_wait_loadcnt_dscnt 0xc01
	v_mul_f64_e32 v[134:135], v[74:75], v[112:113]
	v_mul_f64_e32 v[112:113], v[76:77], v[112:113]
	v_add_f64_e32 v[4:5], v[4:5], v[136:137]
	v_add_f64_e32 v[8:9], v[8:9], v[132:133]
	s_wait_loadcnt_dscnt 0xa00
	v_mul_f64_e32 v[132:133], v[94:95], v[12:13]
	v_mul_f64_e32 v[12:13], v[96:97], v[12:13]
	v_fmac_f64_e32 v[134:135], v[76:77], v[110:111]
	v_fma_f64 v[110:111], v[74:75], v[110:111], -v[112:113]
	v_add_f64_e32 v[4:5], v[4:5], v[102:103]
	v_add_f64_e32 v[8:9], v[8:9], v[130:131]
	ds_load_b128 v[74:77], v2 offset:736
	ds_load_b128 v[102:105], v2 offset:752
	v_fmac_f64_e32 v[132:133], v[96:97], v[10:11]
	v_fma_f64 v[10:11], v[94:95], v[10:11], -v[12:13]
	s_wait_loadcnt_dscnt 0x901
	v_mul_f64_e32 v[112:113], v[74:75], v[128:129]
	v_mul_f64_e32 v[128:129], v[76:77], v[128:129]
	s_wait_loadcnt_dscnt 0x800
	v_mul_f64_e32 v[12:13], v[102:103], v[72:73]
	v_mul_f64_e32 v[94:95], v[104:105], v[72:73]
	v_add_f64_e32 v[4:5], v[4:5], v[110:111]
	v_add_f64_e32 v[8:9], v[8:9], v[134:135]
	v_fmac_f64_e32 v[112:113], v[76:77], v[126:127]
	v_fma_f64 v[76:77], v[74:75], v[126:127], -v[128:129]
	v_fmac_f64_e32 v[12:13], v[104:105], v[70:71]
	v_fma_f64 v[70:71], v[102:103], v[70:71], -v[94:95]
	v_add_f64_e32 v[4:5], v[4:5], v[10:11]
	v_add_f64_e32 v[96:97], v[8:9], v[132:133]
	ds_load_b128 v[8:11], v2 offset:768
	ds_load_b128 v[72:75], v2 offset:784
	s_wait_loadcnt_dscnt 0x701
	v_mul_f64_e32 v[110:111], v[8:9], v[116:117]
	v_mul_f64_e32 v[116:117], v[10:11], v[116:117]
	s_wait_loadcnt_dscnt 0x600
	v_mul_f64_e32 v[102:103], v[72:73], v[80:81]
	v_mul_f64_e32 v[80:81], v[74:75], v[80:81]
	v_add_f64_e32 v[4:5], v[4:5], v[76:77]
	v_add_f64_e32 v[76:77], v[96:97], v[112:113]
	v_fmac_f64_e32 v[110:111], v[10:11], v[114:115]
	v_fma_f64 v[104:105], v[8:9], v[114:115], -v[116:117]
	ds_load_b128 v[8:11], v2 offset:800
	ds_load_b128 v[94:97], v2 offset:816
	v_fmac_f64_e32 v[102:103], v[74:75], v[78:79]
	v_fma_f64 v[72:73], v[72:73], v[78:79], -v[80:81]
	v_add_f64_e32 v[4:5], v[4:5], v[70:71]
	v_add_f64_e32 v[12:13], v[76:77], v[12:13]
	s_wait_loadcnt_dscnt 0x501
	v_mul_f64_e32 v[76:77], v[8:9], v[124:125]
	v_mul_f64_e32 v[70:71], v[10:11], v[124:125]
	s_wait_loadcnt_dscnt 0x400
	v_mul_f64_e32 v[74:75], v[94:95], v[88:89]
	v_mul_f64_e32 v[78:79], v[96:97], v[88:89]
	v_add_f64_e32 v[4:5], v[4:5], v[104:105]
	v_add_f64_e32 v[12:13], v[12:13], v[110:111]
	v_fmac_f64_e32 v[76:77], v[10:11], v[122:123]
	v_fma_f64 v[80:81], v[8:9], v[122:123], -v[70:71]
	v_fmac_f64_e32 v[74:75], v[96:97], v[86:87]
	v_fma_f64 v[78:79], v[94:95], v[86:87], -v[78:79]
	v_add_f64_e32 v[4:5], v[4:5], v[72:73]
	v_add_f64_e32 v[12:13], v[12:13], v[102:103]
	ds_load_b128 v[8:11], v2 offset:832
	ds_load_b128 v[70:73], v2 offset:848
	s_wait_loadcnt_dscnt 0x301
	v_mul_f64_e32 v[88:89], v[8:9], v[108:109]
	v_mul_f64_e32 v[102:103], v[10:11], v[108:109]
	v_add_f64_e32 v[4:5], v[4:5], v[80:81]
	v_add_f64_e32 v[12:13], v[12:13], v[76:77]
	s_wait_loadcnt_dscnt 0x200
	v_mul_f64_e32 v[76:77], v[70:71], v[84:85]
	v_mul_f64_e32 v[80:81], v[72:73], v[84:85]
	v_fmac_f64_e32 v[88:89], v[10:11], v[106:107]
	v_fma_f64 v[84:85], v[8:9], v[106:107], -v[102:103]
	v_add_f64_e32 v[78:79], v[4:5], v[78:79]
	v_add_f64_e32 v[12:13], v[12:13], v[74:75]
	ds_load_b128 v[8:11], v2 offset:864
	ds_load_b128 v[2:5], v2 offset:880
	v_fmac_f64_e32 v[76:77], v[72:73], v[82:83]
	v_fma_f64 v[70:71], v[70:71], v[82:83], -v[80:81]
	s_wait_loadcnt_dscnt 0x101
	v_mul_f64_e32 v[74:75], v[8:9], v[100:101]
	v_mul_f64_e32 v[86:87], v[10:11], v[100:101]
	s_wait_loadcnt_dscnt 0x0
	v_mul_f64_e32 v[80:81], v[4:5], v[92:93]
	v_add_f64_e32 v[72:73], v[78:79], v[84:85]
	v_add_f64_e32 v[12:13], v[12:13], v[88:89]
	v_mul_f64_e32 v[78:79], v[2:3], v[92:93]
	v_fmac_f64_e32 v[74:75], v[10:11], v[98:99]
	v_fma_f64 v[8:9], v[8:9], v[98:99], -v[86:87]
	v_fma_f64 v[2:3], v[2:3], v[90:91], -v[80:81]
	v_add_f64_e32 v[10:11], v[72:73], v[70:71]
	v_add_f64_e32 v[12:13], v[12:13], v[76:77]
	v_fmac_f64_e32 v[78:79], v[4:5], v[90:91]
	s_delay_alu instid0(VALU_DEP_3) | instskip(NEXT) | instid1(VALU_DEP_3)
	v_add_f64_e32 v[4:5], v[10:11], v[8:9]
	v_add_f64_e32 v[8:9], v[12:13], v[74:75]
	s_delay_alu instid0(VALU_DEP_2) | instskip(NEXT) | instid1(VALU_DEP_2)
	v_add_f64_e32 v[2:3], v[4:5], v[2:3]
	v_add_f64_e32 v[4:5], v[8:9], v[78:79]
	s_delay_alu instid0(VALU_DEP_2) | instskip(NEXT) | instid1(VALU_DEP_2)
	v_add_f64_e64 v[2:3], v[118:119], -v[2:3]
	v_add_f64_e64 v[4:5], v[120:121], -v[4:5]
	scratch_store_b128 off, v[2:5], off offset:80
	s_wait_xcnt 0x0
	v_cmpx_lt_u32_e32 4, v1
	s_cbranch_execz .LBB27_173
; %bb.172:
	scratch_load_b128 v[2:5], off, s11
	v_mov_b32_e32 v8, 0
	s_delay_alu instid0(VALU_DEP_1)
	v_dual_mov_b32 v9, v8 :: v_dual_mov_b32 v10, v8
	v_mov_b32_e32 v11, v8
	scratch_store_b128 off, v[8:11], off offset:64
	s_wait_loadcnt 0x0
	ds_store_b128 v6, v[2:5]
.LBB27_173:
	s_wait_xcnt 0x0
	s_or_b32 exec_lo, exec_lo, s2
	s_wait_storecnt_dscnt 0x0
	s_barrier_signal -1
	s_barrier_wait -1
	s_clause 0x9
	scratch_load_b128 v[8:11], off, off offset:80
	scratch_load_b128 v[70:73], off, off offset:96
	;; [unrolled: 1-line block ×10, first 2 shown]
	v_mov_b32_e32 v2, 0
	s_mov_b32 s2, exec_lo
	ds_load_b128 v[106:109], v2 offset:528
	s_clause 0x2
	scratch_load_b128 v[110:113], off, off offset:240
	scratch_load_b128 v[114:117], off, off offset:64
	;; [unrolled: 1-line block ×3, first 2 shown]
	s_wait_loadcnt_dscnt 0xc00
	v_mul_f64_e32 v[4:5], v[108:109], v[10:11]
	v_mul_f64_e32 v[130:131], v[106:107], v[10:11]
	ds_load_b128 v[118:121], v2 offset:544
	scratch_load_b128 v[10:13], off, off offset:256
	ds_load_b128 v[126:129], v2 offset:576
	v_fma_f64 v[4:5], v[106:107], v[8:9], -v[4:5]
	v_fmac_f64_e32 v[130:131], v[108:109], v[8:9]
	ds_load_b128 v[106:109], v2 offset:560
	s_wait_loadcnt_dscnt 0xc02
	v_mul_f64_e32 v[132:133], v[118:119], v[72:73]
	v_mul_f64_e32 v[72:73], v[120:121], v[72:73]
	s_wait_loadcnt_dscnt 0xb00
	v_mul_f64_e32 v[8:9], v[106:107], v[76:77]
	v_mul_f64_e32 v[76:77], v[108:109], v[76:77]
	v_add_f64_e32 v[4:5], 0, v[4:5]
	v_fmac_f64_e32 v[132:133], v[120:121], v[70:71]
	v_fma_f64 v[118:119], v[118:119], v[70:71], -v[72:73]
	v_add_f64_e32 v[120:121], 0, v[130:131]
	scratch_load_b128 v[70:73], off, off offset:288
	v_fmac_f64_e32 v[8:9], v[108:109], v[74:75]
	v_fma_f64 v[134:135], v[106:107], v[74:75], -v[76:77]
	ds_load_b128 v[74:77], v2 offset:592
	s_wait_loadcnt 0xb
	v_mul_f64_e32 v[130:131], v[126:127], v[80:81]
	v_mul_f64_e32 v[80:81], v[128:129], v[80:81]
	scratch_load_b128 v[106:109], off, off offset:304
	v_add_f64_e32 v[4:5], v[4:5], v[118:119]
	v_add_f64_e32 v[132:133], v[120:121], v[132:133]
	ds_load_b128 v[118:121], v2 offset:608
	s_wait_loadcnt_dscnt 0xb01
	v_mul_f64_e32 v[136:137], v[74:75], v[84:85]
	v_mul_f64_e32 v[84:85], v[76:77], v[84:85]
	v_fmac_f64_e32 v[130:131], v[128:129], v[78:79]
	v_fma_f64 v[126:127], v[126:127], v[78:79], -v[80:81]
	scratch_load_b128 v[78:81], off, off offset:320
	v_add_f64_e32 v[4:5], v[4:5], v[134:135]
	v_add_f64_e32 v[8:9], v[132:133], v[8:9]
	v_fmac_f64_e32 v[136:137], v[76:77], v[82:83]
	v_fma_f64 v[134:135], v[74:75], v[82:83], -v[84:85]
	ds_load_b128 v[74:77], v2 offset:624
	s_wait_loadcnt_dscnt 0xb01
	v_mul_f64_e32 v[132:133], v[118:119], v[88:89]
	v_mul_f64_e32 v[88:89], v[120:121], v[88:89]
	scratch_load_b128 v[82:85], off, off offset:336
	v_add_f64_e32 v[4:5], v[4:5], v[126:127]
	v_add_f64_e32 v[8:9], v[8:9], v[130:131]
	s_wait_loadcnt_dscnt 0xb00
	v_mul_f64_e32 v[130:131], v[74:75], v[92:93]
	v_mul_f64_e32 v[92:93], v[76:77], v[92:93]
	ds_load_b128 v[126:129], v2 offset:640
	v_fmac_f64_e32 v[132:133], v[120:121], v[86:87]
	v_fma_f64 v[118:119], v[118:119], v[86:87], -v[88:89]
	scratch_load_b128 v[86:89], off, off offset:352
	v_add_f64_e32 v[4:5], v[4:5], v[134:135]
	v_add_f64_e32 v[8:9], v[8:9], v[136:137]
	v_fmac_f64_e32 v[130:131], v[76:77], v[90:91]
	v_fma_f64 v[136:137], v[74:75], v[90:91], -v[92:93]
	ds_load_b128 v[74:77], v2 offset:656
	s_wait_loadcnt_dscnt 0xb01
	v_mul_f64_e32 v[134:135], v[126:127], v[96:97]
	v_mul_f64_e32 v[96:97], v[128:129], v[96:97]
	scratch_load_b128 v[90:93], off, off offset:368
	v_add_f64_e32 v[4:5], v[4:5], v[118:119]
	v_add_f64_e32 v[8:9], v[8:9], v[132:133]
	s_wait_loadcnt_dscnt 0xb00
	v_mul_f64_e32 v[132:133], v[74:75], v[100:101]
	v_mul_f64_e32 v[100:101], v[76:77], v[100:101]
	ds_load_b128 v[118:121], v2 offset:672
	v_fmac_f64_e32 v[134:135], v[128:129], v[94:95]
	v_fma_f64 v[126:127], v[126:127], v[94:95], -v[96:97]
	scratch_load_b128 v[94:97], off, off offset:384
	v_add_f64_e32 v[4:5], v[4:5], v[136:137]
	v_add_f64_e32 v[8:9], v[8:9], v[130:131]
	v_fmac_f64_e32 v[132:133], v[76:77], v[98:99]
	v_fma_f64 v[136:137], v[74:75], v[98:99], -v[100:101]
	ds_load_b128 v[74:77], v2 offset:688
	s_wait_loadcnt_dscnt 0xb01
	v_mul_f64_e32 v[130:131], v[118:119], v[104:105]
	v_mul_f64_e32 v[104:105], v[120:121], v[104:105]
	scratch_load_b128 v[98:101], off, off offset:400
	v_add_f64_e32 v[4:5], v[4:5], v[126:127]
	v_add_f64_e32 v[8:9], v[8:9], v[134:135]
	s_wait_loadcnt_dscnt 0xb00
	v_mul_f64_e32 v[134:135], v[74:75], v[112:113]
	v_mul_f64_e32 v[112:113], v[76:77], v[112:113]
	ds_load_b128 v[126:129], v2 offset:704
	v_fmac_f64_e32 v[130:131], v[120:121], v[102:103]
	v_fma_f64 v[118:119], v[118:119], v[102:103], -v[104:105]
	scratch_load_b128 v[102:105], off, off offset:416
	v_add_f64_e32 v[4:5], v[4:5], v[136:137]
	v_add_f64_e32 v[8:9], v[8:9], v[132:133]
	v_fmac_f64_e32 v[134:135], v[76:77], v[110:111]
	v_fma_f64 v[136:137], v[74:75], v[110:111], -v[112:113]
	ds_load_b128 v[74:77], v2 offset:720
	s_wait_loadcnt_dscnt 0x901
	v_mul_f64_e32 v[132:133], v[126:127], v[12:13]
	v_mul_f64_e32 v[12:13], v[128:129], v[12:13]
	scratch_load_b128 v[110:113], off, off offset:432
	v_add_f64_e32 v[4:5], v[4:5], v[118:119]
	v_add_f64_e32 v[8:9], v[8:9], v[130:131]
	s_wait_dscnt 0x0
	v_mul_f64_e32 v[130:131], v[74:75], v[124:125]
	v_mul_f64_e32 v[124:125], v[76:77], v[124:125]
	ds_load_b128 v[118:121], v2 offset:736
	v_fmac_f64_e32 v[132:133], v[128:129], v[10:11]
	v_fma_f64 v[10:11], v[126:127], v[10:11], -v[12:13]
	v_add_f64_e32 v[4:5], v[4:5], v[136:137]
	v_add_f64_e32 v[8:9], v[8:9], v[134:135]
	s_wait_loadcnt_dscnt 0x900
	v_mul_f64_e32 v[12:13], v[118:119], v[72:73]
	v_mul_f64_e32 v[126:127], v[120:121], v[72:73]
	v_fmac_f64_e32 v[130:131], v[76:77], v[122:123]
	v_fma_f64 v[76:77], v[74:75], v[122:123], -v[124:125]
	v_add_f64_e32 v[4:5], v[4:5], v[10:11]
	v_add_f64_e32 v[122:123], v[8:9], v[132:133]
	ds_load_b128 v[8:11], v2 offset:752
	ds_load_b128 v[72:75], v2 offset:768
	v_fmac_f64_e32 v[12:13], v[120:121], v[70:71]
	v_fma_f64 v[70:71], v[118:119], v[70:71], -v[126:127]
	s_wait_loadcnt_dscnt 0x801
	v_mul_f64_e32 v[124:125], v[8:9], v[108:109]
	v_mul_f64_e32 v[108:109], v[10:11], v[108:109]
	s_wait_loadcnt_dscnt 0x700
	v_mul_f64_e32 v[118:119], v[72:73], v[80:81]
	v_mul_f64_e32 v[80:81], v[74:75], v[80:81]
	v_add_f64_e32 v[4:5], v[4:5], v[76:77]
	v_add_f64_e32 v[76:77], v[122:123], v[130:131]
	v_fmac_f64_e32 v[124:125], v[10:11], v[106:107]
	v_fma_f64 v[120:121], v[8:9], v[106:107], -v[108:109]
	ds_load_b128 v[8:11], v2 offset:784
	ds_load_b128 v[106:109], v2 offset:800
	v_fmac_f64_e32 v[118:119], v[74:75], v[78:79]
	v_fma_f64 v[72:73], v[72:73], v[78:79], -v[80:81]
	v_add_f64_e32 v[4:5], v[4:5], v[70:71]
	v_add_f64_e32 v[12:13], v[76:77], v[12:13]
	s_wait_loadcnt_dscnt 0x601
	v_mul_f64_e32 v[76:77], v[8:9], v[84:85]
	v_mul_f64_e32 v[70:71], v[10:11], v[84:85]
	s_wait_loadcnt_dscnt 0x500
	v_mul_f64_e32 v[74:75], v[106:107], v[88:89]
	v_mul_f64_e32 v[78:79], v[108:109], v[88:89]
	v_add_f64_e32 v[4:5], v[4:5], v[120:121]
	v_add_f64_e32 v[12:13], v[12:13], v[124:125]
	v_fmac_f64_e32 v[76:77], v[10:11], v[82:83]
	v_fma_f64 v[80:81], v[8:9], v[82:83], -v[70:71]
	v_fmac_f64_e32 v[74:75], v[108:109], v[86:87]
	v_fma_f64 v[78:79], v[106:107], v[86:87], -v[78:79]
	v_add_f64_e32 v[4:5], v[4:5], v[72:73]
	v_add_f64_e32 v[12:13], v[12:13], v[118:119]
	ds_load_b128 v[8:11], v2 offset:816
	ds_load_b128 v[70:73], v2 offset:832
	s_wait_loadcnt_dscnt 0x401
	v_mul_f64_e32 v[82:83], v[8:9], v[92:93]
	v_mul_f64_e32 v[84:85], v[10:11], v[92:93]
	s_wait_loadcnt_dscnt 0x300
	v_mul_f64_e32 v[86:87], v[72:73], v[96:97]
	v_add_f64_e32 v[4:5], v[4:5], v[80:81]
	v_add_f64_e32 v[12:13], v[12:13], v[76:77]
	v_mul_f64_e32 v[80:81], v[70:71], v[96:97]
	v_fmac_f64_e32 v[82:83], v[10:11], v[90:91]
	v_fma_f64 v[84:85], v[8:9], v[90:91], -v[84:85]
	v_fma_f64 v[70:71], v[70:71], v[94:95], -v[86:87]
	v_add_f64_e32 v[4:5], v[4:5], v[78:79]
	v_add_f64_e32 v[12:13], v[12:13], v[74:75]
	ds_load_b128 v[8:11], v2 offset:848
	ds_load_b128 v[74:77], v2 offset:864
	v_fmac_f64_e32 v[80:81], v[72:73], v[94:95]
	s_wait_loadcnt_dscnt 0x201
	v_mul_f64_e32 v[78:79], v[8:9], v[100:101]
	v_mul_f64_e32 v[88:89], v[10:11], v[100:101]
	s_wait_loadcnt_dscnt 0x100
	v_mul_f64_e32 v[72:73], v[74:75], v[104:105]
	v_add_f64_e32 v[4:5], v[4:5], v[84:85]
	v_add_f64_e32 v[12:13], v[12:13], v[82:83]
	v_mul_f64_e32 v[82:83], v[76:77], v[104:105]
	v_fmac_f64_e32 v[78:79], v[10:11], v[98:99]
	v_fma_f64 v[84:85], v[8:9], v[98:99], -v[88:89]
	ds_load_b128 v[8:11], v2 offset:880
	v_fmac_f64_e32 v[72:73], v[76:77], v[102:103]
	v_add_f64_e32 v[4:5], v[4:5], v[70:71]
	v_add_f64_e32 v[12:13], v[12:13], v[80:81]
	v_fma_f64 v[74:75], v[74:75], v[102:103], -v[82:83]
	s_wait_loadcnt_dscnt 0x0
	v_mul_f64_e32 v[70:71], v[8:9], v[112:113]
	v_mul_f64_e32 v[80:81], v[10:11], v[112:113]
	v_add_f64_e32 v[4:5], v[4:5], v[84:85]
	v_add_f64_e32 v[12:13], v[12:13], v[78:79]
	s_delay_alu instid0(VALU_DEP_4) | instskip(NEXT) | instid1(VALU_DEP_4)
	v_fmac_f64_e32 v[70:71], v[10:11], v[110:111]
	v_fma_f64 v[8:9], v[8:9], v[110:111], -v[80:81]
	s_delay_alu instid0(VALU_DEP_4) | instskip(NEXT) | instid1(VALU_DEP_4)
	v_add_f64_e32 v[4:5], v[4:5], v[74:75]
	v_add_f64_e32 v[10:11], v[12:13], v[72:73]
	s_delay_alu instid0(VALU_DEP_2) | instskip(NEXT) | instid1(VALU_DEP_2)
	v_add_f64_e32 v[4:5], v[4:5], v[8:9]
	v_add_f64_e32 v[10:11], v[10:11], v[70:71]
	s_delay_alu instid0(VALU_DEP_2) | instskip(NEXT) | instid1(VALU_DEP_2)
	v_add_f64_e64 v[8:9], v[114:115], -v[4:5]
	v_add_f64_e64 v[10:11], v[116:117], -v[10:11]
	scratch_store_b128 off, v[8:11], off offset:64
	s_wait_xcnt 0x0
	v_cmpx_lt_u32_e32 3, v1
	s_cbranch_execz .LBB27_175
; %bb.174:
	scratch_load_b128 v[8:11], off, s9
	v_dual_mov_b32 v3, v2 :: v_dual_mov_b32 v4, v2
	v_mov_b32_e32 v5, v2
	scratch_store_b128 off, v[2:5], off offset:48
	s_wait_loadcnt 0x0
	ds_store_b128 v6, v[8:11]
.LBB27_175:
	s_wait_xcnt 0x0
	s_or_b32 exec_lo, exec_lo, s2
	s_wait_storecnt_dscnt 0x0
	s_barrier_signal -1
	s_barrier_wait -1
	s_clause 0x9
	scratch_load_b128 v[8:11], off, off offset:64
	scratch_load_b128 v[70:73], off, off offset:80
	;; [unrolled: 1-line block ×10, first 2 shown]
	ds_load_b128 v[106:109], v2 offset:512
	ds_load_b128 v[114:117], v2 offset:528
	s_clause 0x1
	scratch_load_b128 v[110:113], off, off offset:224
	scratch_load_b128 v[118:121], off, off offset:48
	s_mov_b32 s2, exec_lo
	s_wait_loadcnt_dscnt 0xb01
	v_mul_f64_e32 v[4:5], v[108:109], v[10:11]
	v_mul_f64_e32 v[130:131], v[106:107], v[10:11]
	scratch_load_b128 v[10:13], off, off offset:240
	s_wait_loadcnt_dscnt 0xb00
	v_mul_f64_e32 v[132:133], v[114:115], v[72:73]
	v_mul_f64_e32 v[72:73], v[116:117], v[72:73]
	v_fma_f64 v[4:5], v[106:107], v[8:9], -v[4:5]
	v_fmac_f64_e32 v[130:131], v[108:109], v[8:9]
	ds_load_b128 v[106:109], v2 offset:544
	ds_load_b128 v[122:125], v2 offset:560
	scratch_load_b128 v[126:129], off, off offset:256
	v_fmac_f64_e32 v[132:133], v[116:117], v[70:71]
	v_fma_f64 v[114:115], v[114:115], v[70:71], -v[72:73]
	scratch_load_b128 v[70:73], off, off offset:272
	s_wait_loadcnt_dscnt 0xc01
	v_mul_f64_e32 v[8:9], v[106:107], v[76:77]
	v_mul_f64_e32 v[76:77], v[108:109], v[76:77]
	v_add_f64_e32 v[4:5], 0, v[4:5]
	v_add_f64_e32 v[116:117], 0, v[130:131]
	s_wait_loadcnt_dscnt 0xb00
	v_mul_f64_e32 v[130:131], v[122:123], v[80:81]
	v_mul_f64_e32 v[80:81], v[124:125], v[80:81]
	v_fmac_f64_e32 v[8:9], v[108:109], v[74:75]
	v_fma_f64 v[134:135], v[106:107], v[74:75], -v[76:77]
	ds_load_b128 v[74:77], v2 offset:576
	ds_load_b128 v[106:109], v2 offset:592
	v_add_f64_e32 v[4:5], v[4:5], v[114:115]
	v_add_f64_e32 v[132:133], v[116:117], v[132:133]
	scratch_load_b128 v[114:117], off, off offset:288
	v_fmac_f64_e32 v[130:131], v[124:125], v[78:79]
	v_fma_f64 v[122:123], v[122:123], v[78:79], -v[80:81]
	scratch_load_b128 v[78:81], off, off offset:304
	s_wait_loadcnt_dscnt 0xc01
	v_mul_f64_e32 v[136:137], v[74:75], v[84:85]
	v_mul_f64_e32 v[84:85], v[76:77], v[84:85]
	v_add_f64_e32 v[4:5], v[4:5], v[134:135]
	v_add_f64_e32 v[8:9], v[132:133], v[8:9]
	s_wait_loadcnt_dscnt 0xb00
	v_mul_f64_e32 v[132:133], v[106:107], v[88:89]
	v_mul_f64_e32 v[88:89], v[108:109], v[88:89]
	v_fmac_f64_e32 v[136:137], v[76:77], v[82:83]
	v_fma_f64 v[134:135], v[74:75], v[82:83], -v[84:85]
	ds_load_b128 v[74:77], v2 offset:608
	ds_load_b128 v[82:85], v2 offset:624
	v_add_f64_e32 v[4:5], v[4:5], v[122:123]
	v_add_f64_e32 v[8:9], v[8:9], v[130:131]
	scratch_load_b128 v[122:125], off, off offset:320
	s_wait_loadcnt_dscnt 0xb01
	v_mul_f64_e32 v[130:131], v[74:75], v[92:93]
	v_mul_f64_e32 v[92:93], v[76:77], v[92:93]
	v_fmac_f64_e32 v[132:133], v[108:109], v[86:87]
	v_fma_f64 v[106:107], v[106:107], v[86:87], -v[88:89]
	scratch_load_b128 v[86:89], off, off offset:336
	v_add_f64_e32 v[4:5], v[4:5], v[134:135]
	v_add_f64_e32 v[8:9], v[8:9], v[136:137]
	s_wait_loadcnt_dscnt 0xb00
	v_mul_f64_e32 v[134:135], v[82:83], v[96:97]
	v_mul_f64_e32 v[96:97], v[84:85], v[96:97]
	v_fmac_f64_e32 v[130:131], v[76:77], v[90:91]
	v_fma_f64 v[136:137], v[74:75], v[90:91], -v[92:93]
	ds_load_b128 v[74:77], v2 offset:640
	ds_load_b128 v[90:93], v2 offset:656
	v_add_f64_e32 v[4:5], v[4:5], v[106:107]
	v_add_f64_e32 v[8:9], v[8:9], v[132:133]
	scratch_load_b128 v[106:109], off, off offset:352
	s_wait_loadcnt_dscnt 0xb01
	v_mul_f64_e32 v[132:133], v[74:75], v[100:101]
	v_mul_f64_e32 v[100:101], v[76:77], v[100:101]
	v_fmac_f64_e32 v[134:135], v[84:85], v[94:95]
	v_fma_f64 v[94:95], v[82:83], v[94:95], -v[96:97]
	scratch_load_b128 v[82:85], off, off offset:368
	v_add_f64_e32 v[4:5], v[4:5], v[136:137]
	v_add_f64_e32 v[8:9], v[8:9], v[130:131]
	s_wait_loadcnt_dscnt 0xb00
	v_mul_f64_e32 v[130:131], v[90:91], v[104:105]
	v_mul_f64_e32 v[104:105], v[92:93], v[104:105]
	v_fmac_f64_e32 v[132:133], v[76:77], v[98:99]
	v_fma_f64 v[136:137], v[74:75], v[98:99], -v[100:101]
	v_add_f64_e32 v[4:5], v[4:5], v[94:95]
	v_add_f64_e32 v[8:9], v[8:9], v[134:135]
	ds_load_b128 v[74:77], v2 offset:672
	ds_load_b128 v[94:97], v2 offset:688
	scratch_load_b128 v[98:101], off, off offset:384
	v_fmac_f64_e32 v[130:131], v[92:93], v[102:103]
	v_fma_f64 v[102:103], v[90:91], v[102:103], -v[104:105]
	scratch_load_b128 v[90:93], off, off offset:400
	s_wait_loadcnt_dscnt 0xc01
	v_mul_f64_e32 v[134:135], v[74:75], v[112:113]
	v_mul_f64_e32 v[112:113], v[76:77], v[112:113]
	v_add_f64_e32 v[4:5], v[4:5], v[136:137]
	v_add_f64_e32 v[8:9], v[8:9], v[132:133]
	s_wait_loadcnt_dscnt 0xa00
	v_mul_f64_e32 v[132:133], v[94:95], v[12:13]
	v_mul_f64_e32 v[12:13], v[96:97], v[12:13]
	v_fmac_f64_e32 v[134:135], v[76:77], v[110:111]
	v_fma_f64 v[136:137], v[74:75], v[110:111], -v[112:113]
	v_add_f64_e32 v[4:5], v[4:5], v[102:103]
	v_add_f64_e32 v[8:9], v[8:9], v[130:131]
	ds_load_b128 v[74:77], v2 offset:704
	ds_load_b128 v[102:105], v2 offset:720
	scratch_load_b128 v[110:113], off, off offset:416
	v_fmac_f64_e32 v[132:133], v[96:97], v[10:11]
	v_fma_f64 v[12:13], v[94:95], v[10:11], -v[12:13]
	s_wait_loadcnt_dscnt 0xa01
	v_mul_f64_e32 v[130:131], v[74:75], v[128:129]
	v_mul_f64_e32 v[128:129], v[76:77], v[128:129]
	v_add_f64_e32 v[4:5], v[4:5], v[136:137]
	v_add_f64_e32 v[94:95], v[8:9], v[134:135]
	scratch_load_b128 v[8:11], off, off offset:432
	s_wait_loadcnt_dscnt 0xa00
	v_mul_f64_e32 v[134:135], v[102:103], v[72:73]
	v_mul_f64_e32 v[136:137], v[104:105], v[72:73]
	v_fmac_f64_e32 v[130:131], v[76:77], v[126:127]
	v_fma_f64 v[76:77], v[74:75], v[126:127], -v[128:129]
	v_add_f64_e32 v[4:5], v[4:5], v[12:13]
	v_add_f64_e32 v[12:13], v[94:95], v[132:133]
	ds_load_b128 v[72:75], v2 offset:736
	ds_load_b128 v[94:97], v2 offset:752
	v_fmac_f64_e32 v[134:135], v[104:105], v[70:71]
	v_fma_f64 v[70:71], v[102:103], v[70:71], -v[136:137]
	s_wait_loadcnt_dscnt 0x901
	v_mul_f64_e32 v[126:127], v[72:73], v[116:117]
	v_mul_f64_e32 v[116:117], v[74:75], v[116:117]
	s_wait_loadcnt_dscnt 0x800
	v_mul_f64_e32 v[102:103], v[94:95], v[80:81]
	v_mul_f64_e32 v[80:81], v[96:97], v[80:81]
	v_add_f64_e32 v[4:5], v[4:5], v[76:77]
	v_add_f64_e32 v[12:13], v[12:13], v[130:131]
	v_fmac_f64_e32 v[126:127], v[74:75], v[114:115]
	v_fma_f64 v[104:105], v[72:73], v[114:115], -v[116:117]
	v_fmac_f64_e32 v[102:103], v[96:97], v[78:79]
	v_fma_f64 v[78:79], v[94:95], v[78:79], -v[80:81]
	v_add_f64_e32 v[4:5], v[4:5], v[70:71]
	v_add_f64_e32 v[12:13], v[12:13], v[134:135]
	ds_load_b128 v[70:73], v2 offset:768
	ds_load_b128 v[74:77], v2 offset:784
	s_wait_loadcnt_dscnt 0x701
	v_mul_f64_e32 v[114:115], v[70:71], v[124:125]
	v_mul_f64_e32 v[116:117], v[72:73], v[124:125]
	s_wait_loadcnt_dscnt 0x600
	v_mul_f64_e32 v[94:95], v[74:75], v[88:89]
	v_mul_f64_e32 v[88:89], v[76:77], v[88:89]
	v_add_f64_e32 v[4:5], v[4:5], v[104:105]
	v_add_f64_e32 v[12:13], v[12:13], v[126:127]
	v_fmac_f64_e32 v[114:115], v[72:73], v[122:123]
	v_fma_f64 v[96:97], v[70:71], v[122:123], -v[116:117]
	v_fmac_f64_e32 v[94:95], v[76:77], v[86:87]
	v_fma_f64 v[74:75], v[74:75], v[86:87], -v[88:89]
	v_add_f64_e32 v[4:5], v[4:5], v[78:79]
	v_add_f64_e32 v[12:13], v[12:13], v[102:103]
	ds_load_b128 v[70:73], v2 offset:800
	ds_load_b128 v[78:81], v2 offset:816
	;; [unrolled: 16-line block ×4, first 2 shown]
	s_wait_loadcnt_dscnt 0x101
	v_mul_f64_e32 v[86:87], v[70:71], v[112:113]
	v_mul_f64_e32 v[88:89], v[72:73], v[112:113]
	v_add_f64_e32 v[76:77], v[78:79], v[84:85]
	v_add_f64_e32 v[12:13], v[12:13], v[94:95]
	s_wait_loadcnt_dscnt 0x0
	v_mul_f64_e32 v[78:79], v[2:3], v[10:11]
	v_mul_f64_e32 v[10:11], v[4:5], v[10:11]
	v_fmac_f64_e32 v[86:87], v[72:73], v[110:111]
	v_fma_f64 v[70:71], v[70:71], v[110:111], -v[88:89]
	v_add_f64_e32 v[72:73], v[76:77], v[74:75]
	v_add_f64_e32 v[12:13], v[12:13], v[80:81]
	v_fmac_f64_e32 v[78:79], v[4:5], v[8:9]
	v_fma_f64 v[2:3], v[2:3], v[8:9], -v[10:11]
	s_delay_alu instid0(VALU_DEP_4) | instskip(NEXT) | instid1(VALU_DEP_4)
	v_add_f64_e32 v[4:5], v[72:73], v[70:71]
	v_add_f64_e32 v[8:9], v[12:13], v[86:87]
	s_delay_alu instid0(VALU_DEP_2) | instskip(NEXT) | instid1(VALU_DEP_2)
	v_add_f64_e32 v[2:3], v[4:5], v[2:3]
	v_add_f64_e32 v[4:5], v[8:9], v[78:79]
	s_delay_alu instid0(VALU_DEP_2) | instskip(NEXT) | instid1(VALU_DEP_2)
	v_add_f64_e64 v[2:3], v[118:119], -v[2:3]
	v_add_f64_e64 v[4:5], v[120:121], -v[4:5]
	scratch_store_b128 off, v[2:5], off offset:48
	s_wait_xcnt 0x0
	v_cmpx_lt_u32_e32 2, v1
	s_cbranch_execz .LBB27_177
; %bb.176:
	scratch_load_b128 v[2:5], off, s8
	v_mov_b32_e32 v8, 0
	s_delay_alu instid0(VALU_DEP_1)
	v_dual_mov_b32 v9, v8 :: v_dual_mov_b32 v10, v8
	v_mov_b32_e32 v11, v8
	scratch_store_b128 off, v[8:11], off offset:32
	s_wait_loadcnt 0x0
	ds_store_b128 v6, v[2:5]
.LBB27_177:
	s_wait_xcnt 0x0
	s_or_b32 exec_lo, exec_lo, s2
	s_wait_storecnt_dscnt 0x0
	s_barrier_signal -1
	s_barrier_wait -1
	s_clause 0x9
	scratch_load_b128 v[8:11], off, off offset:48
	scratch_load_b128 v[70:73], off, off offset:64
	;; [unrolled: 1-line block ×10, first 2 shown]
	v_mov_b32_e32 v2, 0
	s_mov_b32 s2, exec_lo
	v_dual_ashrrev_i32 v21, 31, v20 :: v_dual_ashrrev_i32 v19, 31, v18
	v_ashrrev_i32_e32 v23, 31, v22
	ds_load_b128 v[106:109], v2 offset:496
	s_clause 0x2
	scratch_load_b128 v[110:113], off, off offset:208
	scratch_load_b128 v[114:117], off, off offset:32
	;; [unrolled: 1-line block ×3, first 2 shown]
	v_ashrrev_i32_e32 v27, 31, v26
	v_ashrrev_i32_e32 v31, 31, v30
	v_dual_ashrrev_i32 v35, 31, v34 :: v_dual_ashrrev_i32 v25, 31, v24
	v_dual_ashrrev_i32 v29, 31, v28 :: v_dual_ashrrev_i32 v39, 31, v38
	;; [unrolled: 1-line block ×4, first 2 shown]
	v_ashrrev_i32_e32 v51, 31, v50
	v_ashrrev_i32_e32 v55, 31, v54
	v_dual_ashrrev_i32 v59, 31, v58 :: v_dual_ashrrev_i32 v41, 31, v40
	v_dual_ashrrev_i32 v45, 31, v44 :: v_dual_ashrrev_i32 v63, 31, v62
	;; [unrolled: 1-line block ×3, first 2 shown]
	v_ashrrev_i32_e32 v53, 31, v52
	v_ashrrev_i32_e32 v57, 31, v56
	;; [unrolled: 1-line block ×4, first 2 shown]
	s_wait_loadcnt_dscnt 0xc00
	v_dual_mul_f64 v[4:5], v[108:109], v[10:11] :: v_dual_ashrrev_i32 v69, 31, v68
	v_mul_f64_e32 v[130:131], v[106:107], v[10:11]
	ds_load_b128 v[118:121], v2 offset:512
	scratch_load_b128 v[10:13], off, off offset:224
	ds_load_b128 v[126:129], v2 offset:544
	v_fma_f64 v[4:5], v[106:107], v[8:9], -v[4:5]
	v_fmac_f64_e32 v[130:131], v[108:109], v[8:9]
	ds_load_b128 v[106:109], v2 offset:528
	s_wait_loadcnt_dscnt 0xc02
	v_mul_f64_e32 v[132:133], v[118:119], v[72:73]
	v_mul_f64_e32 v[72:73], v[120:121], v[72:73]
	s_wait_loadcnt_dscnt 0xb00
	v_mul_f64_e32 v[8:9], v[106:107], v[76:77]
	v_mul_f64_e32 v[76:77], v[108:109], v[76:77]
	v_add_f64_e32 v[4:5], 0, v[4:5]
	v_fmac_f64_e32 v[132:133], v[120:121], v[70:71]
	v_fma_f64 v[118:119], v[118:119], v[70:71], -v[72:73]
	v_add_f64_e32 v[120:121], 0, v[130:131]
	scratch_load_b128 v[70:73], off, off offset:256
	v_fmac_f64_e32 v[8:9], v[108:109], v[74:75]
	v_fma_f64 v[134:135], v[106:107], v[74:75], -v[76:77]
	ds_load_b128 v[74:77], v2 offset:560
	s_wait_loadcnt 0xb
	v_mul_f64_e32 v[130:131], v[126:127], v[80:81]
	v_mul_f64_e32 v[80:81], v[128:129], v[80:81]
	scratch_load_b128 v[106:109], off, off offset:272
	v_add_f64_e32 v[4:5], v[4:5], v[118:119]
	v_add_f64_e32 v[132:133], v[120:121], v[132:133]
	ds_load_b128 v[118:121], v2 offset:576
	s_wait_loadcnt_dscnt 0xb01
	v_mul_f64_e32 v[136:137], v[74:75], v[84:85]
	v_mul_f64_e32 v[84:85], v[76:77], v[84:85]
	v_fmac_f64_e32 v[130:131], v[128:129], v[78:79]
	v_fma_f64 v[126:127], v[126:127], v[78:79], -v[80:81]
	scratch_load_b128 v[78:81], off, off offset:288
	v_add_f64_e32 v[4:5], v[4:5], v[134:135]
	v_add_f64_e32 v[8:9], v[132:133], v[8:9]
	v_fmac_f64_e32 v[136:137], v[76:77], v[82:83]
	v_fma_f64 v[134:135], v[74:75], v[82:83], -v[84:85]
	ds_load_b128 v[74:77], v2 offset:592
	s_wait_loadcnt_dscnt 0xb01
	v_mul_f64_e32 v[132:133], v[118:119], v[88:89]
	v_mul_f64_e32 v[88:89], v[120:121], v[88:89]
	scratch_load_b128 v[82:85], off, off offset:304
	v_add_f64_e32 v[4:5], v[4:5], v[126:127]
	v_add_f64_e32 v[8:9], v[8:9], v[130:131]
	s_wait_loadcnt_dscnt 0xb00
	v_mul_f64_e32 v[130:131], v[74:75], v[92:93]
	v_mul_f64_e32 v[92:93], v[76:77], v[92:93]
	ds_load_b128 v[126:129], v2 offset:608
	v_fmac_f64_e32 v[132:133], v[120:121], v[86:87]
	v_fma_f64 v[118:119], v[118:119], v[86:87], -v[88:89]
	scratch_load_b128 v[86:89], off, off offset:320
	v_add_f64_e32 v[4:5], v[4:5], v[134:135]
	v_add_f64_e32 v[8:9], v[8:9], v[136:137]
	v_fmac_f64_e32 v[130:131], v[76:77], v[90:91]
	v_fma_f64 v[136:137], v[74:75], v[90:91], -v[92:93]
	ds_load_b128 v[74:77], v2 offset:624
	s_wait_loadcnt_dscnt 0xb01
	v_mul_f64_e32 v[134:135], v[126:127], v[96:97]
	v_mul_f64_e32 v[96:97], v[128:129], v[96:97]
	scratch_load_b128 v[90:93], off, off offset:336
	v_add_f64_e32 v[4:5], v[4:5], v[118:119]
	v_add_f64_e32 v[8:9], v[8:9], v[132:133]
	s_wait_loadcnt_dscnt 0xb00
	v_mul_f64_e32 v[132:133], v[74:75], v[100:101]
	v_mul_f64_e32 v[100:101], v[76:77], v[100:101]
	ds_load_b128 v[118:121], v2 offset:640
	;; [unrolled: 18-line block ×3, first 2 shown]
	v_fmac_f64_e32 v[130:131], v[120:121], v[102:103]
	v_fma_f64 v[118:119], v[118:119], v[102:103], -v[104:105]
	scratch_load_b128 v[102:105], off, off offset:384
	v_add_f64_e32 v[4:5], v[4:5], v[136:137]
	v_add_f64_e32 v[8:9], v[8:9], v[132:133]
	v_fmac_f64_e32 v[134:135], v[76:77], v[110:111]
	v_fma_f64 v[136:137], v[74:75], v[110:111], -v[112:113]
	ds_load_b128 v[74:77], v2 offset:688
	s_wait_loadcnt_dscnt 0x901
	v_mul_f64_e32 v[132:133], v[126:127], v[12:13]
	v_mul_f64_e32 v[12:13], v[128:129], v[12:13]
	scratch_load_b128 v[110:113], off, off offset:400
	v_add_f64_e32 v[4:5], v[4:5], v[118:119]
	v_add_f64_e32 v[8:9], v[8:9], v[130:131]
	s_wait_dscnt 0x0
	v_mul_f64_e32 v[130:131], v[74:75], v[124:125]
	v_mul_f64_e32 v[124:125], v[76:77], v[124:125]
	ds_load_b128 v[118:121], v2 offset:704
	v_fmac_f64_e32 v[132:133], v[128:129], v[10:11]
	v_fma_f64 v[12:13], v[126:127], v[10:11], -v[12:13]
	v_add_f64_e32 v[4:5], v[4:5], v[136:137]
	v_add_f64_e32 v[126:127], v[8:9], v[134:135]
	scratch_load_b128 v[8:11], off, off offset:416
	v_fmac_f64_e32 v[130:131], v[76:77], v[122:123]
	v_fma_f64 v[76:77], v[74:75], v[122:123], -v[124:125]
	scratch_load_b128 v[122:125], off, off offset:432
	v_add_f64_e32 v[4:5], v[4:5], v[12:13]
	v_add_f64_e32 v[12:13], v[126:127], v[132:133]
	ds_load_b128 v[126:129], v2 offset:736
	s_wait_loadcnt_dscnt 0xb01
	v_mul_f64_e32 v[134:135], v[118:119], v[72:73]
	v_mul_f64_e32 v[136:137], v[120:121], v[72:73]
	ds_load_b128 v[72:75], v2 offset:720
	s_wait_loadcnt_dscnt 0xa00
	v_mul_f64_e32 v[132:133], v[72:73], v[108:109]
	v_mul_f64_e32 v[108:109], v[74:75], v[108:109]
	v_add_f64_e32 v[4:5], v[4:5], v[76:77]
	v_add_f64_e32 v[12:13], v[12:13], v[130:131]
	v_fmac_f64_e32 v[134:135], v[120:121], v[70:71]
	v_fma_f64 v[70:71], v[118:119], v[70:71], -v[136:137]
	s_wait_loadcnt 0x9
	v_mul_f64_e32 v[118:119], v[126:127], v[80:81]
	v_mul_f64_e32 v[80:81], v[128:129], v[80:81]
	v_fmac_f64_e32 v[132:133], v[74:75], v[106:107]
	v_fma_f64 v[106:107], v[72:73], v[106:107], -v[108:109]
	v_add_f64_e32 v[12:13], v[12:13], v[134:135]
	v_add_f64_e32 v[4:5], v[4:5], v[70:71]
	ds_load_b128 v[70:73], v2 offset:752
	ds_load_b128 v[74:77], v2 offset:768
	v_fmac_f64_e32 v[118:119], v[128:129], v[78:79]
	v_fma_f64 v[78:79], v[126:127], v[78:79], -v[80:81]
	s_wait_loadcnt_dscnt 0x801
	v_mul_f64_e32 v[108:109], v[70:71], v[84:85]
	v_mul_f64_e32 v[84:85], v[72:73], v[84:85]
	v_add_f64_e32 v[12:13], v[12:13], v[132:133]
	v_add_f64_e32 v[4:5], v[4:5], v[106:107]
	s_wait_loadcnt_dscnt 0x700
	v_mul_f64_e32 v[106:107], v[74:75], v[88:89]
	v_mul_f64_e32 v[88:89], v[76:77], v[88:89]
	v_fmac_f64_e32 v[108:109], v[72:73], v[82:83]
	v_fma_f64 v[82:83], v[70:71], v[82:83], -v[84:85]
	v_add_f64_e32 v[12:13], v[12:13], v[118:119]
	v_add_f64_e32 v[4:5], v[4:5], v[78:79]
	ds_load_b128 v[70:73], v2 offset:784
	ds_load_b128 v[78:81], v2 offset:800
	v_fmac_f64_e32 v[106:107], v[76:77], v[86:87]
	v_fma_f64 v[74:75], v[74:75], v[86:87], -v[88:89]
	s_wait_loadcnt_dscnt 0x601
	v_mul_f64_e32 v[84:85], v[70:71], v[92:93]
	v_mul_f64_e32 v[92:93], v[72:73], v[92:93]
	s_wait_loadcnt_dscnt 0x500
	v_mul_f64_e32 v[86:87], v[80:81], v[96:97]
	v_add_f64_e32 v[12:13], v[12:13], v[108:109]
	v_add_f64_e32 v[4:5], v[4:5], v[82:83]
	v_mul_f64_e32 v[82:83], v[78:79], v[96:97]
	v_fmac_f64_e32 v[84:85], v[72:73], v[90:91]
	v_fma_f64 v[88:89], v[70:71], v[90:91], -v[92:93]
	v_fma_f64 v[78:79], v[78:79], v[94:95], -v[86:87]
	v_add_f64_e32 v[12:13], v[12:13], v[106:107]
	v_add_f64_e32 v[4:5], v[4:5], v[74:75]
	ds_load_b128 v[70:73], v2 offset:816
	ds_load_b128 v[74:77], v2 offset:832
	v_fmac_f64_e32 v[82:83], v[80:81], v[94:95]
	s_wait_loadcnt_dscnt 0x401
	v_mul_f64_e32 v[90:91], v[70:71], v[100:101]
	v_mul_f64_e32 v[92:93], v[72:73], v[100:101]
	s_wait_loadcnt_dscnt 0x300
	v_mul_f64_e32 v[86:87], v[76:77], v[104:105]
	v_add_f64_e32 v[12:13], v[12:13], v[84:85]
	v_add_f64_e32 v[4:5], v[4:5], v[88:89]
	v_mul_f64_e32 v[84:85], v[74:75], v[104:105]
	v_fmac_f64_e32 v[90:91], v[72:73], v[98:99]
	v_fma_f64 v[88:89], v[70:71], v[98:99], -v[92:93]
	v_fma_f64 v[74:75], v[74:75], v[102:103], -v[86:87]
	v_add_f64_e32 v[12:13], v[12:13], v[82:83]
	v_add_f64_e32 v[4:5], v[4:5], v[78:79]
	ds_load_b128 v[70:73], v2 offset:848
	ds_load_b128 v[78:81], v2 offset:864
	v_fmac_f64_e32 v[84:85], v[76:77], v[102:103]
	s_wait_loadcnt_dscnt 0x201
	v_mul_f64_e32 v[82:83], v[70:71], v[112:113]
	v_mul_f64_e32 v[92:93], v[72:73], v[112:113]
	s_wait_loadcnt_dscnt 0x100
	v_mul_f64_e32 v[76:77], v[78:79], v[10:11]
	v_add_f64_e32 v[12:13], v[12:13], v[90:91]
	v_add_f64_e32 v[4:5], v[4:5], v[88:89]
	v_mul_f64_e32 v[86:87], v[80:81], v[10:11]
	v_fmac_f64_e32 v[82:83], v[72:73], v[110:111]
	v_fma_f64 v[70:71], v[70:71], v[110:111], -v[92:93]
	v_fmac_f64_e32 v[76:77], v[80:81], v[8:9]
	v_add_f64_e32 v[72:73], v[12:13], v[84:85]
	v_add_f64_e32 v[4:5], v[4:5], v[74:75]
	ds_load_b128 v[10:13], v2 offset:880
	v_fma_f64 v[8:9], v[78:79], v[8:9], -v[86:87]
	s_wait_loadcnt_dscnt 0x0
	v_mul_f64_e32 v[74:75], v[10:11], v[124:125]
	v_mul_f64_e32 v[84:85], v[12:13], v[124:125]
	v_add_f64_e32 v[4:5], v[4:5], v[70:71]
	v_add_f64_e32 v[70:71], v[72:73], v[82:83]
	s_delay_alu instid0(VALU_DEP_4) | instskip(NEXT) | instid1(VALU_DEP_4)
	v_fmac_f64_e32 v[74:75], v[12:13], v[122:123]
	v_fma_f64 v[10:11], v[10:11], v[122:123], -v[84:85]
	s_delay_alu instid0(VALU_DEP_4) | instskip(NEXT) | instid1(VALU_DEP_4)
	v_add_f64_e32 v[4:5], v[4:5], v[8:9]
	v_add_f64_e32 v[8:9], v[70:71], v[76:77]
	s_delay_alu instid0(VALU_DEP_2) | instskip(NEXT) | instid1(VALU_DEP_2)
	v_add_f64_e32 v[4:5], v[4:5], v[10:11]
	v_add_f64_e32 v[10:11], v[8:9], v[74:75]
	s_delay_alu instid0(VALU_DEP_2) | instskip(NEXT) | instid1(VALU_DEP_2)
	v_add_f64_e64 v[8:9], v[114:115], -v[4:5]
	v_add_f64_e64 v[10:11], v[116:117], -v[10:11]
	scratch_store_b128 off, v[8:11], off offset:32
	s_wait_xcnt 0x0
	v_cmpx_lt_u32_e32 1, v1
	s_cbranch_execz .LBB27_179
; %bb.178:
	scratch_load_b128 v[8:11], off, s14
	v_dual_mov_b32 v3, v2 :: v_dual_mov_b32 v4, v2
	v_mov_b32_e32 v5, v2
	scratch_store_b128 off, v[2:5], off offset:16
	s_wait_loadcnt 0x0
	ds_store_b128 v6, v[8:11]
.LBB27_179:
	s_wait_xcnt 0x0
	s_or_b32 exec_lo, exec_lo, s2
	s_wait_storecnt_dscnt 0x0
	s_barrier_signal -1
	s_barrier_wait -1
	s_clause 0x9
	scratch_load_b128 v[8:11], off, off offset:32
	scratch_load_b128 v[70:73], off, off offset:48
	;; [unrolled: 1-line block ×10, first 2 shown]
	ds_load_b128 v[106:109], v2 offset:480
	s_clause 0x2
	scratch_load_b128 v[110:113], off, off offset:192
	scratch_load_b128 v[114:117], off, off offset:208
	;; [unrolled: 1-line block ×3, first 2 shown]
	s_mov_b32 s2, exec_lo
	s_wait_loadcnt_dscnt 0xc00
	v_mul_f64_e32 v[4:5], v[108:109], v[10:11]
	v_mul_f64_e32 v[122:123], v[106:107], v[10:11]
	ds_load_b128 v[10:13], v2 offset:496
	v_fma_f64 v[4:5], v[106:107], v[8:9], -v[4:5]
	v_fmac_f64_e32 v[122:123], v[108:109], v[8:9]
	ds_load_b128 v[106:109], v2 offset:512
	s_wait_loadcnt_dscnt 0xb01
	v_mul_f64_e32 v[124:125], v[10:11], v[72:73]
	v_mul_f64_e32 v[72:73], v[12:13], v[72:73]
	s_wait_loadcnt_dscnt 0xa00
	v_mul_f64_e32 v[126:127], v[106:107], v[76:77]
	v_mul_f64_e32 v[76:77], v[108:109], v[76:77]
	v_add_f64_e32 v[4:5], 0, v[4:5]
	v_add_f64_e32 v[122:123], 0, v[122:123]
	v_fmac_f64_e32 v[124:125], v[12:13], v[70:71]
	v_fma_f64 v[12:13], v[10:11], v[70:71], -v[72:73]
	ds_load_b128 v[8:11], v2 offset:528
	scratch_load_b128 v[70:73], off, off offset:240
	v_fmac_f64_e32 v[126:127], v[108:109], v[74:75]
	v_fma_f64 v[130:131], v[106:107], v[74:75], -v[76:77]
	ds_load_b128 v[74:77], v2 offset:544
	s_wait_loadcnt_dscnt 0xa01
	v_mul_f64_e32 v[128:129], v[8:9], v[80:81]
	v_mul_f64_e32 v[80:81], v[10:11], v[80:81]
	scratch_load_b128 v[106:109], off, off offset:256
	v_add_f64_e32 v[4:5], v[4:5], v[12:13]
	v_add_f64_e32 v[12:13], v[122:123], v[124:125]
	s_wait_loadcnt_dscnt 0xa00
	v_mul_f64_e32 v[122:123], v[74:75], v[84:85]
	v_mul_f64_e32 v[84:85], v[76:77], v[84:85]
	v_fmac_f64_e32 v[128:129], v[10:11], v[78:79]
	v_fma_f64 v[124:125], v[8:9], v[78:79], -v[80:81]
	ds_load_b128 v[8:11], v2 offset:560
	scratch_load_b128 v[78:81], off, off offset:272
	v_add_f64_e32 v[4:5], v[4:5], v[130:131]
	v_add_f64_e32 v[12:13], v[12:13], v[126:127]
	v_fmac_f64_e32 v[122:123], v[76:77], v[82:83]
	v_fma_f64 v[130:131], v[74:75], v[82:83], -v[84:85]
	ds_load_b128 v[74:77], v2 offset:576
	s_wait_loadcnt_dscnt 0xa01
	v_mul_f64_e32 v[126:127], v[8:9], v[88:89]
	v_mul_f64_e32 v[88:89], v[10:11], v[88:89]
	scratch_load_b128 v[82:85], off, off offset:288
	v_add_f64_e32 v[4:5], v[4:5], v[124:125]
	v_add_f64_e32 v[12:13], v[12:13], v[128:129]
	s_wait_loadcnt_dscnt 0xa00
	v_mul_f64_e32 v[124:125], v[74:75], v[92:93]
	v_mul_f64_e32 v[92:93], v[76:77], v[92:93]
	v_fmac_f64_e32 v[126:127], v[10:11], v[86:87]
	v_fma_f64 v[128:129], v[8:9], v[86:87], -v[88:89]
	ds_load_b128 v[8:11], v2 offset:592
	scratch_load_b128 v[86:89], off, off offset:304
	v_add_f64_e32 v[4:5], v[4:5], v[130:131]
	v_add_f64_e32 v[12:13], v[12:13], v[122:123]
	v_fmac_f64_e32 v[124:125], v[76:77], v[90:91]
	v_fma_f64 v[130:131], v[74:75], v[90:91], -v[92:93]
	ds_load_b128 v[74:77], v2 offset:608
	s_wait_loadcnt_dscnt 0xa01
	v_mul_f64_e32 v[122:123], v[8:9], v[96:97]
	v_mul_f64_e32 v[96:97], v[10:11], v[96:97]
	scratch_load_b128 v[90:93], off, off offset:320
	v_add_f64_e32 v[4:5], v[4:5], v[128:129]
	v_add_f64_e32 v[12:13], v[12:13], v[126:127]
	s_wait_loadcnt_dscnt 0xa00
	v_mul_f64_e32 v[126:127], v[74:75], v[100:101]
	v_mul_f64_e32 v[100:101], v[76:77], v[100:101]
	v_fmac_f64_e32 v[122:123], v[10:11], v[94:95]
	v_fma_f64 v[128:129], v[8:9], v[94:95], -v[96:97]
	ds_load_b128 v[8:11], v2 offset:624
	scratch_load_b128 v[94:97], off, off offset:336
	v_add_f64_e32 v[4:5], v[4:5], v[130:131]
	v_add_f64_e32 v[12:13], v[12:13], v[124:125]
	v_fmac_f64_e32 v[126:127], v[76:77], v[98:99]
	v_fma_f64 v[130:131], v[74:75], v[98:99], -v[100:101]
	ds_load_b128 v[74:77], v2 offset:640
	s_wait_loadcnt_dscnt 0xa01
	v_mul_f64_e32 v[124:125], v[8:9], v[104:105]
	v_mul_f64_e32 v[104:105], v[10:11], v[104:105]
	scratch_load_b128 v[98:101], off, off offset:352
	v_add_f64_e32 v[4:5], v[4:5], v[128:129]
	v_add_f64_e32 v[12:13], v[12:13], v[122:123]
	s_wait_loadcnt_dscnt 0xa00
	v_mul_f64_e32 v[122:123], v[74:75], v[112:113]
	v_mul_f64_e32 v[112:113], v[76:77], v[112:113]
	v_fmac_f64_e32 v[124:125], v[10:11], v[102:103]
	v_fma_f64 v[128:129], v[8:9], v[102:103], -v[104:105]
	ds_load_b128 v[8:11], v2 offset:656
	scratch_load_b128 v[102:105], off, off offset:368
	v_add_f64_e32 v[4:5], v[4:5], v[130:131]
	v_add_f64_e32 v[12:13], v[12:13], v[126:127]
	v_fmac_f64_e32 v[122:123], v[76:77], v[110:111]
	v_fma_f64 v[130:131], v[74:75], v[110:111], -v[112:113]
	ds_load_b128 v[74:77], v2 offset:672
	s_wait_loadcnt_dscnt 0xa01
	v_mul_f64_e32 v[126:127], v[8:9], v[116:117]
	v_mul_f64_e32 v[116:117], v[10:11], v[116:117]
	scratch_load_b128 v[110:113], off, off offset:384
	v_add_f64_e32 v[4:5], v[4:5], v[128:129]
	v_add_f64_e32 v[12:13], v[12:13], v[124:125]
	s_wait_loadcnt_dscnt 0xa00
	v_mul_f64_e32 v[124:125], v[74:75], v[120:121]
	v_mul_f64_e32 v[120:121], v[76:77], v[120:121]
	v_fmac_f64_e32 v[126:127], v[10:11], v[114:115]
	v_fma_f64 v[128:129], v[8:9], v[114:115], -v[116:117]
	ds_load_b128 v[8:11], v2 offset:688
	scratch_load_b128 v[114:117], off, off offset:400
	v_add_f64_e32 v[4:5], v[4:5], v[130:131]
	v_add_f64_e32 v[12:13], v[12:13], v[122:123]
	s_wait_loadcnt_dscnt 0xa00
	v_mul_f64_e32 v[130:131], v[8:9], v[72:73]
	v_mul_f64_e32 v[122:123], v[10:11], v[72:73]
	v_fmac_f64_e32 v[124:125], v[76:77], v[118:119]
	v_fma_f64 v[76:77], v[74:75], v[118:119], -v[120:121]
	ds_load_b128 v[72:75], v2 offset:704
	scratch_load_b128 v[118:121], off, off offset:416
	v_add_f64_e32 v[4:5], v[4:5], v[128:129]
	v_add_f64_e32 v[12:13], v[12:13], v[126:127]
	v_fmac_f64_e32 v[130:131], v[10:11], v[70:71]
	v_fma_f64 v[70:71], v[8:9], v[70:71], -v[122:123]
	ds_load_b128 v[8:11], v2 offset:720
	s_wait_loadcnt_dscnt 0xa01
	v_mul_f64_e32 v[126:127], v[72:73], v[108:109]
	v_mul_f64_e32 v[108:109], v[74:75], v[108:109]
	v_add_f64_e32 v[4:5], v[4:5], v[76:77]
	v_add_f64_e32 v[12:13], v[12:13], v[124:125]
	s_wait_loadcnt_dscnt 0x900
	v_mul_f64_e32 v[76:77], v[8:9], v[80:81]
	scratch_load_b128 v[122:125], off, off offset:432
	v_mul_f64_e32 v[80:81], v[10:11], v[80:81]
	v_fmac_f64_e32 v[126:127], v[74:75], v[106:107]
	v_fma_f64 v[74:75], v[72:73], v[106:107], -v[108:109]
	v_add_f64_e32 v[4:5], v[4:5], v[70:71]
	v_add_f64_e32 v[12:13], v[12:13], v[130:131]
	v_fmac_f64_e32 v[76:77], v[10:11], v[78:79]
	ds_load_b128 v[70:73], v2 offset:736
	v_fma_f64 v[78:79], v[8:9], v[78:79], -v[80:81]
	ds_load_b128 v[8:11], v2 offset:752
	s_wait_loadcnt_dscnt 0x800
	v_mul_f64_e32 v[80:81], v[8:9], v[88:89]
	v_mul_f64_e32 v[88:89], v[10:11], v[88:89]
	v_add_f64_e32 v[4:5], v[4:5], v[74:75]
	v_add_f64_e32 v[12:13], v[12:13], v[126:127]
	s_delay_alu instid0(VALU_DEP_4) | instskip(NEXT) | instid1(VALU_DEP_4)
	v_fmac_f64_e32 v[80:81], v[10:11], v[86:87]
	v_fma_f64 v[86:87], v[8:9], v[86:87], -v[88:89]
	ds_load_b128 v[8:11], v2 offset:784
	v_add_f64_e32 v[4:5], v[4:5], v[78:79]
	v_add_f64_e32 v[12:13], v[12:13], v[76:77]
	scratch_load_b128 v[74:77], off, off offset:16
	v_mul_f64_e32 v[106:107], v[70:71], v[84:85]
	v_mul_f64_e32 v[84:85], v[72:73], v[84:85]
	s_wait_loadcnt_dscnt 0x700
	v_mul_f64_e32 v[88:89], v[10:11], v[96:97]
	s_delay_alu instid0(VALU_DEP_3) | instskip(NEXT) | instid1(VALU_DEP_3)
	v_fmac_f64_e32 v[106:107], v[72:73], v[82:83]
	v_fma_f64 v[82:83], v[70:71], v[82:83], -v[84:85]
	ds_load_b128 v[70:73], v2 offset:768
	v_fma_f64 v[88:89], v[8:9], v[94:95], -v[88:89]
	s_wait_dscnt 0x0
	v_mul_f64_e32 v[78:79], v[70:71], v[92:93]
	v_mul_f64_e32 v[84:85], v[72:73], v[92:93]
	v_add_f64_e32 v[12:13], v[12:13], v[106:107]
	v_add_f64_e32 v[4:5], v[4:5], v[82:83]
	v_mul_f64_e32 v[82:83], v[8:9], v[96:97]
	v_fmac_f64_e32 v[78:79], v[72:73], v[90:91]
	v_fma_f64 v[84:85], v[70:71], v[90:91], -v[84:85]
	ds_load_b128 v[70:73], v2 offset:800
	v_add_f64_e32 v[12:13], v[12:13], v[80:81]
	v_add_f64_e32 v[4:5], v[4:5], v[86:87]
	v_fmac_f64_e32 v[82:83], v[10:11], v[94:95]
	ds_load_b128 v[8:11], v2 offset:816
	s_wait_loadcnt_dscnt 0x601
	v_mul_f64_e32 v[80:81], v[70:71], v[100:101]
	v_mul_f64_e32 v[86:87], v[72:73], v[100:101]
	v_add_f64_e32 v[12:13], v[12:13], v[78:79]
	v_add_f64_e32 v[4:5], v[4:5], v[84:85]
	s_wait_loadcnt_dscnt 0x500
	v_mul_f64_e32 v[78:79], v[8:9], v[104:105]
	v_mul_f64_e32 v[84:85], v[10:11], v[104:105]
	v_fmac_f64_e32 v[80:81], v[72:73], v[98:99]
	v_fma_f64 v[86:87], v[70:71], v[98:99], -v[86:87]
	ds_load_b128 v[70:73], v2 offset:832
	v_add_f64_e32 v[12:13], v[12:13], v[82:83]
	v_add_f64_e32 v[4:5], v[4:5], v[88:89]
	v_fmac_f64_e32 v[78:79], v[10:11], v[102:103]
	v_fma_f64 v[84:85], v[8:9], v[102:103], -v[84:85]
	ds_load_b128 v[8:11], v2 offset:848
	s_wait_loadcnt_dscnt 0x401
	v_mul_f64_e32 v[82:83], v[70:71], v[112:113]
	v_mul_f64_e32 v[88:89], v[72:73], v[112:113]
	v_add_f64_e32 v[12:13], v[12:13], v[80:81]
	v_add_f64_e32 v[4:5], v[4:5], v[86:87]
	s_wait_loadcnt_dscnt 0x300
	v_mul_f64_e32 v[80:81], v[8:9], v[116:117]
	v_mul_f64_e32 v[86:87], v[10:11], v[116:117]
	v_fmac_f64_e32 v[82:83], v[72:73], v[110:111]
	v_fma_f64 v[88:89], v[70:71], v[110:111], -v[88:89]
	ds_load_b128 v[70:73], v2 offset:864
	v_add_f64_e32 v[12:13], v[12:13], v[78:79]
	v_add_f64_e32 v[4:5], v[4:5], v[84:85]
	s_wait_loadcnt_dscnt 0x200
	v_mul_f64_e32 v[78:79], v[70:71], v[120:121]
	v_mul_f64_e32 v[84:85], v[72:73], v[120:121]
	v_fmac_f64_e32 v[80:81], v[10:11], v[114:115]
	v_fma_f64 v[8:9], v[8:9], v[114:115], -v[86:87]
	v_add_f64_e32 v[12:13], v[12:13], v[82:83]
	v_add_f64_e32 v[10:11], v[4:5], v[88:89]
	ds_load_b128 v[2:5], v2 offset:880
	v_fmac_f64_e32 v[78:79], v[72:73], v[118:119]
	v_fma_f64 v[70:71], v[70:71], v[118:119], -v[84:85]
	s_wait_loadcnt_dscnt 0x100
	v_mul_f64_e32 v[82:83], v[2:3], v[124:125]
	v_mul_f64_e32 v[86:87], v[4:5], v[124:125]
	v_add_f64_e32 v[8:9], v[10:11], v[8:9]
	v_add_f64_e32 v[10:11], v[12:13], v[80:81]
	s_delay_alu instid0(VALU_DEP_4) | instskip(NEXT) | instid1(VALU_DEP_4)
	v_fmac_f64_e32 v[82:83], v[4:5], v[122:123]
	v_fma_f64 v[2:3], v[2:3], v[122:123], -v[86:87]
	s_delay_alu instid0(VALU_DEP_4) | instskip(NEXT) | instid1(VALU_DEP_4)
	v_add_f64_e32 v[4:5], v[8:9], v[70:71]
	v_add_f64_e32 v[8:9], v[10:11], v[78:79]
	s_delay_alu instid0(VALU_DEP_2) | instskip(NEXT) | instid1(VALU_DEP_2)
	v_add_f64_e32 v[2:3], v[4:5], v[2:3]
	v_add_f64_e32 v[4:5], v[8:9], v[82:83]
	s_wait_loadcnt 0x0
	s_delay_alu instid0(VALU_DEP_2) | instskip(NEXT) | instid1(VALU_DEP_2)
	v_add_f64_e64 v[2:3], v[74:75], -v[2:3]
	v_add_f64_e64 v[4:5], v[76:77], -v[4:5]
	scratch_store_b128 off, v[2:5], off offset:16
	s_wait_xcnt 0x0
	v_cmpx_ne_u32_e32 0, v1
	s_cbranch_execz .LBB27_181
; %bb.180:
	scratch_load_b128 v[2:5], off, off
	v_mov_b32_e32 v8, 0
	s_delay_alu instid0(VALU_DEP_1)
	v_dual_mov_b32 v9, v8 :: v_dual_mov_b32 v10, v8
	v_mov_b32_e32 v11, v8
	scratch_store_b128 off, v[8:11], off
	s_wait_loadcnt 0x0
	ds_store_b128 v6, v[2:5]
.LBB27_181:
	s_wait_xcnt 0x0
	s_or_b32 exec_lo, exec_lo, s2
	s_wait_storecnt_dscnt 0x0
	s_barrier_signal -1
	s_barrier_wait -1
	s_clause 0x9
	scratch_load_b128 v[2:5], off, off offset:16
	scratch_load_b128 v[6:9], off, off offset:32
	;; [unrolled: 1-line block ×10, first 2 shown]
	v_mov_b32_e32 v76, 0
	s_and_b32 vcc_lo, exec_lo, s40
	ds_load_b128 v[102:105], v76 offset:464
	s_clause 0x2
	scratch_load_b128 v[106:109], off, off offset:176
	scratch_load_b128 v[110:113], off, off
	scratch_load_b128 v[118:121], off, off offset:192
	s_wait_loadcnt_dscnt 0xc00
	v_mul_f64_e32 v[74:75], v[104:105], v[4:5]
	v_mul_f64_e32 v[126:127], v[102:103], v[4:5]
	ds_load_b128 v[114:117], v76 offset:480
	ds_load_b128 v[122:125], v76 offset:512
	v_fma_f64 v[74:75], v[102:103], v[2:3], -v[74:75]
	v_fmac_f64_e32 v[126:127], v[104:105], v[2:3]
	ds_load_b128 v[2:5], v76 offset:496
	s_wait_loadcnt_dscnt 0xb02
	v_mul_f64_e32 v[128:129], v[114:115], v[8:9]
	v_mul_f64_e32 v[8:9], v[116:117], v[8:9]
	scratch_load_b128 v[102:105], off, off offset:208
	s_wait_loadcnt_dscnt 0xb00
	v_mul_f64_e32 v[130:131], v[2:3], v[12:13]
	v_mul_f64_e32 v[12:13], v[4:5], v[12:13]
	v_add_f64_e32 v[74:75], 0, v[74:75]
	v_fmac_f64_e32 v[128:129], v[116:117], v[6:7]
	v_fma_f64 v[114:115], v[114:115], v[6:7], -v[8:9]
	v_add_f64_e32 v[116:117], 0, v[126:127]
	scratch_load_b128 v[6:9], off, off offset:224
	v_fmac_f64_e32 v[130:131], v[4:5], v[10:11]
	v_fma_f64 v[134:135], v[2:3], v[10:11], -v[12:13]
	ds_load_b128 v[2:5], v76 offset:528
	s_wait_loadcnt 0xb
	v_mul_f64_e32 v[126:127], v[122:123], v[72:73]
	v_mul_f64_e32 v[132:133], v[124:125], v[72:73]
	scratch_load_b128 v[10:13], off, off offset:240
	v_add_f64_e32 v[114:115], v[74:75], v[114:115]
	v_add_f64_e32 v[116:117], v[116:117], v[128:129]
	ds_load_b128 v[72:75], v76 offset:544
	s_wait_loadcnt_dscnt 0xb01
	v_mul_f64_e32 v[128:129], v[2:3], v[80:81]
	v_mul_f64_e32 v[80:81], v[4:5], v[80:81]
	v_fmac_f64_e32 v[126:127], v[124:125], v[70:71]
	v_fma_f64 v[70:71], v[122:123], v[70:71], -v[132:133]
	v_add_f64_e32 v[122:123], v[114:115], v[134:135]
	v_add_f64_e32 v[124:125], v[116:117], v[130:131]
	scratch_load_b128 v[114:117], off, off offset:256
	v_fmac_f64_e32 v[128:129], v[4:5], v[78:79]
	v_fma_f64 v[132:133], v[2:3], v[78:79], -v[80:81]
	ds_load_b128 v[2:5], v76 offset:560
	s_wait_loadcnt_dscnt 0xb01
	v_mul_f64_e32 v[130:131], v[72:73], v[84:85]
	v_mul_f64_e32 v[84:85], v[74:75], v[84:85]
	scratch_load_b128 v[78:81], off, off offset:272
	s_wait_loadcnt_dscnt 0xb00
	v_mul_f64_e32 v[134:135], v[2:3], v[88:89]
	v_mul_f64_e32 v[88:89], v[4:5], v[88:89]
	v_add_f64_e32 v[70:71], v[122:123], v[70:71]
	v_add_f64_e32 v[126:127], v[124:125], v[126:127]
	ds_load_b128 v[122:125], v76 offset:576
	v_fmac_f64_e32 v[130:131], v[74:75], v[82:83]
	v_fma_f64 v[74:75], v[72:73], v[82:83], -v[84:85]
	v_fmac_f64_e32 v[134:135], v[4:5], v[86:87]
	v_add_f64_e32 v[82:83], v[70:71], v[132:133]
	v_add_f64_e32 v[84:85], v[126:127], v[128:129]
	scratch_load_b128 v[70:73], off, off offset:288
	v_fma_f64 v[128:129], v[2:3], v[86:87], -v[88:89]
	ds_load_b128 v[2:5], v76 offset:592
	s_wait_loadcnt_dscnt 0xb01
	v_mul_f64_e32 v[126:127], v[122:123], v[92:93]
	v_mul_f64_e32 v[92:93], v[124:125], v[92:93]
	ds_load_b128 v[86:89], v76 offset:608
	s_wait_loadcnt_dscnt 0xa01
	v_mul_f64_e32 v[132:133], v[2:3], v[96:97]
	v_mul_f64_e32 v[96:97], v[4:5], v[96:97]
	v_add_f64_e32 v[74:75], v[82:83], v[74:75]
	v_add_f64_e32 v[130:131], v[84:85], v[130:131]
	scratch_load_b128 v[82:85], off, off offset:304
	v_fmac_f64_e32 v[126:127], v[124:125], v[90:91]
	v_fma_f64 v[122:123], v[122:123], v[90:91], -v[92:93]
	scratch_load_b128 v[90:93], off, off offset:320
	v_fmac_f64_e32 v[132:133], v[4:5], v[94:95]
	v_add_f64_e32 v[74:75], v[74:75], v[128:129]
	v_add_f64_e32 v[124:125], v[130:131], v[134:135]
	v_fma_f64 v[130:131], v[2:3], v[94:95], -v[96:97]
	ds_load_b128 v[2:5], v76 offset:624
	s_wait_loadcnt_dscnt 0xb01
	v_mul_f64_e32 v[128:129], v[86:87], v[100:101]
	v_mul_f64_e32 v[100:101], v[88:89], v[100:101]
	scratch_load_b128 v[94:97], off, off offset:336
	s_wait_loadcnt_dscnt 0xb00
	v_mul_f64_e32 v[134:135], v[2:3], v[108:109]
	v_mul_f64_e32 v[108:109], v[4:5], v[108:109]
	v_add_f64_e32 v[74:75], v[74:75], v[122:123]
	v_add_f64_e32 v[126:127], v[124:125], v[126:127]
	ds_load_b128 v[122:125], v76 offset:640
	v_fmac_f64_e32 v[128:129], v[88:89], v[98:99]
	v_fma_f64 v[98:99], v[86:87], v[98:99], -v[100:101]
	scratch_load_b128 v[86:89], off, off offset:352
	v_fmac_f64_e32 v[134:135], v[4:5], v[106:107]
	v_add_f64_e32 v[74:75], v[74:75], v[130:131]
	v_add_f64_e32 v[100:101], v[126:127], v[132:133]
	v_fma_f64 v[130:131], v[2:3], v[106:107], -v[108:109]
	ds_load_b128 v[2:5], v76 offset:656
	s_wait_loadcnt_dscnt 0xa01
	v_mul_f64_e32 v[126:127], v[122:123], v[120:121]
	v_mul_f64_e32 v[120:121], v[124:125], v[120:121]
	ds_load_b128 v[106:109], v76 offset:672
	v_add_f64_e32 v[74:75], v[74:75], v[98:99]
	v_add_f64_e32 v[128:129], v[100:101], v[128:129]
	scratch_load_b128 v[98:101], off, off offset:368
	s_wait_loadcnt_dscnt 0xa01
	v_mul_f64_e32 v[132:133], v[2:3], v[104:105]
	v_mul_f64_e32 v[104:105], v[4:5], v[104:105]
	v_fmac_f64_e32 v[126:127], v[124:125], v[118:119]
	v_fma_f64 v[122:123], v[122:123], v[118:119], -v[120:121]
	scratch_load_b128 v[118:121], off, off offset:384
	v_add_f64_e32 v[74:75], v[74:75], v[130:131]
	v_add_f64_e32 v[124:125], v[128:129], v[134:135]
	v_fmac_f64_e32 v[132:133], v[4:5], v[102:103]
	v_fma_f64 v[130:131], v[2:3], v[102:103], -v[104:105]
	ds_load_b128 v[2:5], v76 offset:688
	s_wait_loadcnt_dscnt 0xa01
	v_mul_f64_e32 v[128:129], v[106:107], v[8:9]
	v_mul_f64_e32 v[8:9], v[108:109], v[8:9]
	scratch_load_b128 v[102:105], off, off offset:400
	s_wait_loadcnt_dscnt 0xa00
	v_mul_f64_e32 v[134:135], v[2:3], v[12:13]
	v_mul_f64_e32 v[12:13], v[4:5], v[12:13]
	v_add_f64_e32 v[74:75], v[74:75], v[122:123]
	v_add_f64_e32 v[126:127], v[124:125], v[126:127]
	ds_load_b128 v[122:125], v76 offset:704
	v_fmac_f64_e32 v[128:129], v[108:109], v[6:7]
	v_fma_f64 v[106:107], v[106:107], v[6:7], -v[8:9]
	scratch_load_b128 v[6:9], off, off offset:416
	v_fmac_f64_e32 v[134:135], v[4:5], v[10:11]
	v_add_f64_e32 v[74:75], v[74:75], v[130:131]
	v_add_f64_e32 v[108:109], v[126:127], v[132:133]
	v_fma_f64 v[130:131], v[2:3], v[10:11], -v[12:13]
	ds_load_b128 v[2:5], v76 offset:720
	s_wait_loadcnt_dscnt 0xa01
	v_mul_f64_e32 v[126:127], v[122:123], v[116:117]
	v_mul_f64_e32 v[116:117], v[124:125], v[116:117]
	scratch_load_b128 v[10:13], off, off offset:432
	s_wait_loadcnt_dscnt 0xa00
	v_mul_f64_e32 v[132:133], v[2:3], v[80:81]
	v_mul_f64_e32 v[80:81], v[4:5], v[80:81]
	v_add_f64_e32 v[74:75], v[74:75], v[106:107]
	v_add_f64_e32 v[128:129], v[108:109], v[128:129]
	ds_load_b128 v[106:109], v76 offset:736
	v_fmac_f64_e32 v[126:127], v[124:125], v[114:115]
	v_fma_f64 v[114:115], v[122:123], v[114:115], -v[116:117]
	v_fmac_f64_e32 v[132:133], v[4:5], v[78:79]
	v_fma_f64 v[78:79], v[2:3], v[78:79], -v[80:81]
	v_add_f64_e32 v[74:75], v[74:75], v[130:131]
	v_add_f64_e32 v[116:117], v[128:129], v[134:135]
	s_wait_loadcnt_dscnt 0x900
	v_mul_f64_e32 v[122:123], v[106:107], v[72:73]
	v_mul_f64_e32 v[124:125], v[108:109], v[72:73]
	s_delay_alu instid0(VALU_DEP_4) | instskip(NEXT) | instid1(VALU_DEP_4)
	v_add_f64_e32 v[80:81], v[74:75], v[114:115]
	v_add_f64_e32 v[114:115], v[116:117], v[126:127]
	ds_load_b128 v[2:5], v76 offset:752
	ds_load_b128 v[72:75], v76 offset:768
	v_fmac_f64_e32 v[122:123], v[108:109], v[70:71]
	v_fma_f64 v[70:71], v[106:107], v[70:71], -v[124:125]
	s_wait_loadcnt_dscnt 0x801
	v_mul_f64_e32 v[116:117], v[2:3], v[84:85]
	v_mul_f64_e32 v[84:85], v[4:5], v[84:85]
	s_wait_loadcnt_dscnt 0x700
	v_mul_f64_e32 v[106:107], v[72:73], v[92:93]
	v_mul_f64_e32 v[92:93], v[74:75], v[92:93]
	v_add_f64_e32 v[78:79], v[80:81], v[78:79]
	v_add_f64_e32 v[80:81], v[114:115], v[132:133]
	v_fmac_f64_e32 v[116:117], v[4:5], v[82:83]
	v_fma_f64 v[82:83], v[2:3], v[82:83], -v[84:85]
	v_fmac_f64_e32 v[106:107], v[74:75], v[90:91]
	v_fma_f64 v[72:73], v[72:73], v[90:91], -v[92:93]
	v_add_f64_e32 v[70:71], v[78:79], v[70:71]
	v_add_f64_e32 v[84:85], v[80:81], v[122:123]
	ds_load_b128 v[2:5], v76 offset:784
	ds_load_b128 v[78:81], v76 offset:800
	s_wait_loadcnt_dscnt 0x601
	v_mul_f64_e32 v[108:109], v[2:3], v[96:97]
	v_mul_f64_e32 v[96:97], v[4:5], v[96:97]
	v_add_f64_e32 v[70:71], v[70:71], v[82:83]
	v_add_f64_e32 v[74:75], v[84:85], v[116:117]
	s_wait_loadcnt_dscnt 0x500
	v_mul_f64_e32 v[82:83], v[78:79], v[88:89]
	v_mul_f64_e32 v[84:85], v[80:81], v[88:89]
	v_fmac_f64_e32 v[108:109], v[4:5], v[94:95]
	v_fma_f64 v[88:89], v[2:3], v[94:95], -v[96:97]
	v_add_f64_e32 v[90:91], v[70:71], v[72:73]
	v_add_f64_e32 v[74:75], v[74:75], v[106:107]
	ds_load_b128 v[2:5], v76 offset:816
	ds_load_b128 v[70:73], v76 offset:832
	v_fmac_f64_e32 v[82:83], v[80:81], v[86:87]
	v_fma_f64 v[78:79], v[78:79], v[86:87], -v[84:85]
	s_wait_loadcnt_dscnt 0x401
	v_mul_f64_e32 v[92:93], v[2:3], v[100:101]
	v_mul_f64_e32 v[94:95], v[4:5], v[100:101]
	s_wait_loadcnt_dscnt 0x300
	v_mul_f64_e32 v[84:85], v[70:71], v[120:121]
	v_mul_f64_e32 v[86:87], v[72:73], v[120:121]
	v_add_f64_e32 v[80:81], v[90:91], v[88:89]
	v_add_f64_e32 v[74:75], v[74:75], v[108:109]
	v_fmac_f64_e32 v[92:93], v[4:5], v[98:99]
	v_fma_f64 v[88:89], v[2:3], v[98:99], -v[94:95]
	v_fmac_f64_e32 v[84:85], v[72:73], v[118:119]
	v_fma_f64 v[70:71], v[70:71], v[118:119], -v[86:87]
	v_add_f64_e32 v[90:91], v[80:81], v[78:79]
	v_add_f64_e32 v[74:75], v[74:75], v[82:83]
	ds_load_b128 v[2:5], v76 offset:848
	ds_load_b128 v[78:81], v76 offset:864
	s_wait_loadcnt_dscnt 0x201
	v_mul_f64_e32 v[82:83], v[2:3], v[104:105]
	v_mul_f64_e32 v[94:95], v[4:5], v[104:105]
	s_wait_loadcnt_dscnt 0x100
	v_mul_f64_e32 v[86:87], v[78:79], v[8:9]
	v_mul_f64_e32 v[8:9], v[80:81], v[8:9]
	v_add_f64_e32 v[72:73], v[90:91], v[88:89]
	v_add_f64_e32 v[74:75], v[74:75], v[92:93]
	v_fmac_f64_e32 v[82:83], v[4:5], v[102:103]
	v_fma_f64 v[88:89], v[2:3], v[102:103], -v[94:95]
	ds_load_b128 v[2:5], v76 offset:880
	v_fmac_f64_e32 v[86:87], v[80:81], v[6:7]
	v_fma_f64 v[6:7], v[78:79], v[6:7], -v[8:9]
	v_add_f64_e32 v[70:71], v[72:73], v[70:71]
	v_add_f64_e32 v[72:73], v[74:75], v[84:85]
	s_wait_loadcnt_dscnt 0x0
	v_mul_f64_e32 v[74:75], v[2:3], v[12:13]
	v_mul_f64_e32 v[12:13], v[4:5], v[12:13]
	s_delay_alu instid0(VALU_DEP_4) | instskip(NEXT) | instid1(VALU_DEP_4)
	v_add_f64_e32 v[8:9], v[70:71], v[88:89]
	v_add_f64_e32 v[70:71], v[72:73], v[82:83]
	v_lshl_add_u64 v[72:73], v[18:19], 4, s[4:5]
	v_lshl_add_u64 v[18:19], v[36:37], 4, s[4:5]
	;; [unrolled: 1-line block ×3, first 2 shown]
	v_fmac_f64_e32 v[74:75], v[4:5], v[10:11]
	v_fma_f64 v[2:3], v[2:3], v[10:11], -v[12:13]
	v_lshl_add_u64 v[10:11], v[32:33], 4, s[4:5]
	v_lshl_add_u64 v[12:13], v[34:35], 4, s[4:5]
	;; [unrolled: 1-line block ×5, first 2 shown]
	v_add_f64_e32 v[4:5], v[8:9], v[6:7]
	v_add_f64_e32 v[6:7], v[70:71], v[86:87]
	v_lshl_add_u64 v[70:71], v[22:23], 4, s[4:5]
	v_lshl_add_u64 v[8:9], v[30:31], 4, s[4:5]
	;; [unrolled: 1-line block ×6, first 2 shown]
	v_add_f64_e32 v[2:3], v[4:5], v[2:3]
	v_add_f64_e32 v[4:5], v[6:7], v[74:75]
	v_lshl_add_u64 v[74:75], v[20:21], 4, s[4:5]
	v_lshl_add_u64 v[6:7], v[28:29], 4, s[4:5]
	v_lshl_add_u64 v[20:21], v[38:39], 4, s[4:5]
	v_lshl_add_u64 v[28:29], v[46:47], 4, s[4:5]
	v_lshl_add_u64 v[38:39], v[56:57], 4, s[4:5]
	v_lshl_add_u64 v[46:47], v[64:65], 4, s[4:5]
	v_add_f64_e64 v[78:79], v[110:111], -v[2:3]
	v_add_f64_e64 v[80:81], v[112:113], -v[4:5]
	v_lshl_add_u64 v[2:3], v[24:25], 4, s[4:5]
	v_lshl_add_u64 v[4:5], v[26:27], 4, s[4:5]
	;; [unrolled: 1-line block ×6, first 2 shown]
	scratch_store_b128 off, v[78:81], off
	s_cbranch_vccz .LBB27_236
; %bb.182:
	global_load_b32 v52, v76, s[16:17] offset:104
	s_load_b64 s[2:3], s[0:1], 0x4
	v_bfe_u32 v53, v0, 10, 10
	v_bfe_u32 v0, v0, 20, 10
	s_wait_kmcnt 0x0
	s_lshr_b32 s0, s2, 16
	s_delay_alu instid0(VALU_DEP_2) | instskip(SKIP_1) | instid1(SALU_CYCLE_1)
	v_mul_u32_u24_e32 v53, s3, v53
	s_mul_i32 s0, s0, s3
	v_mul_u32_u24_e32 v1, s0, v1
	s_delay_alu instid0(VALU_DEP_1) | instskip(NEXT) | instid1(VALU_DEP_1)
	v_add3_u32 v0, v1, v53, v0
	v_lshl_add_u32 v0, v0, 4, 0x388
	s_wait_loadcnt 0x0
	v_cmp_ne_u32_e32 vcc_lo, 27, v52
	s_cbranch_vccz .LBB27_184
; %bb.183:
	v_lshlrev_b32_e32 v1, 4, v52
	s_clause 0x1
	scratch_load_b128 v[52:55], off, s22
	scratch_load_b128 v[56:59], v1, off offset:-16
	s_wait_loadcnt 0x1
	ds_store_2addr_b64 v0, v[52:53], v[54:55] offset1:1
	s_wait_loadcnt 0x0
	s_clause 0x1
	scratch_store_b128 off, v[56:59], s22
	scratch_store_b128 v1, v[52:55], off offset:-16
.LBB27_184:
	s_wait_xcnt 0x0
	v_mov_b32_e32 v1, 0
	global_load_b32 v52, v1, s[16:17] offset:100
	s_wait_loadcnt 0x0
	v_cmp_eq_u32_e32 vcc_lo, 26, v52
	s_cbranch_vccnz .LBB27_186
; %bb.185:
	v_lshlrev_b32_e32 v52, 4, v52
	s_delay_alu instid0(VALU_DEP_1)
	v_mov_b32_e32 v60, v52
	s_clause 0x1
	scratch_load_b128 v[52:55], off, s21
	scratch_load_b128 v[56:59], v60, off offset:-16
	s_wait_loadcnt 0x1
	ds_store_2addr_b64 v0, v[52:53], v[54:55] offset1:1
	s_wait_loadcnt 0x0
	s_clause 0x1
	scratch_store_b128 off, v[56:59], s21
	scratch_store_b128 v60, v[52:55], off offset:-16
.LBB27_186:
	global_load_b32 v1, v1, s[16:17] offset:96
	s_wait_loadcnt 0x0
	v_cmp_eq_u32_e32 vcc_lo, 25, v1
	s_cbranch_vccnz .LBB27_188
; %bb.187:
	s_wait_xcnt 0x0
	v_lshlrev_b32_e32 v1, 4, v1
	s_clause 0x1
	scratch_load_b128 v[52:55], off, s24
	scratch_load_b128 v[56:59], v1, off offset:-16
	s_wait_loadcnt 0x1
	ds_store_2addr_b64 v0, v[52:53], v[54:55] offset1:1
	s_wait_loadcnt 0x0
	s_clause 0x1
	scratch_store_b128 off, v[56:59], s24
	scratch_store_b128 v1, v[52:55], off offset:-16
.LBB27_188:
	s_wait_xcnt 0x0
	v_mov_b32_e32 v1, 0
	global_load_b32 v52, v1, s[16:17] offset:92
	s_wait_loadcnt 0x0
	v_cmp_eq_u32_e32 vcc_lo, 24, v52
	s_cbranch_vccnz .LBB27_190
; %bb.189:
	v_lshlrev_b32_e32 v52, 4, v52
	s_delay_alu instid0(VALU_DEP_1)
	v_mov_b32_e32 v60, v52
	s_clause 0x1
	scratch_load_b128 v[52:55], off, s23
	scratch_load_b128 v[56:59], v60, off offset:-16
	s_wait_loadcnt 0x1
	ds_store_2addr_b64 v0, v[52:53], v[54:55] offset1:1
	s_wait_loadcnt 0x0
	s_clause 0x1
	scratch_store_b128 off, v[56:59], s23
	scratch_store_b128 v60, v[52:55], off offset:-16
.LBB27_190:
	global_load_b32 v1, v1, s[16:17] offset:88
	s_wait_loadcnt 0x0
	v_cmp_eq_u32_e32 vcc_lo, 23, v1
	s_cbranch_vccnz .LBB27_192
; %bb.191:
	s_wait_xcnt 0x0
	v_lshlrev_b32_e32 v1, 4, v1
	s_clause 0x1
	scratch_load_b128 v[52:55], off, s26
	scratch_load_b128 v[56:59], v1, off offset:-16
	s_wait_loadcnt 0x1
	ds_store_2addr_b64 v0, v[52:53], v[54:55] offset1:1
	s_wait_loadcnt 0x0
	s_clause 0x1
	scratch_store_b128 off, v[56:59], s26
	scratch_store_b128 v1, v[52:55], off offset:-16
.LBB27_192:
	;; [unrolled: 37-line block ×12, first 2 shown]
	s_wait_xcnt 0x0
	v_mov_b32_e32 v1, 0
	global_load_b32 v52, v1, s[16:17] offset:4
	s_wait_loadcnt 0x0
	v_cmp_eq_u32_e32 vcc_lo, 2, v52
	s_cbranch_vccnz .LBB27_234
; %bb.233:
	v_lshlrev_b32_e32 v52, 4, v52
	s_delay_alu instid0(VALU_DEP_1)
	v_mov_b32_e32 v60, v52
	s_clause 0x1
	scratch_load_b128 v[52:55], off, s14
	scratch_load_b128 v[56:59], v60, off offset:-16
	s_wait_loadcnt 0x1
	ds_store_2addr_b64 v0, v[52:53], v[54:55] offset1:1
	s_wait_loadcnt 0x0
	s_clause 0x1
	scratch_store_b128 off, v[56:59], s14
	scratch_store_b128 v60, v[52:55], off offset:-16
.LBB27_234:
	global_load_b32 v1, v1, s[16:17]
	s_wait_loadcnt 0x0
	v_cmp_eq_u32_e32 vcc_lo, 1, v1
	s_cbranch_vccnz .LBB27_236
; %bb.235:
	s_wait_xcnt 0x0
	v_lshlrev_b32_e32 v1, 4, v1
	scratch_load_b128 v[52:55], off, off
	scratch_load_b128 v[56:59], v1, off offset:-16
	s_wait_loadcnt 0x1
	ds_store_2addr_b64 v0, v[52:53], v[54:55] offset1:1
	s_wait_loadcnt 0x0
	scratch_store_b128 off, v[56:59], off
	scratch_store_b128 v1, v[52:55], off offset:-16
.LBB27_236:
	scratch_load_b128 v[52:55], off, off
	s_clause 0x12
	scratch_load_b128 v[56:59], off, s14
	scratch_load_b128 v[60:63], off, s8
	;; [unrolled: 1-line block ×15, first 2 shown]
	; meta instruction
	; meta instruction
	;; [unrolled: 1-line block ×15, first 2 shown]
	scratch_load_b128 v[124:127], off, s13
	scratch_load_b128 v[128:131], off, s15
	;; [unrolled: 1-line block ×4, first 2 shown]
	s_wait_loadcnt 0x13
	global_store_b128 v[14:15], v[52:55], off
	s_clause 0x1
	scratch_load_b128 v[52:55], off, s10
	scratch_load_b128 v[140:143], off, s12
	s_wait_loadcnt 0x14
	global_store_b128 v[16:17], v[56:59], off
	s_clause 0x1
	scratch_load_b128 v[14:17], off, s25
	scratch_load_b128 v[56:59], off, s26
	s_wait_loadcnt 0x15
	global_store_b128 v[72:73], v[60:63], off
	s_wait_loadcnt 0x14
	global_store_b128 v[74:75], v[64:67], off
	s_clause 0x1
	scratch_load_b128 v[60:63], off, s23
	scratch_load_b128 v[64:67], off, s24
	s_wait_loadcnt 0x15
	global_store_b128 v[70:71], v[76:79], off
	s_clause 0x1
	scratch_load_b128 v[68:71], off, s21
	scratch_load_b128 v[72:75], off, s22
	s_wait_loadcnt 0x16
	global_store_b128 v[2:3], v[80:83], off
	s_wait_loadcnt 0x15
	global_store_b128 v[4:5], v[84:87], off
	;; [unrolled: 2-line block ×21, first 2 shown]
	s_wait_loadcnt 0x0
	s_clause 0x1
	global_store_b128 v[48:49], v[72:75], off
	global_store_b128 v[50:51], v[136:139], off
	s_sendmsg sendmsg(MSG_DEALLOC_VGPRS)
	s_endpgm
	.section	.rodata,"a",@progbits
	.p2align	6, 0x0
	.amdhsa_kernel _ZN9rocsolver6v33100L18getri_kernel_smallILi28E19rocblas_complex_numIdEPS3_EEvT1_iilPiilS6_bb
		.amdhsa_group_segment_fixed_size 1928
		.amdhsa_private_segment_fixed_size 464
		.amdhsa_kernarg_size 60
		.amdhsa_user_sgpr_count 4
		.amdhsa_user_sgpr_dispatch_ptr 1
		.amdhsa_user_sgpr_queue_ptr 0
		.amdhsa_user_sgpr_kernarg_segment_ptr 1
		.amdhsa_user_sgpr_dispatch_id 0
		.amdhsa_user_sgpr_kernarg_preload_length 0
		.amdhsa_user_sgpr_kernarg_preload_offset 0
		.amdhsa_user_sgpr_private_segment_size 0
		.amdhsa_wavefront_size32 1
		.amdhsa_uses_dynamic_stack 0
		.amdhsa_enable_private_segment 1
		.amdhsa_system_sgpr_workgroup_id_x 1
		.amdhsa_system_sgpr_workgroup_id_y 0
		.amdhsa_system_sgpr_workgroup_id_z 0
		.amdhsa_system_sgpr_workgroup_info 0
		.amdhsa_system_vgpr_workitem_id 2
		.amdhsa_next_free_vgpr 144
		.amdhsa_next_free_sgpr 51
		.amdhsa_named_barrier_count 0
		.amdhsa_reserve_vcc 1
		.amdhsa_float_round_mode_32 0
		.amdhsa_float_round_mode_16_64 0
		.amdhsa_float_denorm_mode_32 3
		.amdhsa_float_denorm_mode_16_64 3
		.amdhsa_fp16_overflow 0
		.amdhsa_memory_ordered 1
		.amdhsa_forward_progress 1
		.amdhsa_inst_pref_size 255
		.amdhsa_round_robin_scheduling 0
		.amdhsa_exception_fp_ieee_invalid_op 0
		.amdhsa_exception_fp_denorm_src 0
		.amdhsa_exception_fp_ieee_div_zero 0
		.amdhsa_exception_fp_ieee_overflow 0
		.amdhsa_exception_fp_ieee_underflow 0
		.amdhsa_exception_fp_ieee_inexact 0
		.amdhsa_exception_int_div_zero 0
	.end_amdhsa_kernel
	.section	.text._ZN9rocsolver6v33100L18getri_kernel_smallILi28E19rocblas_complex_numIdEPS3_EEvT1_iilPiilS6_bb,"axG",@progbits,_ZN9rocsolver6v33100L18getri_kernel_smallILi28E19rocblas_complex_numIdEPS3_EEvT1_iilPiilS6_bb,comdat
.Lfunc_end27:
	.size	_ZN9rocsolver6v33100L18getri_kernel_smallILi28E19rocblas_complex_numIdEPS3_EEvT1_iilPiilS6_bb, .Lfunc_end27-_ZN9rocsolver6v33100L18getri_kernel_smallILi28E19rocblas_complex_numIdEPS3_EEvT1_iilPiilS6_bb
                                        ; -- End function
	.set _ZN9rocsolver6v33100L18getri_kernel_smallILi28E19rocblas_complex_numIdEPS3_EEvT1_iilPiilS6_bb.num_vgpr, 144
	.set _ZN9rocsolver6v33100L18getri_kernel_smallILi28E19rocblas_complex_numIdEPS3_EEvT1_iilPiilS6_bb.num_agpr, 0
	.set _ZN9rocsolver6v33100L18getri_kernel_smallILi28E19rocblas_complex_numIdEPS3_EEvT1_iilPiilS6_bb.numbered_sgpr, 51
	.set _ZN9rocsolver6v33100L18getri_kernel_smallILi28E19rocblas_complex_numIdEPS3_EEvT1_iilPiilS6_bb.num_named_barrier, 0
	.set _ZN9rocsolver6v33100L18getri_kernel_smallILi28E19rocblas_complex_numIdEPS3_EEvT1_iilPiilS6_bb.private_seg_size, 464
	.set _ZN9rocsolver6v33100L18getri_kernel_smallILi28E19rocblas_complex_numIdEPS3_EEvT1_iilPiilS6_bb.uses_vcc, 1
	.set _ZN9rocsolver6v33100L18getri_kernel_smallILi28E19rocblas_complex_numIdEPS3_EEvT1_iilPiilS6_bb.uses_flat_scratch, 1
	.set _ZN9rocsolver6v33100L18getri_kernel_smallILi28E19rocblas_complex_numIdEPS3_EEvT1_iilPiilS6_bb.has_dyn_sized_stack, 0
	.set _ZN9rocsolver6v33100L18getri_kernel_smallILi28E19rocblas_complex_numIdEPS3_EEvT1_iilPiilS6_bb.has_recursion, 0
	.set _ZN9rocsolver6v33100L18getri_kernel_smallILi28E19rocblas_complex_numIdEPS3_EEvT1_iilPiilS6_bb.has_indirect_call, 0
	.section	.AMDGPU.csdata,"",@progbits
; Kernel info:
; codeLenInByte = 37344
; TotalNumSgprs: 53
; NumVgprs: 144
; ScratchSize: 464
; MemoryBound: 0
; FloatMode: 240
; IeeeMode: 1
; LDSByteSize: 1928 bytes/workgroup (compile time only)
; SGPRBlocks: 0
; VGPRBlocks: 8
; NumSGPRsForWavesPerEU: 53
; NumVGPRsForWavesPerEU: 144
; NamedBarCnt: 0
; Occupancy: 7
; WaveLimiterHint : 1
; COMPUTE_PGM_RSRC2:SCRATCH_EN: 1
; COMPUTE_PGM_RSRC2:USER_SGPR: 4
; COMPUTE_PGM_RSRC2:TRAP_HANDLER: 0
; COMPUTE_PGM_RSRC2:TGID_X_EN: 1
; COMPUTE_PGM_RSRC2:TGID_Y_EN: 0
; COMPUTE_PGM_RSRC2:TGID_Z_EN: 0
; COMPUTE_PGM_RSRC2:TIDIG_COMP_CNT: 2
	.section	.text._ZN9rocsolver6v33100L18getri_kernel_smallILi29E19rocblas_complex_numIdEPS3_EEvT1_iilPiilS6_bb,"axG",@progbits,_ZN9rocsolver6v33100L18getri_kernel_smallILi29E19rocblas_complex_numIdEPS3_EEvT1_iilPiilS6_bb,comdat
	.globl	_ZN9rocsolver6v33100L18getri_kernel_smallILi29E19rocblas_complex_numIdEPS3_EEvT1_iilPiilS6_bb ; -- Begin function _ZN9rocsolver6v33100L18getri_kernel_smallILi29E19rocblas_complex_numIdEPS3_EEvT1_iilPiilS6_bb
	.p2align	8
	.type	_ZN9rocsolver6v33100L18getri_kernel_smallILi29E19rocblas_complex_numIdEPS3_EEvT1_iilPiilS6_bb,@function
_ZN9rocsolver6v33100L18getri_kernel_smallILi29E19rocblas_complex_numIdEPS3_EEvT1_iilPiilS6_bb: ; @_ZN9rocsolver6v33100L18getri_kernel_smallILi29E19rocblas_complex_numIdEPS3_EEvT1_iilPiilS6_bb
; %bb.0:
	v_and_b32_e32 v1, 0x3ff, v0
	s_mov_b32 s4, exec_lo
	s_delay_alu instid0(VALU_DEP_1)
	v_cmpx_gt_u32_e32 29, v1
	s_cbranch_execz .LBB28_130
; %bb.1:
	s_clause 0x2
	s_load_b32 s8, s[2:3], 0x38
	s_load_b128 s[12:15], s[2:3], 0x10
	s_load_b128 s[4:7], s[2:3], 0x28
	s_getreg_b32 s11, hwreg(HW_REG_IB_STS2, 6, 4)
                                        ; implicit-def: $sgpr16_sgpr17
	s_wait_kmcnt 0x0
	s_bitcmp1_b32 s8, 8
	s_cselect_b32 s41, -1, 0
	s_bfe_u32 s9, ttmp6, 0x4000c
	s_and_b32 s10, ttmp6, 15
	s_add_co_i32 s9, s9, 1
	s_delay_alu instid0(SALU_CYCLE_1) | instskip(NEXT) | instid1(SALU_CYCLE_1)
	s_mul_i32 s9, ttmp9, s9
	s_add_co_i32 s10, s10, s9
	s_cmp_eq_u32 s11, 0
	s_cselect_b32 s18, ttmp9, s10
	s_bfe_u32 s8, s8, 0x10008
	s_ashr_i32 s19, s18, 31
	s_cmp_eq_u32 s8, 0
	s_cbranch_scc1 .LBB28_3
; %bb.2:
	s_load_b32 s8, s[2:3], 0x20
	s_mul_u64 s[4:5], s[4:5], s[18:19]
	s_delay_alu instid0(SALU_CYCLE_1) | instskip(NEXT) | instid1(SALU_CYCLE_1)
	s_lshl_b64 s[4:5], s[4:5], 2
	s_add_nc_u64 s[4:5], s[14:15], s[4:5]
	s_wait_kmcnt 0x0
	s_ashr_i32 s9, s8, 31
	s_delay_alu instid0(SALU_CYCLE_1) | instskip(NEXT) | instid1(SALU_CYCLE_1)
	s_lshl_b64 s[8:9], s[8:9], 2
	s_add_nc_u64 s[16:17], s[4:5], s[8:9]
.LBB28_3:
	s_clause 0x1
	s_load_b128 s[8:11], s[2:3], 0x0
	s_load_b32 s42, s[2:3], 0x38
	s_wait_xcnt 0x0
	s_mul_u64 s[2:3], s[12:13], s[18:19]
	v_dual_mov_b32 v73, 0 :: v_dual_lshlrev_b32 v72, 4, v1
	s_lshl_b64 s[2:3], s[2:3], 4
	s_movk_i32 s43, 0x130
	s_movk_i32 s44, 0x140
	;; [unrolled: 1-line block ×10, first 2 shown]
	s_mov_b32 s12, 16
	s_movk_i32 s31, 0x50
	s_movk_i32 s34, 0x60
	s_movk_i32 s37, 0x70
	s_wait_kmcnt 0x0
	v_add3_u32 v18, s11, s11, v1
	s_ashr_i32 s5, s10, 31
	s_mov_b32 s4, s10
	s_add_nc_u64 s[2:3], s[8:9], s[2:3]
	s_lshl_b64 s[4:5], s[4:5], 4
	v_add_nc_u32_e32 v20, s11, v18
	s_add_nc_u64 s[4:5], s[2:3], s[4:5]
	s_ashr_i32 s3, s11, 31
	v_add_nc_u64_e32 v[14:15], s[4:5], v[72:73]
	s_mov_b32 s2, s11
	v_add_nc_u32_e32 v22, s11, v20
	global_load_b128 v[2:5], v18, s[4:5] scale_offset
	s_mov_b32 s8, 32
	s_mov_b32 s9, 48
	s_mov_b32 s10, 64
	v_add_nc_u32_e32 v24, s11, v22
	v_lshl_add_u64 v[16:17], s[2:3], 4, v[14:15]
	s_movk_i32 s27, 0x80
	s_movk_i32 s30, 0x90
	s_movk_i32 s33, 0xa0
	v_add_nc_u32_e32 v26, s11, v24
	s_clause 0x2
	global_load_b128 v[6:9], v20, s[4:5] scale_offset
	global_load_b128 v[10:13], v1, s[4:5] scale_offset
	global_load_b128 v[68:71], v[16:17], off
	s_movk_i32 s36, 0xb0
	s_movk_i32 s38, 0xc0
	;; [unrolled: 1-line block ×3, first 2 shown]
	v_add_nc_u32_e32 v28, s11, v26
	s_movk_i32 s40, 0xe0
	s_movk_i32 s35, 0xf0
	;; [unrolled: 1-line block ×4, first 2 shown]
	v_add_nc_u32_e32 v30, s11, v28
	s_clause 0x3
	global_load_b128 v[74:77], v22, s[4:5] scale_offset
	global_load_b128 v[78:81], v24, s[4:5] scale_offset
	;; [unrolled: 1-line block ×4, first 2 shown]
	s_movk_i32 s29, 0x120
	s_mov_b32 s23, s43
	v_add_nc_u32_e32 v32, s11, v30
	s_mov_b32 s24, s44
	s_mov_b32 s15, s45
	;; [unrolled: 1-line block ×4, first 2 shown]
	v_add_nc_u32_e32 v34, s11, v32
	s_mov_b32 s14, s48
	s_mov_b32 s26, s50
	;; [unrolled: 1-line block ×4, first 2 shown]
	v_add_nc_u32_e32 v36, s11, v34
	s_bitcmp0_b32 s42, 0
	s_mov_b32 s3, -1
	s_delay_alu instid0(VALU_DEP_1) | instskip(SKIP_4) | instid1(VALU_DEP_1)
	v_add_nc_u32_e32 v38, s11, v36
	s_clause 0x1
	global_load_b128 v[90:93], v30, s[4:5] scale_offset
	global_load_b128 v[94:97], v32, s[4:5] scale_offset
	v_add_nc_u32_e32 v40, s11, v38
	v_add_nc_u32_e32 v42, s11, v40
	s_clause 0x1
	global_load_b128 v[98:101], v34, s[4:5] scale_offset
	global_load_b128 v[102:105], v36, s[4:5] scale_offset
	v_add_nc_u32_e32 v44, s11, v42
	s_delay_alu instid0(VALU_DEP_1) | instskip(NEXT) | instid1(VALU_DEP_1)
	v_add_nc_u32_e32 v46, s11, v44
	v_add_nc_u32_e32 v48, s11, v46
	s_delay_alu instid0(VALU_DEP_1)
	v_add_nc_u32_e32 v50, s11, v48
	s_clause 0x3
	global_load_b128 v[106:109], v38, s[4:5] scale_offset
	global_load_b128 v[110:113], v40, s[4:5] scale_offset
	;; [unrolled: 1-line block ×4, first 2 shown]
	v_add_nc_u32_e32 v52, s11, v50
	s_delay_alu instid0(VALU_DEP_1)
	v_add_nc_u32_e32 v54, s11, v52
	s_clause 0x3
	global_load_b128 v[122:125], v46, s[4:5] scale_offset
	global_load_b128 v[126:129], v48, s[4:5] scale_offset
	;; [unrolled: 1-line block ×4, first 2 shown]
	v_add_nc_u32_e32 v56, s11, v54
	s_delay_alu instid0(VALU_DEP_1) | instskip(NEXT) | instid1(VALU_DEP_1)
	v_add_nc_u32_e32 v58, s11, v56
	v_add_nc_u32_e32 v60, s11, v58
	s_delay_alu instid0(VALU_DEP_1) | instskip(NEXT) | instid1(VALU_DEP_1)
	v_add_nc_u32_e32 v62, s11, v60
	v_add_nc_u32_e32 v64, s11, v62
	s_delay_alu instid0(VALU_DEP_1)
	v_add_nc_u32_e32 v66, s11, v64
	s_wait_loadcnt 0x13
	scratch_store_b128 off, v[2:5], off offset:32
	s_clause 0x1
	global_load_b128 v[2:5], v54, s[4:5] scale_offset
	global_load_b128 v[138:141], v56, s[4:5] scale_offset
	s_wait_loadcnt 0x14
	scratch_store_b128 off, v[6:9], off offset:48
	s_wait_loadcnt 0x13
	scratch_store_b128 off, v[10:13], off
	s_wait_loadcnt 0x12
	scratch_store_b128 off, v[68:71], off offset:16
	s_wait_xcnt 0x0
	v_add_nc_u32_e32 v68, s11, v66
	s_clause 0x1
	global_load_b128 v[6:9], v58, s[4:5] scale_offset
	global_load_b128 v[10:13], v60, s[4:5] scale_offset
	s_wait_loadcnt 0x13
	scratch_store_b128 off, v[74:77], off offset:64
	s_wait_loadcnt 0x12
	scratch_store_b128 off, v[78:81], off offset:80
	v_add_nc_u32_e32 v70, s11, v68
	s_clause 0x1
	global_load_b128 v[74:77], v62, s[4:5] scale_offset
	global_load_b128 v[78:81], v64, s[4:5] scale_offset
	s_wait_loadcnt 0x13
	scratch_store_b128 off, v[82:85], off offset:96
	s_wait_loadcnt 0x12
	scratch_store_b128 off, v[86:89], off offset:112
	s_clause 0x1
	global_load_b128 v[82:85], v66, s[4:5] scale_offset
	global_load_b128 v[86:89], v68, s[4:5] scale_offset
	s_mov_b32 s11, s49
	s_wait_loadcnt 0x13
	scratch_store_b128 off, v[90:93], off offset:128
	s_wait_loadcnt 0x12
	scratch_store_b128 off, v[94:97], off offset:144
	global_load_b128 v[90:93], v70, s[4:5] scale_offset
	s_wait_loadcnt 0x12
	scratch_store_b128 off, v[98:101], off offset:160
	s_wait_loadcnt 0x11
	scratch_store_b128 off, v[102:105], off offset:176
	;; [unrolled: 2-line block ×19, first 2 shown]
	s_cbranch_scc1 .LBB28_128
; %bb.4:
	v_cmp_eq_u32_e64 s2, 0, v1
	s_wait_xcnt 0x0
	s_and_saveexec_b32 s3, s2
; %bb.5:
	v_mov_b32_e32 v2, 0
	ds_store_b32 v2, v2 offset:928
; %bb.6:
	s_or_b32 exec_lo, exec_lo, s3
	s_wait_storecnt_dscnt 0x0
	s_barrier_signal -1
	s_barrier_wait -1
	scratch_load_b128 v[2:5], v1, off scale_offset
	s_wait_loadcnt 0x0
	v_cmp_eq_f64_e32 vcc_lo, 0, v[2:3]
	v_cmp_eq_f64_e64 s3, 0, v[4:5]
	s_and_b32 s3, vcc_lo, s3
	s_delay_alu instid0(SALU_CYCLE_1)
	s_and_saveexec_b32 s42, s3
	s_cbranch_execz .LBB28_10
; %bb.7:
	v_mov_b32_e32 v2, 0
	s_mov_b32 s43, 0
	ds_load_b32 v3, v2 offset:928
	s_wait_dscnt 0x0
	v_readfirstlane_b32 s3, v3
	v_add_nc_u32_e32 v3, 1, v1
	s_cmp_eq_u32 s3, 0
	s_delay_alu instid0(VALU_DEP_1) | instskip(SKIP_1) | instid1(SALU_CYCLE_1)
	v_cmp_gt_i32_e32 vcc_lo, s3, v3
	s_cselect_b32 s44, -1, 0
	s_or_b32 s44, s44, vcc_lo
	s_delay_alu instid0(SALU_CYCLE_1)
	s_and_b32 exec_lo, exec_lo, s44
	s_cbranch_execz .LBB28_10
; %bb.8:
	v_mov_b32_e32 v4, s3
.LBB28_9:                               ; =>This Inner Loop Header: Depth=1
	ds_cmpstore_rtn_b32 v4, v2, v3, v4 offset:928
	s_wait_dscnt 0x0
	v_cmp_ne_u32_e32 vcc_lo, 0, v4
	v_cmp_le_i32_e64 s3, v4, v3
	s_and_b32 s3, vcc_lo, s3
	s_delay_alu instid0(SALU_CYCLE_1) | instskip(NEXT) | instid1(SALU_CYCLE_1)
	s_and_b32 s3, exec_lo, s3
	s_or_b32 s43, s3, s43
	s_delay_alu instid0(SALU_CYCLE_1)
	s_and_not1_b32 exec_lo, exec_lo, s43
	s_cbranch_execnz .LBB28_9
.LBB28_10:
	s_or_b32 exec_lo, exec_lo, s42
	v_mov_b32_e32 v2, 0
	s_barrier_signal -1
	s_barrier_wait -1
	ds_load_b32 v3, v2 offset:928
	s_and_saveexec_b32 s3, s2
	s_cbranch_execz .LBB28_12
; %bb.11:
	s_lshl_b64 s[42:43], s[18:19], 2
	s_delay_alu instid0(SALU_CYCLE_1)
	s_add_nc_u64 s[42:43], s[6:7], s[42:43]
	s_wait_dscnt 0x0
	global_store_b32 v2, v3, s[42:43]
.LBB28_12:
	s_wait_xcnt 0x0
	s_or_b32 exec_lo, exec_lo, s3
	s_wait_dscnt 0x0
	v_cmp_ne_u32_e32 vcc_lo, 0, v3
	s_mov_b32 s3, 0
	s_cbranch_vccnz .LBB28_128
; %bb.13:
	v_lshl_add_u32 v19, v1, 4, 0
                                        ; implicit-def: $vgpr6_vgpr7
                                        ; implicit-def: $vgpr10_vgpr11
	scratch_load_b128 v[2:5], v19, off
	s_wait_loadcnt 0x0
	v_cmp_ngt_f64_e64 s3, |v[2:3]|, |v[4:5]|
	s_wait_xcnt 0x0
	s_and_saveexec_b32 s42, s3
	s_delay_alu instid0(SALU_CYCLE_1)
	s_xor_b32 s3, exec_lo, s42
	s_cbranch_execz .LBB28_15
; %bb.14:
	v_div_scale_f64 v[6:7], null, v[4:5], v[4:5], v[2:3]
	v_div_scale_f64 v[12:13], vcc_lo, v[2:3], v[4:5], v[2:3]
	s_delay_alu instid0(VALU_DEP_2) | instskip(SKIP_1) | instid1(TRANS32_DEP_1)
	v_rcp_f64_e32 v[8:9], v[6:7]
	v_nop
	v_fma_f64 v[10:11], -v[6:7], v[8:9], 1.0
	s_delay_alu instid0(VALU_DEP_1) | instskip(NEXT) | instid1(VALU_DEP_1)
	v_fmac_f64_e32 v[8:9], v[8:9], v[10:11]
	v_fma_f64 v[10:11], -v[6:7], v[8:9], 1.0
	s_delay_alu instid0(VALU_DEP_1) | instskip(NEXT) | instid1(VALU_DEP_1)
	v_fmac_f64_e32 v[8:9], v[8:9], v[10:11]
	v_mul_f64_e32 v[10:11], v[12:13], v[8:9]
	s_delay_alu instid0(VALU_DEP_1) | instskip(NEXT) | instid1(VALU_DEP_1)
	v_fma_f64 v[6:7], -v[6:7], v[10:11], v[12:13]
	v_div_fmas_f64 v[6:7], v[6:7], v[8:9], v[10:11]
	s_delay_alu instid0(VALU_DEP_1) | instskip(NEXT) | instid1(VALU_DEP_1)
	v_div_fixup_f64 v[6:7], v[6:7], v[4:5], v[2:3]
	v_fmac_f64_e32 v[4:5], v[2:3], v[6:7]
	s_delay_alu instid0(VALU_DEP_1) | instskip(SKIP_1) | instid1(VALU_DEP_2)
	v_div_scale_f64 v[2:3], null, v[4:5], v[4:5], 1.0
	v_div_scale_f64 v[12:13], vcc_lo, 1.0, v[4:5], 1.0
	v_rcp_f64_e32 v[8:9], v[2:3]
	v_nop
	s_delay_alu instid0(TRANS32_DEP_1) | instskip(NEXT) | instid1(VALU_DEP_1)
	v_fma_f64 v[10:11], -v[2:3], v[8:9], 1.0
	v_fmac_f64_e32 v[8:9], v[8:9], v[10:11]
	s_delay_alu instid0(VALU_DEP_1) | instskip(NEXT) | instid1(VALU_DEP_1)
	v_fma_f64 v[10:11], -v[2:3], v[8:9], 1.0
	v_fmac_f64_e32 v[8:9], v[8:9], v[10:11]
	s_delay_alu instid0(VALU_DEP_1) | instskip(NEXT) | instid1(VALU_DEP_1)
	v_mul_f64_e32 v[10:11], v[12:13], v[8:9]
	v_fma_f64 v[2:3], -v[2:3], v[10:11], v[12:13]
	s_delay_alu instid0(VALU_DEP_1) | instskip(NEXT) | instid1(VALU_DEP_1)
	v_div_fmas_f64 v[2:3], v[2:3], v[8:9], v[10:11]
	v_div_fixup_f64 v[8:9], v[2:3], v[4:5], 1.0
                                        ; implicit-def: $vgpr2_vgpr3
	s_delay_alu instid0(VALU_DEP_1) | instskip(SKIP_1) | instid1(VALU_DEP_2)
	v_mul_f64_e32 v[6:7], v[6:7], v[8:9]
	v_xor_b32_e32 v9, 0x80000000, v9
	v_xor_b32_e32 v11, 0x80000000, v7
	s_delay_alu instid0(VALU_DEP_3)
	v_mov_b32_e32 v10, v6
.LBB28_15:
	s_and_not1_saveexec_b32 s3, s3
	s_cbranch_execz .LBB28_17
; %bb.16:
	v_div_scale_f64 v[6:7], null, v[2:3], v[2:3], v[4:5]
	v_div_scale_f64 v[12:13], vcc_lo, v[4:5], v[2:3], v[4:5]
	s_delay_alu instid0(VALU_DEP_2) | instskip(SKIP_1) | instid1(TRANS32_DEP_1)
	v_rcp_f64_e32 v[8:9], v[6:7]
	v_nop
	v_fma_f64 v[10:11], -v[6:7], v[8:9], 1.0
	s_delay_alu instid0(VALU_DEP_1) | instskip(NEXT) | instid1(VALU_DEP_1)
	v_fmac_f64_e32 v[8:9], v[8:9], v[10:11]
	v_fma_f64 v[10:11], -v[6:7], v[8:9], 1.0
	s_delay_alu instid0(VALU_DEP_1) | instskip(NEXT) | instid1(VALU_DEP_1)
	v_fmac_f64_e32 v[8:9], v[8:9], v[10:11]
	v_mul_f64_e32 v[10:11], v[12:13], v[8:9]
	s_delay_alu instid0(VALU_DEP_1) | instskip(NEXT) | instid1(VALU_DEP_1)
	v_fma_f64 v[6:7], -v[6:7], v[10:11], v[12:13]
	v_div_fmas_f64 v[6:7], v[6:7], v[8:9], v[10:11]
	s_delay_alu instid0(VALU_DEP_1) | instskip(NEXT) | instid1(VALU_DEP_1)
	v_div_fixup_f64 v[8:9], v[6:7], v[2:3], v[4:5]
	v_fmac_f64_e32 v[2:3], v[4:5], v[8:9]
	s_delay_alu instid0(VALU_DEP_1) | instskip(NEXT) | instid1(VALU_DEP_1)
	v_div_scale_f64 v[4:5], null, v[2:3], v[2:3], 1.0
	v_rcp_f64_e32 v[6:7], v[4:5]
	v_nop
	s_delay_alu instid0(TRANS32_DEP_1) | instskip(NEXT) | instid1(VALU_DEP_1)
	v_fma_f64 v[10:11], -v[4:5], v[6:7], 1.0
	v_fmac_f64_e32 v[6:7], v[6:7], v[10:11]
	s_delay_alu instid0(VALU_DEP_1) | instskip(NEXT) | instid1(VALU_DEP_1)
	v_fma_f64 v[10:11], -v[4:5], v[6:7], 1.0
	v_fmac_f64_e32 v[6:7], v[6:7], v[10:11]
	v_div_scale_f64 v[10:11], vcc_lo, 1.0, v[2:3], 1.0
	s_delay_alu instid0(VALU_DEP_1) | instskip(NEXT) | instid1(VALU_DEP_1)
	v_mul_f64_e32 v[12:13], v[10:11], v[6:7]
	v_fma_f64 v[4:5], -v[4:5], v[12:13], v[10:11]
	s_delay_alu instid0(VALU_DEP_1) | instskip(NEXT) | instid1(VALU_DEP_1)
	v_div_fmas_f64 v[4:5], v[4:5], v[6:7], v[12:13]
	v_div_fixup_f64 v[6:7], v[4:5], v[2:3], 1.0
	s_delay_alu instid0(VALU_DEP_1)
	v_mul_f64_e64 v[8:9], v[8:9], -v[6:7]
	v_xor_b32_e32 v11, 0x80000000, v7
	v_mov_b32_e32 v10, v6
.LBB28_17:
	s_or_b32 exec_lo, exec_lo, s3
	s_clause 0x1
	scratch_store_b128 v19, v[6:9], off
	scratch_load_b128 v[2:5], off, s12
	v_xor_b32_e32 v13, 0x80000000, v9
	v_mov_b32_e32 v12, v8
	s_wait_xcnt 0x1
	v_add_nc_u32_e32 v6, 0x1d0, v72
	ds_store_b128 v72, v[10:13]
	s_wait_loadcnt 0x0
	ds_store_b128 v72, v[2:5] offset:464
	s_wait_storecnt_dscnt 0x0
	s_barrier_signal -1
	s_barrier_wait -1
	s_wait_xcnt 0x0
	s_and_saveexec_b32 s3, s2
	s_cbranch_execz .LBB28_19
; %bb.18:
	scratch_load_b128 v[2:5], v19, off
	ds_load_b128 v[8:11], v6
	v_mov_b32_e32 v7, 0
	ds_load_b128 v[74:77], v7 offset:16
	s_wait_loadcnt_dscnt 0x1
	v_mul_f64_e32 v[12:13], v[8:9], v[4:5]
	v_mul_f64_e32 v[4:5], v[10:11], v[4:5]
	s_delay_alu instid0(VALU_DEP_2) | instskip(NEXT) | instid1(VALU_DEP_2)
	v_fmac_f64_e32 v[12:13], v[10:11], v[2:3]
	v_fma_f64 v[2:3], v[8:9], v[2:3], -v[4:5]
	s_delay_alu instid0(VALU_DEP_2) | instskip(NEXT) | instid1(VALU_DEP_2)
	v_add_f64_e32 v[8:9], 0, v[12:13]
	v_add_f64_e32 v[2:3], 0, v[2:3]
	s_wait_dscnt 0x0
	s_delay_alu instid0(VALU_DEP_2) | instskip(NEXT) | instid1(VALU_DEP_2)
	v_mul_f64_e32 v[10:11], v[8:9], v[76:77]
	v_mul_f64_e32 v[4:5], v[2:3], v[76:77]
	s_delay_alu instid0(VALU_DEP_2) | instskip(NEXT) | instid1(VALU_DEP_2)
	v_fma_f64 v[2:3], v[2:3], v[74:75], -v[10:11]
	v_fmac_f64_e32 v[4:5], v[8:9], v[74:75]
	scratch_store_b128 off, v[2:5], off offset:16
.LBB28_19:
	s_wait_xcnt 0x0
	s_or_b32 exec_lo, exec_lo, s3
	s_wait_storecnt 0x0
	s_barrier_signal -1
	s_barrier_wait -1
	scratch_load_b128 v[2:5], off, s8
	s_mov_b32 s3, exec_lo
	s_wait_loadcnt 0x0
	ds_store_b128 v6, v[2:5]
	s_wait_dscnt 0x0
	s_barrier_signal -1
	s_barrier_wait -1
	v_cmpx_gt_u32_e32 2, v1
	s_cbranch_execz .LBB28_23
; %bb.20:
	scratch_load_b128 v[2:5], v19, off
	ds_load_b128 v[8:11], v6
	s_wait_loadcnt_dscnt 0x0
	v_mul_f64_e32 v[12:13], v[10:11], v[4:5]
	v_mul_f64_e32 v[74:75], v[8:9], v[4:5]
	s_delay_alu instid0(VALU_DEP_2) | instskip(NEXT) | instid1(VALU_DEP_2)
	v_fma_f64 v[4:5], v[8:9], v[2:3], -v[12:13]
	v_fmac_f64_e32 v[74:75], v[10:11], v[2:3]
	s_delay_alu instid0(VALU_DEP_2) | instskip(NEXT) | instid1(VALU_DEP_2)
	v_add_f64_e32 v[4:5], 0, v[4:5]
	v_add_f64_e32 v[2:3], 0, v[74:75]
	s_and_saveexec_b32 s42, s2
	s_cbranch_execz .LBB28_22
; %bb.21:
	scratch_load_b128 v[8:11], off, off offset:16
	v_mov_b32_e32 v7, 0
	ds_load_b128 v[74:77], v7 offset:480
	s_wait_loadcnt_dscnt 0x0
	v_mul_f64_e32 v[12:13], v[74:75], v[10:11]
	v_mul_f64_e32 v[10:11], v[76:77], v[10:11]
	s_delay_alu instid0(VALU_DEP_2) | instskip(NEXT) | instid1(VALU_DEP_2)
	v_fmac_f64_e32 v[12:13], v[76:77], v[8:9]
	v_fma_f64 v[8:9], v[74:75], v[8:9], -v[10:11]
	s_delay_alu instid0(VALU_DEP_2) | instskip(NEXT) | instid1(VALU_DEP_2)
	v_add_f64_e32 v[2:3], v[2:3], v[12:13]
	v_add_f64_e32 v[4:5], v[4:5], v[8:9]
.LBB28_22:
	s_or_b32 exec_lo, exec_lo, s42
	v_mov_b32_e32 v7, 0
	ds_load_b128 v[8:11], v7 offset:32
	s_wait_dscnt 0x0
	v_mul_f64_e32 v[74:75], v[2:3], v[10:11]
	v_mul_f64_e32 v[12:13], v[4:5], v[10:11]
	s_delay_alu instid0(VALU_DEP_2) | instskip(NEXT) | instid1(VALU_DEP_2)
	v_fma_f64 v[10:11], v[4:5], v[8:9], -v[74:75]
	v_fmac_f64_e32 v[12:13], v[2:3], v[8:9]
	scratch_store_b128 off, v[10:13], off offset:32
.LBB28_23:
	s_wait_xcnt 0x0
	s_or_b32 exec_lo, exec_lo, s3
	s_wait_storecnt 0x0
	s_barrier_signal -1
	s_barrier_wait -1
	scratch_load_b128 v[2:5], off, s9
	v_add_nc_u32_e32 v7, -1, v1
	s_mov_b32 s2, exec_lo
	s_wait_loadcnt 0x0
	ds_store_b128 v6, v[2:5]
	s_wait_dscnt 0x0
	s_barrier_signal -1
	s_barrier_wait -1
	v_cmpx_gt_u32_e32 3, v1
	s_cbranch_execz .LBB28_27
; %bb.24:
	v_dual_mov_b32 v10, v72 :: v_dual_add_nc_u32 v8, -1, v1
	v_mov_b64_e32 v[2:3], 0
	v_mov_b64_e32 v[4:5], 0
	v_add_nc_u32_e32 v9, 0x1d0, v72
	s_delay_alu instid0(VALU_DEP_4)
	v_or_b32_e32 v10, 8, v10
	s_mov_b32 s3, 0
.LBB28_25:                              ; =>This Inner Loop Header: Depth=1
	scratch_load_b128 v[74:77], v10, off offset:-8
	ds_load_b128 v[78:81], v9
	s_wait_xcnt 0x0
	v_dual_add_nc_u32 v9, 16, v9 :: v_dual_add_nc_u32 v10, 16, v10
	v_add_nc_u32_e32 v8, 1, v8
	s_delay_alu instid0(VALU_DEP_1) | instskip(SKIP_4) | instid1(VALU_DEP_2)
	v_cmp_lt_u32_e32 vcc_lo, 1, v8
	s_or_b32 s3, vcc_lo, s3
	s_wait_loadcnt_dscnt 0x0
	v_mul_f64_e32 v[12:13], v[80:81], v[76:77]
	v_mul_f64_e32 v[76:77], v[78:79], v[76:77]
	v_fma_f64 v[12:13], v[78:79], v[74:75], -v[12:13]
	s_delay_alu instid0(VALU_DEP_2) | instskip(NEXT) | instid1(VALU_DEP_2)
	v_fmac_f64_e32 v[76:77], v[80:81], v[74:75]
	v_add_f64_e32 v[4:5], v[4:5], v[12:13]
	s_delay_alu instid0(VALU_DEP_2)
	v_add_f64_e32 v[2:3], v[2:3], v[76:77]
	s_and_not1_b32 exec_lo, exec_lo, s3
	s_cbranch_execnz .LBB28_25
; %bb.26:
	s_or_b32 exec_lo, exec_lo, s3
	v_mov_b32_e32 v8, 0
	ds_load_b128 v[8:11], v8 offset:48
	s_wait_dscnt 0x0
	v_mul_f64_e32 v[74:75], v[2:3], v[10:11]
	v_mul_f64_e32 v[12:13], v[4:5], v[10:11]
	s_delay_alu instid0(VALU_DEP_2) | instskip(NEXT) | instid1(VALU_DEP_2)
	v_fma_f64 v[10:11], v[4:5], v[8:9], -v[74:75]
	v_fmac_f64_e32 v[12:13], v[2:3], v[8:9]
	scratch_store_b128 off, v[10:13], off offset:48
.LBB28_27:
	s_wait_xcnt 0x0
	s_or_b32 exec_lo, exec_lo, s2
	s_wait_storecnt 0x0
	s_barrier_signal -1
	s_barrier_wait -1
	scratch_load_b128 v[2:5], off, s10
	s_mov_b32 s2, exec_lo
	s_wait_loadcnt 0x0
	ds_store_b128 v6, v[2:5]
	s_wait_dscnt 0x0
	s_barrier_signal -1
	s_barrier_wait -1
	v_cmpx_gt_u32_e32 4, v1
	s_cbranch_execz .LBB28_31
; %bb.28:
	v_dual_mov_b32 v10, v72 :: v_dual_add_nc_u32 v8, -1, v1
	v_mov_b64_e32 v[2:3], 0
	v_mov_b64_e32 v[4:5], 0
	v_add_nc_u32_e32 v9, 0x1d0, v72
	s_delay_alu instid0(VALU_DEP_4)
	v_or_b32_e32 v10, 8, v10
	s_mov_b32 s3, 0
.LBB28_29:                              ; =>This Inner Loop Header: Depth=1
	scratch_load_b128 v[74:77], v10, off offset:-8
	ds_load_b128 v[78:81], v9
	s_wait_xcnt 0x0
	v_dual_add_nc_u32 v9, 16, v9 :: v_dual_add_nc_u32 v10, 16, v10
	v_add_nc_u32_e32 v8, 1, v8
	s_delay_alu instid0(VALU_DEP_1) | instskip(SKIP_4) | instid1(VALU_DEP_2)
	v_cmp_lt_u32_e32 vcc_lo, 2, v8
	s_or_b32 s3, vcc_lo, s3
	s_wait_loadcnt_dscnt 0x0
	v_mul_f64_e32 v[12:13], v[80:81], v[76:77]
	v_mul_f64_e32 v[76:77], v[78:79], v[76:77]
	v_fma_f64 v[12:13], v[78:79], v[74:75], -v[12:13]
	s_delay_alu instid0(VALU_DEP_2) | instskip(NEXT) | instid1(VALU_DEP_2)
	v_fmac_f64_e32 v[76:77], v[80:81], v[74:75]
	v_add_f64_e32 v[4:5], v[4:5], v[12:13]
	s_delay_alu instid0(VALU_DEP_2)
	v_add_f64_e32 v[2:3], v[2:3], v[76:77]
	s_and_not1_b32 exec_lo, exec_lo, s3
	s_cbranch_execnz .LBB28_29
; %bb.30:
	s_or_b32 exec_lo, exec_lo, s3
	v_mov_b32_e32 v8, 0
	ds_load_b128 v[8:11], v8 offset:64
	s_wait_dscnt 0x0
	v_mul_f64_e32 v[74:75], v[2:3], v[10:11]
	v_mul_f64_e32 v[12:13], v[4:5], v[10:11]
	s_delay_alu instid0(VALU_DEP_2) | instskip(NEXT) | instid1(VALU_DEP_2)
	v_fma_f64 v[10:11], v[4:5], v[8:9], -v[74:75]
	v_fmac_f64_e32 v[12:13], v[2:3], v[8:9]
	scratch_store_b128 off, v[10:13], off offset:64
.LBB28_31:
	s_wait_xcnt 0x0
	s_or_b32 exec_lo, exec_lo, s2
	s_wait_storecnt 0x0
	s_barrier_signal -1
	s_barrier_wait -1
	scratch_load_b128 v[2:5], off, s31
	s_mov_b32 s2, exec_lo
	s_wait_loadcnt 0x0
	ds_store_b128 v6, v[2:5]
	s_wait_dscnt 0x0
	s_barrier_signal -1
	s_barrier_wait -1
	v_cmpx_gt_u32_e32 5, v1
	s_cbranch_execz .LBB28_35
; %bb.32:
	v_dual_mov_b32 v10, v72 :: v_dual_add_nc_u32 v8, -1, v1
	v_mov_b64_e32 v[2:3], 0
	v_mov_b64_e32 v[4:5], 0
	v_add_nc_u32_e32 v9, 0x1d0, v72
	s_delay_alu instid0(VALU_DEP_4)
	v_or_b32_e32 v10, 8, v10
	s_mov_b32 s3, 0
.LBB28_33:                              ; =>This Inner Loop Header: Depth=1
	scratch_load_b128 v[74:77], v10, off offset:-8
	ds_load_b128 v[78:81], v9
	s_wait_xcnt 0x0
	v_dual_add_nc_u32 v9, 16, v9 :: v_dual_add_nc_u32 v10, 16, v10
	v_add_nc_u32_e32 v8, 1, v8
	s_delay_alu instid0(VALU_DEP_1) | instskip(SKIP_4) | instid1(VALU_DEP_2)
	v_cmp_lt_u32_e32 vcc_lo, 3, v8
	s_or_b32 s3, vcc_lo, s3
	s_wait_loadcnt_dscnt 0x0
	v_mul_f64_e32 v[12:13], v[80:81], v[76:77]
	v_mul_f64_e32 v[76:77], v[78:79], v[76:77]
	v_fma_f64 v[12:13], v[78:79], v[74:75], -v[12:13]
	s_delay_alu instid0(VALU_DEP_2) | instskip(NEXT) | instid1(VALU_DEP_2)
	v_fmac_f64_e32 v[76:77], v[80:81], v[74:75]
	v_add_f64_e32 v[4:5], v[4:5], v[12:13]
	s_delay_alu instid0(VALU_DEP_2)
	v_add_f64_e32 v[2:3], v[2:3], v[76:77]
	s_and_not1_b32 exec_lo, exec_lo, s3
	s_cbranch_execnz .LBB28_33
; %bb.34:
	s_or_b32 exec_lo, exec_lo, s3
	v_mov_b32_e32 v8, 0
	ds_load_b128 v[8:11], v8 offset:80
	s_wait_dscnt 0x0
	v_mul_f64_e32 v[74:75], v[2:3], v[10:11]
	v_mul_f64_e32 v[12:13], v[4:5], v[10:11]
	s_delay_alu instid0(VALU_DEP_2) | instskip(NEXT) | instid1(VALU_DEP_2)
	v_fma_f64 v[10:11], v[4:5], v[8:9], -v[74:75]
	v_fmac_f64_e32 v[12:13], v[2:3], v[8:9]
	scratch_store_b128 off, v[10:13], off offset:80
.LBB28_35:
	s_wait_xcnt 0x0
	s_or_b32 exec_lo, exec_lo, s2
	s_wait_storecnt 0x0
	s_barrier_signal -1
	s_barrier_wait -1
	scratch_load_b128 v[2:5], off, s34
	s_mov_b32 s2, exec_lo
	s_wait_loadcnt 0x0
	ds_store_b128 v6, v[2:5]
	s_wait_dscnt 0x0
	s_barrier_signal -1
	s_barrier_wait -1
	v_cmpx_gt_u32_e32 6, v1
	s_cbranch_execz .LBB28_39
; %bb.36:
	v_dual_mov_b32 v10, v72 :: v_dual_add_nc_u32 v8, -1, v1
	v_mov_b64_e32 v[2:3], 0
	v_mov_b64_e32 v[4:5], 0
	v_add_nc_u32_e32 v9, 0x1d0, v72
	s_delay_alu instid0(VALU_DEP_4)
	v_or_b32_e32 v10, 8, v10
	s_mov_b32 s3, 0
.LBB28_37:                              ; =>This Inner Loop Header: Depth=1
	scratch_load_b128 v[74:77], v10, off offset:-8
	ds_load_b128 v[78:81], v9
	s_wait_xcnt 0x0
	v_dual_add_nc_u32 v9, 16, v9 :: v_dual_add_nc_u32 v10, 16, v10
	v_add_nc_u32_e32 v8, 1, v8
	s_delay_alu instid0(VALU_DEP_1) | instskip(SKIP_4) | instid1(VALU_DEP_2)
	v_cmp_lt_u32_e32 vcc_lo, 4, v8
	s_or_b32 s3, vcc_lo, s3
	s_wait_loadcnt_dscnt 0x0
	v_mul_f64_e32 v[12:13], v[80:81], v[76:77]
	v_mul_f64_e32 v[76:77], v[78:79], v[76:77]
	v_fma_f64 v[12:13], v[78:79], v[74:75], -v[12:13]
	s_delay_alu instid0(VALU_DEP_2) | instskip(NEXT) | instid1(VALU_DEP_2)
	v_fmac_f64_e32 v[76:77], v[80:81], v[74:75]
	v_add_f64_e32 v[4:5], v[4:5], v[12:13]
	s_delay_alu instid0(VALU_DEP_2)
	v_add_f64_e32 v[2:3], v[2:3], v[76:77]
	s_and_not1_b32 exec_lo, exec_lo, s3
	s_cbranch_execnz .LBB28_37
; %bb.38:
	s_or_b32 exec_lo, exec_lo, s3
	v_mov_b32_e32 v8, 0
	ds_load_b128 v[8:11], v8 offset:96
	s_wait_dscnt 0x0
	v_mul_f64_e32 v[74:75], v[2:3], v[10:11]
	v_mul_f64_e32 v[12:13], v[4:5], v[10:11]
	s_delay_alu instid0(VALU_DEP_2) | instskip(NEXT) | instid1(VALU_DEP_2)
	v_fma_f64 v[10:11], v[4:5], v[8:9], -v[74:75]
	v_fmac_f64_e32 v[12:13], v[2:3], v[8:9]
	scratch_store_b128 off, v[10:13], off offset:96
.LBB28_39:
	s_wait_xcnt 0x0
	s_or_b32 exec_lo, exec_lo, s2
	s_wait_storecnt 0x0
	s_barrier_signal -1
	s_barrier_wait -1
	scratch_load_b128 v[2:5], off, s37
	s_mov_b32 s2, exec_lo
	s_wait_loadcnt 0x0
	ds_store_b128 v6, v[2:5]
	s_wait_dscnt 0x0
	s_barrier_signal -1
	s_barrier_wait -1
	v_cmpx_gt_u32_e32 7, v1
	s_cbranch_execz .LBB28_43
; %bb.40:
	v_dual_mov_b32 v10, v72 :: v_dual_add_nc_u32 v8, -1, v1
	v_mov_b64_e32 v[2:3], 0
	v_mov_b64_e32 v[4:5], 0
	v_add_nc_u32_e32 v9, 0x1d0, v72
	s_delay_alu instid0(VALU_DEP_4)
	v_or_b32_e32 v10, 8, v10
	s_mov_b32 s3, 0
.LBB28_41:                              ; =>This Inner Loop Header: Depth=1
	scratch_load_b128 v[74:77], v10, off offset:-8
	ds_load_b128 v[78:81], v9
	s_wait_xcnt 0x0
	v_dual_add_nc_u32 v9, 16, v9 :: v_dual_add_nc_u32 v10, 16, v10
	v_add_nc_u32_e32 v8, 1, v8
	s_delay_alu instid0(VALU_DEP_1) | instskip(SKIP_4) | instid1(VALU_DEP_2)
	v_cmp_lt_u32_e32 vcc_lo, 5, v8
	s_or_b32 s3, vcc_lo, s3
	s_wait_loadcnt_dscnt 0x0
	v_mul_f64_e32 v[12:13], v[80:81], v[76:77]
	v_mul_f64_e32 v[76:77], v[78:79], v[76:77]
	v_fma_f64 v[12:13], v[78:79], v[74:75], -v[12:13]
	s_delay_alu instid0(VALU_DEP_2) | instskip(NEXT) | instid1(VALU_DEP_2)
	v_fmac_f64_e32 v[76:77], v[80:81], v[74:75]
	v_add_f64_e32 v[4:5], v[4:5], v[12:13]
	s_delay_alu instid0(VALU_DEP_2)
	v_add_f64_e32 v[2:3], v[2:3], v[76:77]
	s_and_not1_b32 exec_lo, exec_lo, s3
	s_cbranch_execnz .LBB28_41
; %bb.42:
	s_or_b32 exec_lo, exec_lo, s3
	v_mov_b32_e32 v8, 0
	ds_load_b128 v[8:11], v8 offset:112
	s_wait_dscnt 0x0
	v_mul_f64_e32 v[74:75], v[2:3], v[10:11]
	v_mul_f64_e32 v[12:13], v[4:5], v[10:11]
	s_delay_alu instid0(VALU_DEP_2) | instskip(NEXT) | instid1(VALU_DEP_2)
	v_fma_f64 v[10:11], v[4:5], v[8:9], -v[74:75]
	v_fmac_f64_e32 v[12:13], v[2:3], v[8:9]
	scratch_store_b128 off, v[10:13], off offset:112
.LBB28_43:
	s_wait_xcnt 0x0
	s_or_b32 exec_lo, exec_lo, s2
	s_wait_storecnt 0x0
	s_barrier_signal -1
	s_barrier_wait -1
	scratch_load_b128 v[2:5], off, s27
	s_mov_b32 s2, exec_lo
	s_wait_loadcnt 0x0
	ds_store_b128 v6, v[2:5]
	s_wait_dscnt 0x0
	s_barrier_signal -1
	s_barrier_wait -1
	v_cmpx_gt_u32_e32 8, v1
	s_cbranch_execz .LBB28_47
; %bb.44:
	v_dual_mov_b32 v10, v72 :: v_dual_add_nc_u32 v8, -1, v1
	v_mov_b64_e32 v[2:3], 0
	v_mov_b64_e32 v[4:5], 0
	v_add_nc_u32_e32 v9, 0x1d0, v72
	s_delay_alu instid0(VALU_DEP_4)
	v_or_b32_e32 v10, 8, v10
	s_mov_b32 s3, 0
.LBB28_45:                              ; =>This Inner Loop Header: Depth=1
	scratch_load_b128 v[74:77], v10, off offset:-8
	ds_load_b128 v[78:81], v9
	s_wait_xcnt 0x0
	v_dual_add_nc_u32 v9, 16, v9 :: v_dual_add_nc_u32 v10, 16, v10
	v_add_nc_u32_e32 v8, 1, v8
	s_delay_alu instid0(VALU_DEP_1) | instskip(SKIP_4) | instid1(VALU_DEP_2)
	v_cmp_lt_u32_e32 vcc_lo, 6, v8
	s_or_b32 s3, vcc_lo, s3
	s_wait_loadcnt_dscnt 0x0
	v_mul_f64_e32 v[12:13], v[80:81], v[76:77]
	v_mul_f64_e32 v[76:77], v[78:79], v[76:77]
	v_fma_f64 v[12:13], v[78:79], v[74:75], -v[12:13]
	s_delay_alu instid0(VALU_DEP_2) | instskip(NEXT) | instid1(VALU_DEP_2)
	v_fmac_f64_e32 v[76:77], v[80:81], v[74:75]
	v_add_f64_e32 v[4:5], v[4:5], v[12:13]
	s_delay_alu instid0(VALU_DEP_2)
	v_add_f64_e32 v[2:3], v[2:3], v[76:77]
	s_and_not1_b32 exec_lo, exec_lo, s3
	s_cbranch_execnz .LBB28_45
; %bb.46:
	s_or_b32 exec_lo, exec_lo, s3
	v_mov_b32_e32 v8, 0
	ds_load_b128 v[8:11], v8 offset:128
	s_wait_dscnt 0x0
	v_mul_f64_e32 v[74:75], v[2:3], v[10:11]
	v_mul_f64_e32 v[12:13], v[4:5], v[10:11]
	s_delay_alu instid0(VALU_DEP_2) | instskip(NEXT) | instid1(VALU_DEP_2)
	v_fma_f64 v[10:11], v[4:5], v[8:9], -v[74:75]
	v_fmac_f64_e32 v[12:13], v[2:3], v[8:9]
	scratch_store_b128 off, v[10:13], off offset:128
.LBB28_47:
	s_wait_xcnt 0x0
	s_or_b32 exec_lo, exec_lo, s2
	s_wait_storecnt 0x0
	s_barrier_signal -1
	s_barrier_wait -1
	scratch_load_b128 v[2:5], off, s30
	s_mov_b32 s2, exec_lo
	s_wait_loadcnt 0x0
	ds_store_b128 v6, v[2:5]
	s_wait_dscnt 0x0
	s_barrier_signal -1
	s_barrier_wait -1
	v_cmpx_gt_u32_e32 9, v1
	s_cbranch_execz .LBB28_51
; %bb.48:
	v_dual_mov_b32 v10, v72 :: v_dual_add_nc_u32 v8, -1, v1
	v_mov_b64_e32 v[2:3], 0
	v_mov_b64_e32 v[4:5], 0
	v_add_nc_u32_e32 v9, 0x1d0, v72
	s_delay_alu instid0(VALU_DEP_4)
	v_or_b32_e32 v10, 8, v10
	s_mov_b32 s3, 0
.LBB28_49:                              ; =>This Inner Loop Header: Depth=1
	scratch_load_b128 v[74:77], v10, off offset:-8
	ds_load_b128 v[78:81], v9
	s_wait_xcnt 0x0
	v_dual_add_nc_u32 v9, 16, v9 :: v_dual_add_nc_u32 v10, 16, v10
	v_add_nc_u32_e32 v8, 1, v8
	s_delay_alu instid0(VALU_DEP_1) | instskip(SKIP_4) | instid1(VALU_DEP_2)
	v_cmp_lt_u32_e32 vcc_lo, 7, v8
	s_or_b32 s3, vcc_lo, s3
	s_wait_loadcnt_dscnt 0x0
	v_mul_f64_e32 v[12:13], v[80:81], v[76:77]
	v_mul_f64_e32 v[76:77], v[78:79], v[76:77]
	v_fma_f64 v[12:13], v[78:79], v[74:75], -v[12:13]
	s_delay_alu instid0(VALU_DEP_2) | instskip(NEXT) | instid1(VALU_DEP_2)
	v_fmac_f64_e32 v[76:77], v[80:81], v[74:75]
	v_add_f64_e32 v[4:5], v[4:5], v[12:13]
	s_delay_alu instid0(VALU_DEP_2)
	v_add_f64_e32 v[2:3], v[2:3], v[76:77]
	s_and_not1_b32 exec_lo, exec_lo, s3
	s_cbranch_execnz .LBB28_49
; %bb.50:
	s_or_b32 exec_lo, exec_lo, s3
	v_mov_b32_e32 v8, 0
	ds_load_b128 v[8:11], v8 offset:144
	s_wait_dscnt 0x0
	v_mul_f64_e32 v[74:75], v[2:3], v[10:11]
	v_mul_f64_e32 v[12:13], v[4:5], v[10:11]
	s_delay_alu instid0(VALU_DEP_2) | instskip(NEXT) | instid1(VALU_DEP_2)
	v_fma_f64 v[10:11], v[4:5], v[8:9], -v[74:75]
	v_fmac_f64_e32 v[12:13], v[2:3], v[8:9]
	scratch_store_b128 off, v[10:13], off offset:144
.LBB28_51:
	s_wait_xcnt 0x0
	s_or_b32 exec_lo, exec_lo, s2
	s_wait_storecnt 0x0
	s_barrier_signal -1
	s_barrier_wait -1
	scratch_load_b128 v[2:5], off, s33
	s_mov_b32 s2, exec_lo
	s_wait_loadcnt 0x0
	ds_store_b128 v6, v[2:5]
	s_wait_dscnt 0x0
	s_barrier_signal -1
	s_barrier_wait -1
	v_cmpx_gt_u32_e32 10, v1
	s_cbranch_execz .LBB28_55
; %bb.52:
	v_dual_mov_b32 v10, v72 :: v_dual_add_nc_u32 v8, -1, v1
	v_mov_b64_e32 v[2:3], 0
	v_mov_b64_e32 v[4:5], 0
	v_add_nc_u32_e32 v9, 0x1d0, v72
	s_delay_alu instid0(VALU_DEP_4)
	v_or_b32_e32 v10, 8, v10
	s_mov_b32 s3, 0
.LBB28_53:                              ; =>This Inner Loop Header: Depth=1
	scratch_load_b128 v[74:77], v10, off offset:-8
	ds_load_b128 v[78:81], v9
	s_wait_xcnt 0x0
	v_dual_add_nc_u32 v9, 16, v9 :: v_dual_add_nc_u32 v10, 16, v10
	v_add_nc_u32_e32 v8, 1, v8
	s_delay_alu instid0(VALU_DEP_1) | instskip(SKIP_4) | instid1(VALU_DEP_2)
	v_cmp_lt_u32_e32 vcc_lo, 8, v8
	s_or_b32 s3, vcc_lo, s3
	s_wait_loadcnt_dscnt 0x0
	v_mul_f64_e32 v[12:13], v[80:81], v[76:77]
	v_mul_f64_e32 v[76:77], v[78:79], v[76:77]
	v_fma_f64 v[12:13], v[78:79], v[74:75], -v[12:13]
	s_delay_alu instid0(VALU_DEP_2) | instskip(NEXT) | instid1(VALU_DEP_2)
	v_fmac_f64_e32 v[76:77], v[80:81], v[74:75]
	v_add_f64_e32 v[4:5], v[4:5], v[12:13]
	s_delay_alu instid0(VALU_DEP_2)
	v_add_f64_e32 v[2:3], v[2:3], v[76:77]
	s_and_not1_b32 exec_lo, exec_lo, s3
	s_cbranch_execnz .LBB28_53
; %bb.54:
	s_or_b32 exec_lo, exec_lo, s3
	v_mov_b32_e32 v8, 0
	ds_load_b128 v[8:11], v8 offset:160
	s_wait_dscnt 0x0
	v_mul_f64_e32 v[74:75], v[2:3], v[10:11]
	v_mul_f64_e32 v[12:13], v[4:5], v[10:11]
	s_delay_alu instid0(VALU_DEP_2) | instskip(NEXT) | instid1(VALU_DEP_2)
	v_fma_f64 v[10:11], v[4:5], v[8:9], -v[74:75]
	v_fmac_f64_e32 v[12:13], v[2:3], v[8:9]
	scratch_store_b128 off, v[10:13], off offset:160
.LBB28_55:
	s_wait_xcnt 0x0
	s_or_b32 exec_lo, exec_lo, s2
	s_wait_storecnt 0x0
	s_barrier_signal -1
	s_barrier_wait -1
	scratch_load_b128 v[2:5], off, s36
	s_mov_b32 s2, exec_lo
	s_wait_loadcnt 0x0
	ds_store_b128 v6, v[2:5]
	s_wait_dscnt 0x0
	s_barrier_signal -1
	s_barrier_wait -1
	v_cmpx_gt_u32_e32 11, v1
	s_cbranch_execz .LBB28_59
; %bb.56:
	v_dual_mov_b32 v10, v72 :: v_dual_add_nc_u32 v8, -1, v1
	v_mov_b64_e32 v[2:3], 0
	v_mov_b64_e32 v[4:5], 0
	v_add_nc_u32_e32 v9, 0x1d0, v72
	s_delay_alu instid0(VALU_DEP_4)
	v_or_b32_e32 v10, 8, v10
	s_mov_b32 s3, 0
.LBB28_57:                              ; =>This Inner Loop Header: Depth=1
	scratch_load_b128 v[74:77], v10, off offset:-8
	ds_load_b128 v[78:81], v9
	s_wait_xcnt 0x0
	v_dual_add_nc_u32 v9, 16, v9 :: v_dual_add_nc_u32 v10, 16, v10
	v_add_nc_u32_e32 v8, 1, v8
	s_delay_alu instid0(VALU_DEP_1) | instskip(SKIP_4) | instid1(VALU_DEP_2)
	v_cmp_lt_u32_e32 vcc_lo, 9, v8
	s_or_b32 s3, vcc_lo, s3
	s_wait_loadcnt_dscnt 0x0
	v_mul_f64_e32 v[12:13], v[80:81], v[76:77]
	v_mul_f64_e32 v[76:77], v[78:79], v[76:77]
	v_fma_f64 v[12:13], v[78:79], v[74:75], -v[12:13]
	s_delay_alu instid0(VALU_DEP_2) | instskip(NEXT) | instid1(VALU_DEP_2)
	v_fmac_f64_e32 v[76:77], v[80:81], v[74:75]
	v_add_f64_e32 v[4:5], v[4:5], v[12:13]
	s_delay_alu instid0(VALU_DEP_2)
	v_add_f64_e32 v[2:3], v[2:3], v[76:77]
	s_and_not1_b32 exec_lo, exec_lo, s3
	s_cbranch_execnz .LBB28_57
; %bb.58:
	s_or_b32 exec_lo, exec_lo, s3
	v_mov_b32_e32 v8, 0
	ds_load_b128 v[8:11], v8 offset:176
	s_wait_dscnt 0x0
	v_mul_f64_e32 v[74:75], v[2:3], v[10:11]
	v_mul_f64_e32 v[12:13], v[4:5], v[10:11]
	s_delay_alu instid0(VALU_DEP_2) | instskip(NEXT) | instid1(VALU_DEP_2)
	v_fma_f64 v[10:11], v[4:5], v[8:9], -v[74:75]
	v_fmac_f64_e32 v[12:13], v[2:3], v[8:9]
	scratch_store_b128 off, v[10:13], off offset:176
.LBB28_59:
	s_wait_xcnt 0x0
	s_or_b32 exec_lo, exec_lo, s2
	s_wait_storecnt 0x0
	s_barrier_signal -1
	s_barrier_wait -1
	scratch_load_b128 v[2:5], off, s38
	s_mov_b32 s2, exec_lo
	s_wait_loadcnt 0x0
	ds_store_b128 v6, v[2:5]
	s_wait_dscnt 0x0
	s_barrier_signal -1
	s_barrier_wait -1
	v_cmpx_gt_u32_e32 12, v1
	s_cbranch_execz .LBB28_63
; %bb.60:
	v_dual_mov_b32 v10, v72 :: v_dual_add_nc_u32 v8, -1, v1
	v_mov_b64_e32 v[2:3], 0
	v_mov_b64_e32 v[4:5], 0
	v_add_nc_u32_e32 v9, 0x1d0, v72
	s_delay_alu instid0(VALU_DEP_4)
	v_or_b32_e32 v10, 8, v10
	s_mov_b32 s3, 0
.LBB28_61:                              ; =>This Inner Loop Header: Depth=1
	scratch_load_b128 v[74:77], v10, off offset:-8
	ds_load_b128 v[78:81], v9
	s_wait_xcnt 0x0
	v_dual_add_nc_u32 v9, 16, v9 :: v_dual_add_nc_u32 v10, 16, v10
	v_add_nc_u32_e32 v8, 1, v8
	s_delay_alu instid0(VALU_DEP_1) | instskip(SKIP_4) | instid1(VALU_DEP_2)
	v_cmp_lt_u32_e32 vcc_lo, 10, v8
	s_or_b32 s3, vcc_lo, s3
	s_wait_loadcnt_dscnt 0x0
	v_mul_f64_e32 v[12:13], v[80:81], v[76:77]
	v_mul_f64_e32 v[76:77], v[78:79], v[76:77]
	v_fma_f64 v[12:13], v[78:79], v[74:75], -v[12:13]
	s_delay_alu instid0(VALU_DEP_2) | instskip(NEXT) | instid1(VALU_DEP_2)
	v_fmac_f64_e32 v[76:77], v[80:81], v[74:75]
	v_add_f64_e32 v[4:5], v[4:5], v[12:13]
	s_delay_alu instid0(VALU_DEP_2)
	v_add_f64_e32 v[2:3], v[2:3], v[76:77]
	s_and_not1_b32 exec_lo, exec_lo, s3
	s_cbranch_execnz .LBB28_61
; %bb.62:
	s_or_b32 exec_lo, exec_lo, s3
	v_mov_b32_e32 v8, 0
	ds_load_b128 v[8:11], v8 offset:192
	s_wait_dscnt 0x0
	v_mul_f64_e32 v[74:75], v[2:3], v[10:11]
	v_mul_f64_e32 v[12:13], v[4:5], v[10:11]
	s_delay_alu instid0(VALU_DEP_2) | instskip(NEXT) | instid1(VALU_DEP_2)
	v_fma_f64 v[10:11], v[4:5], v[8:9], -v[74:75]
	v_fmac_f64_e32 v[12:13], v[2:3], v[8:9]
	scratch_store_b128 off, v[10:13], off offset:192
.LBB28_63:
	s_wait_xcnt 0x0
	s_or_b32 exec_lo, exec_lo, s2
	s_wait_storecnt 0x0
	s_barrier_signal -1
	s_barrier_wait -1
	scratch_load_b128 v[2:5], off, s39
	s_mov_b32 s2, exec_lo
	s_wait_loadcnt 0x0
	ds_store_b128 v6, v[2:5]
	s_wait_dscnt 0x0
	s_barrier_signal -1
	s_barrier_wait -1
	v_cmpx_gt_u32_e32 13, v1
	s_cbranch_execz .LBB28_67
; %bb.64:
	v_dual_mov_b32 v10, v72 :: v_dual_add_nc_u32 v8, -1, v1
	v_mov_b64_e32 v[2:3], 0
	v_mov_b64_e32 v[4:5], 0
	v_add_nc_u32_e32 v9, 0x1d0, v72
	s_delay_alu instid0(VALU_DEP_4)
	v_or_b32_e32 v10, 8, v10
	s_mov_b32 s3, 0
.LBB28_65:                              ; =>This Inner Loop Header: Depth=1
	scratch_load_b128 v[74:77], v10, off offset:-8
	ds_load_b128 v[78:81], v9
	s_wait_xcnt 0x0
	v_dual_add_nc_u32 v9, 16, v9 :: v_dual_add_nc_u32 v10, 16, v10
	v_add_nc_u32_e32 v8, 1, v8
	s_delay_alu instid0(VALU_DEP_1) | instskip(SKIP_4) | instid1(VALU_DEP_2)
	v_cmp_lt_u32_e32 vcc_lo, 11, v8
	s_or_b32 s3, vcc_lo, s3
	s_wait_loadcnt_dscnt 0x0
	v_mul_f64_e32 v[12:13], v[80:81], v[76:77]
	v_mul_f64_e32 v[76:77], v[78:79], v[76:77]
	v_fma_f64 v[12:13], v[78:79], v[74:75], -v[12:13]
	s_delay_alu instid0(VALU_DEP_2) | instskip(NEXT) | instid1(VALU_DEP_2)
	v_fmac_f64_e32 v[76:77], v[80:81], v[74:75]
	v_add_f64_e32 v[4:5], v[4:5], v[12:13]
	s_delay_alu instid0(VALU_DEP_2)
	v_add_f64_e32 v[2:3], v[2:3], v[76:77]
	s_and_not1_b32 exec_lo, exec_lo, s3
	s_cbranch_execnz .LBB28_65
; %bb.66:
	s_or_b32 exec_lo, exec_lo, s3
	v_mov_b32_e32 v8, 0
	ds_load_b128 v[8:11], v8 offset:208
	s_wait_dscnt 0x0
	v_mul_f64_e32 v[74:75], v[2:3], v[10:11]
	v_mul_f64_e32 v[12:13], v[4:5], v[10:11]
	s_delay_alu instid0(VALU_DEP_2) | instskip(NEXT) | instid1(VALU_DEP_2)
	v_fma_f64 v[10:11], v[4:5], v[8:9], -v[74:75]
	v_fmac_f64_e32 v[12:13], v[2:3], v[8:9]
	scratch_store_b128 off, v[10:13], off offset:208
.LBB28_67:
	s_wait_xcnt 0x0
	s_or_b32 exec_lo, exec_lo, s2
	s_wait_storecnt 0x0
	s_barrier_signal -1
	s_barrier_wait -1
	scratch_load_b128 v[2:5], off, s40
	s_mov_b32 s2, exec_lo
	s_wait_loadcnt 0x0
	ds_store_b128 v6, v[2:5]
	s_wait_dscnt 0x0
	s_barrier_signal -1
	s_barrier_wait -1
	v_cmpx_gt_u32_e32 14, v1
	s_cbranch_execz .LBB28_71
; %bb.68:
	v_dual_mov_b32 v10, v72 :: v_dual_add_nc_u32 v8, -1, v1
	v_mov_b64_e32 v[2:3], 0
	v_mov_b64_e32 v[4:5], 0
	v_add_nc_u32_e32 v9, 0x1d0, v72
	s_delay_alu instid0(VALU_DEP_4)
	v_or_b32_e32 v10, 8, v10
	s_mov_b32 s3, 0
.LBB28_69:                              ; =>This Inner Loop Header: Depth=1
	scratch_load_b128 v[74:77], v10, off offset:-8
	ds_load_b128 v[78:81], v9
	s_wait_xcnt 0x0
	v_dual_add_nc_u32 v9, 16, v9 :: v_dual_add_nc_u32 v10, 16, v10
	v_add_nc_u32_e32 v8, 1, v8
	s_delay_alu instid0(VALU_DEP_1) | instskip(SKIP_4) | instid1(VALU_DEP_2)
	v_cmp_lt_u32_e32 vcc_lo, 12, v8
	s_or_b32 s3, vcc_lo, s3
	s_wait_loadcnt_dscnt 0x0
	v_mul_f64_e32 v[12:13], v[80:81], v[76:77]
	v_mul_f64_e32 v[76:77], v[78:79], v[76:77]
	v_fma_f64 v[12:13], v[78:79], v[74:75], -v[12:13]
	s_delay_alu instid0(VALU_DEP_2) | instskip(NEXT) | instid1(VALU_DEP_2)
	v_fmac_f64_e32 v[76:77], v[80:81], v[74:75]
	v_add_f64_e32 v[4:5], v[4:5], v[12:13]
	s_delay_alu instid0(VALU_DEP_2)
	v_add_f64_e32 v[2:3], v[2:3], v[76:77]
	s_and_not1_b32 exec_lo, exec_lo, s3
	s_cbranch_execnz .LBB28_69
; %bb.70:
	s_or_b32 exec_lo, exec_lo, s3
	v_mov_b32_e32 v8, 0
	ds_load_b128 v[8:11], v8 offset:224
	s_wait_dscnt 0x0
	v_mul_f64_e32 v[74:75], v[2:3], v[10:11]
	v_mul_f64_e32 v[12:13], v[4:5], v[10:11]
	s_delay_alu instid0(VALU_DEP_2) | instskip(NEXT) | instid1(VALU_DEP_2)
	v_fma_f64 v[10:11], v[4:5], v[8:9], -v[74:75]
	v_fmac_f64_e32 v[12:13], v[2:3], v[8:9]
	scratch_store_b128 off, v[10:13], off offset:224
.LBB28_71:
	s_wait_xcnt 0x0
	s_or_b32 exec_lo, exec_lo, s2
	s_wait_storecnt 0x0
	s_barrier_signal -1
	s_barrier_wait -1
	scratch_load_b128 v[2:5], off, s35
	s_mov_b32 s2, exec_lo
	s_wait_loadcnt 0x0
	ds_store_b128 v6, v[2:5]
	s_wait_dscnt 0x0
	s_barrier_signal -1
	s_barrier_wait -1
	v_cmpx_gt_u32_e32 15, v1
	s_cbranch_execz .LBB28_75
; %bb.72:
	v_dual_mov_b32 v10, v72 :: v_dual_add_nc_u32 v8, -1, v1
	v_mov_b64_e32 v[2:3], 0
	v_mov_b64_e32 v[4:5], 0
	v_add_nc_u32_e32 v9, 0x1d0, v72
	s_delay_alu instid0(VALU_DEP_4)
	v_or_b32_e32 v10, 8, v10
	s_mov_b32 s3, 0
.LBB28_73:                              ; =>This Inner Loop Header: Depth=1
	scratch_load_b128 v[74:77], v10, off offset:-8
	ds_load_b128 v[78:81], v9
	s_wait_xcnt 0x0
	v_dual_add_nc_u32 v9, 16, v9 :: v_dual_add_nc_u32 v10, 16, v10
	v_add_nc_u32_e32 v8, 1, v8
	s_delay_alu instid0(VALU_DEP_1) | instskip(SKIP_4) | instid1(VALU_DEP_2)
	v_cmp_lt_u32_e32 vcc_lo, 13, v8
	s_or_b32 s3, vcc_lo, s3
	s_wait_loadcnt_dscnt 0x0
	v_mul_f64_e32 v[12:13], v[80:81], v[76:77]
	v_mul_f64_e32 v[76:77], v[78:79], v[76:77]
	v_fma_f64 v[12:13], v[78:79], v[74:75], -v[12:13]
	s_delay_alu instid0(VALU_DEP_2) | instskip(NEXT) | instid1(VALU_DEP_2)
	v_fmac_f64_e32 v[76:77], v[80:81], v[74:75]
	v_add_f64_e32 v[4:5], v[4:5], v[12:13]
	s_delay_alu instid0(VALU_DEP_2)
	v_add_f64_e32 v[2:3], v[2:3], v[76:77]
	s_and_not1_b32 exec_lo, exec_lo, s3
	s_cbranch_execnz .LBB28_73
; %bb.74:
	s_or_b32 exec_lo, exec_lo, s3
	v_mov_b32_e32 v8, 0
	ds_load_b128 v[8:11], v8 offset:240
	s_wait_dscnt 0x0
	v_mul_f64_e32 v[74:75], v[2:3], v[10:11]
	v_mul_f64_e32 v[12:13], v[4:5], v[10:11]
	s_delay_alu instid0(VALU_DEP_2) | instskip(NEXT) | instid1(VALU_DEP_2)
	v_fma_f64 v[10:11], v[4:5], v[8:9], -v[74:75]
	v_fmac_f64_e32 v[12:13], v[2:3], v[8:9]
	scratch_store_b128 off, v[10:13], off offset:240
.LBB28_75:
	s_wait_xcnt 0x0
	s_or_b32 exec_lo, exec_lo, s2
	s_wait_storecnt 0x0
	s_barrier_signal -1
	s_barrier_wait -1
	scratch_load_b128 v[2:5], off, s25
	s_mov_b32 s2, exec_lo
	s_wait_loadcnt 0x0
	ds_store_b128 v6, v[2:5]
	s_wait_dscnt 0x0
	s_barrier_signal -1
	s_barrier_wait -1
	v_cmpx_gt_u32_e32 16, v1
	s_cbranch_execz .LBB28_79
; %bb.76:
	v_dual_mov_b32 v10, v72 :: v_dual_add_nc_u32 v8, -1, v1
	v_mov_b64_e32 v[2:3], 0
	v_mov_b64_e32 v[4:5], 0
	v_add_nc_u32_e32 v9, 0x1d0, v72
	s_delay_alu instid0(VALU_DEP_4)
	v_or_b32_e32 v10, 8, v10
	s_mov_b32 s3, 0
.LBB28_77:                              ; =>This Inner Loop Header: Depth=1
	scratch_load_b128 v[74:77], v10, off offset:-8
	ds_load_b128 v[78:81], v9
	s_wait_xcnt 0x0
	v_dual_add_nc_u32 v9, 16, v9 :: v_dual_add_nc_u32 v10, 16, v10
	v_add_nc_u32_e32 v8, 1, v8
	s_delay_alu instid0(VALU_DEP_1) | instskip(SKIP_4) | instid1(VALU_DEP_2)
	v_cmp_lt_u32_e32 vcc_lo, 14, v8
	s_or_b32 s3, vcc_lo, s3
	s_wait_loadcnt_dscnt 0x0
	v_mul_f64_e32 v[12:13], v[80:81], v[76:77]
	v_mul_f64_e32 v[76:77], v[78:79], v[76:77]
	v_fma_f64 v[12:13], v[78:79], v[74:75], -v[12:13]
	s_delay_alu instid0(VALU_DEP_2) | instskip(NEXT) | instid1(VALU_DEP_2)
	v_fmac_f64_e32 v[76:77], v[80:81], v[74:75]
	v_add_f64_e32 v[4:5], v[4:5], v[12:13]
	s_delay_alu instid0(VALU_DEP_2)
	v_add_f64_e32 v[2:3], v[2:3], v[76:77]
	s_and_not1_b32 exec_lo, exec_lo, s3
	s_cbranch_execnz .LBB28_77
; %bb.78:
	s_or_b32 exec_lo, exec_lo, s3
	v_mov_b32_e32 v8, 0
	ds_load_b128 v[8:11], v8 offset:256
	s_wait_dscnt 0x0
	v_mul_f64_e32 v[74:75], v[2:3], v[10:11]
	v_mul_f64_e32 v[12:13], v[4:5], v[10:11]
	s_delay_alu instid0(VALU_DEP_2) | instskip(NEXT) | instid1(VALU_DEP_2)
	v_fma_f64 v[10:11], v[4:5], v[8:9], -v[74:75]
	v_fmac_f64_e32 v[12:13], v[2:3], v[8:9]
	scratch_store_b128 off, v[10:13], off offset:256
.LBB28_79:
	s_wait_xcnt 0x0
	s_or_b32 exec_lo, exec_lo, s2
	s_wait_storecnt 0x0
	s_barrier_signal -1
	s_barrier_wait -1
	scratch_load_b128 v[2:5], off, s28
	s_mov_b32 s2, exec_lo
	s_wait_loadcnt 0x0
	ds_store_b128 v6, v[2:5]
	s_wait_dscnt 0x0
	s_barrier_signal -1
	s_barrier_wait -1
	v_cmpx_gt_u32_e32 17, v1
	s_cbranch_execz .LBB28_83
; %bb.80:
	v_dual_mov_b32 v10, v72 :: v_dual_add_nc_u32 v8, -1, v1
	v_mov_b64_e32 v[2:3], 0
	v_mov_b64_e32 v[4:5], 0
	v_add_nc_u32_e32 v9, 0x1d0, v72
	s_delay_alu instid0(VALU_DEP_4)
	v_or_b32_e32 v10, 8, v10
	s_mov_b32 s3, 0
.LBB28_81:                              ; =>This Inner Loop Header: Depth=1
	scratch_load_b128 v[74:77], v10, off offset:-8
	ds_load_b128 v[78:81], v9
	s_wait_xcnt 0x0
	v_dual_add_nc_u32 v9, 16, v9 :: v_dual_add_nc_u32 v10, 16, v10
	v_add_nc_u32_e32 v8, 1, v8
	s_delay_alu instid0(VALU_DEP_1) | instskip(SKIP_4) | instid1(VALU_DEP_2)
	v_cmp_lt_u32_e32 vcc_lo, 15, v8
	s_or_b32 s3, vcc_lo, s3
	s_wait_loadcnt_dscnt 0x0
	v_mul_f64_e32 v[12:13], v[80:81], v[76:77]
	v_mul_f64_e32 v[76:77], v[78:79], v[76:77]
	v_fma_f64 v[12:13], v[78:79], v[74:75], -v[12:13]
	s_delay_alu instid0(VALU_DEP_2) | instskip(NEXT) | instid1(VALU_DEP_2)
	v_fmac_f64_e32 v[76:77], v[80:81], v[74:75]
	v_add_f64_e32 v[4:5], v[4:5], v[12:13]
	s_delay_alu instid0(VALU_DEP_2)
	v_add_f64_e32 v[2:3], v[2:3], v[76:77]
	s_and_not1_b32 exec_lo, exec_lo, s3
	s_cbranch_execnz .LBB28_81
; %bb.82:
	s_or_b32 exec_lo, exec_lo, s3
	v_mov_b32_e32 v8, 0
	ds_load_b128 v[8:11], v8 offset:272
	s_wait_dscnt 0x0
	v_mul_f64_e32 v[74:75], v[2:3], v[10:11]
	v_mul_f64_e32 v[12:13], v[4:5], v[10:11]
	s_delay_alu instid0(VALU_DEP_2) | instskip(NEXT) | instid1(VALU_DEP_2)
	v_fma_f64 v[10:11], v[4:5], v[8:9], -v[74:75]
	v_fmac_f64_e32 v[12:13], v[2:3], v[8:9]
	scratch_store_b128 off, v[10:13], off offset:272
.LBB28_83:
	s_wait_xcnt 0x0
	s_or_b32 exec_lo, exec_lo, s2
	s_wait_storecnt 0x0
	s_barrier_signal -1
	s_barrier_wait -1
	scratch_load_b128 v[2:5], off, s29
	s_mov_b32 s2, exec_lo
	s_wait_loadcnt 0x0
	ds_store_b128 v6, v[2:5]
	s_wait_dscnt 0x0
	s_barrier_signal -1
	s_barrier_wait -1
	v_cmpx_gt_u32_e32 18, v1
	s_cbranch_execz .LBB28_87
; %bb.84:
	v_dual_mov_b32 v10, v72 :: v_dual_add_nc_u32 v8, -1, v1
	v_mov_b64_e32 v[2:3], 0
	v_mov_b64_e32 v[4:5], 0
	v_add_nc_u32_e32 v9, 0x1d0, v72
	s_delay_alu instid0(VALU_DEP_4)
	v_or_b32_e32 v10, 8, v10
	s_mov_b32 s3, 0
.LBB28_85:                              ; =>This Inner Loop Header: Depth=1
	scratch_load_b128 v[74:77], v10, off offset:-8
	ds_load_b128 v[78:81], v9
	s_wait_xcnt 0x0
	v_dual_add_nc_u32 v9, 16, v9 :: v_dual_add_nc_u32 v10, 16, v10
	v_add_nc_u32_e32 v8, 1, v8
	s_delay_alu instid0(VALU_DEP_1) | instskip(SKIP_4) | instid1(VALU_DEP_2)
	v_cmp_lt_u32_e32 vcc_lo, 16, v8
	s_or_b32 s3, vcc_lo, s3
	s_wait_loadcnt_dscnt 0x0
	v_mul_f64_e32 v[12:13], v[80:81], v[76:77]
	v_mul_f64_e32 v[76:77], v[78:79], v[76:77]
	v_fma_f64 v[12:13], v[78:79], v[74:75], -v[12:13]
	s_delay_alu instid0(VALU_DEP_2) | instskip(NEXT) | instid1(VALU_DEP_2)
	v_fmac_f64_e32 v[76:77], v[80:81], v[74:75]
	v_add_f64_e32 v[4:5], v[4:5], v[12:13]
	s_delay_alu instid0(VALU_DEP_2)
	v_add_f64_e32 v[2:3], v[2:3], v[76:77]
	s_and_not1_b32 exec_lo, exec_lo, s3
	s_cbranch_execnz .LBB28_85
; %bb.86:
	s_or_b32 exec_lo, exec_lo, s3
	v_mov_b32_e32 v8, 0
	ds_load_b128 v[8:11], v8 offset:288
	s_wait_dscnt 0x0
	v_mul_f64_e32 v[74:75], v[2:3], v[10:11]
	v_mul_f64_e32 v[12:13], v[4:5], v[10:11]
	s_delay_alu instid0(VALU_DEP_2) | instskip(NEXT) | instid1(VALU_DEP_2)
	v_fma_f64 v[10:11], v[4:5], v[8:9], -v[74:75]
	v_fmac_f64_e32 v[12:13], v[2:3], v[8:9]
	scratch_store_b128 off, v[10:13], off offset:288
.LBB28_87:
	s_wait_xcnt 0x0
	s_or_b32 exec_lo, exec_lo, s2
	s_wait_storecnt 0x0
	s_barrier_signal -1
	s_barrier_wait -1
	scratch_load_b128 v[2:5], off, s23
	s_mov_b32 s2, exec_lo
	s_wait_loadcnt 0x0
	ds_store_b128 v6, v[2:5]
	s_wait_dscnt 0x0
	s_barrier_signal -1
	s_barrier_wait -1
	v_cmpx_gt_u32_e32 19, v1
	s_cbranch_execz .LBB28_91
; %bb.88:
	v_dual_mov_b32 v10, v72 :: v_dual_add_nc_u32 v8, -1, v1
	v_mov_b64_e32 v[2:3], 0
	v_mov_b64_e32 v[4:5], 0
	v_add_nc_u32_e32 v9, 0x1d0, v72
	s_delay_alu instid0(VALU_DEP_4)
	v_or_b32_e32 v10, 8, v10
	s_mov_b32 s3, 0
.LBB28_89:                              ; =>This Inner Loop Header: Depth=1
	scratch_load_b128 v[74:77], v10, off offset:-8
	ds_load_b128 v[78:81], v9
	s_wait_xcnt 0x0
	v_dual_add_nc_u32 v9, 16, v9 :: v_dual_add_nc_u32 v10, 16, v10
	v_add_nc_u32_e32 v8, 1, v8
	s_delay_alu instid0(VALU_DEP_1) | instskip(SKIP_4) | instid1(VALU_DEP_2)
	v_cmp_lt_u32_e32 vcc_lo, 17, v8
	s_or_b32 s3, vcc_lo, s3
	s_wait_loadcnt_dscnt 0x0
	v_mul_f64_e32 v[12:13], v[80:81], v[76:77]
	v_mul_f64_e32 v[76:77], v[78:79], v[76:77]
	v_fma_f64 v[12:13], v[78:79], v[74:75], -v[12:13]
	s_delay_alu instid0(VALU_DEP_2) | instskip(NEXT) | instid1(VALU_DEP_2)
	v_fmac_f64_e32 v[76:77], v[80:81], v[74:75]
	v_add_f64_e32 v[4:5], v[4:5], v[12:13]
	s_delay_alu instid0(VALU_DEP_2)
	v_add_f64_e32 v[2:3], v[2:3], v[76:77]
	s_and_not1_b32 exec_lo, exec_lo, s3
	s_cbranch_execnz .LBB28_89
; %bb.90:
	s_or_b32 exec_lo, exec_lo, s3
	v_mov_b32_e32 v8, 0
	ds_load_b128 v[8:11], v8 offset:304
	s_wait_dscnt 0x0
	v_mul_f64_e32 v[74:75], v[2:3], v[10:11]
	v_mul_f64_e32 v[12:13], v[4:5], v[10:11]
	s_delay_alu instid0(VALU_DEP_2) | instskip(NEXT) | instid1(VALU_DEP_2)
	v_fma_f64 v[10:11], v[4:5], v[8:9], -v[74:75]
	v_fmac_f64_e32 v[12:13], v[2:3], v[8:9]
	scratch_store_b128 off, v[10:13], off offset:304
.LBB28_91:
	s_wait_xcnt 0x0
	s_or_b32 exec_lo, exec_lo, s2
	s_wait_storecnt 0x0
	s_barrier_signal -1
	s_barrier_wait -1
	scratch_load_b128 v[2:5], off, s24
	s_mov_b32 s2, exec_lo
	s_wait_loadcnt 0x0
	ds_store_b128 v6, v[2:5]
	s_wait_dscnt 0x0
	s_barrier_signal -1
	s_barrier_wait -1
	v_cmpx_gt_u32_e32 20, v1
	s_cbranch_execz .LBB28_95
; %bb.92:
	v_dual_mov_b32 v10, v72 :: v_dual_add_nc_u32 v8, -1, v1
	v_mov_b64_e32 v[2:3], 0
	v_mov_b64_e32 v[4:5], 0
	v_add_nc_u32_e32 v9, 0x1d0, v72
	s_delay_alu instid0(VALU_DEP_4)
	v_or_b32_e32 v10, 8, v10
	s_mov_b32 s3, 0
.LBB28_93:                              ; =>This Inner Loop Header: Depth=1
	scratch_load_b128 v[74:77], v10, off offset:-8
	ds_load_b128 v[78:81], v9
	s_wait_xcnt 0x0
	v_dual_add_nc_u32 v9, 16, v9 :: v_dual_add_nc_u32 v10, 16, v10
	v_add_nc_u32_e32 v8, 1, v8
	s_delay_alu instid0(VALU_DEP_1) | instskip(SKIP_4) | instid1(VALU_DEP_2)
	v_cmp_lt_u32_e32 vcc_lo, 18, v8
	s_or_b32 s3, vcc_lo, s3
	s_wait_loadcnt_dscnt 0x0
	v_mul_f64_e32 v[12:13], v[80:81], v[76:77]
	v_mul_f64_e32 v[76:77], v[78:79], v[76:77]
	v_fma_f64 v[12:13], v[78:79], v[74:75], -v[12:13]
	s_delay_alu instid0(VALU_DEP_2) | instskip(NEXT) | instid1(VALU_DEP_2)
	v_fmac_f64_e32 v[76:77], v[80:81], v[74:75]
	v_add_f64_e32 v[4:5], v[4:5], v[12:13]
	s_delay_alu instid0(VALU_DEP_2)
	v_add_f64_e32 v[2:3], v[2:3], v[76:77]
	s_and_not1_b32 exec_lo, exec_lo, s3
	s_cbranch_execnz .LBB28_93
; %bb.94:
	s_or_b32 exec_lo, exec_lo, s3
	v_mov_b32_e32 v8, 0
	ds_load_b128 v[8:11], v8 offset:320
	s_wait_dscnt 0x0
	v_mul_f64_e32 v[74:75], v[2:3], v[10:11]
	v_mul_f64_e32 v[12:13], v[4:5], v[10:11]
	s_delay_alu instid0(VALU_DEP_2) | instskip(NEXT) | instid1(VALU_DEP_2)
	v_fma_f64 v[10:11], v[4:5], v[8:9], -v[74:75]
	v_fmac_f64_e32 v[12:13], v[2:3], v[8:9]
	scratch_store_b128 off, v[10:13], off offset:320
.LBB28_95:
	s_wait_xcnt 0x0
	s_or_b32 exec_lo, exec_lo, s2
	s_wait_storecnt 0x0
	s_barrier_signal -1
	s_barrier_wait -1
	scratch_load_b128 v[2:5], off, s15
	s_mov_b32 s2, exec_lo
	s_wait_loadcnt 0x0
	ds_store_b128 v6, v[2:5]
	s_wait_dscnt 0x0
	s_barrier_signal -1
	s_barrier_wait -1
	v_cmpx_gt_u32_e32 21, v1
	s_cbranch_execz .LBB28_99
; %bb.96:
	v_dual_mov_b32 v10, v72 :: v_dual_add_nc_u32 v8, -1, v1
	v_mov_b64_e32 v[2:3], 0
	v_mov_b64_e32 v[4:5], 0
	v_add_nc_u32_e32 v9, 0x1d0, v72
	s_delay_alu instid0(VALU_DEP_4)
	v_or_b32_e32 v10, 8, v10
	s_mov_b32 s3, 0
.LBB28_97:                              ; =>This Inner Loop Header: Depth=1
	scratch_load_b128 v[74:77], v10, off offset:-8
	ds_load_b128 v[78:81], v9
	s_wait_xcnt 0x0
	v_dual_add_nc_u32 v9, 16, v9 :: v_dual_add_nc_u32 v10, 16, v10
	v_add_nc_u32_e32 v8, 1, v8
	s_delay_alu instid0(VALU_DEP_1) | instskip(SKIP_4) | instid1(VALU_DEP_2)
	v_cmp_lt_u32_e32 vcc_lo, 19, v8
	s_or_b32 s3, vcc_lo, s3
	s_wait_loadcnt_dscnt 0x0
	v_mul_f64_e32 v[12:13], v[80:81], v[76:77]
	v_mul_f64_e32 v[76:77], v[78:79], v[76:77]
	v_fma_f64 v[12:13], v[78:79], v[74:75], -v[12:13]
	s_delay_alu instid0(VALU_DEP_2) | instskip(NEXT) | instid1(VALU_DEP_2)
	v_fmac_f64_e32 v[76:77], v[80:81], v[74:75]
	v_add_f64_e32 v[4:5], v[4:5], v[12:13]
	s_delay_alu instid0(VALU_DEP_2)
	v_add_f64_e32 v[2:3], v[2:3], v[76:77]
	s_and_not1_b32 exec_lo, exec_lo, s3
	s_cbranch_execnz .LBB28_97
; %bb.98:
	s_or_b32 exec_lo, exec_lo, s3
	v_mov_b32_e32 v8, 0
	ds_load_b128 v[8:11], v8 offset:336
	s_wait_dscnt 0x0
	v_mul_f64_e32 v[74:75], v[2:3], v[10:11]
	v_mul_f64_e32 v[12:13], v[4:5], v[10:11]
	s_delay_alu instid0(VALU_DEP_2) | instskip(NEXT) | instid1(VALU_DEP_2)
	v_fma_f64 v[10:11], v[4:5], v[8:9], -v[74:75]
	v_fmac_f64_e32 v[12:13], v[2:3], v[8:9]
	scratch_store_b128 off, v[10:13], off offset:336
.LBB28_99:
	s_wait_xcnt 0x0
	s_or_b32 exec_lo, exec_lo, s2
	s_wait_storecnt 0x0
	s_barrier_signal -1
	s_barrier_wait -1
	scratch_load_b128 v[2:5], off, s20
	s_mov_b32 s2, exec_lo
	s_wait_loadcnt 0x0
	ds_store_b128 v6, v[2:5]
	s_wait_dscnt 0x0
	s_barrier_signal -1
	s_barrier_wait -1
	v_cmpx_gt_u32_e32 22, v1
	s_cbranch_execz .LBB28_103
; %bb.100:
	v_dual_mov_b32 v10, v72 :: v_dual_add_nc_u32 v8, -1, v1
	v_mov_b64_e32 v[2:3], 0
	v_mov_b64_e32 v[4:5], 0
	v_add_nc_u32_e32 v9, 0x1d0, v72
	s_delay_alu instid0(VALU_DEP_4)
	v_or_b32_e32 v10, 8, v10
	s_mov_b32 s3, 0
.LBB28_101:                             ; =>This Inner Loop Header: Depth=1
	scratch_load_b128 v[74:77], v10, off offset:-8
	ds_load_b128 v[78:81], v9
	s_wait_xcnt 0x0
	v_dual_add_nc_u32 v9, 16, v9 :: v_dual_add_nc_u32 v10, 16, v10
	v_add_nc_u32_e32 v8, 1, v8
	s_delay_alu instid0(VALU_DEP_1) | instskip(SKIP_4) | instid1(VALU_DEP_2)
	v_cmp_lt_u32_e32 vcc_lo, 20, v8
	s_or_b32 s3, vcc_lo, s3
	s_wait_loadcnt_dscnt 0x0
	v_mul_f64_e32 v[12:13], v[80:81], v[76:77]
	v_mul_f64_e32 v[76:77], v[78:79], v[76:77]
	v_fma_f64 v[12:13], v[78:79], v[74:75], -v[12:13]
	s_delay_alu instid0(VALU_DEP_2) | instskip(NEXT) | instid1(VALU_DEP_2)
	v_fmac_f64_e32 v[76:77], v[80:81], v[74:75]
	v_add_f64_e32 v[4:5], v[4:5], v[12:13]
	s_delay_alu instid0(VALU_DEP_2)
	v_add_f64_e32 v[2:3], v[2:3], v[76:77]
	s_and_not1_b32 exec_lo, exec_lo, s3
	s_cbranch_execnz .LBB28_101
; %bb.102:
	s_or_b32 exec_lo, exec_lo, s3
	v_mov_b32_e32 v8, 0
	ds_load_b128 v[8:11], v8 offset:352
	s_wait_dscnt 0x0
	v_mul_f64_e32 v[74:75], v[2:3], v[10:11]
	v_mul_f64_e32 v[12:13], v[4:5], v[10:11]
	s_delay_alu instid0(VALU_DEP_2) | instskip(NEXT) | instid1(VALU_DEP_2)
	v_fma_f64 v[10:11], v[4:5], v[8:9], -v[74:75]
	v_fmac_f64_e32 v[12:13], v[2:3], v[8:9]
	scratch_store_b128 off, v[10:13], off offset:352
.LBB28_103:
	s_wait_xcnt 0x0
	s_or_b32 exec_lo, exec_lo, s2
	s_wait_storecnt 0x0
	s_barrier_signal -1
	s_barrier_wait -1
	scratch_load_b128 v[2:5], off, s13
	s_mov_b32 s2, exec_lo
	s_wait_loadcnt 0x0
	ds_store_b128 v6, v[2:5]
	s_wait_dscnt 0x0
	s_barrier_signal -1
	s_barrier_wait -1
	v_cmpx_gt_u32_e32 23, v1
	s_cbranch_execz .LBB28_107
; %bb.104:
	v_dual_mov_b32 v10, v72 :: v_dual_add_nc_u32 v8, -1, v1
	v_mov_b64_e32 v[2:3], 0
	v_mov_b64_e32 v[4:5], 0
	v_add_nc_u32_e32 v9, 0x1d0, v72
	s_delay_alu instid0(VALU_DEP_4)
	v_or_b32_e32 v10, 8, v10
	s_mov_b32 s3, 0
.LBB28_105:                             ; =>This Inner Loop Header: Depth=1
	scratch_load_b128 v[74:77], v10, off offset:-8
	ds_load_b128 v[78:81], v9
	s_wait_xcnt 0x0
	v_dual_add_nc_u32 v9, 16, v9 :: v_dual_add_nc_u32 v10, 16, v10
	v_add_nc_u32_e32 v8, 1, v8
	s_delay_alu instid0(VALU_DEP_1) | instskip(SKIP_4) | instid1(VALU_DEP_2)
	v_cmp_lt_u32_e32 vcc_lo, 21, v8
	s_or_b32 s3, vcc_lo, s3
	s_wait_loadcnt_dscnt 0x0
	v_mul_f64_e32 v[12:13], v[80:81], v[76:77]
	v_mul_f64_e32 v[76:77], v[78:79], v[76:77]
	v_fma_f64 v[12:13], v[78:79], v[74:75], -v[12:13]
	s_delay_alu instid0(VALU_DEP_2) | instskip(NEXT) | instid1(VALU_DEP_2)
	v_fmac_f64_e32 v[76:77], v[80:81], v[74:75]
	v_add_f64_e32 v[4:5], v[4:5], v[12:13]
	s_delay_alu instid0(VALU_DEP_2)
	v_add_f64_e32 v[2:3], v[2:3], v[76:77]
	s_and_not1_b32 exec_lo, exec_lo, s3
	s_cbranch_execnz .LBB28_105
; %bb.106:
	s_or_b32 exec_lo, exec_lo, s3
	v_mov_b32_e32 v8, 0
	ds_load_b128 v[8:11], v8 offset:368
	s_wait_dscnt 0x0
	v_mul_f64_e32 v[74:75], v[2:3], v[10:11]
	v_mul_f64_e32 v[12:13], v[4:5], v[10:11]
	s_delay_alu instid0(VALU_DEP_2) | instskip(NEXT) | instid1(VALU_DEP_2)
	v_fma_f64 v[10:11], v[4:5], v[8:9], -v[74:75]
	v_fmac_f64_e32 v[12:13], v[2:3], v[8:9]
	scratch_store_b128 off, v[10:13], off offset:368
.LBB28_107:
	s_wait_xcnt 0x0
	s_or_b32 exec_lo, exec_lo, s2
	s_wait_storecnt 0x0
	s_barrier_signal -1
	s_barrier_wait -1
	scratch_load_b128 v[2:5], off, s14
	;; [unrolled: 54-line block ×6, first 2 shown]
	s_mov_b32 s2, exec_lo
	s_wait_loadcnt 0x0
	ds_store_b128 v6, v[2:5]
	s_wait_dscnt 0x0
	s_barrier_signal -1
	s_barrier_wait -1
	v_cmpx_ne_u32_e32 28, v1
	s_cbranch_execz .LBB28_127
; %bb.124:
	v_mov_b32_e32 v8, v72
	v_mov_b64_e32 v[2:3], 0
	v_mov_b64_e32 v[4:5], 0
	s_mov_b32 s3, 0
	s_delay_alu instid0(VALU_DEP_3)
	v_or_b32_e32 v8, 8, v8
.LBB28_125:                             ; =>This Inner Loop Header: Depth=1
	scratch_load_b128 v[10:13], v8, off offset:-8
	ds_load_b128 v[72:75], v6
	v_dual_add_nc_u32 v7, 1, v7 :: v_dual_add_nc_u32 v6, 16, v6
	s_wait_xcnt 0x0
	v_add_nc_u32_e32 v8, 16, v8
	s_delay_alu instid0(VALU_DEP_2) | instskip(SKIP_4) | instid1(VALU_DEP_2)
	v_cmp_lt_u32_e32 vcc_lo, 26, v7
	s_or_b32 s3, vcc_lo, s3
	s_wait_loadcnt_dscnt 0x0
	v_mul_f64_e32 v[76:77], v[74:75], v[12:13]
	v_mul_f64_e32 v[12:13], v[72:73], v[12:13]
	v_fma_f64 v[72:73], v[72:73], v[10:11], -v[76:77]
	s_delay_alu instid0(VALU_DEP_2) | instskip(NEXT) | instid1(VALU_DEP_2)
	v_fmac_f64_e32 v[12:13], v[74:75], v[10:11]
	v_add_f64_e32 v[4:5], v[4:5], v[72:73]
	s_delay_alu instid0(VALU_DEP_2)
	v_add_f64_e32 v[2:3], v[2:3], v[12:13]
	s_and_not1_b32 exec_lo, exec_lo, s3
	s_cbranch_execnz .LBB28_125
; %bb.126:
	s_or_b32 exec_lo, exec_lo, s3
	v_mov_b32_e32 v6, 0
	ds_load_b128 v[6:9], v6 offset:448
	s_wait_dscnt 0x0
	v_mul_f64_e32 v[12:13], v[2:3], v[8:9]
	v_mul_f64_e32 v[10:11], v[4:5], v[8:9]
	s_delay_alu instid0(VALU_DEP_2) | instskip(NEXT) | instid1(VALU_DEP_2)
	v_fma_f64 v[8:9], v[4:5], v[6:7], -v[12:13]
	v_fmac_f64_e32 v[10:11], v[2:3], v[6:7]
	scratch_store_b128 off, v[8:11], off offset:448
.LBB28_127:
	s_wait_xcnt 0x0
	s_or_b32 exec_lo, exec_lo, s2
	s_mov_b32 s3, -1
	s_wait_storecnt 0x0
	s_barrier_signal -1
	s_barrier_wait -1
.LBB28_128:
	s_and_b32 vcc_lo, exec_lo, s3
	s_cbranch_vccz .LBB28_130
; %bb.129:
	s_wait_xcnt 0x8
	v_mov_b32_e32 v2, 0
	s_lshl_b64 s[2:3], s[18:19], 2
	s_delay_alu instid0(SALU_CYCLE_1)
	s_add_nc_u64 s[2:3], s[6:7], s[2:3]
	global_load_b32 v2, v2, s[2:3]
	s_wait_loadcnt 0x0
	v_cmp_ne_u32_e32 vcc_lo, 0, v2
	s_cbranch_vccz .LBB28_131
.LBB28_130:
	s_sendmsg sendmsg(MSG_DEALLOC_VGPRS)
	s_endpgm
.LBB28_131:
	s_wait_xcnt 0x7
	v_lshl_add_u32 v6, v1, 4, 0x1d0
	s_wait_xcnt 0x0
	s_mov_b32 s2, exec_lo
	v_cmpx_eq_u32_e32 28, v1
	s_cbranch_execz .LBB28_133
; %bb.132:
	scratch_load_b128 v[2:5], off, s21
	v_mov_b32_e32 v8, 0
	s_delay_alu instid0(VALU_DEP_1)
	v_dual_mov_b32 v9, v8 :: v_dual_mov_b32 v10, v8
	v_mov_b32_e32 v11, v8
	scratch_store_b128 off, v[8:11], off offset:432
	s_wait_loadcnt 0x0
	ds_store_b128 v6, v[2:5]
.LBB28_133:
	s_wait_xcnt 0x0
	s_or_b32 exec_lo, exec_lo, s2
	s_wait_storecnt_dscnt 0x0
	s_barrier_signal -1
	s_barrier_wait -1
	s_clause 0x1
	scratch_load_b128 v[8:11], off, off offset:448
	scratch_load_b128 v[72:75], off, off offset:432
	v_mov_b32_e32 v2, 0
	s_mov_b32 s2, exec_lo
	ds_load_b128 v[76:79], v2 offset:912
	s_wait_loadcnt_dscnt 0x100
	v_mul_f64_e32 v[4:5], v[78:79], v[10:11]
	v_mul_f64_e32 v[10:11], v[76:77], v[10:11]
	s_delay_alu instid0(VALU_DEP_2) | instskip(NEXT) | instid1(VALU_DEP_2)
	v_fma_f64 v[4:5], v[76:77], v[8:9], -v[4:5]
	v_fmac_f64_e32 v[10:11], v[78:79], v[8:9]
	s_delay_alu instid0(VALU_DEP_2) | instskip(NEXT) | instid1(VALU_DEP_2)
	v_add_f64_e32 v[4:5], 0, v[4:5]
	v_add_f64_e32 v[10:11], 0, v[10:11]
	s_wait_loadcnt 0x0
	s_delay_alu instid0(VALU_DEP_2) | instskip(NEXT) | instid1(VALU_DEP_2)
	v_add_f64_e64 v[8:9], v[72:73], -v[4:5]
	v_add_f64_e64 v[10:11], v[74:75], -v[10:11]
	scratch_store_b128 off, v[8:11], off offset:432
	s_wait_xcnt 0x0
	v_cmpx_lt_u32_e32 26, v1
	s_cbranch_execz .LBB28_135
; %bb.134:
	scratch_load_b128 v[8:11], off, s26
	v_dual_mov_b32 v3, v2 :: v_dual_mov_b32 v4, v2
	v_mov_b32_e32 v5, v2
	scratch_store_b128 off, v[2:5], off offset:416
	s_wait_loadcnt 0x0
	ds_store_b128 v6, v[8:11]
.LBB28_135:
	s_wait_xcnt 0x0
	s_or_b32 exec_lo, exec_lo, s2
	s_wait_storecnt_dscnt 0x0
	s_barrier_signal -1
	s_barrier_wait -1
	s_clause 0x2
	scratch_load_b128 v[8:11], off, off offset:432
	scratch_load_b128 v[72:75], off, off offset:448
	;; [unrolled: 1-line block ×3, first 2 shown]
	ds_load_b128 v[80:83], v2 offset:896
	ds_load_b128 v[2:5], v2 offset:912
	s_mov_b32 s2, exec_lo
	s_wait_loadcnt_dscnt 0x201
	v_mul_f64_e32 v[12:13], v[82:83], v[10:11]
	v_mul_f64_e32 v[10:11], v[80:81], v[10:11]
	s_wait_loadcnt_dscnt 0x100
	v_mul_f64_e32 v[84:85], v[2:3], v[74:75]
	v_mul_f64_e32 v[74:75], v[4:5], v[74:75]
	s_delay_alu instid0(VALU_DEP_4) | instskip(NEXT) | instid1(VALU_DEP_4)
	v_fma_f64 v[12:13], v[80:81], v[8:9], -v[12:13]
	v_fmac_f64_e32 v[10:11], v[82:83], v[8:9]
	s_delay_alu instid0(VALU_DEP_4) | instskip(NEXT) | instid1(VALU_DEP_4)
	v_fmac_f64_e32 v[84:85], v[4:5], v[72:73]
	v_fma_f64 v[2:3], v[2:3], v[72:73], -v[74:75]
	s_delay_alu instid0(VALU_DEP_4) | instskip(NEXT) | instid1(VALU_DEP_4)
	v_add_f64_e32 v[4:5], 0, v[12:13]
	v_add_f64_e32 v[8:9], 0, v[10:11]
	s_delay_alu instid0(VALU_DEP_2) | instskip(NEXT) | instid1(VALU_DEP_2)
	v_add_f64_e32 v[2:3], v[4:5], v[2:3]
	v_add_f64_e32 v[4:5], v[8:9], v[84:85]
	s_wait_loadcnt 0x0
	s_delay_alu instid0(VALU_DEP_2) | instskip(NEXT) | instid1(VALU_DEP_2)
	v_add_f64_e64 v[2:3], v[76:77], -v[2:3]
	v_add_f64_e64 v[4:5], v[78:79], -v[4:5]
	scratch_store_b128 off, v[2:5], off offset:416
	s_wait_xcnt 0x0
	v_cmpx_lt_u32_e32 25, v1
	s_cbranch_execz .LBB28_137
; %bb.136:
	scratch_load_b128 v[2:5], off, s11
	v_mov_b32_e32 v8, 0
	s_delay_alu instid0(VALU_DEP_1)
	v_dual_mov_b32 v9, v8 :: v_dual_mov_b32 v10, v8
	v_mov_b32_e32 v11, v8
	scratch_store_b128 off, v[8:11], off offset:400
	s_wait_loadcnt 0x0
	ds_store_b128 v6, v[2:5]
.LBB28_137:
	s_wait_xcnt 0x0
	s_or_b32 exec_lo, exec_lo, s2
	s_wait_storecnt_dscnt 0x0
	s_barrier_signal -1
	s_barrier_wait -1
	s_clause 0x3
	scratch_load_b128 v[8:11], off, off offset:416
	scratch_load_b128 v[72:75], off, off offset:432
	;; [unrolled: 1-line block ×4, first 2 shown]
	v_mov_b32_e32 v2, 0
	ds_load_b128 v[84:87], v2 offset:880
	ds_load_b128 v[88:91], v2 offset:896
	s_mov_b32 s2, exec_lo
	s_wait_loadcnt_dscnt 0x301
	v_mul_f64_e32 v[4:5], v[86:87], v[10:11]
	v_mul_f64_e32 v[12:13], v[84:85], v[10:11]
	s_wait_loadcnt_dscnt 0x200
	v_mul_f64_e32 v[92:93], v[88:89], v[74:75]
	v_mul_f64_e32 v[74:75], v[90:91], v[74:75]
	s_delay_alu instid0(VALU_DEP_4) | instskip(NEXT) | instid1(VALU_DEP_4)
	v_fma_f64 v[4:5], v[84:85], v[8:9], -v[4:5]
	v_fmac_f64_e32 v[12:13], v[86:87], v[8:9]
	ds_load_b128 v[8:11], v2 offset:912
	v_fmac_f64_e32 v[92:93], v[90:91], v[72:73]
	v_fma_f64 v[72:73], v[88:89], v[72:73], -v[74:75]
	s_wait_loadcnt_dscnt 0x100
	v_mul_f64_e32 v[84:85], v[8:9], v[78:79]
	v_mul_f64_e32 v[78:79], v[10:11], v[78:79]
	v_add_f64_e32 v[4:5], 0, v[4:5]
	v_add_f64_e32 v[12:13], 0, v[12:13]
	s_delay_alu instid0(VALU_DEP_4) | instskip(NEXT) | instid1(VALU_DEP_4)
	v_fmac_f64_e32 v[84:85], v[10:11], v[76:77]
	v_fma_f64 v[8:9], v[8:9], v[76:77], -v[78:79]
	s_delay_alu instid0(VALU_DEP_4) | instskip(NEXT) | instid1(VALU_DEP_4)
	v_add_f64_e32 v[4:5], v[4:5], v[72:73]
	v_add_f64_e32 v[10:11], v[12:13], v[92:93]
	s_delay_alu instid0(VALU_DEP_2) | instskip(NEXT) | instid1(VALU_DEP_2)
	v_add_f64_e32 v[4:5], v[4:5], v[8:9]
	v_add_f64_e32 v[10:11], v[10:11], v[84:85]
	s_wait_loadcnt 0x0
	s_delay_alu instid0(VALU_DEP_2) | instskip(NEXT) | instid1(VALU_DEP_2)
	v_add_f64_e64 v[8:9], v[80:81], -v[4:5]
	v_add_f64_e64 v[10:11], v[82:83], -v[10:11]
	scratch_store_b128 off, v[8:11], off offset:400
	s_wait_xcnt 0x0
	v_cmpx_lt_u32_e32 24, v1
	s_cbranch_execz .LBB28_139
; %bb.138:
	scratch_load_b128 v[8:11], off, s14
	v_dual_mov_b32 v3, v2 :: v_dual_mov_b32 v4, v2
	v_mov_b32_e32 v5, v2
	scratch_store_b128 off, v[2:5], off offset:384
	s_wait_loadcnt 0x0
	ds_store_b128 v6, v[8:11]
.LBB28_139:
	s_wait_xcnt 0x0
	s_or_b32 exec_lo, exec_lo, s2
	s_wait_storecnt_dscnt 0x0
	s_barrier_signal -1
	s_barrier_wait -1
	s_clause 0x4
	scratch_load_b128 v[8:11], off, off offset:400
	scratch_load_b128 v[72:75], off, off offset:416
	;; [unrolled: 1-line block ×5, first 2 shown]
	ds_load_b128 v[88:91], v2 offset:864
	ds_load_b128 v[92:95], v2 offset:880
	s_mov_b32 s2, exec_lo
	s_wait_loadcnt_dscnt 0x401
	v_mul_f64_e32 v[4:5], v[90:91], v[10:11]
	v_mul_f64_e32 v[12:13], v[88:89], v[10:11]
	s_wait_loadcnt_dscnt 0x300
	v_mul_f64_e32 v[96:97], v[92:93], v[74:75]
	v_mul_f64_e32 v[74:75], v[94:95], v[74:75]
	s_delay_alu instid0(VALU_DEP_4) | instskip(NEXT) | instid1(VALU_DEP_4)
	v_fma_f64 v[88:89], v[88:89], v[8:9], -v[4:5]
	v_fmac_f64_e32 v[12:13], v[90:91], v[8:9]
	ds_load_b128 v[8:11], v2 offset:896
	ds_load_b128 v[2:5], v2 offset:912
	v_fmac_f64_e32 v[96:97], v[94:95], v[72:73]
	v_fma_f64 v[72:73], v[92:93], v[72:73], -v[74:75]
	s_wait_loadcnt_dscnt 0x201
	v_mul_f64_e32 v[90:91], v[8:9], v[78:79]
	v_mul_f64_e32 v[78:79], v[10:11], v[78:79]
	v_add_f64_e32 v[74:75], 0, v[88:89]
	v_add_f64_e32 v[12:13], 0, v[12:13]
	s_wait_loadcnt_dscnt 0x100
	v_mul_f64_e32 v[88:89], v[2:3], v[82:83]
	v_mul_f64_e32 v[82:83], v[4:5], v[82:83]
	v_fmac_f64_e32 v[90:91], v[10:11], v[76:77]
	v_fma_f64 v[8:9], v[8:9], v[76:77], -v[78:79]
	v_add_f64_e32 v[10:11], v[74:75], v[72:73]
	v_add_f64_e32 v[12:13], v[12:13], v[96:97]
	v_fmac_f64_e32 v[88:89], v[4:5], v[80:81]
	v_fma_f64 v[2:3], v[2:3], v[80:81], -v[82:83]
	s_delay_alu instid0(VALU_DEP_4) | instskip(NEXT) | instid1(VALU_DEP_4)
	v_add_f64_e32 v[4:5], v[10:11], v[8:9]
	v_add_f64_e32 v[8:9], v[12:13], v[90:91]
	s_delay_alu instid0(VALU_DEP_2) | instskip(NEXT) | instid1(VALU_DEP_2)
	v_add_f64_e32 v[2:3], v[4:5], v[2:3]
	v_add_f64_e32 v[4:5], v[8:9], v[88:89]
	s_wait_loadcnt 0x0
	s_delay_alu instid0(VALU_DEP_2) | instskip(NEXT) | instid1(VALU_DEP_2)
	v_add_f64_e64 v[2:3], v[84:85], -v[2:3]
	v_add_f64_e64 v[4:5], v[86:87], -v[4:5]
	scratch_store_b128 off, v[2:5], off offset:384
	s_wait_xcnt 0x0
	v_cmpx_lt_u32_e32 23, v1
	s_cbranch_execz .LBB28_141
; %bb.140:
	scratch_load_b128 v[2:5], off, s13
	v_mov_b32_e32 v8, 0
	s_delay_alu instid0(VALU_DEP_1)
	v_dual_mov_b32 v9, v8 :: v_dual_mov_b32 v10, v8
	v_mov_b32_e32 v11, v8
	scratch_store_b128 off, v[8:11], off offset:368
	s_wait_loadcnt 0x0
	ds_store_b128 v6, v[2:5]
.LBB28_141:
	s_wait_xcnt 0x0
	s_or_b32 exec_lo, exec_lo, s2
	s_wait_storecnt_dscnt 0x0
	s_barrier_signal -1
	s_barrier_wait -1
	s_clause 0x5
	scratch_load_b128 v[8:11], off, off offset:384
	scratch_load_b128 v[72:75], off, off offset:400
	;; [unrolled: 1-line block ×6, first 2 shown]
	v_mov_b32_e32 v2, 0
	ds_load_b128 v[92:95], v2 offset:848
	ds_load_b128 v[96:99], v2 offset:864
	s_mov_b32 s2, exec_lo
	s_wait_loadcnt_dscnt 0x501
	v_mul_f64_e32 v[4:5], v[94:95], v[10:11]
	v_mul_f64_e32 v[12:13], v[92:93], v[10:11]
	s_wait_loadcnt_dscnt 0x400
	v_mul_f64_e32 v[100:101], v[96:97], v[74:75]
	v_mul_f64_e32 v[74:75], v[98:99], v[74:75]
	s_delay_alu instid0(VALU_DEP_4) | instskip(NEXT) | instid1(VALU_DEP_4)
	v_fma_f64 v[4:5], v[92:93], v[8:9], -v[4:5]
	v_fmac_f64_e32 v[12:13], v[94:95], v[8:9]
	ds_load_b128 v[8:11], v2 offset:880
	ds_load_b128 v[92:95], v2 offset:896
	v_fmac_f64_e32 v[100:101], v[98:99], v[72:73]
	v_fma_f64 v[72:73], v[96:97], v[72:73], -v[74:75]
	s_wait_loadcnt_dscnt 0x301
	v_mul_f64_e32 v[102:103], v[8:9], v[78:79]
	v_mul_f64_e32 v[78:79], v[10:11], v[78:79]
	s_wait_loadcnt_dscnt 0x200
	v_mul_f64_e32 v[74:75], v[92:93], v[82:83]
	v_mul_f64_e32 v[82:83], v[94:95], v[82:83]
	v_add_f64_e32 v[4:5], 0, v[4:5]
	v_add_f64_e32 v[12:13], 0, v[12:13]
	v_fmac_f64_e32 v[102:103], v[10:11], v[76:77]
	v_fma_f64 v[76:77], v[8:9], v[76:77], -v[78:79]
	ds_load_b128 v[8:11], v2 offset:912
	v_fmac_f64_e32 v[74:75], v[94:95], v[80:81]
	v_fma_f64 v[80:81], v[92:93], v[80:81], -v[82:83]
	v_add_f64_e32 v[4:5], v[4:5], v[72:73]
	v_add_f64_e32 v[12:13], v[12:13], v[100:101]
	s_wait_loadcnt_dscnt 0x100
	v_mul_f64_e32 v[72:73], v[8:9], v[86:87]
	v_mul_f64_e32 v[78:79], v[10:11], v[86:87]
	s_delay_alu instid0(VALU_DEP_4) | instskip(NEXT) | instid1(VALU_DEP_4)
	v_add_f64_e32 v[4:5], v[4:5], v[76:77]
	v_add_f64_e32 v[12:13], v[12:13], v[102:103]
	s_delay_alu instid0(VALU_DEP_4) | instskip(NEXT) | instid1(VALU_DEP_4)
	v_fmac_f64_e32 v[72:73], v[10:11], v[84:85]
	v_fma_f64 v[8:9], v[8:9], v[84:85], -v[78:79]
	s_delay_alu instid0(VALU_DEP_4) | instskip(NEXT) | instid1(VALU_DEP_4)
	v_add_f64_e32 v[4:5], v[4:5], v[80:81]
	v_add_f64_e32 v[10:11], v[12:13], v[74:75]
	s_delay_alu instid0(VALU_DEP_2) | instskip(NEXT) | instid1(VALU_DEP_2)
	v_add_f64_e32 v[4:5], v[4:5], v[8:9]
	v_add_f64_e32 v[10:11], v[10:11], v[72:73]
	s_wait_loadcnt 0x0
	s_delay_alu instid0(VALU_DEP_2) | instskip(NEXT) | instid1(VALU_DEP_2)
	v_add_f64_e64 v[8:9], v[88:89], -v[4:5]
	v_add_f64_e64 v[10:11], v[90:91], -v[10:11]
	scratch_store_b128 off, v[8:11], off offset:368
	s_wait_xcnt 0x0
	v_cmpx_lt_u32_e32 22, v1
	s_cbranch_execz .LBB28_143
; %bb.142:
	scratch_load_b128 v[8:11], off, s20
	v_dual_mov_b32 v3, v2 :: v_dual_mov_b32 v4, v2
	v_mov_b32_e32 v5, v2
	scratch_store_b128 off, v[2:5], off offset:352
	s_wait_loadcnt 0x0
	ds_store_b128 v6, v[8:11]
.LBB28_143:
	s_wait_xcnt 0x0
	s_or_b32 exec_lo, exec_lo, s2
	s_wait_storecnt_dscnt 0x0
	s_barrier_signal -1
	s_barrier_wait -1
	s_clause 0x6
	scratch_load_b128 v[8:11], off, off offset:368
	scratch_load_b128 v[72:75], off, off offset:384
	;; [unrolled: 1-line block ×7, first 2 shown]
	ds_load_b128 v[96:99], v2 offset:832
	ds_load_b128 v[100:103], v2 offset:848
	s_mov_b32 s2, exec_lo
	s_wait_loadcnt_dscnt 0x601
	v_mul_f64_e32 v[4:5], v[98:99], v[10:11]
	v_mul_f64_e32 v[12:13], v[96:97], v[10:11]
	s_wait_loadcnt_dscnt 0x500
	v_mul_f64_e32 v[104:105], v[100:101], v[74:75]
	v_mul_f64_e32 v[74:75], v[102:103], v[74:75]
	s_delay_alu instid0(VALU_DEP_4) | instskip(NEXT) | instid1(VALU_DEP_4)
	v_fma_f64 v[4:5], v[96:97], v[8:9], -v[4:5]
	v_fmac_f64_e32 v[12:13], v[98:99], v[8:9]
	ds_load_b128 v[8:11], v2 offset:864
	ds_load_b128 v[96:99], v2 offset:880
	v_fmac_f64_e32 v[104:105], v[102:103], v[72:73]
	v_fma_f64 v[72:73], v[100:101], v[72:73], -v[74:75]
	s_wait_loadcnt_dscnt 0x401
	v_mul_f64_e32 v[106:107], v[8:9], v[78:79]
	v_mul_f64_e32 v[78:79], v[10:11], v[78:79]
	s_wait_loadcnt_dscnt 0x300
	v_mul_f64_e32 v[74:75], v[96:97], v[82:83]
	v_mul_f64_e32 v[82:83], v[98:99], v[82:83]
	v_add_f64_e32 v[4:5], 0, v[4:5]
	v_add_f64_e32 v[12:13], 0, v[12:13]
	v_fmac_f64_e32 v[106:107], v[10:11], v[76:77]
	v_fma_f64 v[76:77], v[8:9], v[76:77], -v[78:79]
	v_fmac_f64_e32 v[74:75], v[98:99], v[80:81]
	v_fma_f64 v[80:81], v[96:97], v[80:81], -v[82:83]
	v_add_f64_e32 v[72:73], v[4:5], v[72:73]
	v_add_f64_e32 v[12:13], v[12:13], v[104:105]
	ds_load_b128 v[8:11], v2 offset:896
	ds_load_b128 v[2:5], v2 offset:912
	s_wait_loadcnt_dscnt 0x201
	v_mul_f64_e32 v[78:79], v[8:9], v[86:87]
	v_mul_f64_e32 v[86:87], v[10:11], v[86:87]
	s_wait_loadcnt_dscnt 0x100
	v_mul_f64_e32 v[82:83], v[4:5], v[90:91]
	v_add_f64_e32 v[72:73], v[72:73], v[76:77]
	v_add_f64_e32 v[12:13], v[12:13], v[106:107]
	v_mul_f64_e32 v[76:77], v[2:3], v[90:91]
	v_fmac_f64_e32 v[78:79], v[10:11], v[84:85]
	v_fma_f64 v[8:9], v[8:9], v[84:85], -v[86:87]
	v_fma_f64 v[2:3], v[2:3], v[88:89], -v[82:83]
	v_add_f64_e32 v[10:11], v[72:73], v[80:81]
	v_add_f64_e32 v[12:13], v[12:13], v[74:75]
	v_fmac_f64_e32 v[76:77], v[4:5], v[88:89]
	s_delay_alu instid0(VALU_DEP_3) | instskip(NEXT) | instid1(VALU_DEP_3)
	v_add_f64_e32 v[4:5], v[10:11], v[8:9]
	v_add_f64_e32 v[8:9], v[12:13], v[78:79]
	s_delay_alu instid0(VALU_DEP_2) | instskip(NEXT) | instid1(VALU_DEP_2)
	v_add_f64_e32 v[2:3], v[4:5], v[2:3]
	v_add_f64_e32 v[4:5], v[8:9], v[76:77]
	s_wait_loadcnt 0x0
	s_delay_alu instid0(VALU_DEP_2) | instskip(NEXT) | instid1(VALU_DEP_2)
	v_add_f64_e64 v[2:3], v[92:93], -v[2:3]
	v_add_f64_e64 v[4:5], v[94:95], -v[4:5]
	scratch_store_b128 off, v[2:5], off offset:352
	s_wait_xcnt 0x0
	v_cmpx_lt_u32_e32 21, v1
	s_cbranch_execz .LBB28_145
; %bb.144:
	scratch_load_b128 v[2:5], off, s15
	v_mov_b32_e32 v8, 0
	s_delay_alu instid0(VALU_DEP_1)
	v_dual_mov_b32 v9, v8 :: v_dual_mov_b32 v10, v8
	v_mov_b32_e32 v11, v8
	scratch_store_b128 off, v[8:11], off offset:336
	s_wait_loadcnt 0x0
	ds_store_b128 v6, v[2:5]
.LBB28_145:
	s_wait_xcnt 0x0
	s_or_b32 exec_lo, exec_lo, s2
	s_wait_storecnt_dscnt 0x0
	s_barrier_signal -1
	s_barrier_wait -1
	s_clause 0x7
	scratch_load_b128 v[8:11], off, off offset:352
	scratch_load_b128 v[72:75], off, off offset:368
	;; [unrolled: 1-line block ×8, first 2 shown]
	v_mov_b32_e32 v2, 0
	ds_load_b128 v[100:103], v2 offset:816
	ds_load_b128 v[104:107], v2 offset:832
	s_mov_b32 s2, exec_lo
	s_wait_loadcnt_dscnt 0x701
	v_mul_f64_e32 v[4:5], v[102:103], v[10:11]
	v_mul_f64_e32 v[12:13], v[100:101], v[10:11]
	s_wait_loadcnt_dscnt 0x600
	v_mul_f64_e32 v[108:109], v[104:105], v[74:75]
	v_mul_f64_e32 v[74:75], v[106:107], v[74:75]
	s_delay_alu instid0(VALU_DEP_4) | instskip(NEXT) | instid1(VALU_DEP_4)
	v_fma_f64 v[4:5], v[100:101], v[8:9], -v[4:5]
	v_fmac_f64_e32 v[12:13], v[102:103], v[8:9]
	ds_load_b128 v[8:11], v2 offset:848
	ds_load_b128 v[100:103], v2 offset:864
	v_fmac_f64_e32 v[108:109], v[106:107], v[72:73]
	v_fma_f64 v[72:73], v[104:105], v[72:73], -v[74:75]
	s_wait_loadcnt_dscnt 0x501
	v_mul_f64_e32 v[110:111], v[8:9], v[78:79]
	v_mul_f64_e32 v[78:79], v[10:11], v[78:79]
	s_wait_loadcnt_dscnt 0x400
	v_mul_f64_e32 v[104:105], v[100:101], v[82:83]
	v_mul_f64_e32 v[82:83], v[102:103], v[82:83]
	v_add_f64_e32 v[4:5], 0, v[4:5]
	v_add_f64_e32 v[12:13], 0, v[12:13]
	v_fmac_f64_e32 v[110:111], v[10:11], v[76:77]
	v_fma_f64 v[76:77], v[8:9], v[76:77], -v[78:79]
	v_fmac_f64_e32 v[104:105], v[102:103], v[80:81]
	v_fma_f64 v[80:81], v[100:101], v[80:81], -v[82:83]
	v_add_f64_e32 v[4:5], v[4:5], v[72:73]
	v_add_f64_e32 v[12:13], v[12:13], v[108:109]
	ds_load_b128 v[8:11], v2 offset:880
	ds_load_b128 v[72:75], v2 offset:896
	s_wait_loadcnt_dscnt 0x301
	v_mul_f64_e32 v[78:79], v[8:9], v[86:87]
	v_mul_f64_e32 v[86:87], v[10:11], v[86:87]
	s_wait_loadcnt_dscnt 0x200
	v_mul_f64_e32 v[82:83], v[74:75], v[90:91]
	v_add_f64_e32 v[4:5], v[4:5], v[76:77]
	v_add_f64_e32 v[12:13], v[12:13], v[110:111]
	v_mul_f64_e32 v[76:77], v[72:73], v[90:91]
	v_fmac_f64_e32 v[78:79], v[10:11], v[84:85]
	v_fma_f64 v[84:85], v[8:9], v[84:85], -v[86:87]
	ds_load_b128 v[8:11], v2 offset:912
	v_fma_f64 v[72:73], v[72:73], v[88:89], -v[82:83]
	v_add_f64_e32 v[4:5], v[4:5], v[80:81]
	v_add_f64_e32 v[12:13], v[12:13], v[104:105]
	v_fmac_f64_e32 v[76:77], v[74:75], v[88:89]
	s_wait_loadcnt_dscnt 0x100
	v_mul_f64_e32 v[80:81], v[8:9], v[94:95]
	v_mul_f64_e32 v[86:87], v[10:11], v[94:95]
	v_add_f64_e32 v[4:5], v[4:5], v[84:85]
	v_add_f64_e32 v[12:13], v[12:13], v[78:79]
	s_delay_alu instid0(VALU_DEP_4) | instskip(NEXT) | instid1(VALU_DEP_4)
	v_fmac_f64_e32 v[80:81], v[10:11], v[92:93]
	v_fma_f64 v[8:9], v[8:9], v[92:93], -v[86:87]
	s_delay_alu instid0(VALU_DEP_4) | instskip(NEXT) | instid1(VALU_DEP_4)
	v_add_f64_e32 v[4:5], v[4:5], v[72:73]
	v_add_f64_e32 v[10:11], v[12:13], v[76:77]
	s_delay_alu instid0(VALU_DEP_2) | instskip(NEXT) | instid1(VALU_DEP_2)
	v_add_f64_e32 v[4:5], v[4:5], v[8:9]
	v_add_f64_e32 v[10:11], v[10:11], v[80:81]
	s_wait_loadcnt 0x0
	s_delay_alu instid0(VALU_DEP_2) | instskip(NEXT) | instid1(VALU_DEP_2)
	v_add_f64_e64 v[8:9], v[96:97], -v[4:5]
	v_add_f64_e64 v[10:11], v[98:99], -v[10:11]
	scratch_store_b128 off, v[8:11], off offset:336
	s_wait_xcnt 0x0
	v_cmpx_lt_u32_e32 20, v1
	s_cbranch_execz .LBB28_147
; %bb.146:
	scratch_load_b128 v[8:11], off, s24
	v_dual_mov_b32 v3, v2 :: v_dual_mov_b32 v4, v2
	v_mov_b32_e32 v5, v2
	scratch_store_b128 off, v[2:5], off offset:320
	s_wait_loadcnt 0x0
	ds_store_b128 v6, v[8:11]
.LBB28_147:
	s_wait_xcnt 0x0
	s_or_b32 exec_lo, exec_lo, s2
	s_wait_storecnt_dscnt 0x0
	s_barrier_signal -1
	s_barrier_wait -1
	s_clause 0x7
	scratch_load_b128 v[8:11], off, off offset:336
	scratch_load_b128 v[72:75], off, off offset:352
	scratch_load_b128 v[76:79], off, off offset:368
	scratch_load_b128 v[80:83], off, off offset:384
	scratch_load_b128 v[84:87], off, off offset:400
	scratch_load_b128 v[88:91], off, off offset:416
	scratch_load_b128 v[92:95], off, off offset:432
	scratch_load_b128 v[96:99], off, off offset:448
	ds_load_b128 v[100:103], v2 offset:800
	ds_load_b128 v[104:107], v2 offset:816
	scratch_load_b128 v[108:111], off, off offset:320
	s_mov_b32 s2, exec_lo
	s_wait_loadcnt_dscnt 0x801
	v_mul_f64_e32 v[4:5], v[102:103], v[10:11]
	v_mul_f64_e32 v[12:13], v[100:101], v[10:11]
	s_wait_loadcnt_dscnt 0x700
	v_mul_f64_e32 v[112:113], v[104:105], v[74:75]
	v_mul_f64_e32 v[74:75], v[106:107], v[74:75]
	s_delay_alu instid0(VALU_DEP_4) | instskip(NEXT) | instid1(VALU_DEP_4)
	v_fma_f64 v[4:5], v[100:101], v[8:9], -v[4:5]
	v_fmac_f64_e32 v[12:13], v[102:103], v[8:9]
	ds_load_b128 v[8:11], v2 offset:832
	ds_load_b128 v[100:103], v2 offset:848
	v_fmac_f64_e32 v[112:113], v[106:107], v[72:73]
	v_fma_f64 v[72:73], v[104:105], v[72:73], -v[74:75]
	s_wait_loadcnt_dscnt 0x601
	v_mul_f64_e32 v[114:115], v[8:9], v[78:79]
	v_mul_f64_e32 v[78:79], v[10:11], v[78:79]
	s_wait_loadcnt_dscnt 0x500
	v_mul_f64_e32 v[104:105], v[100:101], v[82:83]
	v_mul_f64_e32 v[82:83], v[102:103], v[82:83]
	v_add_f64_e32 v[4:5], 0, v[4:5]
	v_add_f64_e32 v[12:13], 0, v[12:13]
	v_fmac_f64_e32 v[114:115], v[10:11], v[76:77]
	v_fma_f64 v[76:77], v[8:9], v[76:77], -v[78:79]
	v_fmac_f64_e32 v[104:105], v[102:103], v[80:81]
	v_fma_f64 v[80:81], v[100:101], v[80:81], -v[82:83]
	v_add_f64_e32 v[4:5], v[4:5], v[72:73]
	v_add_f64_e32 v[12:13], v[12:13], v[112:113]
	ds_load_b128 v[8:11], v2 offset:864
	ds_load_b128 v[72:75], v2 offset:880
	s_wait_loadcnt_dscnt 0x401
	v_mul_f64_e32 v[78:79], v[8:9], v[86:87]
	v_mul_f64_e32 v[86:87], v[10:11], v[86:87]
	s_wait_loadcnt_dscnt 0x300
	v_mul_f64_e32 v[82:83], v[74:75], v[90:91]
	v_add_f64_e32 v[4:5], v[4:5], v[76:77]
	v_add_f64_e32 v[12:13], v[12:13], v[114:115]
	v_mul_f64_e32 v[76:77], v[72:73], v[90:91]
	v_fmac_f64_e32 v[78:79], v[10:11], v[84:85]
	v_fma_f64 v[84:85], v[8:9], v[84:85], -v[86:87]
	v_fma_f64 v[72:73], v[72:73], v[88:89], -v[82:83]
	v_add_f64_e32 v[80:81], v[4:5], v[80:81]
	v_add_f64_e32 v[12:13], v[12:13], v[104:105]
	ds_load_b128 v[8:11], v2 offset:896
	ds_load_b128 v[2:5], v2 offset:912
	v_fmac_f64_e32 v[76:77], v[74:75], v[88:89]
	s_wait_loadcnt_dscnt 0x201
	v_mul_f64_e32 v[86:87], v[8:9], v[94:95]
	v_mul_f64_e32 v[90:91], v[10:11], v[94:95]
	v_add_f64_e32 v[74:75], v[80:81], v[84:85]
	v_add_f64_e32 v[12:13], v[12:13], v[78:79]
	s_wait_loadcnt_dscnt 0x100
	v_mul_f64_e32 v[78:79], v[2:3], v[98:99]
	v_mul_f64_e32 v[80:81], v[4:5], v[98:99]
	v_fmac_f64_e32 v[86:87], v[10:11], v[92:93]
	v_fma_f64 v[8:9], v[8:9], v[92:93], -v[90:91]
	v_add_f64_e32 v[10:11], v[74:75], v[72:73]
	v_add_f64_e32 v[12:13], v[12:13], v[76:77]
	v_fmac_f64_e32 v[78:79], v[4:5], v[96:97]
	v_fma_f64 v[2:3], v[2:3], v[96:97], -v[80:81]
	s_delay_alu instid0(VALU_DEP_4) | instskip(NEXT) | instid1(VALU_DEP_4)
	v_add_f64_e32 v[4:5], v[10:11], v[8:9]
	v_add_f64_e32 v[8:9], v[12:13], v[86:87]
	s_delay_alu instid0(VALU_DEP_2) | instskip(NEXT) | instid1(VALU_DEP_2)
	v_add_f64_e32 v[2:3], v[4:5], v[2:3]
	v_add_f64_e32 v[4:5], v[8:9], v[78:79]
	s_wait_loadcnt 0x0
	s_delay_alu instid0(VALU_DEP_2) | instskip(NEXT) | instid1(VALU_DEP_2)
	v_add_f64_e64 v[2:3], v[108:109], -v[2:3]
	v_add_f64_e64 v[4:5], v[110:111], -v[4:5]
	scratch_store_b128 off, v[2:5], off offset:320
	s_wait_xcnt 0x0
	v_cmpx_lt_u32_e32 19, v1
	s_cbranch_execz .LBB28_149
; %bb.148:
	scratch_load_b128 v[2:5], off, s23
	v_mov_b32_e32 v8, 0
	s_delay_alu instid0(VALU_DEP_1)
	v_dual_mov_b32 v9, v8 :: v_dual_mov_b32 v10, v8
	v_mov_b32_e32 v11, v8
	scratch_store_b128 off, v[8:11], off offset:304
	s_wait_loadcnt 0x0
	ds_store_b128 v6, v[2:5]
.LBB28_149:
	s_wait_xcnt 0x0
	s_or_b32 exec_lo, exec_lo, s2
	s_wait_storecnt_dscnt 0x0
	s_barrier_signal -1
	s_barrier_wait -1
	s_clause 0x8
	scratch_load_b128 v[8:11], off, off offset:320
	scratch_load_b128 v[72:75], off, off offset:336
	;; [unrolled: 1-line block ×9, first 2 shown]
	v_mov_b32_e32 v2, 0
	scratch_load_b128 v[108:111], off, off offset:304
	s_mov_b32 s2, exec_lo
	ds_load_b128 v[104:107], v2 offset:784
	ds_load_b128 v[112:115], v2 offset:800
	s_wait_loadcnt_dscnt 0x901
	v_mul_f64_e32 v[4:5], v[106:107], v[10:11]
	v_mul_f64_e32 v[12:13], v[104:105], v[10:11]
	s_wait_loadcnt_dscnt 0x800
	v_mul_f64_e32 v[116:117], v[112:113], v[74:75]
	v_mul_f64_e32 v[74:75], v[114:115], v[74:75]
	s_delay_alu instid0(VALU_DEP_4) | instskip(NEXT) | instid1(VALU_DEP_4)
	v_fma_f64 v[4:5], v[104:105], v[8:9], -v[4:5]
	v_fmac_f64_e32 v[12:13], v[106:107], v[8:9]
	ds_load_b128 v[8:11], v2 offset:816
	ds_load_b128 v[104:107], v2 offset:832
	v_fmac_f64_e32 v[116:117], v[114:115], v[72:73]
	v_fma_f64 v[72:73], v[112:113], v[72:73], -v[74:75]
	s_wait_loadcnt_dscnt 0x701
	v_mul_f64_e32 v[118:119], v[8:9], v[78:79]
	v_mul_f64_e32 v[78:79], v[10:11], v[78:79]
	s_wait_loadcnt_dscnt 0x600
	v_mul_f64_e32 v[112:113], v[104:105], v[82:83]
	v_mul_f64_e32 v[82:83], v[106:107], v[82:83]
	v_add_f64_e32 v[4:5], 0, v[4:5]
	v_add_f64_e32 v[12:13], 0, v[12:13]
	v_fmac_f64_e32 v[118:119], v[10:11], v[76:77]
	v_fma_f64 v[76:77], v[8:9], v[76:77], -v[78:79]
	v_fmac_f64_e32 v[112:113], v[106:107], v[80:81]
	v_fma_f64 v[80:81], v[104:105], v[80:81], -v[82:83]
	v_add_f64_e32 v[4:5], v[4:5], v[72:73]
	v_add_f64_e32 v[12:13], v[12:13], v[116:117]
	ds_load_b128 v[8:11], v2 offset:848
	ds_load_b128 v[72:75], v2 offset:864
	s_wait_loadcnt_dscnt 0x501
	v_mul_f64_e32 v[114:115], v[8:9], v[86:87]
	v_mul_f64_e32 v[78:79], v[10:11], v[86:87]
	s_wait_loadcnt_dscnt 0x400
	v_mul_f64_e32 v[82:83], v[72:73], v[90:91]
	v_mul_f64_e32 v[86:87], v[74:75], v[90:91]
	v_add_f64_e32 v[4:5], v[4:5], v[76:77]
	v_add_f64_e32 v[12:13], v[12:13], v[118:119]
	v_fmac_f64_e32 v[114:115], v[10:11], v[84:85]
	v_fma_f64 v[84:85], v[8:9], v[84:85], -v[78:79]
	ds_load_b128 v[8:11], v2 offset:880
	ds_load_b128 v[76:79], v2 offset:896
	v_fmac_f64_e32 v[82:83], v[74:75], v[88:89]
	v_fma_f64 v[72:73], v[72:73], v[88:89], -v[86:87]
	v_add_f64_e32 v[4:5], v[4:5], v[80:81]
	v_add_f64_e32 v[12:13], v[12:13], v[112:113]
	s_wait_loadcnt_dscnt 0x301
	v_mul_f64_e32 v[80:81], v[8:9], v[94:95]
	v_mul_f64_e32 v[90:91], v[10:11], v[94:95]
	s_wait_loadcnt_dscnt 0x200
	v_mul_f64_e32 v[74:75], v[76:77], v[98:99]
	v_add_f64_e32 v[4:5], v[4:5], v[84:85]
	v_add_f64_e32 v[12:13], v[12:13], v[114:115]
	v_mul_f64_e32 v[84:85], v[78:79], v[98:99]
	v_fmac_f64_e32 v[80:81], v[10:11], v[92:93]
	v_fma_f64 v[86:87], v[8:9], v[92:93], -v[90:91]
	ds_load_b128 v[8:11], v2 offset:912
	v_fmac_f64_e32 v[74:75], v[78:79], v[96:97]
	v_add_f64_e32 v[4:5], v[4:5], v[72:73]
	v_add_f64_e32 v[12:13], v[12:13], v[82:83]
	s_wait_loadcnt_dscnt 0x100
	v_mul_f64_e32 v[72:73], v[8:9], v[102:103]
	v_mul_f64_e32 v[82:83], v[10:11], v[102:103]
	v_fma_f64 v[76:77], v[76:77], v[96:97], -v[84:85]
	v_add_f64_e32 v[4:5], v[4:5], v[86:87]
	v_add_f64_e32 v[12:13], v[12:13], v[80:81]
	v_fmac_f64_e32 v[72:73], v[10:11], v[100:101]
	v_fma_f64 v[8:9], v[8:9], v[100:101], -v[82:83]
	s_delay_alu instid0(VALU_DEP_4) | instskip(NEXT) | instid1(VALU_DEP_4)
	v_add_f64_e32 v[4:5], v[4:5], v[76:77]
	v_add_f64_e32 v[10:11], v[12:13], v[74:75]
	s_delay_alu instid0(VALU_DEP_2) | instskip(NEXT) | instid1(VALU_DEP_2)
	v_add_f64_e32 v[4:5], v[4:5], v[8:9]
	v_add_f64_e32 v[10:11], v[10:11], v[72:73]
	s_wait_loadcnt 0x0
	s_delay_alu instid0(VALU_DEP_2) | instskip(NEXT) | instid1(VALU_DEP_2)
	v_add_f64_e64 v[8:9], v[108:109], -v[4:5]
	v_add_f64_e64 v[10:11], v[110:111], -v[10:11]
	scratch_store_b128 off, v[8:11], off offset:304
	s_wait_xcnt 0x0
	v_cmpx_lt_u32_e32 18, v1
	s_cbranch_execz .LBB28_151
; %bb.150:
	scratch_load_b128 v[8:11], off, s29
	v_dual_mov_b32 v3, v2 :: v_dual_mov_b32 v4, v2
	v_mov_b32_e32 v5, v2
	scratch_store_b128 off, v[2:5], off offset:288
	s_wait_loadcnt 0x0
	ds_store_b128 v6, v[8:11]
.LBB28_151:
	s_wait_xcnt 0x0
	s_or_b32 exec_lo, exec_lo, s2
	s_wait_storecnt_dscnt 0x0
	s_barrier_signal -1
	s_barrier_wait -1
	s_clause 0x9
	scratch_load_b128 v[8:11], off, off offset:304
	scratch_load_b128 v[72:75], off, off offset:320
	;; [unrolled: 1-line block ×10, first 2 shown]
	ds_load_b128 v[108:111], v2 offset:768
	ds_load_b128 v[112:115], v2 offset:784
	scratch_load_b128 v[116:119], off, off offset:288
	s_mov_b32 s2, exec_lo
	s_wait_loadcnt_dscnt 0xa01
	v_mul_f64_e32 v[4:5], v[110:111], v[10:11]
	v_mul_f64_e32 v[12:13], v[108:109], v[10:11]
	s_wait_loadcnt_dscnt 0x900
	v_mul_f64_e32 v[120:121], v[112:113], v[74:75]
	v_mul_f64_e32 v[74:75], v[114:115], v[74:75]
	s_delay_alu instid0(VALU_DEP_4) | instskip(NEXT) | instid1(VALU_DEP_4)
	v_fma_f64 v[4:5], v[108:109], v[8:9], -v[4:5]
	v_fmac_f64_e32 v[12:13], v[110:111], v[8:9]
	ds_load_b128 v[8:11], v2 offset:800
	ds_load_b128 v[108:111], v2 offset:816
	v_fmac_f64_e32 v[120:121], v[114:115], v[72:73]
	v_fma_f64 v[72:73], v[112:113], v[72:73], -v[74:75]
	s_wait_loadcnt_dscnt 0x801
	v_mul_f64_e32 v[122:123], v[8:9], v[78:79]
	v_mul_f64_e32 v[78:79], v[10:11], v[78:79]
	s_wait_loadcnt_dscnt 0x700
	v_mul_f64_e32 v[112:113], v[108:109], v[82:83]
	v_mul_f64_e32 v[82:83], v[110:111], v[82:83]
	v_add_f64_e32 v[4:5], 0, v[4:5]
	v_add_f64_e32 v[12:13], 0, v[12:13]
	v_fmac_f64_e32 v[122:123], v[10:11], v[76:77]
	v_fma_f64 v[76:77], v[8:9], v[76:77], -v[78:79]
	v_fmac_f64_e32 v[112:113], v[110:111], v[80:81]
	v_fma_f64 v[80:81], v[108:109], v[80:81], -v[82:83]
	v_add_f64_e32 v[4:5], v[4:5], v[72:73]
	v_add_f64_e32 v[12:13], v[12:13], v[120:121]
	ds_load_b128 v[8:11], v2 offset:832
	ds_load_b128 v[72:75], v2 offset:848
	s_wait_loadcnt_dscnt 0x601
	v_mul_f64_e32 v[114:115], v[8:9], v[86:87]
	v_mul_f64_e32 v[78:79], v[10:11], v[86:87]
	s_wait_loadcnt_dscnt 0x500
	v_mul_f64_e32 v[82:83], v[72:73], v[90:91]
	v_mul_f64_e32 v[86:87], v[74:75], v[90:91]
	v_add_f64_e32 v[4:5], v[4:5], v[76:77]
	v_add_f64_e32 v[12:13], v[12:13], v[122:123]
	v_fmac_f64_e32 v[114:115], v[10:11], v[84:85]
	v_fma_f64 v[84:85], v[8:9], v[84:85], -v[78:79]
	ds_load_b128 v[8:11], v2 offset:864
	ds_load_b128 v[76:79], v2 offset:880
	v_fmac_f64_e32 v[82:83], v[74:75], v[88:89]
	v_fma_f64 v[72:73], v[72:73], v[88:89], -v[86:87]
	v_add_f64_e32 v[4:5], v[4:5], v[80:81]
	v_add_f64_e32 v[12:13], v[12:13], v[112:113]
	s_wait_loadcnt_dscnt 0x401
	v_mul_f64_e32 v[80:81], v[8:9], v[94:95]
	v_mul_f64_e32 v[90:91], v[10:11], v[94:95]
	s_wait_loadcnt_dscnt 0x300
	v_mul_f64_e32 v[74:75], v[76:77], v[98:99]
	v_add_f64_e32 v[4:5], v[4:5], v[84:85]
	v_add_f64_e32 v[12:13], v[12:13], v[114:115]
	v_mul_f64_e32 v[84:85], v[78:79], v[98:99]
	v_fmac_f64_e32 v[80:81], v[10:11], v[92:93]
	v_fma_f64 v[86:87], v[8:9], v[92:93], -v[90:91]
	v_fmac_f64_e32 v[74:75], v[78:79], v[96:97]
	v_add_f64_e32 v[72:73], v[4:5], v[72:73]
	v_add_f64_e32 v[12:13], v[12:13], v[82:83]
	ds_load_b128 v[8:11], v2 offset:896
	ds_load_b128 v[2:5], v2 offset:912
	v_fma_f64 v[76:77], v[76:77], v[96:97], -v[84:85]
	s_wait_loadcnt_dscnt 0x201
	v_mul_f64_e32 v[82:83], v[8:9], v[102:103]
	v_mul_f64_e32 v[88:89], v[10:11], v[102:103]
	s_wait_loadcnt_dscnt 0x100
	v_mul_f64_e32 v[78:79], v[2:3], v[106:107]
	v_add_f64_e32 v[72:73], v[72:73], v[86:87]
	v_add_f64_e32 v[12:13], v[12:13], v[80:81]
	v_mul_f64_e32 v[80:81], v[4:5], v[106:107]
	v_fmac_f64_e32 v[82:83], v[10:11], v[100:101]
	v_fma_f64 v[8:9], v[8:9], v[100:101], -v[88:89]
	v_fmac_f64_e32 v[78:79], v[4:5], v[104:105]
	v_add_f64_e32 v[10:11], v[72:73], v[76:77]
	v_add_f64_e32 v[12:13], v[12:13], v[74:75]
	v_fma_f64 v[2:3], v[2:3], v[104:105], -v[80:81]
	s_delay_alu instid0(VALU_DEP_3) | instskip(NEXT) | instid1(VALU_DEP_3)
	v_add_f64_e32 v[4:5], v[10:11], v[8:9]
	v_add_f64_e32 v[8:9], v[12:13], v[82:83]
	s_delay_alu instid0(VALU_DEP_2) | instskip(NEXT) | instid1(VALU_DEP_2)
	v_add_f64_e32 v[2:3], v[4:5], v[2:3]
	v_add_f64_e32 v[4:5], v[8:9], v[78:79]
	s_wait_loadcnt 0x0
	s_delay_alu instid0(VALU_DEP_2) | instskip(NEXT) | instid1(VALU_DEP_2)
	v_add_f64_e64 v[2:3], v[116:117], -v[2:3]
	v_add_f64_e64 v[4:5], v[118:119], -v[4:5]
	scratch_store_b128 off, v[2:5], off offset:288
	s_wait_xcnt 0x0
	v_cmpx_lt_u32_e32 17, v1
	s_cbranch_execz .LBB28_153
; %bb.152:
	scratch_load_b128 v[2:5], off, s28
	v_mov_b32_e32 v8, 0
	s_delay_alu instid0(VALU_DEP_1)
	v_dual_mov_b32 v9, v8 :: v_dual_mov_b32 v10, v8
	v_mov_b32_e32 v11, v8
	scratch_store_b128 off, v[8:11], off offset:272
	s_wait_loadcnt 0x0
	ds_store_b128 v6, v[2:5]
.LBB28_153:
	s_wait_xcnt 0x0
	s_or_b32 exec_lo, exec_lo, s2
	s_wait_storecnt_dscnt 0x0
	s_barrier_signal -1
	s_barrier_wait -1
	s_clause 0x9
	scratch_load_b128 v[8:11], off, off offset:288
	scratch_load_b128 v[72:75], off, off offset:304
	;; [unrolled: 1-line block ×10, first 2 shown]
	v_mov_b32_e32 v2, 0
	s_mov_b32 s2, exec_lo
	ds_load_b128 v[108:111], v2 offset:752
	s_clause 0x1
	scratch_load_b128 v[112:115], off, off offset:448
	scratch_load_b128 v[116:119], off, off offset:272
	s_wait_loadcnt_dscnt 0xb00
	v_mul_f64_e32 v[4:5], v[110:111], v[10:11]
	v_mul_f64_e32 v[12:13], v[108:109], v[10:11]
	ds_load_b128 v[120:123], v2 offset:768
	s_wait_loadcnt_dscnt 0xa00
	v_mul_f64_e32 v[124:125], v[120:121], v[74:75]
	v_mul_f64_e32 v[74:75], v[122:123], v[74:75]
	v_fma_f64 v[4:5], v[108:109], v[8:9], -v[4:5]
	v_fmac_f64_e32 v[12:13], v[110:111], v[8:9]
	ds_load_b128 v[8:11], v2 offset:784
	ds_load_b128 v[108:111], v2 offset:800
	s_wait_loadcnt_dscnt 0x901
	v_mul_f64_e32 v[126:127], v[8:9], v[78:79]
	v_mul_f64_e32 v[78:79], v[10:11], v[78:79]
	v_fmac_f64_e32 v[124:125], v[122:123], v[72:73]
	v_fma_f64 v[72:73], v[120:121], v[72:73], -v[74:75]
	s_wait_loadcnt_dscnt 0x800
	v_mul_f64_e32 v[120:121], v[108:109], v[82:83]
	v_mul_f64_e32 v[82:83], v[110:111], v[82:83]
	v_add_f64_e32 v[4:5], 0, v[4:5]
	v_add_f64_e32 v[12:13], 0, v[12:13]
	v_fmac_f64_e32 v[126:127], v[10:11], v[76:77]
	v_fma_f64 v[76:77], v[8:9], v[76:77], -v[78:79]
	v_fmac_f64_e32 v[120:121], v[110:111], v[80:81]
	v_fma_f64 v[80:81], v[108:109], v[80:81], -v[82:83]
	v_add_f64_e32 v[4:5], v[4:5], v[72:73]
	v_add_f64_e32 v[12:13], v[12:13], v[124:125]
	ds_load_b128 v[8:11], v2 offset:816
	ds_load_b128 v[72:75], v2 offset:832
	s_wait_loadcnt_dscnt 0x701
	v_mul_f64_e32 v[122:123], v[8:9], v[86:87]
	v_mul_f64_e32 v[78:79], v[10:11], v[86:87]
	s_wait_loadcnt_dscnt 0x600
	v_mul_f64_e32 v[82:83], v[72:73], v[90:91]
	v_mul_f64_e32 v[86:87], v[74:75], v[90:91]
	v_add_f64_e32 v[4:5], v[4:5], v[76:77]
	v_add_f64_e32 v[12:13], v[12:13], v[126:127]
	v_fmac_f64_e32 v[122:123], v[10:11], v[84:85]
	v_fma_f64 v[84:85], v[8:9], v[84:85], -v[78:79]
	ds_load_b128 v[8:11], v2 offset:848
	ds_load_b128 v[76:79], v2 offset:864
	v_fmac_f64_e32 v[82:83], v[74:75], v[88:89]
	v_fma_f64 v[72:73], v[72:73], v[88:89], -v[86:87]
	v_add_f64_e32 v[4:5], v[4:5], v[80:81]
	v_add_f64_e32 v[12:13], v[12:13], v[120:121]
	s_wait_loadcnt_dscnt 0x501
	v_mul_f64_e32 v[80:81], v[8:9], v[94:95]
	v_mul_f64_e32 v[90:91], v[10:11], v[94:95]
	s_wait_loadcnt_dscnt 0x400
	v_mul_f64_e32 v[86:87], v[78:79], v[98:99]
	v_add_f64_e32 v[4:5], v[4:5], v[84:85]
	v_add_f64_e32 v[12:13], v[12:13], v[122:123]
	v_mul_f64_e32 v[84:85], v[76:77], v[98:99]
	v_fmac_f64_e32 v[80:81], v[10:11], v[92:93]
	v_fma_f64 v[88:89], v[8:9], v[92:93], -v[90:91]
	v_fma_f64 v[76:77], v[76:77], v[96:97], -v[86:87]
	v_add_f64_e32 v[4:5], v[4:5], v[72:73]
	v_add_f64_e32 v[12:13], v[12:13], v[82:83]
	ds_load_b128 v[8:11], v2 offset:880
	ds_load_b128 v[72:75], v2 offset:896
	v_fmac_f64_e32 v[84:85], v[78:79], v[96:97]
	s_wait_loadcnt_dscnt 0x301
	v_mul_f64_e32 v[82:83], v[8:9], v[102:103]
	v_mul_f64_e32 v[90:91], v[10:11], v[102:103]
	s_wait_loadcnt_dscnt 0x200
	v_mul_f64_e32 v[78:79], v[72:73], v[106:107]
	v_add_f64_e32 v[4:5], v[4:5], v[88:89]
	v_add_f64_e32 v[12:13], v[12:13], v[80:81]
	v_mul_f64_e32 v[80:81], v[74:75], v[106:107]
	v_fmac_f64_e32 v[82:83], v[10:11], v[100:101]
	v_fma_f64 v[86:87], v[8:9], v[100:101], -v[90:91]
	ds_load_b128 v[8:11], v2 offset:912
	v_fmac_f64_e32 v[78:79], v[74:75], v[104:105]
	v_add_f64_e32 v[4:5], v[4:5], v[76:77]
	v_add_f64_e32 v[12:13], v[12:13], v[84:85]
	v_fma_f64 v[72:73], v[72:73], v[104:105], -v[80:81]
	s_wait_loadcnt_dscnt 0x100
	v_mul_f64_e32 v[76:77], v[8:9], v[114:115]
	v_mul_f64_e32 v[84:85], v[10:11], v[114:115]
	v_add_f64_e32 v[4:5], v[4:5], v[86:87]
	v_add_f64_e32 v[12:13], v[12:13], v[82:83]
	s_delay_alu instid0(VALU_DEP_4) | instskip(NEXT) | instid1(VALU_DEP_4)
	v_fmac_f64_e32 v[76:77], v[10:11], v[112:113]
	v_fma_f64 v[8:9], v[8:9], v[112:113], -v[84:85]
	s_delay_alu instid0(VALU_DEP_4) | instskip(NEXT) | instid1(VALU_DEP_4)
	v_add_f64_e32 v[4:5], v[4:5], v[72:73]
	v_add_f64_e32 v[10:11], v[12:13], v[78:79]
	s_delay_alu instid0(VALU_DEP_2) | instskip(NEXT) | instid1(VALU_DEP_2)
	v_add_f64_e32 v[4:5], v[4:5], v[8:9]
	v_add_f64_e32 v[10:11], v[10:11], v[76:77]
	s_wait_loadcnt 0x0
	s_delay_alu instid0(VALU_DEP_2) | instskip(NEXT) | instid1(VALU_DEP_2)
	v_add_f64_e64 v[8:9], v[116:117], -v[4:5]
	v_add_f64_e64 v[10:11], v[118:119], -v[10:11]
	scratch_store_b128 off, v[8:11], off offset:272
	s_wait_xcnt 0x0
	v_cmpx_lt_u32_e32 16, v1
	s_cbranch_execz .LBB28_155
; %bb.154:
	scratch_load_b128 v[8:11], off, s25
	v_dual_mov_b32 v3, v2 :: v_dual_mov_b32 v4, v2
	v_mov_b32_e32 v5, v2
	scratch_store_b128 off, v[2:5], off offset:256
	s_wait_loadcnt 0x0
	ds_store_b128 v6, v[8:11]
.LBB28_155:
	s_wait_xcnt 0x0
	s_or_b32 exec_lo, exec_lo, s2
	s_wait_storecnt_dscnt 0x0
	s_barrier_signal -1
	s_barrier_wait -1
	s_clause 0x9
	scratch_load_b128 v[8:11], off, off offset:272
	scratch_load_b128 v[72:75], off, off offset:288
	;; [unrolled: 1-line block ×10, first 2 shown]
	ds_load_b128 v[108:111], v2 offset:736
	ds_load_b128 v[116:119], v2 offset:752
	s_clause 0x1
	scratch_load_b128 v[112:115], off, off offset:432
	scratch_load_b128 v[120:123], off, off offset:256
	s_mov_b32 s2, exec_lo
	s_wait_loadcnt_dscnt 0xb01
	v_mul_f64_e32 v[4:5], v[110:111], v[10:11]
	v_mul_f64_e32 v[128:129], v[108:109], v[10:11]
	scratch_load_b128 v[10:13], off, off offset:448
	s_wait_loadcnt_dscnt 0xb00
	v_mul_f64_e32 v[130:131], v[116:117], v[74:75]
	v_mul_f64_e32 v[74:75], v[118:119], v[74:75]
	v_fma_f64 v[4:5], v[108:109], v[8:9], -v[4:5]
	v_fmac_f64_e32 v[128:129], v[110:111], v[8:9]
	ds_load_b128 v[108:111], v2 offset:768
	ds_load_b128 v[124:127], v2 offset:784
	v_fmac_f64_e32 v[130:131], v[118:119], v[72:73]
	v_fma_f64 v[72:73], v[116:117], v[72:73], -v[74:75]
	s_wait_loadcnt_dscnt 0xa01
	v_mul_f64_e32 v[8:9], v[108:109], v[78:79]
	v_mul_f64_e32 v[78:79], v[110:111], v[78:79]
	s_wait_loadcnt_dscnt 0x900
	v_mul_f64_e32 v[116:117], v[124:125], v[82:83]
	v_mul_f64_e32 v[82:83], v[126:127], v[82:83]
	v_add_f64_e32 v[4:5], 0, v[4:5]
	v_add_f64_e32 v[74:75], 0, v[128:129]
	v_fmac_f64_e32 v[8:9], v[110:111], v[76:77]
	v_fma_f64 v[108:109], v[108:109], v[76:77], -v[78:79]
	v_fmac_f64_e32 v[116:117], v[126:127], v[80:81]
	v_fma_f64 v[80:81], v[124:125], v[80:81], -v[82:83]
	v_add_f64_e32 v[4:5], v[4:5], v[72:73]
	v_add_f64_e32 v[110:111], v[74:75], v[130:131]
	ds_load_b128 v[72:75], v2 offset:800
	ds_load_b128 v[76:79], v2 offset:816
	s_wait_loadcnt_dscnt 0x801
	v_mul_f64_e32 v[118:119], v[72:73], v[86:87]
	v_mul_f64_e32 v[86:87], v[74:75], v[86:87]
	v_add_f64_e32 v[4:5], v[4:5], v[108:109]
	v_add_f64_e32 v[8:9], v[110:111], v[8:9]
	s_wait_loadcnt_dscnt 0x700
	v_mul_f64_e32 v[108:109], v[76:77], v[90:91]
	v_mul_f64_e32 v[90:91], v[78:79], v[90:91]
	v_fmac_f64_e32 v[118:119], v[74:75], v[84:85]
	v_fma_f64 v[84:85], v[72:73], v[84:85], -v[86:87]
	v_add_f64_e32 v[4:5], v[4:5], v[80:81]
	v_add_f64_e32 v[8:9], v[8:9], v[116:117]
	ds_load_b128 v[72:75], v2 offset:832
	ds_load_b128 v[80:83], v2 offset:848
	v_fmac_f64_e32 v[108:109], v[78:79], v[88:89]
	v_fma_f64 v[76:77], v[76:77], v[88:89], -v[90:91]
	s_wait_loadcnt_dscnt 0x601
	v_mul_f64_e32 v[86:87], v[72:73], v[94:95]
	v_mul_f64_e32 v[94:95], v[74:75], v[94:95]
	s_wait_loadcnt_dscnt 0x500
	v_mul_f64_e32 v[88:89], v[82:83], v[98:99]
	v_add_f64_e32 v[4:5], v[4:5], v[84:85]
	v_add_f64_e32 v[8:9], v[8:9], v[118:119]
	v_mul_f64_e32 v[84:85], v[80:81], v[98:99]
	v_fmac_f64_e32 v[86:87], v[74:75], v[92:93]
	v_fma_f64 v[90:91], v[72:73], v[92:93], -v[94:95]
	v_fma_f64 v[80:81], v[80:81], v[96:97], -v[88:89]
	v_add_f64_e32 v[4:5], v[4:5], v[76:77]
	v_add_f64_e32 v[8:9], v[8:9], v[108:109]
	ds_load_b128 v[72:75], v2 offset:864
	ds_load_b128 v[76:79], v2 offset:880
	v_fmac_f64_e32 v[84:85], v[82:83], v[96:97]
	s_wait_loadcnt_dscnt 0x401
	v_mul_f64_e32 v[92:93], v[72:73], v[102:103]
	v_mul_f64_e32 v[94:95], v[74:75], v[102:103]
	s_wait_loadcnt_dscnt 0x300
	v_mul_f64_e32 v[82:83], v[76:77], v[106:107]
	v_add_f64_e32 v[4:5], v[4:5], v[90:91]
	v_add_f64_e32 v[8:9], v[8:9], v[86:87]
	v_mul_f64_e32 v[86:87], v[78:79], v[106:107]
	v_fmac_f64_e32 v[92:93], v[74:75], v[100:101]
	v_fma_f64 v[88:89], v[72:73], v[100:101], -v[94:95]
	v_fmac_f64_e32 v[82:83], v[78:79], v[104:105]
	v_add_f64_e32 v[80:81], v[4:5], v[80:81]
	v_add_f64_e32 v[8:9], v[8:9], v[84:85]
	ds_load_b128 v[72:75], v2 offset:896
	ds_load_b128 v[2:5], v2 offset:912
	v_fma_f64 v[76:77], v[76:77], v[104:105], -v[86:87]
	s_wait_loadcnt_dscnt 0x201
	v_mul_f64_e32 v[84:85], v[72:73], v[114:115]
	v_mul_f64_e32 v[90:91], v[74:75], v[114:115]
	v_add_f64_e32 v[78:79], v[80:81], v[88:89]
	v_add_f64_e32 v[8:9], v[8:9], v[92:93]
	s_wait_loadcnt_dscnt 0x0
	v_mul_f64_e32 v[80:81], v[2:3], v[12:13]
	v_mul_f64_e32 v[12:13], v[4:5], v[12:13]
	v_fmac_f64_e32 v[84:85], v[74:75], v[112:113]
	v_fma_f64 v[72:73], v[72:73], v[112:113], -v[90:91]
	v_add_f64_e32 v[74:75], v[78:79], v[76:77]
	v_add_f64_e32 v[8:9], v[8:9], v[82:83]
	v_fmac_f64_e32 v[80:81], v[4:5], v[10:11]
	v_fma_f64 v[2:3], v[2:3], v[10:11], -v[12:13]
	s_delay_alu instid0(VALU_DEP_4) | instskip(NEXT) | instid1(VALU_DEP_4)
	v_add_f64_e32 v[4:5], v[74:75], v[72:73]
	v_add_f64_e32 v[8:9], v[8:9], v[84:85]
	s_delay_alu instid0(VALU_DEP_2) | instskip(NEXT) | instid1(VALU_DEP_2)
	v_add_f64_e32 v[2:3], v[4:5], v[2:3]
	v_add_f64_e32 v[4:5], v[8:9], v[80:81]
	s_delay_alu instid0(VALU_DEP_2) | instskip(NEXT) | instid1(VALU_DEP_2)
	v_add_f64_e64 v[2:3], v[120:121], -v[2:3]
	v_add_f64_e64 v[4:5], v[122:123], -v[4:5]
	scratch_store_b128 off, v[2:5], off offset:256
	s_wait_xcnt 0x0
	v_cmpx_lt_u32_e32 15, v1
	s_cbranch_execz .LBB28_157
; %bb.156:
	scratch_load_b128 v[2:5], off, s35
	v_mov_b32_e32 v8, 0
	s_delay_alu instid0(VALU_DEP_1)
	v_dual_mov_b32 v9, v8 :: v_dual_mov_b32 v10, v8
	v_mov_b32_e32 v11, v8
	scratch_store_b128 off, v[8:11], off offset:240
	s_wait_loadcnt 0x0
	ds_store_b128 v6, v[2:5]
.LBB28_157:
	s_wait_xcnt 0x0
	s_or_b32 exec_lo, exec_lo, s2
	s_wait_storecnt_dscnt 0x0
	s_barrier_signal -1
	s_barrier_wait -1
	s_clause 0x9
	scratch_load_b128 v[8:11], off, off offset:256
	scratch_load_b128 v[72:75], off, off offset:272
	;; [unrolled: 1-line block ×10, first 2 shown]
	v_mov_b32_e32 v2, 0
	s_mov_b32 s2, exec_lo
	ds_load_b128 v[108:111], v2 offset:720
	s_clause 0x2
	scratch_load_b128 v[112:115], off, off offset:416
	scratch_load_b128 v[116:119], off, off offset:240
	;; [unrolled: 1-line block ×3, first 2 shown]
	s_wait_loadcnt_dscnt 0xc00
	v_mul_f64_e32 v[4:5], v[110:111], v[10:11]
	v_mul_f64_e32 v[132:133], v[108:109], v[10:11]
	ds_load_b128 v[120:123], v2 offset:736
	scratch_load_b128 v[10:13], off, off offset:432
	ds_load_b128 v[128:131], v2 offset:768
	v_fma_f64 v[4:5], v[108:109], v[8:9], -v[4:5]
	v_fmac_f64_e32 v[132:133], v[110:111], v[8:9]
	ds_load_b128 v[108:111], v2 offset:752
	s_wait_loadcnt_dscnt 0xc02
	v_mul_f64_e32 v[134:135], v[120:121], v[74:75]
	v_mul_f64_e32 v[74:75], v[122:123], v[74:75]
	s_wait_loadcnt_dscnt 0xb00
	v_mul_f64_e32 v[8:9], v[108:109], v[78:79]
	v_mul_f64_e32 v[78:79], v[110:111], v[78:79]
	v_add_f64_e32 v[4:5], 0, v[4:5]
	v_fmac_f64_e32 v[134:135], v[122:123], v[72:73]
	v_fma_f64 v[72:73], v[120:121], v[72:73], -v[74:75]
	v_add_f64_e32 v[74:75], 0, v[132:133]
	s_wait_loadcnt 0xa
	v_mul_f64_e32 v[120:121], v[128:129], v[82:83]
	v_mul_f64_e32 v[82:83], v[130:131], v[82:83]
	v_fmac_f64_e32 v[8:9], v[110:111], v[76:77]
	v_fma_f64 v[108:109], v[108:109], v[76:77], -v[78:79]
	v_add_f64_e32 v[4:5], v[4:5], v[72:73]
	v_add_f64_e32 v[110:111], v[74:75], v[134:135]
	ds_load_b128 v[72:75], v2 offset:784
	ds_load_b128 v[76:79], v2 offset:800
	v_fmac_f64_e32 v[120:121], v[130:131], v[80:81]
	v_fma_f64 v[80:81], v[128:129], v[80:81], -v[82:83]
	s_wait_loadcnt_dscnt 0x901
	v_mul_f64_e32 v[122:123], v[72:73], v[86:87]
	v_mul_f64_e32 v[86:87], v[74:75], v[86:87]
	v_add_f64_e32 v[4:5], v[4:5], v[108:109]
	v_add_f64_e32 v[8:9], v[110:111], v[8:9]
	s_wait_loadcnt_dscnt 0x800
	v_mul_f64_e32 v[108:109], v[76:77], v[90:91]
	v_mul_f64_e32 v[90:91], v[78:79], v[90:91]
	v_fmac_f64_e32 v[122:123], v[74:75], v[84:85]
	v_fma_f64 v[84:85], v[72:73], v[84:85], -v[86:87]
	v_add_f64_e32 v[4:5], v[4:5], v[80:81]
	v_add_f64_e32 v[8:9], v[8:9], v[120:121]
	ds_load_b128 v[72:75], v2 offset:816
	ds_load_b128 v[80:83], v2 offset:832
	v_fmac_f64_e32 v[108:109], v[78:79], v[88:89]
	v_fma_f64 v[76:77], v[76:77], v[88:89], -v[90:91]
	s_wait_loadcnt_dscnt 0x701
	v_mul_f64_e32 v[86:87], v[72:73], v[94:95]
	v_mul_f64_e32 v[94:95], v[74:75], v[94:95]
	s_wait_loadcnt_dscnt 0x600
	v_mul_f64_e32 v[88:89], v[82:83], v[98:99]
	v_add_f64_e32 v[4:5], v[4:5], v[84:85]
	v_add_f64_e32 v[8:9], v[8:9], v[122:123]
	v_mul_f64_e32 v[84:85], v[80:81], v[98:99]
	v_fmac_f64_e32 v[86:87], v[74:75], v[92:93]
	v_fma_f64 v[90:91], v[72:73], v[92:93], -v[94:95]
	v_fma_f64 v[80:81], v[80:81], v[96:97], -v[88:89]
	v_add_f64_e32 v[4:5], v[4:5], v[76:77]
	v_add_f64_e32 v[8:9], v[8:9], v[108:109]
	ds_load_b128 v[72:75], v2 offset:848
	ds_load_b128 v[76:79], v2 offset:864
	v_fmac_f64_e32 v[84:85], v[82:83], v[96:97]
	s_wait_loadcnt_dscnt 0x501
	v_mul_f64_e32 v[92:93], v[72:73], v[102:103]
	v_mul_f64_e32 v[94:95], v[74:75], v[102:103]
	s_wait_loadcnt_dscnt 0x400
	v_mul_f64_e32 v[88:89], v[78:79], v[106:107]
	v_add_f64_e32 v[4:5], v[4:5], v[90:91]
	v_add_f64_e32 v[8:9], v[8:9], v[86:87]
	v_mul_f64_e32 v[86:87], v[76:77], v[106:107]
	v_fmac_f64_e32 v[92:93], v[74:75], v[100:101]
	v_fma_f64 v[90:91], v[72:73], v[100:101], -v[94:95]
	v_fma_f64 v[76:77], v[76:77], v[104:105], -v[88:89]
	v_add_f64_e32 v[4:5], v[4:5], v[80:81]
	v_add_f64_e32 v[8:9], v[8:9], v[84:85]
	ds_load_b128 v[72:75], v2 offset:880
	ds_load_b128 v[80:83], v2 offset:896
	v_fmac_f64_e32 v[86:87], v[78:79], v[104:105]
	s_wait_loadcnt_dscnt 0x301
	v_mul_f64_e32 v[84:85], v[72:73], v[114:115]
	v_mul_f64_e32 v[94:95], v[74:75], v[114:115]
	s_wait_loadcnt_dscnt 0x0
	v_mul_f64_e32 v[78:79], v[80:81], v[12:13]
	v_add_f64_e32 v[4:5], v[4:5], v[90:91]
	v_add_f64_e32 v[8:9], v[8:9], v[92:93]
	v_mul_f64_e32 v[12:13], v[82:83], v[12:13]
	v_fmac_f64_e32 v[84:85], v[74:75], v[112:113]
	v_fma_f64 v[88:89], v[72:73], v[112:113], -v[94:95]
	ds_load_b128 v[72:75], v2 offset:912
	v_fmac_f64_e32 v[78:79], v[82:83], v[10:11]
	v_add_f64_e32 v[4:5], v[4:5], v[76:77]
	v_add_f64_e32 v[8:9], v[8:9], v[86:87]
	v_fma_f64 v[10:11], v[80:81], v[10:11], -v[12:13]
	s_wait_dscnt 0x0
	v_mul_f64_e32 v[76:77], v[72:73], v[126:127]
	v_mul_f64_e32 v[86:87], v[74:75], v[126:127]
	v_add_f64_e32 v[4:5], v[4:5], v[88:89]
	v_add_f64_e32 v[8:9], v[8:9], v[84:85]
	s_delay_alu instid0(VALU_DEP_4) | instskip(NEXT) | instid1(VALU_DEP_4)
	v_fmac_f64_e32 v[76:77], v[74:75], v[124:125]
	v_fma_f64 v[12:13], v[72:73], v[124:125], -v[86:87]
	s_delay_alu instid0(VALU_DEP_4) | instskip(NEXT) | instid1(VALU_DEP_4)
	v_add_f64_e32 v[4:5], v[4:5], v[10:11]
	v_add_f64_e32 v[8:9], v[8:9], v[78:79]
	s_delay_alu instid0(VALU_DEP_2) | instskip(NEXT) | instid1(VALU_DEP_2)
	v_add_f64_e32 v[4:5], v[4:5], v[12:13]
	v_add_f64_e32 v[10:11], v[8:9], v[76:77]
	s_delay_alu instid0(VALU_DEP_2) | instskip(NEXT) | instid1(VALU_DEP_2)
	v_add_f64_e64 v[8:9], v[116:117], -v[4:5]
	v_add_f64_e64 v[10:11], v[118:119], -v[10:11]
	scratch_store_b128 off, v[8:11], off offset:240
	s_wait_xcnt 0x0
	v_cmpx_lt_u32_e32 14, v1
	s_cbranch_execz .LBB28_159
; %bb.158:
	scratch_load_b128 v[8:11], off, s40
	v_dual_mov_b32 v3, v2 :: v_dual_mov_b32 v4, v2
	v_mov_b32_e32 v5, v2
	scratch_store_b128 off, v[2:5], off offset:224
	s_wait_loadcnt 0x0
	ds_store_b128 v6, v[8:11]
.LBB28_159:
	s_wait_xcnt 0x0
	s_or_b32 exec_lo, exec_lo, s2
	s_wait_storecnt_dscnt 0x0
	s_barrier_signal -1
	s_barrier_wait -1
	s_clause 0x9
	scratch_load_b128 v[8:11], off, off offset:240
	scratch_load_b128 v[72:75], off, off offset:256
	;; [unrolled: 1-line block ×10, first 2 shown]
	ds_load_b128 v[108:111], v2 offset:704
	ds_load_b128 v[116:119], v2 offset:720
	s_clause 0x1
	scratch_load_b128 v[112:115], off, off offset:400
	scratch_load_b128 v[120:123], off, off offset:224
	s_mov_b32 s2, exec_lo
	s_wait_loadcnt_dscnt 0xb01
	v_mul_f64_e32 v[4:5], v[110:111], v[10:11]
	v_mul_f64_e32 v[132:133], v[108:109], v[10:11]
	scratch_load_b128 v[10:13], off, off offset:416
	s_wait_loadcnt_dscnt 0xb00
	v_mul_f64_e32 v[134:135], v[116:117], v[74:75]
	v_mul_f64_e32 v[74:75], v[118:119], v[74:75]
	v_fma_f64 v[4:5], v[108:109], v[8:9], -v[4:5]
	v_fmac_f64_e32 v[132:133], v[110:111], v[8:9]
	ds_load_b128 v[108:111], v2 offset:736
	ds_load_b128 v[124:127], v2 offset:752
	scratch_load_b128 v[128:131], off, off offset:432
	v_fmac_f64_e32 v[134:135], v[118:119], v[72:73]
	v_fma_f64 v[116:117], v[116:117], v[72:73], -v[74:75]
	scratch_load_b128 v[72:75], off, off offset:448
	s_wait_loadcnt_dscnt 0xc01
	v_mul_f64_e32 v[8:9], v[108:109], v[78:79]
	v_mul_f64_e32 v[78:79], v[110:111], v[78:79]
	v_add_f64_e32 v[4:5], 0, v[4:5]
	v_add_f64_e32 v[118:119], 0, v[132:133]
	s_wait_loadcnt_dscnt 0xb00
	v_mul_f64_e32 v[132:133], v[124:125], v[82:83]
	v_mul_f64_e32 v[82:83], v[126:127], v[82:83]
	v_fmac_f64_e32 v[8:9], v[110:111], v[76:77]
	v_fma_f64 v[136:137], v[108:109], v[76:77], -v[78:79]
	ds_load_b128 v[76:79], v2 offset:768
	ds_load_b128 v[108:111], v2 offset:784
	v_add_f64_e32 v[4:5], v[4:5], v[116:117]
	v_add_f64_e32 v[116:117], v[118:119], v[134:135]
	v_fmac_f64_e32 v[132:133], v[126:127], v[80:81]
	v_fma_f64 v[80:81], v[124:125], v[80:81], -v[82:83]
	s_wait_loadcnt_dscnt 0xa01
	v_mul_f64_e32 v[118:119], v[76:77], v[86:87]
	v_mul_f64_e32 v[86:87], v[78:79], v[86:87]
	v_add_f64_e32 v[4:5], v[4:5], v[136:137]
	v_add_f64_e32 v[8:9], v[116:117], v[8:9]
	s_wait_loadcnt_dscnt 0x900
	v_mul_f64_e32 v[116:117], v[108:109], v[90:91]
	v_mul_f64_e32 v[90:91], v[110:111], v[90:91]
	v_fmac_f64_e32 v[118:119], v[78:79], v[84:85]
	v_fma_f64 v[84:85], v[76:77], v[84:85], -v[86:87]
	v_add_f64_e32 v[4:5], v[4:5], v[80:81]
	v_add_f64_e32 v[8:9], v[8:9], v[132:133]
	ds_load_b128 v[76:79], v2 offset:800
	ds_load_b128 v[80:83], v2 offset:816
	v_fmac_f64_e32 v[116:117], v[110:111], v[88:89]
	v_fma_f64 v[88:89], v[108:109], v[88:89], -v[90:91]
	s_wait_loadcnt_dscnt 0x801
	v_mul_f64_e32 v[124:125], v[76:77], v[94:95]
	v_mul_f64_e32 v[86:87], v[78:79], v[94:95]
	s_wait_loadcnt_dscnt 0x700
	v_mul_f64_e32 v[90:91], v[80:81], v[98:99]
	v_mul_f64_e32 v[94:95], v[82:83], v[98:99]
	v_add_f64_e32 v[4:5], v[4:5], v[84:85]
	v_add_f64_e32 v[8:9], v[8:9], v[118:119]
	v_fmac_f64_e32 v[124:125], v[78:79], v[92:93]
	v_fma_f64 v[92:93], v[76:77], v[92:93], -v[86:87]
	ds_load_b128 v[76:79], v2 offset:832
	ds_load_b128 v[84:87], v2 offset:848
	v_fmac_f64_e32 v[90:91], v[82:83], v[96:97]
	v_fma_f64 v[80:81], v[80:81], v[96:97], -v[94:95]
	v_add_f64_e32 v[4:5], v[4:5], v[88:89]
	v_add_f64_e32 v[8:9], v[8:9], v[116:117]
	s_wait_loadcnt_dscnt 0x601
	v_mul_f64_e32 v[88:89], v[76:77], v[102:103]
	v_mul_f64_e32 v[98:99], v[78:79], v[102:103]
	s_wait_loadcnt_dscnt 0x500
	v_mul_f64_e32 v[94:95], v[86:87], v[106:107]
	v_add_f64_e32 v[4:5], v[4:5], v[92:93]
	v_add_f64_e32 v[8:9], v[8:9], v[124:125]
	v_mul_f64_e32 v[92:93], v[84:85], v[106:107]
	v_fmac_f64_e32 v[88:89], v[78:79], v[100:101]
	v_fma_f64 v[96:97], v[76:77], v[100:101], -v[98:99]
	v_fma_f64 v[84:85], v[84:85], v[104:105], -v[94:95]
	v_add_f64_e32 v[4:5], v[4:5], v[80:81]
	v_add_f64_e32 v[8:9], v[8:9], v[90:91]
	ds_load_b128 v[76:79], v2 offset:864
	ds_load_b128 v[80:83], v2 offset:880
	v_fmac_f64_e32 v[92:93], v[86:87], v[104:105]
	s_wait_loadcnt_dscnt 0x401
	v_mul_f64_e32 v[90:91], v[76:77], v[114:115]
	v_mul_f64_e32 v[98:99], v[78:79], v[114:115]
	v_add_f64_e32 v[4:5], v[4:5], v[96:97]
	v_add_f64_e32 v[8:9], v[8:9], v[88:89]
	s_wait_loadcnt_dscnt 0x200
	v_mul_f64_e32 v[86:87], v[80:81], v[12:13]
	v_mul_f64_e32 v[12:13], v[82:83], v[12:13]
	v_fmac_f64_e32 v[90:91], v[78:79], v[112:113]
	v_fma_f64 v[88:89], v[76:77], v[112:113], -v[98:99]
	v_add_f64_e32 v[84:85], v[4:5], v[84:85]
	v_add_f64_e32 v[8:9], v[8:9], v[92:93]
	ds_load_b128 v[76:79], v2 offset:896
	ds_load_b128 v[2:5], v2 offset:912
	v_fmac_f64_e32 v[86:87], v[82:83], v[10:11]
	v_fma_f64 v[10:11], v[80:81], v[10:11], -v[12:13]
	s_wait_loadcnt_dscnt 0x101
	v_mul_f64_e32 v[92:93], v[76:77], v[130:131]
	v_mul_f64_e32 v[94:95], v[78:79], v[130:131]
	s_wait_loadcnt_dscnt 0x0
	v_mul_f64_e32 v[80:81], v[2:3], v[74:75]
	v_mul_f64_e32 v[74:75], v[4:5], v[74:75]
	v_add_f64_e32 v[12:13], v[84:85], v[88:89]
	v_add_f64_e32 v[8:9], v[8:9], v[90:91]
	v_fmac_f64_e32 v[92:93], v[78:79], v[128:129]
	v_fma_f64 v[76:77], v[76:77], v[128:129], -v[94:95]
	v_fmac_f64_e32 v[80:81], v[4:5], v[72:73]
	v_fma_f64 v[2:3], v[2:3], v[72:73], -v[74:75]
	v_add_f64_e32 v[10:11], v[12:13], v[10:11]
	v_add_f64_e32 v[8:9], v[8:9], v[86:87]
	s_delay_alu instid0(VALU_DEP_2) | instskip(NEXT) | instid1(VALU_DEP_2)
	v_add_f64_e32 v[4:5], v[10:11], v[76:77]
	v_add_f64_e32 v[8:9], v[8:9], v[92:93]
	s_delay_alu instid0(VALU_DEP_2) | instskip(NEXT) | instid1(VALU_DEP_2)
	v_add_f64_e32 v[2:3], v[4:5], v[2:3]
	v_add_f64_e32 v[4:5], v[8:9], v[80:81]
	s_delay_alu instid0(VALU_DEP_2) | instskip(NEXT) | instid1(VALU_DEP_2)
	v_add_f64_e64 v[2:3], v[120:121], -v[2:3]
	v_add_f64_e64 v[4:5], v[122:123], -v[4:5]
	scratch_store_b128 off, v[2:5], off offset:224
	s_wait_xcnt 0x0
	v_cmpx_lt_u32_e32 13, v1
	s_cbranch_execz .LBB28_161
; %bb.160:
	scratch_load_b128 v[2:5], off, s39
	v_mov_b32_e32 v8, 0
	s_delay_alu instid0(VALU_DEP_1)
	v_dual_mov_b32 v9, v8 :: v_dual_mov_b32 v10, v8
	v_mov_b32_e32 v11, v8
	scratch_store_b128 off, v[8:11], off offset:208
	s_wait_loadcnt 0x0
	ds_store_b128 v6, v[2:5]
.LBB28_161:
	s_wait_xcnt 0x0
	s_or_b32 exec_lo, exec_lo, s2
	s_wait_storecnt_dscnt 0x0
	s_barrier_signal -1
	s_barrier_wait -1
	s_clause 0x9
	scratch_load_b128 v[8:11], off, off offset:224
	scratch_load_b128 v[72:75], off, off offset:240
	;; [unrolled: 1-line block ×10, first 2 shown]
	v_mov_b32_e32 v2, 0
	s_mov_b32 s2, exec_lo
	ds_load_b128 v[108:111], v2 offset:688
	s_clause 0x2
	scratch_load_b128 v[112:115], off, off offset:384
	scratch_load_b128 v[116:119], off, off offset:208
	;; [unrolled: 1-line block ×3, first 2 shown]
	s_wait_loadcnt_dscnt 0xc00
	v_mul_f64_e32 v[4:5], v[110:111], v[10:11]
	v_mul_f64_e32 v[132:133], v[108:109], v[10:11]
	ds_load_b128 v[120:123], v2 offset:704
	scratch_load_b128 v[10:13], off, off offset:400
	ds_load_b128 v[128:131], v2 offset:736
	v_fma_f64 v[4:5], v[108:109], v[8:9], -v[4:5]
	v_fmac_f64_e32 v[132:133], v[110:111], v[8:9]
	ds_load_b128 v[108:111], v2 offset:720
	s_wait_loadcnt_dscnt 0xc02
	v_mul_f64_e32 v[134:135], v[120:121], v[74:75]
	v_mul_f64_e32 v[74:75], v[122:123], v[74:75]
	s_wait_loadcnt_dscnt 0xb00
	v_mul_f64_e32 v[8:9], v[108:109], v[78:79]
	v_mul_f64_e32 v[78:79], v[110:111], v[78:79]
	v_add_f64_e32 v[4:5], 0, v[4:5]
	v_fmac_f64_e32 v[134:135], v[122:123], v[72:73]
	v_fma_f64 v[120:121], v[120:121], v[72:73], -v[74:75]
	v_add_f64_e32 v[122:123], 0, v[132:133]
	scratch_load_b128 v[72:75], off, off offset:432
	v_fmac_f64_e32 v[8:9], v[110:111], v[76:77]
	v_fma_f64 v[136:137], v[108:109], v[76:77], -v[78:79]
	ds_load_b128 v[76:79], v2 offset:752
	s_wait_loadcnt 0xb
	v_mul_f64_e32 v[132:133], v[128:129], v[82:83]
	v_mul_f64_e32 v[82:83], v[130:131], v[82:83]
	scratch_load_b128 v[108:111], off, off offset:448
	v_add_f64_e32 v[4:5], v[4:5], v[120:121]
	v_add_f64_e32 v[134:135], v[122:123], v[134:135]
	ds_load_b128 v[120:123], v2 offset:768
	s_wait_loadcnt_dscnt 0xb01
	v_mul_f64_e32 v[138:139], v[76:77], v[86:87]
	v_mul_f64_e32 v[86:87], v[78:79], v[86:87]
	v_fmac_f64_e32 v[132:133], v[130:131], v[80:81]
	v_fma_f64 v[80:81], v[128:129], v[80:81], -v[82:83]
	s_wait_loadcnt_dscnt 0xa00
	v_mul_f64_e32 v[128:129], v[120:121], v[90:91]
	v_mul_f64_e32 v[90:91], v[122:123], v[90:91]
	v_add_f64_e32 v[4:5], v[4:5], v[136:137]
	v_add_f64_e32 v[8:9], v[134:135], v[8:9]
	v_fmac_f64_e32 v[138:139], v[78:79], v[84:85]
	v_fma_f64 v[84:85], v[76:77], v[84:85], -v[86:87]
	v_fmac_f64_e32 v[128:129], v[122:123], v[88:89]
	v_fma_f64 v[88:89], v[120:121], v[88:89], -v[90:91]
	v_add_f64_e32 v[4:5], v[4:5], v[80:81]
	v_add_f64_e32 v[8:9], v[8:9], v[132:133]
	ds_load_b128 v[76:79], v2 offset:784
	ds_load_b128 v[80:83], v2 offset:800
	s_wait_loadcnt_dscnt 0x901
	v_mul_f64_e32 v[130:131], v[76:77], v[94:95]
	v_mul_f64_e32 v[86:87], v[78:79], v[94:95]
	s_wait_loadcnt_dscnt 0x800
	v_mul_f64_e32 v[90:91], v[80:81], v[98:99]
	v_mul_f64_e32 v[94:95], v[82:83], v[98:99]
	v_add_f64_e32 v[4:5], v[4:5], v[84:85]
	v_add_f64_e32 v[8:9], v[8:9], v[138:139]
	v_fmac_f64_e32 v[130:131], v[78:79], v[92:93]
	v_fma_f64 v[92:93], v[76:77], v[92:93], -v[86:87]
	ds_load_b128 v[76:79], v2 offset:816
	ds_load_b128 v[84:87], v2 offset:832
	v_fmac_f64_e32 v[90:91], v[82:83], v[96:97]
	v_fma_f64 v[80:81], v[80:81], v[96:97], -v[94:95]
	v_add_f64_e32 v[4:5], v[4:5], v[88:89]
	v_add_f64_e32 v[8:9], v[8:9], v[128:129]
	s_wait_loadcnt_dscnt 0x701
	v_mul_f64_e32 v[88:89], v[76:77], v[102:103]
	v_mul_f64_e32 v[98:99], v[78:79], v[102:103]
	s_wait_loadcnt_dscnt 0x600
	v_mul_f64_e32 v[94:95], v[86:87], v[106:107]
	v_add_f64_e32 v[4:5], v[4:5], v[92:93]
	v_add_f64_e32 v[8:9], v[8:9], v[130:131]
	v_mul_f64_e32 v[92:93], v[84:85], v[106:107]
	v_fmac_f64_e32 v[88:89], v[78:79], v[100:101]
	v_fma_f64 v[96:97], v[76:77], v[100:101], -v[98:99]
	v_fma_f64 v[84:85], v[84:85], v[104:105], -v[94:95]
	v_add_f64_e32 v[4:5], v[4:5], v[80:81]
	v_add_f64_e32 v[8:9], v[8:9], v[90:91]
	ds_load_b128 v[76:79], v2 offset:848
	ds_load_b128 v[80:83], v2 offset:864
	v_fmac_f64_e32 v[92:93], v[86:87], v[104:105]
	s_wait_loadcnt_dscnt 0x501
	v_mul_f64_e32 v[90:91], v[76:77], v[114:115]
	v_mul_f64_e32 v[98:99], v[78:79], v[114:115]
	v_add_f64_e32 v[4:5], v[4:5], v[96:97]
	v_add_f64_e32 v[8:9], v[8:9], v[88:89]
	s_wait_loadcnt_dscnt 0x200
	v_mul_f64_e32 v[88:89], v[80:81], v[12:13]
	v_mul_f64_e32 v[12:13], v[82:83], v[12:13]
	v_fmac_f64_e32 v[90:91], v[78:79], v[112:113]
	v_fma_f64 v[94:95], v[76:77], v[112:113], -v[98:99]
	v_add_f64_e32 v[4:5], v[4:5], v[84:85]
	v_add_f64_e32 v[8:9], v[8:9], v[92:93]
	ds_load_b128 v[76:79], v2 offset:880
	ds_load_b128 v[84:87], v2 offset:896
	v_fmac_f64_e32 v[88:89], v[82:83], v[10:11]
	v_fma_f64 v[10:11], v[80:81], v[10:11], -v[12:13]
	s_wait_dscnt 0x1
	v_mul_f64_e32 v[92:93], v[76:77], v[126:127]
	v_mul_f64_e32 v[96:97], v[78:79], v[126:127]
	v_add_f64_e32 v[4:5], v[4:5], v[94:95]
	v_add_f64_e32 v[8:9], v[8:9], v[90:91]
	s_wait_loadcnt_dscnt 0x100
	v_mul_f64_e32 v[12:13], v[84:85], v[74:75]
	v_mul_f64_e32 v[74:75], v[86:87], v[74:75]
	v_fmac_f64_e32 v[92:93], v[78:79], v[124:125]
	v_fma_f64 v[76:77], v[76:77], v[124:125], -v[96:97]
	v_add_f64_e32 v[4:5], v[4:5], v[10:11]
	v_add_f64_e32 v[78:79], v[8:9], v[88:89]
	ds_load_b128 v[8:11], v2 offset:912
	v_fmac_f64_e32 v[12:13], v[86:87], v[72:73]
	v_fma_f64 v[72:73], v[84:85], v[72:73], -v[74:75]
	s_wait_loadcnt_dscnt 0x0
	v_mul_f64_e32 v[80:81], v[8:9], v[110:111]
	v_mul_f64_e32 v[82:83], v[10:11], v[110:111]
	v_add_f64_e32 v[4:5], v[4:5], v[76:77]
	v_add_f64_e32 v[74:75], v[78:79], v[92:93]
	s_delay_alu instid0(VALU_DEP_4) | instskip(NEXT) | instid1(VALU_DEP_4)
	v_fmac_f64_e32 v[80:81], v[10:11], v[108:109]
	v_fma_f64 v[8:9], v[8:9], v[108:109], -v[82:83]
	s_delay_alu instid0(VALU_DEP_4) | instskip(NEXT) | instid1(VALU_DEP_4)
	v_add_f64_e32 v[4:5], v[4:5], v[72:73]
	v_add_f64_e32 v[10:11], v[74:75], v[12:13]
	s_delay_alu instid0(VALU_DEP_2) | instskip(NEXT) | instid1(VALU_DEP_2)
	v_add_f64_e32 v[4:5], v[4:5], v[8:9]
	v_add_f64_e32 v[10:11], v[10:11], v[80:81]
	s_delay_alu instid0(VALU_DEP_2) | instskip(NEXT) | instid1(VALU_DEP_2)
	v_add_f64_e64 v[8:9], v[116:117], -v[4:5]
	v_add_f64_e64 v[10:11], v[118:119], -v[10:11]
	scratch_store_b128 off, v[8:11], off offset:208
	s_wait_xcnt 0x0
	v_cmpx_lt_u32_e32 12, v1
	s_cbranch_execz .LBB28_163
; %bb.162:
	scratch_load_b128 v[8:11], off, s38
	v_dual_mov_b32 v3, v2 :: v_dual_mov_b32 v4, v2
	v_mov_b32_e32 v5, v2
	scratch_store_b128 off, v[2:5], off offset:192
	s_wait_loadcnt 0x0
	ds_store_b128 v6, v[8:11]
.LBB28_163:
	s_wait_xcnt 0x0
	s_or_b32 exec_lo, exec_lo, s2
	s_wait_storecnt_dscnt 0x0
	s_barrier_signal -1
	s_barrier_wait -1
	s_clause 0x9
	scratch_load_b128 v[8:11], off, off offset:208
	scratch_load_b128 v[72:75], off, off offset:224
	scratch_load_b128 v[76:79], off, off offset:240
	scratch_load_b128 v[80:83], off, off offset:256
	scratch_load_b128 v[84:87], off, off offset:272
	scratch_load_b128 v[88:91], off, off offset:288
	scratch_load_b128 v[92:95], off, off offset:304
	scratch_load_b128 v[96:99], off, off offset:320
	scratch_load_b128 v[100:103], off, off offset:336
	scratch_load_b128 v[104:107], off, off offset:352
	ds_load_b128 v[108:111], v2 offset:672
	ds_load_b128 v[116:119], v2 offset:688
	s_clause 0x1
	scratch_load_b128 v[112:115], off, off offset:368
	scratch_load_b128 v[120:123], off, off offset:192
	s_mov_b32 s2, exec_lo
	s_wait_loadcnt_dscnt 0xb01
	v_mul_f64_e32 v[4:5], v[110:111], v[10:11]
	v_mul_f64_e32 v[132:133], v[108:109], v[10:11]
	scratch_load_b128 v[10:13], off, off offset:384
	s_wait_loadcnt_dscnt 0xb00
	v_mul_f64_e32 v[134:135], v[116:117], v[74:75]
	v_mul_f64_e32 v[74:75], v[118:119], v[74:75]
	v_fma_f64 v[4:5], v[108:109], v[8:9], -v[4:5]
	v_fmac_f64_e32 v[132:133], v[110:111], v[8:9]
	ds_load_b128 v[108:111], v2 offset:704
	ds_load_b128 v[124:127], v2 offset:720
	scratch_load_b128 v[128:131], off, off offset:400
	v_fmac_f64_e32 v[134:135], v[118:119], v[72:73]
	v_fma_f64 v[116:117], v[116:117], v[72:73], -v[74:75]
	scratch_load_b128 v[72:75], off, off offset:416
	s_wait_loadcnt_dscnt 0xc01
	v_mul_f64_e32 v[8:9], v[108:109], v[78:79]
	v_mul_f64_e32 v[78:79], v[110:111], v[78:79]
	v_add_f64_e32 v[4:5], 0, v[4:5]
	v_add_f64_e32 v[118:119], 0, v[132:133]
	s_wait_loadcnt_dscnt 0xb00
	v_mul_f64_e32 v[132:133], v[124:125], v[82:83]
	v_mul_f64_e32 v[82:83], v[126:127], v[82:83]
	v_fmac_f64_e32 v[8:9], v[110:111], v[76:77]
	v_fma_f64 v[136:137], v[108:109], v[76:77], -v[78:79]
	ds_load_b128 v[76:79], v2 offset:736
	ds_load_b128 v[108:111], v2 offset:752
	v_add_f64_e32 v[4:5], v[4:5], v[116:117]
	v_add_f64_e32 v[134:135], v[118:119], v[134:135]
	scratch_load_b128 v[116:119], off, off offset:432
	v_fmac_f64_e32 v[132:133], v[126:127], v[80:81]
	v_fma_f64 v[124:125], v[124:125], v[80:81], -v[82:83]
	scratch_load_b128 v[80:83], off, off offset:448
	s_wait_loadcnt_dscnt 0xc01
	v_mul_f64_e32 v[138:139], v[76:77], v[86:87]
	v_mul_f64_e32 v[86:87], v[78:79], v[86:87]
	s_wait_loadcnt_dscnt 0xb00
	v_mul_f64_e32 v[126:127], v[108:109], v[90:91]
	v_mul_f64_e32 v[90:91], v[110:111], v[90:91]
	v_add_f64_e32 v[4:5], v[4:5], v[136:137]
	v_add_f64_e32 v[8:9], v[134:135], v[8:9]
	v_fmac_f64_e32 v[138:139], v[78:79], v[84:85]
	v_fma_f64 v[134:135], v[76:77], v[84:85], -v[86:87]
	ds_load_b128 v[76:79], v2 offset:768
	ds_load_b128 v[84:87], v2 offset:784
	v_fmac_f64_e32 v[126:127], v[110:111], v[88:89]
	v_fma_f64 v[88:89], v[108:109], v[88:89], -v[90:91]
	s_wait_loadcnt_dscnt 0x900
	v_mul_f64_e32 v[108:109], v[84:85], v[98:99]
	v_add_f64_e32 v[4:5], v[4:5], v[124:125]
	v_add_f64_e32 v[8:9], v[8:9], v[132:133]
	v_mul_f64_e32 v[124:125], v[76:77], v[94:95]
	v_mul_f64_e32 v[94:95], v[78:79], v[94:95]
	;; [unrolled: 1-line block ×3, first 2 shown]
	v_fmac_f64_e32 v[108:109], v[86:87], v[96:97]
	v_add_f64_e32 v[4:5], v[4:5], v[134:135]
	v_add_f64_e32 v[8:9], v[8:9], v[138:139]
	v_fmac_f64_e32 v[124:125], v[78:79], v[92:93]
	v_fma_f64 v[92:93], v[76:77], v[92:93], -v[94:95]
	v_fma_f64 v[84:85], v[84:85], v[96:97], -v[98:99]
	v_add_f64_e32 v[4:5], v[4:5], v[88:89]
	v_add_f64_e32 v[8:9], v[8:9], v[126:127]
	ds_load_b128 v[76:79], v2 offset:800
	ds_load_b128 v[88:91], v2 offset:816
	s_wait_loadcnt_dscnt 0x801
	v_mul_f64_e32 v[94:95], v[76:77], v[102:103]
	v_mul_f64_e32 v[102:103], v[78:79], v[102:103]
	s_wait_loadcnt_dscnt 0x700
	v_mul_f64_e32 v[96:97], v[90:91], v[106:107]
	v_add_f64_e32 v[4:5], v[4:5], v[92:93]
	v_add_f64_e32 v[8:9], v[8:9], v[124:125]
	v_mul_f64_e32 v[92:93], v[88:89], v[106:107]
	v_fmac_f64_e32 v[94:95], v[78:79], v[100:101]
	v_fma_f64 v[98:99], v[76:77], v[100:101], -v[102:103]
	v_fma_f64 v[88:89], v[88:89], v[104:105], -v[96:97]
	v_add_f64_e32 v[4:5], v[4:5], v[84:85]
	v_add_f64_e32 v[8:9], v[8:9], v[108:109]
	ds_load_b128 v[76:79], v2 offset:832
	ds_load_b128 v[84:87], v2 offset:848
	v_fmac_f64_e32 v[92:93], v[90:91], v[104:105]
	s_wait_loadcnt_dscnt 0x601
	v_mul_f64_e32 v[100:101], v[76:77], v[114:115]
	v_mul_f64_e32 v[102:103], v[78:79], v[114:115]
	v_add_f64_e32 v[4:5], v[4:5], v[98:99]
	v_add_f64_e32 v[8:9], v[8:9], v[94:95]
	s_wait_loadcnt_dscnt 0x400
	v_mul_f64_e32 v[94:95], v[84:85], v[12:13]
	v_mul_f64_e32 v[12:13], v[86:87], v[12:13]
	v_fmac_f64_e32 v[100:101], v[78:79], v[112:113]
	v_fma_f64 v[96:97], v[76:77], v[112:113], -v[102:103]
	v_add_f64_e32 v[4:5], v[4:5], v[88:89]
	v_add_f64_e32 v[8:9], v[8:9], v[92:93]
	ds_load_b128 v[76:79], v2 offset:864
	ds_load_b128 v[88:91], v2 offset:880
	v_fmac_f64_e32 v[94:95], v[86:87], v[10:11]
	v_fma_f64 v[10:11], v[84:85], v[10:11], -v[12:13]
	s_wait_loadcnt_dscnt 0x301
	v_mul_f64_e32 v[92:93], v[76:77], v[130:131]
	v_mul_f64_e32 v[98:99], v[78:79], v[130:131]
	s_wait_loadcnt_dscnt 0x200
	v_mul_f64_e32 v[12:13], v[88:89], v[74:75]
	v_mul_f64_e32 v[74:75], v[90:91], v[74:75]
	v_add_f64_e32 v[4:5], v[4:5], v[96:97]
	v_add_f64_e32 v[8:9], v[8:9], v[100:101]
	v_fmac_f64_e32 v[92:93], v[78:79], v[128:129]
	v_fma_f64 v[76:77], v[76:77], v[128:129], -v[98:99]
	v_fmac_f64_e32 v[12:13], v[90:91], v[72:73]
	v_fma_f64 v[72:73], v[88:89], v[72:73], -v[74:75]
	v_add_f64_e32 v[78:79], v[4:5], v[10:11]
	v_add_f64_e32 v[84:85], v[8:9], v[94:95]
	ds_load_b128 v[8:11], v2 offset:896
	ds_load_b128 v[2:5], v2 offset:912
	s_wait_loadcnt_dscnt 0x101
	v_mul_f64_e32 v[86:87], v[8:9], v[118:119]
	v_mul_f64_e32 v[94:95], v[10:11], v[118:119]
	v_add_f64_e32 v[74:75], v[78:79], v[76:77]
	v_add_f64_e32 v[76:77], v[84:85], v[92:93]
	s_wait_loadcnt_dscnt 0x0
	v_mul_f64_e32 v[78:79], v[2:3], v[82:83]
	v_mul_f64_e32 v[82:83], v[4:5], v[82:83]
	v_fmac_f64_e32 v[86:87], v[10:11], v[116:117]
	v_fma_f64 v[8:9], v[8:9], v[116:117], -v[94:95]
	v_add_f64_e32 v[10:11], v[74:75], v[72:73]
	v_add_f64_e32 v[12:13], v[76:77], v[12:13]
	v_fmac_f64_e32 v[78:79], v[4:5], v[80:81]
	v_fma_f64 v[2:3], v[2:3], v[80:81], -v[82:83]
	s_delay_alu instid0(VALU_DEP_4) | instskip(NEXT) | instid1(VALU_DEP_4)
	v_add_f64_e32 v[4:5], v[10:11], v[8:9]
	v_add_f64_e32 v[8:9], v[12:13], v[86:87]
	s_delay_alu instid0(VALU_DEP_2) | instskip(NEXT) | instid1(VALU_DEP_2)
	v_add_f64_e32 v[2:3], v[4:5], v[2:3]
	v_add_f64_e32 v[4:5], v[8:9], v[78:79]
	s_delay_alu instid0(VALU_DEP_2) | instskip(NEXT) | instid1(VALU_DEP_2)
	v_add_f64_e64 v[2:3], v[120:121], -v[2:3]
	v_add_f64_e64 v[4:5], v[122:123], -v[4:5]
	scratch_store_b128 off, v[2:5], off offset:192
	s_wait_xcnt 0x0
	v_cmpx_lt_u32_e32 11, v1
	s_cbranch_execz .LBB28_165
; %bb.164:
	scratch_load_b128 v[2:5], off, s36
	v_mov_b32_e32 v8, 0
	s_delay_alu instid0(VALU_DEP_1)
	v_dual_mov_b32 v9, v8 :: v_dual_mov_b32 v10, v8
	v_mov_b32_e32 v11, v8
	scratch_store_b128 off, v[8:11], off offset:176
	s_wait_loadcnt 0x0
	ds_store_b128 v6, v[2:5]
.LBB28_165:
	s_wait_xcnt 0x0
	s_or_b32 exec_lo, exec_lo, s2
	s_wait_storecnt_dscnt 0x0
	s_barrier_signal -1
	s_barrier_wait -1
	s_clause 0x9
	scratch_load_b128 v[8:11], off, off offset:192
	scratch_load_b128 v[72:75], off, off offset:208
	scratch_load_b128 v[76:79], off, off offset:224
	scratch_load_b128 v[80:83], off, off offset:240
	scratch_load_b128 v[84:87], off, off offset:256
	scratch_load_b128 v[88:91], off, off offset:272
	scratch_load_b128 v[92:95], off, off offset:288
	scratch_load_b128 v[96:99], off, off offset:304
	scratch_load_b128 v[100:103], off, off offset:320
	scratch_load_b128 v[104:107], off, off offset:336
	v_mov_b32_e32 v2, 0
	s_mov_b32 s2, exec_lo
	ds_load_b128 v[108:111], v2 offset:656
	s_clause 0x2
	scratch_load_b128 v[112:115], off, off offset:352
	scratch_load_b128 v[116:119], off, off offset:176
	;; [unrolled: 1-line block ×3, first 2 shown]
	s_wait_loadcnt_dscnt 0xc00
	v_mul_f64_e32 v[4:5], v[110:111], v[10:11]
	v_mul_f64_e32 v[132:133], v[108:109], v[10:11]
	ds_load_b128 v[120:123], v2 offset:672
	scratch_load_b128 v[10:13], off, off offset:368
	ds_load_b128 v[128:131], v2 offset:704
	v_fma_f64 v[4:5], v[108:109], v[8:9], -v[4:5]
	v_fmac_f64_e32 v[132:133], v[110:111], v[8:9]
	ds_load_b128 v[108:111], v2 offset:688
	s_wait_loadcnt_dscnt 0xc02
	v_mul_f64_e32 v[134:135], v[120:121], v[74:75]
	v_mul_f64_e32 v[74:75], v[122:123], v[74:75]
	s_wait_loadcnt_dscnt 0xb00
	v_mul_f64_e32 v[8:9], v[108:109], v[78:79]
	v_mul_f64_e32 v[78:79], v[110:111], v[78:79]
	v_add_f64_e32 v[4:5], 0, v[4:5]
	v_fmac_f64_e32 v[134:135], v[122:123], v[72:73]
	v_fma_f64 v[120:121], v[120:121], v[72:73], -v[74:75]
	v_add_f64_e32 v[122:123], 0, v[132:133]
	scratch_load_b128 v[72:75], off, off offset:400
	v_fmac_f64_e32 v[8:9], v[110:111], v[76:77]
	v_fma_f64 v[136:137], v[108:109], v[76:77], -v[78:79]
	ds_load_b128 v[76:79], v2 offset:720
	s_wait_loadcnt 0xb
	v_mul_f64_e32 v[132:133], v[128:129], v[82:83]
	v_mul_f64_e32 v[82:83], v[130:131], v[82:83]
	scratch_load_b128 v[108:111], off, off offset:416
	v_add_f64_e32 v[4:5], v[4:5], v[120:121]
	v_add_f64_e32 v[134:135], v[122:123], v[134:135]
	ds_load_b128 v[120:123], v2 offset:736
	s_wait_loadcnt_dscnt 0xb01
	v_mul_f64_e32 v[138:139], v[76:77], v[86:87]
	v_mul_f64_e32 v[86:87], v[78:79], v[86:87]
	v_fmac_f64_e32 v[132:133], v[130:131], v[80:81]
	v_fma_f64 v[128:129], v[128:129], v[80:81], -v[82:83]
	scratch_load_b128 v[80:83], off, off offset:432
	v_add_f64_e32 v[4:5], v[4:5], v[136:137]
	v_add_f64_e32 v[8:9], v[134:135], v[8:9]
	v_fmac_f64_e32 v[138:139], v[78:79], v[84:85]
	v_fma_f64 v[136:137], v[76:77], v[84:85], -v[86:87]
	ds_load_b128 v[76:79], v2 offset:752
	s_wait_loadcnt_dscnt 0xb01
	v_mul_f64_e32 v[134:135], v[120:121], v[90:91]
	v_mul_f64_e32 v[90:91], v[122:123], v[90:91]
	scratch_load_b128 v[84:87], off, off offset:448
	v_add_f64_e32 v[4:5], v[4:5], v[128:129]
	v_add_f64_e32 v[8:9], v[8:9], v[132:133]
	s_wait_loadcnt_dscnt 0xb00
	v_mul_f64_e32 v[132:133], v[76:77], v[94:95]
	v_mul_f64_e32 v[94:95], v[78:79], v[94:95]
	ds_load_b128 v[128:131], v2 offset:768
	v_fmac_f64_e32 v[134:135], v[122:123], v[88:89]
	v_fma_f64 v[88:89], v[120:121], v[88:89], -v[90:91]
	s_wait_loadcnt_dscnt 0xa00
	v_mul_f64_e32 v[120:121], v[128:129], v[98:99]
	v_mul_f64_e32 v[98:99], v[130:131], v[98:99]
	v_add_f64_e32 v[4:5], v[4:5], v[136:137]
	v_add_f64_e32 v[8:9], v[8:9], v[138:139]
	v_fmac_f64_e32 v[132:133], v[78:79], v[92:93]
	v_fma_f64 v[92:93], v[76:77], v[92:93], -v[94:95]
	v_fmac_f64_e32 v[120:121], v[130:131], v[96:97]
	v_fma_f64 v[96:97], v[128:129], v[96:97], -v[98:99]
	v_add_f64_e32 v[4:5], v[4:5], v[88:89]
	v_add_f64_e32 v[8:9], v[8:9], v[134:135]
	ds_load_b128 v[76:79], v2 offset:784
	ds_load_b128 v[88:91], v2 offset:800
	s_wait_loadcnt_dscnt 0x901
	v_mul_f64_e32 v[122:123], v[76:77], v[102:103]
	v_mul_f64_e32 v[94:95], v[78:79], v[102:103]
	s_wait_loadcnt_dscnt 0x800
	v_mul_f64_e32 v[98:99], v[88:89], v[106:107]
	v_mul_f64_e32 v[102:103], v[90:91], v[106:107]
	v_add_f64_e32 v[4:5], v[4:5], v[92:93]
	v_add_f64_e32 v[8:9], v[8:9], v[132:133]
	v_fmac_f64_e32 v[122:123], v[78:79], v[100:101]
	v_fma_f64 v[100:101], v[76:77], v[100:101], -v[94:95]
	ds_load_b128 v[76:79], v2 offset:816
	ds_load_b128 v[92:95], v2 offset:832
	v_fmac_f64_e32 v[98:99], v[90:91], v[104:105]
	v_fma_f64 v[88:89], v[88:89], v[104:105], -v[102:103]
	v_add_f64_e32 v[4:5], v[4:5], v[96:97]
	v_add_f64_e32 v[8:9], v[8:9], v[120:121]
	s_wait_loadcnt_dscnt 0x701
	v_mul_f64_e32 v[96:97], v[76:77], v[114:115]
	v_mul_f64_e32 v[106:107], v[78:79], v[114:115]
	s_delay_alu instid0(VALU_DEP_4) | instskip(NEXT) | instid1(VALU_DEP_4)
	v_add_f64_e32 v[4:5], v[4:5], v[100:101]
	v_add_f64_e32 v[8:9], v[8:9], v[122:123]
	s_wait_loadcnt_dscnt 0x400
	v_mul_f64_e32 v[100:101], v[92:93], v[12:13]
	v_mul_f64_e32 v[12:13], v[94:95], v[12:13]
	v_fmac_f64_e32 v[96:97], v[78:79], v[112:113]
	v_fma_f64 v[102:103], v[76:77], v[112:113], -v[106:107]
	v_add_f64_e32 v[4:5], v[4:5], v[88:89]
	v_add_f64_e32 v[8:9], v[8:9], v[98:99]
	ds_load_b128 v[76:79], v2 offset:848
	ds_load_b128 v[88:91], v2 offset:864
	v_fmac_f64_e32 v[100:101], v[94:95], v[10:11]
	v_fma_f64 v[10:11], v[92:93], v[10:11], -v[12:13]
	s_wait_dscnt 0x1
	v_mul_f64_e32 v[98:99], v[76:77], v[126:127]
	v_mul_f64_e32 v[104:105], v[78:79], v[126:127]
	v_add_f64_e32 v[4:5], v[4:5], v[102:103]
	v_add_f64_e32 v[8:9], v[8:9], v[96:97]
	s_wait_loadcnt_dscnt 0x300
	v_mul_f64_e32 v[12:13], v[88:89], v[74:75]
	v_mul_f64_e32 v[92:93], v[90:91], v[74:75]
	v_fmac_f64_e32 v[98:99], v[78:79], v[124:125]
	v_fma_f64 v[78:79], v[76:77], v[124:125], -v[104:105]
	v_add_f64_e32 v[4:5], v[4:5], v[10:11]
	v_add_f64_e32 v[94:95], v[8:9], v[100:101]
	ds_load_b128 v[8:11], v2 offset:880
	ds_load_b128 v[74:77], v2 offset:896
	v_fmac_f64_e32 v[12:13], v[90:91], v[72:73]
	v_fma_f64 v[72:73], v[88:89], v[72:73], -v[92:93]
	s_wait_loadcnt_dscnt 0x201
	v_mul_f64_e32 v[96:97], v[8:9], v[110:111]
	v_mul_f64_e32 v[100:101], v[10:11], v[110:111]
	s_wait_loadcnt_dscnt 0x100
	v_mul_f64_e32 v[88:89], v[74:75], v[82:83]
	v_mul_f64_e32 v[82:83], v[76:77], v[82:83]
	v_add_f64_e32 v[4:5], v[4:5], v[78:79]
	v_add_f64_e32 v[78:79], v[94:95], v[98:99]
	v_fmac_f64_e32 v[96:97], v[10:11], v[108:109]
	v_fma_f64 v[90:91], v[8:9], v[108:109], -v[100:101]
	ds_load_b128 v[8:11], v2 offset:912
	v_fmac_f64_e32 v[88:89], v[76:77], v[80:81]
	v_fma_f64 v[74:75], v[74:75], v[80:81], -v[82:83]
	v_add_f64_e32 v[4:5], v[4:5], v[72:73]
	v_add_f64_e32 v[12:13], v[78:79], v[12:13]
	s_wait_loadcnt_dscnt 0x0
	v_mul_f64_e32 v[72:73], v[8:9], v[86:87]
	v_mul_f64_e32 v[78:79], v[10:11], v[86:87]
	s_delay_alu instid0(VALU_DEP_4) | instskip(NEXT) | instid1(VALU_DEP_4)
	v_add_f64_e32 v[4:5], v[4:5], v[90:91]
	v_add_f64_e32 v[12:13], v[12:13], v[96:97]
	s_delay_alu instid0(VALU_DEP_4) | instskip(NEXT) | instid1(VALU_DEP_4)
	v_fmac_f64_e32 v[72:73], v[10:11], v[84:85]
	v_fma_f64 v[8:9], v[8:9], v[84:85], -v[78:79]
	s_delay_alu instid0(VALU_DEP_4) | instskip(NEXT) | instid1(VALU_DEP_4)
	v_add_f64_e32 v[4:5], v[4:5], v[74:75]
	v_add_f64_e32 v[10:11], v[12:13], v[88:89]
	s_delay_alu instid0(VALU_DEP_2) | instskip(NEXT) | instid1(VALU_DEP_2)
	v_add_f64_e32 v[4:5], v[4:5], v[8:9]
	v_add_f64_e32 v[10:11], v[10:11], v[72:73]
	s_delay_alu instid0(VALU_DEP_2) | instskip(NEXT) | instid1(VALU_DEP_2)
	v_add_f64_e64 v[8:9], v[116:117], -v[4:5]
	v_add_f64_e64 v[10:11], v[118:119], -v[10:11]
	scratch_store_b128 off, v[8:11], off offset:176
	s_wait_xcnt 0x0
	v_cmpx_lt_u32_e32 10, v1
	s_cbranch_execz .LBB28_167
; %bb.166:
	scratch_load_b128 v[8:11], off, s33
	v_dual_mov_b32 v3, v2 :: v_dual_mov_b32 v4, v2
	v_mov_b32_e32 v5, v2
	scratch_store_b128 off, v[2:5], off offset:160
	s_wait_loadcnt 0x0
	ds_store_b128 v6, v[8:11]
.LBB28_167:
	s_wait_xcnt 0x0
	s_or_b32 exec_lo, exec_lo, s2
	s_wait_storecnt_dscnt 0x0
	s_barrier_signal -1
	s_barrier_wait -1
	s_clause 0x9
	scratch_load_b128 v[8:11], off, off offset:176
	scratch_load_b128 v[72:75], off, off offset:192
	;; [unrolled: 1-line block ×10, first 2 shown]
	ds_load_b128 v[108:111], v2 offset:640
	ds_load_b128 v[116:119], v2 offset:656
	s_clause 0x1
	scratch_load_b128 v[112:115], off, off offset:336
	scratch_load_b128 v[120:123], off, off offset:160
	s_mov_b32 s2, exec_lo
	s_wait_loadcnt_dscnt 0xb01
	v_mul_f64_e32 v[4:5], v[110:111], v[10:11]
	v_mul_f64_e32 v[132:133], v[108:109], v[10:11]
	scratch_load_b128 v[10:13], off, off offset:352
	s_wait_loadcnt_dscnt 0xb00
	v_mul_f64_e32 v[134:135], v[116:117], v[74:75]
	v_mul_f64_e32 v[74:75], v[118:119], v[74:75]
	v_fma_f64 v[4:5], v[108:109], v[8:9], -v[4:5]
	v_fmac_f64_e32 v[132:133], v[110:111], v[8:9]
	ds_load_b128 v[108:111], v2 offset:672
	ds_load_b128 v[124:127], v2 offset:688
	scratch_load_b128 v[128:131], off, off offset:368
	v_fmac_f64_e32 v[134:135], v[118:119], v[72:73]
	v_fma_f64 v[116:117], v[116:117], v[72:73], -v[74:75]
	scratch_load_b128 v[72:75], off, off offset:384
	s_wait_loadcnt_dscnt 0xc01
	v_mul_f64_e32 v[8:9], v[108:109], v[78:79]
	v_mul_f64_e32 v[78:79], v[110:111], v[78:79]
	v_add_f64_e32 v[4:5], 0, v[4:5]
	v_add_f64_e32 v[118:119], 0, v[132:133]
	s_wait_loadcnt_dscnt 0xb00
	v_mul_f64_e32 v[132:133], v[124:125], v[82:83]
	v_mul_f64_e32 v[82:83], v[126:127], v[82:83]
	v_fmac_f64_e32 v[8:9], v[110:111], v[76:77]
	v_fma_f64 v[136:137], v[108:109], v[76:77], -v[78:79]
	ds_load_b128 v[76:79], v2 offset:704
	ds_load_b128 v[108:111], v2 offset:720
	v_add_f64_e32 v[4:5], v[4:5], v[116:117]
	v_add_f64_e32 v[134:135], v[118:119], v[134:135]
	scratch_load_b128 v[116:119], off, off offset:400
	v_fmac_f64_e32 v[132:133], v[126:127], v[80:81]
	v_fma_f64 v[124:125], v[124:125], v[80:81], -v[82:83]
	scratch_load_b128 v[80:83], off, off offset:416
	s_wait_loadcnt_dscnt 0xc01
	v_mul_f64_e32 v[138:139], v[76:77], v[86:87]
	v_mul_f64_e32 v[86:87], v[78:79], v[86:87]
	v_add_f64_e32 v[4:5], v[4:5], v[136:137]
	v_add_f64_e32 v[8:9], v[134:135], v[8:9]
	s_wait_loadcnt_dscnt 0xb00
	v_mul_f64_e32 v[134:135], v[108:109], v[90:91]
	v_mul_f64_e32 v[90:91], v[110:111], v[90:91]
	v_fmac_f64_e32 v[138:139], v[78:79], v[84:85]
	v_fma_f64 v[136:137], v[76:77], v[84:85], -v[86:87]
	ds_load_b128 v[76:79], v2 offset:736
	ds_load_b128 v[84:87], v2 offset:752
	v_add_f64_e32 v[4:5], v[4:5], v[124:125]
	v_add_f64_e32 v[8:9], v[8:9], v[132:133]
	scratch_load_b128 v[124:127], off, off offset:432
	s_wait_loadcnt_dscnt 0xb01
	v_mul_f64_e32 v[132:133], v[76:77], v[94:95]
	v_mul_f64_e32 v[94:95], v[78:79], v[94:95]
	v_fmac_f64_e32 v[134:135], v[110:111], v[88:89]
	v_fma_f64 v[108:109], v[108:109], v[88:89], -v[90:91]
	scratch_load_b128 v[88:91], off, off offset:448
	s_wait_loadcnt_dscnt 0xb00
	v_mul_f64_e32 v[110:111], v[84:85], v[98:99]
	v_mul_f64_e32 v[98:99], v[86:87], v[98:99]
	v_add_f64_e32 v[4:5], v[4:5], v[136:137]
	v_add_f64_e32 v[8:9], v[8:9], v[138:139]
	v_fmac_f64_e32 v[132:133], v[78:79], v[92:93]
	v_fma_f64 v[136:137], v[76:77], v[92:93], -v[94:95]
	ds_load_b128 v[76:79], v2 offset:768
	ds_load_b128 v[92:95], v2 offset:784
	v_fmac_f64_e32 v[110:111], v[86:87], v[96:97]
	v_fma_f64 v[84:85], v[84:85], v[96:97], -v[98:99]
	s_wait_loadcnt_dscnt 0x900
	v_mul_f64_e32 v[96:97], v[92:93], v[106:107]
	v_mul_f64_e32 v[98:99], v[94:95], v[106:107]
	v_add_f64_e32 v[4:5], v[4:5], v[108:109]
	v_add_f64_e32 v[8:9], v[8:9], v[134:135]
	v_mul_f64_e32 v[108:109], v[76:77], v[102:103]
	v_mul_f64_e32 v[102:103], v[78:79], v[102:103]
	v_fmac_f64_e32 v[96:97], v[94:95], v[104:105]
	v_fma_f64 v[92:93], v[92:93], v[104:105], -v[98:99]
	v_add_f64_e32 v[4:5], v[4:5], v[136:137]
	v_add_f64_e32 v[8:9], v[8:9], v[132:133]
	v_fmac_f64_e32 v[108:109], v[78:79], v[100:101]
	v_fma_f64 v[100:101], v[76:77], v[100:101], -v[102:103]
	s_delay_alu instid0(VALU_DEP_4) | instskip(NEXT) | instid1(VALU_DEP_4)
	v_add_f64_e32 v[4:5], v[4:5], v[84:85]
	v_add_f64_e32 v[8:9], v[8:9], v[110:111]
	ds_load_b128 v[76:79], v2 offset:800
	ds_load_b128 v[84:87], v2 offset:816
	s_wait_loadcnt_dscnt 0x801
	v_mul_f64_e32 v[102:103], v[76:77], v[114:115]
	v_mul_f64_e32 v[106:107], v[78:79], v[114:115]
	v_add_f64_e32 v[4:5], v[4:5], v[100:101]
	v_add_f64_e32 v[8:9], v[8:9], v[108:109]
	s_wait_loadcnt_dscnt 0x600
	v_mul_f64_e32 v[98:99], v[84:85], v[12:13]
	v_mul_f64_e32 v[12:13], v[86:87], v[12:13]
	v_fmac_f64_e32 v[102:103], v[78:79], v[112:113]
	v_fma_f64 v[100:101], v[76:77], v[112:113], -v[106:107]
	v_add_f64_e32 v[4:5], v[4:5], v[92:93]
	v_add_f64_e32 v[8:9], v[8:9], v[96:97]
	ds_load_b128 v[76:79], v2 offset:832
	ds_load_b128 v[92:95], v2 offset:848
	v_fmac_f64_e32 v[98:99], v[86:87], v[10:11]
	v_fma_f64 v[10:11], v[84:85], v[10:11], -v[12:13]
	s_wait_loadcnt_dscnt 0x501
	v_mul_f64_e32 v[96:97], v[76:77], v[130:131]
	v_mul_f64_e32 v[104:105], v[78:79], v[130:131]
	s_wait_loadcnt_dscnt 0x400
	v_mul_f64_e32 v[12:13], v[92:93], v[74:75]
	v_mul_f64_e32 v[84:85], v[94:95], v[74:75]
	v_add_f64_e32 v[4:5], v[4:5], v[100:101]
	v_add_f64_e32 v[8:9], v[8:9], v[102:103]
	v_fmac_f64_e32 v[96:97], v[78:79], v[128:129]
	v_fma_f64 v[78:79], v[76:77], v[128:129], -v[104:105]
	v_fmac_f64_e32 v[12:13], v[94:95], v[72:73]
	v_fma_f64 v[72:73], v[92:93], v[72:73], -v[84:85]
	v_add_f64_e32 v[4:5], v[4:5], v[10:11]
	v_add_f64_e32 v[86:87], v[8:9], v[98:99]
	ds_load_b128 v[8:11], v2 offset:864
	ds_load_b128 v[74:77], v2 offset:880
	s_wait_loadcnt_dscnt 0x301
	v_mul_f64_e32 v[98:99], v[8:9], v[118:119]
	v_mul_f64_e32 v[100:101], v[10:11], v[118:119]
	s_wait_loadcnt_dscnt 0x200
	v_mul_f64_e32 v[84:85], v[74:75], v[82:83]
	v_mul_f64_e32 v[82:83], v[76:77], v[82:83]
	v_add_f64_e32 v[4:5], v[4:5], v[78:79]
	v_add_f64_e32 v[78:79], v[86:87], v[96:97]
	v_fmac_f64_e32 v[98:99], v[10:11], v[116:117]
	v_fma_f64 v[86:87], v[8:9], v[116:117], -v[100:101]
	v_fmac_f64_e32 v[84:85], v[76:77], v[80:81]
	v_fma_f64 v[74:75], v[74:75], v[80:81], -v[82:83]
	v_add_f64_e32 v[72:73], v[4:5], v[72:73]
	v_add_f64_e32 v[12:13], v[78:79], v[12:13]
	ds_load_b128 v[8:11], v2 offset:896
	ds_load_b128 v[2:5], v2 offset:912
	s_wait_loadcnt_dscnt 0x101
	v_mul_f64_e32 v[78:79], v[8:9], v[126:127]
	v_mul_f64_e32 v[92:93], v[10:11], v[126:127]
	s_wait_loadcnt_dscnt 0x0
	v_mul_f64_e32 v[76:77], v[2:3], v[90:91]
	v_mul_f64_e32 v[80:81], v[4:5], v[90:91]
	v_add_f64_e32 v[72:73], v[72:73], v[86:87]
	v_add_f64_e32 v[12:13], v[12:13], v[98:99]
	v_fmac_f64_e32 v[78:79], v[10:11], v[124:125]
	v_fma_f64 v[8:9], v[8:9], v[124:125], -v[92:93]
	v_fmac_f64_e32 v[76:77], v[4:5], v[88:89]
	v_fma_f64 v[2:3], v[2:3], v[88:89], -v[80:81]
	v_add_f64_e32 v[10:11], v[72:73], v[74:75]
	v_add_f64_e32 v[12:13], v[12:13], v[84:85]
	s_delay_alu instid0(VALU_DEP_2) | instskip(NEXT) | instid1(VALU_DEP_2)
	v_add_f64_e32 v[4:5], v[10:11], v[8:9]
	v_add_f64_e32 v[8:9], v[12:13], v[78:79]
	s_delay_alu instid0(VALU_DEP_2) | instskip(NEXT) | instid1(VALU_DEP_2)
	;; [unrolled: 3-line block ×3, first 2 shown]
	v_add_f64_e64 v[2:3], v[120:121], -v[2:3]
	v_add_f64_e64 v[4:5], v[122:123], -v[4:5]
	scratch_store_b128 off, v[2:5], off offset:160
	s_wait_xcnt 0x0
	v_cmpx_lt_u32_e32 9, v1
	s_cbranch_execz .LBB28_169
; %bb.168:
	scratch_load_b128 v[2:5], off, s30
	v_mov_b32_e32 v8, 0
	s_delay_alu instid0(VALU_DEP_1)
	v_dual_mov_b32 v9, v8 :: v_dual_mov_b32 v10, v8
	v_mov_b32_e32 v11, v8
	scratch_store_b128 off, v[8:11], off offset:144
	s_wait_loadcnt 0x0
	ds_store_b128 v6, v[2:5]
.LBB28_169:
	s_wait_xcnt 0x0
	s_or_b32 exec_lo, exec_lo, s2
	s_wait_storecnt_dscnt 0x0
	s_barrier_signal -1
	s_barrier_wait -1
	s_clause 0x9
	scratch_load_b128 v[8:11], off, off offset:160
	scratch_load_b128 v[72:75], off, off offset:176
	;; [unrolled: 1-line block ×10, first 2 shown]
	v_mov_b32_e32 v2, 0
	s_mov_b32 s2, exec_lo
	ds_load_b128 v[108:111], v2 offset:624
	s_clause 0x2
	scratch_load_b128 v[112:115], off, off offset:320
	scratch_load_b128 v[116:119], off, off offset:144
	;; [unrolled: 1-line block ×3, first 2 shown]
	s_wait_loadcnt_dscnt 0xc00
	v_mul_f64_e32 v[4:5], v[110:111], v[10:11]
	v_mul_f64_e32 v[132:133], v[108:109], v[10:11]
	ds_load_b128 v[120:123], v2 offset:640
	scratch_load_b128 v[10:13], off, off offset:336
	ds_load_b128 v[128:131], v2 offset:672
	v_fma_f64 v[4:5], v[108:109], v[8:9], -v[4:5]
	v_fmac_f64_e32 v[132:133], v[110:111], v[8:9]
	ds_load_b128 v[108:111], v2 offset:656
	s_wait_loadcnt_dscnt 0xc02
	v_mul_f64_e32 v[134:135], v[120:121], v[74:75]
	v_mul_f64_e32 v[74:75], v[122:123], v[74:75]
	s_wait_loadcnt_dscnt 0xb00
	v_mul_f64_e32 v[8:9], v[108:109], v[78:79]
	v_mul_f64_e32 v[78:79], v[110:111], v[78:79]
	v_add_f64_e32 v[4:5], 0, v[4:5]
	v_fmac_f64_e32 v[134:135], v[122:123], v[72:73]
	v_fma_f64 v[120:121], v[120:121], v[72:73], -v[74:75]
	v_add_f64_e32 v[122:123], 0, v[132:133]
	scratch_load_b128 v[72:75], off, off offset:368
	v_fmac_f64_e32 v[8:9], v[110:111], v[76:77]
	v_fma_f64 v[136:137], v[108:109], v[76:77], -v[78:79]
	ds_load_b128 v[76:79], v2 offset:688
	s_wait_loadcnt 0xb
	v_mul_f64_e32 v[132:133], v[128:129], v[82:83]
	v_mul_f64_e32 v[82:83], v[130:131], v[82:83]
	scratch_load_b128 v[108:111], off, off offset:384
	v_add_f64_e32 v[4:5], v[4:5], v[120:121]
	v_add_f64_e32 v[134:135], v[122:123], v[134:135]
	ds_load_b128 v[120:123], v2 offset:704
	s_wait_loadcnt_dscnt 0xb01
	v_mul_f64_e32 v[138:139], v[76:77], v[86:87]
	v_mul_f64_e32 v[86:87], v[78:79], v[86:87]
	v_fmac_f64_e32 v[132:133], v[130:131], v[80:81]
	v_fma_f64 v[128:129], v[128:129], v[80:81], -v[82:83]
	scratch_load_b128 v[80:83], off, off offset:400
	v_add_f64_e32 v[4:5], v[4:5], v[136:137]
	v_add_f64_e32 v[8:9], v[134:135], v[8:9]
	v_fmac_f64_e32 v[138:139], v[78:79], v[84:85]
	v_fma_f64 v[136:137], v[76:77], v[84:85], -v[86:87]
	ds_load_b128 v[76:79], v2 offset:720
	s_wait_loadcnt_dscnt 0xb01
	v_mul_f64_e32 v[134:135], v[120:121], v[90:91]
	v_mul_f64_e32 v[90:91], v[122:123], v[90:91]
	scratch_load_b128 v[84:87], off, off offset:416
	v_add_f64_e32 v[4:5], v[4:5], v[128:129]
	v_add_f64_e32 v[8:9], v[8:9], v[132:133]
	s_wait_loadcnt_dscnt 0xb00
	v_mul_f64_e32 v[132:133], v[76:77], v[94:95]
	v_mul_f64_e32 v[94:95], v[78:79], v[94:95]
	ds_load_b128 v[128:131], v2 offset:736
	v_fmac_f64_e32 v[134:135], v[122:123], v[88:89]
	v_fma_f64 v[120:121], v[120:121], v[88:89], -v[90:91]
	scratch_load_b128 v[88:91], off, off offset:432
	v_add_f64_e32 v[4:5], v[4:5], v[136:137]
	v_add_f64_e32 v[8:9], v[8:9], v[138:139]
	v_fmac_f64_e32 v[132:133], v[78:79], v[92:93]
	v_fma_f64 v[138:139], v[76:77], v[92:93], -v[94:95]
	ds_load_b128 v[76:79], v2 offset:752
	s_wait_loadcnt_dscnt 0xb01
	v_mul_f64_e32 v[136:137], v[128:129], v[98:99]
	v_mul_f64_e32 v[98:99], v[130:131], v[98:99]
	scratch_load_b128 v[92:95], off, off offset:448
	v_add_f64_e32 v[4:5], v[4:5], v[120:121]
	v_add_f64_e32 v[8:9], v[8:9], v[134:135]
	s_wait_loadcnt_dscnt 0xb00
	v_mul_f64_e32 v[134:135], v[76:77], v[102:103]
	v_mul_f64_e32 v[102:103], v[78:79], v[102:103]
	ds_load_b128 v[120:123], v2 offset:768
	v_fmac_f64_e32 v[136:137], v[130:131], v[96:97]
	v_fma_f64 v[96:97], v[128:129], v[96:97], -v[98:99]
	s_wait_loadcnt_dscnt 0xa00
	v_mul_f64_e32 v[128:129], v[120:121], v[106:107]
	v_mul_f64_e32 v[106:107], v[122:123], v[106:107]
	v_add_f64_e32 v[4:5], v[4:5], v[138:139]
	v_add_f64_e32 v[8:9], v[8:9], v[132:133]
	v_fmac_f64_e32 v[134:135], v[78:79], v[100:101]
	v_fma_f64 v[100:101], v[76:77], v[100:101], -v[102:103]
	v_fmac_f64_e32 v[128:129], v[122:123], v[104:105]
	v_fma_f64 v[104:105], v[120:121], v[104:105], -v[106:107]
	v_add_f64_e32 v[4:5], v[4:5], v[96:97]
	v_add_f64_e32 v[8:9], v[8:9], v[136:137]
	ds_load_b128 v[76:79], v2 offset:784
	ds_load_b128 v[96:99], v2 offset:800
	s_wait_loadcnt_dscnt 0x901
	v_mul_f64_e32 v[130:131], v[76:77], v[114:115]
	v_mul_f64_e32 v[102:103], v[78:79], v[114:115]
	s_wait_loadcnt_dscnt 0x600
	v_mul_f64_e32 v[106:107], v[96:97], v[12:13]
	v_add_f64_e32 v[4:5], v[4:5], v[100:101]
	v_add_f64_e32 v[8:9], v[8:9], v[134:135]
	v_mul_f64_e32 v[12:13], v[98:99], v[12:13]
	v_fmac_f64_e32 v[130:131], v[78:79], v[112:113]
	v_fma_f64 v[112:113], v[76:77], v[112:113], -v[102:103]
	ds_load_b128 v[76:79], v2 offset:816
	ds_load_b128 v[100:103], v2 offset:832
	v_fmac_f64_e32 v[106:107], v[98:99], v[10:11]
	v_add_f64_e32 v[4:5], v[4:5], v[104:105]
	v_add_f64_e32 v[8:9], v[8:9], v[128:129]
	v_fma_f64 v[10:11], v[96:97], v[10:11], -v[12:13]
	s_wait_dscnt 0x1
	v_mul_f64_e32 v[104:105], v[76:77], v[126:127]
	v_mul_f64_e32 v[114:115], v[78:79], v[126:127]
	v_add_f64_e32 v[4:5], v[4:5], v[112:113]
	v_add_f64_e32 v[8:9], v[8:9], v[130:131]
	s_wait_loadcnt_dscnt 0x500
	v_mul_f64_e32 v[12:13], v[100:101], v[74:75]
	v_mul_f64_e32 v[96:97], v[102:103], v[74:75]
	v_fmac_f64_e32 v[104:105], v[78:79], v[124:125]
	v_fma_f64 v[78:79], v[76:77], v[124:125], -v[114:115]
	v_add_f64_e32 v[4:5], v[4:5], v[10:11]
	v_add_f64_e32 v[98:99], v[8:9], v[106:107]
	ds_load_b128 v[8:11], v2 offset:848
	ds_load_b128 v[74:77], v2 offset:864
	v_fmac_f64_e32 v[12:13], v[102:103], v[72:73]
	v_fma_f64 v[72:73], v[100:101], v[72:73], -v[96:97]
	s_wait_loadcnt_dscnt 0x401
	v_mul_f64_e32 v[106:107], v[8:9], v[110:111]
	v_mul_f64_e32 v[110:111], v[10:11], v[110:111]
	s_wait_loadcnt_dscnt 0x300
	v_mul_f64_e32 v[100:101], v[74:75], v[82:83]
	v_mul_f64_e32 v[82:83], v[76:77], v[82:83]
	v_add_f64_e32 v[4:5], v[4:5], v[78:79]
	v_add_f64_e32 v[78:79], v[98:99], v[104:105]
	v_fmac_f64_e32 v[106:107], v[10:11], v[108:109]
	v_fma_f64 v[102:103], v[8:9], v[108:109], -v[110:111]
	ds_load_b128 v[8:11], v2 offset:880
	ds_load_b128 v[96:99], v2 offset:896
	v_fmac_f64_e32 v[100:101], v[76:77], v[80:81]
	v_fma_f64 v[74:75], v[74:75], v[80:81], -v[82:83]
	v_add_f64_e32 v[4:5], v[4:5], v[72:73]
	v_add_f64_e32 v[12:13], v[78:79], v[12:13]
	s_wait_loadcnt_dscnt 0x201
	v_mul_f64_e32 v[72:73], v[8:9], v[86:87]
	v_mul_f64_e32 v[78:79], v[10:11], v[86:87]
	s_wait_loadcnt_dscnt 0x100
	v_mul_f64_e32 v[76:77], v[96:97], v[90:91]
	v_mul_f64_e32 v[80:81], v[98:99], v[90:91]
	v_add_f64_e32 v[4:5], v[4:5], v[102:103]
	v_add_f64_e32 v[12:13], v[12:13], v[106:107]
	v_fmac_f64_e32 v[72:73], v[10:11], v[84:85]
	v_fma_f64 v[78:79], v[8:9], v[84:85], -v[78:79]
	ds_load_b128 v[8:11], v2 offset:912
	v_fmac_f64_e32 v[76:77], v[98:99], v[88:89]
	v_fma_f64 v[80:81], v[96:97], v[88:89], -v[80:81]
	s_wait_loadcnt_dscnt 0x0
	v_mul_f64_e32 v[82:83], v[10:11], v[94:95]
	v_add_f64_e32 v[4:5], v[4:5], v[74:75]
	v_add_f64_e32 v[12:13], v[12:13], v[100:101]
	v_mul_f64_e32 v[74:75], v[8:9], v[94:95]
	s_delay_alu instid0(VALU_DEP_4) | instskip(NEXT) | instid1(VALU_DEP_4)
	v_fma_f64 v[8:9], v[8:9], v[92:93], -v[82:83]
	v_add_f64_e32 v[4:5], v[4:5], v[78:79]
	s_delay_alu instid0(VALU_DEP_4) | instskip(NEXT) | instid1(VALU_DEP_4)
	v_add_f64_e32 v[12:13], v[12:13], v[72:73]
	v_fmac_f64_e32 v[74:75], v[10:11], v[92:93]
	s_delay_alu instid0(VALU_DEP_3) | instskip(NEXT) | instid1(VALU_DEP_3)
	v_add_f64_e32 v[4:5], v[4:5], v[80:81]
	v_add_f64_e32 v[10:11], v[12:13], v[76:77]
	s_delay_alu instid0(VALU_DEP_2) | instskip(NEXT) | instid1(VALU_DEP_2)
	v_add_f64_e32 v[4:5], v[4:5], v[8:9]
	v_add_f64_e32 v[10:11], v[10:11], v[74:75]
	s_delay_alu instid0(VALU_DEP_2) | instskip(NEXT) | instid1(VALU_DEP_2)
	v_add_f64_e64 v[8:9], v[116:117], -v[4:5]
	v_add_f64_e64 v[10:11], v[118:119], -v[10:11]
	scratch_store_b128 off, v[8:11], off offset:144
	s_wait_xcnt 0x0
	v_cmpx_lt_u32_e32 8, v1
	s_cbranch_execz .LBB28_171
; %bb.170:
	scratch_load_b128 v[8:11], off, s27
	v_dual_mov_b32 v3, v2 :: v_dual_mov_b32 v4, v2
	v_mov_b32_e32 v5, v2
	scratch_store_b128 off, v[2:5], off offset:128
	s_wait_loadcnt 0x0
	ds_store_b128 v6, v[8:11]
.LBB28_171:
	s_wait_xcnt 0x0
	s_or_b32 exec_lo, exec_lo, s2
	s_wait_storecnt_dscnt 0x0
	s_barrier_signal -1
	s_barrier_wait -1
	s_clause 0x9
	scratch_load_b128 v[8:11], off, off offset:144
	scratch_load_b128 v[72:75], off, off offset:160
	;; [unrolled: 1-line block ×10, first 2 shown]
	ds_load_b128 v[108:111], v2 offset:608
	ds_load_b128 v[116:119], v2 offset:624
	s_clause 0x1
	scratch_load_b128 v[112:115], off, off offset:304
	scratch_load_b128 v[120:123], off, off offset:128
	s_mov_b32 s2, exec_lo
	s_wait_loadcnt_dscnt 0xb01
	v_mul_f64_e32 v[4:5], v[110:111], v[10:11]
	v_mul_f64_e32 v[132:133], v[108:109], v[10:11]
	scratch_load_b128 v[10:13], off, off offset:320
	s_wait_loadcnt_dscnt 0xb00
	v_mul_f64_e32 v[134:135], v[116:117], v[74:75]
	v_mul_f64_e32 v[74:75], v[118:119], v[74:75]
	v_fma_f64 v[4:5], v[108:109], v[8:9], -v[4:5]
	v_fmac_f64_e32 v[132:133], v[110:111], v[8:9]
	ds_load_b128 v[108:111], v2 offset:640
	ds_load_b128 v[124:127], v2 offset:656
	scratch_load_b128 v[128:131], off, off offset:336
	v_fmac_f64_e32 v[134:135], v[118:119], v[72:73]
	v_fma_f64 v[116:117], v[116:117], v[72:73], -v[74:75]
	scratch_load_b128 v[72:75], off, off offset:352
	s_wait_loadcnt_dscnt 0xc01
	v_mul_f64_e32 v[8:9], v[108:109], v[78:79]
	v_mul_f64_e32 v[78:79], v[110:111], v[78:79]
	v_add_f64_e32 v[4:5], 0, v[4:5]
	v_add_f64_e32 v[118:119], 0, v[132:133]
	s_wait_loadcnt_dscnt 0xb00
	v_mul_f64_e32 v[132:133], v[124:125], v[82:83]
	v_mul_f64_e32 v[82:83], v[126:127], v[82:83]
	v_fmac_f64_e32 v[8:9], v[110:111], v[76:77]
	v_fma_f64 v[136:137], v[108:109], v[76:77], -v[78:79]
	ds_load_b128 v[76:79], v2 offset:672
	ds_load_b128 v[108:111], v2 offset:688
	v_add_f64_e32 v[4:5], v[4:5], v[116:117]
	v_add_f64_e32 v[134:135], v[118:119], v[134:135]
	scratch_load_b128 v[116:119], off, off offset:368
	v_fmac_f64_e32 v[132:133], v[126:127], v[80:81]
	v_fma_f64 v[124:125], v[124:125], v[80:81], -v[82:83]
	scratch_load_b128 v[80:83], off, off offset:384
	s_wait_loadcnt_dscnt 0xc01
	v_mul_f64_e32 v[138:139], v[76:77], v[86:87]
	v_mul_f64_e32 v[86:87], v[78:79], v[86:87]
	v_add_f64_e32 v[4:5], v[4:5], v[136:137]
	v_add_f64_e32 v[8:9], v[134:135], v[8:9]
	s_wait_loadcnt_dscnt 0xb00
	v_mul_f64_e32 v[134:135], v[108:109], v[90:91]
	v_mul_f64_e32 v[90:91], v[110:111], v[90:91]
	v_fmac_f64_e32 v[138:139], v[78:79], v[84:85]
	v_fma_f64 v[136:137], v[76:77], v[84:85], -v[86:87]
	ds_load_b128 v[76:79], v2 offset:704
	ds_load_b128 v[84:87], v2 offset:720
	v_add_f64_e32 v[4:5], v[4:5], v[124:125]
	v_add_f64_e32 v[8:9], v[8:9], v[132:133]
	scratch_load_b128 v[124:127], off, off offset:400
	s_wait_loadcnt_dscnt 0xb01
	v_mul_f64_e32 v[132:133], v[76:77], v[94:95]
	v_mul_f64_e32 v[94:95], v[78:79], v[94:95]
	v_fmac_f64_e32 v[134:135], v[110:111], v[88:89]
	v_fma_f64 v[108:109], v[108:109], v[88:89], -v[90:91]
	scratch_load_b128 v[88:91], off, off offset:416
	v_add_f64_e32 v[4:5], v[4:5], v[136:137]
	v_add_f64_e32 v[8:9], v[8:9], v[138:139]
	s_wait_loadcnt_dscnt 0xb00
	v_mul_f64_e32 v[136:137], v[84:85], v[98:99]
	v_mul_f64_e32 v[98:99], v[86:87], v[98:99]
	v_fmac_f64_e32 v[132:133], v[78:79], v[92:93]
	v_fma_f64 v[138:139], v[76:77], v[92:93], -v[94:95]
	ds_load_b128 v[76:79], v2 offset:736
	ds_load_b128 v[92:95], v2 offset:752
	v_add_f64_e32 v[4:5], v[4:5], v[108:109]
	v_add_f64_e32 v[8:9], v[8:9], v[134:135]
	scratch_load_b128 v[108:111], off, off offset:432
	s_wait_loadcnt_dscnt 0xb01
	v_mul_f64_e32 v[134:135], v[76:77], v[102:103]
	v_mul_f64_e32 v[102:103], v[78:79], v[102:103]
	v_fmac_f64_e32 v[136:137], v[86:87], v[96:97]
	v_fma_f64 v[96:97], v[84:85], v[96:97], -v[98:99]
	scratch_load_b128 v[84:87], off, off offset:448
	v_add_f64_e32 v[4:5], v[4:5], v[138:139]
	v_add_f64_e32 v[8:9], v[8:9], v[132:133]
	s_wait_loadcnt_dscnt 0xb00
	v_mul_f64_e32 v[132:133], v[92:93], v[106:107]
	v_mul_f64_e32 v[106:107], v[94:95], v[106:107]
	v_fmac_f64_e32 v[134:135], v[78:79], v[100:101]
	v_fma_f64 v[100:101], v[76:77], v[100:101], -v[102:103]
	v_add_f64_e32 v[4:5], v[4:5], v[96:97]
	v_add_f64_e32 v[8:9], v[8:9], v[136:137]
	ds_load_b128 v[76:79], v2 offset:768
	ds_load_b128 v[96:99], v2 offset:784
	v_fmac_f64_e32 v[132:133], v[94:95], v[104:105]
	v_fma_f64 v[92:93], v[92:93], v[104:105], -v[106:107]
	s_wait_loadcnt_dscnt 0xa01
	v_mul_f64_e32 v[102:103], v[76:77], v[114:115]
	v_mul_f64_e32 v[114:115], v[78:79], v[114:115]
	v_add_f64_e32 v[4:5], v[4:5], v[100:101]
	v_add_f64_e32 v[8:9], v[8:9], v[134:135]
	s_wait_loadcnt_dscnt 0x800
	v_mul_f64_e32 v[100:101], v[96:97], v[12:13]
	v_mul_f64_e32 v[12:13], v[98:99], v[12:13]
	v_fmac_f64_e32 v[102:103], v[78:79], v[112:113]
	v_fma_f64 v[104:105], v[76:77], v[112:113], -v[114:115]
	v_add_f64_e32 v[4:5], v[4:5], v[92:93]
	v_add_f64_e32 v[8:9], v[8:9], v[132:133]
	ds_load_b128 v[76:79], v2 offset:800
	ds_load_b128 v[92:95], v2 offset:816
	v_fmac_f64_e32 v[100:101], v[98:99], v[10:11]
	v_fma_f64 v[10:11], v[96:97], v[10:11], -v[12:13]
	s_wait_loadcnt_dscnt 0x701
	v_mul_f64_e32 v[106:107], v[76:77], v[130:131]
	v_mul_f64_e32 v[112:113], v[78:79], v[130:131]
	s_wait_loadcnt_dscnt 0x600
	v_mul_f64_e32 v[12:13], v[92:93], v[74:75]
	v_mul_f64_e32 v[96:97], v[94:95], v[74:75]
	v_add_f64_e32 v[4:5], v[4:5], v[104:105]
	v_add_f64_e32 v[8:9], v[8:9], v[102:103]
	v_fmac_f64_e32 v[106:107], v[78:79], v[128:129]
	v_fma_f64 v[78:79], v[76:77], v[128:129], -v[112:113]
	v_fmac_f64_e32 v[12:13], v[94:95], v[72:73]
	v_fma_f64 v[72:73], v[92:93], v[72:73], -v[96:97]
	v_add_f64_e32 v[4:5], v[4:5], v[10:11]
	v_add_f64_e32 v[98:99], v[8:9], v[100:101]
	ds_load_b128 v[8:11], v2 offset:832
	ds_load_b128 v[74:77], v2 offset:848
	s_wait_loadcnt_dscnt 0x501
	v_mul_f64_e32 v[100:101], v[8:9], v[118:119]
	v_mul_f64_e32 v[102:103], v[10:11], v[118:119]
	s_wait_loadcnt_dscnt 0x400
	v_mul_f64_e32 v[96:97], v[74:75], v[82:83]
	v_mul_f64_e32 v[82:83], v[76:77], v[82:83]
	v_add_f64_e32 v[4:5], v[4:5], v[78:79]
	v_add_f64_e32 v[78:79], v[98:99], v[106:107]
	v_fmac_f64_e32 v[100:101], v[10:11], v[116:117]
	v_fma_f64 v[98:99], v[8:9], v[116:117], -v[102:103]
	ds_load_b128 v[8:11], v2 offset:864
	ds_load_b128 v[92:95], v2 offset:880
	v_fmac_f64_e32 v[96:97], v[76:77], v[80:81]
	v_fma_f64 v[74:75], v[74:75], v[80:81], -v[82:83]
	v_add_f64_e32 v[4:5], v[4:5], v[72:73]
	v_add_f64_e32 v[12:13], v[78:79], v[12:13]
	s_wait_loadcnt_dscnt 0x301
	v_mul_f64_e32 v[72:73], v[8:9], v[126:127]
	v_mul_f64_e32 v[78:79], v[10:11], v[126:127]
	s_wait_loadcnt_dscnt 0x200
	v_mul_f64_e32 v[76:77], v[92:93], v[90:91]
	v_mul_f64_e32 v[80:81], v[94:95], v[90:91]
	v_add_f64_e32 v[4:5], v[4:5], v[98:99]
	v_add_f64_e32 v[12:13], v[12:13], v[100:101]
	v_fmac_f64_e32 v[72:73], v[10:11], v[124:125]
	v_fma_f64 v[78:79], v[8:9], v[124:125], -v[78:79]
	v_fmac_f64_e32 v[76:77], v[94:95], v[88:89]
	v_fma_f64 v[80:81], v[92:93], v[88:89], -v[80:81]
	v_add_f64_e32 v[74:75], v[4:5], v[74:75]
	v_add_f64_e32 v[12:13], v[12:13], v[96:97]
	ds_load_b128 v[8:11], v2 offset:896
	ds_load_b128 v[2:5], v2 offset:912
	s_wait_loadcnt_dscnt 0x101
	v_mul_f64_e32 v[82:83], v[8:9], v[110:111]
	v_mul_f64_e32 v[90:91], v[10:11], v[110:111]
	v_add_f64_e32 v[74:75], v[74:75], v[78:79]
	v_add_f64_e32 v[12:13], v[12:13], v[72:73]
	s_wait_loadcnt_dscnt 0x0
	v_mul_f64_e32 v[72:73], v[2:3], v[86:87]
	v_mul_f64_e32 v[78:79], v[4:5], v[86:87]
	v_fmac_f64_e32 v[82:83], v[10:11], v[108:109]
	v_fma_f64 v[8:9], v[8:9], v[108:109], -v[90:91]
	v_add_f64_e32 v[10:11], v[74:75], v[80:81]
	v_add_f64_e32 v[12:13], v[12:13], v[76:77]
	v_fmac_f64_e32 v[72:73], v[4:5], v[84:85]
	v_fma_f64 v[2:3], v[2:3], v[84:85], -v[78:79]
	s_delay_alu instid0(VALU_DEP_4) | instskip(NEXT) | instid1(VALU_DEP_4)
	v_add_f64_e32 v[4:5], v[10:11], v[8:9]
	v_add_f64_e32 v[8:9], v[12:13], v[82:83]
	s_delay_alu instid0(VALU_DEP_2) | instskip(NEXT) | instid1(VALU_DEP_2)
	v_add_f64_e32 v[2:3], v[4:5], v[2:3]
	v_add_f64_e32 v[4:5], v[8:9], v[72:73]
	s_delay_alu instid0(VALU_DEP_2) | instskip(NEXT) | instid1(VALU_DEP_2)
	v_add_f64_e64 v[2:3], v[120:121], -v[2:3]
	v_add_f64_e64 v[4:5], v[122:123], -v[4:5]
	scratch_store_b128 off, v[2:5], off offset:128
	s_wait_xcnt 0x0
	v_cmpx_lt_u32_e32 7, v1
	s_cbranch_execz .LBB28_173
; %bb.172:
	scratch_load_b128 v[2:5], off, s37
	v_mov_b32_e32 v8, 0
	s_delay_alu instid0(VALU_DEP_1)
	v_dual_mov_b32 v9, v8 :: v_dual_mov_b32 v10, v8
	v_mov_b32_e32 v11, v8
	scratch_store_b128 off, v[8:11], off offset:112
	s_wait_loadcnt 0x0
	ds_store_b128 v6, v[2:5]
.LBB28_173:
	s_wait_xcnt 0x0
	s_or_b32 exec_lo, exec_lo, s2
	s_wait_storecnt_dscnt 0x0
	s_barrier_signal -1
	s_barrier_wait -1
	s_clause 0x9
	scratch_load_b128 v[8:11], off, off offset:128
	scratch_load_b128 v[72:75], off, off offset:144
	;; [unrolled: 1-line block ×10, first 2 shown]
	v_mov_b32_e32 v2, 0
	s_mov_b32 s2, exec_lo
	ds_load_b128 v[108:111], v2 offset:592
	s_clause 0x2
	scratch_load_b128 v[112:115], off, off offset:288
	scratch_load_b128 v[116:119], off, off offset:112
	;; [unrolled: 1-line block ×3, first 2 shown]
	s_wait_loadcnt_dscnt 0xc00
	v_mul_f64_e32 v[4:5], v[110:111], v[10:11]
	v_mul_f64_e32 v[132:133], v[108:109], v[10:11]
	ds_load_b128 v[120:123], v2 offset:608
	scratch_load_b128 v[10:13], off, off offset:304
	ds_load_b128 v[128:131], v2 offset:640
	v_fma_f64 v[4:5], v[108:109], v[8:9], -v[4:5]
	v_fmac_f64_e32 v[132:133], v[110:111], v[8:9]
	ds_load_b128 v[108:111], v2 offset:624
	s_wait_loadcnt_dscnt 0xc02
	v_mul_f64_e32 v[134:135], v[120:121], v[74:75]
	v_mul_f64_e32 v[74:75], v[122:123], v[74:75]
	s_wait_loadcnt_dscnt 0xb00
	v_mul_f64_e32 v[8:9], v[108:109], v[78:79]
	v_mul_f64_e32 v[78:79], v[110:111], v[78:79]
	v_add_f64_e32 v[4:5], 0, v[4:5]
	v_fmac_f64_e32 v[134:135], v[122:123], v[72:73]
	v_fma_f64 v[120:121], v[120:121], v[72:73], -v[74:75]
	v_add_f64_e32 v[122:123], 0, v[132:133]
	scratch_load_b128 v[72:75], off, off offset:336
	v_fmac_f64_e32 v[8:9], v[110:111], v[76:77]
	v_fma_f64 v[136:137], v[108:109], v[76:77], -v[78:79]
	ds_load_b128 v[76:79], v2 offset:656
	s_wait_loadcnt 0xb
	v_mul_f64_e32 v[132:133], v[128:129], v[82:83]
	v_mul_f64_e32 v[82:83], v[130:131], v[82:83]
	scratch_load_b128 v[108:111], off, off offset:352
	v_add_f64_e32 v[4:5], v[4:5], v[120:121]
	v_add_f64_e32 v[134:135], v[122:123], v[134:135]
	ds_load_b128 v[120:123], v2 offset:672
	s_wait_loadcnt_dscnt 0xb01
	v_mul_f64_e32 v[138:139], v[76:77], v[86:87]
	v_mul_f64_e32 v[86:87], v[78:79], v[86:87]
	v_fmac_f64_e32 v[132:133], v[130:131], v[80:81]
	v_fma_f64 v[128:129], v[128:129], v[80:81], -v[82:83]
	scratch_load_b128 v[80:83], off, off offset:368
	v_add_f64_e32 v[4:5], v[4:5], v[136:137]
	v_add_f64_e32 v[8:9], v[134:135], v[8:9]
	v_fmac_f64_e32 v[138:139], v[78:79], v[84:85]
	v_fma_f64 v[136:137], v[76:77], v[84:85], -v[86:87]
	ds_load_b128 v[76:79], v2 offset:688
	s_wait_loadcnt_dscnt 0xb01
	v_mul_f64_e32 v[134:135], v[120:121], v[90:91]
	v_mul_f64_e32 v[90:91], v[122:123], v[90:91]
	scratch_load_b128 v[84:87], off, off offset:384
	v_add_f64_e32 v[4:5], v[4:5], v[128:129]
	v_add_f64_e32 v[8:9], v[8:9], v[132:133]
	s_wait_loadcnt_dscnt 0xb00
	v_mul_f64_e32 v[132:133], v[76:77], v[94:95]
	v_mul_f64_e32 v[94:95], v[78:79], v[94:95]
	ds_load_b128 v[128:131], v2 offset:704
	v_fmac_f64_e32 v[134:135], v[122:123], v[88:89]
	v_fma_f64 v[120:121], v[120:121], v[88:89], -v[90:91]
	scratch_load_b128 v[88:91], off, off offset:400
	v_add_f64_e32 v[4:5], v[4:5], v[136:137]
	v_add_f64_e32 v[8:9], v[8:9], v[138:139]
	v_fmac_f64_e32 v[132:133], v[78:79], v[92:93]
	v_fma_f64 v[138:139], v[76:77], v[92:93], -v[94:95]
	ds_load_b128 v[76:79], v2 offset:720
	s_wait_loadcnt_dscnt 0xb01
	v_mul_f64_e32 v[136:137], v[128:129], v[98:99]
	v_mul_f64_e32 v[98:99], v[130:131], v[98:99]
	scratch_load_b128 v[92:95], off, off offset:416
	v_add_f64_e32 v[4:5], v[4:5], v[120:121]
	v_add_f64_e32 v[8:9], v[8:9], v[134:135]
	s_wait_loadcnt_dscnt 0xb00
	v_mul_f64_e32 v[134:135], v[76:77], v[102:103]
	v_mul_f64_e32 v[102:103], v[78:79], v[102:103]
	ds_load_b128 v[120:123], v2 offset:736
	v_fmac_f64_e32 v[136:137], v[130:131], v[96:97]
	v_fma_f64 v[128:129], v[128:129], v[96:97], -v[98:99]
	scratch_load_b128 v[96:99], off, off offset:432
	v_add_f64_e32 v[4:5], v[4:5], v[138:139]
	v_add_f64_e32 v[8:9], v[8:9], v[132:133]
	v_fmac_f64_e32 v[134:135], v[78:79], v[100:101]
	v_fma_f64 v[138:139], v[76:77], v[100:101], -v[102:103]
	ds_load_b128 v[76:79], v2 offset:752
	s_wait_loadcnt_dscnt 0xb01
	v_mul_f64_e32 v[132:133], v[120:121], v[106:107]
	v_mul_f64_e32 v[106:107], v[122:123], v[106:107]
	scratch_load_b128 v[100:103], off, off offset:448
	v_add_f64_e32 v[4:5], v[4:5], v[128:129]
	v_add_f64_e32 v[8:9], v[8:9], v[136:137]
	s_wait_loadcnt_dscnt 0xb00
	v_mul_f64_e32 v[136:137], v[76:77], v[114:115]
	v_mul_f64_e32 v[114:115], v[78:79], v[114:115]
	ds_load_b128 v[128:131], v2 offset:768
	v_fmac_f64_e32 v[132:133], v[122:123], v[104:105]
	v_fma_f64 v[104:105], v[120:121], v[104:105], -v[106:107]
	s_wait_loadcnt_dscnt 0x800
	v_mul_f64_e32 v[120:121], v[128:129], v[12:13]
	v_add_f64_e32 v[4:5], v[4:5], v[138:139]
	v_add_f64_e32 v[8:9], v[8:9], v[134:135]
	v_mul_f64_e32 v[12:13], v[130:131], v[12:13]
	v_fmac_f64_e32 v[136:137], v[78:79], v[112:113]
	v_fma_f64 v[112:113], v[76:77], v[112:113], -v[114:115]
	v_fmac_f64_e32 v[120:121], v[130:131], v[10:11]
	v_add_f64_e32 v[4:5], v[4:5], v[104:105]
	v_add_f64_e32 v[8:9], v[8:9], v[132:133]
	ds_load_b128 v[76:79], v2 offset:784
	ds_load_b128 v[104:107], v2 offset:800
	v_fma_f64 v[10:11], v[128:129], v[10:11], -v[12:13]
	s_wait_dscnt 0x1
	v_mul_f64_e32 v[114:115], v[76:77], v[126:127]
	v_mul_f64_e32 v[122:123], v[78:79], v[126:127]
	v_add_f64_e32 v[4:5], v[4:5], v[112:113]
	v_add_f64_e32 v[8:9], v[8:9], v[136:137]
	s_wait_loadcnt_dscnt 0x700
	v_mul_f64_e32 v[12:13], v[104:105], v[74:75]
	v_mul_f64_e32 v[112:113], v[106:107], v[74:75]
	v_fmac_f64_e32 v[114:115], v[78:79], v[124:125]
	v_fma_f64 v[78:79], v[76:77], v[124:125], -v[122:123]
	v_add_f64_e32 v[4:5], v[4:5], v[10:11]
	v_add_f64_e32 v[120:121], v[8:9], v[120:121]
	ds_load_b128 v[8:11], v2 offset:816
	ds_load_b128 v[74:77], v2 offset:832
	v_fmac_f64_e32 v[12:13], v[106:107], v[72:73]
	v_fma_f64 v[72:73], v[104:105], v[72:73], -v[112:113]
	s_wait_loadcnt_dscnt 0x601
	v_mul_f64_e32 v[122:123], v[8:9], v[110:111]
	v_mul_f64_e32 v[110:111], v[10:11], v[110:111]
	s_wait_loadcnt_dscnt 0x500
	v_mul_f64_e32 v[112:113], v[74:75], v[82:83]
	v_mul_f64_e32 v[82:83], v[76:77], v[82:83]
	v_add_f64_e32 v[4:5], v[4:5], v[78:79]
	v_add_f64_e32 v[78:79], v[120:121], v[114:115]
	v_fmac_f64_e32 v[122:123], v[10:11], v[108:109]
	v_fma_f64 v[108:109], v[8:9], v[108:109], -v[110:111]
	ds_load_b128 v[8:11], v2 offset:848
	ds_load_b128 v[104:107], v2 offset:864
	v_fmac_f64_e32 v[112:113], v[76:77], v[80:81]
	v_fma_f64 v[74:75], v[74:75], v[80:81], -v[82:83]
	v_add_f64_e32 v[4:5], v[4:5], v[72:73]
	v_add_f64_e32 v[12:13], v[78:79], v[12:13]
	s_wait_loadcnt_dscnt 0x401
	v_mul_f64_e32 v[78:79], v[8:9], v[86:87]
	v_mul_f64_e32 v[72:73], v[10:11], v[86:87]
	s_wait_loadcnt_dscnt 0x300
	v_mul_f64_e32 v[76:77], v[104:105], v[90:91]
	v_mul_f64_e32 v[80:81], v[106:107], v[90:91]
	v_add_f64_e32 v[4:5], v[4:5], v[108:109]
	v_add_f64_e32 v[12:13], v[12:13], v[122:123]
	v_fmac_f64_e32 v[78:79], v[10:11], v[84:85]
	v_fma_f64 v[82:83], v[8:9], v[84:85], -v[72:73]
	v_fmac_f64_e32 v[76:77], v[106:107], v[88:89]
	v_fma_f64 v[80:81], v[104:105], v[88:89], -v[80:81]
	v_add_f64_e32 v[4:5], v[4:5], v[74:75]
	v_add_f64_e32 v[12:13], v[12:13], v[112:113]
	ds_load_b128 v[8:11], v2 offset:880
	ds_load_b128 v[72:75], v2 offset:896
	s_wait_loadcnt_dscnt 0x201
	v_mul_f64_e32 v[84:85], v[8:9], v[94:95]
	v_mul_f64_e32 v[86:87], v[10:11], v[94:95]
	v_add_f64_e32 v[4:5], v[4:5], v[82:83]
	v_add_f64_e32 v[12:13], v[12:13], v[78:79]
	s_wait_loadcnt_dscnt 0x100
	v_mul_f64_e32 v[78:79], v[72:73], v[98:99]
	v_mul_f64_e32 v[82:83], v[74:75], v[98:99]
	v_fmac_f64_e32 v[84:85], v[10:11], v[92:93]
	v_fma_f64 v[86:87], v[8:9], v[92:93], -v[86:87]
	ds_load_b128 v[8:11], v2 offset:912
	v_add_f64_e32 v[4:5], v[4:5], v[80:81]
	v_add_f64_e32 v[12:13], v[12:13], v[76:77]
	v_fmac_f64_e32 v[78:79], v[74:75], v[96:97]
	v_fma_f64 v[72:73], v[72:73], v[96:97], -v[82:83]
	s_wait_loadcnt_dscnt 0x0
	v_mul_f64_e32 v[76:77], v[8:9], v[102:103]
	v_mul_f64_e32 v[80:81], v[10:11], v[102:103]
	v_add_f64_e32 v[4:5], v[4:5], v[86:87]
	v_add_f64_e32 v[12:13], v[12:13], v[84:85]
	s_delay_alu instid0(VALU_DEP_4) | instskip(NEXT) | instid1(VALU_DEP_4)
	v_fmac_f64_e32 v[76:77], v[10:11], v[100:101]
	v_fma_f64 v[8:9], v[8:9], v[100:101], -v[80:81]
	s_delay_alu instid0(VALU_DEP_4) | instskip(NEXT) | instid1(VALU_DEP_4)
	v_add_f64_e32 v[4:5], v[4:5], v[72:73]
	v_add_f64_e32 v[10:11], v[12:13], v[78:79]
	s_delay_alu instid0(VALU_DEP_2) | instskip(NEXT) | instid1(VALU_DEP_2)
	v_add_f64_e32 v[4:5], v[4:5], v[8:9]
	v_add_f64_e32 v[10:11], v[10:11], v[76:77]
	s_delay_alu instid0(VALU_DEP_2) | instskip(NEXT) | instid1(VALU_DEP_2)
	v_add_f64_e64 v[8:9], v[116:117], -v[4:5]
	v_add_f64_e64 v[10:11], v[118:119], -v[10:11]
	scratch_store_b128 off, v[8:11], off offset:112
	s_wait_xcnt 0x0
	v_cmpx_lt_u32_e32 6, v1
	s_cbranch_execz .LBB28_175
; %bb.174:
	scratch_load_b128 v[8:11], off, s34
	v_dual_mov_b32 v3, v2 :: v_dual_mov_b32 v4, v2
	v_mov_b32_e32 v5, v2
	scratch_store_b128 off, v[2:5], off offset:96
	s_wait_loadcnt 0x0
	ds_store_b128 v6, v[8:11]
.LBB28_175:
	s_wait_xcnt 0x0
	s_or_b32 exec_lo, exec_lo, s2
	s_wait_storecnt_dscnt 0x0
	s_barrier_signal -1
	s_barrier_wait -1
	s_clause 0x9
	scratch_load_b128 v[8:11], off, off offset:112
	scratch_load_b128 v[72:75], off, off offset:128
	;; [unrolled: 1-line block ×10, first 2 shown]
	ds_load_b128 v[108:111], v2 offset:576
	ds_load_b128 v[116:119], v2 offset:592
	s_clause 0x1
	scratch_load_b128 v[112:115], off, off offset:272
	scratch_load_b128 v[120:123], off, off offset:96
	s_mov_b32 s2, exec_lo
	s_wait_loadcnt_dscnt 0xb01
	v_mul_f64_e32 v[4:5], v[110:111], v[10:11]
	v_mul_f64_e32 v[132:133], v[108:109], v[10:11]
	scratch_load_b128 v[10:13], off, off offset:288
	s_wait_loadcnt_dscnt 0xb00
	v_mul_f64_e32 v[134:135], v[116:117], v[74:75]
	v_mul_f64_e32 v[74:75], v[118:119], v[74:75]
	v_fma_f64 v[4:5], v[108:109], v[8:9], -v[4:5]
	v_fmac_f64_e32 v[132:133], v[110:111], v[8:9]
	ds_load_b128 v[108:111], v2 offset:608
	ds_load_b128 v[124:127], v2 offset:624
	scratch_load_b128 v[128:131], off, off offset:304
	v_fmac_f64_e32 v[134:135], v[118:119], v[72:73]
	v_fma_f64 v[116:117], v[116:117], v[72:73], -v[74:75]
	scratch_load_b128 v[72:75], off, off offset:320
	s_wait_loadcnt_dscnt 0xc01
	v_mul_f64_e32 v[8:9], v[108:109], v[78:79]
	v_mul_f64_e32 v[78:79], v[110:111], v[78:79]
	v_add_f64_e32 v[4:5], 0, v[4:5]
	v_add_f64_e32 v[118:119], 0, v[132:133]
	s_wait_loadcnt_dscnt 0xb00
	v_mul_f64_e32 v[132:133], v[124:125], v[82:83]
	v_mul_f64_e32 v[82:83], v[126:127], v[82:83]
	v_fmac_f64_e32 v[8:9], v[110:111], v[76:77]
	v_fma_f64 v[136:137], v[108:109], v[76:77], -v[78:79]
	ds_load_b128 v[76:79], v2 offset:640
	ds_load_b128 v[108:111], v2 offset:656
	v_add_f64_e32 v[4:5], v[4:5], v[116:117]
	v_add_f64_e32 v[134:135], v[118:119], v[134:135]
	scratch_load_b128 v[116:119], off, off offset:336
	v_fmac_f64_e32 v[132:133], v[126:127], v[80:81]
	v_fma_f64 v[124:125], v[124:125], v[80:81], -v[82:83]
	scratch_load_b128 v[80:83], off, off offset:352
	s_wait_loadcnt_dscnt 0xc01
	v_mul_f64_e32 v[138:139], v[76:77], v[86:87]
	v_mul_f64_e32 v[86:87], v[78:79], v[86:87]
	v_add_f64_e32 v[4:5], v[4:5], v[136:137]
	v_add_f64_e32 v[8:9], v[134:135], v[8:9]
	s_wait_loadcnt_dscnt 0xb00
	v_mul_f64_e32 v[134:135], v[108:109], v[90:91]
	v_mul_f64_e32 v[90:91], v[110:111], v[90:91]
	v_fmac_f64_e32 v[138:139], v[78:79], v[84:85]
	v_fma_f64 v[136:137], v[76:77], v[84:85], -v[86:87]
	ds_load_b128 v[76:79], v2 offset:672
	ds_load_b128 v[84:87], v2 offset:688
	v_add_f64_e32 v[4:5], v[4:5], v[124:125]
	v_add_f64_e32 v[8:9], v[8:9], v[132:133]
	scratch_load_b128 v[124:127], off, off offset:368
	s_wait_loadcnt_dscnt 0xb01
	v_mul_f64_e32 v[132:133], v[76:77], v[94:95]
	v_mul_f64_e32 v[94:95], v[78:79], v[94:95]
	v_fmac_f64_e32 v[134:135], v[110:111], v[88:89]
	v_fma_f64 v[108:109], v[108:109], v[88:89], -v[90:91]
	scratch_load_b128 v[88:91], off, off offset:384
	v_add_f64_e32 v[4:5], v[4:5], v[136:137]
	v_add_f64_e32 v[8:9], v[8:9], v[138:139]
	s_wait_loadcnt_dscnt 0xb00
	v_mul_f64_e32 v[136:137], v[84:85], v[98:99]
	v_mul_f64_e32 v[98:99], v[86:87], v[98:99]
	v_fmac_f64_e32 v[132:133], v[78:79], v[92:93]
	v_fma_f64 v[138:139], v[76:77], v[92:93], -v[94:95]
	ds_load_b128 v[76:79], v2 offset:704
	ds_load_b128 v[92:95], v2 offset:720
	v_add_f64_e32 v[4:5], v[4:5], v[108:109]
	v_add_f64_e32 v[8:9], v[8:9], v[134:135]
	scratch_load_b128 v[108:111], off, off offset:400
	s_wait_loadcnt_dscnt 0xb01
	v_mul_f64_e32 v[134:135], v[76:77], v[102:103]
	v_mul_f64_e32 v[102:103], v[78:79], v[102:103]
	v_fmac_f64_e32 v[136:137], v[86:87], v[96:97]
	v_fma_f64 v[96:97], v[84:85], v[96:97], -v[98:99]
	scratch_load_b128 v[84:87], off, off offset:416
	v_add_f64_e32 v[4:5], v[4:5], v[138:139]
	v_add_f64_e32 v[8:9], v[8:9], v[132:133]
	s_wait_loadcnt_dscnt 0xb00
	v_mul_f64_e32 v[132:133], v[92:93], v[106:107]
	v_mul_f64_e32 v[106:107], v[94:95], v[106:107]
	v_fmac_f64_e32 v[134:135], v[78:79], v[100:101]
	v_fma_f64 v[138:139], v[76:77], v[100:101], -v[102:103]
	v_add_f64_e32 v[4:5], v[4:5], v[96:97]
	v_add_f64_e32 v[8:9], v[8:9], v[136:137]
	ds_load_b128 v[76:79], v2 offset:736
	ds_load_b128 v[96:99], v2 offset:752
	scratch_load_b128 v[100:103], off, off offset:432
	v_fmac_f64_e32 v[132:133], v[94:95], v[104:105]
	v_fma_f64 v[104:105], v[92:93], v[104:105], -v[106:107]
	scratch_load_b128 v[92:95], off, off offset:448
	s_wait_loadcnt_dscnt 0xc01
	v_mul_f64_e32 v[136:137], v[76:77], v[114:115]
	v_mul_f64_e32 v[114:115], v[78:79], v[114:115]
	v_add_f64_e32 v[4:5], v[4:5], v[138:139]
	v_add_f64_e32 v[8:9], v[8:9], v[134:135]
	s_wait_loadcnt_dscnt 0xa00
	v_mul_f64_e32 v[134:135], v[96:97], v[12:13]
	v_mul_f64_e32 v[12:13], v[98:99], v[12:13]
	v_fmac_f64_e32 v[136:137], v[78:79], v[112:113]
	v_fma_f64 v[112:113], v[76:77], v[112:113], -v[114:115]
	v_add_f64_e32 v[4:5], v[4:5], v[104:105]
	v_add_f64_e32 v[8:9], v[8:9], v[132:133]
	ds_load_b128 v[76:79], v2 offset:768
	ds_load_b128 v[104:107], v2 offset:784
	v_fmac_f64_e32 v[134:135], v[98:99], v[10:11]
	v_fma_f64 v[10:11], v[96:97], v[10:11], -v[12:13]
	s_wait_loadcnt_dscnt 0x901
	v_mul_f64_e32 v[114:115], v[76:77], v[130:131]
	v_mul_f64_e32 v[130:131], v[78:79], v[130:131]
	s_wait_loadcnt_dscnt 0x800
	v_mul_f64_e32 v[12:13], v[104:105], v[74:75]
	v_mul_f64_e32 v[96:97], v[106:107], v[74:75]
	v_add_f64_e32 v[4:5], v[4:5], v[112:113]
	v_add_f64_e32 v[8:9], v[8:9], v[136:137]
	v_fmac_f64_e32 v[114:115], v[78:79], v[128:129]
	v_fma_f64 v[78:79], v[76:77], v[128:129], -v[130:131]
	v_fmac_f64_e32 v[12:13], v[106:107], v[72:73]
	v_fma_f64 v[72:73], v[104:105], v[72:73], -v[96:97]
	v_add_f64_e32 v[4:5], v[4:5], v[10:11]
	v_add_f64_e32 v[98:99], v[8:9], v[134:135]
	ds_load_b128 v[8:11], v2 offset:800
	ds_load_b128 v[74:77], v2 offset:816
	s_wait_loadcnt_dscnt 0x701
	v_mul_f64_e32 v[112:113], v[8:9], v[118:119]
	v_mul_f64_e32 v[118:119], v[10:11], v[118:119]
	s_wait_loadcnt_dscnt 0x600
	v_mul_f64_e32 v[104:105], v[74:75], v[82:83]
	v_mul_f64_e32 v[82:83], v[76:77], v[82:83]
	v_add_f64_e32 v[4:5], v[4:5], v[78:79]
	v_add_f64_e32 v[78:79], v[98:99], v[114:115]
	v_fmac_f64_e32 v[112:113], v[10:11], v[116:117]
	v_fma_f64 v[106:107], v[8:9], v[116:117], -v[118:119]
	ds_load_b128 v[8:11], v2 offset:832
	ds_load_b128 v[96:99], v2 offset:848
	v_fmac_f64_e32 v[104:105], v[76:77], v[80:81]
	v_fma_f64 v[74:75], v[74:75], v[80:81], -v[82:83]
	v_add_f64_e32 v[4:5], v[4:5], v[72:73]
	v_add_f64_e32 v[12:13], v[78:79], v[12:13]
	s_wait_loadcnt_dscnt 0x501
	v_mul_f64_e32 v[78:79], v[8:9], v[126:127]
	v_mul_f64_e32 v[72:73], v[10:11], v[126:127]
	s_wait_loadcnt_dscnt 0x400
	v_mul_f64_e32 v[76:77], v[96:97], v[90:91]
	v_mul_f64_e32 v[80:81], v[98:99], v[90:91]
	v_add_f64_e32 v[4:5], v[4:5], v[106:107]
	v_add_f64_e32 v[12:13], v[12:13], v[112:113]
	v_fmac_f64_e32 v[78:79], v[10:11], v[124:125]
	v_fma_f64 v[82:83], v[8:9], v[124:125], -v[72:73]
	v_fmac_f64_e32 v[76:77], v[98:99], v[88:89]
	v_fma_f64 v[80:81], v[96:97], v[88:89], -v[80:81]
	v_add_f64_e32 v[4:5], v[4:5], v[74:75]
	v_add_f64_e32 v[12:13], v[12:13], v[104:105]
	ds_load_b128 v[8:11], v2 offset:864
	ds_load_b128 v[72:75], v2 offset:880
	s_wait_loadcnt_dscnt 0x301
	v_mul_f64_e32 v[90:91], v[8:9], v[110:111]
	v_mul_f64_e32 v[104:105], v[10:11], v[110:111]
	v_add_f64_e32 v[4:5], v[4:5], v[82:83]
	v_add_f64_e32 v[12:13], v[12:13], v[78:79]
	s_wait_loadcnt_dscnt 0x200
	v_mul_f64_e32 v[78:79], v[72:73], v[86:87]
	v_mul_f64_e32 v[82:83], v[74:75], v[86:87]
	v_fmac_f64_e32 v[90:91], v[10:11], v[108:109]
	v_fma_f64 v[86:87], v[8:9], v[108:109], -v[104:105]
	v_add_f64_e32 v[80:81], v[4:5], v[80:81]
	v_add_f64_e32 v[12:13], v[12:13], v[76:77]
	ds_load_b128 v[8:11], v2 offset:896
	ds_load_b128 v[2:5], v2 offset:912
	v_fmac_f64_e32 v[78:79], v[74:75], v[84:85]
	v_fma_f64 v[72:73], v[72:73], v[84:85], -v[82:83]
	s_wait_loadcnt_dscnt 0x101
	v_mul_f64_e32 v[76:77], v[8:9], v[102:103]
	v_mul_f64_e32 v[88:89], v[10:11], v[102:103]
	s_wait_loadcnt_dscnt 0x0
	v_mul_f64_e32 v[82:83], v[4:5], v[94:95]
	v_add_f64_e32 v[74:75], v[80:81], v[86:87]
	v_add_f64_e32 v[12:13], v[12:13], v[90:91]
	v_mul_f64_e32 v[80:81], v[2:3], v[94:95]
	v_fmac_f64_e32 v[76:77], v[10:11], v[100:101]
	v_fma_f64 v[8:9], v[8:9], v[100:101], -v[88:89]
	v_fma_f64 v[2:3], v[2:3], v[92:93], -v[82:83]
	v_add_f64_e32 v[10:11], v[74:75], v[72:73]
	v_add_f64_e32 v[12:13], v[12:13], v[78:79]
	v_fmac_f64_e32 v[80:81], v[4:5], v[92:93]
	s_delay_alu instid0(VALU_DEP_3) | instskip(NEXT) | instid1(VALU_DEP_3)
	v_add_f64_e32 v[4:5], v[10:11], v[8:9]
	v_add_f64_e32 v[8:9], v[12:13], v[76:77]
	s_delay_alu instid0(VALU_DEP_2) | instskip(NEXT) | instid1(VALU_DEP_2)
	v_add_f64_e32 v[2:3], v[4:5], v[2:3]
	v_add_f64_e32 v[4:5], v[8:9], v[80:81]
	s_delay_alu instid0(VALU_DEP_2) | instskip(NEXT) | instid1(VALU_DEP_2)
	v_add_f64_e64 v[2:3], v[120:121], -v[2:3]
	v_add_f64_e64 v[4:5], v[122:123], -v[4:5]
	scratch_store_b128 off, v[2:5], off offset:96
	s_wait_xcnt 0x0
	v_cmpx_lt_u32_e32 5, v1
	s_cbranch_execz .LBB28_177
; %bb.176:
	scratch_load_b128 v[2:5], off, s31
	v_mov_b32_e32 v8, 0
	s_delay_alu instid0(VALU_DEP_1)
	v_dual_mov_b32 v9, v8 :: v_dual_mov_b32 v10, v8
	v_mov_b32_e32 v11, v8
	scratch_store_b128 off, v[8:11], off offset:80
	s_wait_loadcnt 0x0
	ds_store_b128 v6, v[2:5]
.LBB28_177:
	s_wait_xcnt 0x0
	s_or_b32 exec_lo, exec_lo, s2
	s_wait_storecnt_dscnt 0x0
	s_barrier_signal -1
	s_barrier_wait -1
	s_clause 0x9
	scratch_load_b128 v[8:11], off, off offset:96
	scratch_load_b128 v[72:75], off, off offset:112
	;; [unrolled: 1-line block ×10, first 2 shown]
	v_mov_b32_e32 v2, 0
	s_mov_b32 s2, exec_lo
	ds_load_b128 v[108:111], v2 offset:560
	s_clause 0x2
	scratch_load_b128 v[112:115], off, off offset:256
	scratch_load_b128 v[116:119], off, off offset:80
	;; [unrolled: 1-line block ×3, first 2 shown]
	s_wait_loadcnt_dscnt 0xc00
	v_mul_f64_e32 v[4:5], v[110:111], v[10:11]
	v_mul_f64_e32 v[132:133], v[108:109], v[10:11]
	ds_load_b128 v[120:123], v2 offset:576
	scratch_load_b128 v[10:13], off, off offset:272
	ds_load_b128 v[128:131], v2 offset:608
	v_fma_f64 v[4:5], v[108:109], v[8:9], -v[4:5]
	v_fmac_f64_e32 v[132:133], v[110:111], v[8:9]
	ds_load_b128 v[108:111], v2 offset:592
	s_wait_loadcnt_dscnt 0xc02
	v_mul_f64_e32 v[134:135], v[120:121], v[74:75]
	v_mul_f64_e32 v[74:75], v[122:123], v[74:75]
	s_wait_loadcnt_dscnt 0xb00
	v_mul_f64_e32 v[8:9], v[108:109], v[78:79]
	v_mul_f64_e32 v[78:79], v[110:111], v[78:79]
	v_add_f64_e32 v[4:5], 0, v[4:5]
	v_fmac_f64_e32 v[134:135], v[122:123], v[72:73]
	v_fma_f64 v[120:121], v[120:121], v[72:73], -v[74:75]
	v_add_f64_e32 v[122:123], 0, v[132:133]
	scratch_load_b128 v[72:75], off, off offset:304
	v_fmac_f64_e32 v[8:9], v[110:111], v[76:77]
	v_fma_f64 v[136:137], v[108:109], v[76:77], -v[78:79]
	ds_load_b128 v[76:79], v2 offset:624
	s_wait_loadcnt 0xb
	v_mul_f64_e32 v[132:133], v[128:129], v[82:83]
	v_mul_f64_e32 v[82:83], v[130:131], v[82:83]
	scratch_load_b128 v[108:111], off, off offset:320
	v_add_f64_e32 v[4:5], v[4:5], v[120:121]
	v_add_f64_e32 v[134:135], v[122:123], v[134:135]
	ds_load_b128 v[120:123], v2 offset:640
	s_wait_loadcnt_dscnt 0xb01
	v_mul_f64_e32 v[138:139], v[76:77], v[86:87]
	v_mul_f64_e32 v[86:87], v[78:79], v[86:87]
	v_fmac_f64_e32 v[132:133], v[130:131], v[80:81]
	v_fma_f64 v[128:129], v[128:129], v[80:81], -v[82:83]
	scratch_load_b128 v[80:83], off, off offset:336
	v_add_f64_e32 v[4:5], v[4:5], v[136:137]
	v_add_f64_e32 v[8:9], v[134:135], v[8:9]
	v_fmac_f64_e32 v[138:139], v[78:79], v[84:85]
	v_fma_f64 v[136:137], v[76:77], v[84:85], -v[86:87]
	ds_load_b128 v[76:79], v2 offset:656
	s_wait_loadcnt_dscnt 0xb01
	v_mul_f64_e32 v[134:135], v[120:121], v[90:91]
	v_mul_f64_e32 v[90:91], v[122:123], v[90:91]
	scratch_load_b128 v[84:87], off, off offset:352
	v_add_f64_e32 v[4:5], v[4:5], v[128:129]
	v_add_f64_e32 v[8:9], v[8:9], v[132:133]
	s_wait_loadcnt_dscnt 0xb00
	v_mul_f64_e32 v[132:133], v[76:77], v[94:95]
	v_mul_f64_e32 v[94:95], v[78:79], v[94:95]
	ds_load_b128 v[128:131], v2 offset:672
	v_fmac_f64_e32 v[134:135], v[122:123], v[88:89]
	v_fma_f64 v[120:121], v[120:121], v[88:89], -v[90:91]
	scratch_load_b128 v[88:91], off, off offset:368
	v_add_f64_e32 v[4:5], v[4:5], v[136:137]
	v_add_f64_e32 v[8:9], v[8:9], v[138:139]
	v_fmac_f64_e32 v[132:133], v[78:79], v[92:93]
	v_fma_f64 v[138:139], v[76:77], v[92:93], -v[94:95]
	ds_load_b128 v[76:79], v2 offset:688
	s_wait_loadcnt_dscnt 0xb01
	v_mul_f64_e32 v[136:137], v[128:129], v[98:99]
	v_mul_f64_e32 v[98:99], v[130:131], v[98:99]
	scratch_load_b128 v[92:95], off, off offset:384
	v_add_f64_e32 v[4:5], v[4:5], v[120:121]
	v_add_f64_e32 v[8:9], v[8:9], v[134:135]
	s_wait_loadcnt_dscnt 0xb00
	v_mul_f64_e32 v[134:135], v[76:77], v[102:103]
	v_mul_f64_e32 v[102:103], v[78:79], v[102:103]
	ds_load_b128 v[120:123], v2 offset:704
	;; [unrolled: 18-line block ×3, first 2 shown]
	v_fmac_f64_e32 v[132:133], v[122:123], v[104:105]
	v_fma_f64 v[120:121], v[120:121], v[104:105], -v[106:107]
	scratch_load_b128 v[104:107], off, off offset:432
	v_add_f64_e32 v[4:5], v[4:5], v[138:139]
	v_add_f64_e32 v[8:9], v[8:9], v[134:135]
	v_fmac_f64_e32 v[136:137], v[78:79], v[112:113]
	v_fma_f64 v[138:139], v[76:77], v[112:113], -v[114:115]
	ds_load_b128 v[76:79], v2 offset:752
	s_wait_loadcnt_dscnt 0x901
	v_mul_f64_e32 v[134:135], v[128:129], v[12:13]
	v_mul_f64_e32 v[12:13], v[130:131], v[12:13]
	scratch_load_b128 v[112:115], off, off offset:448
	v_add_f64_e32 v[4:5], v[4:5], v[120:121]
	v_add_f64_e32 v[8:9], v[8:9], v[132:133]
	s_wait_dscnt 0x0
	v_mul_f64_e32 v[132:133], v[76:77], v[126:127]
	v_mul_f64_e32 v[126:127], v[78:79], v[126:127]
	ds_load_b128 v[120:123], v2 offset:768
	v_fmac_f64_e32 v[134:135], v[130:131], v[10:11]
	v_fma_f64 v[10:11], v[128:129], v[10:11], -v[12:13]
	v_add_f64_e32 v[4:5], v[4:5], v[138:139]
	v_add_f64_e32 v[8:9], v[8:9], v[136:137]
	s_wait_loadcnt_dscnt 0x900
	v_mul_f64_e32 v[12:13], v[120:121], v[74:75]
	v_mul_f64_e32 v[128:129], v[122:123], v[74:75]
	v_fmac_f64_e32 v[132:133], v[78:79], v[124:125]
	v_fma_f64 v[78:79], v[76:77], v[124:125], -v[126:127]
	v_add_f64_e32 v[4:5], v[4:5], v[10:11]
	v_add_f64_e32 v[124:125], v[8:9], v[134:135]
	ds_load_b128 v[8:11], v2 offset:784
	ds_load_b128 v[74:77], v2 offset:800
	v_fmac_f64_e32 v[12:13], v[122:123], v[72:73]
	v_fma_f64 v[72:73], v[120:121], v[72:73], -v[128:129]
	s_wait_loadcnt_dscnt 0x801
	v_mul_f64_e32 v[126:127], v[8:9], v[110:111]
	v_mul_f64_e32 v[110:111], v[10:11], v[110:111]
	s_wait_loadcnt_dscnt 0x700
	v_mul_f64_e32 v[120:121], v[74:75], v[82:83]
	v_mul_f64_e32 v[82:83], v[76:77], v[82:83]
	v_add_f64_e32 v[4:5], v[4:5], v[78:79]
	v_add_f64_e32 v[78:79], v[124:125], v[132:133]
	v_fmac_f64_e32 v[126:127], v[10:11], v[108:109]
	v_fma_f64 v[122:123], v[8:9], v[108:109], -v[110:111]
	ds_load_b128 v[8:11], v2 offset:816
	ds_load_b128 v[108:111], v2 offset:832
	v_fmac_f64_e32 v[120:121], v[76:77], v[80:81]
	v_fma_f64 v[74:75], v[74:75], v[80:81], -v[82:83]
	v_add_f64_e32 v[4:5], v[4:5], v[72:73]
	v_add_f64_e32 v[12:13], v[78:79], v[12:13]
	s_wait_loadcnt_dscnt 0x601
	v_mul_f64_e32 v[78:79], v[8:9], v[86:87]
	v_mul_f64_e32 v[72:73], v[10:11], v[86:87]
	s_wait_loadcnt_dscnt 0x500
	v_mul_f64_e32 v[76:77], v[108:109], v[90:91]
	v_mul_f64_e32 v[80:81], v[110:111], v[90:91]
	v_add_f64_e32 v[4:5], v[4:5], v[122:123]
	v_add_f64_e32 v[12:13], v[12:13], v[126:127]
	v_fmac_f64_e32 v[78:79], v[10:11], v[84:85]
	v_fma_f64 v[82:83], v[8:9], v[84:85], -v[72:73]
	v_fmac_f64_e32 v[76:77], v[110:111], v[88:89]
	v_fma_f64 v[80:81], v[108:109], v[88:89], -v[80:81]
	v_add_f64_e32 v[4:5], v[4:5], v[74:75]
	v_add_f64_e32 v[12:13], v[12:13], v[120:121]
	ds_load_b128 v[8:11], v2 offset:848
	ds_load_b128 v[72:75], v2 offset:864
	s_wait_loadcnt_dscnt 0x401
	v_mul_f64_e32 v[84:85], v[8:9], v[94:95]
	v_mul_f64_e32 v[86:87], v[10:11], v[94:95]
	s_wait_loadcnt_dscnt 0x300
	v_mul_f64_e32 v[88:89], v[74:75], v[98:99]
	v_add_f64_e32 v[4:5], v[4:5], v[82:83]
	v_add_f64_e32 v[12:13], v[12:13], v[78:79]
	v_mul_f64_e32 v[82:83], v[72:73], v[98:99]
	v_fmac_f64_e32 v[84:85], v[10:11], v[92:93]
	v_fma_f64 v[86:87], v[8:9], v[92:93], -v[86:87]
	v_fma_f64 v[72:73], v[72:73], v[96:97], -v[88:89]
	v_add_f64_e32 v[4:5], v[4:5], v[80:81]
	v_add_f64_e32 v[12:13], v[12:13], v[76:77]
	ds_load_b128 v[8:11], v2 offset:880
	ds_load_b128 v[76:79], v2 offset:896
	v_fmac_f64_e32 v[82:83], v[74:75], v[96:97]
	s_wait_loadcnt_dscnt 0x201
	v_mul_f64_e32 v[80:81], v[8:9], v[102:103]
	v_mul_f64_e32 v[90:91], v[10:11], v[102:103]
	s_wait_loadcnt_dscnt 0x100
	v_mul_f64_e32 v[74:75], v[76:77], v[106:107]
	v_add_f64_e32 v[4:5], v[4:5], v[86:87]
	v_add_f64_e32 v[12:13], v[12:13], v[84:85]
	v_mul_f64_e32 v[84:85], v[78:79], v[106:107]
	v_fmac_f64_e32 v[80:81], v[10:11], v[100:101]
	v_fma_f64 v[86:87], v[8:9], v[100:101], -v[90:91]
	ds_load_b128 v[8:11], v2 offset:912
	v_fmac_f64_e32 v[74:75], v[78:79], v[104:105]
	v_add_f64_e32 v[4:5], v[4:5], v[72:73]
	v_add_f64_e32 v[12:13], v[12:13], v[82:83]
	v_fma_f64 v[76:77], v[76:77], v[104:105], -v[84:85]
	s_wait_loadcnt_dscnt 0x0
	v_mul_f64_e32 v[72:73], v[8:9], v[114:115]
	v_mul_f64_e32 v[82:83], v[10:11], v[114:115]
	v_add_f64_e32 v[4:5], v[4:5], v[86:87]
	v_add_f64_e32 v[12:13], v[12:13], v[80:81]
	s_delay_alu instid0(VALU_DEP_4) | instskip(NEXT) | instid1(VALU_DEP_4)
	v_fmac_f64_e32 v[72:73], v[10:11], v[112:113]
	v_fma_f64 v[8:9], v[8:9], v[112:113], -v[82:83]
	s_delay_alu instid0(VALU_DEP_4) | instskip(NEXT) | instid1(VALU_DEP_4)
	v_add_f64_e32 v[4:5], v[4:5], v[76:77]
	v_add_f64_e32 v[10:11], v[12:13], v[74:75]
	s_delay_alu instid0(VALU_DEP_2) | instskip(NEXT) | instid1(VALU_DEP_2)
	v_add_f64_e32 v[4:5], v[4:5], v[8:9]
	v_add_f64_e32 v[10:11], v[10:11], v[72:73]
	s_delay_alu instid0(VALU_DEP_2) | instskip(NEXT) | instid1(VALU_DEP_2)
	v_add_f64_e64 v[8:9], v[116:117], -v[4:5]
	v_add_f64_e64 v[10:11], v[118:119], -v[10:11]
	scratch_store_b128 off, v[8:11], off offset:80
	s_wait_xcnt 0x0
	v_cmpx_lt_u32_e32 4, v1
	s_cbranch_execz .LBB28_179
; %bb.178:
	scratch_load_b128 v[8:11], off, s10
	v_dual_mov_b32 v3, v2 :: v_dual_mov_b32 v4, v2
	v_mov_b32_e32 v5, v2
	scratch_store_b128 off, v[2:5], off offset:64
	s_wait_loadcnt 0x0
	ds_store_b128 v6, v[8:11]
.LBB28_179:
	s_wait_xcnt 0x0
	s_or_b32 exec_lo, exec_lo, s2
	s_wait_storecnt_dscnt 0x0
	s_barrier_signal -1
	s_barrier_wait -1
	s_clause 0x9
	scratch_load_b128 v[8:11], off, off offset:80
	scratch_load_b128 v[72:75], off, off offset:96
	;; [unrolled: 1-line block ×10, first 2 shown]
	ds_load_b128 v[108:111], v2 offset:544
	ds_load_b128 v[116:119], v2 offset:560
	s_clause 0x1
	scratch_load_b128 v[112:115], off, off offset:240
	scratch_load_b128 v[120:123], off, off offset:64
	s_mov_b32 s2, exec_lo
	s_wait_loadcnt_dscnt 0xb01
	v_mul_f64_e32 v[4:5], v[110:111], v[10:11]
	v_mul_f64_e32 v[132:133], v[108:109], v[10:11]
	scratch_load_b128 v[10:13], off, off offset:256
	s_wait_loadcnt_dscnt 0xb00
	v_mul_f64_e32 v[134:135], v[116:117], v[74:75]
	v_mul_f64_e32 v[74:75], v[118:119], v[74:75]
	v_fma_f64 v[4:5], v[108:109], v[8:9], -v[4:5]
	v_fmac_f64_e32 v[132:133], v[110:111], v[8:9]
	ds_load_b128 v[108:111], v2 offset:576
	ds_load_b128 v[124:127], v2 offset:592
	scratch_load_b128 v[128:131], off, off offset:272
	v_fmac_f64_e32 v[134:135], v[118:119], v[72:73]
	v_fma_f64 v[116:117], v[116:117], v[72:73], -v[74:75]
	scratch_load_b128 v[72:75], off, off offset:288
	s_wait_loadcnt_dscnt 0xc01
	v_mul_f64_e32 v[8:9], v[108:109], v[78:79]
	v_mul_f64_e32 v[78:79], v[110:111], v[78:79]
	v_add_f64_e32 v[4:5], 0, v[4:5]
	v_add_f64_e32 v[118:119], 0, v[132:133]
	s_wait_loadcnt_dscnt 0xb00
	v_mul_f64_e32 v[132:133], v[124:125], v[82:83]
	v_mul_f64_e32 v[82:83], v[126:127], v[82:83]
	v_fmac_f64_e32 v[8:9], v[110:111], v[76:77]
	v_fma_f64 v[136:137], v[108:109], v[76:77], -v[78:79]
	ds_load_b128 v[76:79], v2 offset:608
	ds_load_b128 v[108:111], v2 offset:624
	v_add_f64_e32 v[4:5], v[4:5], v[116:117]
	v_add_f64_e32 v[134:135], v[118:119], v[134:135]
	scratch_load_b128 v[116:119], off, off offset:304
	v_fmac_f64_e32 v[132:133], v[126:127], v[80:81]
	v_fma_f64 v[124:125], v[124:125], v[80:81], -v[82:83]
	scratch_load_b128 v[80:83], off, off offset:320
	s_wait_loadcnt_dscnt 0xc01
	v_mul_f64_e32 v[138:139], v[76:77], v[86:87]
	v_mul_f64_e32 v[86:87], v[78:79], v[86:87]
	v_add_f64_e32 v[4:5], v[4:5], v[136:137]
	v_add_f64_e32 v[8:9], v[134:135], v[8:9]
	s_wait_loadcnt_dscnt 0xb00
	v_mul_f64_e32 v[134:135], v[108:109], v[90:91]
	v_mul_f64_e32 v[90:91], v[110:111], v[90:91]
	v_fmac_f64_e32 v[138:139], v[78:79], v[84:85]
	v_fma_f64 v[136:137], v[76:77], v[84:85], -v[86:87]
	ds_load_b128 v[76:79], v2 offset:640
	ds_load_b128 v[84:87], v2 offset:656
	v_add_f64_e32 v[4:5], v[4:5], v[124:125]
	v_add_f64_e32 v[8:9], v[8:9], v[132:133]
	scratch_load_b128 v[124:127], off, off offset:336
	s_wait_loadcnt_dscnt 0xb01
	v_mul_f64_e32 v[132:133], v[76:77], v[94:95]
	v_mul_f64_e32 v[94:95], v[78:79], v[94:95]
	v_fmac_f64_e32 v[134:135], v[110:111], v[88:89]
	v_fma_f64 v[108:109], v[108:109], v[88:89], -v[90:91]
	scratch_load_b128 v[88:91], off, off offset:352
	v_add_f64_e32 v[4:5], v[4:5], v[136:137]
	v_add_f64_e32 v[8:9], v[8:9], v[138:139]
	s_wait_loadcnt_dscnt 0xb00
	v_mul_f64_e32 v[136:137], v[84:85], v[98:99]
	v_mul_f64_e32 v[98:99], v[86:87], v[98:99]
	v_fmac_f64_e32 v[132:133], v[78:79], v[92:93]
	v_fma_f64 v[138:139], v[76:77], v[92:93], -v[94:95]
	ds_load_b128 v[76:79], v2 offset:672
	ds_load_b128 v[92:95], v2 offset:688
	v_add_f64_e32 v[4:5], v[4:5], v[108:109]
	v_add_f64_e32 v[8:9], v[8:9], v[134:135]
	scratch_load_b128 v[108:111], off, off offset:368
	s_wait_loadcnt_dscnt 0xb01
	v_mul_f64_e32 v[134:135], v[76:77], v[102:103]
	v_mul_f64_e32 v[102:103], v[78:79], v[102:103]
	v_fmac_f64_e32 v[136:137], v[86:87], v[96:97]
	v_fma_f64 v[96:97], v[84:85], v[96:97], -v[98:99]
	scratch_load_b128 v[84:87], off, off offset:384
	v_add_f64_e32 v[4:5], v[4:5], v[138:139]
	v_add_f64_e32 v[8:9], v[8:9], v[132:133]
	s_wait_loadcnt_dscnt 0xb00
	v_mul_f64_e32 v[132:133], v[92:93], v[106:107]
	v_mul_f64_e32 v[106:107], v[94:95], v[106:107]
	v_fmac_f64_e32 v[134:135], v[78:79], v[100:101]
	v_fma_f64 v[138:139], v[76:77], v[100:101], -v[102:103]
	v_add_f64_e32 v[4:5], v[4:5], v[96:97]
	v_add_f64_e32 v[8:9], v[8:9], v[136:137]
	ds_load_b128 v[76:79], v2 offset:704
	ds_load_b128 v[96:99], v2 offset:720
	scratch_load_b128 v[100:103], off, off offset:400
	v_fmac_f64_e32 v[132:133], v[94:95], v[104:105]
	v_fma_f64 v[104:105], v[92:93], v[104:105], -v[106:107]
	scratch_load_b128 v[92:95], off, off offset:416
	s_wait_loadcnt_dscnt 0xc01
	v_mul_f64_e32 v[136:137], v[76:77], v[114:115]
	v_mul_f64_e32 v[114:115], v[78:79], v[114:115]
	v_add_f64_e32 v[4:5], v[4:5], v[138:139]
	v_add_f64_e32 v[8:9], v[8:9], v[134:135]
	s_wait_loadcnt_dscnt 0xa00
	v_mul_f64_e32 v[134:135], v[96:97], v[12:13]
	v_mul_f64_e32 v[12:13], v[98:99], v[12:13]
	v_fmac_f64_e32 v[136:137], v[78:79], v[112:113]
	v_fma_f64 v[138:139], v[76:77], v[112:113], -v[114:115]
	v_add_f64_e32 v[4:5], v[4:5], v[104:105]
	v_add_f64_e32 v[8:9], v[8:9], v[132:133]
	ds_load_b128 v[76:79], v2 offset:736
	ds_load_b128 v[104:107], v2 offset:752
	scratch_load_b128 v[112:115], off, off offset:432
	v_fmac_f64_e32 v[134:135], v[98:99], v[10:11]
	v_fma_f64 v[12:13], v[96:97], v[10:11], -v[12:13]
	s_wait_loadcnt_dscnt 0xa01
	v_mul_f64_e32 v[132:133], v[76:77], v[130:131]
	v_mul_f64_e32 v[130:131], v[78:79], v[130:131]
	v_add_f64_e32 v[4:5], v[4:5], v[138:139]
	v_add_f64_e32 v[96:97], v[8:9], v[136:137]
	scratch_load_b128 v[8:11], off, off offset:448
	s_wait_loadcnt_dscnt 0xa00
	v_mul_f64_e32 v[136:137], v[104:105], v[74:75]
	v_mul_f64_e32 v[138:139], v[106:107], v[74:75]
	v_fmac_f64_e32 v[132:133], v[78:79], v[128:129]
	v_fma_f64 v[78:79], v[76:77], v[128:129], -v[130:131]
	v_add_f64_e32 v[4:5], v[4:5], v[12:13]
	v_add_f64_e32 v[12:13], v[96:97], v[134:135]
	ds_load_b128 v[74:77], v2 offset:768
	ds_load_b128 v[96:99], v2 offset:784
	v_fmac_f64_e32 v[136:137], v[106:107], v[72:73]
	v_fma_f64 v[72:73], v[104:105], v[72:73], -v[138:139]
	s_wait_loadcnt_dscnt 0x901
	v_mul_f64_e32 v[128:129], v[74:75], v[118:119]
	v_mul_f64_e32 v[118:119], v[76:77], v[118:119]
	s_wait_loadcnt_dscnt 0x800
	v_mul_f64_e32 v[104:105], v[96:97], v[82:83]
	v_mul_f64_e32 v[82:83], v[98:99], v[82:83]
	v_add_f64_e32 v[4:5], v[4:5], v[78:79]
	v_add_f64_e32 v[12:13], v[12:13], v[132:133]
	v_fmac_f64_e32 v[128:129], v[76:77], v[116:117]
	v_fma_f64 v[106:107], v[74:75], v[116:117], -v[118:119]
	v_fmac_f64_e32 v[104:105], v[98:99], v[80:81]
	v_fma_f64 v[80:81], v[96:97], v[80:81], -v[82:83]
	v_add_f64_e32 v[4:5], v[4:5], v[72:73]
	v_add_f64_e32 v[12:13], v[12:13], v[136:137]
	ds_load_b128 v[72:75], v2 offset:800
	ds_load_b128 v[76:79], v2 offset:816
	s_wait_loadcnt_dscnt 0x701
	v_mul_f64_e32 v[116:117], v[72:73], v[126:127]
	v_mul_f64_e32 v[118:119], v[74:75], v[126:127]
	s_wait_loadcnt_dscnt 0x600
	v_mul_f64_e32 v[96:97], v[76:77], v[90:91]
	v_mul_f64_e32 v[90:91], v[78:79], v[90:91]
	v_add_f64_e32 v[4:5], v[4:5], v[106:107]
	v_add_f64_e32 v[12:13], v[12:13], v[128:129]
	v_fmac_f64_e32 v[116:117], v[74:75], v[124:125]
	v_fma_f64 v[98:99], v[72:73], v[124:125], -v[118:119]
	v_fmac_f64_e32 v[96:97], v[78:79], v[88:89]
	v_fma_f64 v[76:77], v[76:77], v[88:89], -v[90:91]
	v_add_f64_e32 v[4:5], v[4:5], v[80:81]
	v_add_f64_e32 v[12:13], v[12:13], v[104:105]
	ds_load_b128 v[72:75], v2 offset:832
	ds_load_b128 v[80:83], v2 offset:848
	;; [unrolled: 16-line block ×4, first 2 shown]
	s_wait_loadcnt_dscnt 0x101
	v_mul_f64_e32 v[88:89], v[72:73], v[114:115]
	v_mul_f64_e32 v[90:91], v[74:75], v[114:115]
	v_add_f64_e32 v[78:79], v[80:81], v[86:87]
	v_add_f64_e32 v[12:13], v[12:13], v[96:97]
	s_wait_loadcnt_dscnt 0x0
	v_mul_f64_e32 v[80:81], v[2:3], v[10:11]
	v_mul_f64_e32 v[10:11], v[4:5], v[10:11]
	v_fmac_f64_e32 v[88:89], v[74:75], v[112:113]
	v_fma_f64 v[72:73], v[72:73], v[112:113], -v[90:91]
	v_add_f64_e32 v[74:75], v[78:79], v[76:77]
	v_add_f64_e32 v[12:13], v[12:13], v[82:83]
	v_fmac_f64_e32 v[80:81], v[4:5], v[8:9]
	v_fma_f64 v[2:3], v[2:3], v[8:9], -v[10:11]
	s_delay_alu instid0(VALU_DEP_4) | instskip(NEXT) | instid1(VALU_DEP_4)
	v_add_f64_e32 v[4:5], v[74:75], v[72:73]
	v_add_f64_e32 v[8:9], v[12:13], v[88:89]
	s_delay_alu instid0(VALU_DEP_2) | instskip(NEXT) | instid1(VALU_DEP_2)
	v_add_f64_e32 v[2:3], v[4:5], v[2:3]
	v_add_f64_e32 v[4:5], v[8:9], v[80:81]
	s_delay_alu instid0(VALU_DEP_2) | instskip(NEXT) | instid1(VALU_DEP_2)
	v_add_f64_e64 v[2:3], v[120:121], -v[2:3]
	v_add_f64_e64 v[4:5], v[122:123], -v[4:5]
	scratch_store_b128 off, v[2:5], off offset:64
	s_wait_xcnt 0x0
	v_cmpx_lt_u32_e32 3, v1
	s_cbranch_execz .LBB28_181
; %bb.180:
	scratch_load_b128 v[2:5], off, s9
	v_mov_b32_e32 v8, 0
	s_delay_alu instid0(VALU_DEP_1)
	v_dual_mov_b32 v9, v8 :: v_dual_mov_b32 v10, v8
	v_mov_b32_e32 v11, v8
	scratch_store_b128 off, v[8:11], off offset:48
	s_wait_loadcnt 0x0
	ds_store_b128 v6, v[2:5]
.LBB28_181:
	s_wait_xcnt 0x0
	s_or_b32 exec_lo, exec_lo, s2
	s_wait_storecnt_dscnt 0x0
	s_barrier_signal -1
	s_barrier_wait -1
	s_clause 0x9
	scratch_load_b128 v[8:11], off, off offset:64
	scratch_load_b128 v[72:75], off, off offset:80
	;; [unrolled: 1-line block ×10, first 2 shown]
	v_mov_b32_e32 v2, 0
	s_mov_b32 s2, exec_lo
	ds_load_b128 v[108:111], v2 offset:528
	s_clause 0x2
	scratch_load_b128 v[112:115], off, off offset:224
	scratch_load_b128 v[116:119], off, off offset:48
	;; [unrolled: 1-line block ×3, first 2 shown]
	s_wait_loadcnt_dscnt 0xc00
	v_mul_f64_e32 v[4:5], v[110:111], v[10:11]
	v_mul_f64_e32 v[132:133], v[108:109], v[10:11]
	ds_load_b128 v[120:123], v2 offset:544
	scratch_load_b128 v[10:13], off, off offset:240
	ds_load_b128 v[128:131], v2 offset:576
	v_fma_f64 v[4:5], v[108:109], v[8:9], -v[4:5]
	v_fmac_f64_e32 v[132:133], v[110:111], v[8:9]
	ds_load_b128 v[108:111], v2 offset:560
	s_wait_loadcnt_dscnt 0xc02
	v_mul_f64_e32 v[134:135], v[120:121], v[74:75]
	v_mul_f64_e32 v[74:75], v[122:123], v[74:75]
	s_wait_loadcnt_dscnt 0xb00
	v_mul_f64_e32 v[8:9], v[108:109], v[78:79]
	v_mul_f64_e32 v[78:79], v[110:111], v[78:79]
	v_add_f64_e32 v[4:5], 0, v[4:5]
	v_fmac_f64_e32 v[134:135], v[122:123], v[72:73]
	v_fma_f64 v[120:121], v[120:121], v[72:73], -v[74:75]
	v_add_f64_e32 v[122:123], 0, v[132:133]
	scratch_load_b128 v[72:75], off, off offset:272
	v_fmac_f64_e32 v[8:9], v[110:111], v[76:77]
	v_fma_f64 v[136:137], v[108:109], v[76:77], -v[78:79]
	ds_load_b128 v[76:79], v2 offset:592
	s_wait_loadcnt 0xb
	v_mul_f64_e32 v[132:133], v[128:129], v[82:83]
	v_mul_f64_e32 v[82:83], v[130:131], v[82:83]
	scratch_load_b128 v[108:111], off, off offset:288
	v_add_f64_e32 v[4:5], v[4:5], v[120:121]
	v_add_f64_e32 v[134:135], v[122:123], v[134:135]
	ds_load_b128 v[120:123], v2 offset:608
	s_wait_loadcnt_dscnt 0xb01
	v_mul_f64_e32 v[138:139], v[76:77], v[86:87]
	v_mul_f64_e32 v[86:87], v[78:79], v[86:87]
	v_fmac_f64_e32 v[132:133], v[130:131], v[80:81]
	v_fma_f64 v[128:129], v[128:129], v[80:81], -v[82:83]
	scratch_load_b128 v[80:83], off, off offset:304
	v_add_f64_e32 v[4:5], v[4:5], v[136:137]
	v_add_f64_e32 v[8:9], v[134:135], v[8:9]
	v_fmac_f64_e32 v[138:139], v[78:79], v[84:85]
	v_fma_f64 v[136:137], v[76:77], v[84:85], -v[86:87]
	ds_load_b128 v[76:79], v2 offset:624
	s_wait_loadcnt_dscnt 0xb01
	v_mul_f64_e32 v[134:135], v[120:121], v[90:91]
	v_mul_f64_e32 v[90:91], v[122:123], v[90:91]
	scratch_load_b128 v[84:87], off, off offset:320
	v_add_f64_e32 v[4:5], v[4:5], v[128:129]
	v_add_f64_e32 v[8:9], v[8:9], v[132:133]
	s_wait_loadcnt_dscnt 0xb00
	v_mul_f64_e32 v[132:133], v[76:77], v[94:95]
	v_mul_f64_e32 v[94:95], v[78:79], v[94:95]
	ds_load_b128 v[128:131], v2 offset:640
	v_fmac_f64_e32 v[134:135], v[122:123], v[88:89]
	v_fma_f64 v[120:121], v[120:121], v[88:89], -v[90:91]
	scratch_load_b128 v[88:91], off, off offset:336
	v_add_f64_e32 v[4:5], v[4:5], v[136:137]
	v_add_f64_e32 v[8:9], v[8:9], v[138:139]
	v_fmac_f64_e32 v[132:133], v[78:79], v[92:93]
	v_fma_f64 v[138:139], v[76:77], v[92:93], -v[94:95]
	ds_load_b128 v[76:79], v2 offset:656
	s_wait_loadcnt_dscnt 0xb01
	v_mul_f64_e32 v[136:137], v[128:129], v[98:99]
	v_mul_f64_e32 v[98:99], v[130:131], v[98:99]
	scratch_load_b128 v[92:95], off, off offset:352
	v_add_f64_e32 v[4:5], v[4:5], v[120:121]
	v_add_f64_e32 v[8:9], v[8:9], v[134:135]
	s_wait_loadcnt_dscnt 0xb00
	v_mul_f64_e32 v[134:135], v[76:77], v[102:103]
	v_mul_f64_e32 v[102:103], v[78:79], v[102:103]
	ds_load_b128 v[120:123], v2 offset:672
	;; [unrolled: 18-line block ×3, first 2 shown]
	v_fmac_f64_e32 v[132:133], v[122:123], v[104:105]
	v_fma_f64 v[120:121], v[120:121], v[104:105], -v[106:107]
	scratch_load_b128 v[104:107], off, off offset:400
	v_add_f64_e32 v[4:5], v[4:5], v[138:139]
	v_add_f64_e32 v[8:9], v[8:9], v[134:135]
	v_fmac_f64_e32 v[136:137], v[78:79], v[112:113]
	v_fma_f64 v[138:139], v[76:77], v[112:113], -v[114:115]
	ds_load_b128 v[76:79], v2 offset:720
	s_wait_loadcnt_dscnt 0x901
	v_mul_f64_e32 v[134:135], v[128:129], v[12:13]
	v_mul_f64_e32 v[12:13], v[130:131], v[12:13]
	scratch_load_b128 v[112:115], off, off offset:416
	v_add_f64_e32 v[4:5], v[4:5], v[120:121]
	v_add_f64_e32 v[8:9], v[8:9], v[132:133]
	s_wait_dscnt 0x0
	v_mul_f64_e32 v[132:133], v[76:77], v[126:127]
	v_mul_f64_e32 v[126:127], v[78:79], v[126:127]
	ds_load_b128 v[120:123], v2 offset:736
	v_fmac_f64_e32 v[134:135], v[130:131], v[10:11]
	v_fma_f64 v[12:13], v[128:129], v[10:11], -v[12:13]
	v_add_f64_e32 v[4:5], v[4:5], v[138:139]
	v_add_f64_e32 v[128:129], v[8:9], v[136:137]
	scratch_load_b128 v[8:11], off, off offset:432
	v_fmac_f64_e32 v[132:133], v[78:79], v[124:125]
	v_fma_f64 v[78:79], v[76:77], v[124:125], -v[126:127]
	scratch_load_b128 v[124:127], off, off offset:448
	v_add_f64_e32 v[4:5], v[4:5], v[12:13]
	v_add_f64_e32 v[12:13], v[128:129], v[134:135]
	ds_load_b128 v[128:131], v2 offset:768
	s_wait_loadcnt_dscnt 0xb01
	v_mul_f64_e32 v[136:137], v[120:121], v[74:75]
	v_mul_f64_e32 v[138:139], v[122:123], v[74:75]
	ds_load_b128 v[74:77], v2 offset:752
	s_wait_loadcnt_dscnt 0xa00
	v_mul_f64_e32 v[134:135], v[74:75], v[110:111]
	v_mul_f64_e32 v[110:111], v[76:77], v[110:111]
	v_add_f64_e32 v[4:5], v[4:5], v[78:79]
	v_add_f64_e32 v[12:13], v[12:13], v[132:133]
	v_fmac_f64_e32 v[136:137], v[122:123], v[72:73]
	v_fma_f64 v[72:73], v[120:121], v[72:73], -v[138:139]
	s_wait_loadcnt 0x9
	v_mul_f64_e32 v[120:121], v[128:129], v[82:83]
	v_mul_f64_e32 v[82:83], v[130:131], v[82:83]
	v_fmac_f64_e32 v[134:135], v[76:77], v[108:109]
	v_fma_f64 v[108:109], v[74:75], v[108:109], -v[110:111]
	v_add_f64_e32 v[12:13], v[12:13], v[136:137]
	v_add_f64_e32 v[4:5], v[4:5], v[72:73]
	ds_load_b128 v[72:75], v2 offset:784
	ds_load_b128 v[76:79], v2 offset:800
	v_fmac_f64_e32 v[120:121], v[130:131], v[80:81]
	v_fma_f64 v[80:81], v[128:129], v[80:81], -v[82:83]
	s_wait_loadcnt_dscnt 0x801
	v_mul_f64_e32 v[110:111], v[72:73], v[86:87]
	v_mul_f64_e32 v[86:87], v[74:75], v[86:87]
	v_add_f64_e32 v[12:13], v[12:13], v[134:135]
	v_add_f64_e32 v[4:5], v[4:5], v[108:109]
	s_wait_loadcnt_dscnt 0x700
	v_mul_f64_e32 v[108:109], v[76:77], v[90:91]
	v_mul_f64_e32 v[90:91], v[78:79], v[90:91]
	v_fmac_f64_e32 v[110:111], v[74:75], v[84:85]
	v_fma_f64 v[84:85], v[72:73], v[84:85], -v[86:87]
	v_add_f64_e32 v[12:13], v[12:13], v[120:121]
	v_add_f64_e32 v[4:5], v[4:5], v[80:81]
	ds_load_b128 v[72:75], v2 offset:816
	ds_load_b128 v[80:83], v2 offset:832
	v_fmac_f64_e32 v[108:109], v[78:79], v[88:89]
	v_fma_f64 v[76:77], v[76:77], v[88:89], -v[90:91]
	s_wait_loadcnt_dscnt 0x601
	v_mul_f64_e32 v[86:87], v[72:73], v[94:95]
	v_mul_f64_e32 v[94:95], v[74:75], v[94:95]
	s_wait_loadcnt_dscnt 0x500
	v_mul_f64_e32 v[88:89], v[82:83], v[98:99]
	v_add_f64_e32 v[12:13], v[12:13], v[110:111]
	v_add_f64_e32 v[4:5], v[4:5], v[84:85]
	v_mul_f64_e32 v[84:85], v[80:81], v[98:99]
	v_fmac_f64_e32 v[86:87], v[74:75], v[92:93]
	v_fma_f64 v[90:91], v[72:73], v[92:93], -v[94:95]
	v_fma_f64 v[80:81], v[80:81], v[96:97], -v[88:89]
	v_add_f64_e32 v[12:13], v[12:13], v[108:109]
	v_add_f64_e32 v[4:5], v[4:5], v[76:77]
	ds_load_b128 v[72:75], v2 offset:848
	ds_load_b128 v[76:79], v2 offset:864
	v_fmac_f64_e32 v[84:85], v[82:83], v[96:97]
	s_wait_loadcnt_dscnt 0x401
	v_mul_f64_e32 v[92:93], v[72:73], v[102:103]
	v_mul_f64_e32 v[94:95], v[74:75], v[102:103]
	s_wait_loadcnt_dscnt 0x300
	v_mul_f64_e32 v[88:89], v[78:79], v[106:107]
	v_add_f64_e32 v[12:13], v[12:13], v[86:87]
	v_add_f64_e32 v[4:5], v[4:5], v[90:91]
	v_mul_f64_e32 v[86:87], v[76:77], v[106:107]
	v_fmac_f64_e32 v[92:93], v[74:75], v[100:101]
	v_fma_f64 v[90:91], v[72:73], v[100:101], -v[94:95]
	v_fma_f64 v[76:77], v[76:77], v[104:105], -v[88:89]
	v_add_f64_e32 v[12:13], v[12:13], v[84:85]
	v_add_f64_e32 v[4:5], v[4:5], v[80:81]
	ds_load_b128 v[72:75], v2 offset:880
	ds_load_b128 v[80:83], v2 offset:896
	v_fmac_f64_e32 v[86:87], v[78:79], v[104:105]
	s_wait_loadcnt_dscnt 0x201
	v_mul_f64_e32 v[84:85], v[72:73], v[114:115]
	v_mul_f64_e32 v[94:95], v[74:75], v[114:115]
	s_wait_loadcnt_dscnt 0x100
	v_mul_f64_e32 v[78:79], v[80:81], v[10:11]
	v_add_f64_e32 v[12:13], v[12:13], v[92:93]
	v_add_f64_e32 v[4:5], v[4:5], v[90:91]
	v_mul_f64_e32 v[88:89], v[82:83], v[10:11]
	v_fmac_f64_e32 v[84:85], v[74:75], v[112:113]
	v_fma_f64 v[72:73], v[72:73], v[112:113], -v[94:95]
	v_fmac_f64_e32 v[78:79], v[82:83], v[8:9]
	v_add_f64_e32 v[74:75], v[12:13], v[86:87]
	v_add_f64_e32 v[4:5], v[4:5], v[76:77]
	ds_load_b128 v[10:13], v2 offset:912
	v_fma_f64 v[8:9], v[80:81], v[8:9], -v[88:89]
	s_wait_loadcnt_dscnt 0x0
	v_mul_f64_e32 v[76:77], v[10:11], v[126:127]
	v_mul_f64_e32 v[86:87], v[12:13], v[126:127]
	v_add_f64_e32 v[4:5], v[4:5], v[72:73]
	v_add_f64_e32 v[72:73], v[74:75], v[84:85]
	s_delay_alu instid0(VALU_DEP_4) | instskip(NEXT) | instid1(VALU_DEP_4)
	v_fmac_f64_e32 v[76:77], v[12:13], v[124:125]
	v_fma_f64 v[10:11], v[10:11], v[124:125], -v[86:87]
	s_delay_alu instid0(VALU_DEP_4) | instskip(NEXT) | instid1(VALU_DEP_4)
	v_add_f64_e32 v[4:5], v[4:5], v[8:9]
	v_add_f64_e32 v[8:9], v[72:73], v[78:79]
	s_delay_alu instid0(VALU_DEP_2) | instskip(NEXT) | instid1(VALU_DEP_2)
	v_add_f64_e32 v[4:5], v[4:5], v[10:11]
	v_add_f64_e32 v[10:11], v[8:9], v[76:77]
	s_delay_alu instid0(VALU_DEP_2) | instskip(NEXT) | instid1(VALU_DEP_2)
	v_add_f64_e64 v[8:9], v[116:117], -v[4:5]
	v_add_f64_e64 v[10:11], v[118:119], -v[10:11]
	scratch_store_b128 off, v[8:11], off offset:48
	s_wait_xcnt 0x0
	v_cmpx_lt_u32_e32 2, v1
	s_cbranch_execz .LBB28_183
; %bb.182:
	scratch_load_b128 v[8:11], off, s8
	v_dual_mov_b32 v3, v2 :: v_dual_mov_b32 v4, v2
	v_mov_b32_e32 v5, v2
	scratch_store_b128 off, v[2:5], off offset:32
	s_wait_loadcnt 0x0
	ds_store_b128 v6, v[8:11]
.LBB28_183:
	s_wait_xcnt 0x0
	s_or_b32 exec_lo, exec_lo, s2
	s_wait_storecnt_dscnt 0x0
	s_barrier_signal -1
	s_barrier_wait -1
	s_clause 0x9
	scratch_load_b128 v[8:11], off, off offset:48
	scratch_load_b128 v[72:75], off, off offset:64
	;; [unrolled: 1-line block ×10, first 2 shown]
	ds_load_b128 v[108:111], v2 offset:512
	ds_load_b128 v[116:119], v2 offset:528
	s_clause 0x1
	scratch_load_b128 v[112:115], off, off offset:208
	scratch_load_b128 v[120:123], off, off offset:32
	s_mov_b32 s2, exec_lo
	v_ashrrev_i32_e32 v21, 31, v20
	v_ashrrev_i32_e32 v25, 31, v24
	;; [unrolled: 1-line block ×3, first 2 shown]
	v_dual_ashrrev_i32 v33, 31, v32 :: v_dual_ashrrev_i32 v19, 31, v18
	v_dual_ashrrev_i32 v23, 31, v22 :: v_dual_ashrrev_i32 v37, 31, v36
	;; [unrolled: 1-line block ×10, first 2 shown]
	v_ashrrev_i32_e32 v59, 31, v58
	v_ashrrev_i32_e32 v63, 31, v62
	;; [unrolled: 1-line block ×4, first 2 shown]
	s_wait_loadcnt_dscnt 0xb01
	v_mul_f64_e32 v[4:5], v[110:111], v[10:11]
	v_mul_f64_e32 v[132:133], v[108:109], v[10:11]
	scratch_load_b128 v[10:13], off, off offset:224
	s_wait_loadcnt_dscnt 0xb00
	v_mul_f64_e32 v[134:135], v[116:117], v[74:75]
	v_mul_f64_e32 v[74:75], v[118:119], v[74:75]
	v_fma_f64 v[4:5], v[108:109], v[8:9], -v[4:5]
	v_fmac_f64_e32 v[132:133], v[110:111], v[8:9]
	ds_load_b128 v[108:111], v2 offset:544
	ds_load_b128 v[124:127], v2 offset:560
	scratch_load_b128 v[128:131], off, off offset:240
	v_fmac_f64_e32 v[134:135], v[118:119], v[72:73]
	v_fma_f64 v[116:117], v[116:117], v[72:73], -v[74:75]
	scratch_load_b128 v[72:75], off, off offset:256
	s_wait_loadcnt_dscnt 0xc01
	v_mul_f64_e32 v[8:9], v[108:109], v[78:79]
	v_mul_f64_e32 v[78:79], v[110:111], v[78:79]
	v_add_f64_e32 v[4:5], 0, v[4:5]
	v_add_f64_e32 v[118:119], 0, v[132:133]
	s_wait_loadcnt_dscnt 0xb00
	v_mul_f64_e32 v[132:133], v[124:125], v[82:83]
	v_mul_f64_e32 v[82:83], v[126:127], v[82:83]
	v_fmac_f64_e32 v[8:9], v[110:111], v[76:77]
	v_fma_f64 v[136:137], v[108:109], v[76:77], -v[78:79]
	ds_load_b128 v[76:79], v2 offset:576
	ds_load_b128 v[108:111], v2 offset:592
	v_add_f64_e32 v[4:5], v[4:5], v[116:117]
	v_add_f64_e32 v[134:135], v[118:119], v[134:135]
	scratch_load_b128 v[116:119], off, off offset:272
	v_fmac_f64_e32 v[132:133], v[126:127], v[80:81]
	v_fma_f64 v[124:125], v[124:125], v[80:81], -v[82:83]
	scratch_load_b128 v[80:83], off, off offset:288
	s_wait_loadcnt_dscnt 0xc01
	v_mul_f64_e32 v[138:139], v[76:77], v[86:87]
	v_mul_f64_e32 v[86:87], v[78:79], v[86:87]
	v_add_f64_e32 v[4:5], v[4:5], v[136:137]
	v_add_f64_e32 v[8:9], v[134:135], v[8:9]
	s_wait_loadcnt_dscnt 0xb00
	v_mul_f64_e32 v[134:135], v[108:109], v[90:91]
	v_mul_f64_e32 v[90:91], v[110:111], v[90:91]
	v_fmac_f64_e32 v[138:139], v[78:79], v[84:85]
	v_fma_f64 v[136:137], v[76:77], v[84:85], -v[86:87]
	ds_load_b128 v[76:79], v2 offset:608
	ds_load_b128 v[84:87], v2 offset:624
	v_add_f64_e32 v[4:5], v[4:5], v[124:125]
	v_add_f64_e32 v[8:9], v[8:9], v[132:133]
	scratch_load_b128 v[124:127], off, off offset:304
	s_wait_loadcnt_dscnt 0xb01
	v_mul_f64_e32 v[132:133], v[76:77], v[94:95]
	v_mul_f64_e32 v[94:95], v[78:79], v[94:95]
	v_fmac_f64_e32 v[134:135], v[110:111], v[88:89]
	v_fma_f64 v[108:109], v[108:109], v[88:89], -v[90:91]
	scratch_load_b128 v[88:91], off, off offset:320
	v_add_f64_e32 v[4:5], v[4:5], v[136:137]
	v_add_f64_e32 v[8:9], v[8:9], v[138:139]
	s_wait_loadcnt_dscnt 0xb00
	v_mul_f64_e32 v[136:137], v[84:85], v[98:99]
	v_mul_f64_e32 v[98:99], v[86:87], v[98:99]
	v_fmac_f64_e32 v[132:133], v[78:79], v[92:93]
	v_fma_f64 v[138:139], v[76:77], v[92:93], -v[94:95]
	ds_load_b128 v[76:79], v2 offset:640
	ds_load_b128 v[92:95], v2 offset:656
	v_add_f64_e32 v[4:5], v[4:5], v[108:109]
	v_add_f64_e32 v[8:9], v[8:9], v[134:135]
	scratch_load_b128 v[108:111], off, off offset:336
	s_wait_loadcnt_dscnt 0xb01
	v_mul_f64_e32 v[134:135], v[76:77], v[102:103]
	v_mul_f64_e32 v[102:103], v[78:79], v[102:103]
	v_fmac_f64_e32 v[136:137], v[86:87], v[96:97]
	v_fma_f64 v[96:97], v[84:85], v[96:97], -v[98:99]
	scratch_load_b128 v[84:87], off, off offset:352
	v_add_f64_e32 v[4:5], v[4:5], v[138:139]
	v_add_f64_e32 v[8:9], v[8:9], v[132:133]
	s_wait_loadcnt_dscnt 0xb00
	v_mul_f64_e32 v[132:133], v[92:93], v[106:107]
	v_mul_f64_e32 v[106:107], v[94:95], v[106:107]
	v_fmac_f64_e32 v[134:135], v[78:79], v[100:101]
	v_fma_f64 v[138:139], v[76:77], v[100:101], -v[102:103]
	v_add_f64_e32 v[4:5], v[4:5], v[96:97]
	v_add_f64_e32 v[8:9], v[8:9], v[136:137]
	ds_load_b128 v[76:79], v2 offset:672
	ds_load_b128 v[96:99], v2 offset:688
	scratch_load_b128 v[100:103], off, off offset:368
	v_fmac_f64_e32 v[132:133], v[94:95], v[104:105]
	v_fma_f64 v[104:105], v[92:93], v[104:105], -v[106:107]
	scratch_load_b128 v[92:95], off, off offset:384
	s_wait_loadcnt_dscnt 0xc01
	v_mul_f64_e32 v[136:137], v[76:77], v[114:115]
	v_mul_f64_e32 v[114:115], v[78:79], v[114:115]
	v_add_f64_e32 v[4:5], v[4:5], v[138:139]
	v_add_f64_e32 v[8:9], v[8:9], v[134:135]
	s_wait_loadcnt_dscnt 0xa00
	v_mul_f64_e32 v[134:135], v[96:97], v[12:13]
	v_mul_f64_e32 v[12:13], v[98:99], v[12:13]
	v_fmac_f64_e32 v[136:137], v[78:79], v[112:113]
	v_fma_f64 v[138:139], v[76:77], v[112:113], -v[114:115]
	v_add_f64_e32 v[4:5], v[4:5], v[104:105]
	v_add_f64_e32 v[8:9], v[8:9], v[132:133]
	ds_load_b128 v[76:79], v2 offset:704
	ds_load_b128 v[104:107], v2 offset:720
	scratch_load_b128 v[112:115], off, off offset:400
	v_fmac_f64_e32 v[134:135], v[98:99], v[10:11]
	v_fma_f64 v[12:13], v[96:97], v[10:11], -v[12:13]
	s_wait_loadcnt_dscnt 0xa01
	v_mul_f64_e32 v[132:133], v[76:77], v[130:131]
	v_mul_f64_e32 v[130:131], v[78:79], v[130:131]
	v_add_f64_e32 v[4:5], v[4:5], v[138:139]
	v_add_f64_e32 v[96:97], v[8:9], v[136:137]
	scratch_load_b128 v[8:11], off, off offset:416
	s_wait_loadcnt_dscnt 0xa00
	v_mul_f64_e32 v[136:137], v[104:105], v[74:75]
	v_mul_f64_e32 v[138:139], v[106:107], v[74:75]
	v_fmac_f64_e32 v[132:133], v[78:79], v[128:129]
	v_fma_f64 v[78:79], v[76:77], v[128:129], -v[130:131]
	v_add_f64_e32 v[4:5], v[4:5], v[12:13]
	v_add_f64_e32 v[12:13], v[96:97], v[134:135]
	ds_load_b128 v[74:77], v2 offset:736
	ds_load_b128 v[96:99], v2 offset:752
	scratch_load_b128 v[128:131], off, off offset:432
	v_fmac_f64_e32 v[136:137], v[106:107], v[72:73]
	v_fma_f64 v[72:73], v[104:105], v[72:73], -v[138:139]
	scratch_load_b128 v[104:107], off, off offset:448
	s_wait_loadcnt_dscnt 0xb01
	v_mul_f64_e32 v[134:135], v[74:75], v[118:119]
	v_mul_f64_e32 v[118:119], v[76:77], v[118:119]
	v_add_f64_e32 v[4:5], v[4:5], v[78:79]
	v_add_f64_e32 v[12:13], v[12:13], v[132:133]
	s_wait_loadcnt_dscnt 0xa00
	v_mul_f64_e32 v[132:133], v[96:97], v[82:83]
	v_mul_f64_e32 v[82:83], v[98:99], v[82:83]
	v_fmac_f64_e32 v[134:135], v[76:77], v[116:117]
	v_fma_f64 v[116:117], v[74:75], v[116:117], -v[118:119]
	v_add_f64_e32 v[4:5], v[4:5], v[72:73]
	v_add_f64_e32 v[12:13], v[12:13], v[136:137]
	ds_load_b128 v[72:75], v2 offset:768
	ds_load_b128 v[76:79], v2 offset:784
	v_fmac_f64_e32 v[132:133], v[98:99], v[80:81]
	v_fma_f64 v[80:81], v[96:97], v[80:81], -v[82:83]
	s_wait_loadcnt_dscnt 0x901
	v_mul_f64_e32 v[118:119], v[72:73], v[126:127]
	v_mul_f64_e32 v[126:127], v[74:75], v[126:127]
	s_wait_loadcnt_dscnt 0x800
	v_mul_f64_e32 v[96:97], v[76:77], v[90:91]
	v_mul_f64_e32 v[90:91], v[78:79], v[90:91]
	v_add_f64_e32 v[4:5], v[4:5], v[116:117]
	v_add_f64_e32 v[12:13], v[12:13], v[134:135]
	v_fmac_f64_e32 v[118:119], v[74:75], v[124:125]
	v_fma_f64 v[98:99], v[72:73], v[124:125], -v[126:127]
	v_fmac_f64_e32 v[96:97], v[78:79], v[88:89]
	v_fma_f64 v[76:77], v[76:77], v[88:89], -v[90:91]
	v_add_f64_e32 v[4:5], v[4:5], v[80:81]
	v_add_f64_e32 v[12:13], v[12:13], v[132:133]
	ds_load_b128 v[72:75], v2 offset:800
	ds_load_b128 v[80:83], v2 offset:816
	s_wait_loadcnt_dscnt 0x701
	v_mul_f64_e32 v[116:117], v[72:73], v[110:111]
	v_mul_f64_e32 v[110:111], v[74:75], v[110:111]
	s_wait_loadcnt_dscnt 0x600
	v_mul_f64_e32 v[88:89], v[80:81], v[86:87]
	v_mul_f64_e32 v[86:87], v[82:83], v[86:87]
	v_add_f64_e32 v[4:5], v[4:5], v[98:99]
	v_add_f64_e32 v[12:13], v[12:13], v[118:119]
	v_fmac_f64_e32 v[116:117], v[74:75], v[108:109]
	v_fma_f64 v[90:91], v[72:73], v[108:109], -v[110:111]
	v_fmac_f64_e32 v[88:89], v[82:83], v[84:85]
	v_fma_f64 v[80:81], v[80:81], v[84:85], -v[86:87]
	v_add_f64_e32 v[4:5], v[4:5], v[76:77]
	v_add_f64_e32 v[12:13], v[12:13], v[96:97]
	ds_load_b128 v[72:75], v2 offset:832
	ds_load_b128 v[76:79], v2 offset:848
	;; [unrolled: 16-line block ×3, first 2 shown]
	s_wait_loadcnt_dscnt 0x301
	v_mul_f64_e32 v[88:89], v[72:73], v[114:115]
	v_mul_f64_e32 v[94:95], v[74:75], v[114:115]
	v_add_f64_e32 v[4:5], v[4:5], v[90:91]
	v_add_f64_e32 v[12:13], v[12:13], v[96:97]
	s_wait_loadcnt_dscnt 0x200
	v_mul_f64_e32 v[78:79], v[80:81], v[10:11]
	v_mul_f64_e32 v[86:87], v[82:83], v[10:11]
	v_fmac_f64_e32 v[88:89], v[74:75], v[112:113]
	v_fma_f64 v[72:73], v[72:73], v[112:113], -v[94:95]
	v_add_f64_e32 v[74:75], v[4:5], v[76:77]
	v_add_f64_e32 v[76:77], v[12:13], v[84:85]
	ds_load_b128 v[10:13], v2 offset:896
	ds_load_b128 v[2:5], v2 offset:912
	v_fmac_f64_e32 v[78:79], v[82:83], v[8:9]
	v_fma_f64 v[8:9], v[80:81], v[8:9], -v[86:87]
	s_wait_loadcnt_dscnt 0x101
	v_mul_f64_e32 v[84:85], v[10:11], v[130:131]
	v_mul_f64_e32 v[90:91], v[12:13], v[130:131]
	s_wait_loadcnt_dscnt 0x0
	v_mul_f64_e32 v[80:81], v[4:5], v[106:107]
	v_add_f64_e32 v[72:73], v[74:75], v[72:73]
	v_add_f64_e32 v[74:75], v[76:77], v[88:89]
	v_mul_f64_e32 v[76:77], v[2:3], v[106:107]
	v_fmac_f64_e32 v[84:85], v[12:13], v[128:129]
	v_fma_f64 v[10:11], v[10:11], v[128:129], -v[90:91]
	v_fma_f64 v[2:3], v[2:3], v[104:105], -v[80:81]
	v_add_f64_e32 v[8:9], v[72:73], v[8:9]
	v_add_f64_e32 v[12:13], v[74:75], v[78:79]
	v_fmac_f64_e32 v[76:77], v[4:5], v[104:105]
	s_delay_alu instid0(VALU_DEP_3) | instskip(NEXT) | instid1(VALU_DEP_3)
	v_add_f64_e32 v[4:5], v[8:9], v[10:11]
	v_add_f64_e32 v[8:9], v[12:13], v[84:85]
	s_delay_alu instid0(VALU_DEP_2) | instskip(NEXT) | instid1(VALU_DEP_2)
	v_add_f64_e32 v[2:3], v[4:5], v[2:3]
	v_add_f64_e32 v[4:5], v[8:9], v[76:77]
	s_delay_alu instid0(VALU_DEP_2) | instskip(NEXT) | instid1(VALU_DEP_2)
	v_add_f64_e64 v[2:3], v[120:121], -v[2:3]
	v_add_f64_e64 v[4:5], v[122:123], -v[4:5]
	scratch_store_b128 off, v[2:5], off offset:32
	s_wait_xcnt 0x0
	v_cmpx_lt_u32_e32 1, v1
	s_cbranch_execz .LBB28_185
; %bb.184:
	scratch_load_b128 v[2:5], off, s12
	v_mov_b32_e32 v8, 0
	s_delay_alu instid0(VALU_DEP_1)
	v_dual_mov_b32 v9, v8 :: v_dual_mov_b32 v10, v8
	v_mov_b32_e32 v11, v8
	scratch_store_b128 off, v[8:11], off offset:16
	s_wait_loadcnt 0x0
	ds_store_b128 v6, v[2:5]
.LBB28_185:
	s_wait_xcnt 0x0
	s_or_b32 exec_lo, exec_lo, s2
	s_wait_storecnt_dscnt 0x0
	s_barrier_signal -1
	s_barrier_wait -1
	s_clause 0x9
	scratch_load_b128 v[8:11], off, off offset:32
	scratch_load_b128 v[72:75], off, off offset:48
	;; [unrolled: 1-line block ×10, first 2 shown]
	v_mov_b32_e32 v2, 0
	s_clause 0x2
	scratch_load_b128 v[112:115], off, off offset:192
	scratch_load_b128 v[116:119], off, off offset:208
	;; [unrolled: 1-line block ×3, first 2 shown]
	s_mov_b32 s2, exec_lo
	ds_load_b128 v[108:111], v2 offset:496
	s_wait_loadcnt_dscnt 0xc00
	v_mul_f64_e32 v[4:5], v[110:111], v[10:11]
	v_mul_f64_e32 v[124:125], v[108:109], v[10:11]
	ds_load_b128 v[10:13], v2 offset:512
	v_fma_f64 v[4:5], v[108:109], v[8:9], -v[4:5]
	v_fmac_f64_e32 v[124:125], v[110:111], v[8:9]
	ds_load_b128 v[108:111], v2 offset:528
	s_wait_loadcnt_dscnt 0xb01
	v_mul_f64_e32 v[126:127], v[10:11], v[74:75]
	v_mul_f64_e32 v[74:75], v[12:13], v[74:75]
	s_wait_loadcnt_dscnt 0xa00
	v_mul_f64_e32 v[128:129], v[108:109], v[78:79]
	v_mul_f64_e32 v[78:79], v[110:111], v[78:79]
	v_add_f64_e32 v[4:5], 0, v[4:5]
	v_add_f64_e32 v[124:125], 0, v[124:125]
	v_fmac_f64_e32 v[126:127], v[12:13], v[72:73]
	v_fma_f64 v[12:13], v[10:11], v[72:73], -v[74:75]
	ds_load_b128 v[8:11], v2 offset:544
	scratch_load_b128 v[72:75], off, off offset:240
	v_fmac_f64_e32 v[128:129], v[110:111], v[76:77]
	v_fma_f64 v[132:133], v[108:109], v[76:77], -v[78:79]
	ds_load_b128 v[76:79], v2 offset:560
	s_wait_loadcnt_dscnt 0xa01
	v_mul_f64_e32 v[130:131], v[8:9], v[82:83]
	v_mul_f64_e32 v[82:83], v[10:11], v[82:83]
	scratch_load_b128 v[108:111], off, off offset:256
	v_add_f64_e32 v[4:5], v[4:5], v[12:13]
	v_add_f64_e32 v[12:13], v[124:125], v[126:127]
	s_wait_loadcnt_dscnt 0xa00
	v_mul_f64_e32 v[124:125], v[76:77], v[86:87]
	v_mul_f64_e32 v[86:87], v[78:79], v[86:87]
	v_fmac_f64_e32 v[130:131], v[10:11], v[80:81]
	v_fma_f64 v[126:127], v[8:9], v[80:81], -v[82:83]
	ds_load_b128 v[8:11], v2 offset:576
	scratch_load_b128 v[80:83], off, off offset:272
	v_add_f64_e32 v[4:5], v[4:5], v[132:133]
	v_add_f64_e32 v[12:13], v[12:13], v[128:129]
	v_fmac_f64_e32 v[124:125], v[78:79], v[84:85]
	v_fma_f64 v[132:133], v[76:77], v[84:85], -v[86:87]
	ds_load_b128 v[76:79], v2 offset:592
	s_wait_loadcnt_dscnt 0xa01
	v_mul_f64_e32 v[128:129], v[8:9], v[90:91]
	v_mul_f64_e32 v[90:91], v[10:11], v[90:91]
	scratch_load_b128 v[84:87], off, off offset:288
	v_add_f64_e32 v[4:5], v[4:5], v[126:127]
	v_add_f64_e32 v[12:13], v[12:13], v[130:131]
	s_wait_loadcnt_dscnt 0xa00
	v_mul_f64_e32 v[126:127], v[76:77], v[94:95]
	v_mul_f64_e32 v[94:95], v[78:79], v[94:95]
	v_fmac_f64_e32 v[128:129], v[10:11], v[88:89]
	v_fma_f64 v[130:131], v[8:9], v[88:89], -v[90:91]
	scratch_load_b128 v[88:91], off, off offset:304
	ds_load_b128 v[8:11], v2 offset:608
	v_add_f64_e32 v[4:5], v[4:5], v[132:133]
	v_add_f64_e32 v[12:13], v[12:13], v[124:125]
	v_fmac_f64_e32 v[126:127], v[78:79], v[92:93]
	v_fma_f64 v[132:133], v[76:77], v[92:93], -v[94:95]
	ds_load_b128 v[76:79], v2 offset:624
	s_wait_loadcnt_dscnt 0xa01
	v_mul_f64_e32 v[124:125], v[8:9], v[98:99]
	v_mul_f64_e32 v[98:99], v[10:11], v[98:99]
	scratch_load_b128 v[92:95], off, off offset:320
	v_add_f64_e32 v[4:5], v[4:5], v[130:131]
	v_add_f64_e32 v[12:13], v[12:13], v[128:129]
	s_wait_loadcnt_dscnt 0xa00
	v_mul_f64_e32 v[128:129], v[76:77], v[102:103]
	v_mul_f64_e32 v[102:103], v[78:79], v[102:103]
	v_fmac_f64_e32 v[124:125], v[10:11], v[96:97]
	v_fma_f64 v[130:131], v[8:9], v[96:97], -v[98:99]
	ds_load_b128 v[8:11], v2 offset:640
	scratch_load_b128 v[96:99], off, off offset:336
	v_add_f64_e32 v[4:5], v[4:5], v[132:133]
	v_add_f64_e32 v[12:13], v[12:13], v[126:127]
	v_fmac_f64_e32 v[128:129], v[78:79], v[100:101]
	v_fma_f64 v[132:133], v[76:77], v[100:101], -v[102:103]
	ds_load_b128 v[76:79], v2 offset:656
	s_wait_loadcnt_dscnt 0xa01
	v_mul_f64_e32 v[126:127], v[8:9], v[106:107]
	v_mul_f64_e32 v[106:107], v[10:11], v[106:107]
	scratch_load_b128 v[100:103], off, off offset:352
	v_add_f64_e32 v[4:5], v[4:5], v[130:131]
	v_add_f64_e32 v[12:13], v[12:13], v[124:125]
	s_wait_loadcnt_dscnt 0xa00
	v_mul_f64_e32 v[124:125], v[76:77], v[114:115]
	v_mul_f64_e32 v[114:115], v[78:79], v[114:115]
	v_fmac_f64_e32 v[126:127], v[10:11], v[104:105]
	v_fma_f64 v[130:131], v[8:9], v[104:105], -v[106:107]
	ds_load_b128 v[8:11], v2 offset:672
	scratch_load_b128 v[104:107], off, off offset:368
	;; [unrolled: 18-line block ×3, first 2 shown]
	v_add_f64_e32 v[4:5], v[4:5], v[132:133]
	v_add_f64_e32 v[12:13], v[12:13], v[124:125]
	s_wait_loadcnt_dscnt 0xa00
	v_mul_f64_e32 v[132:133], v[8:9], v[74:75]
	v_mul_f64_e32 v[124:125], v[10:11], v[74:75]
	v_fmac_f64_e32 v[126:127], v[78:79], v[120:121]
	v_fma_f64 v[78:79], v[76:77], v[120:121], -v[122:123]
	ds_load_b128 v[74:77], v2 offset:720
	scratch_load_b128 v[120:123], off, off offset:416
	v_add_f64_e32 v[4:5], v[4:5], v[130:131]
	v_add_f64_e32 v[12:13], v[12:13], v[128:129]
	v_fmac_f64_e32 v[132:133], v[10:11], v[72:73]
	v_fma_f64 v[72:73], v[8:9], v[72:73], -v[124:125]
	ds_load_b128 v[8:11], v2 offset:736
	s_wait_loadcnt_dscnt 0xa01
	v_mul_f64_e32 v[128:129], v[74:75], v[110:111]
	v_mul_f64_e32 v[110:111], v[76:77], v[110:111]
	s_wait_loadcnt_dscnt 0x900
	v_mul_f64_e32 v[130:131], v[8:9], v[82:83]
	v_mul_f64_e32 v[82:83], v[10:11], v[82:83]
	v_add_f64_e32 v[4:5], v[4:5], v[78:79]
	v_add_f64_e32 v[12:13], v[12:13], v[126:127]
	scratch_load_b128 v[124:127], off, off offset:432
	v_fmac_f64_e32 v[128:129], v[76:77], v[108:109]
	v_fma_f64 v[108:109], v[74:75], v[108:109], -v[110:111]
	scratch_load_b128 v[76:79], off, off offset:448
	v_fmac_f64_e32 v[130:131], v[10:11], v[80:81]
	v_fma_f64 v[80:81], v[8:9], v[80:81], -v[82:83]
	ds_load_b128 v[8:11], v2 offset:768
	v_add_f64_e32 v[4:5], v[4:5], v[72:73]
	ds_load_b128 v[72:75], v2 offset:752
	v_add_f64_e32 v[12:13], v[12:13], v[132:133]
	s_wait_loadcnt_dscnt 0x901
	v_mul_f64_e32 v[82:83], v[10:11], v[90:91]
	v_add_f64_e32 v[4:5], v[4:5], v[108:109]
	v_mul_f64_e32 v[108:109], v[8:9], v[90:91]
	s_delay_alu instid0(VALU_DEP_4) | instskip(NEXT) | instid1(VALU_DEP_3)
	v_add_f64_e32 v[12:13], v[12:13], v[128:129]
	v_add_f64_e32 v[4:5], v[4:5], v[80:81]
	s_delay_alu instid0(VALU_DEP_3)
	v_fmac_f64_e32 v[108:109], v[10:11], v[88:89]
	v_fma_f64 v[88:89], v[8:9], v[88:89], -v[82:83]
	scratch_load_b128 v[80:83], off, off offset:16
	s_wait_dscnt 0x0
	v_mul_f64_e32 v[110:111], v[72:73], v[86:87]
	v_mul_f64_e32 v[86:87], v[74:75], v[86:87]
	v_add_f64_e32 v[12:13], v[12:13], v[130:131]
	ds_load_b128 v[8:11], v2 offset:800
	v_fmac_f64_e32 v[110:111], v[74:75], v[84:85]
	v_fma_f64 v[84:85], v[72:73], v[84:85], -v[86:87]
	ds_load_b128 v[72:75], v2 offset:784
	s_wait_loadcnt_dscnt 0x900
	v_mul_f64_e32 v[86:87], v[72:73], v[94:95]
	v_mul_f64_e32 v[90:91], v[74:75], v[94:95]
	s_wait_loadcnt 0x8
	v_mul_f64_e32 v[94:95], v[10:11], v[98:99]
	v_add_f64_e32 v[12:13], v[12:13], v[110:111]
	v_add_f64_e32 v[4:5], v[4:5], v[84:85]
	v_mul_f64_e32 v[84:85], v[8:9], v[98:99]
	v_fmac_f64_e32 v[86:87], v[74:75], v[92:93]
	v_fma_f64 v[90:91], v[72:73], v[92:93], -v[90:91]
	ds_load_b128 v[72:75], v2 offset:816
	v_fma_f64 v[94:95], v[8:9], v[96:97], -v[94:95]
	v_add_f64_e32 v[12:13], v[12:13], v[108:109]
	v_add_f64_e32 v[4:5], v[4:5], v[88:89]
	v_fmac_f64_e32 v[84:85], v[10:11], v[96:97]
	ds_load_b128 v[8:11], v2 offset:832
	s_wait_loadcnt_dscnt 0x701
	v_mul_f64_e32 v[88:89], v[72:73], v[102:103]
	v_mul_f64_e32 v[92:93], v[74:75], v[102:103]
	v_add_f64_e32 v[12:13], v[12:13], v[86:87]
	v_add_f64_e32 v[4:5], v[4:5], v[90:91]
	s_wait_loadcnt_dscnt 0x600
	v_mul_f64_e32 v[86:87], v[8:9], v[106:107]
	v_mul_f64_e32 v[90:91], v[10:11], v[106:107]
	v_fmac_f64_e32 v[88:89], v[74:75], v[100:101]
	v_fma_f64 v[92:93], v[72:73], v[100:101], -v[92:93]
	ds_load_b128 v[72:75], v2 offset:848
	v_add_f64_e32 v[12:13], v[12:13], v[84:85]
	v_add_f64_e32 v[4:5], v[4:5], v[94:95]
	v_fmac_f64_e32 v[86:87], v[10:11], v[104:105]
	v_fma_f64 v[90:91], v[8:9], v[104:105], -v[90:91]
	ds_load_b128 v[8:11], v2 offset:864
	s_wait_loadcnt_dscnt 0x501
	v_mul_f64_e32 v[84:85], v[72:73], v[114:115]
	v_mul_f64_e32 v[94:95], v[74:75], v[114:115]
	v_add_f64_e32 v[12:13], v[12:13], v[88:89]
	v_add_f64_e32 v[4:5], v[4:5], v[92:93]
	s_wait_loadcnt_dscnt 0x400
	v_mul_f64_e32 v[88:89], v[8:9], v[118:119]
	v_mul_f64_e32 v[92:93], v[10:11], v[118:119]
	v_fmac_f64_e32 v[84:85], v[74:75], v[112:113]
	v_fma_f64 v[94:95], v[72:73], v[112:113], -v[94:95]
	ds_load_b128 v[72:75], v2 offset:880
	v_add_f64_e32 v[12:13], v[12:13], v[86:87]
	v_add_f64_e32 v[4:5], v[4:5], v[90:91]
	v_fmac_f64_e32 v[88:89], v[10:11], v[116:117]
	v_fma_f64 v[92:93], v[8:9], v[116:117], -v[92:93]
	ds_load_b128 v[8:11], v2 offset:896
	s_wait_loadcnt_dscnt 0x301
	v_mul_f64_e32 v[86:87], v[72:73], v[122:123]
	v_mul_f64_e32 v[90:91], v[74:75], v[122:123]
	v_add_f64_e32 v[12:13], v[12:13], v[84:85]
	v_add_f64_e32 v[4:5], v[4:5], v[94:95]
	s_wait_loadcnt_dscnt 0x200
	v_mul_f64_e32 v[84:85], v[8:9], v[126:127]
	v_mul_f64_e32 v[94:95], v[10:11], v[126:127]
	v_fmac_f64_e32 v[86:87], v[74:75], v[120:121]
	v_fma_f64 v[90:91], v[72:73], v[120:121], -v[90:91]
	ds_load_b128 v[72:75], v2 offset:912
	v_add_f64_e32 v[12:13], v[12:13], v[88:89]
	v_add_f64_e32 v[4:5], v[4:5], v[92:93]
	s_wait_loadcnt_dscnt 0x100
	v_mul_f64_e32 v[88:89], v[72:73], v[78:79]
	v_mul_f64_e32 v[78:79], v[74:75], v[78:79]
	v_fmac_f64_e32 v[84:85], v[10:11], v[124:125]
	v_fma_f64 v[8:9], v[8:9], v[124:125], -v[94:95]
	v_add_f64_e32 v[10:11], v[12:13], v[86:87]
	v_add_f64_e32 v[4:5], v[4:5], v[90:91]
	v_fmac_f64_e32 v[88:89], v[74:75], v[76:77]
	v_fma_f64 v[12:13], v[72:73], v[76:77], -v[78:79]
	s_delay_alu instid0(VALU_DEP_3) | instskip(SKIP_1) | instid1(VALU_DEP_2)
	v_add_f64_e32 v[4:5], v[4:5], v[8:9]
	v_add_f64_e32 v[8:9], v[10:11], v[84:85]
	;; [unrolled: 1-line block ×3, first 2 shown]
	s_delay_alu instid0(VALU_DEP_2) | instskip(SKIP_1) | instid1(VALU_DEP_2)
	v_add_f64_e32 v[10:11], v[8:9], v[88:89]
	s_wait_loadcnt 0x0
	v_add_f64_e64 v[8:9], v[80:81], -v[4:5]
	s_delay_alu instid0(VALU_DEP_2)
	v_add_f64_e64 v[10:11], v[82:83], -v[10:11]
	scratch_store_b128 off, v[8:11], off offset:16
	s_wait_xcnt 0x0
	v_cmpx_ne_u32_e32 0, v1
	s_cbranch_execz .LBB28_187
; %bb.186:
	scratch_load_b128 v[8:11], off, off
	v_dual_mov_b32 v3, v2 :: v_dual_mov_b32 v4, v2
	v_mov_b32_e32 v5, v2
	scratch_store_b128 off, v[2:5], off
	s_wait_loadcnt 0x0
	ds_store_b128 v6, v[8:11]
.LBB28_187:
	s_wait_xcnt 0x0
	s_or_b32 exec_lo, exec_lo, s2
	s_wait_storecnt_dscnt 0x0
	s_barrier_signal -1
	s_barrier_wait -1
	s_clause 0x9
	scratch_load_b128 v[4:7], off, off offset:16
	scratch_load_b128 v[8:11], off, off offset:32
	;; [unrolled: 1-line block ×10, first 2 shown]
	ds_load_b128 v[104:107], v2 offset:480
	ds_load_b128 v[112:115], v2 offset:496
	s_clause 0x2
	scratch_load_b128 v[108:111], off, off offset:176
	scratch_load_b128 v[116:119], off, off
	scratch_load_b128 v[120:123], off, off offset:192
	s_and_b32 vcc_lo, exec_lo, s41
	s_wait_loadcnt_dscnt 0xc01
	v_mul_f64_e32 v[12:13], v[106:107], v[6:7]
	v_mul_f64_e32 v[124:125], v[104:105], v[6:7]
	s_wait_loadcnt_dscnt 0xb00
	v_mul_f64_e32 v[126:127], v[112:113], v[10:11]
	v_mul_f64_e32 v[128:129], v[114:115], v[10:11]
	s_delay_alu instid0(VALU_DEP_4) | instskip(NEXT) | instid1(VALU_DEP_4)
	v_fma_f64 v[130:131], v[104:105], v[4:5], -v[12:13]
	v_fmac_f64_e32 v[124:125], v[106:107], v[4:5]
	ds_load_b128 v[4:7], v2 offset:512
	ds_load_b128 v[10:13], v2 offset:528
	scratch_load_b128 v[104:107], off, off offset:208
	v_fmac_f64_e32 v[126:127], v[114:115], v[8:9]
	v_fma_f64 v[8:9], v[112:113], v[8:9], -v[128:129]
	scratch_load_b128 v[112:115], off, off offset:224
	s_wait_loadcnt_dscnt 0xc01
	v_mul_f64_e32 v[132:133], v[4:5], v[74:75]
	v_mul_f64_e32 v[74:75], v[6:7], v[74:75]
	v_add_f64_e32 v[128:129], 0, v[130:131]
	v_add_f64_e32 v[124:125], 0, v[124:125]
	s_wait_loadcnt_dscnt 0xb00
	v_mul_f64_e32 v[130:131], v[10:11], v[78:79]
	v_mul_f64_e32 v[78:79], v[12:13], v[78:79]
	v_fmac_f64_e32 v[132:133], v[6:7], v[72:73]
	v_fma_f64 v[134:135], v[4:5], v[72:73], -v[74:75]
	ds_load_b128 v[4:7], v2 offset:544
	ds_load_b128 v[72:75], v2 offset:560
	v_add_f64_e32 v[8:9], v[128:129], v[8:9]
	v_add_f64_e32 v[128:129], v[124:125], v[126:127]
	scratch_load_b128 v[124:127], off, off offset:240
	v_fmac_f64_e32 v[130:131], v[12:13], v[76:77]
	v_fma_f64 v[12:13], v[10:11], v[76:77], -v[78:79]
	s_wait_loadcnt_dscnt 0xb01
	v_mul_f64_e32 v[136:137], v[4:5], v[82:83]
	v_mul_f64_e32 v[82:83], v[6:7], v[82:83]
	v_add_f64_e32 v[76:77], v[8:9], v[134:135]
	v_add_f64_e32 v[78:79], v[128:129], v[132:133]
	scratch_load_b128 v[8:11], off, off offset:256
	s_wait_loadcnt_dscnt 0xb00
	v_mul_f64_e32 v[128:129], v[72:73], v[86:87]
	v_mul_f64_e32 v[86:87], v[74:75], v[86:87]
	v_fmac_f64_e32 v[136:137], v[6:7], v[80:81]
	v_fma_f64 v[132:133], v[4:5], v[80:81], -v[82:83]
	v_add_f64_e32 v[12:13], v[76:77], v[12:13]
	v_add_f64_e32 v[130:131], v[78:79], v[130:131]
	ds_load_b128 v[4:7], v2 offset:576
	ds_load_b128 v[76:79], v2 offset:592
	scratch_load_b128 v[80:83], off, off offset:272
	v_fmac_f64_e32 v[128:129], v[74:75], v[84:85]
	v_fma_f64 v[84:85], v[72:73], v[84:85], -v[86:87]
	scratch_load_b128 v[72:75], off, off offset:288
	s_wait_loadcnt_dscnt 0xc01
	v_mul_f64_e32 v[134:135], v[4:5], v[90:91]
	v_mul_f64_e32 v[90:91], v[6:7], v[90:91]
	v_add_f64_e32 v[12:13], v[12:13], v[132:133]
	v_add_f64_e32 v[86:87], v[130:131], v[136:137]
	s_wait_loadcnt_dscnt 0xb00
	v_mul_f64_e32 v[130:131], v[76:77], v[94:95]
	v_mul_f64_e32 v[94:95], v[78:79], v[94:95]
	v_fmac_f64_e32 v[134:135], v[6:7], v[88:89]
	v_fma_f64 v[132:133], v[4:5], v[88:89], -v[90:91]
	v_add_f64_e32 v[12:13], v[12:13], v[84:85]
	v_add_f64_e32 v[128:129], v[86:87], v[128:129]
	ds_load_b128 v[4:7], v2 offset:608
	ds_load_b128 v[84:87], v2 offset:624
	scratch_load_b128 v[88:91], off, off offset:304
	v_fmac_f64_e32 v[130:131], v[78:79], v[92:93]
	v_fma_f64 v[92:93], v[76:77], v[92:93], -v[94:95]
	scratch_load_b128 v[76:79], off, off offset:320
	s_wait_loadcnt_dscnt 0xc01
	v_mul_f64_e32 v[136:137], v[4:5], v[98:99]
	v_mul_f64_e32 v[98:99], v[6:7], v[98:99]
	v_add_f64_e32 v[12:13], v[12:13], v[132:133]
	v_add_f64_e32 v[94:95], v[128:129], v[134:135]
	;; [unrolled: 18-line block ×4, first 2 shown]
	s_wait_loadcnt_dscnt 0xa00
	v_mul_f64_e32 v[128:129], v[100:101], v[114:115]
	v_mul_f64_e32 v[114:115], v[102:103], v[114:115]
	v_fmac_f64_e32 v[136:137], v[6:7], v[104:105]
	v_fma_f64 v[132:133], v[4:5], v[104:105], -v[106:107]
	ds_load_b128 v[4:7], v2 offset:704
	ds_load_b128 v[104:107], v2 offset:720
	v_add_f64_e32 v[12:13], v[12:13], v[120:121]
	v_add_f64_e32 v[130:131], v[122:123], v[130:131]
	scratch_load_b128 v[120:123], off, off offset:400
	v_fmac_f64_e32 v[128:129], v[102:103], v[112:113]
	v_fma_f64 v[112:113], v[100:101], v[112:113], -v[114:115]
	scratch_load_b128 v[100:103], off, off offset:416
	s_wait_loadcnt_dscnt 0xb01
	v_mul_f64_e32 v[134:135], v[4:5], v[126:127]
	v_mul_f64_e32 v[126:127], v[6:7], v[126:127]
	v_add_f64_e32 v[12:13], v[12:13], v[132:133]
	v_add_f64_e32 v[114:115], v[130:131], v[136:137]
	s_wait_loadcnt_dscnt 0xa00
	v_mul_f64_e32 v[130:131], v[104:105], v[10:11]
	v_mul_f64_e32 v[132:133], v[106:107], v[10:11]
	v_fmac_f64_e32 v[134:135], v[6:7], v[124:125]
	v_fma_f64 v[124:125], v[4:5], v[124:125], -v[126:127]
	v_add_f64_e32 v[126:127], v[12:13], v[112:113]
	v_add_f64_e32 v[128:129], v[114:115], v[128:129]
	ds_load_b128 v[4:7], v2 offset:736
	ds_load_b128 v[10:13], v2 offset:752
	scratch_load_b128 v[112:115], off, off offset:432
	v_fmac_f64_e32 v[130:131], v[106:107], v[8:9]
	v_fma_f64 v[8:9], v[104:105], v[8:9], -v[132:133]
	scratch_load_b128 v[104:107], off, off offset:448
	s_wait_loadcnt_dscnt 0xb01
	v_mul_f64_e32 v[136:137], v[4:5], v[82:83]
	v_mul_f64_e32 v[82:83], v[6:7], v[82:83]
	v_add_f64_e32 v[124:125], v[126:127], v[124:125]
	v_add_f64_e32 v[126:127], v[128:129], v[134:135]
	s_wait_loadcnt_dscnt 0xa00
	v_mul_f64_e32 v[128:129], v[10:11], v[74:75]
	v_mul_f64_e32 v[74:75], v[12:13], v[74:75]
	v_fmac_f64_e32 v[136:137], v[6:7], v[80:81]
	v_fma_f64 v[132:133], v[4:5], v[80:81], -v[82:83]
	ds_load_b128 v[4:7], v2 offset:768
	ds_load_b128 v[80:83], v2 offset:784
	v_add_f64_e32 v[8:9], v[124:125], v[8:9]
	v_add_f64_e32 v[124:125], v[126:127], v[130:131]
	v_fmac_f64_e32 v[128:129], v[12:13], v[72:73]
	v_fma_f64 v[10:11], v[10:11], v[72:73], -v[74:75]
	s_wait_loadcnt_dscnt 0x901
	v_mul_f64_e32 v[126:127], v[4:5], v[90:91]
	v_mul_f64_e32 v[90:91], v[6:7], v[90:91]
	s_wait_loadcnt_dscnt 0x800
	v_mul_f64_e32 v[72:73], v[80:81], v[78:79]
	v_mul_f64_e32 v[74:75], v[82:83], v[78:79]
	v_add_f64_e32 v[8:9], v[8:9], v[132:133]
	v_add_f64_e32 v[12:13], v[124:125], v[136:137]
	v_fmac_f64_e32 v[126:127], v[6:7], v[88:89]
	v_fma_f64 v[78:79], v[4:5], v[88:89], -v[90:91]
	v_fmac_f64_e32 v[72:73], v[82:83], v[76:77]
	v_fma_f64 v[74:75], v[80:81], v[76:77], -v[74:75]
	v_add_f64_e32 v[88:89], v[8:9], v[10:11]
	v_add_f64_e32 v[12:13], v[12:13], v[128:129]
	ds_load_b128 v[4:7], v2 offset:800
	ds_load_b128 v[8:11], v2 offset:816
	s_wait_loadcnt_dscnt 0x701
	v_mul_f64_e32 v[90:91], v[4:5], v[98:99]
	v_mul_f64_e32 v[98:99], v[6:7], v[98:99]
	s_wait_loadcnt_dscnt 0x600
	v_mul_f64_e32 v[80:81], v[10:11], v[86:87]
	v_add_f64_e32 v[76:77], v[88:89], v[78:79]
	v_add_f64_e32 v[12:13], v[12:13], v[126:127]
	v_mul_f64_e32 v[78:79], v[8:9], v[86:87]
	v_fmac_f64_e32 v[90:91], v[6:7], v[96:97]
	v_fma_f64 v[82:83], v[4:5], v[96:97], -v[98:99]
	v_fma_f64 v[8:9], v[8:9], v[84:85], -v[80:81]
	v_add_f64_e32 v[76:77], v[76:77], v[74:75]
	v_add_f64_e32 v[12:13], v[12:13], v[72:73]
	ds_load_b128 v[4:7], v2 offset:832
	ds_load_b128 v[72:75], v2 offset:848
	v_fmac_f64_e32 v[78:79], v[10:11], v[84:85]
	s_wait_loadcnt_dscnt 0x501
	v_mul_f64_e32 v[86:87], v[4:5], v[110:111]
	v_mul_f64_e32 v[88:89], v[6:7], v[110:111]
	s_wait_loadcnt_dscnt 0x400
	v_mul_f64_e32 v[80:81], v[74:75], v[94:95]
	v_add_f64_e32 v[10:11], v[76:77], v[82:83]
	v_add_f64_e32 v[12:13], v[12:13], v[90:91]
	v_mul_f64_e32 v[76:77], v[72:73], v[94:95]
	v_fmac_f64_e32 v[86:87], v[6:7], v[108:109]
	v_fma_f64 v[82:83], v[4:5], v[108:109], -v[88:89]
	v_fma_f64 v[72:73], v[72:73], v[92:93], -v[80:81]
	v_add_f64_e32 v[84:85], v[10:11], v[8:9]
	v_add_f64_e32 v[12:13], v[12:13], v[78:79]
	ds_load_b128 v[4:7], v2 offset:864
	ds_load_b128 v[8:11], v2 offset:880
	v_fmac_f64_e32 v[76:77], v[74:75], v[92:93]
	s_wait_loadcnt_dscnt 0x301
	v_mul_f64_e32 v[78:79], v[4:5], v[122:123]
	v_mul_f64_e32 v[88:89], v[6:7], v[122:123]
	s_wait_loadcnt_dscnt 0x200
	v_mul_f64_e32 v[80:81], v[8:9], v[102:103]
	v_add_f64_e32 v[74:75], v[84:85], v[82:83]
	v_add_f64_e32 v[12:13], v[12:13], v[86:87]
	v_mul_f64_e32 v[82:83], v[10:11], v[102:103]
	v_fmac_f64_e32 v[78:79], v[6:7], v[120:121]
	v_fma_f64 v[84:85], v[4:5], v[120:121], -v[88:89]
	v_fmac_f64_e32 v[80:81], v[10:11], v[100:101]
	v_add_f64_e32 v[86:87], v[74:75], v[72:73]
	v_add_f64_e32 v[12:13], v[12:13], v[76:77]
	ds_load_b128 v[4:7], v2 offset:896
	ds_load_b128 v[72:75], v2 offset:912
	v_fma_f64 v[8:9], v[8:9], v[100:101], -v[82:83]
	s_wait_loadcnt_dscnt 0x101
	v_mul_f64_e32 v[2:3], v[4:5], v[114:115]
	v_mul_f64_e32 v[76:77], v[6:7], v[114:115]
	s_wait_loadcnt_dscnt 0x0
	v_mul_f64_e32 v[82:83], v[74:75], v[106:107]
	v_add_f64_e32 v[10:11], v[86:87], v[84:85]
	v_add_f64_e32 v[12:13], v[12:13], v[78:79]
	v_mul_f64_e32 v[78:79], v[72:73], v[106:107]
	v_fmac_f64_e32 v[2:3], v[6:7], v[112:113]
	v_fma_f64 v[4:5], v[4:5], v[112:113], -v[76:77]
	v_lshl_add_u64 v[76:77], v[22:23], 4, s[4:5]
	v_lshl_add_u64 v[22:23], v[42:43], 4, s[4:5]
	;; [unrolled: 1-line block ×3, first 2 shown]
	v_add_f64_e32 v[6:7], v[10:11], v[8:9]
	v_add_f64_e32 v[8:9], v[12:13], v[80:81]
	v_fmac_f64_e32 v[78:79], v[74:75], v[104:105]
	v_fma_f64 v[10:11], v[72:73], v[104:105], -v[82:83]
	v_lshl_add_u64 v[74:75], v[20:21], 4, s[4:5]
	v_lshl_add_u64 v[72:73], v[24:25], 4, s[4:5]
	;; [unrolled: 1-line block ×8, first 2 shown]
	v_add_f64_e32 v[4:5], v[6:7], v[4:5]
	v_add_f64_e32 v[2:3], v[8:9], v[2:3]
	v_lshl_add_u64 v[6:7], v[30:31], 4, s[4:5]
	v_lshl_add_u64 v[8:9], v[32:33], 4, s[4:5]
	;; [unrolled: 1-line block ×5, first 2 shown]
	v_add_f64_e32 v[4:5], v[4:5], v[10:11]
	v_add_f64_e32 v[2:3], v[2:3], v[78:79]
	v_lshl_add_u64 v[78:79], v[18:19], 4, s[4:5]
	v_lshl_add_u64 v[10:11], v[34:35], 4, s[4:5]
	;; [unrolled: 1-line block ×5, first 2 shown]
	v_add_f64_e64 v[80:81], v[116:117], -v[4:5]
	v_add_f64_e64 v[82:83], v[118:119], -v[2:3]
	v_lshl_add_u64 v[2:3], v[26:27], 4, s[4:5]
	v_lshl_add_u64 v[4:5], v[28:29], 4, s[4:5]
	v_lshl_add_u64 v[26:27], v[46:47], 4, s[4:5]
	v_lshl_add_u64 v[28:29], v[48:49], 4, s[4:5]
	v_lshl_add_u64 v[46:47], v[66:67], 4, s[4:5]
	v_lshl_add_u64 v[48:49], v[68:69], 4, s[4:5]
	scratch_store_b128 off, v[80:83], off
	s_cbranch_vccz .LBB28_244
; %bb.188:
	v_mov_b32_e32 v52, 0
	s_load_b64 s[2:3], s[0:1], 0x4
	v_bfe_u32 v54, v0, 10, 10
	v_bfe_u32 v0, v0, 20, 10
	global_load_b32 v53, v52, s[16:17] offset:108
	s_wait_kmcnt 0x0
	s_lshr_b32 s0, s2, 16
	v_mul_u32_u24_e32 v54, s3, v54
	s_mul_i32 s0, s0, s3
	s_delay_alu instid0(SALU_CYCLE_1) | instskip(NEXT) | instid1(VALU_DEP_1)
	v_mul_u32_u24_e32 v1, s0, v1
	v_add3_u32 v0, v1, v54, v0
	s_delay_alu instid0(VALU_DEP_1)
	v_lshl_add_u32 v0, v0, 4, 0x3a8
	s_wait_loadcnt 0x0
	v_cmp_ne_u32_e32 vcc_lo, 28, v53
	s_cbranch_vccz .LBB28_190
; %bb.189:
	v_lshlrev_b32_e32 v1, 4, v53
	s_clause 0x1
	scratch_load_b128 v[54:57], off, s21
	scratch_load_b128 v[58:61], v1, off offset:-16
	s_wait_loadcnt 0x1
	ds_store_2addr_b64 v0, v[54:55], v[56:57] offset1:1
	s_wait_loadcnt 0x0
	s_clause 0x1
	scratch_store_b128 off, v[58:61], s21
	scratch_store_b128 v1, v[54:57], off offset:-16
.LBB28_190:
	global_load_b32 v1, v52, s[16:17] offset:104
	s_wait_loadcnt 0x0
	v_cmp_eq_u32_e32 vcc_lo, 27, v1
	s_cbranch_vccnz .LBB28_192
; %bb.191:
	v_lshlrev_b32_e32 v1, 4, v1
	s_clause 0x1
	scratch_load_b128 v[52:55], off, s26
	scratch_load_b128 v[56:59], v1, off offset:-16
	s_wait_loadcnt 0x1
	ds_store_2addr_b64 v0, v[52:53], v[54:55] offset1:1
	s_wait_loadcnt 0x0
	s_clause 0x1
	scratch_store_b128 off, v[56:59], s26
	scratch_store_b128 v1, v[52:55], off offset:-16
.LBB28_192:
	s_wait_xcnt 0x0
	v_mov_b32_e32 v1, 0
	global_load_b32 v52, v1, s[16:17] offset:100
	s_wait_loadcnt 0x0
	v_cmp_eq_u32_e32 vcc_lo, 26, v52
	s_cbranch_vccnz .LBB28_194
; %bb.193:
	v_lshlrev_b32_e32 v52, 4, v52
	s_delay_alu instid0(VALU_DEP_1)
	v_mov_b32_e32 v60, v52
	s_clause 0x1
	scratch_load_b128 v[52:55], off, s11
	scratch_load_b128 v[56:59], v60, off offset:-16
	s_wait_loadcnt 0x1
	ds_store_2addr_b64 v0, v[52:53], v[54:55] offset1:1
	s_wait_loadcnt 0x0
	s_clause 0x1
	scratch_store_b128 off, v[56:59], s11
	scratch_store_b128 v60, v[52:55], off offset:-16
.LBB28_194:
	global_load_b32 v1, v1, s[16:17] offset:96
	s_wait_loadcnt 0x0
	v_cmp_eq_u32_e32 vcc_lo, 25, v1
	s_cbranch_vccnz .LBB28_196
; %bb.195:
	s_wait_xcnt 0x0
	v_lshlrev_b32_e32 v1, 4, v1
	s_clause 0x1
	scratch_load_b128 v[52:55], off, s14
	scratch_load_b128 v[56:59], v1, off offset:-16
	s_wait_loadcnt 0x1
	ds_store_2addr_b64 v0, v[52:53], v[54:55] offset1:1
	s_wait_loadcnt 0x0
	s_clause 0x1
	scratch_store_b128 off, v[56:59], s14
	scratch_store_b128 v1, v[52:55], off offset:-16
.LBB28_196:
	s_wait_xcnt 0x0
	v_mov_b32_e32 v1, 0
	global_load_b32 v52, v1, s[16:17] offset:92
	s_wait_loadcnt 0x0
	v_cmp_eq_u32_e32 vcc_lo, 24, v52
	s_cbranch_vccnz .LBB28_198
; %bb.197:
	v_lshlrev_b32_e32 v52, 4, v52
	s_delay_alu instid0(VALU_DEP_1)
	v_mov_b32_e32 v60, v52
	s_clause 0x1
	scratch_load_b128 v[52:55], off, s13
	scratch_load_b128 v[56:59], v60, off offset:-16
	s_wait_loadcnt 0x1
	ds_store_2addr_b64 v0, v[52:53], v[54:55] offset1:1
	s_wait_loadcnt 0x0
	s_clause 0x1
	scratch_store_b128 off, v[56:59], s13
	scratch_store_b128 v60, v[52:55], off offset:-16
.LBB28_198:
	global_load_b32 v1, v1, s[16:17] offset:88
	s_wait_loadcnt 0x0
	v_cmp_eq_u32_e32 vcc_lo, 23, v1
	s_cbranch_vccnz .LBB28_200
; %bb.199:
	s_wait_xcnt 0x0
	v_lshlrev_b32_e32 v1, 4, v1
	s_clause 0x1
	scratch_load_b128 v[52:55], off, s20
	scratch_load_b128 v[56:59], v1, off offset:-16
	s_wait_loadcnt 0x1
	ds_store_2addr_b64 v0, v[52:53], v[54:55] offset1:1
	s_wait_loadcnt 0x0
	s_clause 0x1
	scratch_store_b128 off, v[56:59], s20
	scratch_store_b128 v1, v[52:55], off offset:-16
.LBB28_200:
	;; [unrolled: 37-line block ×12, first 2 shown]
	s_wait_xcnt 0x0
	v_mov_b32_e32 v1, 0
	global_load_b32 v52, v1, s[16:17] offset:4
	s_wait_loadcnt 0x0
	v_cmp_eq_u32_e32 vcc_lo, 2, v52
	s_cbranch_vccnz .LBB28_242
; %bb.241:
	v_lshlrev_b32_e32 v52, 4, v52
	s_delay_alu instid0(VALU_DEP_1)
	v_mov_b32_e32 v60, v52
	s_clause 0x1
	scratch_load_b128 v[52:55], off, s12
	scratch_load_b128 v[56:59], v60, off offset:-16
	s_wait_loadcnt 0x1
	ds_store_2addr_b64 v0, v[52:53], v[54:55] offset1:1
	s_wait_loadcnt 0x0
	s_clause 0x1
	scratch_store_b128 off, v[56:59], s12
	scratch_store_b128 v60, v[52:55], off offset:-16
.LBB28_242:
	global_load_b32 v1, v1, s[16:17]
	s_wait_loadcnt 0x0
	v_cmp_eq_u32_e32 vcc_lo, 1, v1
	s_cbranch_vccnz .LBB28_244
; %bb.243:
	s_wait_xcnt 0x0
	v_lshlrev_b32_e32 v1, 4, v1
	scratch_load_b128 v[52:55], off, off
	scratch_load_b128 v[56:59], v1, off offset:-16
	s_wait_loadcnt 0x1
	ds_store_2addr_b64 v0, v[52:53], v[54:55] offset1:1
	s_wait_loadcnt 0x0
	scratch_store_b128 off, v[56:59], off
	scratch_store_b128 v1, v[52:55], off offset:-16
.LBB28_244:
	scratch_load_b128 v[52:55], off, off
	s_clause 0x11
	scratch_load_b128 v[56:59], off, s12
	scratch_load_b128 v[60:63], off, s8
	;; [unrolled: 1-line block ×15, first 2 shown]
	; meta instruction
	; meta instruction
	;; [unrolled: 1-line block ×15, first 2 shown]
	scratch_load_b128 v[124:127], off, s25
	scratch_load_b128 v[128:131], off, s28
	scratch_load_b128 v[132:135], off, s29
	s_wait_loadcnt 0x12
	global_store_b128 v[14:15], v[52:55], off
	s_clause 0x1
	scratch_load_b128 v[52:55], off, s23
	scratch_load_b128 v[136:139], off, s24
	s_wait_loadcnt 0x13
	global_store_b128 v[16:17], v[56:59], off
	s_clause 0x1
	scratch_load_b128 v[14:17], off, s15
	scratch_load_b128 v[56:59], off, s20
	;; [unrolled: 5-line block ×3, first 2 shown]
	s_wait_loadcnt 0x15
	global_store_b128 v[74:75], v[64:67], off
	s_wait_loadcnt 0x14
	global_store_b128 v[76:77], v[68:71], off
	s_clause 0x1
	scratch_load_b128 v[64:67], off, s11
	scratch_load_b128 v[68:71], off, s26
	s_wait_loadcnt 0x15
	global_store_b128 v[72:73], v[80:83], off
	s_clause 0x1
	scratch_load_b128 v[72:75], off, s21
	scratch_load_b128 v[76:79], off, s22
	s_wait_loadcnt 0x16
	global_store_b128 v[2:3], v[84:87], off
	s_wait_loadcnt 0x15
	global_store_b128 v[4:5], v[88:91], off
	;; [unrolled: 2-line block ×23, first 2 shown]
	s_sendmsg sendmsg(MSG_DEALLOC_VGPRS)
	s_endpgm
	.section	.rodata,"a",@progbits
	.p2align	6, 0x0
	.amdhsa_kernel _ZN9rocsolver6v33100L18getri_kernel_smallILi29E19rocblas_complex_numIdEPS3_EEvT1_iilPiilS6_bb
		.amdhsa_group_segment_fixed_size 1960
		.amdhsa_private_segment_fixed_size 480
		.amdhsa_kernarg_size 60
		.amdhsa_user_sgpr_count 4
		.amdhsa_user_sgpr_dispatch_ptr 1
		.amdhsa_user_sgpr_queue_ptr 0
		.amdhsa_user_sgpr_kernarg_segment_ptr 1
		.amdhsa_user_sgpr_dispatch_id 0
		.amdhsa_user_sgpr_kernarg_preload_length 0
		.amdhsa_user_sgpr_kernarg_preload_offset 0
		.amdhsa_user_sgpr_private_segment_size 0
		.amdhsa_wavefront_size32 1
		.amdhsa_uses_dynamic_stack 0
		.amdhsa_enable_private_segment 1
		.amdhsa_system_sgpr_workgroup_id_x 1
		.amdhsa_system_sgpr_workgroup_id_y 0
		.amdhsa_system_sgpr_workgroup_id_z 0
		.amdhsa_system_sgpr_workgroup_info 0
		.amdhsa_system_vgpr_workitem_id 2
		.amdhsa_next_free_vgpr 144
		.amdhsa_next_free_sgpr 53
		.amdhsa_named_barrier_count 0
		.amdhsa_reserve_vcc 1
		.amdhsa_float_round_mode_32 0
		.amdhsa_float_round_mode_16_64 0
		.amdhsa_float_denorm_mode_32 3
		.amdhsa_float_denorm_mode_16_64 3
		.amdhsa_fp16_overflow 0
		.amdhsa_memory_ordered 1
		.amdhsa_forward_progress 1
		.amdhsa_inst_pref_size 255
		.amdhsa_round_robin_scheduling 0
		.amdhsa_exception_fp_ieee_invalid_op 0
		.amdhsa_exception_fp_denorm_src 0
		.amdhsa_exception_fp_ieee_div_zero 0
		.amdhsa_exception_fp_ieee_overflow 0
		.amdhsa_exception_fp_ieee_underflow 0
		.amdhsa_exception_fp_ieee_inexact 0
		.amdhsa_exception_int_div_zero 0
	.end_amdhsa_kernel
	.section	.text._ZN9rocsolver6v33100L18getri_kernel_smallILi29E19rocblas_complex_numIdEPS3_EEvT1_iilPiilS6_bb,"axG",@progbits,_ZN9rocsolver6v33100L18getri_kernel_smallILi29E19rocblas_complex_numIdEPS3_EEvT1_iilPiilS6_bb,comdat
.Lfunc_end28:
	.size	_ZN9rocsolver6v33100L18getri_kernel_smallILi29E19rocblas_complex_numIdEPS3_EEvT1_iilPiilS6_bb, .Lfunc_end28-_ZN9rocsolver6v33100L18getri_kernel_smallILi29E19rocblas_complex_numIdEPS3_EEvT1_iilPiilS6_bb
                                        ; -- End function
	.set _ZN9rocsolver6v33100L18getri_kernel_smallILi29E19rocblas_complex_numIdEPS3_EEvT1_iilPiilS6_bb.num_vgpr, 144
	.set _ZN9rocsolver6v33100L18getri_kernel_smallILi29E19rocblas_complex_numIdEPS3_EEvT1_iilPiilS6_bb.num_agpr, 0
	.set _ZN9rocsolver6v33100L18getri_kernel_smallILi29E19rocblas_complex_numIdEPS3_EEvT1_iilPiilS6_bb.numbered_sgpr, 53
	.set _ZN9rocsolver6v33100L18getri_kernel_smallILi29E19rocblas_complex_numIdEPS3_EEvT1_iilPiilS6_bb.num_named_barrier, 0
	.set _ZN9rocsolver6v33100L18getri_kernel_smallILi29E19rocblas_complex_numIdEPS3_EEvT1_iilPiilS6_bb.private_seg_size, 480
	.set _ZN9rocsolver6v33100L18getri_kernel_smallILi29E19rocblas_complex_numIdEPS3_EEvT1_iilPiilS6_bb.uses_vcc, 1
	.set _ZN9rocsolver6v33100L18getri_kernel_smallILi29E19rocblas_complex_numIdEPS3_EEvT1_iilPiilS6_bb.uses_flat_scratch, 1
	.set _ZN9rocsolver6v33100L18getri_kernel_smallILi29E19rocblas_complex_numIdEPS3_EEvT1_iilPiilS6_bb.has_dyn_sized_stack, 0
	.set _ZN9rocsolver6v33100L18getri_kernel_smallILi29E19rocblas_complex_numIdEPS3_EEvT1_iilPiilS6_bb.has_recursion, 0
	.set _ZN9rocsolver6v33100L18getri_kernel_smallILi29E19rocblas_complex_numIdEPS3_EEvT1_iilPiilS6_bb.has_indirect_call, 0
	.section	.AMDGPU.csdata,"",@progbits
; Kernel info:
; codeLenInByte = 39392
; TotalNumSgprs: 55
; NumVgprs: 144
; ScratchSize: 480
; MemoryBound: 0
; FloatMode: 240
; IeeeMode: 1
; LDSByteSize: 1960 bytes/workgroup (compile time only)
; SGPRBlocks: 0
; VGPRBlocks: 8
; NumSGPRsForWavesPerEU: 55
; NumVGPRsForWavesPerEU: 144
; NamedBarCnt: 0
; Occupancy: 7
; WaveLimiterHint : 1
; COMPUTE_PGM_RSRC2:SCRATCH_EN: 1
; COMPUTE_PGM_RSRC2:USER_SGPR: 4
; COMPUTE_PGM_RSRC2:TRAP_HANDLER: 0
; COMPUTE_PGM_RSRC2:TGID_X_EN: 1
; COMPUTE_PGM_RSRC2:TGID_Y_EN: 0
; COMPUTE_PGM_RSRC2:TGID_Z_EN: 0
; COMPUTE_PGM_RSRC2:TIDIG_COMP_CNT: 2
	.section	.text._ZN9rocsolver6v33100L18getri_kernel_smallILi30E19rocblas_complex_numIdEPS3_EEvT1_iilPiilS6_bb,"axG",@progbits,_ZN9rocsolver6v33100L18getri_kernel_smallILi30E19rocblas_complex_numIdEPS3_EEvT1_iilPiilS6_bb,comdat
	.globl	_ZN9rocsolver6v33100L18getri_kernel_smallILi30E19rocblas_complex_numIdEPS3_EEvT1_iilPiilS6_bb ; -- Begin function _ZN9rocsolver6v33100L18getri_kernel_smallILi30E19rocblas_complex_numIdEPS3_EEvT1_iilPiilS6_bb
	.p2align	8
	.type	_ZN9rocsolver6v33100L18getri_kernel_smallILi30E19rocblas_complex_numIdEPS3_EEvT1_iilPiilS6_bb,@function
_ZN9rocsolver6v33100L18getri_kernel_smallILi30E19rocblas_complex_numIdEPS3_EEvT1_iilPiilS6_bb: ; @_ZN9rocsolver6v33100L18getri_kernel_smallILi30E19rocblas_complex_numIdEPS3_EEvT1_iilPiilS6_bb
; %bb.0:
	v_and_b32_e32 v1, 0x3ff, v0
	s_mov_b32 s4, exec_lo
	s_delay_alu instid0(VALU_DEP_1)
	v_cmpx_gt_u32_e32 30, v1
	s_cbranch_execz .LBB29_134
; %bb.1:
	s_clause 0x2
	s_load_b32 s8, s[2:3], 0x38
	s_load_b128 s[12:15], s[2:3], 0x10
	s_load_b128 s[4:7], s[2:3], 0x28
	s_getreg_b32 s11, hwreg(HW_REG_IB_STS2, 6, 4)
                                        ; implicit-def: $sgpr16_sgpr17
	s_wait_kmcnt 0x0
	s_bitcmp1_b32 s8, 8
	s_cselect_b32 s42, -1, 0
	s_bfe_u32 s9, ttmp6, 0x4000c
	s_and_b32 s10, ttmp6, 15
	s_add_co_i32 s9, s9, 1
	s_delay_alu instid0(SALU_CYCLE_1) | instskip(NEXT) | instid1(SALU_CYCLE_1)
	s_mul_i32 s9, ttmp9, s9
	s_add_co_i32 s10, s10, s9
	s_cmp_eq_u32 s11, 0
	s_cselect_b32 s18, ttmp9, s10
	s_bfe_u32 s8, s8, 0x10008
	s_ashr_i32 s19, s18, 31
	s_cmp_eq_u32 s8, 0
	s_cbranch_scc1 .LBB29_3
; %bb.2:
	s_load_b32 s8, s[2:3], 0x20
	s_mul_u64 s[4:5], s[4:5], s[18:19]
	s_delay_alu instid0(SALU_CYCLE_1) | instskip(NEXT) | instid1(SALU_CYCLE_1)
	s_lshl_b64 s[4:5], s[4:5], 2
	s_add_nc_u64 s[4:5], s[14:15], s[4:5]
	s_wait_kmcnt 0x0
	s_ashr_i32 s9, s8, 31
	s_delay_alu instid0(SALU_CYCLE_1) | instskip(NEXT) | instid1(SALU_CYCLE_1)
	s_lshl_b64 s[8:9], s[8:9], 2
	s_add_nc_u64 s[16:17], s[4:5], s[8:9]
.LBB29_3:
	s_clause 0x1
	s_load_b128 s[8:11], s[2:3], 0x0
	s_load_b32 s43, s[2:3], 0x38
	s_wait_xcnt 0x0
	s_mul_u64 s[2:3], s[12:13], s[18:19]
	v_dual_mov_b32 v75, 0 :: v_dual_lshlrev_b32 v74, 4, v1
	s_lshl_b64 s[2:3], s[2:3], 4
	s_movk_i32 s25, 0x100
	s_movk_i32 s26, 0x110
	;; [unrolled: 1-line block ×14, first 2 shown]
	s_wait_kmcnt 0x0
	v_add3_u32 v18, s11, s11, v1
	s_ashr_i32 s5, s10, 31
	s_mov_b32 s4, s10
	s_add_nc_u64 s[2:3], s[8:9], s[2:3]
	s_lshl_b64 s[4:5], s[4:5], 4
	v_add_nc_u32_e32 v20, s11, v18
	s_add_nc_u64 s[4:5], s[2:3], s[4:5]
	s_ashr_i32 s3, s11, 31
	v_add_nc_u64_e32 v[14:15], s[4:5], v[74:75]
	s_mov_b32 s2, s11
	v_add_nc_u32_e32 v22, s11, v20
	global_load_b128 v[2:5], v18, s[4:5] scale_offset
	s_mov_b32 s24, 16
	s_mov_b32 s8, 32
	;; [unrolled: 1-line block ×3, first 2 shown]
	v_add_nc_u32_e32 v24, s11, v22
	v_lshl_add_u64 v[16:17], s[2:3], 4, v[14:15]
	s_mov_b32 s15, 64
	s_movk_i32 s31, 0x50
	s_movk_i32 s35, 0x60
	v_add_nc_u32_e32 v26, s11, v24
	s_clause 0x2
	global_load_b128 v[6:9], v20, s[4:5] scale_offset
	global_load_b128 v[10:13], v1, s[4:5] scale_offset
	global_load_b128 v[68:71], v[16:17], off
	s_movk_i32 s38, 0x70
	s_movk_i32 s29, 0x80
	;; [unrolled: 1-line block ×3, first 2 shown]
	v_add_nc_u32_e32 v28, s11, v26
	s_movk_i32 s33, 0xa0
	s_movk_i32 s37, 0xb0
	;; [unrolled: 1-line block ×4, first 2 shown]
	v_add_nc_u32_e32 v30, s11, v28
	s_clause 0x3
	global_load_b128 v[76:79], v22, s[4:5] scale_offset
	global_load_b128 v[80:83], v24, s[4:5] scale_offset
	global_load_b128 v[84:87], v26, s[4:5] scale_offset
	global_load_b128 v[88:91], v28, s[4:5] scale_offset
	s_movk_i32 s41, 0xe0
	s_movk_i32 s36, 0xf0
	v_add_nc_u32_e32 v32, s11, v30
	global_load_b128 v[92:95], v30, s[4:5] scale_offset
	s_mov_b32 s14, s25
	s_mov_b32 s21, s26
	s_mov_b32 s25, s27
	v_add_nc_u32_e32 v34, s11, v32
	s_mov_b32 s13, s34
	s_mov_b32 s9, s44
	s_mov_b32 s10, s45
	s_mov_b32 s27, s46
	v_add_nc_u32_e32 v36, s11, v34
	s_mov_b32 s23, s48
	;; [unrolled: 5-line block ×3, first 2 shown]
	s_bitcmp0_b32 s43, 0
	s_mov_b32 s3, -1
	s_delay_alu instid0(VALU_DEP_1)
	v_add_nc_u32_e32 v40, s11, v38
	s_clause 0x1
	global_load_b128 v[96:99], v32, s[4:5] scale_offset
	global_load_b128 v[100:103], v34, s[4:5] scale_offset
	v_add_nc_u32_e32 v42, s11, v40
	global_load_b128 v[104:107], v36, s[4:5] scale_offset
	v_add_nc_u32_e32 v44, s11, v42
	s_delay_alu instid0(VALU_DEP_1) | instskip(NEXT) | instid1(VALU_DEP_1)
	v_add_nc_u32_e32 v46, s11, v44
	v_add_nc_u32_e32 v48, s11, v46
	s_delay_alu instid0(VALU_DEP_1)
	v_add_nc_u32_e32 v50, s11, v48
	s_clause 0x3
	global_load_b128 v[108:111], v38, s[4:5] scale_offset
	global_load_b128 v[112:115], v40, s[4:5] scale_offset
	;; [unrolled: 1-line block ×4, first 2 shown]
	v_add_nc_u32_e32 v52, s11, v50
	s_delay_alu instid0(VALU_DEP_1)
	v_add_nc_u32_e32 v54, s11, v52
	s_clause 0x3
	global_load_b128 v[124:127], v46, s[4:5] scale_offset
	global_load_b128 v[128:131], v48, s[4:5] scale_offset
	;; [unrolled: 1-line block ×4, first 2 shown]
	v_add_nc_u32_e32 v56, s11, v54
	s_delay_alu instid0(VALU_DEP_1) | instskip(NEXT) | instid1(VALU_DEP_1)
	v_add_nc_u32_e32 v58, s11, v56
	v_add_nc_u32_e32 v60, s11, v58
	s_delay_alu instid0(VALU_DEP_1) | instskip(NEXT) | instid1(VALU_DEP_1)
	v_add_nc_u32_e32 v62, s11, v60
	v_add_nc_u32_e32 v64, s11, v62
	s_delay_alu instid0(VALU_DEP_1)
	v_add_nc_u32_e32 v66, s11, v64
	s_wait_loadcnt 0x13
	scratch_store_b128 off, v[2:5], off offset:32
	s_clause 0x1
	global_load_b128 v[2:5], v54, s[4:5] scale_offset
	global_load_b128 v[140:143], v56, s[4:5] scale_offset
	s_wait_loadcnt 0x14
	scratch_store_b128 off, v[6:9], off offset:48
	s_wait_loadcnt 0x13
	scratch_store_b128 off, v[10:13], off
	s_wait_loadcnt 0x12
	scratch_store_b128 off, v[68:71], off offset:16
	s_wait_xcnt 0x0
	v_add_nc_u32_e32 v68, s11, v66
	s_clause 0x1
	global_load_b128 v[6:9], v58, s[4:5] scale_offset
	global_load_b128 v[10:13], v60, s[4:5] scale_offset
	s_wait_loadcnt 0x13
	scratch_store_b128 off, v[76:79], off offset:64
	s_wait_loadcnt 0x12
	scratch_store_b128 off, v[80:83], off offset:80
	v_add_nc_u32_e32 v70, s11, v68
	s_clause 0x1
	global_load_b128 v[76:79], v62, s[4:5] scale_offset
	global_load_b128 v[80:83], v64, s[4:5] scale_offset
	s_wait_loadcnt 0x13
	scratch_store_b128 off, v[84:87], off offset:96
	s_wait_loadcnt 0x12
	scratch_store_b128 off, v[88:91], off offset:112
	s_clause 0x1
	global_load_b128 v[84:87], v66, s[4:5] scale_offset
	global_load_b128 v[88:91], v68, s[4:5] scale_offset
	s_wait_loadcnt 0x13
	scratch_store_b128 off, v[92:95], off offset:128
	v_add_nc_u32_e32 v72, s11, v70
	s_mov_b32 s11, s28
	s_mov_b32 s28, s47
	s_wait_loadcnt 0x12
	scratch_store_b128 off, v[96:99], off offset:144
	s_wait_loadcnt 0x11
	scratch_store_b128 off, v[100:103], off offset:160
	s_clause 0x1
	global_load_b128 v[92:95], v70, s[4:5] scale_offset
	global_load_b128 v[96:99], v72, s[4:5] scale_offset
	s_wait_loadcnt 0x12
	scratch_store_b128 off, v[104:107], off offset:176
	s_wait_loadcnt 0x11
	scratch_store_b128 off, v[108:111], off offset:192
	;; [unrolled: 2-line block ×19, first 2 shown]
	s_cbranch_scc1 .LBB29_132
; %bb.4:
	v_cmp_eq_u32_e64 s2, 0, v1
	s_wait_xcnt 0x0
	s_and_saveexec_b32 s3, s2
; %bb.5:
	v_mov_b32_e32 v2, 0
	ds_store_b32 v2, v2 offset:960
; %bb.6:
	s_or_b32 exec_lo, exec_lo, s3
	s_wait_storecnt_dscnt 0x0
	s_barrier_signal -1
	s_barrier_wait -1
	scratch_load_b128 v[2:5], v1, off scale_offset
	s_wait_loadcnt 0x0
	v_cmp_eq_f64_e32 vcc_lo, 0, v[2:3]
	v_cmp_eq_f64_e64 s3, 0, v[4:5]
	s_and_b32 s3, vcc_lo, s3
	s_delay_alu instid0(SALU_CYCLE_1)
	s_and_saveexec_b32 s43, s3
	s_cbranch_execz .LBB29_10
; %bb.7:
	v_mov_b32_e32 v2, 0
	s_mov_b32 s44, 0
	ds_load_b32 v3, v2 offset:960
	s_wait_dscnt 0x0
	v_readfirstlane_b32 s3, v3
	v_add_nc_u32_e32 v3, 1, v1
	s_cmp_eq_u32 s3, 0
	s_delay_alu instid0(VALU_DEP_1) | instskip(SKIP_1) | instid1(SALU_CYCLE_1)
	v_cmp_gt_i32_e32 vcc_lo, s3, v3
	s_cselect_b32 s45, -1, 0
	s_or_b32 s45, s45, vcc_lo
	s_delay_alu instid0(SALU_CYCLE_1)
	s_and_b32 exec_lo, exec_lo, s45
	s_cbranch_execz .LBB29_10
; %bb.8:
	v_mov_b32_e32 v4, s3
.LBB29_9:                               ; =>This Inner Loop Header: Depth=1
	ds_cmpstore_rtn_b32 v4, v2, v3, v4 offset:960
	s_wait_dscnt 0x0
	v_cmp_ne_u32_e32 vcc_lo, 0, v4
	v_cmp_le_i32_e64 s3, v4, v3
	s_and_b32 s3, vcc_lo, s3
	s_delay_alu instid0(SALU_CYCLE_1) | instskip(NEXT) | instid1(SALU_CYCLE_1)
	s_and_b32 s3, exec_lo, s3
	s_or_b32 s44, s3, s44
	s_delay_alu instid0(SALU_CYCLE_1)
	s_and_not1_b32 exec_lo, exec_lo, s44
	s_cbranch_execnz .LBB29_9
.LBB29_10:
	s_or_b32 exec_lo, exec_lo, s43
	v_mov_b32_e32 v2, 0
	s_barrier_signal -1
	s_barrier_wait -1
	ds_load_b32 v3, v2 offset:960
	s_and_saveexec_b32 s3, s2
	s_cbranch_execz .LBB29_12
; %bb.11:
	s_lshl_b64 s[44:45], s[18:19], 2
	s_delay_alu instid0(SALU_CYCLE_1)
	s_add_nc_u64 s[44:45], s[6:7], s[44:45]
	s_wait_dscnt 0x0
	global_store_b32 v2, v3, s[44:45]
.LBB29_12:
	s_wait_xcnt 0x0
	s_or_b32 exec_lo, exec_lo, s3
	s_wait_dscnt 0x0
	v_cmp_ne_u32_e32 vcc_lo, 0, v3
	s_mov_b32 s3, 0
	s_cbranch_vccnz .LBB29_132
; %bb.13:
	v_lshl_add_u32 v19, v1, 4, 0
                                        ; implicit-def: $vgpr6_vgpr7
                                        ; implicit-def: $vgpr10_vgpr11
	scratch_load_b128 v[2:5], v19, off
	s_wait_loadcnt 0x0
	v_cmp_ngt_f64_e64 s3, |v[2:3]|, |v[4:5]|
	s_wait_xcnt 0x0
	s_and_saveexec_b32 s43, s3
	s_delay_alu instid0(SALU_CYCLE_1)
	s_xor_b32 s3, exec_lo, s43
	s_cbranch_execz .LBB29_15
; %bb.14:
	v_div_scale_f64 v[6:7], null, v[4:5], v[4:5], v[2:3]
	v_div_scale_f64 v[12:13], vcc_lo, v[2:3], v[4:5], v[2:3]
	s_delay_alu instid0(VALU_DEP_2) | instskip(SKIP_1) | instid1(TRANS32_DEP_1)
	v_rcp_f64_e32 v[8:9], v[6:7]
	v_nop
	v_fma_f64 v[10:11], -v[6:7], v[8:9], 1.0
	s_delay_alu instid0(VALU_DEP_1) | instskip(NEXT) | instid1(VALU_DEP_1)
	v_fmac_f64_e32 v[8:9], v[8:9], v[10:11]
	v_fma_f64 v[10:11], -v[6:7], v[8:9], 1.0
	s_delay_alu instid0(VALU_DEP_1) | instskip(NEXT) | instid1(VALU_DEP_1)
	v_fmac_f64_e32 v[8:9], v[8:9], v[10:11]
	v_mul_f64_e32 v[10:11], v[12:13], v[8:9]
	s_delay_alu instid0(VALU_DEP_1) | instskip(NEXT) | instid1(VALU_DEP_1)
	v_fma_f64 v[6:7], -v[6:7], v[10:11], v[12:13]
	v_div_fmas_f64 v[6:7], v[6:7], v[8:9], v[10:11]
	s_delay_alu instid0(VALU_DEP_1) | instskip(NEXT) | instid1(VALU_DEP_1)
	v_div_fixup_f64 v[6:7], v[6:7], v[4:5], v[2:3]
	v_fmac_f64_e32 v[4:5], v[2:3], v[6:7]
	s_delay_alu instid0(VALU_DEP_1) | instskip(SKIP_1) | instid1(VALU_DEP_2)
	v_div_scale_f64 v[2:3], null, v[4:5], v[4:5], 1.0
	v_div_scale_f64 v[12:13], vcc_lo, 1.0, v[4:5], 1.0
	v_rcp_f64_e32 v[8:9], v[2:3]
	v_nop
	s_delay_alu instid0(TRANS32_DEP_1) | instskip(NEXT) | instid1(VALU_DEP_1)
	v_fma_f64 v[10:11], -v[2:3], v[8:9], 1.0
	v_fmac_f64_e32 v[8:9], v[8:9], v[10:11]
	s_delay_alu instid0(VALU_DEP_1) | instskip(NEXT) | instid1(VALU_DEP_1)
	v_fma_f64 v[10:11], -v[2:3], v[8:9], 1.0
	v_fmac_f64_e32 v[8:9], v[8:9], v[10:11]
	s_delay_alu instid0(VALU_DEP_1) | instskip(NEXT) | instid1(VALU_DEP_1)
	v_mul_f64_e32 v[10:11], v[12:13], v[8:9]
	v_fma_f64 v[2:3], -v[2:3], v[10:11], v[12:13]
	s_delay_alu instid0(VALU_DEP_1) | instskip(NEXT) | instid1(VALU_DEP_1)
	v_div_fmas_f64 v[2:3], v[2:3], v[8:9], v[10:11]
	v_div_fixup_f64 v[8:9], v[2:3], v[4:5], 1.0
                                        ; implicit-def: $vgpr2_vgpr3
	s_delay_alu instid0(VALU_DEP_1) | instskip(SKIP_1) | instid1(VALU_DEP_2)
	v_mul_f64_e32 v[6:7], v[6:7], v[8:9]
	v_xor_b32_e32 v9, 0x80000000, v9
	v_xor_b32_e32 v11, 0x80000000, v7
	s_delay_alu instid0(VALU_DEP_3)
	v_mov_b32_e32 v10, v6
.LBB29_15:
	s_and_not1_saveexec_b32 s3, s3
	s_cbranch_execz .LBB29_17
; %bb.16:
	v_div_scale_f64 v[6:7], null, v[2:3], v[2:3], v[4:5]
	v_div_scale_f64 v[12:13], vcc_lo, v[4:5], v[2:3], v[4:5]
	s_delay_alu instid0(VALU_DEP_2) | instskip(SKIP_1) | instid1(TRANS32_DEP_1)
	v_rcp_f64_e32 v[8:9], v[6:7]
	v_nop
	v_fma_f64 v[10:11], -v[6:7], v[8:9], 1.0
	s_delay_alu instid0(VALU_DEP_1) | instskip(NEXT) | instid1(VALU_DEP_1)
	v_fmac_f64_e32 v[8:9], v[8:9], v[10:11]
	v_fma_f64 v[10:11], -v[6:7], v[8:9], 1.0
	s_delay_alu instid0(VALU_DEP_1) | instskip(NEXT) | instid1(VALU_DEP_1)
	v_fmac_f64_e32 v[8:9], v[8:9], v[10:11]
	v_mul_f64_e32 v[10:11], v[12:13], v[8:9]
	s_delay_alu instid0(VALU_DEP_1) | instskip(NEXT) | instid1(VALU_DEP_1)
	v_fma_f64 v[6:7], -v[6:7], v[10:11], v[12:13]
	v_div_fmas_f64 v[6:7], v[6:7], v[8:9], v[10:11]
	s_delay_alu instid0(VALU_DEP_1) | instskip(NEXT) | instid1(VALU_DEP_1)
	v_div_fixup_f64 v[8:9], v[6:7], v[2:3], v[4:5]
	v_fmac_f64_e32 v[2:3], v[4:5], v[8:9]
	s_delay_alu instid0(VALU_DEP_1) | instskip(NEXT) | instid1(VALU_DEP_1)
	v_div_scale_f64 v[4:5], null, v[2:3], v[2:3], 1.0
	v_rcp_f64_e32 v[6:7], v[4:5]
	v_nop
	s_delay_alu instid0(TRANS32_DEP_1) | instskip(NEXT) | instid1(VALU_DEP_1)
	v_fma_f64 v[10:11], -v[4:5], v[6:7], 1.0
	v_fmac_f64_e32 v[6:7], v[6:7], v[10:11]
	s_delay_alu instid0(VALU_DEP_1) | instskip(NEXT) | instid1(VALU_DEP_1)
	v_fma_f64 v[10:11], -v[4:5], v[6:7], 1.0
	v_fmac_f64_e32 v[6:7], v[6:7], v[10:11]
	v_div_scale_f64 v[10:11], vcc_lo, 1.0, v[2:3], 1.0
	s_delay_alu instid0(VALU_DEP_1) | instskip(NEXT) | instid1(VALU_DEP_1)
	v_mul_f64_e32 v[12:13], v[10:11], v[6:7]
	v_fma_f64 v[4:5], -v[4:5], v[12:13], v[10:11]
	s_delay_alu instid0(VALU_DEP_1) | instskip(NEXT) | instid1(VALU_DEP_1)
	v_div_fmas_f64 v[4:5], v[4:5], v[6:7], v[12:13]
	v_div_fixup_f64 v[6:7], v[4:5], v[2:3], 1.0
	s_delay_alu instid0(VALU_DEP_1)
	v_mul_f64_e64 v[8:9], v[8:9], -v[6:7]
	v_xor_b32_e32 v11, 0x80000000, v7
	v_mov_b32_e32 v10, v6
.LBB29_17:
	s_or_b32 exec_lo, exec_lo, s3
	s_clause 0x1
	scratch_store_b128 v19, v[6:9], off
	scratch_load_b128 v[2:5], off, s24
	v_xor_b32_e32 v13, 0x80000000, v9
	v_mov_b32_e32 v12, v8
	s_wait_xcnt 0x1
	v_add_nc_u32_e32 v6, 0x1e0, v74
	ds_store_b128 v74, v[10:13]
	s_wait_loadcnt 0x0
	ds_store_b128 v74, v[2:5] offset:480
	s_wait_storecnt_dscnt 0x0
	s_barrier_signal -1
	s_barrier_wait -1
	s_wait_xcnt 0x0
	s_and_saveexec_b32 s3, s2
	s_cbranch_execz .LBB29_19
; %bb.18:
	scratch_load_b128 v[2:5], v19, off
	ds_load_b128 v[8:11], v6
	v_mov_b32_e32 v7, 0
	ds_load_b128 v[76:79], v7 offset:16
	s_wait_loadcnt_dscnt 0x1
	v_mul_f64_e32 v[12:13], v[8:9], v[4:5]
	v_mul_f64_e32 v[4:5], v[10:11], v[4:5]
	s_delay_alu instid0(VALU_DEP_2) | instskip(NEXT) | instid1(VALU_DEP_2)
	v_fmac_f64_e32 v[12:13], v[10:11], v[2:3]
	v_fma_f64 v[2:3], v[8:9], v[2:3], -v[4:5]
	s_delay_alu instid0(VALU_DEP_2) | instskip(NEXT) | instid1(VALU_DEP_2)
	v_add_f64_e32 v[8:9], 0, v[12:13]
	v_add_f64_e32 v[2:3], 0, v[2:3]
	s_wait_dscnt 0x0
	s_delay_alu instid0(VALU_DEP_2) | instskip(NEXT) | instid1(VALU_DEP_2)
	v_mul_f64_e32 v[10:11], v[8:9], v[78:79]
	v_mul_f64_e32 v[4:5], v[2:3], v[78:79]
	s_delay_alu instid0(VALU_DEP_2) | instskip(NEXT) | instid1(VALU_DEP_2)
	v_fma_f64 v[2:3], v[2:3], v[76:77], -v[10:11]
	v_fmac_f64_e32 v[4:5], v[8:9], v[76:77]
	scratch_store_b128 off, v[2:5], off offset:16
.LBB29_19:
	s_wait_xcnt 0x0
	s_or_b32 exec_lo, exec_lo, s3
	s_wait_storecnt 0x0
	s_barrier_signal -1
	s_barrier_wait -1
	scratch_load_b128 v[2:5], off, s8
	s_mov_b32 s3, exec_lo
	s_wait_loadcnt 0x0
	ds_store_b128 v6, v[2:5]
	s_wait_dscnt 0x0
	s_barrier_signal -1
	s_barrier_wait -1
	v_cmpx_gt_u32_e32 2, v1
	s_cbranch_execz .LBB29_23
; %bb.20:
	scratch_load_b128 v[2:5], v19, off
	ds_load_b128 v[8:11], v6
	s_wait_loadcnt_dscnt 0x0
	v_mul_f64_e32 v[12:13], v[10:11], v[4:5]
	v_mul_f64_e32 v[76:77], v[8:9], v[4:5]
	s_delay_alu instid0(VALU_DEP_2) | instskip(NEXT) | instid1(VALU_DEP_2)
	v_fma_f64 v[4:5], v[8:9], v[2:3], -v[12:13]
	v_fmac_f64_e32 v[76:77], v[10:11], v[2:3]
	s_delay_alu instid0(VALU_DEP_2) | instskip(NEXT) | instid1(VALU_DEP_2)
	v_add_f64_e32 v[4:5], 0, v[4:5]
	v_add_f64_e32 v[2:3], 0, v[76:77]
	s_and_saveexec_b32 s43, s2
	s_cbranch_execz .LBB29_22
; %bb.21:
	scratch_load_b128 v[8:11], off, off offset:16
	v_mov_b32_e32 v7, 0
	ds_load_b128 v[76:79], v7 offset:496
	s_wait_loadcnt_dscnt 0x0
	v_mul_f64_e32 v[12:13], v[76:77], v[10:11]
	v_mul_f64_e32 v[10:11], v[78:79], v[10:11]
	s_delay_alu instid0(VALU_DEP_2) | instskip(NEXT) | instid1(VALU_DEP_2)
	v_fmac_f64_e32 v[12:13], v[78:79], v[8:9]
	v_fma_f64 v[8:9], v[76:77], v[8:9], -v[10:11]
	s_delay_alu instid0(VALU_DEP_2) | instskip(NEXT) | instid1(VALU_DEP_2)
	v_add_f64_e32 v[2:3], v[2:3], v[12:13]
	v_add_f64_e32 v[4:5], v[4:5], v[8:9]
.LBB29_22:
	s_or_b32 exec_lo, exec_lo, s43
	v_mov_b32_e32 v7, 0
	ds_load_b128 v[8:11], v7 offset:32
	s_wait_dscnt 0x0
	v_mul_f64_e32 v[76:77], v[2:3], v[10:11]
	v_mul_f64_e32 v[12:13], v[4:5], v[10:11]
	s_delay_alu instid0(VALU_DEP_2) | instskip(NEXT) | instid1(VALU_DEP_2)
	v_fma_f64 v[10:11], v[4:5], v[8:9], -v[76:77]
	v_fmac_f64_e32 v[12:13], v[2:3], v[8:9]
	scratch_store_b128 off, v[10:13], off offset:32
.LBB29_23:
	s_wait_xcnt 0x0
	s_or_b32 exec_lo, exec_lo, s3
	s_wait_storecnt 0x0
	s_barrier_signal -1
	s_barrier_wait -1
	scratch_load_b128 v[2:5], off, s12
	v_add_nc_u32_e32 v7, -1, v1
	s_mov_b32 s2, exec_lo
	s_wait_loadcnt 0x0
	ds_store_b128 v6, v[2:5]
	s_wait_dscnt 0x0
	s_barrier_signal -1
	s_barrier_wait -1
	v_cmpx_gt_u32_e32 3, v1
	s_cbranch_execz .LBB29_27
; %bb.24:
	v_dual_mov_b32 v10, v74 :: v_dual_add_nc_u32 v8, -1, v1
	v_mov_b64_e32 v[2:3], 0
	v_mov_b64_e32 v[4:5], 0
	v_add_nc_u32_e32 v9, 0x1e0, v74
	s_delay_alu instid0(VALU_DEP_4)
	v_or_b32_e32 v10, 8, v10
	s_mov_b32 s3, 0
.LBB29_25:                              ; =>This Inner Loop Header: Depth=1
	scratch_load_b128 v[76:79], v10, off offset:-8
	ds_load_b128 v[80:83], v9
	v_dual_add_nc_u32 v8, 1, v8 :: v_dual_add_nc_u32 v9, 16, v9
	s_wait_xcnt 0x0
	v_add_nc_u32_e32 v10, 16, v10
	s_delay_alu instid0(VALU_DEP_2) | instskip(SKIP_4) | instid1(VALU_DEP_2)
	v_cmp_lt_u32_e32 vcc_lo, 1, v8
	s_or_b32 s3, vcc_lo, s3
	s_wait_loadcnt_dscnt 0x0
	v_mul_f64_e32 v[12:13], v[82:83], v[78:79]
	v_mul_f64_e32 v[78:79], v[80:81], v[78:79]
	v_fma_f64 v[12:13], v[80:81], v[76:77], -v[12:13]
	s_delay_alu instid0(VALU_DEP_2) | instskip(NEXT) | instid1(VALU_DEP_2)
	v_fmac_f64_e32 v[78:79], v[82:83], v[76:77]
	v_add_f64_e32 v[4:5], v[4:5], v[12:13]
	s_delay_alu instid0(VALU_DEP_2)
	v_add_f64_e32 v[2:3], v[2:3], v[78:79]
	s_and_not1_b32 exec_lo, exec_lo, s3
	s_cbranch_execnz .LBB29_25
; %bb.26:
	s_or_b32 exec_lo, exec_lo, s3
	v_mov_b32_e32 v8, 0
	ds_load_b128 v[8:11], v8 offset:48
	s_wait_dscnt 0x0
	v_mul_f64_e32 v[76:77], v[2:3], v[10:11]
	v_mul_f64_e32 v[12:13], v[4:5], v[10:11]
	s_delay_alu instid0(VALU_DEP_2) | instskip(NEXT) | instid1(VALU_DEP_2)
	v_fma_f64 v[10:11], v[4:5], v[8:9], -v[76:77]
	v_fmac_f64_e32 v[12:13], v[2:3], v[8:9]
	scratch_store_b128 off, v[10:13], off offset:48
.LBB29_27:
	s_wait_xcnt 0x0
	s_or_b32 exec_lo, exec_lo, s2
	s_wait_storecnt 0x0
	s_barrier_signal -1
	s_barrier_wait -1
	scratch_load_b128 v[2:5], off, s15
	s_mov_b32 s2, exec_lo
	s_wait_loadcnt 0x0
	ds_store_b128 v6, v[2:5]
	s_wait_dscnt 0x0
	s_barrier_signal -1
	s_barrier_wait -1
	v_cmpx_gt_u32_e32 4, v1
	s_cbranch_execz .LBB29_31
; %bb.28:
	v_dual_mov_b32 v10, v74 :: v_dual_add_nc_u32 v8, -1, v1
	v_mov_b64_e32 v[2:3], 0
	v_mov_b64_e32 v[4:5], 0
	v_add_nc_u32_e32 v9, 0x1e0, v74
	s_delay_alu instid0(VALU_DEP_4)
	v_or_b32_e32 v10, 8, v10
	s_mov_b32 s3, 0
.LBB29_29:                              ; =>This Inner Loop Header: Depth=1
	scratch_load_b128 v[76:79], v10, off offset:-8
	ds_load_b128 v[80:83], v9
	v_dual_add_nc_u32 v8, 1, v8 :: v_dual_add_nc_u32 v9, 16, v9
	s_wait_xcnt 0x0
	v_add_nc_u32_e32 v10, 16, v10
	s_delay_alu instid0(VALU_DEP_2) | instskip(SKIP_4) | instid1(VALU_DEP_2)
	v_cmp_lt_u32_e32 vcc_lo, 2, v8
	s_or_b32 s3, vcc_lo, s3
	s_wait_loadcnt_dscnt 0x0
	v_mul_f64_e32 v[12:13], v[82:83], v[78:79]
	v_mul_f64_e32 v[78:79], v[80:81], v[78:79]
	v_fma_f64 v[12:13], v[80:81], v[76:77], -v[12:13]
	s_delay_alu instid0(VALU_DEP_2) | instskip(NEXT) | instid1(VALU_DEP_2)
	v_fmac_f64_e32 v[78:79], v[82:83], v[76:77]
	v_add_f64_e32 v[4:5], v[4:5], v[12:13]
	s_delay_alu instid0(VALU_DEP_2)
	v_add_f64_e32 v[2:3], v[2:3], v[78:79]
	s_and_not1_b32 exec_lo, exec_lo, s3
	s_cbranch_execnz .LBB29_29
; %bb.30:
	s_or_b32 exec_lo, exec_lo, s3
	v_mov_b32_e32 v8, 0
	ds_load_b128 v[8:11], v8 offset:64
	s_wait_dscnt 0x0
	v_mul_f64_e32 v[76:77], v[2:3], v[10:11]
	v_mul_f64_e32 v[12:13], v[4:5], v[10:11]
	s_delay_alu instid0(VALU_DEP_2) | instskip(NEXT) | instid1(VALU_DEP_2)
	v_fma_f64 v[10:11], v[4:5], v[8:9], -v[76:77]
	v_fmac_f64_e32 v[12:13], v[2:3], v[8:9]
	scratch_store_b128 off, v[10:13], off offset:64
.LBB29_31:
	s_wait_xcnt 0x0
	s_or_b32 exec_lo, exec_lo, s2
	s_wait_storecnt 0x0
	s_barrier_signal -1
	s_barrier_wait -1
	scratch_load_b128 v[2:5], off, s31
	;; [unrolled: 54-line block ×19, first 2 shown]
	s_mov_b32 s2, exec_lo
	s_wait_loadcnt 0x0
	ds_store_b128 v6, v[2:5]
	s_wait_dscnt 0x0
	s_barrier_signal -1
	s_barrier_wait -1
	v_cmpx_gt_u32_e32 22, v1
	s_cbranch_execz .LBB29_103
; %bb.100:
	v_dual_mov_b32 v10, v74 :: v_dual_add_nc_u32 v8, -1, v1
	v_mov_b64_e32 v[2:3], 0
	v_mov_b64_e32 v[4:5], 0
	v_add_nc_u32_e32 v9, 0x1e0, v74
	s_delay_alu instid0(VALU_DEP_4)
	v_or_b32_e32 v10, 8, v10
	s_mov_b32 s3, 0
.LBB29_101:                             ; =>This Inner Loop Header: Depth=1
	scratch_load_b128 v[76:79], v10, off offset:-8
	ds_load_b128 v[80:83], v9
	v_dual_add_nc_u32 v8, 1, v8 :: v_dual_add_nc_u32 v9, 16, v9
	s_wait_xcnt 0x0
	v_add_nc_u32_e32 v10, 16, v10
	s_delay_alu instid0(VALU_DEP_2) | instskip(SKIP_4) | instid1(VALU_DEP_2)
	v_cmp_lt_u32_e32 vcc_lo, 20, v8
	s_or_b32 s3, vcc_lo, s3
	s_wait_loadcnt_dscnt 0x0
	v_mul_f64_e32 v[12:13], v[82:83], v[78:79]
	v_mul_f64_e32 v[78:79], v[80:81], v[78:79]
	v_fma_f64 v[12:13], v[80:81], v[76:77], -v[12:13]
	s_delay_alu instid0(VALU_DEP_2) | instskip(NEXT) | instid1(VALU_DEP_2)
	v_fmac_f64_e32 v[78:79], v[82:83], v[76:77]
	v_add_f64_e32 v[4:5], v[4:5], v[12:13]
	s_delay_alu instid0(VALU_DEP_2)
	v_add_f64_e32 v[2:3], v[2:3], v[78:79]
	s_and_not1_b32 exec_lo, exec_lo, s3
	s_cbranch_execnz .LBB29_101
; %bb.102:
	s_or_b32 exec_lo, exec_lo, s3
	v_mov_b32_e32 v8, 0
	ds_load_b128 v[8:11], v8 offset:352
	s_wait_dscnt 0x0
	v_mul_f64_e32 v[76:77], v[2:3], v[10:11]
	v_mul_f64_e32 v[12:13], v[4:5], v[10:11]
	s_delay_alu instid0(VALU_DEP_2) | instskip(NEXT) | instid1(VALU_DEP_2)
	v_fma_f64 v[10:11], v[4:5], v[8:9], -v[76:77]
	v_fmac_f64_e32 v[12:13], v[2:3], v[8:9]
	scratch_store_b128 off, v[10:13], off offset:352
.LBB29_103:
	s_wait_xcnt 0x0
	s_or_b32 exec_lo, exec_lo, s2
	s_wait_storecnt 0x0
	s_barrier_signal -1
	s_barrier_wait -1
	scratch_load_b128 v[2:5], off, s27
	s_mov_b32 s2, exec_lo
	s_wait_loadcnt 0x0
	ds_store_b128 v6, v[2:5]
	s_wait_dscnt 0x0
	s_barrier_signal -1
	s_barrier_wait -1
	v_cmpx_gt_u32_e32 23, v1
	s_cbranch_execz .LBB29_107
; %bb.104:
	v_dual_mov_b32 v10, v74 :: v_dual_add_nc_u32 v8, -1, v1
	v_mov_b64_e32 v[2:3], 0
	v_mov_b64_e32 v[4:5], 0
	v_add_nc_u32_e32 v9, 0x1e0, v74
	s_delay_alu instid0(VALU_DEP_4)
	v_or_b32_e32 v10, 8, v10
	s_mov_b32 s3, 0
.LBB29_105:                             ; =>This Inner Loop Header: Depth=1
	scratch_load_b128 v[76:79], v10, off offset:-8
	ds_load_b128 v[80:83], v9
	v_dual_add_nc_u32 v8, 1, v8 :: v_dual_add_nc_u32 v9, 16, v9
	s_wait_xcnt 0x0
	v_add_nc_u32_e32 v10, 16, v10
	s_delay_alu instid0(VALU_DEP_2) | instskip(SKIP_4) | instid1(VALU_DEP_2)
	v_cmp_lt_u32_e32 vcc_lo, 21, v8
	s_or_b32 s3, vcc_lo, s3
	s_wait_loadcnt_dscnt 0x0
	v_mul_f64_e32 v[12:13], v[82:83], v[78:79]
	v_mul_f64_e32 v[78:79], v[80:81], v[78:79]
	v_fma_f64 v[12:13], v[80:81], v[76:77], -v[12:13]
	s_delay_alu instid0(VALU_DEP_2) | instskip(NEXT) | instid1(VALU_DEP_2)
	v_fmac_f64_e32 v[78:79], v[82:83], v[76:77]
	v_add_f64_e32 v[4:5], v[4:5], v[12:13]
	s_delay_alu instid0(VALU_DEP_2)
	v_add_f64_e32 v[2:3], v[2:3], v[78:79]
	s_and_not1_b32 exec_lo, exec_lo, s3
	s_cbranch_execnz .LBB29_105
; %bb.106:
	s_or_b32 exec_lo, exec_lo, s3
	v_mov_b32_e32 v8, 0
	ds_load_b128 v[8:11], v8 offset:368
	s_wait_dscnt 0x0
	v_mul_f64_e32 v[76:77], v[2:3], v[10:11]
	v_mul_f64_e32 v[12:13], v[4:5], v[10:11]
	s_delay_alu instid0(VALU_DEP_2) | instskip(NEXT) | instid1(VALU_DEP_2)
	v_fma_f64 v[10:11], v[4:5], v[8:9], -v[76:77]
	v_fmac_f64_e32 v[12:13], v[2:3], v[8:9]
	scratch_store_b128 off, v[10:13], off offset:368
.LBB29_107:
	s_wait_xcnt 0x0
	s_or_b32 exec_lo, exec_lo, s2
	s_wait_storecnt 0x0
	s_barrier_signal -1
	s_barrier_wait -1
	scratch_load_b128 v[2:5], off, s28
	;; [unrolled: 54-line block ×7, first 2 shown]
	s_mov_b32 s2, exec_lo
	s_wait_loadcnt 0x0
	ds_store_b128 v6, v[2:5]
	s_wait_dscnt 0x0
	s_barrier_signal -1
	s_barrier_wait -1
	v_cmpx_ne_u32_e32 29, v1
	s_cbranch_execz .LBB29_131
; %bb.128:
	v_mov_b32_e32 v8, v74
	v_mov_b64_e32 v[2:3], 0
	v_mov_b64_e32 v[4:5], 0
	s_mov_b32 s3, 0
	s_delay_alu instid0(VALU_DEP_3)
	v_or_b32_e32 v8, 8, v8
.LBB29_129:                             ; =>This Inner Loop Header: Depth=1
	scratch_load_b128 v[10:13], v8, off offset:-8
	ds_load_b128 v[74:77], v6
	v_dual_add_nc_u32 v7, 1, v7 :: v_dual_add_nc_u32 v6, 16, v6
	s_wait_xcnt 0x0
	v_add_nc_u32_e32 v8, 16, v8
	s_delay_alu instid0(VALU_DEP_2) | instskip(SKIP_4) | instid1(VALU_DEP_2)
	v_cmp_lt_u32_e32 vcc_lo, 27, v7
	s_or_b32 s3, vcc_lo, s3
	s_wait_loadcnt_dscnt 0x0
	v_mul_f64_e32 v[78:79], v[76:77], v[12:13]
	v_mul_f64_e32 v[12:13], v[74:75], v[12:13]
	v_fma_f64 v[74:75], v[74:75], v[10:11], -v[78:79]
	s_delay_alu instid0(VALU_DEP_2) | instskip(NEXT) | instid1(VALU_DEP_2)
	v_fmac_f64_e32 v[12:13], v[76:77], v[10:11]
	v_add_f64_e32 v[4:5], v[4:5], v[74:75]
	s_delay_alu instid0(VALU_DEP_2)
	v_add_f64_e32 v[2:3], v[2:3], v[12:13]
	s_and_not1_b32 exec_lo, exec_lo, s3
	s_cbranch_execnz .LBB29_129
; %bb.130:
	s_or_b32 exec_lo, exec_lo, s3
	v_mov_b32_e32 v6, 0
	ds_load_b128 v[6:9], v6 offset:464
	s_wait_dscnt 0x0
	v_mul_f64_e32 v[12:13], v[2:3], v[8:9]
	v_mul_f64_e32 v[10:11], v[4:5], v[8:9]
	s_delay_alu instid0(VALU_DEP_2) | instskip(NEXT) | instid1(VALU_DEP_2)
	v_fma_f64 v[8:9], v[4:5], v[6:7], -v[12:13]
	v_fmac_f64_e32 v[10:11], v[2:3], v[6:7]
	scratch_store_b128 off, v[8:11], off offset:464
.LBB29_131:
	s_wait_xcnt 0x0
	s_or_b32 exec_lo, exec_lo, s2
	s_mov_b32 s3, -1
	s_wait_storecnt 0x0
	s_barrier_signal -1
	s_barrier_wait -1
.LBB29_132:
	s_and_b32 vcc_lo, exec_lo, s3
	s_cbranch_vccz .LBB29_134
; %bb.133:
	s_wait_xcnt 0x9
	v_mov_b32_e32 v2, 0
	s_lshl_b64 s[2:3], s[18:19], 2
	s_delay_alu instid0(SALU_CYCLE_1)
	s_add_nc_u64 s[2:3], s[6:7], s[2:3]
	global_load_b32 v2, v2, s[2:3]
	s_wait_loadcnt 0x0
	v_cmp_ne_u32_e32 vcc_lo, 0, v2
	s_cbranch_vccz .LBB29_135
.LBB29_134:
	s_sendmsg sendmsg(MSG_DEALLOC_VGPRS)
	s_endpgm
.LBB29_135:
	s_wait_xcnt 0x8
	v_lshl_add_u32 v6, v1, 4, 0x1e0
	s_wait_xcnt 0x0
	s_mov_b32 s2, exec_lo
	v_cmpx_eq_u32_e32 29, v1
	s_cbranch_execz .LBB29_137
; %bb.136:
	scratch_load_b128 v[2:5], off, s22
	v_mov_b32_e32 v8, 0
	s_delay_alu instid0(VALU_DEP_1)
	v_dual_mov_b32 v9, v8 :: v_dual_mov_b32 v10, v8
	v_mov_b32_e32 v11, v8
	scratch_store_b128 off, v[8:11], off offset:448
	s_wait_loadcnt 0x0
	ds_store_b128 v6, v[2:5]
.LBB29_137:
	s_wait_xcnt 0x0
	s_or_b32 exec_lo, exec_lo, s2
	s_wait_storecnt_dscnt 0x0
	s_barrier_signal -1
	s_barrier_wait -1
	s_clause 0x1
	scratch_load_b128 v[8:11], off, off offset:464
	scratch_load_b128 v[74:77], off, off offset:448
	v_mov_b32_e32 v2, 0
	s_mov_b32 s2, exec_lo
	ds_load_b128 v[78:81], v2 offset:944
	s_wait_loadcnt_dscnt 0x100
	v_mul_f64_e32 v[4:5], v[80:81], v[10:11]
	v_mul_f64_e32 v[10:11], v[78:79], v[10:11]
	s_delay_alu instid0(VALU_DEP_2) | instskip(NEXT) | instid1(VALU_DEP_2)
	v_fma_f64 v[4:5], v[78:79], v[8:9], -v[4:5]
	v_fmac_f64_e32 v[10:11], v[80:81], v[8:9]
	s_delay_alu instid0(VALU_DEP_2) | instskip(NEXT) | instid1(VALU_DEP_2)
	v_add_f64_e32 v[4:5], 0, v[4:5]
	v_add_f64_e32 v[10:11], 0, v[10:11]
	s_wait_loadcnt 0x0
	s_delay_alu instid0(VALU_DEP_2) | instskip(NEXT) | instid1(VALU_DEP_2)
	v_add_f64_e64 v[8:9], v[74:75], -v[4:5]
	v_add_f64_e64 v[10:11], v[76:77], -v[10:11]
	scratch_store_b128 off, v[8:11], off offset:448
	s_wait_xcnt 0x0
	v_cmpx_lt_u32_e32 27, v1
	s_cbranch_execz .LBB29_139
; %bb.138:
	scratch_load_b128 v[8:11], off, s20
	v_dual_mov_b32 v3, v2 :: v_dual_mov_b32 v4, v2
	v_mov_b32_e32 v5, v2
	scratch_store_b128 off, v[2:5], off offset:432
	s_wait_loadcnt 0x0
	ds_store_b128 v6, v[8:11]
.LBB29_139:
	s_wait_xcnt 0x0
	s_or_b32 exec_lo, exec_lo, s2
	s_wait_storecnt_dscnt 0x0
	s_barrier_signal -1
	s_barrier_wait -1
	s_clause 0x2
	scratch_load_b128 v[8:11], off, off offset:448
	scratch_load_b128 v[74:77], off, off offset:464
	;; [unrolled: 1-line block ×3, first 2 shown]
	ds_load_b128 v[82:85], v2 offset:928
	ds_load_b128 v[2:5], v2 offset:944
	s_mov_b32 s2, exec_lo
	s_wait_loadcnt_dscnt 0x201
	v_mul_f64_e32 v[12:13], v[84:85], v[10:11]
	v_mul_f64_e32 v[10:11], v[82:83], v[10:11]
	s_wait_loadcnt_dscnt 0x100
	v_mul_f64_e32 v[86:87], v[2:3], v[76:77]
	v_mul_f64_e32 v[76:77], v[4:5], v[76:77]
	s_delay_alu instid0(VALU_DEP_4) | instskip(NEXT) | instid1(VALU_DEP_4)
	v_fma_f64 v[12:13], v[82:83], v[8:9], -v[12:13]
	v_fmac_f64_e32 v[10:11], v[84:85], v[8:9]
	s_delay_alu instid0(VALU_DEP_4) | instskip(NEXT) | instid1(VALU_DEP_4)
	v_fmac_f64_e32 v[86:87], v[4:5], v[74:75]
	v_fma_f64 v[2:3], v[2:3], v[74:75], -v[76:77]
	s_delay_alu instid0(VALU_DEP_4) | instskip(NEXT) | instid1(VALU_DEP_4)
	v_add_f64_e32 v[4:5], 0, v[12:13]
	v_add_f64_e32 v[8:9], 0, v[10:11]
	s_delay_alu instid0(VALU_DEP_2) | instskip(NEXT) | instid1(VALU_DEP_2)
	v_add_f64_e32 v[2:3], v[4:5], v[2:3]
	v_add_f64_e32 v[4:5], v[8:9], v[86:87]
	s_wait_loadcnt 0x0
	s_delay_alu instid0(VALU_DEP_2) | instskip(NEXT) | instid1(VALU_DEP_2)
	v_add_f64_e64 v[2:3], v[78:79], -v[2:3]
	v_add_f64_e64 v[4:5], v[80:81], -v[4:5]
	scratch_store_b128 off, v[2:5], off offset:432
	s_wait_xcnt 0x0
	v_cmpx_lt_u32_e32 26, v1
	s_cbranch_execz .LBB29_141
; %bb.140:
	scratch_load_b128 v[2:5], off, s26
	v_mov_b32_e32 v8, 0
	s_delay_alu instid0(VALU_DEP_1)
	v_dual_mov_b32 v9, v8 :: v_dual_mov_b32 v10, v8
	v_mov_b32_e32 v11, v8
	scratch_store_b128 off, v[8:11], off offset:416
	s_wait_loadcnt 0x0
	ds_store_b128 v6, v[2:5]
.LBB29_141:
	s_wait_xcnt 0x0
	s_or_b32 exec_lo, exec_lo, s2
	s_wait_storecnt_dscnt 0x0
	s_barrier_signal -1
	s_barrier_wait -1
	s_clause 0x3
	scratch_load_b128 v[8:11], off, off offset:432
	scratch_load_b128 v[74:77], off, off offset:448
	;; [unrolled: 1-line block ×4, first 2 shown]
	v_mov_b32_e32 v2, 0
	ds_load_b128 v[86:89], v2 offset:912
	ds_load_b128 v[90:93], v2 offset:928
	s_mov_b32 s2, exec_lo
	s_wait_loadcnt_dscnt 0x301
	v_mul_f64_e32 v[4:5], v[88:89], v[10:11]
	v_mul_f64_e32 v[12:13], v[86:87], v[10:11]
	s_wait_loadcnt_dscnt 0x200
	v_mul_f64_e32 v[94:95], v[90:91], v[76:77]
	v_mul_f64_e32 v[76:77], v[92:93], v[76:77]
	s_delay_alu instid0(VALU_DEP_4) | instskip(NEXT) | instid1(VALU_DEP_4)
	v_fma_f64 v[4:5], v[86:87], v[8:9], -v[4:5]
	v_fmac_f64_e32 v[12:13], v[88:89], v[8:9]
	ds_load_b128 v[8:11], v2 offset:944
	v_fmac_f64_e32 v[94:95], v[92:93], v[74:75]
	v_fma_f64 v[74:75], v[90:91], v[74:75], -v[76:77]
	s_wait_loadcnt_dscnt 0x100
	v_mul_f64_e32 v[86:87], v[8:9], v[80:81]
	v_mul_f64_e32 v[80:81], v[10:11], v[80:81]
	v_add_f64_e32 v[4:5], 0, v[4:5]
	v_add_f64_e32 v[12:13], 0, v[12:13]
	s_delay_alu instid0(VALU_DEP_4) | instskip(NEXT) | instid1(VALU_DEP_4)
	v_fmac_f64_e32 v[86:87], v[10:11], v[78:79]
	v_fma_f64 v[8:9], v[8:9], v[78:79], -v[80:81]
	s_delay_alu instid0(VALU_DEP_4) | instskip(NEXT) | instid1(VALU_DEP_4)
	v_add_f64_e32 v[4:5], v[4:5], v[74:75]
	v_add_f64_e32 v[10:11], v[12:13], v[94:95]
	s_delay_alu instid0(VALU_DEP_2) | instskip(NEXT) | instid1(VALU_DEP_2)
	v_add_f64_e32 v[4:5], v[4:5], v[8:9]
	v_add_f64_e32 v[10:11], v[10:11], v[86:87]
	s_wait_loadcnt 0x0
	s_delay_alu instid0(VALU_DEP_2) | instskip(NEXT) | instid1(VALU_DEP_2)
	v_add_f64_e64 v[8:9], v[82:83], -v[4:5]
	v_add_f64_e64 v[10:11], v[84:85], -v[10:11]
	scratch_store_b128 off, v[8:11], off offset:416
	s_wait_xcnt 0x0
	v_cmpx_lt_u32_e32 25, v1
	s_cbranch_execz .LBB29_143
; %bb.142:
	scratch_load_b128 v[8:11], off, s23
	v_dual_mov_b32 v3, v2 :: v_dual_mov_b32 v4, v2
	v_mov_b32_e32 v5, v2
	scratch_store_b128 off, v[2:5], off offset:400
	s_wait_loadcnt 0x0
	ds_store_b128 v6, v[8:11]
.LBB29_143:
	s_wait_xcnt 0x0
	s_or_b32 exec_lo, exec_lo, s2
	s_wait_storecnt_dscnt 0x0
	s_barrier_signal -1
	s_barrier_wait -1
	s_clause 0x4
	scratch_load_b128 v[8:11], off, off offset:416
	scratch_load_b128 v[74:77], off, off offset:432
	;; [unrolled: 1-line block ×5, first 2 shown]
	ds_load_b128 v[90:93], v2 offset:896
	ds_load_b128 v[94:97], v2 offset:912
	s_mov_b32 s2, exec_lo
	s_wait_loadcnt_dscnt 0x401
	v_mul_f64_e32 v[4:5], v[92:93], v[10:11]
	v_mul_f64_e32 v[12:13], v[90:91], v[10:11]
	s_wait_loadcnt_dscnt 0x300
	v_mul_f64_e32 v[98:99], v[94:95], v[76:77]
	v_mul_f64_e32 v[76:77], v[96:97], v[76:77]
	s_delay_alu instid0(VALU_DEP_4) | instskip(NEXT) | instid1(VALU_DEP_4)
	v_fma_f64 v[90:91], v[90:91], v[8:9], -v[4:5]
	v_fmac_f64_e32 v[12:13], v[92:93], v[8:9]
	ds_load_b128 v[8:11], v2 offset:928
	ds_load_b128 v[2:5], v2 offset:944
	v_fmac_f64_e32 v[98:99], v[96:97], v[74:75]
	v_fma_f64 v[74:75], v[94:95], v[74:75], -v[76:77]
	s_wait_loadcnt_dscnt 0x201
	v_mul_f64_e32 v[92:93], v[8:9], v[80:81]
	v_mul_f64_e32 v[80:81], v[10:11], v[80:81]
	v_add_f64_e32 v[76:77], 0, v[90:91]
	v_add_f64_e32 v[12:13], 0, v[12:13]
	s_wait_loadcnt_dscnt 0x100
	v_mul_f64_e32 v[90:91], v[2:3], v[84:85]
	v_mul_f64_e32 v[84:85], v[4:5], v[84:85]
	v_fmac_f64_e32 v[92:93], v[10:11], v[78:79]
	v_fma_f64 v[8:9], v[8:9], v[78:79], -v[80:81]
	v_add_f64_e32 v[10:11], v[76:77], v[74:75]
	v_add_f64_e32 v[12:13], v[12:13], v[98:99]
	v_fmac_f64_e32 v[90:91], v[4:5], v[82:83]
	v_fma_f64 v[2:3], v[2:3], v[82:83], -v[84:85]
	s_delay_alu instid0(VALU_DEP_4) | instskip(NEXT) | instid1(VALU_DEP_4)
	v_add_f64_e32 v[4:5], v[10:11], v[8:9]
	v_add_f64_e32 v[8:9], v[12:13], v[92:93]
	s_delay_alu instid0(VALU_DEP_2) | instskip(NEXT) | instid1(VALU_DEP_2)
	v_add_f64_e32 v[2:3], v[4:5], v[2:3]
	v_add_f64_e32 v[4:5], v[8:9], v[90:91]
	s_wait_loadcnt 0x0
	s_delay_alu instid0(VALU_DEP_2) | instskip(NEXT) | instid1(VALU_DEP_2)
	v_add_f64_e64 v[2:3], v[86:87], -v[2:3]
	v_add_f64_e64 v[4:5], v[88:89], -v[4:5]
	scratch_store_b128 off, v[2:5], off offset:400
	s_wait_xcnt 0x0
	v_cmpx_lt_u32_e32 24, v1
	s_cbranch_execz .LBB29_145
; %bb.144:
	scratch_load_b128 v[2:5], off, s28
	v_mov_b32_e32 v8, 0
	s_delay_alu instid0(VALU_DEP_1)
	v_dual_mov_b32 v9, v8 :: v_dual_mov_b32 v10, v8
	v_mov_b32_e32 v11, v8
	scratch_store_b128 off, v[8:11], off offset:384
	s_wait_loadcnt 0x0
	ds_store_b128 v6, v[2:5]
.LBB29_145:
	s_wait_xcnt 0x0
	s_or_b32 exec_lo, exec_lo, s2
	s_wait_storecnt_dscnt 0x0
	s_barrier_signal -1
	s_barrier_wait -1
	s_clause 0x5
	scratch_load_b128 v[8:11], off, off offset:400
	scratch_load_b128 v[74:77], off, off offset:416
	;; [unrolled: 1-line block ×6, first 2 shown]
	v_mov_b32_e32 v2, 0
	ds_load_b128 v[94:97], v2 offset:880
	ds_load_b128 v[98:101], v2 offset:896
	s_mov_b32 s2, exec_lo
	s_wait_loadcnt_dscnt 0x501
	v_mul_f64_e32 v[4:5], v[96:97], v[10:11]
	v_mul_f64_e32 v[12:13], v[94:95], v[10:11]
	s_wait_loadcnt_dscnt 0x400
	v_mul_f64_e32 v[102:103], v[98:99], v[76:77]
	v_mul_f64_e32 v[76:77], v[100:101], v[76:77]
	s_delay_alu instid0(VALU_DEP_4) | instskip(NEXT) | instid1(VALU_DEP_4)
	v_fma_f64 v[4:5], v[94:95], v[8:9], -v[4:5]
	v_fmac_f64_e32 v[12:13], v[96:97], v[8:9]
	ds_load_b128 v[8:11], v2 offset:912
	ds_load_b128 v[94:97], v2 offset:928
	v_fmac_f64_e32 v[102:103], v[100:101], v[74:75]
	v_fma_f64 v[74:75], v[98:99], v[74:75], -v[76:77]
	s_wait_loadcnt_dscnt 0x301
	v_mul_f64_e32 v[104:105], v[8:9], v[80:81]
	v_mul_f64_e32 v[80:81], v[10:11], v[80:81]
	s_wait_loadcnt_dscnt 0x200
	v_mul_f64_e32 v[76:77], v[94:95], v[84:85]
	v_mul_f64_e32 v[84:85], v[96:97], v[84:85]
	v_add_f64_e32 v[4:5], 0, v[4:5]
	v_add_f64_e32 v[12:13], 0, v[12:13]
	v_fmac_f64_e32 v[104:105], v[10:11], v[78:79]
	v_fma_f64 v[78:79], v[8:9], v[78:79], -v[80:81]
	ds_load_b128 v[8:11], v2 offset:944
	v_fmac_f64_e32 v[76:77], v[96:97], v[82:83]
	v_fma_f64 v[82:83], v[94:95], v[82:83], -v[84:85]
	v_add_f64_e32 v[4:5], v[4:5], v[74:75]
	v_add_f64_e32 v[12:13], v[12:13], v[102:103]
	s_wait_loadcnt_dscnt 0x100
	v_mul_f64_e32 v[74:75], v[8:9], v[88:89]
	v_mul_f64_e32 v[80:81], v[10:11], v[88:89]
	s_delay_alu instid0(VALU_DEP_4) | instskip(NEXT) | instid1(VALU_DEP_4)
	v_add_f64_e32 v[4:5], v[4:5], v[78:79]
	v_add_f64_e32 v[12:13], v[12:13], v[104:105]
	s_delay_alu instid0(VALU_DEP_4) | instskip(NEXT) | instid1(VALU_DEP_4)
	v_fmac_f64_e32 v[74:75], v[10:11], v[86:87]
	v_fma_f64 v[8:9], v[8:9], v[86:87], -v[80:81]
	s_delay_alu instid0(VALU_DEP_4) | instskip(NEXT) | instid1(VALU_DEP_4)
	v_add_f64_e32 v[4:5], v[4:5], v[82:83]
	v_add_f64_e32 v[10:11], v[12:13], v[76:77]
	s_delay_alu instid0(VALU_DEP_2) | instskip(NEXT) | instid1(VALU_DEP_2)
	v_add_f64_e32 v[4:5], v[4:5], v[8:9]
	v_add_f64_e32 v[10:11], v[10:11], v[74:75]
	s_wait_loadcnt 0x0
	s_delay_alu instid0(VALU_DEP_2) | instskip(NEXT) | instid1(VALU_DEP_2)
	v_add_f64_e64 v[8:9], v[90:91], -v[4:5]
	v_add_f64_e64 v[10:11], v[92:93], -v[10:11]
	scratch_store_b128 off, v[8:11], off offset:384
	s_wait_xcnt 0x0
	v_cmpx_lt_u32_e32 23, v1
	s_cbranch_execz .LBB29_147
; %bb.146:
	scratch_load_b128 v[8:11], off, s27
	v_dual_mov_b32 v3, v2 :: v_dual_mov_b32 v4, v2
	v_mov_b32_e32 v5, v2
	scratch_store_b128 off, v[2:5], off offset:368
	s_wait_loadcnt 0x0
	ds_store_b128 v6, v[8:11]
.LBB29_147:
	s_wait_xcnt 0x0
	s_or_b32 exec_lo, exec_lo, s2
	s_wait_storecnt_dscnt 0x0
	s_barrier_signal -1
	s_barrier_wait -1
	s_clause 0x6
	scratch_load_b128 v[8:11], off, off offset:384
	scratch_load_b128 v[74:77], off, off offset:400
	;; [unrolled: 1-line block ×7, first 2 shown]
	ds_load_b128 v[98:101], v2 offset:864
	ds_load_b128 v[102:105], v2 offset:880
	s_mov_b32 s2, exec_lo
	s_wait_loadcnt_dscnt 0x601
	v_mul_f64_e32 v[4:5], v[100:101], v[10:11]
	v_mul_f64_e32 v[12:13], v[98:99], v[10:11]
	s_wait_loadcnt_dscnt 0x500
	v_mul_f64_e32 v[106:107], v[102:103], v[76:77]
	v_mul_f64_e32 v[76:77], v[104:105], v[76:77]
	s_delay_alu instid0(VALU_DEP_4) | instskip(NEXT) | instid1(VALU_DEP_4)
	v_fma_f64 v[4:5], v[98:99], v[8:9], -v[4:5]
	v_fmac_f64_e32 v[12:13], v[100:101], v[8:9]
	ds_load_b128 v[8:11], v2 offset:896
	ds_load_b128 v[98:101], v2 offset:912
	v_fmac_f64_e32 v[106:107], v[104:105], v[74:75]
	v_fma_f64 v[74:75], v[102:103], v[74:75], -v[76:77]
	s_wait_loadcnt_dscnt 0x401
	v_mul_f64_e32 v[108:109], v[8:9], v[80:81]
	v_mul_f64_e32 v[80:81], v[10:11], v[80:81]
	s_wait_loadcnt_dscnt 0x300
	v_mul_f64_e32 v[76:77], v[98:99], v[84:85]
	v_mul_f64_e32 v[84:85], v[100:101], v[84:85]
	v_add_f64_e32 v[4:5], 0, v[4:5]
	v_add_f64_e32 v[12:13], 0, v[12:13]
	v_fmac_f64_e32 v[108:109], v[10:11], v[78:79]
	v_fma_f64 v[78:79], v[8:9], v[78:79], -v[80:81]
	v_fmac_f64_e32 v[76:77], v[100:101], v[82:83]
	v_fma_f64 v[82:83], v[98:99], v[82:83], -v[84:85]
	v_add_f64_e32 v[74:75], v[4:5], v[74:75]
	v_add_f64_e32 v[12:13], v[12:13], v[106:107]
	ds_load_b128 v[8:11], v2 offset:928
	ds_load_b128 v[2:5], v2 offset:944
	s_wait_loadcnt_dscnt 0x201
	v_mul_f64_e32 v[80:81], v[8:9], v[88:89]
	v_mul_f64_e32 v[88:89], v[10:11], v[88:89]
	s_wait_loadcnt_dscnt 0x100
	v_mul_f64_e32 v[84:85], v[4:5], v[92:93]
	v_add_f64_e32 v[74:75], v[74:75], v[78:79]
	v_add_f64_e32 v[12:13], v[12:13], v[108:109]
	v_mul_f64_e32 v[78:79], v[2:3], v[92:93]
	v_fmac_f64_e32 v[80:81], v[10:11], v[86:87]
	v_fma_f64 v[8:9], v[8:9], v[86:87], -v[88:89]
	v_fma_f64 v[2:3], v[2:3], v[90:91], -v[84:85]
	v_add_f64_e32 v[10:11], v[74:75], v[82:83]
	v_add_f64_e32 v[12:13], v[12:13], v[76:77]
	v_fmac_f64_e32 v[78:79], v[4:5], v[90:91]
	s_delay_alu instid0(VALU_DEP_3) | instskip(NEXT) | instid1(VALU_DEP_3)
	v_add_f64_e32 v[4:5], v[10:11], v[8:9]
	v_add_f64_e32 v[8:9], v[12:13], v[80:81]
	s_delay_alu instid0(VALU_DEP_2) | instskip(NEXT) | instid1(VALU_DEP_2)
	v_add_f64_e32 v[2:3], v[4:5], v[2:3]
	v_add_f64_e32 v[4:5], v[8:9], v[78:79]
	s_wait_loadcnt 0x0
	s_delay_alu instid0(VALU_DEP_2) | instskip(NEXT) | instid1(VALU_DEP_2)
	v_add_f64_e64 v[2:3], v[94:95], -v[2:3]
	v_add_f64_e64 v[4:5], v[96:97], -v[4:5]
	scratch_store_b128 off, v[2:5], off offset:368
	s_wait_xcnt 0x0
	v_cmpx_lt_u32_e32 22, v1
	s_cbranch_execz .LBB29_149
; %bb.148:
	scratch_load_b128 v[2:5], off, s10
	v_mov_b32_e32 v8, 0
	s_delay_alu instid0(VALU_DEP_1)
	v_dual_mov_b32 v9, v8 :: v_dual_mov_b32 v10, v8
	v_mov_b32_e32 v11, v8
	scratch_store_b128 off, v[8:11], off offset:352
	s_wait_loadcnt 0x0
	ds_store_b128 v6, v[2:5]
.LBB29_149:
	s_wait_xcnt 0x0
	s_or_b32 exec_lo, exec_lo, s2
	s_wait_storecnt_dscnt 0x0
	s_barrier_signal -1
	s_barrier_wait -1
	s_clause 0x7
	scratch_load_b128 v[8:11], off, off offset:368
	scratch_load_b128 v[74:77], off, off offset:384
	;; [unrolled: 1-line block ×8, first 2 shown]
	v_mov_b32_e32 v2, 0
	ds_load_b128 v[102:105], v2 offset:848
	ds_load_b128 v[106:109], v2 offset:864
	s_mov_b32 s2, exec_lo
	s_wait_loadcnt_dscnt 0x701
	v_mul_f64_e32 v[4:5], v[104:105], v[10:11]
	v_mul_f64_e32 v[12:13], v[102:103], v[10:11]
	s_wait_loadcnt_dscnt 0x600
	v_mul_f64_e32 v[110:111], v[106:107], v[76:77]
	v_mul_f64_e32 v[76:77], v[108:109], v[76:77]
	s_delay_alu instid0(VALU_DEP_4) | instskip(NEXT) | instid1(VALU_DEP_4)
	v_fma_f64 v[4:5], v[102:103], v[8:9], -v[4:5]
	v_fmac_f64_e32 v[12:13], v[104:105], v[8:9]
	ds_load_b128 v[8:11], v2 offset:880
	ds_load_b128 v[102:105], v2 offset:896
	v_fmac_f64_e32 v[110:111], v[108:109], v[74:75]
	v_fma_f64 v[74:75], v[106:107], v[74:75], -v[76:77]
	s_wait_loadcnt_dscnt 0x501
	v_mul_f64_e32 v[112:113], v[8:9], v[80:81]
	v_mul_f64_e32 v[80:81], v[10:11], v[80:81]
	s_wait_loadcnt_dscnt 0x400
	v_mul_f64_e32 v[106:107], v[102:103], v[84:85]
	v_mul_f64_e32 v[84:85], v[104:105], v[84:85]
	v_add_f64_e32 v[4:5], 0, v[4:5]
	v_add_f64_e32 v[12:13], 0, v[12:13]
	v_fmac_f64_e32 v[112:113], v[10:11], v[78:79]
	v_fma_f64 v[78:79], v[8:9], v[78:79], -v[80:81]
	v_fmac_f64_e32 v[106:107], v[104:105], v[82:83]
	v_fma_f64 v[82:83], v[102:103], v[82:83], -v[84:85]
	v_add_f64_e32 v[4:5], v[4:5], v[74:75]
	v_add_f64_e32 v[12:13], v[12:13], v[110:111]
	ds_load_b128 v[8:11], v2 offset:912
	ds_load_b128 v[74:77], v2 offset:928
	s_wait_loadcnt_dscnt 0x301
	v_mul_f64_e32 v[80:81], v[8:9], v[88:89]
	v_mul_f64_e32 v[88:89], v[10:11], v[88:89]
	s_wait_loadcnt_dscnt 0x200
	v_mul_f64_e32 v[84:85], v[76:77], v[92:93]
	v_add_f64_e32 v[4:5], v[4:5], v[78:79]
	v_add_f64_e32 v[12:13], v[12:13], v[112:113]
	v_mul_f64_e32 v[78:79], v[74:75], v[92:93]
	v_fmac_f64_e32 v[80:81], v[10:11], v[86:87]
	v_fma_f64 v[86:87], v[8:9], v[86:87], -v[88:89]
	ds_load_b128 v[8:11], v2 offset:944
	v_fma_f64 v[74:75], v[74:75], v[90:91], -v[84:85]
	v_add_f64_e32 v[4:5], v[4:5], v[82:83]
	v_add_f64_e32 v[12:13], v[12:13], v[106:107]
	v_fmac_f64_e32 v[78:79], v[76:77], v[90:91]
	s_wait_loadcnt_dscnt 0x100
	v_mul_f64_e32 v[82:83], v[8:9], v[96:97]
	v_mul_f64_e32 v[88:89], v[10:11], v[96:97]
	v_add_f64_e32 v[4:5], v[4:5], v[86:87]
	v_add_f64_e32 v[12:13], v[12:13], v[80:81]
	s_delay_alu instid0(VALU_DEP_4) | instskip(NEXT) | instid1(VALU_DEP_4)
	v_fmac_f64_e32 v[82:83], v[10:11], v[94:95]
	v_fma_f64 v[8:9], v[8:9], v[94:95], -v[88:89]
	s_delay_alu instid0(VALU_DEP_4) | instskip(NEXT) | instid1(VALU_DEP_4)
	v_add_f64_e32 v[4:5], v[4:5], v[74:75]
	v_add_f64_e32 v[10:11], v[12:13], v[78:79]
	s_delay_alu instid0(VALU_DEP_2) | instskip(NEXT) | instid1(VALU_DEP_2)
	v_add_f64_e32 v[4:5], v[4:5], v[8:9]
	v_add_f64_e32 v[10:11], v[10:11], v[82:83]
	s_wait_loadcnt 0x0
	s_delay_alu instid0(VALU_DEP_2) | instskip(NEXT) | instid1(VALU_DEP_2)
	v_add_f64_e64 v[8:9], v[98:99], -v[4:5]
	v_add_f64_e64 v[10:11], v[100:101], -v[10:11]
	scratch_store_b128 off, v[8:11], off offset:352
	s_wait_xcnt 0x0
	v_cmpx_lt_u32_e32 21, v1
	s_cbranch_execz .LBB29_151
; %bb.150:
	scratch_load_b128 v[8:11], off, s9
	v_dual_mov_b32 v3, v2 :: v_dual_mov_b32 v4, v2
	v_mov_b32_e32 v5, v2
	scratch_store_b128 off, v[2:5], off offset:336
	s_wait_loadcnt 0x0
	ds_store_b128 v6, v[8:11]
.LBB29_151:
	s_wait_xcnt 0x0
	s_or_b32 exec_lo, exec_lo, s2
	s_wait_storecnt_dscnt 0x0
	s_barrier_signal -1
	s_barrier_wait -1
	s_clause 0x7
	scratch_load_b128 v[8:11], off, off offset:352
	scratch_load_b128 v[74:77], off, off offset:368
	;; [unrolled: 1-line block ×8, first 2 shown]
	ds_load_b128 v[102:105], v2 offset:832
	ds_load_b128 v[106:109], v2 offset:848
	scratch_load_b128 v[110:113], off, off offset:336
	s_mov_b32 s2, exec_lo
	s_wait_loadcnt_dscnt 0x801
	v_mul_f64_e32 v[4:5], v[104:105], v[10:11]
	v_mul_f64_e32 v[12:13], v[102:103], v[10:11]
	s_wait_loadcnt_dscnt 0x700
	v_mul_f64_e32 v[114:115], v[106:107], v[76:77]
	v_mul_f64_e32 v[76:77], v[108:109], v[76:77]
	s_delay_alu instid0(VALU_DEP_4) | instskip(NEXT) | instid1(VALU_DEP_4)
	v_fma_f64 v[4:5], v[102:103], v[8:9], -v[4:5]
	v_fmac_f64_e32 v[12:13], v[104:105], v[8:9]
	ds_load_b128 v[8:11], v2 offset:864
	ds_load_b128 v[102:105], v2 offset:880
	v_fmac_f64_e32 v[114:115], v[108:109], v[74:75]
	v_fma_f64 v[74:75], v[106:107], v[74:75], -v[76:77]
	s_wait_loadcnt_dscnt 0x601
	v_mul_f64_e32 v[116:117], v[8:9], v[80:81]
	v_mul_f64_e32 v[80:81], v[10:11], v[80:81]
	s_wait_loadcnt_dscnt 0x500
	v_mul_f64_e32 v[106:107], v[102:103], v[84:85]
	v_mul_f64_e32 v[84:85], v[104:105], v[84:85]
	v_add_f64_e32 v[4:5], 0, v[4:5]
	v_add_f64_e32 v[12:13], 0, v[12:13]
	v_fmac_f64_e32 v[116:117], v[10:11], v[78:79]
	v_fma_f64 v[78:79], v[8:9], v[78:79], -v[80:81]
	v_fmac_f64_e32 v[106:107], v[104:105], v[82:83]
	v_fma_f64 v[82:83], v[102:103], v[82:83], -v[84:85]
	v_add_f64_e32 v[4:5], v[4:5], v[74:75]
	v_add_f64_e32 v[12:13], v[12:13], v[114:115]
	ds_load_b128 v[8:11], v2 offset:896
	ds_load_b128 v[74:77], v2 offset:912
	s_wait_loadcnt_dscnt 0x401
	v_mul_f64_e32 v[80:81], v[8:9], v[88:89]
	v_mul_f64_e32 v[88:89], v[10:11], v[88:89]
	s_wait_loadcnt_dscnt 0x300
	v_mul_f64_e32 v[84:85], v[76:77], v[92:93]
	v_add_f64_e32 v[4:5], v[4:5], v[78:79]
	v_add_f64_e32 v[12:13], v[12:13], v[116:117]
	v_mul_f64_e32 v[78:79], v[74:75], v[92:93]
	v_fmac_f64_e32 v[80:81], v[10:11], v[86:87]
	v_fma_f64 v[86:87], v[8:9], v[86:87], -v[88:89]
	v_fma_f64 v[74:75], v[74:75], v[90:91], -v[84:85]
	v_add_f64_e32 v[82:83], v[4:5], v[82:83]
	v_add_f64_e32 v[12:13], v[12:13], v[106:107]
	ds_load_b128 v[8:11], v2 offset:928
	ds_load_b128 v[2:5], v2 offset:944
	v_fmac_f64_e32 v[78:79], v[76:77], v[90:91]
	s_wait_loadcnt_dscnt 0x201
	v_mul_f64_e32 v[88:89], v[8:9], v[96:97]
	v_mul_f64_e32 v[92:93], v[10:11], v[96:97]
	v_add_f64_e32 v[76:77], v[82:83], v[86:87]
	v_add_f64_e32 v[12:13], v[12:13], v[80:81]
	s_wait_loadcnt_dscnt 0x100
	v_mul_f64_e32 v[80:81], v[2:3], v[100:101]
	v_mul_f64_e32 v[82:83], v[4:5], v[100:101]
	v_fmac_f64_e32 v[88:89], v[10:11], v[94:95]
	v_fma_f64 v[8:9], v[8:9], v[94:95], -v[92:93]
	v_add_f64_e32 v[10:11], v[76:77], v[74:75]
	v_add_f64_e32 v[12:13], v[12:13], v[78:79]
	v_fmac_f64_e32 v[80:81], v[4:5], v[98:99]
	v_fma_f64 v[2:3], v[2:3], v[98:99], -v[82:83]
	s_delay_alu instid0(VALU_DEP_4) | instskip(NEXT) | instid1(VALU_DEP_4)
	v_add_f64_e32 v[4:5], v[10:11], v[8:9]
	v_add_f64_e32 v[8:9], v[12:13], v[88:89]
	s_delay_alu instid0(VALU_DEP_2) | instskip(NEXT) | instid1(VALU_DEP_2)
	v_add_f64_e32 v[2:3], v[4:5], v[2:3]
	v_add_f64_e32 v[4:5], v[8:9], v[80:81]
	s_wait_loadcnt 0x0
	s_delay_alu instid0(VALU_DEP_2) | instskip(NEXT) | instid1(VALU_DEP_2)
	v_add_f64_e64 v[2:3], v[110:111], -v[2:3]
	v_add_f64_e64 v[4:5], v[112:113], -v[4:5]
	scratch_store_b128 off, v[2:5], off offset:336
	s_wait_xcnt 0x0
	v_cmpx_lt_u32_e32 20, v1
	s_cbranch_execz .LBB29_153
; %bb.152:
	scratch_load_b128 v[2:5], off, s13
	v_mov_b32_e32 v8, 0
	s_delay_alu instid0(VALU_DEP_1)
	v_dual_mov_b32 v9, v8 :: v_dual_mov_b32 v10, v8
	v_mov_b32_e32 v11, v8
	scratch_store_b128 off, v[8:11], off offset:320
	s_wait_loadcnt 0x0
	ds_store_b128 v6, v[2:5]
.LBB29_153:
	s_wait_xcnt 0x0
	s_or_b32 exec_lo, exec_lo, s2
	s_wait_storecnt_dscnt 0x0
	s_barrier_signal -1
	s_barrier_wait -1
	s_clause 0x8
	scratch_load_b128 v[8:11], off, off offset:336
	scratch_load_b128 v[74:77], off, off offset:352
	;; [unrolled: 1-line block ×9, first 2 shown]
	v_mov_b32_e32 v2, 0
	scratch_load_b128 v[110:113], off, off offset:320
	s_mov_b32 s2, exec_lo
	ds_load_b128 v[106:109], v2 offset:816
	ds_load_b128 v[114:117], v2 offset:832
	s_wait_loadcnt_dscnt 0x901
	v_mul_f64_e32 v[4:5], v[108:109], v[10:11]
	v_mul_f64_e32 v[12:13], v[106:107], v[10:11]
	s_wait_loadcnt_dscnt 0x800
	v_mul_f64_e32 v[118:119], v[114:115], v[76:77]
	v_mul_f64_e32 v[76:77], v[116:117], v[76:77]
	s_delay_alu instid0(VALU_DEP_4) | instskip(NEXT) | instid1(VALU_DEP_4)
	v_fma_f64 v[4:5], v[106:107], v[8:9], -v[4:5]
	v_fmac_f64_e32 v[12:13], v[108:109], v[8:9]
	ds_load_b128 v[8:11], v2 offset:848
	ds_load_b128 v[106:109], v2 offset:864
	v_fmac_f64_e32 v[118:119], v[116:117], v[74:75]
	v_fma_f64 v[74:75], v[114:115], v[74:75], -v[76:77]
	s_wait_loadcnt_dscnt 0x701
	v_mul_f64_e32 v[120:121], v[8:9], v[80:81]
	v_mul_f64_e32 v[80:81], v[10:11], v[80:81]
	s_wait_loadcnt_dscnt 0x600
	v_mul_f64_e32 v[114:115], v[106:107], v[84:85]
	v_mul_f64_e32 v[84:85], v[108:109], v[84:85]
	v_add_f64_e32 v[4:5], 0, v[4:5]
	v_add_f64_e32 v[12:13], 0, v[12:13]
	v_fmac_f64_e32 v[120:121], v[10:11], v[78:79]
	v_fma_f64 v[78:79], v[8:9], v[78:79], -v[80:81]
	v_fmac_f64_e32 v[114:115], v[108:109], v[82:83]
	v_fma_f64 v[82:83], v[106:107], v[82:83], -v[84:85]
	v_add_f64_e32 v[4:5], v[4:5], v[74:75]
	v_add_f64_e32 v[12:13], v[12:13], v[118:119]
	ds_load_b128 v[8:11], v2 offset:880
	ds_load_b128 v[74:77], v2 offset:896
	s_wait_loadcnt_dscnt 0x501
	v_mul_f64_e32 v[116:117], v[8:9], v[88:89]
	v_mul_f64_e32 v[80:81], v[10:11], v[88:89]
	s_wait_loadcnt_dscnt 0x400
	v_mul_f64_e32 v[84:85], v[74:75], v[92:93]
	v_mul_f64_e32 v[88:89], v[76:77], v[92:93]
	v_add_f64_e32 v[4:5], v[4:5], v[78:79]
	v_add_f64_e32 v[12:13], v[12:13], v[120:121]
	v_fmac_f64_e32 v[116:117], v[10:11], v[86:87]
	v_fma_f64 v[86:87], v[8:9], v[86:87], -v[80:81]
	ds_load_b128 v[8:11], v2 offset:912
	ds_load_b128 v[78:81], v2 offset:928
	v_fmac_f64_e32 v[84:85], v[76:77], v[90:91]
	v_fma_f64 v[74:75], v[74:75], v[90:91], -v[88:89]
	v_add_f64_e32 v[4:5], v[4:5], v[82:83]
	v_add_f64_e32 v[12:13], v[12:13], v[114:115]
	s_wait_loadcnt_dscnt 0x301
	v_mul_f64_e32 v[82:83], v[8:9], v[96:97]
	v_mul_f64_e32 v[92:93], v[10:11], v[96:97]
	s_wait_loadcnt_dscnt 0x200
	v_mul_f64_e32 v[76:77], v[78:79], v[100:101]
	v_add_f64_e32 v[4:5], v[4:5], v[86:87]
	v_add_f64_e32 v[12:13], v[12:13], v[116:117]
	v_mul_f64_e32 v[86:87], v[80:81], v[100:101]
	v_fmac_f64_e32 v[82:83], v[10:11], v[94:95]
	v_fma_f64 v[88:89], v[8:9], v[94:95], -v[92:93]
	ds_load_b128 v[8:11], v2 offset:944
	v_fmac_f64_e32 v[76:77], v[80:81], v[98:99]
	v_add_f64_e32 v[4:5], v[4:5], v[74:75]
	v_add_f64_e32 v[12:13], v[12:13], v[84:85]
	s_wait_loadcnt_dscnt 0x100
	v_mul_f64_e32 v[74:75], v[8:9], v[104:105]
	v_mul_f64_e32 v[84:85], v[10:11], v[104:105]
	v_fma_f64 v[78:79], v[78:79], v[98:99], -v[86:87]
	v_add_f64_e32 v[4:5], v[4:5], v[88:89]
	v_add_f64_e32 v[12:13], v[12:13], v[82:83]
	v_fmac_f64_e32 v[74:75], v[10:11], v[102:103]
	v_fma_f64 v[8:9], v[8:9], v[102:103], -v[84:85]
	s_delay_alu instid0(VALU_DEP_4) | instskip(NEXT) | instid1(VALU_DEP_4)
	v_add_f64_e32 v[4:5], v[4:5], v[78:79]
	v_add_f64_e32 v[10:11], v[12:13], v[76:77]
	s_delay_alu instid0(VALU_DEP_2) | instskip(NEXT) | instid1(VALU_DEP_2)
	v_add_f64_e32 v[4:5], v[4:5], v[8:9]
	v_add_f64_e32 v[10:11], v[10:11], v[74:75]
	s_wait_loadcnt 0x0
	s_delay_alu instid0(VALU_DEP_2) | instskip(NEXT) | instid1(VALU_DEP_2)
	v_add_f64_e64 v[8:9], v[110:111], -v[4:5]
	v_add_f64_e64 v[10:11], v[112:113], -v[10:11]
	scratch_store_b128 off, v[8:11], off offset:320
	s_wait_xcnt 0x0
	v_cmpx_lt_u32_e32 19, v1
	s_cbranch_execz .LBB29_155
; %bb.154:
	scratch_load_b128 v[8:11], off, s11
	v_dual_mov_b32 v3, v2 :: v_dual_mov_b32 v4, v2
	v_mov_b32_e32 v5, v2
	scratch_store_b128 off, v[2:5], off offset:304
	s_wait_loadcnt 0x0
	ds_store_b128 v6, v[8:11]
.LBB29_155:
	s_wait_xcnt 0x0
	s_or_b32 exec_lo, exec_lo, s2
	s_wait_storecnt_dscnt 0x0
	s_barrier_signal -1
	s_barrier_wait -1
	s_clause 0x9
	scratch_load_b128 v[8:11], off, off offset:320
	scratch_load_b128 v[74:77], off, off offset:336
	;; [unrolled: 1-line block ×10, first 2 shown]
	ds_load_b128 v[110:113], v2 offset:800
	ds_load_b128 v[114:117], v2 offset:816
	scratch_load_b128 v[118:121], off, off offset:304
	s_mov_b32 s2, exec_lo
	s_wait_loadcnt_dscnt 0xa01
	v_mul_f64_e32 v[4:5], v[112:113], v[10:11]
	v_mul_f64_e32 v[12:13], v[110:111], v[10:11]
	s_wait_loadcnt_dscnt 0x900
	v_mul_f64_e32 v[122:123], v[114:115], v[76:77]
	v_mul_f64_e32 v[76:77], v[116:117], v[76:77]
	s_delay_alu instid0(VALU_DEP_4) | instskip(NEXT) | instid1(VALU_DEP_4)
	v_fma_f64 v[4:5], v[110:111], v[8:9], -v[4:5]
	v_fmac_f64_e32 v[12:13], v[112:113], v[8:9]
	ds_load_b128 v[8:11], v2 offset:832
	ds_load_b128 v[110:113], v2 offset:848
	v_fmac_f64_e32 v[122:123], v[116:117], v[74:75]
	v_fma_f64 v[74:75], v[114:115], v[74:75], -v[76:77]
	s_wait_loadcnt_dscnt 0x801
	v_mul_f64_e32 v[124:125], v[8:9], v[80:81]
	v_mul_f64_e32 v[80:81], v[10:11], v[80:81]
	s_wait_loadcnt_dscnt 0x700
	v_mul_f64_e32 v[114:115], v[110:111], v[84:85]
	v_mul_f64_e32 v[84:85], v[112:113], v[84:85]
	v_add_f64_e32 v[4:5], 0, v[4:5]
	v_add_f64_e32 v[12:13], 0, v[12:13]
	v_fmac_f64_e32 v[124:125], v[10:11], v[78:79]
	v_fma_f64 v[78:79], v[8:9], v[78:79], -v[80:81]
	v_fmac_f64_e32 v[114:115], v[112:113], v[82:83]
	v_fma_f64 v[82:83], v[110:111], v[82:83], -v[84:85]
	v_add_f64_e32 v[4:5], v[4:5], v[74:75]
	v_add_f64_e32 v[12:13], v[12:13], v[122:123]
	ds_load_b128 v[8:11], v2 offset:864
	ds_load_b128 v[74:77], v2 offset:880
	s_wait_loadcnt_dscnt 0x601
	v_mul_f64_e32 v[116:117], v[8:9], v[88:89]
	v_mul_f64_e32 v[80:81], v[10:11], v[88:89]
	s_wait_loadcnt_dscnt 0x500
	v_mul_f64_e32 v[84:85], v[74:75], v[92:93]
	v_mul_f64_e32 v[88:89], v[76:77], v[92:93]
	v_add_f64_e32 v[4:5], v[4:5], v[78:79]
	v_add_f64_e32 v[12:13], v[12:13], v[124:125]
	v_fmac_f64_e32 v[116:117], v[10:11], v[86:87]
	v_fma_f64 v[86:87], v[8:9], v[86:87], -v[80:81]
	ds_load_b128 v[8:11], v2 offset:896
	ds_load_b128 v[78:81], v2 offset:912
	v_fmac_f64_e32 v[84:85], v[76:77], v[90:91]
	v_fma_f64 v[74:75], v[74:75], v[90:91], -v[88:89]
	v_add_f64_e32 v[4:5], v[4:5], v[82:83]
	v_add_f64_e32 v[12:13], v[12:13], v[114:115]
	s_wait_loadcnt_dscnt 0x401
	v_mul_f64_e32 v[82:83], v[8:9], v[96:97]
	v_mul_f64_e32 v[92:93], v[10:11], v[96:97]
	s_wait_loadcnt_dscnt 0x300
	v_mul_f64_e32 v[76:77], v[78:79], v[100:101]
	v_add_f64_e32 v[4:5], v[4:5], v[86:87]
	v_add_f64_e32 v[12:13], v[12:13], v[116:117]
	v_mul_f64_e32 v[86:87], v[80:81], v[100:101]
	v_fmac_f64_e32 v[82:83], v[10:11], v[94:95]
	v_fma_f64 v[88:89], v[8:9], v[94:95], -v[92:93]
	v_fmac_f64_e32 v[76:77], v[80:81], v[98:99]
	v_add_f64_e32 v[74:75], v[4:5], v[74:75]
	v_add_f64_e32 v[12:13], v[12:13], v[84:85]
	ds_load_b128 v[8:11], v2 offset:928
	ds_load_b128 v[2:5], v2 offset:944
	v_fma_f64 v[78:79], v[78:79], v[98:99], -v[86:87]
	s_wait_loadcnt_dscnt 0x201
	v_mul_f64_e32 v[84:85], v[8:9], v[104:105]
	v_mul_f64_e32 v[90:91], v[10:11], v[104:105]
	s_wait_loadcnt_dscnt 0x100
	v_mul_f64_e32 v[80:81], v[2:3], v[108:109]
	v_add_f64_e32 v[74:75], v[74:75], v[88:89]
	v_add_f64_e32 v[12:13], v[12:13], v[82:83]
	v_mul_f64_e32 v[82:83], v[4:5], v[108:109]
	v_fmac_f64_e32 v[84:85], v[10:11], v[102:103]
	v_fma_f64 v[8:9], v[8:9], v[102:103], -v[90:91]
	v_fmac_f64_e32 v[80:81], v[4:5], v[106:107]
	v_add_f64_e32 v[10:11], v[74:75], v[78:79]
	v_add_f64_e32 v[12:13], v[12:13], v[76:77]
	v_fma_f64 v[2:3], v[2:3], v[106:107], -v[82:83]
	s_delay_alu instid0(VALU_DEP_3) | instskip(NEXT) | instid1(VALU_DEP_3)
	v_add_f64_e32 v[4:5], v[10:11], v[8:9]
	v_add_f64_e32 v[8:9], v[12:13], v[84:85]
	s_delay_alu instid0(VALU_DEP_2) | instskip(NEXT) | instid1(VALU_DEP_2)
	v_add_f64_e32 v[2:3], v[4:5], v[2:3]
	v_add_f64_e32 v[4:5], v[8:9], v[80:81]
	s_wait_loadcnt 0x0
	s_delay_alu instid0(VALU_DEP_2) | instskip(NEXT) | instid1(VALU_DEP_2)
	v_add_f64_e64 v[2:3], v[118:119], -v[2:3]
	v_add_f64_e64 v[4:5], v[120:121], -v[4:5]
	scratch_store_b128 off, v[2:5], off offset:304
	s_wait_xcnt 0x0
	v_cmpx_lt_u32_e32 18, v1
	s_cbranch_execz .LBB29_157
; %bb.156:
	scratch_load_b128 v[2:5], off, s25
	v_mov_b32_e32 v8, 0
	s_delay_alu instid0(VALU_DEP_1)
	v_dual_mov_b32 v9, v8 :: v_dual_mov_b32 v10, v8
	v_mov_b32_e32 v11, v8
	scratch_store_b128 off, v[8:11], off offset:288
	s_wait_loadcnt 0x0
	ds_store_b128 v6, v[2:5]
.LBB29_157:
	s_wait_xcnt 0x0
	s_or_b32 exec_lo, exec_lo, s2
	s_wait_storecnt_dscnt 0x0
	s_barrier_signal -1
	s_barrier_wait -1
	s_clause 0x9
	scratch_load_b128 v[8:11], off, off offset:304
	scratch_load_b128 v[74:77], off, off offset:320
	;; [unrolled: 1-line block ×10, first 2 shown]
	v_mov_b32_e32 v2, 0
	s_mov_b32 s2, exec_lo
	ds_load_b128 v[110:113], v2 offset:784
	s_clause 0x1
	scratch_load_b128 v[114:117], off, off offset:464
	scratch_load_b128 v[118:121], off, off offset:288
	s_wait_loadcnt_dscnt 0xb00
	v_mul_f64_e32 v[4:5], v[112:113], v[10:11]
	v_mul_f64_e32 v[12:13], v[110:111], v[10:11]
	ds_load_b128 v[122:125], v2 offset:800
	s_wait_loadcnt_dscnt 0xa00
	v_mul_f64_e32 v[126:127], v[122:123], v[76:77]
	v_mul_f64_e32 v[76:77], v[124:125], v[76:77]
	v_fma_f64 v[4:5], v[110:111], v[8:9], -v[4:5]
	v_fmac_f64_e32 v[12:13], v[112:113], v[8:9]
	ds_load_b128 v[8:11], v2 offset:816
	ds_load_b128 v[110:113], v2 offset:832
	s_wait_loadcnt_dscnt 0x901
	v_mul_f64_e32 v[128:129], v[8:9], v[80:81]
	v_mul_f64_e32 v[80:81], v[10:11], v[80:81]
	v_fmac_f64_e32 v[126:127], v[124:125], v[74:75]
	v_fma_f64 v[74:75], v[122:123], v[74:75], -v[76:77]
	s_wait_loadcnt_dscnt 0x800
	v_mul_f64_e32 v[122:123], v[110:111], v[84:85]
	v_mul_f64_e32 v[84:85], v[112:113], v[84:85]
	v_add_f64_e32 v[4:5], 0, v[4:5]
	v_add_f64_e32 v[12:13], 0, v[12:13]
	v_fmac_f64_e32 v[128:129], v[10:11], v[78:79]
	v_fma_f64 v[78:79], v[8:9], v[78:79], -v[80:81]
	v_fmac_f64_e32 v[122:123], v[112:113], v[82:83]
	v_fma_f64 v[82:83], v[110:111], v[82:83], -v[84:85]
	v_add_f64_e32 v[4:5], v[4:5], v[74:75]
	v_add_f64_e32 v[12:13], v[12:13], v[126:127]
	ds_load_b128 v[8:11], v2 offset:848
	ds_load_b128 v[74:77], v2 offset:864
	s_wait_loadcnt_dscnt 0x701
	v_mul_f64_e32 v[124:125], v[8:9], v[88:89]
	v_mul_f64_e32 v[80:81], v[10:11], v[88:89]
	s_wait_loadcnt_dscnt 0x600
	v_mul_f64_e32 v[84:85], v[74:75], v[92:93]
	v_mul_f64_e32 v[88:89], v[76:77], v[92:93]
	v_add_f64_e32 v[4:5], v[4:5], v[78:79]
	v_add_f64_e32 v[12:13], v[12:13], v[128:129]
	v_fmac_f64_e32 v[124:125], v[10:11], v[86:87]
	v_fma_f64 v[86:87], v[8:9], v[86:87], -v[80:81]
	ds_load_b128 v[8:11], v2 offset:880
	ds_load_b128 v[78:81], v2 offset:896
	v_fmac_f64_e32 v[84:85], v[76:77], v[90:91]
	v_fma_f64 v[74:75], v[74:75], v[90:91], -v[88:89]
	v_add_f64_e32 v[4:5], v[4:5], v[82:83]
	v_add_f64_e32 v[12:13], v[12:13], v[122:123]
	s_wait_loadcnt_dscnt 0x501
	v_mul_f64_e32 v[82:83], v[8:9], v[96:97]
	v_mul_f64_e32 v[92:93], v[10:11], v[96:97]
	s_wait_loadcnt_dscnt 0x400
	v_mul_f64_e32 v[88:89], v[80:81], v[100:101]
	v_add_f64_e32 v[4:5], v[4:5], v[86:87]
	v_add_f64_e32 v[12:13], v[12:13], v[124:125]
	v_mul_f64_e32 v[86:87], v[78:79], v[100:101]
	v_fmac_f64_e32 v[82:83], v[10:11], v[94:95]
	v_fma_f64 v[90:91], v[8:9], v[94:95], -v[92:93]
	v_fma_f64 v[78:79], v[78:79], v[98:99], -v[88:89]
	v_add_f64_e32 v[4:5], v[4:5], v[74:75]
	v_add_f64_e32 v[12:13], v[12:13], v[84:85]
	ds_load_b128 v[8:11], v2 offset:912
	ds_load_b128 v[74:77], v2 offset:928
	v_fmac_f64_e32 v[86:87], v[80:81], v[98:99]
	s_wait_loadcnt_dscnt 0x301
	v_mul_f64_e32 v[84:85], v[8:9], v[104:105]
	v_mul_f64_e32 v[92:93], v[10:11], v[104:105]
	s_wait_loadcnt_dscnt 0x200
	v_mul_f64_e32 v[80:81], v[74:75], v[108:109]
	v_add_f64_e32 v[4:5], v[4:5], v[90:91]
	v_add_f64_e32 v[12:13], v[12:13], v[82:83]
	v_mul_f64_e32 v[82:83], v[76:77], v[108:109]
	v_fmac_f64_e32 v[84:85], v[10:11], v[102:103]
	v_fma_f64 v[88:89], v[8:9], v[102:103], -v[92:93]
	ds_load_b128 v[8:11], v2 offset:944
	v_fmac_f64_e32 v[80:81], v[76:77], v[106:107]
	v_add_f64_e32 v[4:5], v[4:5], v[78:79]
	v_add_f64_e32 v[12:13], v[12:13], v[86:87]
	v_fma_f64 v[74:75], v[74:75], v[106:107], -v[82:83]
	s_wait_loadcnt_dscnt 0x100
	v_mul_f64_e32 v[78:79], v[8:9], v[116:117]
	v_mul_f64_e32 v[86:87], v[10:11], v[116:117]
	v_add_f64_e32 v[4:5], v[4:5], v[88:89]
	v_add_f64_e32 v[12:13], v[12:13], v[84:85]
	s_delay_alu instid0(VALU_DEP_4) | instskip(NEXT) | instid1(VALU_DEP_4)
	v_fmac_f64_e32 v[78:79], v[10:11], v[114:115]
	v_fma_f64 v[8:9], v[8:9], v[114:115], -v[86:87]
	s_delay_alu instid0(VALU_DEP_4) | instskip(NEXT) | instid1(VALU_DEP_4)
	v_add_f64_e32 v[4:5], v[4:5], v[74:75]
	v_add_f64_e32 v[10:11], v[12:13], v[80:81]
	s_delay_alu instid0(VALU_DEP_2) | instskip(NEXT) | instid1(VALU_DEP_2)
	v_add_f64_e32 v[4:5], v[4:5], v[8:9]
	v_add_f64_e32 v[10:11], v[10:11], v[78:79]
	s_wait_loadcnt 0x0
	s_delay_alu instid0(VALU_DEP_2) | instskip(NEXT) | instid1(VALU_DEP_2)
	v_add_f64_e64 v[8:9], v[118:119], -v[4:5]
	v_add_f64_e64 v[10:11], v[120:121], -v[10:11]
	scratch_store_b128 off, v[8:11], off offset:288
	s_wait_xcnt 0x0
	v_cmpx_lt_u32_e32 17, v1
	s_cbranch_execz .LBB29_159
; %bb.158:
	scratch_load_b128 v[8:11], off, s21
	v_dual_mov_b32 v3, v2 :: v_dual_mov_b32 v4, v2
	v_mov_b32_e32 v5, v2
	scratch_store_b128 off, v[2:5], off offset:272
	s_wait_loadcnt 0x0
	ds_store_b128 v6, v[8:11]
.LBB29_159:
	s_wait_xcnt 0x0
	s_or_b32 exec_lo, exec_lo, s2
	s_wait_storecnt_dscnt 0x0
	s_barrier_signal -1
	s_barrier_wait -1
	s_clause 0x9
	scratch_load_b128 v[8:11], off, off offset:288
	scratch_load_b128 v[74:77], off, off offset:304
	;; [unrolled: 1-line block ×10, first 2 shown]
	ds_load_b128 v[110:113], v2 offset:768
	ds_load_b128 v[118:121], v2 offset:784
	s_clause 0x1
	scratch_load_b128 v[114:117], off, off offset:448
	scratch_load_b128 v[122:125], off, off offset:272
	s_mov_b32 s2, exec_lo
	s_wait_loadcnt_dscnt 0xb01
	v_mul_f64_e32 v[4:5], v[112:113], v[10:11]
	v_mul_f64_e32 v[130:131], v[110:111], v[10:11]
	scratch_load_b128 v[10:13], off, off offset:464
	s_wait_loadcnt_dscnt 0xb00
	v_mul_f64_e32 v[132:133], v[118:119], v[76:77]
	v_mul_f64_e32 v[76:77], v[120:121], v[76:77]
	v_fma_f64 v[4:5], v[110:111], v[8:9], -v[4:5]
	v_fmac_f64_e32 v[130:131], v[112:113], v[8:9]
	ds_load_b128 v[110:113], v2 offset:800
	ds_load_b128 v[126:129], v2 offset:816
	v_fmac_f64_e32 v[132:133], v[120:121], v[74:75]
	v_fma_f64 v[74:75], v[118:119], v[74:75], -v[76:77]
	s_wait_loadcnt_dscnt 0xa01
	v_mul_f64_e32 v[8:9], v[110:111], v[80:81]
	v_mul_f64_e32 v[80:81], v[112:113], v[80:81]
	s_wait_loadcnt_dscnt 0x900
	v_mul_f64_e32 v[118:119], v[126:127], v[84:85]
	v_mul_f64_e32 v[84:85], v[128:129], v[84:85]
	v_add_f64_e32 v[4:5], 0, v[4:5]
	v_add_f64_e32 v[76:77], 0, v[130:131]
	v_fmac_f64_e32 v[8:9], v[112:113], v[78:79]
	v_fma_f64 v[110:111], v[110:111], v[78:79], -v[80:81]
	v_fmac_f64_e32 v[118:119], v[128:129], v[82:83]
	v_fma_f64 v[82:83], v[126:127], v[82:83], -v[84:85]
	v_add_f64_e32 v[4:5], v[4:5], v[74:75]
	v_add_f64_e32 v[112:113], v[76:77], v[132:133]
	ds_load_b128 v[74:77], v2 offset:832
	ds_load_b128 v[78:81], v2 offset:848
	s_wait_loadcnt_dscnt 0x801
	v_mul_f64_e32 v[120:121], v[74:75], v[88:89]
	v_mul_f64_e32 v[88:89], v[76:77], v[88:89]
	v_add_f64_e32 v[4:5], v[4:5], v[110:111]
	v_add_f64_e32 v[8:9], v[112:113], v[8:9]
	s_wait_loadcnt_dscnt 0x700
	v_mul_f64_e32 v[110:111], v[78:79], v[92:93]
	v_mul_f64_e32 v[92:93], v[80:81], v[92:93]
	v_fmac_f64_e32 v[120:121], v[76:77], v[86:87]
	v_fma_f64 v[86:87], v[74:75], v[86:87], -v[88:89]
	v_add_f64_e32 v[4:5], v[4:5], v[82:83]
	v_add_f64_e32 v[8:9], v[8:9], v[118:119]
	ds_load_b128 v[74:77], v2 offset:864
	ds_load_b128 v[82:85], v2 offset:880
	v_fmac_f64_e32 v[110:111], v[80:81], v[90:91]
	v_fma_f64 v[78:79], v[78:79], v[90:91], -v[92:93]
	s_wait_loadcnt_dscnt 0x601
	v_mul_f64_e32 v[88:89], v[74:75], v[96:97]
	v_mul_f64_e32 v[96:97], v[76:77], v[96:97]
	s_wait_loadcnt_dscnt 0x500
	v_mul_f64_e32 v[90:91], v[84:85], v[100:101]
	v_add_f64_e32 v[4:5], v[4:5], v[86:87]
	v_add_f64_e32 v[8:9], v[8:9], v[120:121]
	v_mul_f64_e32 v[86:87], v[82:83], v[100:101]
	v_fmac_f64_e32 v[88:89], v[76:77], v[94:95]
	v_fma_f64 v[92:93], v[74:75], v[94:95], -v[96:97]
	v_fma_f64 v[82:83], v[82:83], v[98:99], -v[90:91]
	v_add_f64_e32 v[4:5], v[4:5], v[78:79]
	v_add_f64_e32 v[8:9], v[8:9], v[110:111]
	ds_load_b128 v[74:77], v2 offset:896
	ds_load_b128 v[78:81], v2 offset:912
	v_fmac_f64_e32 v[86:87], v[84:85], v[98:99]
	s_wait_loadcnt_dscnt 0x401
	v_mul_f64_e32 v[94:95], v[74:75], v[104:105]
	v_mul_f64_e32 v[96:97], v[76:77], v[104:105]
	s_wait_loadcnt_dscnt 0x300
	v_mul_f64_e32 v[84:85], v[78:79], v[108:109]
	v_add_f64_e32 v[4:5], v[4:5], v[92:93]
	v_add_f64_e32 v[8:9], v[8:9], v[88:89]
	v_mul_f64_e32 v[88:89], v[80:81], v[108:109]
	v_fmac_f64_e32 v[94:95], v[76:77], v[102:103]
	v_fma_f64 v[90:91], v[74:75], v[102:103], -v[96:97]
	v_fmac_f64_e32 v[84:85], v[80:81], v[106:107]
	v_add_f64_e32 v[82:83], v[4:5], v[82:83]
	v_add_f64_e32 v[8:9], v[8:9], v[86:87]
	ds_load_b128 v[74:77], v2 offset:928
	ds_load_b128 v[2:5], v2 offset:944
	v_fma_f64 v[78:79], v[78:79], v[106:107], -v[88:89]
	s_wait_loadcnt_dscnt 0x201
	v_mul_f64_e32 v[86:87], v[74:75], v[116:117]
	v_mul_f64_e32 v[92:93], v[76:77], v[116:117]
	v_add_f64_e32 v[80:81], v[82:83], v[90:91]
	v_add_f64_e32 v[8:9], v[8:9], v[94:95]
	s_wait_loadcnt_dscnt 0x0
	v_mul_f64_e32 v[82:83], v[2:3], v[12:13]
	v_mul_f64_e32 v[12:13], v[4:5], v[12:13]
	v_fmac_f64_e32 v[86:87], v[76:77], v[114:115]
	v_fma_f64 v[74:75], v[74:75], v[114:115], -v[92:93]
	v_add_f64_e32 v[76:77], v[80:81], v[78:79]
	v_add_f64_e32 v[8:9], v[8:9], v[84:85]
	v_fmac_f64_e32 v[82:83], v[4:5], v[10:11]
	v_fma_f64 v[2:3], v[2:3], v[10:11], -v[12:13]
	s_delay_alu instid0(VALU_DEP_4) | instskip(NEXT) | instid1(VALU_DEP_4)
	v_add_f64_e32 v[4:5], v[76:77], v[74:75]
	v_add_f64_e32 v[8:9], v[8:9], v[86:87]
	s_delay_alu instid0(VALU_DEP_2) | instskip(NEXT) | instid1(VALU_DEP_2)
	v_add_f64_e32 v[2:3], v[4:5], v[2:3]
	v_add_f64_e32 v[4:5], v[8:9], v[82:83]
	s_delay_alu instid0(VALU_DEP_2) | instskip(NEXT) | instid1(VALU_DEP_2)
	v_add_f64_e64 v[2:3], v[122:123], -v[2:3]
	v_add_f64_e64 v[4:5], v[124:125], -v[4:5]
	scratch_store_b128 off, v[2:5], off offset:272
	s_wait_xcnt 0x0
	v_cmpx_lt_u32_e32 16, v1
	s_cbranch_execz .LBB29_161
; %bb.160:
	scratch_load_b128 v[2:5], off, s14
	v_mov_b32_e32 v8, 0
	s_delay_alu instid0(VALU_DEP_1)
	v_dual_mov_b32 v9, v8 :: v_dual_mov_b32 v10, v8
	v_mov_b32_e32 v11, v8
	scratch_store_b128 off, v[8:11], off offset:256
	s_wait_loadcnt 0x0
	ds_store_b128 v6, v[2:5]
.LBB29_161:
	s_wait_xcnt 0x0
	s_or_b32 exec_lo, exec_lo, s2
	s_wait_storecnt_dscnt 0x0
	s_barrier_signal -1
	s_barrier_wait -1
	s_clause 0x9
	scratch_load_b128 v[8:11], off, off offset:272
	scratch_load_b128 v[74:77], off, off offset:288
	;; [unrolled: 1-line block ×10, first 2 shown]
	v_mov_b32_e32 v2, 0
	s_mov_b32 s2, exec_lo
	ds_load_b128 v[110:113], v2 offset:752
	s_clause 0x2
	scratch_load_b128 v[114:117], off, off offset:432
	scratch_load_b128 v[118:121], off, off offset:256
	;; [unrolled: 1-line block ×3, first 2 shown]
	s_wait_loadcnt_dscnt 0xc00
	v_mul_f64_e32 v[4:5], v[112:113], v[10:11]
	v_mul_f64_e32 v[134:135], v[110:111], v[10:11]
	ds_load_b128 v[122:125], v2 offset:768
	scratch_load_b128 v[10:13], off, off offset:448
	ds_load_b128 v[130:133], v2 offset:800
	v_fma_f64 v[4:5], v[110:111], v[8:9], -v[4:5]
	v_fmac_f64_e32 v[134:135], v[112:113], v[8:9]
	ds_load_b128 v[110:113], v2 offset:784
	s_wait_loadcnt_dscnt 0xc02
	v_mul_f64_e32 v[136:137], v[122:123], v[76:77]
	v_mul_f64_e32 v[76:77], v[124:125], v[76:77]
	s_wait_loadcnt_dscnt 0xb00
	v_mul_f64_e32 v[8:9], v[110:111], v[80:81]
	v_mul_f64_e32 v[80:81], v[112:113], v[80:81]
	v_add_f64_e32 v[4:5], 0, v[4:5]
	v_fmac_f64_e32 v[136:137], v[124:125], v[74:75]
	v_fma_f64 v[74:75], v[122:123], v[74:75], -v[76:77]
	v_add_f64_e32 v[76:77], 0, v[134:135]
	s_wait_loadcnt 0xa
	v_mul_f64_e32 v[122:123], v[130:131], v[84:85]
	v_mul_f64_e32 v[84:85], v[132:133], v[84:85]
	v_fmac_f64_e32 v[8:9], v[112:113], v[78:79]
	v_fma_f64 v[110:111], v[110:111], v[78:79], -v[80:81]
	v_add_f64_e32 v[4:5], v[4:5], v[74:75]
	v_add_f64_e32 v[112:113], v[76:77], v[136:137]
	ds_load_b128 v[74:77], v2 offset:816
	ds_load_b128 v[78:81], v2 offset:832
	v_fmac_f64_e32 v[122:123], v[132:133], v[82:83]
	v_fma_f64 v[82:83], v[130:131], v[82:83], -v[84:85]
	s_wait_loadcnt_dscnt 0x901
	v_mul_f64_e32 v[124:125], v[74:75], v[88:89]
	v_mul_f64_e32 v[88:89], v[76:77], v[88:89]
	v_add_f64_e32 v[4:5], v[4:5], v[110:111]
	v_add_f64_e32 v[8:9], v[112:113], v[8:9]
	s_wait_loadcnt_dscnt 0x800
	v_mul_f64_e32 v[110:111], v[78:79], v[92:93]
	v_mul_f64_e32 v[92:93], v[80:81], v[92:93]
	v_fmac_f64_e32 v[124:125], v[76:77], v[86:87]
	v_fma_f64 v[86:87], v[74:75], v[86:87], -v[88:89]
	v_add_f64_e32 v[4:5], v[4:5], v[82:83]
	v_add_f64_e32 v[8:9], v[8:9], v[122:123]
	ds_load_b128 v[74:77], v2 offset:848
	ds_load_b128 v[82:85], v2 offset:864
	v_fmac_f64_e32 v[110:111], v[80:81], v[90:91]
	v_fma_f64 v[78:79], v[78:79], v[90:91], -v[92:93]
	s_wait_loadcnt_dscnt 0x701
	v_mul_f64_e32 v[88:89], v[74:75], v[96:97]
	v_mul_f64_e32 v[96:97], v[76:77], v[96:97]
	s_wait_loadcnt_dscnt 0x600
	v_mul_f64_e32 v[90:91], v[84:85], v[100:101]
	v_add_f64_e32 v[4:5], v[4:5], v[86:87]
	v_add_f64_e32 v[8:9], v[8:9], v[124:125]
	v_mul_f64_e32 v[86:87], v[82:83], v[100:101]
	v_fmac_f64_e32 v[88:89], v[76:77], v[94:95]
	v_fma_f64 v[92:93], v[74:75], v[94:95], -v[96:97]
	v_fma_f64 v[82:83], v[82:83], v[98:99], -v[90:91]
	v_add_f64_e32 v[4:5], v[4:5], v[78:79]
	v_add_f64_e32 v[8:9], v[8:9], v[110:111]
	ds_load_b128 v[74:77], v2 offset:880
	ds_load_b128 v[78:81], v2 offset:896
	v_fmac_f64_e32 v[86:87], v[84:85], v[98:99]
	s_wait_loadcnt_dscnt 0x501
	v_mul_f64_e32 v[94:95], v[74:75], v[104:105]
	v_mul_f64_e32 v[96:97], v[76:77], v[104:105]
	s_wait_loadcnt_dscnt 0x400
	v_mul_f64_e32 v[90:91], v[80:81], v[108:109]
	v_add_f64_e32 v[4:5], v[4:5], v[92:93]
	v_add_f64_e32 v[8:9], v[8:9], v[88:89]
	v_mul_f64_e32 v[88:89], v[78:79], v[108:109]
	v_fmac_f64_e32 v[94:95], v[76:77], v[102:103]
	v_fma_f64 v[92:93], v[74:75], v[102:103], -v[96:97]
	v_fma_f64 v[78:79], v[78:79], v[106:107], -v[90:91]
	v_add_f64_e32 v[4:5], v[4:5], v[82:83]
	v_add_f64_e32 v[8:9], v[8:9], v[86:87]
	ds_load_b128 v[74:77], v2 offset:912
	ds_load_b128 v[82:85], v2 offset:928
	v_fmac_f64_e32 v[88:89], v[80:81], v[106:107]
	s_wait_loadcnt_dscnt 0x301
	v_mul_f64_e32 v[86:87], v[74:75], v[116:117]
	v_mul_f64_e32 v[96:97], v[76:77], v[116:117]
	s_wait_loadcnt_dscnt 0x0
	v_mul_f64_e32 v[80:81], v[82:83], v[12:13]
	v_add_f64_e32 v[4:5], v[4:5], v[92:93]
	v_add_f64_e32 v[8:9], v[8:9], v[94:95]
	v_mul_f64_e32 v[12:13], v[84:85], v[12:13]
	v_fmac_f64_e32 v[86:87], v[76:77], v[114:115]
	v_fma_f64 v[90:91], v[74:75], v[114:115], -v[96:97]
	ds_load_b128 v[74:77], v2 offset:944
	v_fmac_f64_e32 v[80:81], v[84:85], v[10:11]
	v_add_f64_e32 v[4:5], v[4:5], v[78:79]
	v_add_f64_e32 v[8:9], v[8:9], v[88:89]
	v_fma_f64 v[10:11], v[82:83], v[10:11], -v[12:13]
	s_wait_dscnt 0x0
	v_mul_f64_e32 v[78:79], v[74:75], v[128:129]
	v_mul_f64_e32 v[88:89], v[76:77], v[128:129]
	v_add_f64_e32 v[4:5], v[4:5], v[90:91]
	v_add_f64_e32 v[8:9], v[8:9], v[86:87]
	s_delay_alu instid0(VALU_DEP_4) | instskip(NEXT) | instid1(VALU_DEP_4)
	v_fmac_f64_e32 v[78:79], v[76:77], v[126:127]
	v_fma_f64 v[12:13], v[74:75], v[126:127], -v[88:89]
	s_delay_alu instid0(VALU_DEP_4) | instskip(NEXT) | instid1(VALU_DEP_4)
	v_add_f64_e32 v[4:5], v[4:5], v[10:11]
	v_add_f64_e32 v[8:9], v[8:9], v[80:81]
	s_delay_alu instid0(VALU_DEP_2) | instskip(NEXT) | instid1(VALU_DEP_2)
	v_add_f64_e32 v[4:5], v[4:5], v[12:13]
	v_add_f64_e32 v[10:11], v[8:9], v[78:79]
	s_delay_alu instid0(VALU_DEP_2) | instskip(NEXT) | instid1(VALU_DEP_2)
	v_add_f64_e64 v[8:9], v[118:119], -v[4:5]
	v_add_f64_e64 v[10:11], v[120:121], -v[10:11]
	scratch_store_b128 off, v[8:11], off offset:256
	s_wait_xcnt 0x0
	v_cmpx_lt_u32_e32 15, v1
	s_cbranch_execz .LBB29_163
; %bb.162:
	scratch_load_b128 v[8:11], off, s36
	v_dual_mov_b32 v3, v2 :: v_dual_mov_b32 v4, v2
	v_mov_b32_e32 v5, v2
	scratch_store_b128 off, v[2:5], off offset:240
	s_wait_loadcnt 0x0
	ds_store_b128 v6, v[8:11]
.LBB29_163:
	s_wait_xcnt 0x0
	s_or_b32 exec_lo, exec_lo, s2
	s_wait_storecnt_dscnt 0x0
	s_barrier_signal -1
	s_barrier_wait -1
	s_clause 0x9
	scratch_load_b128 v[8:11], off, off offset:256
	scratch_load_b128 v[74:77], off, off offset:272
	scratch_load_b128 v[78:81], off, off offset:288
	scratch_load_b128 v[82:85], off, off offset:304
	scratch_load_b128 v[86:89], off, off offset:320
	scratch_load_b128 v[90:93], off, off offset:336
	scratch_load_b128 v[94:97], off, off offset:352
	scratch_load_b128 v[98:101], off, off offset:368
	scratch_load_b128 v[102:105], off, off offset:384
	scratch_load_b128 v[106:109], off, off offset:400
	ds_load_b128 v[110:113], v2 offset:736
	ds_load_b128 v[118:121], v2 offset:752
	s_clause 0x1
	scratch_load_b128 v[114:117], off, off offset:416
	scratch_load_b128 v[122:125], off, off offset:240
	s_mov_b32 s2, exec_lo
	s_wait_loadcnt_dscnt 0xb01
	v_mul_f64_e32 v[4:5], v[112:113], v[10:11]
	v_mul_f64_e32 v[134:135], v[110:111], v[10:11]
	scratch_load_b128 v[10:13], off, off offset:432
	s_wait_loadcnt_dscnt 0xb00
	v_mul_f64_e32 v[136:137], v[118:119], v[76:77]
	v_mul_f64_e32 v[76:77], v[120:121], v[76:77]
	v_fma_f64 v[4:5], v[110:111], v[8:9], -v[4:5]
	v_fmac_f64_e32 v[134:135], v[112:113], v[8:9]
	ds_load_b128 v[110:113], v2 offset:768
	ds_load_b128 v[126:129], v2 offset:784
	scratch_load_b128 v[130:133], off, off offset:448
	v_fmac_f64_e32 v[136:137], v[120:121], v[74:75]
	v_fma_f64 v[118:119], v[118:119], v[74:75], -v[76:77]
	scratch_load_b128 v[74:77], off, off offset:464
	s_wait_loadcnt_dscnt 0xc01
	v_mul_f64_e32 v[8:9], v[110:111], v[80:81]
	v_mul_f64_e32 v[80:81], v[112:113], v[80:81]
	v_add_f64_e32 v[4:5], 0, v[4:5]
	v_add_f64_e32 v[120:121], 0, v[134:135]
	s_wait_loadcnt_dscnt 0xb00
	v_mul_f64_e32 v[134:135], v[126:127], v[84:85]
	v_mul_f64_e32 v[84:85], v[128:129], v[84:85]
	v_fmac_f64_e32 v[8:9], v[112:113], v[78:79]
	v_fma_f64 v[138:139], v[110:111], v[78:79], -v[80:81]
	ds_load_b128 v[78:81], v2 offset:800
	ds_load_b128 v[110:113], v2 offset:816
	v_add_f64_e32 v[4:5], v[4:5], v[118:119]
	v_add_f64_e32 v[118:119], v[120:121], v[136:137]
	v_fmac_f64_e32 v[134:135], v[128:129], v[82:83]
	v_fma_f64 v[82:83], v[126:127], v[82:83], -v[84:85]
	s_wait_loadcnt_dscnt 0xa01
	v_mul_f64_e32 v[120:121], v[78:79], v[88:89]
	v_mul_f64_e32 v[88:89], v[80:81], v[88:89]
	v_add_f64_e32 v[4:5], v[4:5], v[138:139]
	v_add_f64_e32 v[8:9], v[118:119], v[8:9]
	s_wait_loadcnt_dscnt 0x900
	v_mul_f64_e32 v[118:119], v[110:111], v[92:93]
	v_mul_f64_e32 v[92:93], v[112:113], v[92:93]
	v_fmac_f64_e32 v[120:121], v[80:81], v[86:87]
	v_fma_f64 v[86:87], v[78:79], v[86:87], -v[88:89]
	v_add_f64_e32 v[4:5], v[4:5], v[82:83]
	v_add_f64_e32 v[8:9], v[8:9], v[134:135]
	ds_load_b128 v[78:81], v2 offset:832
	ds_load_b128 v[82:85], v2 offset:848
	v_fmac_f64_e32 v[118:119], v[112:113], v[90:91]
	v_fma_f64 v[90:91], v[110:111], v[90:91], -v[92:93]
	s_wait_loadcnt_dscnt 0x801
	v_mul_f64_e32 v[126:127], v[78:79], v[96:97]
	v_mul_f64_e32 v[88:89], v[80:81], v[96:97]
	s_wait_loadcnt_dscnt 0x700
	v_mul_f64_e32 v[92:93], v[82:83], v[100:101]
	v_mul_f64_e32 v[96:97], v[84:85], v[100:101]
	v_add_f64_e32 v[4:5], v[4:5], v[86:87]
	v_add_f64_e32 v[8:9], v[8:9], v[120:121]
	v_fmac_f64_e32 v[126:127], v[80:81], v[94:95]
	v_fma_f64 v[94:95], v[78:79], v[94:95], -v[88:89]
	ds_load_b128 v[78:81], v2 offset:864
	ds_load_b128 v[86:89], v2 offset:880
	v_fmac_f64_e32 v[92:93], v[84:85], v[98:99]
	v_fma_f64 v[82:83], v[82:83], v[98:99], -v[96:97]
	v_add_f64_e32 v[4:5], v[4:5], v[90:91]
	v_add_f64_e32 v[8:9], v[8:9], v[118:119]
	s_wait_loadcnt_dscnt 0x601
	v_mul_f64_e32 v[90:91], v[78:79], v[104:105]
	v_mul_f64_e32 v[100:101], v[80:81], v[104:105]
	s_wait_loadcnt_dscnt 0x500
	v_mul_f64_e32 v[96:97], v[88:89], v[108:109]
	v_add_f64_e32 v[4:5], v[4:5], v[94:95]
	v_add_f64_e32 v[8:9], v[8:9], v[126:127]
	v_mul_f64_e32 v[94:95], v[86:87], v[108:109]
	v_fmac_f64_e32 v[90:91], v[80:81], v[102:103]
	v_fma_f64 v[98:99], v[78:79], v[102:103], -v[100:101]
	v_fma_f64 v[86:87], v[86:87], v[106:107], -v[96:97]
	v_add_f64_e32 v[4:5], v[4:5], v[82:83]
	v_add_f64_e32 v[8:9], v[8:9], v[92:93]
	ds_load_b128 v[78:81], v2 offset:896
	ds_load_b128 v[82:85], v2 offset:912
	v_fmac_f64_e32 v[94:95], v[88:89], v[106:107]
	s_wait_loadcnt_dscnt 0x401
	v_mul_f64_e32 v[92:93], v[78:79], v[116:117]
	v_mul_f64_e32 v[100:101], v[80:81], v[116:117]
	v_add_f64_e32 v[4:5], v[4:5], v[98:99]
	v_add_f64_e32 v[8:9], v[8:9], v[90:91]
	s_wait_loadcnt_dscnt 0x200
	v_mul_f64_e32 v[88:89], v[82:83], v[12:13]
	v_mul_f64_e32 v[12:13], v[84:85], v[12:13]
	v_fmac_f64_e32 v[92:93], v[80:81], v[114:115]
	v_fma_f64 v[90:91], v[78:79], v[114:115], -v[100:101]
	v_add_f64_e32 v[86:87], v[4:5], v[86:87]
	v_add_f64_e32 v[8:9], v[8:9], v[94:95]
	ds_load_b128 v[78:81], v2 offset:928
	ds_load_b128 v[2:5], v2 offset:944
	v_fmac_f64_e32 v[88:89], v[84:85], v[10:11]
	v_fma_f64 v[10:11], v[82:83], v[10:11], -v[12:13]
	s_wait_loadcnt_dscnt 0x101
	v_mul_f64_e32 v[94:95], v[78:79], v[132:133]
	v_mul_f64_e32 v[96:97], v[80:81], v[132:133]
	s_wait_loadcnt_dscnt 0x0
	v_mul_f64_e32 v[82:83], v[2:3], v[76:77]
	v_mul_f64_e32 v[76:77], v[4:5], v[76:77]
	v_add_f64_e32 v[12:13], v[86:87], v[90:91]
	v_add_f64_e32 v[8:9], v[8:9], v[92:93]
	v_fmac_f64_e32 v[94:95], v[80:81], v[130:131]
	v_fma_f64 v[78:79], v[78:79], v[130:131], -v[96:97]
	v_fmac_f64_e32 v[82:83], v[4:5], v[74:75]
	v_fma_f64 v[2:3], v[2:3], v[74:75], -v[76:77]
	v_add_f64_e32 v[10:11], v[12:13], v[10:11]
	v_add_f64_e32 v[8:9], v[8:9], v[88:89]
	s_delay_alu instid0(VALU_DEP_2) | instskip(NEXT) | instid1(VALU_DEP_2)
	v_add_f64_e32 v[4:5], v[10:11], v[78:79]
	v_add_f64_e32 v[8:9], v[8:9], v[94:95]
	s_delay_alu instid0(VALU_DEP_2) | instskip(NEXT) | instid1(VALU_DEP_2)
	;; [unrolled: 3-line block ×3, first 2 shown]
	v_add_f64_e64 v[2:3], v[122:123], -v[2:3]
	v_add_f64_e64 v[4:5], v[124:125], -v[4:5]
	scratch_store_b128 off, v[2:5], off offset:240
	s_wait_xcnt 0x0
	v_cmpx_lt_u32_e32 14, v1
	s_cbranch_execz .LBB29_165
; %bb.164:
	scratch_load_b128 v[2:5], off, s41
	v_mov_b32_e32 v8, 0
	s_delay_alu instid0(VALU_DEP_1)
	v_dual_mov_b32 v9, v8 :: v_dual_mov_b32 v10, v8
	v_mov_b32_e32 v11, v8
	scratch_store_b128 off, v[8:11], off offset:224
	s_wait_loadcnt 0x0
	ds_store_b128 v6, v[2:5]
.LBB29_165:
	s_wait_xcnt 0x0
	s_or_b32 exec_lo, exec_lo, s2
	s_wait_storecnt_dscnt 0x0
	s_barrier_signal -1
	s_barrier_wait -1
	s_clause 0x9
	scratch_load_b128 v[8:11], off, off offset:240
	scratch_load_b128 v[74:77], off, off offset:256
	;; [unrolled: 1-line block ×10, first 2 shown]
	v_mov_b32_e32 v2, 0
	s_mov_b32 s2, exec_lo
	ds_load_b128 v[110:113], v2 offset:720
	s_clause 0x2
	scratch_load_b128 v[114:117], off, off offset:400
	scratch_load_b128 v[118:121], off, off offset:224
	;; [unrolled: 1-line block ×3, first 2 shown]
	s_wait_loadcnt_dscnt 0xc00
	v_mul_f64_e32 v[4:5], v[112:113], v[10:11]
	v_mul_f64_e32 v[134:135], v[110:111], v[10:11]
	ds_load_b128 v[122:125], v2 offset:736
	scratch_load_b128 v[10:13], off, off offset:416
	ds_load_b128 v[130:133], v2 offset:768
	v_fma_f64 v[4:5], v[110:111], v[8:9], -v[4:5]
	v_fmac_f64_e32 v[134:135], v[112:113], v[8:9]
	ds_load_b128 v[110:113], v2 offset:752
	s_wait_loadcnt_dscnt 0xc02
	v_mul_f64_e32 v[136:137], v[122:123], v[76:77]
	v_mul_f64_e32 v[76:77], v[124:125], v[76:77]
	s_wait_loadcnt_dscnt 0xb00
	v_mul_f64_e32 v[8:9], v[110:111], v[80:81]
	v_mul_f64_e32 v[80:81], v[112:113], v[80:81]
	v_add_f64_e32 v[4:5], 0, v[4:5]
	v_fmac_f64_e32 v[136:137], v[124:125], v[74:75]
	v_fma_f64 v[122:123], v[122:123], v[74:75], -v[76:77]
	v_add_f64_e32 v[124:125], 0, v[134:135]
	scratch_load_b128 v[74:77], off, off offset:448
	v_fmac_f64_e32 v[8:9], v[112:113], v[78:79]
	v_fma_f64 v[138:139], v[110:111], v[78:79], -v[80:81]
	ds_load_b128 v[78:81], v2 offset:784
	s_wait_loadcnt 0xb
	v_mul_f64_e32 v[134:135], v[130:131], v[84:85]
	v_mul_f64_e32 v[84:85], v[132:133], v[84:85]
	scratch_load_b128 v[110:113], off, off offset:464
	v_add_f64_e32 v[4:5], v[4:5], v[122:123]
	v_add_f64_e32 v[136:137], v[124:125], v[136:137]
	ds_load_b128 v[122:125], v2 offset:800
	s_wait_loadcnt_dscnt 0xb01
	v_mul_f64_e32 v[140:141], v[78:79], v[88:89]
	v_mul_f64_e32 v[88:89], v[80:81], v[88:89]
	v_fmac_f64_e32 v[134:135], v[132:133], v[82:83]
	v_fma_f64 v[82:83], v[130:131], v[82:83], -v[84:85]
	s_wait_loadcnt_dscnt 0xa00
	v_mul_f64_e32 v[130:131], v[122:123], v[92:93]
	v_mul_f64_e32 v[92:93], v[124:125], v[92:93]
	v_add_f64_e32 v[4:5], v[4:5], v[138:139]
	v_add_f64_e32 v[8:9], v[136:137], v[8:9]
	v_fmac_f64_e32 v[140:141], v[80:81], v[86:87]
	v_fma_f64 v[86:87], v[78:79], v[86:87], -v[88:89]
	v_fmac_f64_e32 v[130:131], v[124:125], v[90:91]
	v_fma_f64 v[90:91], v[122:123], v[90:91], -v[92:93]
	v_add_f64_e32 v[4:5], v[4:5], v[82:83]
	v_add_f64_e32 v[8:9], v[8:9], v[134:135]
	ds_load_b128 v[78:81], v2 offset:816
	ds_load_b128 v[82:85], v2 offset:832
	s_wait_loadcnt_dscnt 0x901
	v_mul_f64_e32 v[132:133], v[78:79], v[96:97]
	v_mul_f64_e32 v[88:89], v[80:81], v[96:97]
	s_wait_loadcnt_dscnt 0x800
	v_mul_f64_e32 v[92:93], v[82:83], v[100:101]
	v_mul_f64_e32 v[96:97], v[84:85], v[100:101]
	v_add_f64_e32 v[4:5], v[4:5], v[86:87]
	v_add_f64_e32 v[8:9], v[8:9], v[140:141]
	v_fmac_f64_e32 v[132:133], v[80:81], v[94:95]
	v_fma_f64 v[94:95], v[78:79], v[94:95], -v[88:89]
	ds_load_b128 v[78:81], v2 offset:848
	ds_load_b128 v[86:89], v2 offset:864
	v_fmac_f64_e32 v[92:93], v[84:85], v[98:99]
	v_fma_f64 v[82:83], v[82:83], v[98:99], -v[96:97]
	v_add_f64_e32 v[4:5], v[4:5], v[90:91]
	v_add_f64_e32 v[8:9], v[8:9], v[130:131]
	s_wait_loadcnt_dscnt 0x701
	v_mul_f64_e32 v[90:91], v[78:79], v[104:105]
	v_mul_f64_e32 v[100:101], v[80:81], v[104:105]
	s_wait_loadcnt_dscnt 0x600
	v_mul_f64_e32 v[96:97], v[88:89], v[108:109]
	v_add_f64_e32 v[4:5], v[4:5], v[94:95]
	v_add_f64_e32 v[8:9], v[8:9], v[132:133]
	v_mul_f64_e32 v[94:95], v[86:87], v[108:109]
	v_fmac_f64_e32 v[90:91], v[80:81], v[102:103]
	v_fma_f64 v[98:99], v[78:79], v[102:103], -v[100:101]
	v_fma_f64 v[86:87], v[86:87], v[106:107], -v[96:97]
	v_add_f64_e32 v[4:5], v[4:5], v[82:83]
	v_add_f64_e32 v[8:9], v[8:9], v[92:93]
	ds_load_b128 v[78:81], v2 offset:880
	ds_load_b128 v[82:85], v2 offset:896
	v_fmac_f64_e32 v[94:95], v[88:89], v[106:107]
	s_wait_loadcnt_dscnt 0x501
	v_mul_f64_e32 v[92:93], v[78:79], v[116:117]
	v_mul_f64_e32 v[100:101], v[80:81], v[116:117]
	v_add_f64_e32 v[4:5], v[4:5], v[98:99]
	v_add_f64_e32 v[8:9], v[8:9], v[90:91]
	s_wait_loadcnt_dscnt 0x200
	v_mul_f64_e32 v[90:91], v[82:83], v[12:13]
	v_mul_f64_e32 v[12:13], v[84:85], v[12:13]
	v_fmac_f64_e32 v[92:93], v[80:81], v[114:115]
	v_fma_f64 v[96:97], v[78:79], v[114:115], -v[100:101]
	v_add_f64_e32 v[4:5], v[4:5], v[86:87]
	v_add_f64_e32 v[8:9], v[8:9], v[94:95]
	ds_load_b128 v[78:81], v2 offset:912
	ds_load_b128 v[86:89], v2 offset:928
	v_fmac_f64_e32 v[90:91], v[84:85], v[10:11]
	v_fma_f64 v[10:11], v[82:83], v[10:11], -v[12:13]
	s_wait_dscnt 0x1
	v_mul_f64_e32 v[94:95], v[78:79], v[128:129]
	v_mul_f64_e32 v[98:99], v[80:81], v[128:129]
	v_add_f64_e32 v[4:5], v[4:5], v[96:97]
	v_add_f64_e32 v[8:9], v[8:9], v[92:93]
	s_wait_loadcnt_dscnt 0x100
	v_mul_f64_e32 v[12:13], v[86:87], v[76:77]
	v_mul_f64_e32 v[76:77], v[88:89], v[76:77]
	v_fmac_f64_e32 v[94:95], v[80:81], v[126:127]
	v_fma_f64 v[78:79], v[78:79], v[126:127], -v[98:99]
	v_add_f64_e32 v[4:5], v[4:5], v[10:11]
	v_add_f64_e32 v[80:81], v[8:9], v[90:91]
	ds_load_b128 v[8:11], v2 offset:944
	v_fmac_f64_e32 v[12:13], v[88:89], v[74:75]
	v_fma_f64 v[74:75], v[86:87], v[74:75], -v[76:77]
	s_wait_loadcnt_dscnt 0x0
	v_mul_f64_e32 v[82:83], v[8:9], v[112:113]
	v_mul_f64_e32 v[84:85], v[10:11], v[112:113]
	v_add_f64_e32 v[4:5], v[4:5], v[78:79]
	v_add_f64_e32 v[76:77], v[80:81], v[94:95]
	s_delay_alu instid0(VALU_DEP_4) | instskip(NEXT) | instid1(VALU_DEP_4)
	v_fmac_f64_e32 v[82:83], v[10:11], v[110:111]
	v_fma_f64 v[8:9], v[8:9], v[110:111], -v[84:85]
	s_delay_alu instid0(VALU_DEP_4) | instskip(NEXT) | instid1(VALU_DEP_4)
	v_add_f64_e32 v[4:5], v[4:5], v[74:75]
	v_add_f64_e32 v[10:11], v[76:77], v[12:13]
	s_delay_alu instid0(VALU_DEP_2) | instskip(NEXT) | instid1(VALU_DEP_2)
	v_add_f64_e32 v[4:5], v[4:5], v[8:9]
	v_add_f64_e32 v[10:11], v[10:11], v[82:83]
	s_delay_alu instid0(VALU_DEP_2) | instskip(NEXT) | instid1(VALU_DEP_2)
	v_add_f64_e64 v[8:9], v[118:119], -v[4:5]
	v_add_f64_e64 v[10:11], v[120:121], -v[10:11]
	scratch_store_b128 off, v[8:11], off offset:224
	s_wait_xcnt 0x0
	v_cmpx_lt_u32_e32 13, v1
	s_cbranch_execz .LBB29_167
; %bb.166:
	scratch_load_b128 v[8:11], off, s40
	v_dual_mov_b32 v3, v2 :: v_dual_mov_b32 v4, v2
	v_mov_b32_e32 v5, v2
	scratch_store_b128 off, v[2:5], off offset:208
	s_wait_loadcnt 0x0
	ds_store_b128 v6, v[8:11]
.LBB29_167:
	s_wait_xcnt 0x0
	s_or_b32 exec_lo, exec_lo, s2
	s_wait_storecnt_dscnt 0x0
	s_barrier_signal -1
	s_barrier_wait -1
	s_clause 0x9
	scratch_load_b128 v[8:11], off, off offset:224
	scratch_load_b128 v[74:77], off, off offset:240
	scratch_load_b128 v[78:81], off, off offset:256
	scratch_load_b128 v[82:85], off, off offset:272
	scratch_load_b128 v[86:89], off, off offset:288
	scratch_load_b128 v[90:93], off, off offset:304
	scratch_load_b128 v[94:97], off, off offset:320
	scratch_load_b128 v[98:101], off, off offset:336
	scratch_load_b128 v[102:105], off, off offset:352
	scratch_load_b128 v[106:109], off, off offset:368
	ds_load_b128 v[110:113], v2 offset:704
	ds_load_b128 v[118:121], v2 offset:720
	s_clause 0x1
	scratch_load_b128 v[114:117], off, off offset:384
	scratch_load_b128 v[122:125], off, off offset:208
	s_mov_b32 s2, exec_lo
	s_wait_loadcnt_dscnt 0xb01
	v_mul_f64_e32 v[4:5], v[112:113], v[10:11]
	v_mul_f64_e32 v[134:135], v[110:111], v[10:11]
	scratch_load_b128 v[10:13], off, off offset:400
	s_wait_loadcnt_dscnt 0xb00
	v_mul_f64_e32 v[136:137], v[118:119], v[76:77]
	v_mul_f64_e32 v[76:77], v[120:121], v[76:77]
	v_fma_f64 v[4:5], v[110:111], v[8:9], -v[4:5]
	v_fmac_f64_e32 v[134:135], v[112:113], v[8:9]
	ds_load_b128 v[110:113], v2 offset:736
	ds_load_b128 v[126:129], v2 offset:752
	scratch_load_b128 v[130:133], off, off offset:416
	v_fmac_f64_e32 v[136:137], v[120:121], v[74:75]
	v_fma_f64 v[118:119], v[118:119], v[74:75], -v[76:77]
	scratch_load_b128 v[74:77], off, off offset:432
	s_wait_loadcnt_dscnt 0xc01
	v_mul_f64_e32 v[8:9], v[110:111], v[80:81]
	v_mul_f64_e32 v[80:81], v[112:113], v[80:81]
	v_add_f64_e32 v[4:5], 0, v[4:5]
	v_add_f64_e32 v[120:121], 0, v[134:135]
	s_wait_loadcnt_dscnt 0xb00
	v_mul_f64_e32 v[134:135], v[126:127], v[84:85]
	v_mul_f64_e32 v[84:85], v[128:129], v[84:85]
	v_fmac_f64_e32 v[8:9], v[112:113], v[78:79]
	v_fma_f64 v[138:139], v[110:111], v[78:79], -v[80:81]
	ds_load_b128 v[78:81], v2 offset:768
	ds_load_b128 v[110:113], v2 offset:784
	v_add_f64_e32 v[4:5], v[4:5], v[118:119]
	v_add_f64_e32 v[136:137], v[120:121], v[136:137]
	scratch_load_b128 v[118:121], off, off offset:448
	v_fmac_f64_e32 v[134:135], v[128:129], v[82:83]
	v_fma_f64 v[126:127], v[126:127], v[82:83], -v[84:85]
	scratch_load_b128 v[82:85], off, off offset:464
	s_wait_loadcnt_dscnt 0xc01
	v_mul_f64_e32 v[140:141], v[78:79], v[88:89]
	v_mul_f64_e32 v[88:89], v[80:81], v[88:89]
	s_wait_loadcnt_dscnt 0xb00
	v_mul_f64_e32 v[128:129], v[110:111], v[92:93]
	v_mul_f64_e32 v[92:93], v[112:113], v[92:93]
	v_add_f64_e32 v[4:5], v[4:5], v[138:139]
	v_add_f64_e32 v[8:9], v[136:137], v[8:9]
	v_fmac_f64_e32 v[140:141], v[80:81], v[86:87]
	v_fma_f64 v[136:137], v[78:79], v[86:87], -v[88:89]
	ds_load_b128 v[78:81], v2 offset:800
	ds_load_b128 v[86:89], v2 offset:816
	v_fmac_f64_e32 v[128:129], v[112:113], v[90:91]
	v_fma_f64 v[90:91], v[110:111], v[90:91], -v[92:93]
	s_wait_loadcnt_dscnt 0x900
	v_mul_f64_e32 v[110:111], v[86:87], v[100:101]
	v_add_f64_e32 v[4:5], v[4:5], v[126:127]
	v_add_f64_e32 v[8:9], v[8:9], v[134:135]
	v_mul_f64_e32 v[126:127], v[78:79], v[96:97]
	v_mul_f64_e32 v[96:97], v[80:81], v[96:97]
	;; [unrolled: 1-line block ×3, first 2 shown]
	v_fmac_f64_e32 v[110:111], v[88:89], v[98:99]
	v_add_f64_e32 v[4:5], v[4:5], v[136:137]
	v_add_f64_e32 v[8:9], v[8:9], v[140:141]
	v_fmac_f64_e32 v[126:127], v[80:81], v[94:95]
	v_fma_f64 v[94:95], v[78:79], v[94:95], -v[96:97]
	v_fma_f64 v[86:87], v[86:87], v[98:99], -v[100:101]
	v_add_f64_e32 v[4:5], v[4:5], v[90:91]
	v_add_f64_e32 v[8:9], v[8:9], v[128:129]
	ds_load_b128 v[78:81], v2 offset:832
	ds_load_b128 v[90:93], v2 offset:848
	s_wait_loadcnt_dscnt 0x801
	v_mul_f64_e32 v[96:97], v[78:79], v[104:105]
	v_mul_f64_e32 v[104:105], v[80:81], v[104:105]
	s_wait_loadcnt_dscnt 0x700
	v_mul_f64_e32 v[98:99], v[92:93], v[108:109]
	v_add_f64_e32 v[4:5], v[4:5], v[94:95]
	v_add_f64_e32 v[8:9], v[8:9], v[126:127]
	v_mul_f64_e32 v[94:95], v[90:91], v[108:109]
	v_fmac_f64_e32 v[96:97], v[80:81], v[102:103]
	v_fma_f64 v[100:101], v[78:79], v[102:103], -v[104:105]
	v_fma_f64 v[90:91], v[90:91], v[106:107], -v[98:99]
	v_add_f64_e32 v[4:5], v[4:5], v[86:87]
	v_add_f64_e32 v[8:9], v[8:9], v[110:111]
	ds_load_b128 v[78:81], v2 offset:864
	ds_load_b128 v[86:89], v2 offset:880
	v_fmac_f64_e32 v[94:95], v[92:93], v[106:107]
	s_wait_loadcnt_dscnt 0x601
	v_mul_f64_e32 v[102:103], v[78:79], v[116:117]
	v_mul_f64_e32 v[104:105], v[80:81], v[116:117]
	v_add_f64_e32 v[4:5], v[4:5], v[100:101]
	v_add_f64_e32 v[8:9], v[8:9], v[96:97]
	s_wait_loadcnt_dscnt 0x400
	v_mul_f64_e32 v[96:97], v[86:87], v[12:13]
	v_mul_f64_e32 v[12:13], v[88:89], v[12:13]
	v_fmac_f64_e32 v[102:103], v[80:81], v[114:115]
	v_fma_f64 v[98:99], v[78:79], v[114:115], -v[104:105]
	v_add_f64_e32 v[4:5], v[4:5], v[90:91]
	v_add_f64_e32 v[8:9], v[8:9], v[94:95]
	ds_load_b128 v[78:81], v2 offset:896
	ds_load_b128 v[90:93], v2 offset:912
	v_fmac_f64_e32 v[96:97], v[88:89], v[10:11]
	v_fma_f64 v[10:11], v[86:87], v[10:11], -v[12:13]
	s_wait_loadcnt_dscnt 0x301
	v_mul_f64_e32 v[94:95], v[78:79], v[132:133]
	v_mul_f64_e32 v[100:101], v[80:81], v[132:133]
	s_wait_loadcnt_dscnt 0x200
	v_mul_f64_e32 v[12:13], v[90:91], v[76:77]
	v_mul_f64_e32 v[76:77], v[92:93], v[76:77]
	v_add_f64_e32 v[4:5], v[4:5], v[98:99]
	v_add_f64_e32 v[8:9], v[8:9], v[102:103]
	v_fmac_f64_e32 v[94:95], v[80:81], v[130:131]
	v_fma_f64 v[78:79], v[78:79], v[130:131], -v[100:101]
	v_fmac_f64_e32 v[12:13], v[92:93], v[74:75]
	v_fma_f64 v[74:75], v[90:91], v[74:75], -v[76:77]
	v_add_f64_e32 v[80:81], v[4:5], v[10:11]
	v_add_f64_e32 v[86:87], v[8:9], v[96:97]
	ds_load_b128 v[8:11], v2 offset:928
	ds_load_b128 v[2:5], v2 offset:944
	s_wait_loadcnt_dscnt 0x101
	v_mul_f64_e32 v[88:89], v[8:9], v[120:121]
	v_mul_f64_e32 v[96:97], v[10:11], v[120:121]
	v_add_f64_e32 v[76:77], v[80:81], v[78:79]
	v_add_f64_e32 v[78:79], v[86:87], v[94:95]
	s_wait_loadcnt_dscnt 0x0
	v_mul_f64_e32 v[80:81], v[2:3], v[84:85]
	v_mul_f64_e32 v[84:85], v[4:5], v[84:85]
	v_fmac_f64_e32 v[88:89], v[10:11], v[118:119]
	v_fma_f64 v[8:9], v[8:9], v[118:119], -v[96:97]
	v_add_f64_e32 v[10:11], v[76:77], v[74:75]
	v_add_f64_e32 v[12:13], v[78:79], v[12:13]
	v_fmac_f64_e32 v[80:81], v[4:5], v[82:83]
	v_fma_f64 v[2:3], v[2:3], v[82:83], -v[84:85]
	s_delay_alu instid0(VALU_DEP_4) | instskip(NEXT) | instid1(VALU_DEP_4)
	v_add_f64_e32 v[4:5], v[10:11], v[8:9]
	v_add_f64_e32 v[8:9], v[12:13], v[88:89]
	s_delay_alu instid0(VALU_DEP_2) | instskip(NEXT) | instid1(VALU_DEP_2)
	v_add_f64_e32 v[2:3], v[4:5], v[2:3]
	v_add_f64_e32 v[4:5], v[8:9], v[80:81]
	s_delay_alu instid0(VALU_DEP_2) | instskip(NEXT) | instid1(VALU_DEP_2)
	v_add_f64_e64 v[2:3], v[122:123], -v[2:3]
	v_add_f64_e64 v[4:5], v[124:125], -v[4:5]
	scratch_store_b128 off, v[2:5], off offset:208
	s_wait_xcnt 0x0
	v_cmpx_lt_u32_e32 12, v1
	s_cbranch_execz .LBB29_169
; %bb.168:
	scratch_load_b128 v[2:5], off, s39
	v_mov_b32_e32 v8, 0
	s_delay_alu instid0(VALU_DEP_1)
	v_dual_mov_b32 v9, v8 :: v_dual_mov_b32 v10, v8
	v_mov_b32_e32 v11, v8
	scratch_store_b128 off, v[8:11], off offset:192
	s_wait_loadcnt 0x0
	ds_store_b128 v6, v[2:5]
.LBB29_169:
	s_wait_xcnt 0x0
	s_or_b32 exec_lo, exec_lo, s2
	s_wait_storecnt_dscnt 0x0
	s_barrier_signal -1
	s_barrier_wait -1
	s_clause 0x9
	scratch_load_b128 v[8:11], off, off offset:208
	scratch_load_b128 v[74:77], off, off offset:224
	;; [unrolled: 1-line block ×10, first 2 shown]
	v_mov_b32_e32 v2, 0
	s_mov_b32 s2, exec_lo
	ds_load_b128 v[110:113], v2 offset:688
	s_clause 0x2
	scratch_load_b128 v[114:117], off, off offset:368
	scratch_load_b128 v[118:121], off, off offset:192
	;; [unrolled: 1-line block ×3, first 2 shown]
	s_wait_loadcnt_dscnt 0xc00
	v_mul_f64_e32 v[4:5], v[112:113], v[10:11]
	v_mul_f64_e32 v[134:135], v[110:111], v[10:11]
	ds_load_b128 v[122:125], v2 offset:704
	scratch_load_b128 v[10:13], off, off offset:384
	ds_load_b128 v[130:133], v2 offset:736
	v_fma_f64 v[4:5], v[110:111], v[8:9], -v[4:5]
	v_fmac_f64_e32 v[134:135], v[112:113], v[8:9]
	ds_load_b128 v[110:113], v2 offset:720
	s_wait_loadcnt_dscnt 0xc02
	v_mul_f64_e32 v[136:137], v[122:123], v[76:77]
	v_mul_f64_e32 v[76:77], v[124:125], v[76:77]
	s_wait_loadcnt_dscnt 0xb00
	v_mul_f64_e32 v[8:9], v[110:111], v[80:81]
	v_mul_f64_e32 v[80:81], v[112:113], v[80:81]
	v_add_f64_e32 v[4:5], 0, v[4:5]
	v_fmac_f64_e32 v[136:137], v[124:125], v[74:75]
	v_fma_f64 v[122:123], v[122:123], v[74:75], -v[76:77]
	v_add_f64_e32 v[124:125], 0, v[134:135]
	scratch_load_b128 v[74:77], off, off offset:416
	v_fmac_f64_e32 v[8:9], v[112:113], v[78:79]
	v_fma_f64 v[138:139], v[110:111], v[78:79], -v[80:81]
	ds_load_b128 v[78:81], v2 offset:752
	s_wait_loadcnt 0xb
	v_mul_f64_e32 v[134:135], v[130:131], v[84:85]
	v_mul_f64_e32 v[84:85], v[132:133], v[84:85]
	scratch_load_b128 v[110:113], off, off offset:432
	v_add_f64_e32 v[4:5], v[4:5], v[122:123]
	v_add_f64_e32 v[136:137], v[124:125], v[136:137]
	ds_load_b128 v[122:125], v2 offset:768
	s_wait_loadcnt_dscnt 0xb01
	v_mul_f64_e32 v[140:141], v[78:79], v[88:89]
	v_mul_f64_e32 v[88:89], v[80:81], v[88:89]
	v_fmac_f64_e32 v[134:135], v[132:133], v[82:83]
	v_fma_f64 v[130:131], v[130:131], v[82:83], -v[84:85]
	scratch_load_b128 v[82:85], off, off offset:448
	v_add_f64_e32 v[4:5], v[4:5], v[138:139]
	v_add_f64_e32 v[8:9], v[136:137], v[8:9]
	v_fmac_f64_e32 v[140:141], v[80:81], v[86:87]
	v_fma_f64 v[138:139], v[78:79], v[86:87], -v[88:89]
	ds_load_b128 v[78:81], v2 offset:784
	s_wait_loadcnt_dscnt 0xb01
	v_mul_f64_e32 v[136:137], v[122:123], v[92:93]
	v_mul_f64_e32 v[92:93], v[124:125], v[92:93]
	scratch_load_b128 v[86:89], off, off offset:464
	v_add_f64_e32 v[4:5], v[4:5], v[130:131]
	v_add_f64_e32 v[8:9], v[8:9], v[134:135]
	s_wait_loadcnt_dscnt 0xb00
	v_mul_f64_e32 v[134:135], v[78:79], v[96:97]
	v_mul_f64_e32 v[96:97], v[80:81], v[96:97]
	ds_load_b128 v[130:133], v2 offset:800
	v_fmac_f64_e32 v[136:137], v[124:125], v[90:91]
	v_fma_f64 v[90:91], v[122:123], v[90:91], -v[92:93]
	s_wait_loadcnt_dscnt 0xa00
	v_mul_f64_e32 v[122:123], v[130:131], v[100:101]
	v_mul_f64_e32 v[100:101], v[132:133], v[100:101]
	v_add_f64_e32 v[4:5], v[4:5], v[138:139]
	v_add_f64_e32 v[8:9], v[8:9], v[140:141]
	v_fmac_f64_e32 v[134:135], v[80:81], v[94:95]
	v_fma_f64 v[94:95], v[78:79], v[94:95], -v[96:97]
	v_fmac_f64_e32 v[122:123], v[132:133], v[98:99]
	v_fma_f64 v[98:99], v[130:131], v[98:99], -v[100:101]
	v_add_f64_e32 v[4:5], v[4:5], v[90:91]
	v_add_f64_e32 v[8:9], v[8:9], v[136:137]
	ds_load_b128 v[78:81], v2 offset:816
	ds_load_b128 v[90:93], v2 offset:832
	s_wait_loadcnt_dscnt 0x901
	v_mul_f64_e32 v[124:125], v[78:79], v[104:105]
	v_mul_f64_e32 v[96:97], v[80:81], v[104:105]
	s_wait_loadcnt_dscnt 0x800
	v_mul_f64_e32 v[100:101], v[90:91], v[108:109]
	v_mul_f64_e32 v[104:105], v[92:93], v[108:109]
	v_add_f64_e32 v[4:5], v[4:5], v[94:95]
	v_add_f64_e32 v[8:9], v[8:9], v[134:135]
	v_fmac_f64_e32 v[124:125], v[80:81], v[102:103]
	v_fma_f64 v[102:103], v[78:79], v[102:103], -v[96:97]
	ds_load_b128 v[78:81], v2 offset:848
	ds_load_b128 v[94:97], v2 offset:864
	v_fmac_f64_e32 v[100:101], v[92:93], v[106:107]
	v_fma_f64 v[90:91], v[90:91], v[106:107], -v[104:105]
	v_add_f64_e32 v[4:5], v[4:5], v[98:99]
	v_add_f64_e32 v[8:9], v[8:9], v[122:123]
	s_wait_loadcnt_dscnt 0x701
	v_mul_f64_e32 v[98:99], v[78:79], v[116:117]
	v_mul_f64_e32 v[108:109], v[80:81], v[116:117]
	s_delay_alu instid0(VALU_DEP_4) | instskip(NEXT) | instid1(VALU_DEP_4)
	v_add_f64_e32 v[4:5], v[4:5], v[102:103]
	v_add_f64_e32 v[8:9], v[8:9], v[124:125]
	s_wait_loadcnt_dscnt 0x400
	v_mul_f64_e32 v[102:103], v[94:95], v[12:13]
	v_mul_f64_e32 v[12:13], v[96:97], v[12:13]
	v_fmac_f64_e32 v[98:99], v[80:81], v[114:115]
	v_fma_f64 v[104:105], v[78:79], v[114:115], -v[108:109]
	v_add_f64_e32 v[4:5], v[4:5], v[90:91]
	v_add_f64_e32 v[8:9], v[8:9], v[100:101]
	ds_load_b128 v[78:81], v2 offset:880
	ds_load_b128 v[90:93], v2 offset:896
	v_fmac_f64_e32 v[102:103], v[96:97], v[10:11]
	v_fma_f64 v[10:11], v[94:95], v[10:11], -v[12:13]
	s_wait_dscnt 0x1
	v_mul_f64_e32 v[100:101], v[78:79], v[128:129]
	v_mul_f64_e32 v[106:107], v[80:81], v[128:129]
	v_add_f64_e32 v[4:5], v[4:5], v[104:105]
	v_add_f64_e32 v[8:9], v[8:9], v[98:99]
	s_wait_loadcnt_dscnt 0x300
	v_mul_f64_e32 v[12:13], v[90:91], v[76:77]
	v_mul_f64_e32 v[94:95], v[92:93], v[76:77]
	v_fmac_f64_e32 v[100:101], v[80:81], v[126:127]
	v_fma_f64 v[80:81], v[78:79], v[126:127], -v[106:107]
	v_add_f64_e32 v[4:5], v[4:5], v[10:11]
	v_add_f64_e32 v[96:97], v[8:9], v[102:103]
	ds_load_b128 v[8:11], v2 offset:912
	ds_load_b128 v[76:79], v2 offset:928
	v_fmac_f64_e32 v[12:13], v[92:93], v[74:75]
	v_fma_f64 v[74:75], v[90:91], v[74:75], -v[94:95]
	s_wait_loadcnt_dscnt 0x201
	v_mul_f64_e32 v[98:99], v[8:9], v[112:113]
	v_mul_f64_e32 v[102:103], v[10:11], v[112:113]
	s_wait_loadcnt_dscnt 0x100
	v_mul_f64_e32 v[90:91], v[76:77], v[84:85]
	v_mul_f64_e32 v[84:85], v[78:79], v[84:85]
	v_add_f64_e32 v[4:5], v[4:5], v[80:81]
	v_add_f64_e32 v[80:81], v[96:97], v[100:101]
	v_fmac_f64_e32 v[98:99], v[10:11], v[110:111]
	v_fma_f64 v[92:93], v[8:9], v[110:111], -v[102:103]
	ds_load_b128 v[8:11], v2 offset:944
	v_fmac_f64_e32 v[90:91], v[78:79], v[82:83]
	v_fma_f64 v[76:77], v[76:77], v[82:83], -v[84:85]
	v_add_f64_e32 v[4:5], v[4:5], v[74:75]
	v_add_f64_e32 v[12:13], v[80:81], v[12:13]
	s_wait_loadcnt_dscnt 0x0
	v_mul_f64_e32 v[74:75], v[8:9], v[88:89]
	v_mul_f64_e32 v[80:81], v[10:11], v[88:89]
	s_delay_alu instid0(VALU_DEP_4) | instskip(NEXT) | instid1(VALU_DEP_4)
	v_add_f64_e32 v[4:5], v[4:5], v[92:93]
	v_add_f64_e32 v[12:13], v[12:13], v[98:99]
	s_delay_alu instid0(VALU_DEP_4) | instskip(NEXT) | instid1(VALU_DEP_4)
	v_fmac_f64_e32 v[74:75], v[10:11], v[86:87]
	v_fma_f64 v[8:9], v[8:9], v[86:87], -v[80:81]
	s_delay_alu instid0(VALU_DEP_4) | instskip(NEXT) | instid1(VALU_DEP_4)
	v_add_f64_e32 v[4:5], v[4:5], v[76:77]
	v_add_f64_e32 v[10:11], v[12:13], v[90:91]
	s_delay_alu instid0(VALU_DEP_2) | instskip(NEXT) | instid1(VALU_DEP_2)
	v_add_f64_e32 v[4:5], v[4:5], v[8:9]
	v_add_f64_e32 v[10:11], v[10:11], v[74:75]
	s_delay_alu instid0(VALU_DEP_2) | instskip(NEXT) | instid1(VALU_DEP_2)
	v_add_f64_e64 v[8:9], v[118:119], -v[4:5]
	v_add_f64_e64 v[10:11], v[120:121], -v[10:11]
	scratch_store_b128 off, v[8:11], off offset:192
	s_wait_xcnt 0x0
	v_cmpx_lt_u32_e32 11, v1
	s_cbranch_execz .LBB29_171
; %bb.170:
	scratch_load_b128 v[8:11], off, s37
	v_dual_mov_b32 v3, v2 :: v_dual_mov_b32 v4, v2
	v_mov_b32_e32 v5, v2
	scratch_store_b128 off, v[2:5], off offset:176
	s_wait_loadcnt 0x0
	ds_store_b128 v6, v[8:11]
.LBB29_171:
	s_wait_xcnt 0x0
	s_or_b32 exec_lo, exec_lo, s2
	s_wait_storecnt_dscnt 0x0
	s_barrier_signal -1
	s_barrier_wait -1
	s_clause 0x9
	scratch_load_b128 v[8:11], off, off offset:192
	scratch_load_b128 v[74:77], off, off offset:208
	;; [unrolled: 1-line block ×10, first 2 shown]
	ds_load_b128 v[110:113], v2 offset:672
	ds_load_b128 v[118:121], v2 offset:688
	s_clause 0x1
	scratch_load_b128 v[114:117], off, off offset:352
	scratch_load_b128 v[122:125], off, off offset:176
	s_mov_b32 s2, exec_lo
	s_wait_loadcnt_dscnt 0xb01
	v_mul_f64_e32 v[4:5], v[112:113], v[10:11]
	v_mul_f64_e32 v[134:135], v[110:111], v[10:11]
	scratch_load_b128 v[10:13], off, off offset:368
	s_wait_loadcnt_dscnt 0xb00
	v_mul_f64_e32 v[136:137], v[118:119], v[76:77]
	v_mul_f64_e32 v[76:77], v[120:121], v[76:77]
	v_fma_f64 v[4:5], v[110:111], v[8:9], -v[4:5]
	v_fmac_f64_e32 v[134:135], v[112:113], v[8:9]
	ds_load_b128 v[110:113], v2 offset:704
	ds_load_b128 v[126:129], v2 offset:720
	scratch_load_b128 v[130:133], off, off offset:384
	v_fmac_f64_e32 v[136:137], v[120:121], v[74:75]
	v_fma_f64 v[118:119], v[118:119], v[74:75], -v[76:77]
	scratch_load_b128 v[74:77], off, off offset:400
	s_wait_loadcnt_dscnt 0xc01
	v_mul_f64_e32 v[8:9], v[110:111], v[80:81]
	v_mul_f64_e32 v[80:81], v[112:113], v[80:81]
	v_add_f64_e32 v[4:5], 0, v[4:5]
	v_add_f64_e32 v[120:121], 0, v[134:135]
	s_wait_loadcnt_dscnt 0xb00
	v_mul_f64_e32 v[134:135], v[126:127], v[84:85]
	v_mul_f64_e32 v[84:85], v[128:129], v[84:85]
	v_fmac_f64_e32 v[8:9], v[112:113], v[78:79]
	v_fma_f64 v[138:139], v[110:111], v[78:79], -v[80:81]
	ds_load_b128 v[78:81], v2 offset:736
	ds_load_b128 v[110:113], v2 offset:752
	v_add_f64_e32 v[4:5], v[4:5], v[118:119]
	v_add_f64_e32 v[136:137], v[120:121], v[136:137]
	scratch_load_b128 v[118:121], off, off offset:416
	v_fmac_f64_e32 v[134:135], v[128:129], v[82:83]
	v_fma_f64 v[126:127], v[126:127], v[82:83], -v[84:85]
	scratch_load_b128 v[82:85], off, off offset:432
	s_wait_loadcnt_dscnt 0xc01
	v_mul_f64_e32 v[140:141], v[78:79], v[88:89]
	v_mul_f64_e32 v[88:89], v[80:81], v[88:89]
	v_add_f64_e32 v[4:5], v[4:5], v[138:139]
	v_add_f64_e32 v[8:9], v[136:137], v[8:9]
	s_wait_loadcnt_dscnt 0xb00
	v_mul_f64_e32 v[136:137], v[110:111], v[92:93]
	v_mul_f64_e32 v[92:93], v[112:113], v[92:93]
	v_fmac_f64_e32 v[140:141], v[80:81], v[86:87]
	v_fma_f64 v[138:139], v[78:79], v[86:87], -v[88:89]
	ds_load_b128 v[78:81], v2 offset:768
	ds_load_b128 v[86:89], v2 offset:784
	v_add_f64_e32 v[4:5], v[4:5], v[126:127]
	v_add_f64_e32 v[8:9], v[8:9], v[134:135]
	scratch_load_b128 v[126:129], off, off offset:448
	s_wait_loadcnt_dscnt 0xb01
	v_mul_f64_e32 v[134:135], v[78:79], v[96:97]
	v_mul_f64_e32 v[96:97], v[80:81], v[96:97]
	v_fmac_f64_e32 v[136:137], v[112:113], v[90:91]
	v_fma_f64 v[110:111], v[110:111], v[90:91], -v[92:93]
	scratch_load_b128 v[90:93], off, off offset:464
	s_wait_loadcnt_dscnt 0xb00
	v_mul_f64_e32 v[112:113], v[86:87], v[100:101]
	v_mul_f64_e32 v[100:101], v[88:89], v[100:101]
	v_add_f64_e32 v[4:5], v[4:5], v[138:139]
	v_add_f64_e32 v[8:9], v[8:9], v[140:141]
	v_fmac_f64_e32 v[134:135], v[80:81], v[94:95]
	v_fma_f64 v[138:139], v[78:79], v[94:95], -v[96:97]
	ds_load_b128 v[78:81], v2 offset:800
	ds_load_b128 v[94:97], v2 offset:816
	v_fmac_f64_e32 v[112:113], v[88:89], v[98:99]
	v_fma_f64 v[86:87], v[86:87], v[98:99], -v[100:101]
	s_wait_loadcnt_dscnt 0x900
	v_mul_f64_e32 v[98:99], v[94:95], v[108:109]
	v_mul_f64_e32 v[100:101], v[96:97], v[108:109]
	v_add_f64_e32 v[4:5], v[4:5], v[110:111]
	v_add_f64_e32 v[8:9], v[8:9], v[136:137]
	v_mul_f64_e32 v[110:111], v[78:79], v[104:105]
	v_mul_f64_e32 v[104:105], v[80:81], v[104:105]
	v_fmac_f64_e32 v[98:99], v[96:97], v[106:107]
	v_fma_f64 v[94:95], v[94:95], v[106:107], -v[100:101]
	v_add_f64_e32 v[4:5], v[4:5], v[138:139]
	v_add_f64_e32 v[8:9], v[8:9], v[134:135]
	v_fmac_f64_e32 v[110:111], v[80:81], v[102:103]
	v_fma_f64 v[102:103], v[78:79], v[102:103], -v[104:105]
	s_delay_alu instid0(VALU_DEP_4) | instskip(NEXT) | instid1(VALU_DEP_4)
	v_add_f64_e32 v[4:5], v[4:5], v[86:87]
	v_add_f64_e32 v[8:9], v[8:9], v[112:113]
	ds_load_b128 v[78:81], v2 offset:832
	ds_load_b128 v[86:89], v2 offset:848
	s_wait_loadcnt_dscnt 0x801
	v_mul_f64_e32 v[104:105], v[78:79], v[116:117]
	v_mul_f64_e32 v[108:109], v[80:81], v[116:117]
	v_add_f64_e32 v[4:5], v[4:5], v[102:103]
	v_add_f64_e32 v[8:9], v[8:9], v[110:111]
	s_wait_loadcnt_dscnt 0x600
	v_mul_f64_e32 v[100:101], v[86:87], v[12:13]
	v_mul_f64_e32 v[12:13], v[88:89], v[12:13]
	v_fmac_f64_e32 v[104:105], v[80:81], v[114:115]
	v_fma_f64 v[102:103], v[78:79], v[114:115], -v[108:109]
	v_add_f64_e32 v[4:5], v[4:5], v[94:95]
	v_add_f64_e32 v[8:9], v[8:9], v[98:99]
	ds_load_b128 v[78:81], v2 offset:864
	ds_load_b128 v[94:97], v2 offset:880
	v_fmac_f64_e32 v[100:101], v[88:89], v[10:11]
	v_fma_f64 v[10:11], v[86:87], v[10:11], -v[12:13]
	s_wait_loadcnt_dscnt 0x501
	v_mul_f64_e32 v[98:99], v[78:79], v[132:133]
	v_mul_f64_e32 v[106:107], v[80:81], v[132:133]
	s_wait_loadcnt_dscnt 0x400
	v_mul_f64_e32 v[12:13], v[94:95], v[76:77]
	v_mul_f64_e32 v[86:87], v[96:97], v[76:77]
	v_add_f64_e32 v[4:5], v[4:5], v[102:103]
	v_add_f64_e32 v[8:9], v[8:9], v[104:105]
	v_fmac_f64_e32 v[98:99], v[80:81], v[130:131]
	v_fma_f64 v[80:81], v[78:79], v[130:131], -v[106:107]
	v_fmac_f64_e32 v[12:13], v[96:97], v[74:75]
	v_fma_f64 v[74:75], v[94:95], v[74:75], -v[86:87]
	v_add_f64_e32 v[4:5], v[4:5], v[10:11]
	v_add_f64_e32 v[88:89], v[8:9], v[100:101]
	ds_load_b128 v[8:11], v2 offset:896
	ds_load_b128 v[76:79], v2 offset:912
	s_wait_loadcnt_dscnt 0x301
	v_mul_f64_e32 v[100:101], v[8:9], v[120:121]
	v_mul_f64_e32 v[102:103], v[10:11], v[120:121]
	s_wait_loadcnt_dscnt 0x200
	v_mul_f64_e32 v[86:87], v[76:77], v[84:85]
	v_mul_f64_e32 v[84:85], v[78:79], v[84:85]
	v_add_f64_e32 v[4:5], v[4:5], v[80:81]
	v_add_f64_e32 v[80:81], v[88:89], v[98:99]
	v_fmac_f64_e32 v[100:101], v[10:11], v[118:119]
	v_fma_f64 v[88:89], v[8:9], v[118:119], -v[102:103]
	v_fmac_f64_e32 v[86:87], v[78:79], v[82:83]
	v_fma_f64 v[76:77], v[76:77], v[82:83], -v[84:85]
	v_add_f64_e32 v[74:75], v[4:5], v[74:75]
	v_add_f64_e32 v[12:13], v[80:81], v[12:13]
	ds_load_b128 v[8:11], v2 offset:928
	ds_load_b128 v[2:5], v2 offset:944
	s_wait_loadcnt_dscnt 0x101
	v_mul_f64_e32 v[80:81], v[8:9], v[128:129]
	v_mul_f64_e32 v[94:95], v[10:11], v[128:129]
	s_wait_loadcnt_dscnt 0x0
	v_mul_f64_e32 v[78:79], v[2:3], v[92:93]
	v_mul_f64_e32 v[82:83], v[4:5], v[92:93]
	v_add_f64_e32 v[74:75], v[74:75], v[88:89]
	v_add_f64_e32 v[12:13], v[12:13], v[100:101]
	v_fmac_f64_e32 v[80:81], v[10:11], v[126:127]
	v_fma_f64 v[8:9], v[8:9], v[126:127], -v[94:95]
	v_fmac_f64_e32 v[78:79], v[4:5], v[90:91]
	v_fma_f64 v[2:3], v[2:3], v[90:91], -v[82:83]
	v_add_f64_e32 v[10:11], v[74:75], v[76:77]
	v_add_f64_e32 v[12:13], v[12:13], v[86:87]
	s_delay_alu instid0(VALU_DEP_2) | instskip(NEXT) | instid1(VALU_DEP_2)
	v_add_f64_e32 v[4:5], v[10:11], v[8:9]
	v_add_f64_e32 v[8:9], v[12:13], v[80:81]
	s_delay_alu instid0(VALU_DEP_2) | instskip(NEXT) | instid1(VALU_DEP_2)
	v_add_f64_e32 v[2:3], v[4:5], v[2:3]
	v_add_f64_e32 v[4:5], v[8:9], v[78:79]
	s_delay_alu instid0(VALU_DEP_2) | instskip(NEXT) | instid1(VALU_DEP_2)
	v_add_f64_e64 v[2:3], v[122:123], -v[2:3]
	v_add_f64_e64 v[4:5], v[124:125], -v[4:5]
	scratch_store_b128 off, v[2:5], off offset:176
	s_wait_xcnt 0x0
	v_cmpx_lt_u32_e32 10, v1
	s_cbranch_execz .LBB29_173
; %bb.172:
	scratch_load_b128 v[2:5], off, s33
	v_mov_b32_e32 v8, 0
	s_delay_alu instid0(VALU_DEP_1)
	v_dual_mov_b32 v9, v8 :: v_dual_mov_b32 v10, v8
	v_mov_b32_e32 v11, v8
	scratch_store_b128 off, v[8:11], off offset:160
	s_wait_loadcnt 0x0
	ds_store_b128 v6, v[2:5]
.LBB29_173:
	s_wait_xcnt 0x0
	s_or_b32 exec_lo, exec_lo, s2
	s_wait_storecnt_dscnt 0x0
	s_barrier_signal -1
	s_barrier_wait -1
	s_clause 0x9
	scratch_load_b128 v[8:11], off, off offset:176
	scratch_load_b128 v[74:77], off, off offset:192
	;; [unrolled: 1-line block ×10, first 2 shown]
	v_mov_b32_e32 v2, 0
	s_mov_b32 s2, exec_lo
	ds_load_b128 v[110:113], v2 offset:656
	s_clause 0x2
	scratch_load_b128 v[114:117], off, off offset:336
	scratch_load_b128 v[118:121], off, off offset:160
	;; [unrolled: 1-line block ×3, first 2 shown]
	s_wait_loadcnt_dscnt 0xc00
	v_mul_f64_e32 v[4:5], v[112:113], v[10:11]
	v_mul_f64_e32 v[134:135], v[110:111], v[10:11]
	ds_load_b128 v[122:125], v2 offset:672
	scratch_load_b128 v[10:13], off, off offset:352
	ds_load_b128 v[130:133], v2 offset:704
	v_fma_f64 v[4:5], v[110:111], v[8:9], -v[4:5]
	v_fmac_f64_e32 v[134:135], v[112:113], v[8:9]
	ds_load_b128 v[110:113], v2 offset:688
	s_wait_loadcnt_dscnt 0xc02
	v_mul_f64_e32 v[136:137], v[122:123], v[76:77]
	v_mul_f64_e32 v[76:77], v[124:125], v[76:77]
	s_wait_loadcnt_dscnt 0xb00
	v_mul_f64_e32 v[8:9], v[110:111], v[80:81]
	v_mul_f64_e32 v[80:81], v[112:113], v[80:81]
	v_add_f64_e32 v[4:5], 0, v[4:5]
	v_fmac_f64_e32 v[136:137], v[124:125], v[74:75]
	v_fma_f64 v[122:123], v[122:123], v[74:75], -v[76:77]
	v_add_f64_e32 v[124:125], 0, v[134:135]
	scratch_load_b128 v[74:77], off, off offset:384
	v_fmac_f64_e32 v[8:9], v[112:113], v[78:79]
	v_fma_f64 v[138:139], v[110:111], v[78:79], -v[80:81]
	ds_load_b128 v[78:81], v2 offset:720
	s_wait_loadcnt 0xb
	v_mul_f64_e32 v[134:135], v[130:131], v[84:85]
	v_mul_f64_e32 v[84:85], v[132:133], v[84:85]
	scratch_load_b128 v[110:113], off, off offset:400
	v_add_f64_e32 v[4:5], v[4:5], v[122:123]
	v_add_f64_e32 v[136:137], v[124:125], v[136:137]
	ds_load_b128 v[122:125], v2 offset:736
	s_wait_loadcnt_dscnt 0xb01
	v_mul_f64_e32 v[140:141], v[78:79], v[88:89]
	v_mul_f64_e32 v[88:89], v[80:81], v[88:89]
	v_fmac_f64_e32 v[134:135], v[132:133], v[82:83]
	v_fma_f64 v[130:131], v[130:131], v[82:83], -v[84:85]
	scratch_load_b128 v[82:85], off, off offset:416
	v_add_f64_e32 v[4:5], v[4:5], v[138:139]
	v_add_f64_e32 v[8:9], v[136:137], v[8:9]
	v_fmac_f64_e32 v[140:141], v[80:81], v[86:87]
	v_fma_f64 v[138:139], v[78:79], v[86:87], -v[88:89]
	ds_load_b128 v[78:81], v2 offset:752
	s_wait_loadcnt_dscnt 0xb01
	v_mul_f64_e32 v[136:137], v[122:123], v[92:93]
	v_mul_f64_e32 v[92:93], v[124:125], v[92:93]
	scratch_load_b128 v[86:89], off, off offset:432
	v_add_f64_e32 v[4:5], v[4:5], v[130:131]
	v_add_f64_e32 v[8:9], v[8:9], v[134:135]
	s_wait_loadcnt_dscnt 0xb00
	v_mul_f64_e32 v[134:135], v[78:79], v[96:97]
	v_mul_f64_e32 v[96:97], v[80:81], v[96:97]
	ds_load_b128 v[130:133], v2 offset:768
	v_fmac_f64_e32 v[136:137], v[124:125], v[90:91]
	v_fma_f64 v[122:123], v[122:123], v[90:91], -v[92:93]
	scratch_load_b128 v[90:93], off, off offset:448
	v_add_f64_e32 v[4:5], v[4:5], v[138:139]
	v_add_f64_e32 v[8:9], v[8:9], v[140:141]
	v_fmac_f64_e32 v[134:135], v[80:81], v[94:95]
	v_fma_f64 v[140:141], v[78:79], v[94:95], -v[96:97]
	ds_load_b128 v[78:81], v2 offset:784
	s_wait_loadcnt_dscnt 0xb01
	v_mul_f64_e32 v[138:139], v[130:131], v[100:101]
	v_mul_f64_e32 v[100:101], v[132:133], v[100:101]
	scratch_load_b128 v[94:97], off, off offset:464
	v_add_f64_e32 v[4:5], v[4:5], v[122:123]
	v_add_f64_e32 v[8:9], v[8:9], v[136:137]
	s_wait_loadcnt_dscnt 0xb00
	v_mul_f64_e32 v[136:137], v[78:79], v[104:105]
	v_mul_f64_e32 v[104:105], v[80:81], v[104:105]
	ds_load_b128 v[122:125], v2 offset:800
	v_fmac_f64_e32 v[138:139], v[132:133], v[98:99]
	v_fma_f64 v[98:99], v[130:131], v[98:99], -v[100:101]
	s_wait_loadcnt_dscnt 0xa00
	v_mul_f64_e32 v[130:131], v[122:123], v[108:109]
	v_mul_f64_e32 v[108:109], v[124:125], v[108:109]
	v_add_f64_e32 v[4:5], v[4:5], v[140:141]
	v_add_f64_e32 v[8:9], v[8:9], v[134:135]
	v_fmac_f64_e32 v[136:137], v[80:81], v[102:103]
	v_fma_f64 v[102:103], v[78:79], v[102:103], -v[104:105]
	v_fmac_f64_e32 v[130:131], v[124:125], v[106:107]
	v_fma_f64 v[106:107], v[122:123], v[106:107], -v[108:109]
	v_add_f64_e32 v[4:5], v[4:5], v[98:99]
	v_add_f64_e32 v[8:9], v[8:9], v[138:139]
	ds_load_b128 v[78:81], v2 offset:816
	ds_load_b128 v[98:101], v2 offset:832
	s_wait_loadcnt_dscnt 0x901
	v_mul_f64_e32 v[132:133], v[78:79], v[116:117]
	v_mul_f64_e32 v[104:105], v[80:81], v[116:117]
	s_wait_loadcnt_dscnt 0x600
	v_mul_f64_e32 v[108:109], v[98:99], v[12:13]
	v_add_f64_e32 v[4:5], v[4:5], v[102:103]
	v_add_f64_e32 v[8:9], v[8:9], v[136:137]
	v_mul_f64_e32 v[12:13], v[100:101], v[12:13]
	v_fmac_f64_e32 v[132:133], v[80:81], v[114:115]
	v_fma_f64 v[114:115], v[78:79], v[114:115], -v[104:105]
	ds_load_b128 v[78:81], v2 offset:848
	ds_load_b128 v[102:105], v2 offset:864
	v_fmac_f64_e32 v[108:109], v[100:101], v[10:11]
	v_add_f64_e32 v[4:5], v[4:5], v[106:107]
	v_add_f64_e32 v[8:9], v[8:9], v[130:131]
	v_fma_f64 v[10:11], v[98:99], v[10:11], -v[12:13]
	s_wait_dscnt 0x1
	v_mul_f64_e32 v[106:107], v[78:79], v[128:129]
	v_mul_f64_e32 v[116:117], v[80:81], v[128:129]
	v_add_f64_e32 v[4:5], v[4:5], v[114:115]
	v_add_f64_e32 v[8:9], v[8:9], v[132:133]
	s_wait_loadcnt_dscnt 0x500
	v_mul_f64_e32 v[12:13], v[102:103], v[76:77]
	v_mul_f64_e32 v[98:99], v[104:105], v[76:77]
	v_fmac_f64_e32 v[106:107], v[80:81], v[126:127]
	v_fma_f64 v[80:81], v[78:79], v[126:127], -v[116:117]
	v_add_f64_e32 v[4:5], v[4:5], v[10:11]
	v_add_f64_e32 v[100:101], v[8:9], v[108:109]
	ds_load_b128 v[8:11], v2 offset:880
	ds_load_b128 v[76:79], v2 offset:896
	v_fmac_f64_e32 v[12:13], v[104:105], v[74:75]
	v_fma_f64 v[74:75], v[102:103], v[74:75], -v[98:99]
	s_wait_loadcnt_dscnt 0x401
	v_mul_f64_e32 v[108:109], v[8:9], v[112:113]
	v_mul_f64_e32 v[112:113], v[10:11], v[112:113]
	s_wait_loadcnt_dscnt 0x300
	v_mul_f64_e32 v[102:103], v[76:77], v[84:85]
	v_mul_f64_e32 v[84:85], v[78:79], v[84:85]
	v_add_f64_e32 v[4:5], v[4:5], v[80:81]
	v_add_f64_e32 v[80:81], v[100:101], v[106:107]
	v_fmac_f64_e32 v[108:109], v[10:11], v[110:111]
	v_fma_f64 v[104:105], v[8:9], v[110:111], -v[112:113]
	ds_load_b128 v[8:11], v2 offset:912
	ds_load_b128 v[98:101], v2 offset:928
	v_fmac_f64_e32 v[102:103], v[78:79], v[82:83]
	v_fma_f64 v[76:77], v[76:77], v[82:83], -v[84:85]
	v_add_f64_e32 v[4:5], v[4:5], v[74:75]
	v_add_f64_e32 v[12:13], v[80:81], v[12:13]
	s_wait_loadcnt_dscnt 0x201
	v_mul_f64_e32 v[74:75], v[8:9], v[88:89]
	v_mul_f64_e32 v[80:81], v[10:11], v[88:89]
	s_wait_loadcnt_dscnt 0x100
	v_mul_f64_e32 v[78:79], v[98:99], v[92:93]
	v_mul_f64_e32 v[82:83], v[100:101], v[92:93]
	v_add_f64_e32 v[4:5], v[4:5], v[104:105]
	v_add_f64_e32 v[12:13], v[12:13], v[108:109]
	v_fmac_f64_e32 v[74:75], v[10:11], v[86:87]
	v_fma_f64 v[80:81], v[8:9], v[86:87], -v[80:81]
	ds_load_b128 v[8:11], v2 offset:944
	v_fmac_f64_e32 v[78:79], v[100:101], v[90:91]
	v_fma_f64 v[82:83], v[98:99], v[90:91], -v[82:83]
	s_wait_loadcnt_dscnt 0x0
	v_mul_f64_e32 v[84:85], v[10:11], v[96:97]
	v_add_f64_e32 v[4:5], v[4:5], v[76:77]
	v_add_f64_e32 v[12:13], v[12:13], v[102:103]
	v_mul_f64_e32 v[76:77], v[8:9], v[96:97]
	s_delay_alu instid0(VALU_DEP_4) | instskip(NEXT) | instid1(VALU_DEP_4)
	v_fma_f64 v[8:9], v[8:9], v[94:95], -v[84:85]
	v_add_f64_e32 v[4:5], v[4:5], v[80:81]
	s_delay_alu instid0(VALU_DEP_4) | instskip(NEXT) | instid1(VALU_DEP_4)
	v_add_f64_e32 v[12:13], v[12:13], v[74:75]
	v_fmac_f64_e32 v[76:77], v[10:11], v[94:95]
	s_delay_alu instid0(VALU_DEP_3) | instskip(NEXT) | instid1(VALU_DEP_3)
	v_add_f64_e32 v[4:5], v[4:5], v[82:83]
	v_add_f64_e32 v[10:11], v[12:13], v[78:79]
	s_delay_alu instid0(VALU_DEP_2) | instskip(NEXT) | instid1(VALU_DEP_2)
	v_add_f64_e32 v[4:5], v[4:5], v[8:9]
	v_add_f64_e32 v[10:11], v[10:11], v[76:77]
	s_delay_alu instid0(VALU_DEP_2) | instskip(NEXT) | instid1(VALU_DEP_2)
	v_add_f64_e64 v[8:9], v[118:119], -v[4:5]
	v_add_f64_e64 v[10:11], v[120:121], -v[10:11]
	scratch_store_b128 off, v[8:11], off offset:160
	s_wait_xcnt 0x0
	v_cmpx_lt_u32_e32 9, v1
	s_cbranch_execz .LBB29_175
; %bb.174:
	scratch_load_b128 v[8:11], off, s30
	v_dual_mov_b32 v3, v2 :: v_dual_mov_b32 v4, v2
	v_mov_b32_e32 v5, v2
	scratch_store_b128 off, v[2:5], off offset:144
	s_wait_loadcnt 0x0
	ds_store_b128 v6, v[8:11]
.LBB29_175:
	s_wait_xcnt 0x0
	s_or_b32 exec_lo, exec_lo, s2
	s_wait_storecnt_dscnt 0x0
	s_barrier_signal -1
	s_barrier_wait -1
	s_clause 0x9
	scratch_load_b128 v[8:11], off, off offset:160
	scratch_load_b128 v[74:77], off, off offset:176
	scratch_load_b128 v[78:81], off, off offset:192
	scratch_load_b128 v[82:85], off, off offset:208
	scratch_load_b128 v[86:89], off, off offset:224
	scratch_load_b128 v[90:93], off, off offset:240
	scratch_load_b128 v[94:97], off, off offset:256
	scratch_load_b128 v[98:101], off, off offset:272
	scratch_load_b128 v[102:105], off, off offset:288
	scratch_load_b128 v[106:109], off, off offset:304
	ds_load_b128 v[110:113], v2 offset:640
	ds_load_b128 v[118:121], v2 offset:656
	s_clause 0x1
	scratch_load_b128 v[114:117], off, off offset:320
	scratch_load_b128 v[122:125], off, off offset:144
	s_mov_b32 s2, exec_lo
	s_wait_loadcnt_dscnt 0xb01
	v_mul_f64_e32 v[4:5], v[112:113], v[10:11]
	v_mul_f64_e32 v[134:135], v[110:111], v[10:11]
	scratch_load_b128 v[10:13], off, off offset:336
	s_wait_loadcnt_dscnt 0xb00
	v_mul_f64_e32 v[136:137], v[118:119], v[76:77]
	v_mul_f64_e32 v[76:77], v[120:121], v[76:77]
	v_fma_f64 v[4:5], v[110:111], v[8:9], -v[4:5]
	v_fmac_f64_e32 v[134:135], v[112:113], v[8:9]
	ds_load_b128 v[110:113], v2 offset:672
	ds_load_b128 v[126:129], v2 offset:688
	scratch_load_b128 v[130:133], off, off offset:352
	v_fmac_f64_e32 v[136:137], v[120:121], v[74:75]
	v_fma_f64 v[118:119], v[118:119], v[74:75], -v[76:77]
	scratch_load_b128 v[74:77], off, off offset:368
	s_wait_loadcnt_dscnt 0xc01
	v_mul_f64_e32 v[8:9], v[110:111], v[80:81]
	v_mul_f64_e32 v[80:81], v[112:113], v[80:81]
	v_add_f64_e32 v[4:5], 0, v[4:5]
	v_add_f64_e32 v[120:121], 0, v[134:135]
	s_wait_loadcnt_dscnt 0xb00
	v_mul_f64_e32 v[134:135], v[126:127], v[84:85]
	v_mul_f64_e32 v[84:85], v[128:129], v[84:85]
	v_fmac_f64_e32 v[8:9], v[112:113], v[78:79]
	v_fma_f64 v[138:139], v[110:111], v[78:79], -v[80:81]
	ds_load_b128 v[78:81], v2 offset:704
	ds_load_b128 v[110:113], v2 offset:720
	v_add_f64_e32 v[4:5], v[4:5], v[118:119]
	v_add_f64_e32 v[136:137], v[120:121], v[136:137]
	scratch_load_b128 v[118:121], off, off offset:384
	v_fmac_f64_e32 v[134:135], v[128:129], v[82:83]
	v_fma_f64 v[126:127], v[126:127], v[82:83], -v[84:85]
	scratch_load_b128 v[82:85], off, off offset:400
	s_wait_loadcnt_dscnt 0xc01
	v_mul_f64_e32 v[140:141], v[78:79], v[88:89]
	v_mul_f64_e32 v[88:89], v[80:81], v[88:89]
	v_add_f64_e32 v[4:5], v[4:5], v[138:139]
	v_add_f64_e32 v[8:9], v[136:137], v[8:9]
	s_wait_loadcnt_dscnt 0xb00
	v_mul_f64_e32 v[136:137], v[110:111], v[92:93]
	v_mul_f64_e32 v[92:93], v[112:113], v[92:93]
	v_fmac_f64_e32 v[140:141], v[80:81], v[86:87]
	v_fma_f64 v[138:139], v[78:79], v[86:87], -v[88:89]
	ds_load_b128 v[78:81], v2 offset:736
	ds_load_b128 v[86:89], v2 offset:752
	v_add_f64_e32 v[4:5], v[4:5], v[126:127]
	v_add_f64_e32 v[8:9], v[8:9], v[134:135]
	scratch_load_b128 v[126:129], off, off offset:416
	s_wait_loadcnt_dscnt 0xb01
	v_mul_f64_e32 v[134:135], v[78:79], v[96:97]
	v_mul_f64_e32 v[96:97], v[80:81], v[96:97]
	v_fmac_f64_e32 v[136:137], v[112:113], v[90:91]
	v_fma_f64 v[110:111], v[110:111], v[90:91], -v[92:93]
	scratch_load_b128 v[90:93], off, off offset:432
	v_add_f64_e32 v[4:5], v[4:5], v[138:139]
	v_add_f64_e32 v[8:9], v[8:9], v[140:141]
	s_wait_loadcnt_dscnt 0xb00
	v_mul_f64_e32 v[138:139], v[86:87], v[100:101]
	v_mul_f64_e32 v[100:101], v[88:89], v[100:101]
	v_fmac_f64_e32 v[134:135], v[80:81], v[94:95]
	v_fma_f64 v[140:141], v[78:79], v[94:95], -v[96:97]
	ds_load_b128 v[78:81], v2 offset:768
	ds_load_b128 v[94:97], v2 offset:784
	v_add_f64_e32 v[4:5], v[4:5], v[110:111]
	v_add_f64_e32 v[8:9], v[8:9], v[136:137]
	scratch_load_b128 v[110:113], off, off offset:448
	s_wait_loadcnt_dscnt 0xb01
	v_mul_f64_e32 v[136:137], v[78:79], v[104:105]
	v_mul_f64_e32 v[104:105], v[80:81], v[104:105]
	v_fmac_f64_e32 v[138:139], v[88:89], v[98:99]
	v_fma_f64 v[98:99], v[86:87], v[98:99], -v[100:101]
	scratch_load_b128 v[86:89], off, off offset:464
	v_add_f64_e32 v[4:5], v[4:5], v[140:141]
	v_add_f64_e32 v[8:9], v[8:9], v[134:135]
	s_wait_loadcnt_dscnt 0xb00
	v_mul_f64_e32 v[134:135], v[94:95], v[108:109]
	v_mul_f64_e32 v[108:109], v[96:97], v[108:109]
	v_fmac_f64_e32 v[136:137], v[80:81], v[102:103]
	v_fma_f64 v[102:103], v[78:79], v[102:103], -v[104:105]
	v_add_f64_e32 v[4:5], v[4:5], v[98:99]
	v_add_f64_e32 v[8:9], v[8:9], v[138:139]
	ds_load_b128 v[78:81], v2 offset:800
	ds_load_b128 v[98:101], v2 offset:816
	v_fmac_f64_e32 v[134:135], v[96:97], v[106:107]
	v_fma_f64 v[94:95], v[94:95], v[106:107], -v[108:109]
	s_wait_loadcnt_dscnt 0xa01
	v_mul_f64_e32 v[104:105], v[78:79], v[116:117]
	v_mul_f64_e32 v[116:117], v[80:81], v[116:117]
	v_add_f64_e32 v[4:5], v[4:5], v[102:103]
	v_add_f64_e32 v[8:9], v[8:9], v[136:137]
	s_wait_loadcnt_dscnt 0x800
	v_mul_f64_e32 v[102:103], v[98:99], v[12:13]
	v_mul_f64_e32 v[12:13], v[100:101], v[12:13]
	v_fmac_f64_e32 v[104:105], v[80:81], v[114:115]
	v_fma_f64 v[106:107], v[78:79], v[114:115], -v[116:117]
	v_add_f64_e32 v[4:5], v[4:5], v[94:95]
	v_add_f64_e32 v[8:9], v[8:9], v[134:135]
	ds_load_b128 v[78:81], v2 offset:832
	ds_load_b128 v[94:97], v2 offset:848
	v_fmac_f64_e32 v[102:103], v[100:101], v[10:11]
	v_fma_f64 v[10:11], v[98:99], v[10:11], -v[12:13]
	s_wait_loadcnt_dscnt 0x701
	v_mul_f64_e32 v[108:109], v[78:79], v[132:133]
	v_mul_f64_e32 v[114:115], v[80:81], v[132:133]
	s_wait_loadcnt_dscnt 0x600
	v_mul_f64_e32 v[12:13], v[94:95], v[76:77]
	v_mul_f64_e32 v[98:99], v[96:97], v[76:77]
	v_add_f64_e32 v[4:5], v[4:5], v[106:107]
	v_add_f64_e32 v[8:9], v[8:9], v[104:105]
	v_fmac_f64_e32 v[108:109], v[80:81], v[130:131]
	v_fma_f64 v[80:81], v[78:79], v[130:131], -v[114:115]
	v_fmac_f64_e32 v[12:13], v[96:97], v[74:75]
	v_fma_f64 v[74:75], v[94:95], v[74:75], -v[98:99]
	v_add_f64_e32 v[4:5], v[4:5], v[10:11]
	v_add_f64_e32 v[100:101], v[8:9], v[102:103]
	ds_load_b128 v[8:11], v2 offset:864
	ds_load_b128 v[76:79], v2 offset:880
	s_wait_loadcnt_dscnt 0x501
	v_mul_f64_e32 v[102:103], v[8:9], v[120:121]
	v_mul_f64_e32 v[104:105], v[10:11], v[120:121]
	s_wait_loadcnt_dscnt 0x400
	v_mul_f64_e32 v[98:99], v[76:77], v[84:85]
	v_mul_f64_e32 v[84:85], v[78:79], v[84:85]
	v_add_f64_e32 v[4:5], v[4:5], v[80:81]
	v_add_f64_e32 v[80:81], v[100:101], v[108:109]
	v_fmac_f64_e32 v[102:103], v[10:11], v[118:119]
	v_fma_f64 v[100:101], v[8:9], v[118:119], -v[104:105]
	ds_load_b128 v[8:11], v2 offset:896
	ds_load_b128 v[94:97], v2 offset:912
	v_fmac_f64_e32 v[98:99], v[78:79], v[82:83]
	v_fma_f64 v[76:77], v[76:77], v[82:83], -v[84:85]
	v_add_f64_e32 v[4:5], v[4:5], v[74:75]
	v_add_f64_e32 v[12:13], v[80:81], v[12:13]
	s_wait_loadcnt_dscnt 0x301
	v_mul_f64_e32 v[74:75], v[8:9], v[128:129]
	v_mul_f64_e32 v[80:81], v[10:11], v[128:129]
	s_wait_loadcnt_dscnt 0x200
	v_mul_f64_e32 v[78:79], v[94:95], v[92:93]
	v_mul_f64_e32 v[82:83], v[96:97], v[92:93]
	v_add_f64_e32 v[4:5], v[4:5], v[100:101]
	v_add_f64_e32 v[12:13], v[12:13], v[102:103]
	v_fmac_f64_e32 v[74:75], v[10:11], v[126:127]
	v_fma_f64 v[80:81], v[8:9], v[126:127], -v[80:81]
	v_fmac_f64_e32 v[78:79], v[96:97], v[90:91]
	v_fma_f64 v[82:83], v[94:95], v[90:91], -v[82:83]
	v_add_f64_e32 v[76:77], v[4:5], v[76:77]
	v_add_f64_e32 v[12:13], v[12:13], v[98:99]
	ds_load_b128 v[8:11], v2 offset:928
	ds_load_b128 v[2:5], v2 offset:944
	s_wait_loadcnt_dscnt 0x101
	v_mul_f64_e32 v[84:85], v[8:9], v[112:113]
	v_mul_f64_e32 v[92:93], v[10:11], v[112:113]
	v_add_f64_e32 v[76:77], v[76:77], v[80:81]
	v_add_f64_e32 v[12:13], v[12:13], v[74:75]
	s_wait_loadcnt_dscnt 0x0
	v_mul_f64_e32 v[74:75], v[2:3], v[88:89]
	v_mul_f64_e32 v[80:81], v[4:5], v[88:89]
	v_fmac_f64_e32 v[84:85], v[10:11], v[110:111]
	v_fma_f64 v[8:9], v[8:9], v[110:111], -v[92:93]
	v_add_f64_e32 v[10:11], v[76:77], v[82:83]
	v_add_f64_e32 v[12:13], v[12:13], v[78:79]
	v_fmac_f64_e32 v[74:75], v[4:5], v[86:87]
	v_fma_f64 v[2:3], v[2:3], v[86:87], -v[80:81]
	s_delay_alu instid0(VALU_DEP_4) | instskip(NEXT) | instid1(VALU_DEP_4)
	v_add_f64_e32 v[4:5], v[10:11], v[8:9]
	v_add_f64_e32 v[8:9], v[12:13], v[84:85]
	s_delay_alu instid0(VALU_DEP_2) | instskip(NEXT) | instid1(VALU_DEP_2)
	v_add_f64_e32 v[2:3], v[4:5], v[2:3]
	v_add_f64_e32 v[4:5], v[8:9], v[74:75]
	s_delay_alu instid0(VALU_DEP_2) | instskip(NEXT) | instid1(VALU_DEP_2)
	v_add_f64_e64 v[2:3], v[122:123], -v[2:3]
	v_add_f64_e64 v[4:5], v[124:125], -v[4:5]
	scratch_store_b128 off, v[2:5], off offset:144
	s_wait_xcnt 0x0
	v_cmpx_lt_u32_e32 8, v1
	s_cbranch_execz .LBB29_177
; %bb.176:
	scratch_load_b128 v[2:5], off, s29
	v_mov_b32_e32 v8, 0
	s_delay_alu instid0(VALU_DEP_1)
	v_dual_mov_b32 v9, v8 :: v_dual_mov_b32 v10, v8
	v_mov_b32_e32 v11, v8
	scratch_store_b128 off, v[8:11], off offset:128
	s_wait_loadcnt 0x0
	ds_store_b128 v6, v[2:5]
.LBB29_177:
	s_wait_xcnt 0x0
	s_or_b32 exec_lo, exec_lo, s2
	s_wait_storecnt_dscnt 0x0
	s_barrier_signal -1
	s_barrier_wait -1
	s_clause 0x9
	scratch_load_b128 v[8:11], off, off offset:144
	scratch_load_b128 v[74:77], off, off offset:160
	;; [unrolled: 1-line block ×10, first 2 shown]
	v_mov_b32_e32 v2, 0
	s_mov_b32 s2, exec_lo
	ds_load_b128 v[110:113], v2 offset:624
	s_clause 0x2
	scratch_load_b128 v[114:117], off, off offset:304
	scratch_load_b128 v[118:121], off, off offset:128
	;; [unrolled: 1-line block ×3, first 2 shown]
	s_wait_loadcnt_dscnt 0xc00
	v_mul_f64_e32 v[4:5], v[112:113], v[10:11]
	v_mul_f64_e32 v[134:135], v[110:111], v[10:11]
	ds_load_b128 v[122:125], v2 offset:640
	scratch_load_b128 v[10:13], off, off offset:320
	ds_load_b128 v[130:133], v2 offset:672
	v_fma_f64 v[4:5], v[110:111], v[8:9], -v[4:5]
	v_fmac_f64_e32 v[134:135], v[112:113], v[8:9]
	ds_load_b128 v[110:113], v2 offset:656
	s_wait_loadcnt_dscnt 0xc02
	v_mul_f64_e32 v[136:137], v[122:123], v[76:77]
	v_mul_f64_e32 v[76:77], v[124:125], v[76:77]
	s_wait_loadcnt_dscnt 0xb00
	v_mul_f64_e32 v[8:9], v[110:111], v[80:81]
	v_mul_f64_e32 v[80:81], v[112:113], v[80:81]
	v_add_f64_e32 v[4:5], 0, v[4:5]
	v_fmac_f64_e32 v[136:137], v[124:125], v[74:75]
	v_fma_f64 v[122:123], v[122:123], v[74:75], -v[76:77]
	v_add_f64_e32 v[124:125], 0, v[134:135]
	scratch_load_b128 v[74:77], off, off offset:352
	v_fmac_f64_e32 v[8:9], v[112:113], v[78:79]
	v_fma_f64 v[138:139], v[110:111], v[78:79], -v[80:81]
	ds_load_b128 v[78:81], v2 offset:688
	s_wait_loadcnt 0xb
	v_mul_f64_e32 v[134:135], v[130:131], v[84:85]
	v_mul_f64_e32 v[84:85], v[132:133], v[84:85]
	scratch_load_b128 v[110:113], off, off offset:368
	v_add_f64_e32 v[4:5], v[4:5], v[122:123]
	v_add_f64_e32 v[136:137], v[124:125], v[136:137]
	ds_load_b128 v[122:125], v2 offset:704
	s_wait_loadcnt_dscnt 0xb01
	v_mul_f64_e32 v[140:141], v[78:79], v[88:89]
	v_mul_f64_e32 v[88:89], v[80:81], v[88:89]
	v_fmac_f64_e32 v[134:135], v[132:133], v[82:83]
	v_fma_f64 v[130:131], v[130:131], v[82:83], -v[84:85]
	scratch_load_b128 v[82:85], off, off offset:384
	v_add_f64_e32 v[4:5], v[4:5], v[138:139]
	v_add_f64_e32 v[8:9], v[136:137], v[8:9]
	v_fmac_f64_e32 v[140:141], v[80:81], v[86:87]
	v_fma_f64 v[138:139], v[78:79], v[86:87], -v[88:89]
	ds_load_b128 v[78:81], v2 offset:720
	s_wait_loadcnt_dscnt 0xb01
	v_mul_f64_e32 v[136:137], v[122:123], v[92:93]
	v_mul_f64_e32 v[92:93], v[124:125], v[92:93]
	scratch_load_b128 v[86:89], off, off offset:400
	v_add_f64_e32 v[4:5], v[4:5], v[130:131]
	v_add_f64_e32 v[8:9], v[8:9], v[134:135]
	s_wait_loadcnt_dscnt 0xb00
	v_mul_f64_e32 v[134:135], v[78:79], v[96:97]
	v_mul_f64_e32 v[96:97], v[80:81], v[96:97]
	ds_load_b128 v[130:133], v2 offset:736
	v_fmac_f64_e32 v[136:137], v[124:125], v[90:91]
	v_fma_f64 v[122:123], v[122:123], v[90:91], -v[92:93]
	scratch_load_b128 v[90:93], off, off offset:416
	v_add_f64_e32 v[4:5], v[4:5], v[138:139]
	v_add_f64_e32 v[8:9], v[8:9], v[140:141]
	v_fmac_f64_e32 v[134:135], v[80:81], v[94:95]
	v_fma_f64 v[140:141], v[78:79], v[94:95], -v[96:97]
	ds_load_b128 v[78:81], v2 offset:752
	s_wait_loadcnt_dscnt 0xb01
	v_mul_f64_e32 v[138:139], v[130:131], v[100:101]
	v_mul_f64_e32 v[100:101], v[132:133], v[100:101]
	scratch_load_b128 v[94:97], off, off offset:432
	v_add_f64_e32 v[4:5], v[4:5], v[122:123]
	v_add_f64_e32 v[8:9], v[8:9], v[136:137]
	s_wait_loadcnt_dscnt 0xb00
	v_mul_f64_e32 v[136:137], v[78:79], v[104:105]
	v_mul_f64_e32 v[104:105], v[80:81], v[104:105]
	ds_load_b128 v[122:125], v2 offset:768
	;; [unrolled: 18-line block ×3, first 2 shown]
	v_fmac_f64_e32 v[134:135], v[124:125], v[106:107]
	v_fma_f64 v[106:107], v[122:123], v[106:107], -v[108:109]
	s_wait_loadcnt_dscnt 0x800
	v_mul_f64_e32 v[122:123], v[130:131], v[12:13]
	v_add_f64_e32 v[4:5], v[4:5], v[140:141]
	v_add_f64_e32 v[8:9], v[8:9], v[136:137]
	v_mul_f64_e32 v[12:13], v[132:133], v[12:13]
	v_fmac_f64_e32 v[138:139], v[80:81], v[114:115]
	v_fma_f64 v[114:115], v[78:79], v[114:115], -v[116:117]
	v_fmac_f64_e32 v[122:123], v[132:133], v[10:11]
	v_add_f64_e32 v[4:5], v[4:5], v[106:107]
	v_add_f64_e32 v[8:9], v[8:9], v[134:135]
	ds_load_b128 v[78:81], v2 offset:816
	ds_load_b128 v[106:109], v2 offset:832
	v_fma_f64 v[10:11], v[130:131], v[10:11], -v[12:13]
	s_wait_dscnt 0x1
	v_mul_f64_e32 v[116:117], v[78:79], v[128:129]
	v_mul_f64_e32 v[124:125], v[80:81], v[128:129]
	v_add_f64_e32 v[4:5], v[4:5], v[114:115]
	v_add_f64_e32 v[8:9], v[8:9], v[138:139]
	s_wait_loadcnt_dscnt 0x700
	v_mul_f64_e32 v[12:13], v[106:107], v[76:77]
	v_mul_f64_e32 v[114:115], v[108:109], v[76:77]
	v_fmac_f64_e32 v[116:117], v[80:81], v[126:127]
	v_fma_f64 v[80:81], v[78:79], v[126:127], -v[124:125]
	v_add_f64_e32 v[4:5], v[4:5], v[10:11]
	v_add_f64_e32 v[122:123], v[8:9], v[122:123]
	ds_load_b128 v[8:11], v2 offset:848
	ds_load_b128 v[76:79], v2 offset:864
	v_fmac_f64_e32 v[12:13], v[108:109], v[74:75]
	v_fma_f64 v[74:75], v[106:107], v[74:75], -v[114:115]
	s_wait_loadcnt_dscnt 0x601
	v_mul_f64_e32 v[124:125], v[8:9], v[112:113]
	v_mul_f64_e32 v[112:113], v[10:11], v[112:113]
	s_wait_loadcnt_dscnt 0x500
	v_mul_f64_e32 v[114:115], v[76:77], v[84:85]
	v_mul_f64_e32 v[84:85], v[78:79], v[84:85]
	v_add_f64_e32 v[4:5], v[4:5], v[80:81]
	v_add_f64_e32 v[80:81], v[122:123], v[116:117]
	v_fmac_f64_e32 v[124:125], v[10:11], v[110:111]
	v_fma_f64 v[110:111], v[8:9], v[110:111], -v[112:113]
	ds_load_b128 v[8:11], v2 offset:880
	ds_load_b128 v[106:109], v2 offset:896
	v_fmac_f64_e32 v[114:115], v[78:79], v[82:83]
	v_fma_f64 v[76:77], v[76:77], v[82:83], -v[84:85]
	v_add_f64_e32 v[4:5], v[4:5], v[74:75]
	v_add_f64_e32 v[12:13], v[80:81], v[12:13]
	s_wait_loadcnt_dscnt 0x401
	v_mul_f64_e32 v[80:81], v[8:9], v[88:89]
	v_mul_f64_e32 v[74:75], v[10:11], v[88:89]
	s_wait_loadcnt_dscnt 0x300
	v_mul_f64_e32 v[78:79], v[106:107], v[92:93]
	v_mul_f64_e32 v[82:83], v[108:109], v[92:93]
	v_add_f64_e32 v[4:5], v[4:5], v[110:111]
	v_add_f64_e32 v[12:13], v[12:13], v[124:125]
	v_fmac_f64_e32 v[80:81], v[10:11], v[86:87]
	v_fma_f64 v[84:85], v[8:9], v[86:87], -v[74:75]
	v_fmac_f64_e32 v[78:79], v[108:109], v[90:91]
	v_fma_f64 v[82:83], v[106:107], v[90:91], -v[82:83]
	v_add_f64_e32 v[4:5], v[4:5], v[76:77]
	v_add_f64_e32 v[12:13], v[12:13], v[114:115]
	ds_load_b128 v[8:11], v2 offset:912
	ds_load_b128 v[74:77], v2 offset:928
	s_wait_loadcnt_dscnt 0x201
	v_mul_f64_e32 v[86:87], v[8:9], v[96:97]
	v_mul_f64_e32 v[88:89], v[10:11], v[96:97]
	v_add_f64_e32 v[4:5], v[4:5], v[84:85]
	v_add_f64_e32 v[12:13], v[12:13], v[80:81]
	s_wait_loadcnt_dscnt 0x100
	v_mul_f64_e32 v[80:81], v[74:75], v[100:101]
	v_mul_f64_e32 v[84:85], v[76:77], v[100:101]
	v_fmac_f64_e32 v[86:87], v[10:11], v[94:95]
	v_fma_f64 v[88:89], v[8:9], v[94:95], -v[88:89]
	ds_load_b128 v[8:11], v2 offset:944
	v_add_f64_e32 v[4:5], v[4:5], v[82:83]
	v_add_f64_e32 v[12:13], v[12:13], v[78:79]
	v_fmac_f64_e32 v[80:81], v[76:77], v[98:99]
	v_fma_f64 v[74:75], v[74:75], v[98:99], -v[84:85]
	s_wait_loadcnt_dscnt 0x0
	v_mul_f64_e32 v[78:79], v[8:9], v[104:105]
	v_mul_f64_e32 v[82:83], v[10:11], v[104:105]
	v_add_f64_e32 v[4:5], v[4:5], v[88:89]
	v_add_f64_e32 v[12:13], v[12:13], v[86:87]
	s_delay_alu instid0(VALU_DEP_4) | instskip(NEXT) | instid1(VALU_DEP_4)
	v_fmac_f64_e32 v[78:79], v[10:11], v[102:103]
	v_fma_f64 v[8:9], v[8:9], v[102:103], -v[82:83]
	s_delay_alu instid0(VALU_DEP_4) | instskip(NEXT) | instid1(VALU_DEP_4)
	v_add_f64_e32 v[4:5], v[4:5], v[74:75]
	v_add_f64_e32 v[10:11], v[12:13], v[80:81]
	s_delay_alu instid0(VALU_DEP_2) | instskip(NEXT) | instid1(VALU_DEP_2)
	v_add_f64_e32 v[4:5], v[4:5], v[8:9]
	v_add_f64_e32 v[10:11], v[10:11], v[78:79]
	s_delay_alu instid0(VALU_DEP_2) | instskip(NEXT) | instid1(VALU_DEP_2)
	v_add_f64_e64 v[8:9], v[118:119], -v[4:5]
	v_add_f64_e64 v[10:11], v[120:121], -v[10:11]
	scratch_store_b128 off, v[8:11], off offset:128
	s_wait_xcnt 0x0
	v_cmpx_lt_u32_e32 7, v1
	s_cbranch_execz .LBB29_179
; %bb.178:
	scratch_load_b128 v[8:11], off, s38
	v_dual_mov_b32 v3, v2 :: v_dual_mov_b32 v4, v2
	v_mov_b32_e32 v5, v2
	scratch_store_b128 off, v[2:5], off offset:112
	s_wait_loadcnt 0x0
	ds_store_b128 v6, v[8:11]
.LBB29_179:
	s_wait_xcnt 0x0
	s_or_b32 exec_lo, exec_lo, s2
	s_wait_storecnt_dscnt 0x0
	s_barrier_signal -1
	s_barrier_wait -1
	s_clause 0x9
	scratch_load_b128 v[8:11], off, off offset:128
	scratch_load_b128 v[74:77], off, off offset:144
	;; [unrolled: 1-line block ×10, first 2 shown]
	ds_load_b128 v[110:113], v2 offset:608
	ds_load_b128 v[118:121], v2 offset:624
	s_clause 0x1
	scratch_load_b128 v[114:117], off, off offset:288
	scratch_load_b128 v[122:125], off, off offset:112
	s_mov_b32 s2, exec_lo
	s_wait_loadcnt_dscnt 0xb01
	v_mul_f64_e32 v[4:5], v[112:113], v[10:11]
	v_mul_f64_e32 v[134:135], v[110:111], v[10:11]
	scratch_load_b128 v[10:13], off, off offset:304
	s_wait_loadcnt_dscnt 0xb00
	v_mul_f64_e32 v[136:137], v[118:119], v[76:77]
	v_mul_f64_e32 v[76:77], v[120:121], v[76:77]
	v_fma_f64 v[4:5], v[110:111], v[8:9], -v[4:5]
	v_fmac_f64_e32 v[134:135], v[112:113], v[8:9]
	ds_load_b128 v[110:113], v2 offset:640
	ds_load_b128 v[126:129], v2 offset:656
	scratch_load_b128 v[130:133], off, off offset:320
	v_fmac_f64_e32 v[136:137], v[120:121], v[74:75]
	v_fma_f64 v[118:119], v[118:119], v[74:75], -v[76:77]
	scratch_load_b128 v[74:77], off, off offset:336
	s_wait_loadcnt_dscnt 0xc01
	v_mul_f64_e32 v[8:9], v[110:111], v[80:81]
	v_mul_f64_e32 v[80:81], v[112:113], v[80:81]
	v_add_f64_e32 v[4:5], 0, v[4:5]
	v_add_f64_e32 v[120:121], 0, v[134:135]
	s_wait_loadcnt_dscnt 0xb00
	v_mul_f64_e32 v[134:135], v[126:127], v[84:85]
	v_mul_f64_e32 v[84:85], v[128:129], v[84:85]
	v_fmac_f64_e32 v[8:9], v[112:113], v[78:79]
	v_fma_f64 v[138:139], v[110:111], v[78:79], -v[80:81]
	ds_load_b128 v[78:81], v2 offset:672
	ds_load_b128 v[110:113], v2 offset:688
	v_add_f64_e32 v[4:5], v[4:5], v[118:119]
	v_add_f64_e32 v[136:137], v[120:121], v[136:137]
	scratch_load_b128 v[118:121], off, off offset:352
	v_fmac_f64_e32 v[134:135], v[128:129], v[82:83]
	v_fma_f64 v[126:127], v[126:127], v[82:83], -v[84:85]
	scratch_load_b128 v[82:85], off, off offset:368
	s_wait_loadcnt_dscnt 0xc01
	v_mul_f64_e32 v[140:141], v[78:79], v[88:89]
	v_mul_f64_e32 v[88:89], v[80:81], v[88:89]
	v_add_f64_e32 v[4:5], v[4:5], v[138:139]
	v_add_f64_e32 v[8:9], v[136:137], v[8:9]
	s_wait_loadcnt_dscnt 0xb00
	v_mul_f64_e32 v[136:137], v[110:111], v[92:93]
	v_mul_f64_e32 v[92:93], v[112:113], v[92:93]
	v_fmac_f64_e32 v[140:141], v[80:81], v[86:87]
	v_fma_f64 v[138:139], v[78:79], v[86:87], -v[88:89]
	ds_load_b128 v[78:81], v2 offset:704
	ds_load_b128 v[86:89], v2 offset:720
	v_add_f64_e32 v[4:5], v[4:5], v[126:127]
	v_add_f64_e32 v[8:9], v[8:9], v[134:135]
	scratch_load_b128 v[126:129], off, off offset:384
	s_wait_loadcnt_dscnt 0xb01
	v_mul_f64_e32 v[134:135], v[78:79], v[96:97]
	v_mul_f64_e32 v[96:97], v[80:81], v[96:97]
	v_fmac_f64_e32 v[136:137], v[112:113], v[90:91]
	v_fma_f64 v[110:111], v[110:111], v[90:91], -v[92:93]
	scratch_load_b128 v[90:93], off, off offset:400
	v_add_f64_e32 v[4:5], v[4:5], v[138:139]
	v_add_f64_e32 v[8:9], v[8:9], v[140:141]
	s_wait_loadcnt_dscnt 0xb00
	v_mul_f64_e32 v[138:139], v[86:87], v[100:101]
	v_mul_f64_e32 v[100:101], v[88:89], v[100:101]
	v_fmac_f64_e32 v[134:135], v[80:81], v[94:95]
	v_fma_f64 v[140:141], v[78:79], v[94:95], -v[96:97]
	ds_load_b128 v[78:81], v2 offset:736
	ds_load_b128 v[94:97], v2 offset:752
	v_add_f64_e32 v[4:5], v[4:5], v[110:111]
	v_add_f64_e32 v[8:9], v[8:9], v[136:137]
	scratch_load_b128 v[110:113], off, off offset:416
	s_wait_loadcnt_dscnt 0xb01
	v_mul_f64_e32 v[136:137], v[78:79], v[104:105]
	v_mul_f64_e32 v[104:105], v[80:81], v[104:105]
	v_fmac_f64_e32 v[138:139], v[88:89], v[98:99]
	v_fma_f64 v[98:99], v[86:87], v[98:99], -v[100:101]
	scratch_load_b128 v[86:89], off, off offset:432
	v_add_f64_e32 v[4:5], v[4:5], v[140:141]
	v_add_f64_e32 v[8:9], v[8:9], v[134:135]
	s_wait_loadcnt_dscnt 0xb00
	v_mul_f64_e32 v[134:135], v[94:95], v[108:109]
	v_mul_f64_e32 v[108:109], v[96:97], v[108:109]
	v_fmac_f64_e32 v[136:137], v[80:81], v[102:103]
	v_fma_f64 v[140:141], v[78:79], v[102:103], -v[104:105]
	v_add_f64_e32 v[4:5], v[4:5], v[98:99]
	v_add_f64_e32 v[8:9], v[8:9], v[138:139]
	ds_load_b128 v[78:81], v2 offset:768
	ds_load_b128 v[98:101], v2 offset:784
	scratch_load_b128 v[102:105], off, off offset:448
	v_fmac_f64_e32 v[134:135], v[96:97], v[106:107]
	v_fma_f64 v[106:107], v[94:95], v[106:107], -v[108:109]
	scratch_load_b128 v[94:97], off, off offset:464
	s_wait_loadcnt_dscnt 0xc01
	v_mul_f64_e32 v[138:139], v[78:79], v[116:117]
	v_mul_f64_e32 v[116:117], v[80:81], v[116:117]
	v_add_f64_e32 v[4:5], v[4:5], v[140:141]
	v_add_f64_e32 v[8:9], v[8:9], v[136:137]
	s_wait_loadcnt_dscnt 0xa00
	v_mul_f64_e32 v[136:137], v[98:99], v[12:13]
	v_mul_f64_e32 v[12:13], v[100:101], v[12:13]
	v_fmac_f64_e32 v[138:139], v[80:81], v[114:115]
	v_fma_f64 v[114:115], v[78:79], v[114:115], -v[116:117]
	v_add_f64_e32 v[4:5], v[4:5], v[106:107]
	v_add_f64_e32 v[8:9], v[8:9], v[134:135]
	ds_load_b128 v[78:81], v2 offset:800
	ds_load_b128 v[106:109], v2 offset:816
	v_fmac_f64_e32 v[136:137], v[100:101], v[10:11]
	v_fma_f64 v[10:11], v[98:99], v[10:11], -v[12:13]
	s_wait_loadcnt_dscnt 0x901
	v_mul_f64_e32 v[116:117], v[78:79], v[132:133]
	v_mul_f64_e32 v[132:133], v[80:81], v[132:133]
	s_wait_loadcnt_dscnt 0x800
	v_mul_f64_e32 v[12:13], v[106:107], v[76:77]
	v_mul_f64_e32 v[98:99], v[108:109], v[76:77]
	v_add_f64_e32 v[4:5], v[4:5], v[114:115]
	v_add_f64_e32 v[8:9], v[8:9], v[138:139]
	v_fmac_f64_e32 v[116:117], v[80:81], v[130:131]
	v_fma_f64 v[80:81], v[78:79], v[130:131], -v[132:133]
	v_fmac_f64_e32 v[12:13], v[108:109], v[74:75]
	v_fma_f64 v[74:75], v[106:107], v[74:75], -v[98:99]
	v_add_f64_e32 v[4:5], v[4:5], v[10:11]
	v_add_f64_e32 v[100:101], v[8:9], v[136:137]
	ds_load_b128 v[8:11], v2 offset:832
	ds_load_b128 v[76:79], v2 offset:848
	s_wait_loadcnt_dscnt 0x701
	v_mul_f64_e32 v[114:115], v[8:9], v[120:121]
	v_mul_f64_e32 v[120:121], v[10:11], v[120:121]
	s_wait_loadcnt_dscnt 0x600
	v_mul_f64_e32 v[106:107], v[76:77], v[84:85]
	v_mul_f64_e32 v[84:85], v[78:79], v[84:85]
	v_add_f64_e32 v[4:5], v[4:5], v[80:81]
	v_add_f64_e32 v[80:81], v[100:101], v[116:117]
	v_fmac_f64_e32 v[114:115], v[10:11], v[118:119]
	v_fma_f64 v[108:109], v[8:9], v[118:119], -v[120:121]
	ds_load_b128 v[8:11], v2 offset:864
	ds_load_b128 v[98:101], v2 offset:880
	v_fmac_f64_e32 v[106:107], v[78:79], v[82:83]
	v_fma_f64 v[76:77], v[76:77], v[82:83], -v[84:85]
	v_add_f64_e32 v[4:5], v[4:5], v[74:75]
	v_add_f64_e32 v[12:13], v[80:81], v[12:13]
	s_wait_loadcnt_dscnt 0x501
	v_mul_f64_e32 v[80:81], v[8:9], v[128:129]
	v_mul_f64_e32 v[74:75], v[10:11], v[128:129]
	s_wait_loadcnt_dscnt 0x400
	v_mul_f64_e32 v[78:79], v[98:99], v[92:93]
	v_mul_f64_e32 v[82:83], v[100:101], v[92:93]
	v_add_f64_e32 v[4:5], v[4:5], v[108:109]
	v_add_f64_e32 v[12:13], v[12:13], v[114:115]
	v_fmac_f64_e32 v[80:81], v[10:11], v[126:127]
	v_fma_f64 v[84:85], v[8:9], v[126:127], -v[74:75]
	v_fmac_f64_e32 v[78:79], v[100:101], v[90:91]
	v_fma_f64 v[82:83], v[98:99], v[90:91], -v[82:83]
	v_add_f64_e32 v[4:5], v[4:5], v[76:77]
	v_add_f64_e32 v[12:13], v[12:13], v[106:107]
	ds_load_b128 v[8:11], v2 offset:896
	ds_load_b128 v[74:77], v2 offset:912
	s_wait_loadcnt_dscnt 0x301
	v_mul_f64_e32 v[92:93], v[8:9], v[112:113]
	v_mul_f64_e32 v[106:107], v[10:11], v[112:113]
	v_add_f64_e32 v[4:5], v[4:5], v[84:85]
	v_add_f64_e32 v[12:13], v[12:13], v[80:81]
	s_wait_loadcnt_dscnt 0x200
	v_mul_f64_e32 v[80:81], v[74:75], v[88:89]
	v_mul_f64_e32 v[84:85], v[76:77], v[88:89]
	v_fmac_f64_e32 v[92:93], v[10:11], v[110:111]
	v_fma_f64 v[88:89], v[8:9], v[110:111], -v[106:107]
	v_add_f64_e32 v[82:83], v[4:5], v[82:83]
	v_add_f64_e32 v[12:13], v[12:13], v[78:79]
	ds_load_b128 v[8:11], v2 offset:928
	ds_load_b128 v[2:5], v2 offset:944
	v_fmac_f64_e32 v[80:81], v[76:77], v[86:87]
	v_fma_f64 v[74:75], v[74:75], v[86:87], -v[84:85]
	s_wait_loadcnt_dscnt 0x101
	v_mul_f64_e32 v[78:79], v[8:9], v[104:105]
	v_mul_f64_e32 v[90:91], v[10:11], v[104:105]
	s_wait_loadcnt_dscnt 0x0
	v_mul_f64_e32 v[84:85], v[4:5], v[96:97]
	v_add_f64_e32 v[76:77], v[82:83], v[88:89]
	v_add_f64_e32 v[12:13], v[12:13], v[92:93]
	v_mul_f64_e32 v[82:83], v[2:3], v[96:97]
	v_fmac_f64_e32 v[78:79], v[10:11], v[102:103]
	v_fma_f64 v[8:9], v[8:9], v[102:103], -v[90:91]
	v_fma_f64 v[2:3], v[2:3], v[94:95], -v[84:85]
	v_add_f64_e32 v[10:11], v[76:77], v[74:75]
	v_add_f64_e32 v[12:13], v[12:13], v[80:81]
	v_fmac_f64_e32 v[82:83], v[4:5], v[94:95]
	s_delay_alu instid0(VALU_DEP_3) | instskip(NEXT) | instid1(VALU_DEP_3)
	v_add_f64_e32 v[4:5], v[10:11], v[8:9]
	v_add_f64_e32 v[8:9], v[12:13], v[78:79]
	s_delay_alu instid0(VALU_DEP_2) | instskip(NEXT) | instid1(VALU_DEP_2)
	v_add_f64_e32 v[2:3], v[4:5], v[2:3]
	v_add_f64_e32 v[4:5], v[8:9], v[82:83]
	s_delay_alu instid0(VALU_DEP_2) | instskip(NEXT) | instid1(VALU_DEP_2)
	v_add_f64_e64 v[2:3], v[122:123], -v[2:3]
	v_add_f64_e64 v[4:5], v[124:125], -v[4:5]
	scratch_store_b128 off, v[2:5], off offset:112
	s_wait_xcnt 0x0
	v_cmpx_lt_u32_e32 6, v1
	s_cbranch_execz .LBB29_181
; %bb.180:
	scratch_load_b128 v[2:5], off, s35
	v_mov_b32_e32 v8, 0
	s_delay_alu instid0(VALU_DEP_1)
	v_dual_mov_b32 v9, v8 :: v_dual_mov_b32 v10, v8
	v_mov_b32_e32 v11, v8
	scratch_store_b128 off, v[8:11], off offset:96
	s_wait_loadcnt 0x0
	ds_store_b128 v6, v[2:5]
.LBB29_181:
	s_wait_xcnt 0x0
	s_or_b32 exec_lo, exec_lo, s2
	s_wait_storecnt_dscnt 0x0
	s_barrier_signal -1
	s_barrier_wait -1
	s_clause 0x9
	scratch_load_b128 v[8:11], off, off offset:112
	scratch_load_b128 v[74:77], off, off offset:128
	scratch_load_b128 v[78:81], off, off offset:144
	scratch_load_b128 v[82:85], off, off offset:160
	scratch_load_b128 v[86:89], off, off offset:176
	scratch_load_b128 v[90:93], off, off offset:192
	scratch_load_b128 v[94:97], off, off offset:208
	scratch_load_b128 v[98:101], off, off offset:224
	scratch_load_b128 v[102:105], off, off offset:240
	scratch_load_b128 v[106:109], off, off offset:256
	v_mov_b32_e32 v2, 0
	s_mov_b32 s2, exec_lo
	ds_load_b128 v[110:113], v2 offset:592
	s_clause 0x2
	scratch_load_b128 v[114:117], off, off offset:272
	scratch_load_b128 v[118:121], off, off offset:96
	;; [unrolled: 1-line block ×3, first 2 shown]
	s_wait_loadcnt_dscnt 0xc00
	v_mul_f64_e32 v[4:5], v[112:113], v[10:11]
	v_mul_f64_e32 v[134:135], v[110:111], v[10:11]
	ds_load_b128 v[122:125], v2 offset:608
	scratch_load_b128 v[10:13], off, off offset:288
	ds_load_b128 v[130:133], v2 offset:640
	v_fma_f64 v[4:5], v[110:111], v[8:9], -v[4:5]
	v_fmac_f64_e32 v[134:135], v[112:113], v[8:9]
	ds_load_b128 v[110:113], v2 offset:624
	s_wait_loadcnt_dscnt 0xc02
	v_mul_f64_e32 v[136:137], v[122:123], v[76:77]
	v_mul_f64_e32 v[76:77], v[124:125], v[76:77]
	s_wait_loadcnt_dscnt 0xb00
	v_mul_f64_e32 v[8:9], v[110:111], v[80:81]
	v_mul_f64_e32 v[80:81], v[112:113], v[80:81]
	v_add_f64_e32 v[4:5], 0, v[4:5]
	v_fmac_f64_e32 v[136:137], v[124:125], v[74:75]
	v_fma_f64 v[122:123], v[122:123], v[74:75], -v[76:77]
	v_add_f64_e32 v[124:125], 0, v[134:135]
	scratch_load_b128 v[74:77], off, off offset:320
	v_fmac_f64_e32 v[8:9], v[112:113], v[78:79]
	v_fma_f64 v[138:139], v[110:111], v[78:79], -v[80:81]
	ds_load_b128 v[78:81], v2 offset:656
	s_wait_loadcnt 0xb
	v_mul_f64_e32 v[134:135], v[130:131], v[84:85]
	v_mul_f64_e32 v[84:85], v[132:133], v[84:85]
	scratch_load_b128 v[110:113], off, off offset:336
	v_add_f64_e32 v[4:5], v[4:5], v[122:123]
	v_add_f64_e32 v[136:137], v[124:125], v[136:137]
	ds_load_b128 v[122:125], v2 offset:672
	s_wait_loadcnt_dscnt 0xb01
	v_mul_f64_e32 v[140:141], v[78:79], v[88:89]
	v_mul_f64_e32 v[88:89], v[80:81], v[88:89]
	v_fmac_f64_e32 v[134:135], v[132:133], v[82:83]
	v_fma_f64 v[130:131], v[130:131], v[82:83], -v[84:85]
	scratch_load_b128 v[82:85], off, off offset:352
	v_add_f64_e32 v[4:5], v[4:5], v[138:139]
	v_add_f64_e32 v[8:9], v[136:137], v[8:9]
	v_fmac_f64_e32 v[140:141], v[80:81], v[86:87]
	v_fma_f64 v[138:139], v[78:79], v[86:87], -v[88:89]
	ds_load_b128 v[78:81], v2 offset:688
	s_wait_loadcnt_dscnt 0xb01
	v_mul_f64_e32 v[136:137], v[122:123], v[92:93]
	v_mul_f64_e32 v[92:93], v[124:125], v[92:93]
	scratch_load_b128 v[86:89], off, off offset:368
	v_add_f64_e32 v[4:5], v[4:5], v[130:131]
	v_add_f64_e32 v[8:9], v[8:9], v[134:135]
	s_wait_loadcnt_dscnt 0xb00
	v_mul_f64_e32 v[134:135], v[78:79], v[96:97]
	v_mul_f64_e32 v[96:97], v[80:81], v[96:97]
	ds_load_b128 v[130:133], v2 offset:704
	v_fmac_f64_e32 v[136:137], v[124:125], v[90:91]
	v_fma_f64 v[122:123], v[122:123], v[90:91], -v[92:93]
	scratch_load_b128 v[90:93], off, off offset:384
	v_add_f64_e32 v[4:5], v[4:5], v[138:139]
	v_add_f64_e32 v[8:9], v[8:9], v[140:141]
	v_fmac_f64_e32 v[134:135], v[80:81], v[94:95]
	v_fma_f64 v[140:141], v[78:79], v[94:95], -v[96:97]
	ds_load_b128 v[78:81], v2 offset:720
	s_wait_loadcnt_dscnt 0xb01
	v_mul_f64_e32 v[138:139], v[130:131], v[100:101]
	v_mul_f64_e32 v[100:101], v[132:133], v[100:101]
	scratch_load_b128 v[94:97], off, off offset:400
	v_add_f64_e32 v[4:5], v[4:5], v[122:123]
	v_add_f64_e32 v[8:9], v[8:9], v[136:137]
	s_wait_loadcnt_dscnt 0xb00
	v_mul_f64_e32 v[136:137], v[78:79], v[104:105]
	v_mul_f64_e32 v[104:105], v[80:81], v[104:105]
	ds_load_b128 v[122:125], v2 offset:736
	;; [unrolled: 18-line block ×3, first 2 shown]
	v_fmac_f64_e32 v[134:135], v[124:125], v[106:107]
	v_fma_f64 v[122:123], v[122:123], v[106:107], -v[108:109]
	scratch_load_b128 v[106:109], off, off offset:448
	v_add_f64_e32 v[4:5], v[4:5], v[140:141]
	v_add_f64_e32 v[8:9], v[8:9], v[136:137]
	v_fmac_f64_e32 v[138:139], v[80:81], v[114:115]
	v_fma_f64 v[140:141], v[78:79], v[114:115], -v[116:117]
	ds_load_b128 v[78:81], v2 offset:784
	s_wait_loadcnt_dscnt 0x901
	v_mul_f64_e32 v[136:137], v[130:131], v[12:13]
	v_mul_f64_e32 v[12:13], v[132:133], v[12:13]
	scratch_load_b128 v[114:117], off, off offset:464
	v_add_f64_e32 v[4:5], v[4:5], v[122:123]
	v_add_f64_e32 v[8:9], v[8:9], v[134:135]
	s_wait_dscnt 0x0
	v_mul_f64_e32 v[134:135], v[78:79], v[128:129]
	v_mul_f64_e32 v[128:129], v[80:81], v[128:129]
	ds_load_b128 v[122:125], v2 offset:800
	v_fmac_f64_e32 v[136:137], v[132:133], v[10:11]
	v_fma_f64 v[10:11], v[130:131], v[10:11], -v[12:13]
	v_add_f64_e32 v[4:5], v[4:5], v[140:141]
	v_add_f64_e32 v[8:9], v[8:9], v[138:139]
	s_wait_loadcnt_dscnt 0x900
	v_mul_f64_e32 v[12:13], v[122:123], v[76:77]
	v_mul_f64_e32 v[130:131], v[124:125], v[76:77]
	v_fmac_f64_e32 v[134:135], v[80:81], v[126:127]
	v_fma_f64 v[80:81], v[78:79], v[126:127], -v[128:129]
	v_add_f64_e32 v[4:5], v[4:5], v[10:11]
	v_add_f64_e32 v[126:127], v[8:9], v[136:137]
	ds_load_b128 v[8:11], v2 offset:816
	ds_load_b128 v[76:79], v2 offset:832
	v_fmac_f64_e32 v[12:13], v[124:125], v[74:75]
	v_fma_f64 v[74:75], v[122:123], v[74:75], -v[130:131]
	s_wait_loadcnt_dscnt 0x801
	v_mul_f64_e32 v[128:129], v[8:9], v[112:113]
	v_mul_f64_e32 v[112:113], v[10:11], v[112:113]
	s_wait_loadcnt_dscnt 0x700
	v_mul_f64_e32 v[122:123], v[76:77], v[84:85]
	v_mul_f64_e32 v[84:85], v[78:79], v[84:85]
	v_add_f64_e32 v[4:5], v[4:5], v[80:81]
	v_add_f64_e32 v[80:81], v[126:127], v[134:135]
	v_fmac_f64_e32 v[128:129], v[10:11], v[110:111]
	v_fma_f64 v[124:125], v[8:9], v[110:111], -v[112:113]
	ds_load_b128 v[8:11], v2 offset:848
	ds_load_b128 v[110:113], v2 offset:864
	v_fmac_f64_e32 v[122:123], v[78:79], v[82:83]
	v_fma_f64 v[76:77], v[76:77], v[82:83], -v[84:85]
	v_add_f64_e32 v[4:5], v[4:5], v[74:75]
	v_add_f64_e32 v[12:13], v[80:81], v[12:13]
	s_wait_loadcnt_dscnt 0x601
	v_mul_f64_e32 v[80:81], v[8:9], v[88:89]
	v_mul_f64_e32 v[74:75], v[10:11], v[88:89]
	s_wait_loadcnt_dscnt 0x500
	v_mul_f64_e32 v[78:79], v[110:111], v[92:93]
	v_mul_f64_e32 v[82:83], v[112:113], v[92:93]
	v_add_f64_e32 v[4:5], v[4:5], v[124:125]
	v_add_f64_e32 v[12:13], v[12:13], v[128:129]
	v_fmac_f64_e32 v[80:81], v[10:11], v[86:87]
	v_fma_f64 v[84:85], v[8:9], v[86:87], -v[74:75]
	v_fmac_f64_e32 v[78:79], v[112:113], v[90:91]
	v_fma_f64 v[82:83], v[110:111], v[90:91], -v[82:83]
	v_add_f64_e32 v[4:5], v[4:5], v[76:77]
	v_add_f64_e32 v[12:13], v[12:13], v[122:123]
	ds_load_b128 v[8:11], v2 offset:880
	ds_load_b128 v[74:77], v2 offset:896
	s_wait_loadcnt_dscnt 0x401
	v_mul_f64_e32 v[86:87], v[8:9], v[96:97]
	v_mul_f64_e32 v[88:89], v[10:11], v[96:97]
	s_wait_loadcnt_dscnt 0x300
	v_mul_f64_e32 v[90:91], v[76:77], v[100:101]
	v_add_f64_e32 v[4:5], v[4:5], v[84:85]
	v_add_f64_e32 v[12:13], v[12:13], v[80:81]
	v_mul_f64_e32 v[84:85], v[74:75], v[100:101]
	v_fmac_f64_e32 v[86:87], v[10:11], v[94:95]
	v_fma_f64 v[88:89], v[8:9], v[94:95], -v[88:89]
	v_fma_f64 v[74:75], v[74:75], v[98:99], -v[90:91]
	v_add_f64_e32 v[4:5], v[4:5], v[82:83]
	v_add_f64_e32 v[12:13], v[12:13], v[78:79]
	ds_load_b128 v[8:11], v2 offset:912
	ds_load_b128 v[78:81], v2 offset:928
	v_fmac_f64_e32 v[84:85], v[76:77], v[98:99]
	s_wait_loadcnt_dscnt 0x201
	v_mul_f64_e32 v[82:83], v[8:9], v[104:105]
	v_mul_f64_e32 v[92:93], v[10:11], v[104:105]
	s_wait_loadcnt_dscnt 0x100
	v_mul_f64_e32 v[76:77], v[78:79], v[108:109]
	v_add_f64_e32 v[4:5], v[4:5], v[88:89]
	v_add_f64_e32 v[12:13], v[12:13], v[86:87]
	v_mul_f64_e32 v[86:87], v[80:81], v[108:109]
	v_fmac_f64_e32 v[82:83], v[10:11], v[102:103]
	v_fma_f64 v[88:89], v[8:9], v[102:103], -v[92:93]
	ds_load_b128 v[8:11], v2 offset:944
	v_fmac_f64_e32 v[76:77], v[80:81], v[106:107]
	v_add_f64_e32 v[4:5], v[4:5], v[74:75]
	v_add_f64_e32 v[12:13], v[12:13], v[84:85]
	v_fma_f64 v[78:79], v[78:79], v[106:107], -v[86:87]
	s_wait_loadcnt_dscnt 0x0
	v_mul_f64_e32 v[74:75], v[8:9], v[116:117]
	v_mul_f64_e32 v[84:85], v[10:11], v[116:117]
	v_add_f64_e32 v[4:5], v[4:5], v[88:89]
	v_add_f64_e32 v[12:13], v[12:13], v[82:83]
	s_delay_alu instid0(VALU_DEP_4) | instskip(NEXT) | instid1(VALU_DEP_4)
	v_fmac_f64_e32 v[74:75], v[10:11], v[114:115]
	v_fma_f64 v[8:9], v[8:9], v[114:115], -v[84:85]
	s_delay_alu instid0(VALU_DEP_4) | instskip(NEXT) | instid1(VALU_DEP_4)
	v_add_f64_e32 v[4:5], v[4:5], v[78:79]
	v_add_f64_e32 v[10:11], v[12:13], v[76:77]
	s_delay_alu instid0(VALU_DEP_2) | instskip(NEXT) | instid1(VALU_DEP_2)
	v_add_f64_e32 v[4:5], v[4:5], v[8:9]
	v_add_f64_e32 v[10:11], v[10:11], v[74:75]
	s_delay_alu instid0(VALU_DEP_2) | instskip(NEXT) | instid1(VALU_DEP_2)
	v_add_f64_e64 v[8:9], v[118:119], -v[4:5]
	v_add_f64_e64 v[10:11], v[120:121], -v[10:11]
	scratch_store_b128 off, v[8:11], off offset:96
	s_wait_xcnt 0x0
	v_cmpx_lt_u32_e32 5, v1
	s_cbranch_execz .LBB29_183
; %bb.182:
	scratch_load_b128 v[8:11], off, s31
	v_dual_mov_b32 v3, v2 :: v_dual_mov_b32 v4, v2
	v_mov_b32_e32 v5, v2
	scratch_store_b128 off, v[2:5], off offset:80
	s_wait_loadcnt 0x0
	ds_store_b128 v6, v[8:11]
.LBB29_183:
	s_wait_xcnt 0x0
	s_or_b32 exec_lo, exec_lo, s2
	s_wait_storecnt_dscnt 0x0
	s_barrier_signal -1
	s_barrier_wait -1
	s_clause 0x9
	scratch_load_b128 v[8:11], off, off offset:96
	scratch_load_b128 v[74:77], off, off offset:112
	;; [unrolled: 1-line block ×10, first 2 shown]
	ds_load_b128 v[110:113], v2 offset:576
	ds_load_b128 v[118:121], v2 offset:592
	s_clause 0x1
	scratch_load_b128 v[114:117], off, off offset:256
	scratch_load_b128 v[122:125], off, off offset:80
	s_mov_b32 s2, exec_lo
	s_wait_loadcnt_dscnt 0xb01
	v_mul_f64_e32 v[4:5], v[112:113], v[10:11]
	v_mul_f64_e32 v[134:135], v[110:111], v[10:11]
	scratch_load_b128 v[10:13], off, off offset:272
	s_wait_loadcnt_dscnt 0xb00
	v_mul_f64_e32 v[136:137], v[118:119], v[76:77]
	v_mul_f64_e32 v[76:77], v[120:121], v[76:77]
	v_fma_f64 v[4:5], v[110:111], v[8:9], -v[4:5]
	v_fmac_f64_e32 v[134:135], v[112:113], v[8:9]
	ds_load_b128 v[110:113], v2 offset:608
	ds_load_b128 v[126:129], v2 offset:624
	scratch_load_b128 v[130:133], off, off offset:288
	v_fmac_f64_e32 v[136:137], v[120:121], v[74:75]
	v_fma_f64 v[118:119], v[118:119], v[74:75], -v[76:77]
	scratch_load_b128 v[74:77], off, off offset:304
	s_wait_loadcnt_dscnt 0xc01
	v_mul_f64_e32 v[8:9], v[110:111], v[80:81]
	v_mul_f64_e32 v[80:81], v[112:113], v[80:81]
	v_add_f64_e32 v[4:5], 0, v[4:5]
	v_add_f64_e32 v[120:121], 0, v[134:135]
	s_wait_loadcnt_dscnt 0xb00
	v_mul_f64_e32 v[134:135], v[126:127], v[84:85]
	v_mul_f64_e32 v[84:85], v[128:129], v[84:85]
	v_fmac_f64_e32 v[8:9], v[112:113], v[78:79]
	v_fma_f64 v[138:139], v[110:111], v[78:79], -v[80:81]
	ds_load_b128 v[78:81], v2 offset:640
	ds_load_b128 v[110:113], v2 offset:656
	v_add_f64_e32 v[4:5], v[4:5], v[118:119]
	v_add_f64_e32 v[136:137], v[120:121], v[136:137]
	scratch_load_b128 v[118:121], off, off offset:320
	v_fmac_f64_e32 v[134:135], v[128:129], v[82:83]
	v_fma_f64 v[126:127], v[126:127], v[82:83], -v[84:85]
	scratch_load_b128 v[82:85], off, off offset:336
	s_wait_loadcnt_dscnt 0xc01
	v_mul_f64_e32 v[140:141], v[78:79], v[88:89]
	v_mul_f64_e32 v[88:89], v[80:81], v[88:89]
	v_add_f64_e32 v[4:5], v[4:5], v[138:139]
	v_add_f64_e32 v[8:9], v[136:137], v[8:9]
	s_wait_loadcnt_dscnt 0xb00
	v_mul_f64_e32 v[136:137], v[110:111], v[92:93]
	v_mul_f64_e32 v[92:93], v[112:113], v[92:93]
	v_fmac_f64_e32 v[140:141], v[80:81], v[86:87]
	v_fma_f64 v[138:139], v[78:79], v[86:87], -v[88:89]
	ds_load_b128 v[78:81], v2 offset:672
	ds_load_b128 v[86:89], v2 offset:688
	v_add_f64_e32 v[4:5], v[4:5], v[126:127]
	v_add_f64_e32 v[8:9], v[8:9], v[134:135]
	scratch_load_b128 v[126:129], off, off offset:352
	s_wait_loadcnt_dscnt 0xb01
	v_mul_f64_e32 v[134:135], v[78:79], v[96:97]
	v_mul_f64_e32 v[96:97], v[80:81], v[96:97]
	v_fmac_f64_e32 v[136:137], v[112:113], v[90:91]
	v_fma_f64 v[110:111], v[110:111], v[90:91], -v[92:93]
	scratch_load_b128 v[90:93], off, off offset:368
	v_add_f64_e32 v[4:5], v[4:5], v[138:139]
	v_add_f64_e32 v[8:9], v[8:9], v[140:141]
	s_wait_loadcnt_dscnt 0xb00
	v_mul_f64_e32 v[138:139], v[86:87], v[100:101]
	v_mul_f64_e32 v[100:101], v[88:89], v[100:101]
	v_fmac_f64_e32 v[134:135], v[80:81], v[94:95]
	v_fma_f64 v[140:141], v[78:79], v[94:95], -v[96:97]
	ds_load_b128 v[78:81], v2 offset:704
	ds_load_b128 v[94:97], v2 offset:720
	v_add_f64_e32 v[4:5], v[4:5], v[110:111]
	v_add_f64_e32 v[8:9], v[8:9], v[136:137]
	scratch_load_b128 v[110:113], off, off offset:384
	s_wait_loadcnt_dscnt 0xb01
	v_mul_f64_e32 v[136:137], v[78:79], v[104:105]
	v_mul_f64_e32 v[104:105], v[80:81], v[104:105]
	v_fmac_f64_e32 v[138:139], v[88:89], v[98:99]
	v_fma_f64 v[98:99], v[86:87], v[98:99], -v[100:101]
	scratch_load_b128 v[86:89], off, off offset:400
	v_add_f64_e32 v[4:5], v[4:5], v[140:141]
	v_add_f64_e32 v[8:9], v[8:9], v[134:135]
	s_wait_loadcnt_dscnt 0xb00
	v_mul_f64_e32 v[134:135], v[94:95], v[108:109]
	v_mul_f64_e32 v[108:109], v[96:97], v[108:109]
	v_fmac_f64_e32 v[136:137], v[80:81], v[102:103]
	v_fma_f64 v[140:141], v[78:79], v[102:103], -v[104:105]
	v_add_f64_e32 v[4:5], v[4:5], v[98:99]
	v_add_f64_e32 v[8:9], v[8:9], v[138:139]
	ds_load_b128 v[78:81], v2 offset:736
	ds_load_b128 v[98:101], v2 offset:752
	scratch_load_b128 v[102:105], off, off offset:416
	v_fmac_f64_e32 v[134:135], v[96:97], v[106:107]
	v_fma_f64 v[106:107], v[94:95], v[106:107], -v[108:109]
	scratch_load_b128 v[94:97], off, off offset:432
	s_wait_loadcnt_dscnt 0xc01
	v_mul_f64_e32 v[138:139], v[78:79], v[116:117]
	v_mul_f64_e32 v[116:117], v[80:81], v[116:117]
	v_add_f64_e32 v[4:5], v[4:5], v[140:141]
	v_add_f64_e32 v[8:9], v[8:9], v[136:137]
	s_wait_loadcnt_dscnt 0xa00
	v_mul_f64_e32 v[136:137], v[98:99], v[12:13]
	v_mul_f64_e32 v[12:13], v[100:101], v[12:13]
	v_fmac_f64_e32 v[138:139], v[80:81], v[114:115]
	v_fma_f64 v[140:141], v[78:79], v[114:115], -v[116:117]
	v_add_f64_e32 v[4:5], v[4:5], v[106:107]
	v_add_f64_e32 v[8:9], v[8:9], v[134:135]
	ds_load_b128 v[78:81], v2 offset:768
	ds_load_b128 v[106:109], v2 offset:784
	scratch_load_b128 v[114:117], off, off offset:448
	v_fmac_f64_e32 v[136:137], v[100:101], v[10:11]
	v_fma_f64 v[12:13], v[98:99], v[10:11], -v[12:13]
	s_wait_loadcnt_dscnt 0xa01
	v_mul_f64_e32 v[134:135], v[78:79], v[132:133]
	v_mul_f64_e32 v[132:133], v[80:81], v[132:133]
	v_add_f64_e32 v[4:5], v[4:5], v[140:141]
	v_add_f64_e32 v[98:99], v[8:9], v[138:139]
	scratch_load_b128 v[8:11], off, off offset:464
	s_wait_loadcnt_dscnt 0xa00
	v_mul_f64_e32 v[138:139], v[106:107], v[76:77]
	v_mul_f64_e32 v[140:141], v[108:109], v[76:77]
	v_fmac_f64_e32 v[134:135], v[80:81], v[130:131]
	v_fma_f64 v[80:81], v[78:79], v[130:131], -v[132:133]
	v_add_f64_e32 v[4:5], v[4:5], v[12:13]
	v_add_f64_e32 v[12:13], v[98:99], v[136:137]
	ds_load_b128 v[76:79], v2 offset:800
	ds_load_b128 v[98:101], v2 offset:816
	v_fmac_f64_e32 v[138:139], v[108:109], v[74:75]
	v_fma_f64 v[74:75], v[106:107], v[74:75], -v[140:141]
	s_wait_loadcnt_dscnt 0x901
	v_mul_f64_e32 v[130:131], v[76:77], v[120:121]
	v_mul_f64_e32 v[120:121], v[78:79], v[120:121]
	s_wait_loadcnt_dscnt 0x800
	v_mul_f64_e32 v[106:107], v[98:99], v[84:85]
	v_mul_f64_e32 v[84:85], v[100:101], v[84:85]
	v_add_f64_e32 v[4:5], v[4:5], v[80:81]
	v_add_f64_e32 v[12:13], v[12:13], v[134:135]
	v_fmac_f64_e32 v[130:131], v[78:79], v[118:119]
	v_fma_f64 v[108:109], v[76:77], v[118:119], -v[120:121]
	v_fmac_f64_e32 v[106:107], v[100:101], v[82:83]
	v_fma_f64 v[82:83], v[98:99], v[82:83], -v[84:85]
	v_add_f64_e32 v[4:5], v[4:5], v[74:75]
	v_add_f64_e32 v[12:13], v[12:13], v[138:139]
	ds_load_b128 v[74:77], v2 offset:832
	ds_load_b128 v[78:81], v2 offset:848
	s_wait_loadcnt_dscnt 0x701
	v_mul_f64_e32 v[118:119], v[74:75], v[128:129]
	v_mul_f64_e32 v[120:121], v[76:77], v[128:129]
	s_wait_loadcnt_dscnt 0x600
	v_mul_f64_e32 v[98:99], v[78:79], v[92:93]
	v_mul_f64_e32 v[92:93], v[80:81], v[92:93]
	v_add_f64_e32 v[4:5], v[4:5], v[108:109]
	v_add_f64_e32 v[12:13], v[12:13], v[130:131]
	v_fmac_f64_e32 v[118:119], v[76:77], v[126:127]
	v_fma_f64 v[100:101], v[74:75], v[126:127], -v[120:121]
	v_fmac_f64_e32 v[98:99], v[80:81], v[90:91]
	v_fma_f64 v[78:79], v[78:79], v[90:91], -v[92:93]
	v_add_f64_e32 v[4:5], v[4:5], v[82:83]
	v_add_f64_e32 v[12:13], v[12:13], v[106:107]
	ds_load_b128 v[74:77], v2 offset:864
	ds_load_b128 v[82:85], v2 offset:880
	;; [unrolled: 16-line block ×4, first 2 shown]
	s_wait_loadcnt_dscnt 0x101
	v_mul_f64_e32 v[90:91], v[74:75], v[116:117]
	v_mul_f64_e32 v[92:93], v[76:77], v[116:117]
	v_add_f64_e32 v[80:81], v[82:83], v[88:89]
	v_add_f64_e32 v[12:13], v[12:13], v[98:99]
	s_wait_loadcnt_dscnt 0x0
	v_mul_f64_e32 v[82:83], v[2:3], v[10:11]
	v_mul_f64_e32 v[10:11], v[4:5], v[10:11]
	v_fmac_f64_e32 v[90:91], v[76:77], v[114:115]
	v_fma_f64 v[74:75], v[74:75], v[114:115], -v[92:93]
	v_add_f64_e32 v[76:77], v[80:81], v[78:79]
	v_add_f64_e32 v[12:13], v[12:13], v[84:85]
	v_fmac_f64_e32 v[82:83], v[4:5], v[8:9]
	v_fma_f64 v[2:3], v[2:3], v[8:9], -v[10:11]
	s_delay_alu instid0(VALU_DEP_4) | instskip(NEXT) | instid1(VALU_DEP_4)
	v_add_f64_e32 v[4:5], v[76:77], v[74:75]
	v_add_f64_e32 v[8:9], v[12:13], v[90:91]
	s_delay_alu instid0(VALU_DEP_2) | instskip(NEXT) | instid1(VALU_DEP_2)
	v_add_f64_e32 v[2:3], v[4:5], v[2:3]
	v_add_f64_e32 v[4:5], v[8:9], v[82:83]
	s_delay_alu instid0(VALU_DEP_2) | instskip(NEXT) | instid1(VALU_DEP_2)
	v_add_f64_e64 v[2:3], v[122:123], -v[2:3]
	v_add_f64_e64 v[4:5], v[124:125], -v[4:5]
	scratch_store_b128 off, v[2:5], off offset:80
	s_wait_xcnt 0x0
	v_cmpx_lt_u32_e32 4, v1
	s_cbranch_execz .LBB29_185
; %bb.184:
	scratch_load_b128 v[2:5], off, s15
	v_mov_b32_e32 v8, 0
	s_delay_alu instid0(VALU_DEP_1)
	v_dual_mov_b32 v9, v8 :: v_dual_mov_b32 v10, v8
	v_mov_b32_e32 v11, v8
	scratch_store_b128 off, v[8:11], off offset:64
	s_wait_loadcnt 0x0
	ds_store_b128 v6, v[2:5]
.LBB29_185:
	s_wait_xcnt 0x0
	s_or_b32 exec_lo, exec_lo, s2
	s_wait_storecnt_dscnt 0x0
	s_barrier_signal -1
	s_barrier_wait -1
	s_clause 0x9
	scratch_load_b128 v[8:11], off, off offset:80
	scratch_load_b128 v[74:77], off, off offset:96
	;; [unrolled: 1-line block ×10, first 2 shown]
	v_mov_b32_e32 v2, 0
	s_mov_b32 s2, exec_lo
	ds_load_b128 v[110:113], v2 offset:560
	s_clause 0x2
	scratch_load_b128 v[114:117], off, off offset:240
	scratch_load_b128 v[118:121], off, off offset:64
	;; [unrolled: 1-line block ×3, first 2 shown]
	s_wait_loadcnt_dscnt 0xc00
	v_mul_f64_e32 v[4:5], v[112:113], v[10:11]
	v_mul_f64_e32 v[134:135], v[110:111], v[10:11]
	ds_load_b128 v[122:125], v2 offset:576
	scratch_load_b128 v[10:13], off, off offset:256
	ds_load_b128 v[130:133], v2 offset:608
	v_fma_f64 v[4:5], v[110:111], v[8:9], -v[4:5]
	v_fmac_f64_e32 v[134:135], v[112:113], v[8:9]
	ds_load_b128 v[110:113], v2 offset:592
	s_wait_loadcnt_dscnt 0xc02
	v_mul_f64_e32 v[136:137], v[122:123], v[76:77]
	v_mul_f64_e32 v[76:77], v[124:125], v[76:77]
	s_wait_loadcnt_dscnt 0xb00
	v_mul_f64_e32 v[8:9], v[110:111], v[80:81]
	v_mul_f64_e32 v[80:81], v[112:113], v[80:81]
	v_add_f64_e32 v[4:5], 0, v[4:5]
	v_fmac_f64_e32 v[136:137], v[124:125], v[74:75]
	v_fma_f64 v[122:123], v[122:123], v[74:75], -v[76:77]
	v_add_f64_e32 v[124:125], 0, v[134:135]
	scratch_load_b128 v[74:77], off, off offset:288
	v_fmac_f64_e32 v[8:9], v[112:113], v[78:79]
	v_fma_f64 v[138:139], v[110:111], v[78:79], -v[80:81]
	ds_load_b128 v[78:81], v2 offset:624
	s_wait_loadcnt 0xb
	v_mul_f64_e32 v[134:135], v[130:131], v[84:85]
	v_mul_f64_e32 v[84:85], v[132:133], v[84:85]
	scratch_load_b128 v[110:113], off, off offset:304
	v_add_f64_e32 v[4:5], v[4:5], v[122:123]
	v_add_f64_e32 v[136:137], v[124:125], v[136:137]
	ds_load_b128 v[122:125], v2 offset:640
	s_wait_loadcnt_dscnt 0xb01
	v_mul_f64_e32 v[140:141], v[78:79], v[88:89]
	v_mul_f64_e32 v[88:89], v[80:81], v[88:89]
	v_fmac_f64_e32 v[134:135], v[132:133], v[82:83]
	v_fma_f64 v[130:131], v[130:131], v[82:83], -v[84:85]
	scratch_load_b128 v[82:85], off, off offset:320
	v_add_f64_e32 v[4:5], v[4:5], v[138:139]
	v_add_f64_e32 v[8:9], v[136:137], v[8:9]
	v_fmac_f64_e32 v[140:141], v[80:81], v[86:87]
	v_fma_f64 v[138:139], v[78:79], v[86:87], -v[88:89]
	ds_load_b128 v[78:81], v2 offset:656
	s_wait_loadcnt_dscnt 0xb01
	v_mul_f64_e32 v[136:137], v[122:123], v[92:93]
	v_mul_f64_e32 v[92:93], v[124:125], v[92:93]
	scratch_load_b128 v[86:89], off, off offset:336
	v_add_f64_e32 v[4:5], v[4:5], v[130:131]
	v_add_f64_e32 v[8:9], v[8:9], v[134:135]
	s_wait_loadcnt_dscnt 0xb00
	v_mul_f64_e32 v[134:135], v[78:79], v[96:97]
	v_mul_f64_e32 v[96:97], v[80:81], v[96:97]
	ds_load_b128 v[130:133], v2 offset:672
	v_fmac_f64_e32 v[136:137], v[124:125], v[90:91]
	v_fma_f64 v[122:123], v[122:123], v[90:91], -v[92:93]
	scratch_load_b128 v[90:93], off, off offset:352
	v_add_f64_e32 v[4:5], v[4:5], v[138:139]
	v_add_f64_e32 v[8:9], v[8:9], v[140:141]
	v_fmac_f64_e32 v[134:135], v[80:81], v[94:95]
	v_fma_f64 v[140:141], v[78:79], v[94:95], -v[96:97]
	ds_load_b128 v[78:81], v2 offset:688
	s_wait_loadcnt_dscnt 0xb01
	v_mul_f64_e32 v[138:139], v[130:131], v[100:101]
	v_mul_f64_e32 v[100:101], v[132:133], v[100:101]
	scratch_load_b128 v[94:97], off, off offset:368
	v_add_f64_e32 v[4:5], v[4:5], v[122:123]
	v_add_f64_e32 v[8:9], v[8:9], v[136:137]
	s_wait_loadcnt_dscnt 0xb00
	v_mul_f64_e32 v[136:137], v[78:79], v[104:105]
	v_mul_f64_e32 v[104:105], v[80:81], v[104:105]
	ds_load_b128 v[122:125], v2 offset:704
	;; [unrolled: 18-line block ×3, first 2 shown]
	v_fmac_f64_e32 v[134:135], v[124:125], v[106:107]
	v_fma_f64 v[122:123], v[122:123], v[106:107], -v[108:109]
	scratch_load_b128 v[106:109], off, off offset:416
	v_add_f64_e32 v[4:5], v[4:5], v[140:141]
	v_add_f64_e32 v[8:9], v[8:9], v[136:137]
	v_fmac_f64_e32 v[138:139], v[80:81], v[114:115]
	v_fma_f64 v[140:141], v[78:79], v[114:115], -v[116:117]
	ds_load_b128 v[78:81], v2 offset:752
	s_wait_loadcnt_dscnt 0x901
	v_mul_f64_e32 v[136:137], v[130:131], v[12:13]
	v_mul_f64_e32 v[12:13], v[132:133], v[12:13]
	scratch_load_b128 v[114:117], off, off offset:432
	v_add_f64_e32 v[4:5], v[4:5], v[122:123]
	v_add_f64_e32 v[8:9], v[8:9], v[134:135]
	s_wait_dscnt 0x0
	v_mul_f64_e32 v[134:135], v[78:79], v[128:129]
	v_mul_f64_e32 v[128:129], v[80:81], v[128:129]
	ds_load_b128 v[122:125], v2 offset:768
	v_fmac_f64_e32 v[136:137], v[132:133], v[10:11]
	v_fma_f64 v[12:13], v[130:131], v[10:11], -v[12:13]
	v_add_f64_e32 v[4:5], v[4:5], v[140:141]
	v_add_f64_e32 v[130:131], v[8:9], v[138:139]
	scratch_load_b128 v[8:11], off, off offset:448
	v_fmac_f64_e32 v[134:135], v[80:81], v[126:127]
	v_fma_f64 v[80:81], v[78:79], v[126:127], -v[128:129]
	scratch_load_b128 v[126:129], off, off offset:464
	v_add_f64_e32 v[4:5], v[4:5], v[12:13]
	v_add_f64_e32 v[12:13], v[130:131], v[136:137]
	ds_load_b128 v[130:133], v2 offset:800
	s_wait_loadcnt_dscnt 0xb01
	v_mul_f64_e32 v[138:139], v[122:123], v[76:77]
	v_mul_f64_e32 v[140:141], v[124:125], v[76:77]
	ds_load_b128 v[76:79], v2 offset:784
	s_wait_loadcnt_dscnt 0xa00
	v_mul_f64_e32 v[136:137], v[76:77], v[112:113]
	v_mul_f64_e32 v[112:113], v[78:79], v[112:113]
	v_add_f64_e32 v[4:5], v[4:5], v[80:81]
	v_add_f64_e32 v[12:13], v[12:13], v[134:135]
	v_fmac_f64_e32 v[138:139], v[124:125], v[74:75]
	v_fma_f64 v[74:75], v[122:123], v[74:75], -v[140:141]
	s_wait_loadcnt 0x9
	v_mul_f64_e32 v[122:123], v[130:131], v[84:85]
	v_mul_f64_e32 v[84:85], v[132:133], v[84:85]
	v_fmac_f64_e32 v[136:137], v[78:79], v[110:111]
	v_fma_f64 v[110:111], v[76:77], v[110:111], -v[112:113]
	v_add_f64_e32 v[12:13], v[12:13], v[138:139]
	v_add_f64_e32 v[4:5], v[4:5], v[74:75]
	ds_load_b128 v[74:77], v2 offset:816
	ds_load_b128 v[78:81], v2 offset:832
	v_fmac_f64_e32 v[122:123], v[132:133], v[82:83]
	v_fma_f64 v[82:83], v[130:131], v[82:83], -v[84:85]
	s_wait_loadcnt_dscnt 0x801
	v_mul_f64_e32 v[112:113], v[74:75], v[88:89]
	v_mul_f64_e32 v[88:89], v[76:77], v[88:89]
	v_add_f64_e32 v[12:13], v[12:13], v[136:137]
	v_add_f64_e32 v[4:5], v[4:5], v[110:111]
	s_wait_loadcnt_dscnt 0x700
	v_mul_f64_e32 v[110:111], v[78:79], v[92:93]
	v_mul_f64_e32 v[92:93], v[80:81], v[92:93]
	v_fmac_f64_e32 v[112:113], v[76:77], v[86:87]
	v_fma_f64 v[86:87], v[74:75], v[86:87], -v[88:89]
	v_add_f64_e32 v[12:13], v[12:13], v[122:123]
	v_add_f64_e32 v[4:5], v[4:5], v[82:83]
	ds_load_b128 v[74:77], v2 offset:848
	ds_load_b128 v[82:85], v2 offset:864
	v_fmac_f64_e32 v[110:111], v[80:81], v[90:91]
	v_fma_f64 v[78:79], v[78:79], v[90:91], -v[92:93]
	s_wait_loadcnt_dscnt 0x601
	v_mul_f64_e32 v[88:89], v[74:75], v[96:97]
	v_mul_f64_e32 v[96:97], v[76:77], v[96:97]
	s_wait_loadcnt_dscnt 0x500
	v_mul_f64_e32 v[90:91], v[84:85], v[100:101]
	v_add_f64_e32 v[12:13], v[12:13], v[112:113]
	v_add_f64_e32 v[4:5], v[4:5], v[86:87]
	v_mul_f64_e32 v[86:87], v[82:83], v[100:101]
	v_fmac_f64_e32 v[88:89], v[76:77], v[94:95]
	v_fma_f64 v[92:93], v[74:75], v[94:95], -v[96:97]
	v_fma_f64 v[82:83], v[82:83], v[98:99], -v[90:91]
	v_add_f64_e32 v[12:13], v[12:13], v[110:111]
	v_add_f64_e32 v[4:5], v[4:5], v[78:79]
	ds_load_b128 v[74:77], v2 offset:880
	ds_load_b128 v[78:81], v2 offset:896
	v_fmac_f64_e32 v[86:87], v[84:85], v[98:99]
	s_wait_loadcnt_dscnt 0x401
	v_mul_f64_e32 v[94:95], v[74:75], v[104:105]
	v_mul_f64_e32 v[96:97], v[76:77], v[104:105]
	s_wait_loadcnt_dscnt 0x300
	v_mul_f64_e32 v[90:91], v[80:81], v[108:109]
	v_add_f64_e32 v[12:13], v[12:13], v[88:89]
	v_add_f64_e32 v[4:5], v[4:5], v[92:93]
	v_mul_f64_e32 v[88:89], v[78:79], v[108:109]
	v_fmac_f64_e32 v[94:95], v[76:77], v[102:103]
	v_fma_f64 v[92:93], v[74:75], v[102:103], -v[96:97]
	v_fma_f64 v[78:79], v[78:79], v[106:107], -v[90:91]
	v_add_f64_e32 v[12:13], v[12:13], v[86:87]
	v_add_f64_e32 v[4:5], v[4:5], v[82:83]
	ds_load_b128 v[74:77], v2 offset:912
	ds_load_b128 v[82:85], v2 offset:928
	v_fmac_f64_e32 v[88:89], v[80:81], v[106:107]
	s_wait_loadcnt_dscnt 0x201
	v_mul_f64_e32 v[86:87], v[74:75], v[116:117]
	v_mul_f64_e32 v[96:97], v[76:77], v[116:117]
	s_wait_loadcnt_dscnt 0x100
	v_mul_f64_e32 v[80:81], v[82:83], v[10:11]
	v_add_f64_e32 v[12:13], v[12:13], v[94:95]
	v_add_f64_e32 v[4:5], v[4:5], v[92:93]
	v_mul_f64_e32 v[90:91], v[84:85], v[10:11]
	v_fmac_f64_e32 v[86:87], v[76:77], v[114:115]
	v_fma_f64 v[74:75], v[74:75], v[114:115], -v[96:97]
	v_fmac_f64_e32 v[80:81], v[84:85], v[8:9]
	v_add_f64_e32 v[76:77], v[12:13], v[88:89]
	v_add_f64_e32 v[4:5], v[4:5], v[78:79]
	ds_load_b128 v[10:13], v2 offset:944
	v_fma_f64 v[8:9], v[82:83], v[8:9], -v[90:91]
	s_wait_loadcnt_dscnt 0x0
	v_mul_f64_e32 v[78:79], v[10:11], v[128:129]
	v_mul_f64_e32 v[88:89], v[12:13], v[128:129]
	v_add_f64_e32 v[4:5], v[4:5], v[74:75]
	v_add_f64_e32 v[74:75], v[76:77], v[86:87]
	s_delay_alu instid0(VALU_DEP_4) | instskip(NEXT) | instid1(VALU_DEP_4)
	v_fmac_f64_e32 v[78:79], v[12:13], v[126:127]
	v_fma_f64 v[10:11], v[10:11], v[126:127], -v[88:89]
	s_delay_alu instid0(VALU_DEP_4) | instskip(NEXT) | instid1(VALU_DEP_4)
	v_add_f64_e32 v[4:5], v[4:5], v[8:9]
	v_add_f64_e32 v[8:9], v[74:75], v[80:81]
	s_delay_alu instid0(VALU_DEP_2) | instskip(NEXT) | instid1(VALU_DEP_2)
	v_add_f64_e32 v[4:5], v[4:5], v[10:11]
	v_add_f64_e32 v[10:11], v[8:9], v[78:79]
	s_delay_alu instid0(VALU_DEP_2) | instskip(NEXT) | instid1(VALU_DEP_2)
	v_add_f64_e64 v[8:9], v[118:119], -v[4:5]
	v_add_f64_e64 v[10:11], v[120:121], -v[10:11]
	scratch_store_b128 off, v[8:11], off offset:64
	s_wait_xcnt 0x0
	v_cmpx_lt_u32_e32 3, v1
	s_cbranch_execz .LBB29_187
; %bb.186:
	scratch_load_b128 v[8:11], off, s12
	v_dual_mov_b32 v3, v2 :: v_dual_mov_b32 v4, v2
	v_mov_b32_e32 v5, v2
	scratch_store_b128 off, v[2:5], off offset:48
	s_wait_loadcnt 0x0
	ds_store_b128 v6, v[8:11]
.LBB29_187:
	s_wait_xcnt 0x0
	s_or_b32 exec_lo, exec_lo, s2
	s_wait_storecnt_dscnt 0x0
	s_barrier_signal -1
	s_barrier_wait -1
	s_clause 0x9
	scratch_load_b128 v[8:11], off, off offset:64
	scratch_load_b128 v[74:77], off, off offset:80
	;; [unrolled: 1-line block ×10, first 2 shown]
	ds_load_b128 v[110:113], v2 offset:544
	ds_load_b128 v[118:121], v2 offset:560
	s_clause 0x1
	scratch_load_b128 v[114:117], off, off offset:224
	scratch_load_b128 v[122:125], off, off offset:48
	s_mov_b32 s2, exec_lo
	s_wait_loadcnt_dscnt 0xb01
	v_mul_f64_e32 v[4:5], v[112:113], v[10:11]
	v_mul_f64_e32 v[134:135], v[110:111], v[10:11]
	scratch_load_b128 v[10:13], off, off offset:240
	s_wait_loadcnt_dscnt 0xb00
	v_mul_f64_e32 v[136:137], v[118:119], v[76:77]
	v_mul_f64_e32 v[76:77], v[120:121], v[76:77]
	v_fma_f64 v[4:5], v[110:111], v[8:9], -v[4:5]
	v_fmac_f64_e32 v[134:135], v[112:113], v[8:9]
	ds_load_b128 v[110:113], v2 offset:576
	ds_load_b128 v[126:129], v2 offset:592
	scratch_load_b128 v[130:133], off, off offset:256
	v_fmac_f64_e32 v[136:137], v[120:121], v[74:75]
	v_fma_f64 v[118:119], v[118:119], v[74:75], -v[76:77]
	scratch_load_b128 v[74:77], off, off offset:272
	s_wait_loadcnt_dscnt 0xc01
	v_mul_f64_e32 v[8:9], v[110:111], v[80:81]
	v_mul_f64_e32 v[80:81], v[112:113], v[80:81]
	v_add_f64_e32 v[4:5], 0, v[4:5]
	v_add_f64_e32 v[120:121], 0, v[134:135]
	s_wait_loadcnt_dscnt 0xb00
	v_mul_f64_e32 v[134:135], v[126:127], v[84:85]
	v_mul_f64_e32 v[84:85], v[128:129], v[84:85]
	v_fmac_f64_e32 v[8:9], v[112:113], v[78:79]
	v_fma_f64 v[138:139], v[110:111], v[78:79], -v[80:81]
	ds_load_b128 v[78:81], v2 offset:608
	ds_load_b128 v[110:113], v2 offset:624
	v_add_f64_e32 v[4:5], v[4:5], v[118:119]
	v_add_f64_e32 v[136:137], v[120:121], v[136:137]
	scratch_load_b128 v[118:121], off, off offset:288
	v_fmac_f64_e32 v[134:135], v[128:129], v[82:83]
	v_fma_f64 v[126:127], v[126:127], v[82:83], -v[84:85]
	scratch_load_b128 v[82:85], off, off offset:304
	s_wait_loadcnt_dscnt 0xc01
	v_mul_f64_e32 v[140:141], v[78:79], v[88:89]
	v_mul_f64_e32 v[88:89], v[80:81], v[88:89]
	v_add_f64_e32 v[4:5], v[4:5], v[138:139]
	v_add_f64_e32 v[8:9], v[136:137], v[8:9]
	s_wait_loadcnt_dscnt 0xb00
	v_mul_f64_e32 v[136:137], v[110:111], v[92:93]
	v_mul_f64_e32 v[92:93], v[112:113], v[92:93]
	v_fmac_f64_e32 v[140:141], v[80:81], v[86:87]
	v_fma_f64 v[138:139], v[78:79], v[86:87], -v[88:89]
	ds_load_b128 v[78:81], v2 offset:640
	ds_load_b128 v[86:89], v2 offset:656
	v_add_f64_e32 v[4:5], v[4:5], v[126:127]
	v_add_f64_e32 v[8:9], v[8:9], v[134:135]
	scratch_load_b128 v[126:129], off, off offset:320
	s_wait_loadcnt_dscnt 0xb01
	v_mul_f64_e32 v[134:135], v[78:79], v[96:97]
	v_mul_f64_e32 v[96:97], v[80:81], v[96:97]
	v_fmac_f64_e32 v[136:137], v[112:113], v[90:91]
	v_fma_f64 v[110:111], v[110:111], v[90:91], -v[92:93]
	scratch_load_b128 v[90:93], off, off offset:336
	v_add_f64_e32 v[4:5], v[4:5], v[138:139]
	v_add_f64_e32 v[8:9], v[8:9], v[140:141]
	s_wait_loadcnt_dscnt 0xb00
	v_mul_f64_e32 v[138:139], v[86:87], v[100:101]
	v_mul_f64_e32 v[100:101], v[88:89], v[100:101]
	v_fmac_f64_e32 v[134:135], v[80:81], v[94:95]
	v_fma_f64 v[140:141], v[78:79], v[94:95], -v[96:97]
	ds_load_b128 v[78:81], v2 offset:672
	ds_load_b128 v[94:97], v2 offset:688
	v_add_f64_e32 v[4:5], v[4:5], v[110:111]
	v_add_f64_e32 v[8:9], v[8:9], v[136:137]
	scratch_load_b128 v[110:113], off, off offset:352
	s_wait_loadcnt_dscnt 0xb01
	v_mul_f64_e32 v[136:137], v[78:79], v[104:105]
	v_mul_f64_e32 v[104:105], v[80:81], v[104:105]
	v_fmac_f64_e32 v[138:139], v[88:89], v[98:99]
	v_fma_f64 v[98:99], v[86:87], v[98:99], -v[100:101]
	scratch_load_b128 v[86:89], off, off offset:368
	v_add_f64_e32 v[4:5], v[4:5], v[140:141]
	v_add_f64_e32 v[8:9], v[8:9], v[134:135]
	s_wait_loadcnt_dscnt 0xb00
	v_mul_f64_e32 v[134:135], v[94:95], v[108:109]
	v_mul_f64_e32 v[108:109], v[96:97], v[108:109]
	v_fmac_f64_e32 v[136:137], v[80:81], v[102:103]
	v_fma_f64 v[140:141], v[78:79], v[102:103], -v[104:105]
	v_add_f64_e32 v[4:5], v[4:5], v[98:99]
	v_add_f64_e32 v[8:9], v[8:9], v[138:139]
	ds_load_b128 v[78:81], v2 offset:704
	ds_load_b128 v[98:101], v2 offset:720
	scratch_load_b128 v[102:105], off, off offset:384
	v_fmac_f64_e32 v[134:135], v[96:97], v[106:107]
	v_fma_f64 v[106:107], v[94:95], v[106:107], -v[108:109]
	scratch_load_b128 v[94:97], off, off offset:400
	s_wait_loadcnt_dscnt 0xc01
	v_mul_f64_e32 v[138:139], v[78:79], v[116:117]
	v_mul_f64_e32 v[116:117], v[80:81], v[116:117]
	v_add_f64_e32 v[4:5], v[4:5], v[140:141]
	v_add_f64_e32 v[8:9], v[8:9], v[136:137]
	s_wait_loadcnt_dscnt 0xa00
	v_mul_f64_e32 v[136:137], v[98:99], v[12:13]
	v_mul_f64_e32 v[12:13], v[100:101], v[12:13]
	v_fmac_f64_e32 v[138:139], v[80:81], v[114:115]
	v_fma_f64 v[140:141], v[78:79], v[114:115], -v[116:117]
	v_add_f64_e32 v[4:5], v[4:5], v[106:107]
	v_add_f64_e32 v[8:9], v[8:9], v[134:135]
	ds_load_b128 v[78:81], v2 offset:736
	ds_load_b128 v[106:109], v2 offset:752
	scratch_load_b128 v[114:117], off, off offset:416
	v_fmac_f64_e32 v[136:137], v[100:101], v[10:11]
	v_fma_f64 v[12:13], v[98:99], v[10:11], -v[12:13]
	s_wait_loadcnt_dscnt 0xa01
	v_mul_f64_e32 v[134:135], v[78:79], v[132:133]
	v_mul_f64_e32 v[132:133], v[80:81], v[132:133]
	v_add_f64_e32 v[4:5], v[4:5], v[140:141]
	v_add_f64_e32 v[98:99], v[8:9], v[138:139]
	scratch_load_b128 v[8:11], off, off offset:432
	s_wait_loadcnt_dscnt 0xa00
	v_mul_f64_e32 v[138:139], v[106:107], v[76:77]
	v_mul_f64_e32 v[140:141], v[108:109], v[76:77]
	v_fmac_f64_e32 v[134:135], v[80:81], v[130:131]
	v_fma_f64 v[80:81], v[78:79], v[130:131], -v[132:133]
	v_add_f64_e32 v[4:5], v[4:5], v[12:13]
	v_add_f64_e32 v[12:13], v[98:99], v[136:137]
	ds_load_b128 v[76:79], v2 offset:768
	ds_load_b128 v[98:101], v2 offset:784
	scratch_load_b128 v[130:133], off, off offset:448
	v_fmac_f64_e32 v[138:139], v[108:109], v[74:75]
	v_fma_f64 v[74:75], v[106:107], v[74:75], -v[140:141]
	scratch_load_b128 v[106:109], off, off offset:464
	s_wait_loadcnt_dscnt 0xb01
	v_mul_f64_e32 v[136:137], v[76:77], v[120:121]
	v_mul_f64_e32 v[120:121], v[78:79], v[120:121]
	v_add_f64_e32 v[4:5], v[4:5], v[80:81]
	v_add_f64_e32 v[12:13], v[12:13], v[134:135]
	s_wait_loadcnt_dscnt 0xa00
	v_mul_f64_e32 v[134:135], v[98:99], v[84:85]
	v_mul_f64_e32 v[84:85], v[100:101], v[84:85]
	v_fmac_f64_e32 v[136:137], v[78:79], v[118:119]
	v_fma_f64 v[118:119], v[76:77], v[118:119], -v[120:121]
	v_add_f64_e32 v[4:5], v[4:5], v[74:75]
	v_add_f64_e32 v[12:13], v[12:13], v[138:139]
	ds_load_b128 v[74:77], v2 offset:800
	ds_load_b128 v[78:81], v2 offset:816
	v_fmac_f64_e32 v[134:135], v[100:101], v[82:83]
	v_fma_f64 v[82:83], v[98:99], v[82:83], -v[84:85]
	s_wait_loadcnt_dscnt 0x901
	v_mul_f64_e32 v[120:121], v[74:75], v[128:129]
	v_mul_f64_e32 v[128:129], v[76:77], v[128:129]
	s_wait_loadcnt_dscnt 0x800
	v_mul_f64_e32 v[98:99], v[78:79], v[92:93]
	v_mul_f64_e32 v[92:93], v[80:81], v[92:93]
	v_add_f64_e32 v[4:5], v[4:5], v[118:119]
	v_add_f64_e32 v[12:13], v[12:13], v[136:137]
	v_fmac_f64_e32 v[120:121], v[76:77], v[126:127]
	v_fma_f64 v[100:101], v[74:75], v[126:127], -v[128:129]
	v_fmac_f64_e32 v[98:99], v[80:81], v[90:91]
	v_fma_f64 v[78:79], v[78:79], v[90:91], -v[92:93]
	v_add_f64_e32 v[4:5], v[4:5], v[82:83]
	v_add_f64_e32 v[12:13], v[12:13], v[134:135]
	ds_load_b128 v[74:77], v2 offset:832
	ds_load_b128 v[82:85], v2 offset:848
	s_wait_loadcnt_dscnt 0x701
	v_mul_f64_e32 v[118:119], v[74:75], v[112:113]
	v_mul_f64_e32 v[112:113], v[76:77], v[112:113]
	s_wait_loadcnt_dscnt 0x600
	v_mul_f64_e32 v[90:91], v[82:83], v[88:89]
	v_mul_f64_e32 v[88:89], v[84:85], v[88:89]
	v_add_f64_e32 v[4:5], v[4:5], v[100:101]
	v_add_f64_e32 v[12:13], v[12:13], v[120:121]
	v_fmac_f64_e32 v[118:119], v[76:77], v[110:111]
	v_fma_f64 v[92:93], v[74:75], v[110:111], -v[112:113]
	v_fmac_f64_e32 v[90:91], v[84:85], v[86:87]
	v_fma_f64 v[82:83], v[82:83], v[86:87], -v[88:89]
	v_add_f64_e32 v[4:5], v[4:5], v[78:79]
	v_add_f64_e32 v[12:13], v[12:13], v[98:99]
	ds_load_b128 v[74:77], v2 offset:864
	ds_load_b128 v[78:81], v2 offset:880
	s_wait_loadcnt_dscnt 0x501
	v_mul_f64_e32 v[98:99], v[74:75], v[104:105]
	v_mul_f64_e32 v[100:101], v[76:77], v[104:105]
	s_wait_loadcnt_dscnt 0x400
	v_mul_f64_e32 v[86:87], v[78:79], v[96:97]
	v_mul_f64_e32 v[88:89], v[80:81], v[96:97]
	v_add_f64_e32 v[4:5], v[4:5], v[92:93]
	v_add_f64_e32 v[12:13], v[12:13], v[118:119]
	v_fmac_f64_e32 v[98:99], v[76:77], v[102:103]
	v_fma_f64 v[92:93], v[74:75], v[102:103], -v[100:101]
	v_fmac_f64_e32 v[86:87], v[80:81], v[94:95]
	v_fma_f64 v[78:79], v[78:79], v[94:95], -v[88:89]
	v_add_f64_e32 v[4:5], v[4:5], v[82:83]
	v_add_f64_e32 v[12:13], v[12:13], v[90:91]
	ds_load_b128 v[74:77], v2 offset:896
	ds_load_b128 v[82:85], v2 offset:912
	s_wait_loadcnt_dscnt 0x301
	v_mul_f64_e32 v[90:91], v[74:75], v[116:117]
	v_mul_f64_e32 v[96:97], v[76:77], v[116:117]
	v_add_f64_e32 v[4:5], v[4:5], v[92:93]
	v_add_f64_e32 v[12:13], v[12:13], v[98:99]
	s_wait_loadcnt_dscnt 0x200
	v_mul_f64_e32 v[80:81], v[82:83], v[10:11]
	v_mul_f64_e32 v[88:89], v[84:85], v[10:11]
	v_fmac_f64_e32 v[90:91], v[76:77], v[114:115]
	v_fma_f64 v[74:75], v[74:75], v[114:115], -v[96:97]
	v_add_f64_e32 v[76:77], v[4:5], v[78:79]
	v_add_f64_e32 v[78:79], v[12:13], v[86:87]
	ds_load_b128 v[10:13], v2 offset:928
	ds_load_b128 v[2:5], v2 offset:944
	v_fmac_f64_e32 v[80:81], v[84:85], v[8:9]
	v_fma_f64 v[8:9], v[82:83], v[8:9], -v[88:89]
	s_wait_loadcnt_dscnt 0x101
	v_mul_f64_e32 v[86:87], v[10:11], v[132:133]
	v_mul_f64_e32 v[92:93], v[12:13], v[132:133]
	s_wait_loadcnt_dscnt 0x0
	v_mul_f64_e32 v[82:83], v[4:5], v[108:109]
	v_add_f64_e32 v[74:75], v[76:77], v[74:75]
	v_add_f64_e32 v[76:77], v[78:79], v[90:91]
	v_mul_f64_e32 v[78:79], v[2:3], v[108:109]
	v_fmac_f64_e32 v[86:87], v[12:13], v[130:131]
	v_fma_f64 v[10:11], v[10:11], v[130:131], -v[92:93]
	v_fma_f64 v[2:3], v[2:3], v[106:107], -v[82:83]
	v_add_f64_e32 v[8:9], v[74:75], v[8:9]
	v_add_f64_e32 v[12:13], v[76:77], v[80:81]
	v_fmac_f64_e32 v[78:79], v[4:5], v[106:107]
	s_delay_alu instid0(VALU_DEP_3) | instskip(NEXT) | instid1(VALU_DEP_3)
	v_add_f64_e32 v[4:5], v[8:9], v[10:11]
	v_add_f64_e32 v[8:9], v[12:13], v[86:87]
	s_delay_alu instid0(VALU_DEP_2) | instskip(NEXT) | instid1(VALU_DEP_2)
	v_add_f64_e32 v[2:3], v[4:5], v[2:3]
	v_add_f64_e32 v[4:5], v[8:9], v[78:79]
	s_delay_alu instid0(VALU_DEP_2) | instskip(NEXT) | instid1(VALU_DEP_2)
	v_add_f64_e64 v[2:3], v[122:123], -v[2:3]
	v_add_f64_e64 v[4:5], v[124:125], -v[4:5]
	scratch_store_b128 off, v[2:5], off offset:48
	s_wait_xcnt 0x0
	v_cmpx_lt_u32_e32 2, v1
	s_cbranch_execz .LBB29_189
; %bb.188:
	scratch_load_b128 v[2:5], off, s8
	v_mov_b32_e32 v8, 0
	s_delay_alu instid0(VALU_DEP_1)
	v_dual_mov_b32 v9, v8 :: v_dual_mov_b32 v10, v8
	v_mov_b32_e32 v11, v8
	scratch_store_b128 off, v[8:11], off offset:32
	s_wait_loadcnt 0x0
	ds_store_b128 v6, v[2:5]
.LBB29_189:
	s_wait_xcnt 0x0
	s_or_b32 exec_lo, exec_lo, s2
	s_wait_storecnt_dscnt 0x0
	s_barrier_signal -1
	s_barrier_wait -1
	s_clause 0x9
	scratch_load_b128 v[8:11], off, off offset:48
	scratch_load_b128 v[74:77], off, off offset:64
	;; [unrolled: 1-line block ×10, first 2 shown]
	v_mov_b32_e32 v2, 0
	s_mov_b32 s2, exec_lo
	v_dual_ashrrev_i32 v21, 31, v20 :: v_dual_ashrrev_i32 v19, 31, v18
	v_ashrrev_i32_e32 v23, 31, v22
	ds_load_b128 v[110:113], v2 offset:528
	s_clause 0x2
	scratch_load_b128 v[114:117], off, off offset:208
	scratch_load_b128 v[118:121], off, off offset:32
	;; [unrolled: 1-line block ×3, first 2 shown]
	v_ashrrev_i32_e32 v27, 31, v26
	v_ashrrev_i32_e32 v31, 31, v30
	v_dual_ashrrev_i32 v35, 31, v34 :: v_dual_ashrrev_i32 v25, 31, v24
	v_dual_ashrrev_i32 v29, 31, v28 :: v_dual_ashrrev_i32 v39, 31, v38
	;; [unrolled: 1-line block ×4, first 2 shown]
	v_ashrrev_i32_e32 v51, 31, v50
	v_ashrrev_i32_e32 v55, 31, v54
	v_dual_ashrrev_i32 v59, 31, v58 :: v_dual_ashrrev_i32 v41, 31, v40
	v_dual_ashrrev_i32 v45, 31, v44 :: v_dual_ashrrev_i32 v63, 31, v62
	;; [unrolled: 1-line block ×4, first 2 shown]
	v_ashrrev_i32_e32 v57, 31, v56
	v_ashrrev_i32_e32 v61, 31, v60
	;; [unrolled: 1-line block ×4, first 2 shown]
	s_wait_loadcnt_dscnt 0xc00
	v_dual_mul_f64 v[4:5], v[112:113], v[10:11] :: v_dual_ashrrev_i32 v73, 31, v72
	v_mul_f64_e32 v[134:135], v[110:111], v[10:11]
	ds_load_b128 v[122:125], v2 offset:544
	scratch_load_b128 v[10:13], off, off offset:224
	ds_load_b128 v[130:133], v2 offset:576
	v_fma_f64 v[4:5], v[110:111], v[8:9], -v[4:5]
	v_fmac_f64_e32 v[134:135], v[112:113], v[8:9]
	ds_load_b128 v[110:113], v2 offset:560
	s_wait_loadcnt_dscnt 0xc02
	v_mul_f64_e32 v[136:137], v[122:123], v[76:77]
	v_mul_f64_e32 v[76:77], v[124:125], v[76:77]
	s_wait_loadcnt_dscnt 0xb00
	v_mul_f64_e32 v[8:9], v[110:111], v[80:81]
	v_mul_f64_e32 v[80:81], v[112:113], v[80:81]
	v_add_f64_e32 v[4:5], 0, v[4:5]
	v_fmac_f64_e32 v[136:137], v[124:125], v[74:75]
	v_fma_f64 v[122:123], v[122:123], v[74:75], -v[76:77]
	v_add_f64_e32 v[124:125], 0, v[134:135]
	scratch_load_b128 v[74:77], off, off offset:256
	v_fmac_f64_e32 v[8:9], v[112:113], v[78:79]
	v_fma_f64 v[138:139], v[110:111], v[78:79], -v[80:81]
	ds_load_b128 v[78:81], v2 offset:592
	s_wait_loadcnt 0xb
	v_mul_f64_e32 v[134:135], v[130:131], v[84:85]
	v_mul_f64_e32 v[84:85], v[132:133], v[84:85]
	scratch_load_b128 v[110:113], off, off offset:272
	v_add_f64_e32 v[4:5], v[4:5], v[122:123]
	v_add_f64_e32 v[136:137], v[124:125], v[136:137]
	ds_load_b128 v[122:125], v2 offset:608
	s_wait_loadcnt_dscnt 0xb01
	v_mul_f64_e32 v[140:141], v[78:79], v[88:89]
	v_mul_f64_e32 v[88:89], v[80:81], v[88:89]
	v_fmac_f64_e32 v[134:135], v[132:133], v[82:83]
	v_fma_f64 v[130:131], v[130:131], v[82:83], -v[84:85]
	scratch_load_b128 v[82:85], off, off offset:288
	v_add_f64_e32 v[4:5], v[4:5], v[138:139]
	v_add_f64_e32 v[8:9], v[136:137], v[8:9]
	v_fmac_f64_e32 v[140:141], v[80:81], v[86:87]
	v_fma_f64 v[138:139], v[78:79], v[86:87], -v[88:89]
	ds_load_b128 v[78:81], v2 offset:624
	s_wait_loadcnt_dscnt 0xb01
	v_mul_f64_e32 v[136:137], v[122:123], v[92:93]
	v_mul_f64_e32 v[92:93], v[124:125], v[92:93]
	scratch_load_b128 v[86:89], off, off offset:304
	v_add_f64_e32 v[4:5], v[4:5], v[130:131]
	v_add_f64_e32 v[8:9], v[8:9], v[134:135]
	s_wait_loadcnt_dscnt 0xb00
	v_mul_f64_e32 v[134:135], v[78:79], v[96:97]
	v_mul_f64_e32 v[96:97], v[80:81], v[96:97]
	ds_load_b128 v[130:133], v2 offset:640
	v_fmac_f64_e32 v[136:137], v[124:125], v[90:91]
	v_fma_f64 v[122:123], v[122:123], v[90:91], -v[92:93]
	scratch_load_b128 v[90:93], off, off offset:320
	v_add_f64_e32 v[4:5], v[4:5], v[138:139]
	v_add_f64_e32 v[8:9], v[8:9], v[140:141]
	v_fmac_f64_e32 v[134:135], v[80:81], v[94:95]
	v_fma_f64 v[140:141], v[78:79], v[94:95], -v[96:97]
	ds_load_b128 v[78:81], v2 offset:656
	s_wait_loadcnt_dscnt 0xb01
	v_mul_f64_e32 v[138:139], v[130:131], v[100:101]
	v_mul_f64_e32 v[100:101], v[132:133], v[100:101]
	scratch_load_b128 v[94:97], off, off offset:336
	v_add_f64_e32 v[4:5], v[4:5], v[122:123]
	v_add_f64_e32 v[8:9], v[8:9], v[136:137]
	s_wait_loadcnt_dscnt 0xb00
	v_mul_f64_e32 v[136:137], v[78:79], v[104:105]
	v_mul_f64_e32 v[104:105], v[80:81], v[104:105]
	ds_load_b128 v[122:125], v2 offset:672
	;; [unrolled: 18-line block ×3, first 2 shown]
	v_fmac_f64_e32 v[134:135], v[124:125], v[106:107]
	v_fma_f64 v[122:123], v[122:123], v[106:107], -v[108:109]
	scratch_load_b128 v[106:109], off, off offset:384
	v_add_f64_e32 v[4:5], v[4:5], v[140:141]
	v_add_f64_e32 v[8:9], v[8:9], v[136:137]
	v_fmac_f64_e32 v[138:139], v[80:81], v[114:115]
	v_fma_f64 v[140:141], v[78:79], v[114:115], -v[116:117]
	ds_load_b128 v[78:81], v2 offset:720
	s_wait_loadcnt_dscnt 0x901
	v_mul_f64_e32 v[136:137], v[130:131], v[12:13]
	v_mul_f64_e32 v[12:13], v[132:133], v[12:13]
	scratch_load_b128 v[114:117], off, off offset:400
	v_add_f64_e32 v[4:5], v[4:5], v[122:123]
	v_add_f64_e32 v[8:9], v[8:9], v[134:135]
	s_wait_dscnt 0x0
	v_mul_f64_e32 v[134:135], v[78:79], v[128:129]
	v_mul_f64_e32 v[128:129], v[80:81], v[128:129]
	ds_load_b128 v[122:125], v2 offset:736
	v_fmac_f64_e32 v[136:137], v[132:133], v[10:11]
	v_fma_f64 v[12:13], v[130:131], v[10:11], -v[12:13]
	v_add_f64_e32 v[4:5], v[4:5], v[140:141]
	v_add_f64_e32 v[130:131], v[8:9], v[138:139]
	scratch_load_b128 v[8:11], off, off offset:416
	v_fmac_f64_e32 v[134:135], v[80:81], v[126:127]
	v_fma_f64 v[80:81], v[78:79], v[126:127], -v[128:129]
	scratch_load_b128 v[126:129], off, off offset:432
	v_add_f64_e32 v[4:5], v[4:5], v[12:13]
	v_add_f64_e32 v[12:13], v[130:131], v[136:137]
	ds_load_b128 v[130:133], v2 offset:768
	s_wait_loadcnt_dscnt 0xb01
	v_mul_f64_e32 v[138:139], v[122:123], v[76:77]
	v_mul_f64_e32 v[140:141], v[124:125], v[76:77]
	ds_load_b128 v[76:79], v2 offset:752
	s_wait_loadcnt_dscnt 0xa00
	v_mul_f64_e32 v[136:137], v[76:77], v[112:113]
	v_mul_f64_e32 v[112:113], v[78:79], v[112:113]
	v_add_f64_e32 v[4:5], v[4:5], v[80:81]
	v_add_f64_e32 v[12:13], v[12:13], v[134:135]
	s_wait_loadcnt 0x9
	v_mul_f64_e32 v[134:135], v[130:131], v[84:85]
	v_fmac_f64_e32 v[138:139], v[124:125], v[74:75]
	v_fma_f64 v[74:75], v[122:123], v[74:75], -v[140:141]
	scratch_load_b128 v[122:125], off, off offset:448
	v_mul_f64_e32 v[84:85], v[132:133], v[84:85]
	v_fmac_f64_e32 v[136:137], v[78:79], v[110:111]
	v_fma_f64 v[140:141], v[76:77], v[110:111], -v[112:113]
	scratch_load_b128 v[78:81], off, off offset:464
	ds_load_b128 v[110:113], v2 offset:800
	v_fmac_f64_e32 v[134:135], v[132:133], v[82:83]
	v_add_f64_e32 v[12:13], v[12:13], v[138:139]
	v_add_f64_e32 v[4:5], v[4:5], v[74:75]
	ds_load_b128 v[74:77], v2 offset:784
	v_fma_f64 v[82:83], v[130:131], v[82:83], -v[84:85]
	s_wait_loadcnt_dscnt 0xa00
	v_mul_f64_e32 v[138:139], v[74:75], v[88:89]
	v_mul_f64_e32 v[84:85], v[76:77], v[88:89]
	s_wait_loadcnt 0x9
	v_mul_f64_e32 v[88:89], v[110:111], v[92:93]
	v_mul_f64_e32 v[92:93], v[112:113], v[92:93]
	v_add_f64_e32 v[12:13], v[12:13], v[136:137]
	v_add_f64_e32 v[4:5], v[4:5], v[140:141]
	v_fmac_f64_e32 v[138:139], v[76:77], v[86:87]
	v_fma_f64 v[86:87], v[74:75], v[86:87], -v[84:85]
	v_fmac_f64_e32 v[88:89], v[112:113], v[90:91]
	v_fma_f64 v[90:91], v[110:111], v[90:91], -v[92:93]
	v_add_f64_e32 v[12:13], v[12:13], v[134:135]
	v_add_f64_e32 v[4:5], v[4:5], v[82:83]
	ds_load_b128 v[74:77], v2 offset:816
	ds_load_b128 v[82:85], v2 offset:832
	s_wait_loadcnt_dscnt 0x801
	v_mul_f64_e32 v[130:131], v[74:75], v[96:97]
	v_mul_f64_e32 v[96:97], v[76:77], v[96:97]
	s_wait_loadcnt_dscnt 0x700
	v_mul_f64_e32 v[92:93], v[82:83], v[100:101]
	v_mul_f64_e32 v[100:101], v[84:85], v[100:101]
	v_add_f64_e32 v[12:13], v[12:13], v[138:139]
	v_add_f64_e32 v[4:5], v[4:5], v[86:87]
	v_fmac_f64_e32 v[130:131], v[76:77], v[94:95]
	v_fma_f64 v[94:95], v[74:75], v[94:95], -v[96:97]
	v_fmac_f64_e32 v[92:93], v[84:85], v[98:99]
	v_fma_f64 v[82:83], v[82:83], v[98:99], -v[100:101]
	v_add_f64_e32 v[12:13], v[12:13], v[88:89]
	v_add_f64_e32 v[4:5], v[4:5], v[90:91]
	ds_load_b128 v[74:77], v2 offset:848
	ds_load_b128 v[86:89], v2 offset:864
	s_wait_loadcnt_dscnt 0x601
	v_mul_f64_e32 v[90:91], v[74:75], v[104:105]
	v_mul_f64_e32 v[96:97], v[76:77], v[104:105]
	s_wait_loadcnt_dscnt 0x500
	v_mul_f64_e32 v[98:99], v[88:89], v[108:109]
	v_add_f64_e32 v[12:13], v[12:13], v[130:131]
	v_add_f64_e32 v[4:5], v[4:5], v[94:95]
	v_mul_f64_e32 v[94:95], v[86:87], v[108:109]
	v_fmac_f64_e32 v[90:91], v[76:77], v[102:103]
	v_fma_f64 v[96:97], v[74:75], v[102:103], -v[96:97]
	v_fma_f64 v[86:87], v[86:87], v[106:107], -v[98:99]
	v_add_f64_e32 v[12:13], v[12:13], v[92:93]
	v_add_f64_e32 v[4:5], v[4:5], v[82:83]
	ds_load_b128 v[74:77], v2 offset:880
	ds_load_b128 v[82:85], v2 offset:896
	v_fmac_f64_e32 v[94:95], v[88:89], v[106:107]
	s_wait_loadcnt_dscnt 0x401
	v_mul_f64_e32 v[92:93], v[74:75], v[116:117]
	v_mul_f64_e32 v[100:101], v[76:77], v[116:117]
	s_wait_loadcnt_dscnt 0x300
	v_mul_f64_e32 v[88:89], v[82:83], v[10:11]
	v_add_f64_e32 v[12:13], v[12:13], v[90:91]
	v_add_f64_e32 v[4:5], v[4:5], v[96:97]
	v_mul_f64_e32 v[90:91], v[84:85], v[10:11]
	v_fmac_f64_e32 v[92:93], v[76:77], v[114:115]
	v_fma_f64 v[96:97], v[74:75], v[114:115], -v[100:101]
	v_fmac_f64_e32 v[88:89], v[84:85], v[8:9]
	v_add_f64_e32 v[4:5], v[4:5], v[86:87]
	v_add_f64_e32 v[86:87], v[12:13], v[94:95]
	ds_load_b128 v[10:13], v2 offset:912
	ds_load_b128 v[74:77], v2 offset:928
	v_fma_f64 v[8:9], v[82:83], v[8:9], -v[90:91]
	s_wait_loadcnt_dscnt 0x201
	v_mul_f64_e32 v[94:95], v[10:11], v[128:129]
	v_mul_f64_e32 v[98:99], v[12:13], v[128:129]
	v_add_f64_e32 v[4:5], v[4:5], v[96:97]
	v_add_f64_e32 v[82:83], v[86:87], v[92:93]
	s_wait_loadcnt_dscnt 0x100
	v_mul_f64_e32 v[84:85], v[74:75], v[124:125]
	v_mul_f64_e32 v[86:87], v[76:77], v[124:125]
	v_fmac_f64_e32 v[94:95], v[12:13], v[126:127]
	v_fma_f64 v[12:13], v[10:11], v[126:127], -v[98:99]
	v_add_f64_e32 v[4:5], v[4:5], v[8:9]
	v_add_f64_e32 v[82:83], v[82:83], v[88:89]
	ds_load_b128 v[8:11], v2 offset:944
	v_fmac_f64_e32 v[84:85], v[76:77], v[122:123]
	v_fma_f64 v[74:75], v[74:75], v[122:123], -v[86:87]
	s_wait_loadcnt_dscnt 0x0
	v_mul_f64_e32 v[88:89], v[8:9], v[80:81]
	v_mul_f64_e32 v[80:81], v[10:11], v[80:81]
	v_add_f64_e32 v[4:5], v[4:5], v[12:13]
	v_add_f64_e32 v[12:13], v[82:83], v[94:95]
	s_delay_alu instid0(VALU_DEP_4) | instskip(NEXT) | instid1(VALU_DEP_4)
	v_fmac_f64_e32 v[88:89], v[10:11], v[78:79]
	v_fma_f64 v[8:9], v[8:9], v[78:79], -v[80:81]
	s_delay_alu instid0(VALU_DEP_4) | instskip(NEXT) | instid1(VALU_DEP_4)
	v_add_f64_e32 v[4:5], v[4:5], v[74:75]
	v_add_f64_e32 v[10:11], v[12:13], v[84:85]
	s_delay_alu instid0(VALU_DEP_2) | instskip(NEXT) | instid1(VALU_DEP_2)
	v_add_f64_e32 v[4:5], v[4:5], v[8:9]
	v_add_f64_e32 v[10:11], v[10:11], v[88:89]
	s_delay_alu instid0(VALU_DEP_2) | instskip(NEXT) | instid1(VALU_DEP_2)
	v_add_f64_e64 v[8:9], v[118:119], -v[4:5]
	v_add_f64_e64 v[10:11], v[120:121], -v[10:11]
	scratch_store_b128 off, v[8:11], off offset:32
	s_wait_xcnt 0x0
	v_cmpx_lt_u32_e32 1, v1
	s_cbranch_execz .LBB29_191
; %bb.190:
	scratch_load_b128 v[8:11], off, s24
	v_dual_mov_b32 v3, v2 :: v_dual_mov_b32 v4, v2
	v_mov_b32_e32 v5, v2
	scratch_store_b128 off, v[2:5], off offset:16
	s_wait_loadcnt 0x0
	ds_store_b128 v6, v[8:11]
.LBB29_191:
	s_wait_xcnt 0x0
	s_or_b32 exec_lo, exec_lo, s2
	s_wait_storecnt_dscnt 0x0
	s_barrier_signal -1
	s_barrier_wait -1
	s_clause 0x9
	scratch_load_b128 v[8:11], off, off offset:32
	scratch_load_b128 v[74:77], off, off offset:48
	;; [unrolled: 1-line block ×10, first 2 shown]
	ds_load_b128 v[110:113], v2 offset:512
	s_clause 0x2
	scratch_load_b128 v[114:117], off, off offset:192
	scratch_load_b128 v[118:121], off, off offset:208
	;; [unrolled: 1-line block ×3, first 2 shown]
	s_mov_b32 s2, exec_lo
	s_wait_loadcnt_dscnt 0xc00
	v_mul_f64_e32 v[4:5], v[112:113], v[10:11]
	v_mul_f64_e32 v[126:127], v[110:111], v[10:11]
	ds_load_b128 v[10:13], v2 offset:528
	v_fma_f64 v[4:5], v[110:111], v[8:9], -v[4:5]
	v_fmac_f64_e32 v[126:127], v[112:113], v[8:9]
	ds_load_b128 v[110:113], v2 offset:544
	s_wait_loadcnt_dscnt 0xb01
	v_mul_f64_e32 v[128:129], v[10:11], v[76:77]
	v_mul_f64_e32 v[76:77], v[12:13], v[76:77]
	s_wait_loadcnt_dscnt 0xa00
	v_mul_f64_e32 v[130:131], v[110:111], v[80:81]
	v_mul_f64_e32 v[80:81], v[112:113], v[80:81]
	v_add_f64_e32 v[4:5], 0, v[4:5]
	v_add_f64_e32 v[126:127], 0, v[126:127]
	v_fmac_f64_e32 v[128:129], v[12:13], v[74:75]
	v_fma_f64 v[12:13], v[10:11], v[74:75], -v[76:77]
	ds_load_b128 v[8:11], v2 offset:560
	scratch_load_b128 v[74:77], off, off offset:240
	v_fmac_f64_e32 v[130:131], v[112:113], v[78:79]
	v_fma_f64 v[134:135], v[110:111], v[78:79], -v[80:81]
	ds_load_b128 v[78:81], v2 offset:576
	s_wait_loadcnt_dscnt 0xa01
	v_mul_f64_e32 v[132:133], v[8:9], v[84:85]
	v_mul_f64_e32 v[84:85], v[10:11], v[84:85]
	scratch_load_b128 v[110:113], off, off offset:256
	v_add_f64_e32 v[4:5], v[4:5], v[12:13]
	v_add_f64_e32 v[12:13], v[126:127], v[128:129]
	s_wait_loadcnt_dscnt 0xa00
	v_mul_f64_e32 v[126:127], v[78:79], v[88:89]
	v_mul_f64_e32 v[88:89], v[80:81], v[88:89]
	v_fmac_f64_e32 v[132:133], v[10:11], v[82:83]
	v_fma_f64 v[128:129], v[8:9], v[82:83], -v[84:85]
	ds_load_b128 v[8:11], v2 offset:592
	scratch_load_b128 v[82:85], off, off offset:272
	v_add_f64_e32 v[4:5], v[4:5], v[134:135]
	v_add_f64_e32 v[12:13], v[12:13], v[130:131]
	v_fmac_f64_e32 v[126:127], v[80:81], v[86:87]
	v_fma_f64 v[134:135], v[78:79], v[86:87], -v[88:89]
	ds_load_b128 v[78:81], v2 offset:608
	s_wait_loadcnt_dscnt 0xa01
	v_mul_f64_e32 v[130:131], v[8:9], v[92:93]
	v_mul_f64_e32 v[92:93], v[10:11], v[92:93]
	scratch_load_b128 v[86:89], off, off offset:288
	v_add_f64_e32 v[4:5], v[4:5], v[128:129]
	v_add_f64_e32 v[12:13], v[12:13], v[132:133]
	s_wait_loadcnt_dscnt 0xa00
	v_mul_f64_e32 v[128:129], v[78:79], v[96:97]
	v_mul_f64_e32 v[96:97], v[80:81], v[96:97]
	v_fmac_f64_e32 v[130:131], v[10:11], v[90:91]
	v_fma_f64 v[132:133], v[8:9], v[90:91], -v[92:93]
	ds_load_b128 v[8:11], v2 offset:624
	scratch_load_b128 v[90:93], off, off offset:304
	v_add_f64_e32 v[4:5], v[4:5], v[134:135]
	v_add_f64_e32 v[12:13], v[12:13], v[126:127]
	;; [unrolled: 18-line block ×5, first 2 shown]
	s_wait_loadcnt_dscnt 0xa00
	v_mul_f64_e32 v[134:135], v[8:9], v[76:77]
	v_mul_f64_e32 v[126:127], v[10:11], v[76:77]
	v_fmac_f64_e32 v[128:129], v[80:81], v[122:123]
	v_fma_f64 v[80:81], v[78:79], v[122:123], -v[124:125]
	ds_load_b128 v[76:79], v2 offset:736
	scratch_load_b128 v[122:125], off, off offset:416
	v_add_f64_e32 v[4:5], v[4:5], v[132:133]
	v_add_f64_e32 v[12:13], v[12:13], v[130:131]
	v_fmac_f64_e32 v[134:135], v[10:11], v[74:75]
	v_fma_f64 v[74:75], v[8:9], v[74:75], -v[126:127]
	ds_load_b128 v[8:11], v2 offset:752
	s_wait_loadcnt_dscnt 0xa01
	v_mul_f64_e32 v[130:131], v[76:77], v[112:113]
	v_mul_f64_e32 v[112:113], v[78:79], v[112:113]
	s_wait_loadcnt_dscnt 0x900
	v_mul_f64_e32 v[132:133], v[8:9], v[84:85]
	v_mul_f64_e32 v[84:85], v[10:11], v[84:85]
	v_add_f64_e32 v[4:5], v[4:5], v[80:81]
	v_add_f64_e32 v[12:13], v[12:13], v[128:129]
	scratch_load_b128 v[126:129], off, off offset:432
	v_fmac_f64_e32 v[130:131], v[78:79], v[110:111]
	v_fma_f64 v[110:111], v[76:77], v[110:111], -v[112:113]
	scratch_load_b128 v[78:81], off, off offset:448
	v_fmac_f64_e32 v[132:133], v[10:11], v[82:83]
	v_add_f64_e32 v[4:5], v[4:5], v[74:75]
	ds_load_b128 v[74:77], v2 offset:768
	v_add_f64_e32 v[12:13], v[12:13], v[134:135]
	v_fma_f64 v[134:135], v[8:9], v[82:83], -v[84:85]
	ds_load_b128 v[8:11], v2 offset:784
	scratch_load_b128 v[82:85], off, off offset:464
	s_wait_loadcnt_dscnt 0xb01
	v_mul_f64_e32 v[112:113], v[74:75], v[88:89]
	v_mul_f64_e32 v[88:89], v[76:77], v[88:89]
	v_add_f64_e32 v[4:5], v[4:5], v[110:111]
	v_add_f64_e32 v[12:13], v[12:13], v[130:131]
	s_delay_alu instid0(VALU_DEP_4) | instskip(NEXT) | instid1(VALU_DEP_4)
	v_fmac_f64_e32 v[112:113], v[76:77], v[86:87]
	v_fma_f64 v[86:87], v[74:75], v[86:87], -v[88:89]
	ds_load_b128 v[74:77], v2 offset:800
	v_add_f64_e32 v[4:5], v[4:5], v[134:135]
	v_add_f64_e32 v[12:13], v[12:13], v[132:133]
	s_wait_loadcnt_dscnt 0x900
	v_mul_f64_e32 v[130:131], v[74:75], v[96:97]
	v_mul_f64_e32 v[88:89], v[76:77], v[96:97]
	s_delay_alu instid0(VALU_DEP_4) | instskip(NEXT) | instid1(VALU_DEP_4)
	v_add_f64_e32 v[4:5], v[4:5], v[86:87]
	v_add_f64_e32 v[12:13], v[12:13], v[112:113]
	s_delay_alu instid0(VALU_DEP_4) | instskip(NEXT) | instid1(VALU_DEP_4)
	v_fmac_f64_e32 v[130:131], v[76:77], v[94:95]
	v_fma_f64 v[94:95], v[74:75], v[94:95], -v[88:89]
	scratch_load_b128 v[86:89], off, off offset:16
	v_mul_f64_e32 v[110:111], v[8:9], v[92:93]
	v_mul_f64_e32 v[92:93], v[10:11], v[92:93]
	ds_load_b128 v[74:77], v2 offset:832
	v_fmac_f64_e32 v[110:111], v[10:11], v[90:91]
	v_fma_f64 v[90:91], v[8:9], v[90:91], -v[92:93]
	ds_load_b128 v[8:11], v2 offset:816
	s_wait_loadcnt_dscnt 0x900
	v_mul_f64_e32 v[92:93], v[8:9], v[100:101]
	v_mul_f64_e32 v[96:97], v[10:11], v[100:101]
	s_wait_loadcnt 0x8
	v_mul_f64_e32 v[100:101], v[76:77], v[104:105]
	v_add_f64_e32 v[12:13], v[12:13], v[110:111]
	v_add_f64_e32 v[4:5], v[4:5], v[90:91]
	v_mul_f64_e32 v[90:91], v[74:75], v[104:105]
	v_fmac_f64_e32 v[92:93], v[10:11], v[98:99]
	v_fma_f64 v[96:97], v[8:9], v[98:99], -v[96:97]
	ds_load_b128 v[8:11], v2 offset:848
	v_fma_f64 v[100:101], v[74:75], v[102:103], -v[100:101]
	v_add_f64_e32 v[12:13], v[12:13], v[130:131]
	v_add_f64_e32 v[4:5], v[4:5], v[94:95]
	v_fmac_f64_e32 v[90:91], v[76:77], v[102:103]
	ds_load_b128 v[74:77], v2 offset:864
	s_wait_loadcnt_dscnt 0x701
	v_mul_f64_e32 v[94:95], v[8:9], v[108:109]
	v_mul_f64_e32 v[98:99], v[10:11], v[108:109]
	v_add_f64_e32 v[12:13], v[12:13], v[92:93]
	v_add_f64_e32 v[4:5], v[4:5], v[96:97]
	s_wait_loadcnt_dscnt 0x600
	v_mul_f64_e32 v[92:93], v[74:75], v[116:117]
	v_mul_f64_e32 v[96:97], v[76:77], v[116:117]
	v_fmac_f64_e32 v[94:95], v[10:11], v[106:107]
	v_fma_f64 v[98:99], v[8:9], v[106:107], -v[98:99]
	ds_load_b128 v[8:11], v2 offset:880
	v_add_f64_e32 v[12:13], v[12:13], v[90:91]
	v_add_f64_e32 v[4:5], v[4:5], v[100:101]
	v_fmac_f64_e32 v[92:93], v[76:77], v[114:115]
	v_fma_f64 v[96:97], v[74:75], v[114:115], -v[96:97]
	ds_load_b128 v[74:77], v2 offset:896
	s_wait_loadcnt_dscnt 0x501
	v_mul_f64_e32 v[90:91], v[8:9], v[120:121]
	v_mul_f64_e32 v[100:101], v[10:11], v[120:121]
	v_add_f64_e32 v[12:13], v[12:13], v[94:95]
	v_add_f64_e32 v[4:5], v[4:5], v[98:99]
	s_wait_loadcnt_dscnt 0x400
	v_mul_f64_e32 v[94:95], v[74:75], v[124:125]
	v_mul_f64_e32 v[98:99], v[76:77], v[124:125]
	v_fmac_f64_e32 v[90:91], v[10:11], v[118:119]
	v_fma_f64 v[100:101], v[8:9], v[118:119], -v[100:101]
	ds_load_b128 v[8:11], v2 offset:912
	v_add_f64_e32 v[12:13], v[12:13], v[92:93]
	v_add_f64_e32 v[4:5], v[4:5], v[96:97]
	v_fmac_f64_e32 v[94:95], v[76:77], v[122:123]
	v_fma_f64 v[98:99], v[74:75], v[122:123], -v[98:99]
	ds_load_b128 v[74:77], v2 offset:928
	s_wait_loadcnt_dscnt 0x301
	v_mul_f64_e32 v[92:93], v[8:9], v[128:129]
	v_mul_f64_e32 v[96:97], v[10:11], v[128:129]
	v_add_f64_e32 v[12:13], v[12:13], v[90:91]
	v_add_f64_e32 v[4:5], v[4:5], v[100:101]
	s_wait_loadcnt_dscnt 0x200
	v_mul_f64_e32 v[90:91], v[74:75], v[80:81]
	v_mul_f64_e32 v[80:81], v[76:77], v[80:81]
	v_fmac_f64_e32 v[92:93], v[10:11], v[126:127]
	v_fma_f64 v[8:9], v[8:9], v[126:127], -v[96:97]
	v_add_f64_e32 v[12:13], v[12:13], v[94:95]
	v_add_f64_e32 v[10:11], v[4:5], v[98:99]
	ds_load_b128 v[2:5], v2 offset:944
	v_fmac_f64_e32 v[90:91], v[76:77], v[78:79]
	v_fma_f64 v[74:75], v[74:75], v[78:79], -v[80:81]
	s_wait_loadcnt_dscnt 0x100
	v_mul_f64_e32 v[94:95], v[2:3], v[84:85]
	v_mul_f64_e32 v[84:85], v[4:5], v[84:85]
	v_add_f64_e32 v[8:9], v[10:11], v[8:9]
	v_add_f64_e32 v[10:11], v[12:13], v[92:93]
	s_delay_alu instid0(VALU_DEP_4) | instskip(NEXT) | instid1(VALU_DEP_4)
	v_fmac_f64_e32 v[94:95], v[4:5], v[82:83]
	v_fma_f64 v[2:3], v[2:3], v[82:83], -v[84:85]
	s_delay_alu instid0(VALU_DEP_4) | instskip(NEXT) | instid1(VALU_DEP_4)
	v_add_f64_e32 v[4:5], v[8:9], v[74:75]
	v_add_f64_e32 v[8:9], v[10:11], v[90:91]
	s_delay_alu instid0(VALU_DEP_2) | instskip(NEXT) | instid1(VALU_DEP_2)
	v_add_f64_e32 v[2:3], v[4:5], v[2:3]
	v_add_f64_e32 v[4:5], v[8:9], v[94:95]
	s_wait_loadcnt 0x0
	s_delay_alu instid0(VALU_DEP_2) | instskip(NEXT) | instid1(VALU_DEP_2)
	v_add_f64_e64 v[2:3], v[86:87], -v[2:3]
	v_add_f64_e64 v[4:5], v[88:89], -v[4:5]
	scratch_store_b128 off, v[2:5], off offset:16
	s_wait_xcnt 0x0
	v_cmpx_ne_u32_e32 0, v1
	s_cbranch_execz .LBB29_193
; %bb.192:
	scratch_load_b128 v[2:5], off, off
	v_mov_b32_e32 v8, 0
	s_delay_alu instid0(VALU_DEP_1)
	v_dual_mov_b32 v9, v8 :: v_dual_mov_b32 v10, v8
	v_mov_b32_e32 v11, v8
	scratch_store_b128 off, v[8:11], off
	s_wait_loadcnt 0x0
	ds_store_b128 v6, v[2:5]
.LBB29_193:
	s_wait_xcnt 0x0
	s_or_b32 exec_lo, exec_lo, s2
	s_wait_storecnt_dscnt 0x0
	s_barrier_signal -1
	s_barrier_wait -1
	s_clause 0x9
	scratch_load_b128 v[2:5], off, off offset:16
	scratch_load_b128 v[6:9], off, off offset:32
	;; [unrolled: 1-line block ×10, first 2 shown]
	v_mov_b32_e32 v84, 0
	s_and_b32 vcc_lo, exec_lo, s42
	ds_load_b128 v[106:109], v84 offset:496
	s_clause 0x2
	scratch_load_b128 v[110:113], off, off offset:176
	scratch_load_b128 v[114:117], off, off
	scratch_load_b128 v[122:125], off, off offset:192
	s_wait_loadcnt_dscnt 0xc00
	v_mul_f64_e32 v[82:83], v[108:109], v[4:5]
	v_mul_f64_e32 v[130:131], v[106:107], v[4:5]
	ds_load_b128 v[118:121], v84 offset:512
	ds_load_b128 v[126:129], v84 offset:544
	v_fma_f64 v[82:83], v[106:107], v[2:3], -v[82:83]
	v_fmac_f64_e32 v[130:131], v[108:109], v[2:3]
	ds_load_b128 v[2:5], v84 offset:528
	s_wait_loadcnt_dscnt 0xb02
	v_mul_f64_e32 v[132:133], v[118:119], v[8:9]
	v_mul_f64_e32 v[8:9], v[120:121], v[8:9]
	scratch_load_b128 v[106:109], off, off offset:208
	s_wait_loadcnt_dscnt 0xb00
	v_mul_f64_e32 v[134:135], v[2:3], v[12:13]
	v_mul_f64_e32 v[12:13], v[4:5], v[12:13]
	v_add_f64_e32 v[82:83], 0, v[82:83]
	v_fmac_f64_e32 v[132:133], v[120:121], v[6:7]
	v_fma_f64 v[118:119], v[118:119], v[6:7], -v[8:9]
	v_add_f64_e32 v[120:121], 0, v[130:131]
	scratch_load_b128 v[6:9], off, off offset:224
	v_fmac_f64_e32 v[134:135], v[4:5], v[10:11]
	v_fma_f64 v[136:137], v[2:3], v[10:11], -v[12:13]
	ds_load_b128 v[2:5], v84 offset:560
	s_wait_loadcnt 0xb
	v_mul_f64_e32 v[130:131], v[126:127], v[76:77]
	v_mul_f64_e32 v[76:77], v[128:129], v[76:77]
	scratch_load_b128 v[10:13], off, off offset:240
	v_add_f64_e32 v[82:83], v[82:83], v[118:119]
	v_add_f64_e32 v[132:133], v[120:121], v[132:133]
	ds_load_b128 v[118:121], v84 offset:576
	s_wait_loadcnt_dscnt 0xb01
	v_mul_f64_e32 v[138:139], v[2:3], v[80:81]
	v_mul_f64_e32 v[80:81], v[4:5], v[80:81]
	v_fmac_f64_e32 v[130:131], v[128:129], v[74:75]
	v_fma_f64 v[126:127], v[126:127], v[74:75], -v[76:77]
	scratch_load_b128 v[74:77], off, off offset:256
	v_add_f64_e32 v[82:83], v[82:83], v[136:137]
	v_add_f64_e32 v[128:129], v[132:133], v[134:135]
	v_fmac_f64_e32 v[138:139], v[4:5], v[78:79]
	v_fma_f64 v[134:135], v[2:3], v[78:79], -v[80:81]
	ds_load_b128 v[2:5], v84 offset:592
	s_wait_loadcnt_dscnt 0xb01
	v_mul_f64_e32 v[132:133], v[118:119], v[88:89]
	v_mul_f64_e32 v[88:89], v[120:121], v[88:89]
	scratch_load_b128 v[78:81], off, off offset:272
	s_wait_loadcnt_dscnt 0xb00
	v_mul_f64_e32 v[136:137], v[2:3], v[92:93]
	v_mul_f64_e32 v[92:93], v[4:5], v[92:93]
	v_add_f64_e32 v[82:83], v[82:83], v[126:127]
	v_add_f64_e32 v[130:131], v[128:129], v[130:131]
	ds_load_b128 v[126:129], v84 offset:608
	v_fmac_f64_e32 v[132:133], v[120:121], v[86:87]
	v_fma_f64 v[118:119], v[118:119], v[86:87], -v[88:89]
	scratch_load_b128 v[86:89], off, off offset:288
	v_fmac_f64_e32 v[136:137], v[4:5], v[90:91]
	v_add_f64_e32 v[82:83], v[82:83], v[134:135]
	v_add_f64_e32 v[120:121], v[130:131], v[138:139]
	v_fma_f64 v[134:135], v[2:3], v[90:91], -v[92:93]
	ds_load_b128 v[2:5], v84 offset:624
	s_wait_loadcnt_dscnt 0xb01
	v_mul_f64_e32 v[130:131], v[126:127], v[96:97]
	v_mul_f64_e32 v[96:97], v[128:129], v[96:97]
	scratch_load_b128 v[90:93], off, off offset:304
	s_wait_loadcnt_dscnt 0xb00
	v_mul_f64_e32 v[138:139], v[2:3], v[100:101]
	v_mul_f64_e32 v[100:101], v[4:5], v[100:101]
	v_add_f64_e32 v[82:83], v[82:83], v[118:119]
	v_add_f64_e32 v[132:133], v[120:121], v[132:133]
	ds_load_b128 v[118:121], v84 offset:640
	v_fmac_f64_e32 v[130:131], v[128:129], v[94:95]
	v_fma_f64 v[126:127], v[126:127], v[94:95], -v[96:97]
	scratch_load_b128 v[94:97], off, off offset:320
	v_fmac_f64_e32 v[138:139], v[4:5], v[98:99]
	v_add_f64_e32 v[82:83], v[82:83], v[134:135]
	v_add_f64_e32 v[128:129], v[132:133], v[136:137]
	;; [unrolled: 18-line block ×3, first 2 shown]
	v_fma_f64 v[134:135], v[2:3], v[110:111], -v[112:113]
	ds_load_b128 v[2:5], v84 offset:688
	s_wait_loadcnt_dscnt 0xa01
	v_mul_f64_e32 v[130:131], v[126:127], v[124:125]
	v_mul_f64_e32 v[124:125], v[128:129], v[124:125]
	scratch_load_b128 v[110:113], off, off offset:368
	v_add_f64_e32 v[82:83], v[82:83], v[118:119]
	v_add_f64_e32 v[132:133], v[120:121], v[132:133]
	s_wait_loadcnt_dscnt 0xa00
	v_mul_f64_e32 v[138:139], v[2:3], v[108:109]
	v_mul_f64_e32 v[108:109], v[4:5], v[108:109]
	v_fmac_f64_e32 v[130:131], v[128:129], v[122:123]
	v_fma_f64 v[126:127], v[126:127], v[122:123], -v[124:125]
	ds_load_b128 v[118:121], v84 offset:704
	scratch_load_b128 v[122:125], off, off offset:384
	v_add_f64_e32 v[82:83], v[82:83], v[134:135]
	v_add_f64_e32 v[128:129], v[132:133], v[136:137]
	v_fmac_f64_e32 v[138:139], v[4:5], v[106:107]
	v_fma_f64 v[134:135], v[2:3], v[106:107], -v[108:109]
	ds_load_b128 v[2:5], v84 offset:720
	s_wait_loadcnt_dscnt 0xa01
	v_mul_f64_e32 v[132:133], v[118:119], v[8:9]
	v_mul_f64_e32 v[8:9], v[120:121], v[8:9]
	scratch_load_b128 v[106:109], off, off offset:400
	s_wait_loadcnt_dscnt 0xa00
	v_mul_f64_e32 v[136:137], v[2:3], v[12:13]
	v_mul_f64_e32 v[12:13], v[4:5], v[12:13]
	v_add_f64_e32 v[82:83], v[82:83], v[126:127]
	v_add_f64_e32 v[130:131], v[128:129], v[130:131]
	ds_load_b128 v[126:129], v84 offset:736
	v_fmac_f64_e32 v[132:133], v[120:121], v[6:7]
	v_fma_f64 v[118:119], v[118:119], v[6:7], -v[8:9]
	scratch_load_b128 v[6:9], off, off offset:416
	v_fmac_f64_e32 v[136:137], v[4:5], v[10:11]
	v_add_f64_e32 v[82:83], v[82:83], v[134:135]
	v_add_f64_e32 v[120:121], v[130:131], v[138:139]
	v_fma_f64 v[134:135], v[2:3], v[10:11], -v[12:13]
	ds_load_b128 v[2:5], v84 offset:752
	s_wait_loadcnt_dscnt 0xa01
	v_mul_f64_e32 v[130:131], v[126:127], v[76:77]
	v_mul_f64_e32 v[76:77], v[128:129], v[76:77]
	scratch_load_b128 v[10:13], off, off offset:432
	s_wait_loadcnt_dscnt 0xa00
	v_mul_f64_e32 v[138:139], v[2:3], v[80:81]
	v_mul_f64_e32 v[80:81], v[4:5], v[80:81]
	v_add_f64_e32 v[82:83], v[82:83], v[118:119]
	v_add_f64_e32 v[132:133], v[120:121], v[132:133]
	ds_load_b128 v[118:121], v84 offset:768
	v_fmac_f64_e32 v[130:131], v[128:129], v[74:75]
	v_fma_f64 v[126:127], v[126:127], v[74:75], -v[76:77]
	scratch_load_b128 v[74:77], off, off offset:448
	v_fmac_f64_e32 v[138:139], v[4:5], v[78:79]
	v_add_f64_e32 v[82:83], v[82:83], v[134:135]
	v_add_f64_e32 v[128:129], v[132:133], v[136:137]
	v_fma_f64 v[134:135], v[2:3], v[78:79], -v[80:81]
	ds_load_b128 v[2:5], v84 offset:784
	s_wait_loadcnt_dscnt 0xa01
	v_mul_f64_e32 v[132:133], v[118:119], v[88:89]
	v_mul_f64_e32 v[88:89], v[120:121], v[88:89]
	scratch_load_b128 v[78:81], off, off offset:464
	s_wait_loadcnt_dscnt 0xa00
	v_mul_f64_e32 v[136:137], v[2:3], v[92:93]
	v_mul_f64_e32 v[92:93], v[4:5], v[92:93]
	v_add_f64_e32 v[82:83], v[82:83], v[126:127]
	v_add_f64_e32 v[130:131], v[128:129], v[130:131]
	ds_load_b128 v[126:129], v84 offset:800
	v_fmac_f64_e32 v[132:133], v[120:121], v[86:87]
	v_fma_f64 v[86:87], v[118:119], v[86:87], -v[88:89]
	s_wait_loadcnt_dscnt 0x900
	v_mul_f64_e32 v[118:119], v[126:127], v[96:97]
	v_mul_f64_e32 v[96:97], v[128:129], v[96:97]
	v_fmac_f64_e32 v[136:137], v[4:5], v[90:91]
	v_fma_f64 v[90:91], v[2:3], v[90:91], -v[92:93]
	v_add_f64_e32 v[82:83], v[82:83], v[134:135]
	v_add_f64_e32 v[88:89], v[130:131], v[138:139]
	v_fmac_f64_e32 v[118:119], v[128:129], v[94:95]
	v_fma_f64 v[94:95], v[126:127], v[94:95], -v[96:97]
	s_delay_alu instid0(VALU_DEP_4) | instskip(NEXT) | instid1(VALU_DEP_4)
	v_add_f64_e32 v[82:83], v[82:83], v[86:87]
	v_add_f64_e32 v[92:93], v[88:89], v[132:133]
	ds_load_b128 v[2:5], v84 offset:816
	ds_load_b128 v[86:89], v84 offset:832
	s_wait_loadcnt_dscnt 0x801
	v_mul_f64_e32 v[120:121], v[2:3], v[100:101]
	v_mul_f64_e32 v[100:101], v[4:5], v[100:101]
	s_wait_loadcnt_dscnt 0x700
	v_mul_f64_e32 v[96:97], v[86:87], v[104:105]
	v_mul_f64_e32 v[104:105], v[88:89], v[104:105]
	v_add_f64_e32 v[82:83], v[82:83], v[90:91]
	v_add_f64_e32 v[90:91], v[92:93], v[136:137]
	v_fmac_f64_e32 v[120:121], v[4:5], v[98:99]
	v_fma_f64 v[98:99], v[2:3], v[98:99], -v[100:101]
	v_fmac_f64_e32 v[96:97], v[88:89], v[102:103]
	v_fma_f64 v[86:87], v[86:87], v[102:103], -v[104:105]
	v_add_f64_e32 v[82:83], v[82:83], v[94:95]
	v_add_f64_e32 v[94:95], v[90:91], v[118:119]
	ds_load_b128 v[2:5], v84 offset:848
	ds_load_b128 v[90:93], v84 offset:864
	s_wait_loadcnt_dscnt 0x601
	v_mul_f64_e32 v[100:101], v[2:3], v[112:113]
	v_mul_f64_e32 v[112:113], v[4:5], v[112:113]
	v_add_f64_e32 v[82:83], v[82:83], v[98:99]
	v_add_f64_e32 v[88:89], v[94:95], v[120:121]
	s_wait_loadcnt_dscnt 0x500
	v_mul_f64_e32 v[94:95], v[90:91], v[124:125]
	v_mul_f64_e32 v[98:99], v[92:93], v[124:125]
	v_fmac_f64_e32 v[100:101], v[4:5], v[110:111]
	v_fma_f64 v[102:103], v[2:3], v[110:111], -v[112:113]
	v_add_f64_e32 v[82:83], v[82:83], v[86:87]
	v_add_f64_e32 v[96:97], v[88:89], v[96:97]
	ds_load_b128 v[2:5], v84 offset:880
	ds_load_b128 v[86:89], v84 offset:896
	v_fmac_f64_e32 v[94:95], v[92:93], v[122:123]
	v_fma_f64 v[90:91], v[90:91], v[122:123], -v[98:99]
	s_wait_loadcnt_dscnt 0x401
	v_mul_f64_e32 v[104:105], v[2:3], v[108:109]
	v_mul_f64_e32 v[108:109], v[4:5], v[108:109]
	v_add_f64_e32 v[82:83], v[82:83], v[102:103]
	v_add_f64_e32 v[92:93], v[96:97], v[100:101]
	s_wait_loadcnt_dscnt 0x300
	v_mul_f64_e32 v[96:97], v[86:87], v[8:9]
	v_mul_f64_e32 v[8:9], v[88:89], v[8:9]
	v_fmac_f64_e32 v[104:105], v[4:5], v[106:107]
	v_fma_f64 v[98:99], v[2:3], v[106:107], -v[108:109]
	v_add_f64_e32 v[82:83], v[82:83], v[90:91]
	v_add_f64_e32 v[94:95], v[92:93], v[94:95]
	ds_load_b128 v[2:5], v84 offset:912
	ds_load_b128 v[90:93], v84 offset:928
	v_fmac_f64_e32 v[96:97], v[88:89], v[6:7]
	v_fma_f64 v[6:7], v[86:87], v[6:7], -v[8:9]
	s_wait_loadcnt_dscnt 0x201
	v_mul_f64_e32 v[100:101], v[2:3], v[12:13]
	v_mul_f64_e32 v[12:13], v[4:5], v[12:13]
	s_wait_loadcnt_dscnt 0x100
	v_mul_f64_e32 v[86:87], v[90:91], v[76:77]
	v_mul_f64_e32 v[76:77], v[92:93], v[76:77]
	v_add_f64_e32 v[8:9], v[82:83], v[98:99]
	v_add_f64_e32 v[82:83], v[94:95], v[104:105]
	v_fmac_f64_e32 v[100:101], v[4:5], v[10:11]
	v_fma_f64 v[10:11], v[2:3], v[10:11], -v[12:13]
	ds_load_b128 v[2:5], v84 offset:944
	v_fmac_f64_e32 v[86:87], v[92:93], v[74:75]
	v_fma_f64 v[74:75], v[90:91], v[74:75], -v[76:77]
	v_lshl_add_u64 v[76:77], v[22:23], 4, s[4:5]
	v_lshl_add_u64 v[22:23], v[44:45], 4, s[4:5]
	;; [unrolled: 1-line block ×3, first 2 shown]
	v_add_f64_e32 v[6:7], v[8:9], v[6:7]
	v_add_f64_e32 v[8:9], v[82:83], v[96:97]
	v_lshl_add_u64 v[82:83], v[18:19], 4, s[4:5]
	v_lshl_add_u64 v[18:19], v[40:41], 4, s[4:5]
	;; [unrolled: 1-line block ×3, first 2 shown]
	s_wait_loadcnt_dscnt 0x0
	v_mul_f64_e32 v[12:13], v[2:3], v[80:81]
	v_mul_f64_e32 v[80:81], v[4:5], v[80:81]
	v_add_f64_e32 v[6:7], v[6:7], v[10:11]
	v_add_f64_e32 v[8:9], v[8:9], v[100:101]
	v_lshl_add_u64 v[10:11], v[36:37], 4, s[4:5]
	v_lshl_add_u64 v[36:37], v[58:59], 4, s[4:5]
	v_fmac_f64_e32 v[12:13], v[4:5], v[78:79]
	v_fma_f64 v[2:3], v[2:3], v[78:79], -v[80:81]
	v_lshl_add_u64 v[80:81], v[20:21], 4, s[4:5]
	v_lshl_add_u64 v[78:79], v[24:25], 4, s[4:5]
	;; [unrolled: 1-line block ×6, first 2 shown]
	v_add_f64_e32 v[4:5], v[6:7], v[74:75]
	v_add_f64_e32 v[6:7], v[8:9], v[86:87]
	v_lshl_add_u64 v[74:75], v[26:27], 4, s[4:5]
	v_lshl_add_u64 v[8:9], v[34:35], 4, s[4:5]
	;; [unrolled: 1-line block ×5, first 2 shown]
	v_add_f64_e32 v[2:3], v[4:5], v[2:3]
	v_add_f64_e32 v[4:5], v[6:7], v[12:13]
	v_lshl_add_u64 v[6:7], v[32:33], 4, s[4:5]
	v_lshl_add_u64 v[12:13], v[38:39], 4, s[4:5]
	;; [unrolled: 1-line block ×4, first 2 shown]
	v_add_f64_e64 v[86:87], v[114:115], -v[2:3]
	v_add_f64_e64 v[88:89], v[116:117], -v[4:5]
	v_lshl_add_u64 v[2:3], v[28:29], 4, s[4:5]
	v_lshl_add_u64 v[4:5], v[30:31], 4, s[4:5]
	v_lshl_add_u64 v[28:29], v[50:51], 4, s[4:5]
	v_lshl_add_u64 v[30:31], v[52:53], 4, s[4:5]
	v_lshl_add_u64 v[50:51], v[72:73], 4, s[4:5]
	scratch_store_b128 off, v[86:89], off
	s_cbranch_vccz .LBB29_252
; %bb.194:
	global_load_b32 v52, v84, s[16:17] offset:112
	s_load_b64 s[2:3], s[0:1], 0x4
	v_bfe_u32 v53, v0, 10, 10
	v_bfe_u32 v0, v0, 20, 10
	s_wait_kmcnt 0x0
	s_lshr_b32 s0, s2, 16
	s_delay_alu instid0(VALU_DEP_2) | instskip(SKIP_1) | instid1(SALU_CYCLE_1)
	v_mul_u32_u24_e32 v53, s3, v53
	s_mul_i32 s0, s0, s3
	v_mul_u32_u24_e32 v1, s0, v1
	s_delay_alu instid0(VALU_DEP_1) | instskip(NEXT) | instid1(VALU_DEP_1)
	v_add3_u32 v0, v1, v53, v0
	v_lshl_add_u32 v0, v0, 4, 0x3c8
	s_wait_loadcnt 0x0
	v_cmp_ne_u32_e32 vcc_lo, 29, v52
	s_cbranch_vccz .LBB29_196
; %bb.195:
	v_lshlrev_b32_e32 v1, 4, v52
	s_clause 0x1
	scratch_load_b128 v[52:55], off, s22
	scratch_load_b128 v[56:59], v1, off offset:-16
	s_wait_loadcnt 0x1
	ds_store_2addr_b64 v0, v[52:53], v[54:55] offset1:1
	s_wait_loadcnt 0x0
	s_clause 0x1
	scratch_store_b128 off, v[56:59], s22
	scratch_store_b128 v1, v[52:55], off offset:-16
.LBB29_196:
	s_wait_xcnt 0x0
	v_mov_b32_e32 v1, 0
	global_load_b32 v52, v1, s[16:17] offset:108
	s_wait_loadcnt 0x0
	v_cmp_eq_u32_e32 vcc_lo, 28, v52
	s_cbranch_vccnz .LBB29_198
; %bb.197:
	v_lshlrev_b32_e32 v52, 4, v52
	s_delay_alu instid0(VALU_DEP_1)
	v_mov_b32_e32 v60, v52
	s_clause 0x1
	scratch_load_b128 v[52:55], off, s20
	scratch_load_b128 v[56:59], v60, off offset:-16
	s_wait_loadcnt 0x1
	ds_store_2addr_b64 v0, v[52:53], v[54:55] offset1:1
	s_wait_loadcnt 0x0
	s_clause 0x1
	scratch_store_b128 off, v[56:59], s20
	scratch_store_b128 v60, v[52:55], off offset:-16
.LBB29_198:
	global_load_b32 v1, v1, s[16:17] offset:104
	s_wait_loadcnt 0x0
	v_cmp_eq_u32_e32 vcc_lo, 27, v1
	s_cbranch_vccnz .LBB29_200
; %bb.199:
	s_wait_xcnt 0x0
	v_lshlrev_b32_e32 v1, 4, v1
	s_clause 0x1
	scratch_load_b128 v[52:55], off, s26
	scratch_load_b128 v[56:59], v1, off offset:-16
	s_wait_loadcnt 0x1
	ds_store_2addr_b64 v0, v[52:53], v[54:55] offset1:1
	s_wait_loadcnt 0x0
	s_clause 0x1
	scratch_store_b128 off, v[56:59], s26
	scratch_store_b128 v1, v[52:55], off offset:-16
.LBB29_200:
	s_wait_xcnt 0x0
	v_mov_b32_e32 v1, 0
	global_load_b32 v52, v1, s[16:17] offset:100
	s_wait_loadcnt 0x0
	v_cmp_eq_u32_e32 vcc_lo, 26, v52
	s_cbranch_vccnz .LBB29_202
; %bb.201:
	v_lshlrev_b32_e32 v52, 4, v52
	s_delay_alu instid0(VALU_DEP_1)
	v_mov_b32_e32 v60, v52
	s_clause 0x1
	scratch_load_b128 v[52:55], off, s23
	scratch_load_b128 v[56:59], v60, off offset:-16
	s_wait_loadcnt 0x1
	ds_store_2addr_b64 v0, v[52:53], v[54:55] offset1:1
	s_wait_loadcnt 0x0
	s_clause 0x1
	scratch_store_b128 off, v[56:59], s23
	scratch_store_b128 v60, v[52:55], off offset:-16
.LBB29_202:
	global_load_b32 v1, v1, s[16:17] offset:96
	s_wait_loadcnt 0x0
	v_cmp_eq_u32_e32 vcc_lo, 25, v1
	s_cbranch_vccnz .LBB29_204
; %bb.203:
	s_wait_xcnt 0x0
	v_lshlrev_b32_e32 v1, 4, v1
	s_clause 0x1
	scratch_load_b128 v[52:55], off, s28
	scratch_load_b128 v[56:59], v1, off offset:-16
	s_wait_loadcnt 0x1
	ds_store_2addr_b64 v0, v[52:53], v[54:55] offset1:1
	s_wait_loadcnt 0x0
	s_clause 0x1
	scratch_store_b128 off, v[56:59], s28
	scratch_store_b128 v1, v[52:55], off offset:-16
.LBB29_204:
	;; [unrolled: 37-line block ×13, first 2 shown]
	s_wait_xcnt 0x0
	v_mov_b32_e32 v1, 0
	global_load_b32 v52, v1, s[16:17] offset:4
	s_wait_loadcnt 0x0
	v_cmp_eq_u32_e32 vcc_lo, 2, v52
	s_cbranch_vccnz .LBB29_250
; %bb.249:
	v_lshlrev_b32_e32 v52, 4, v52
	s_delay_alu instid0(VALU_DEP_1)
	v_mov_b32_e32 v60, v52
	s_clause 0x1
	scratch_load_b128 v[52:55], off, s24
	scratch_load_b128 v[56:59], v60, off offset:-16
	s_wait_loadcnt 0x1
	ds_store_2addr_b64 v0, v[52:53], v[54:55] offset1:1
	s_wait_loadcnt 0x0
	s_clause 0x1
	scratch_store_b128 off, v[56:59], s24
	scratch_store_b128 v60, v[52:55], off offset:-16
.LBB29_250:
	global_load_b32 v1, v1, s[16:17]
	s_wait_loadcnt 0x0
	v_cmp_eq_u32_e32 vcc_lo, 1, v1
	s_cbranch_vccnz .LBB29_252
; %bb.251:
	s_wait_xcnt 0x0
	v_lshlrev_b32_e32 v1, 4, v1
	scratch_load_b128 v[52:55], off, off
	scratch_load_b128 v[56:59], v1, off offset:-16
	s_wait_loadcnt 0x1
	ds_store_2addr_b64 v0, v[52:53], v[54:55] offset1:1
	s_wait_loadcnt 0x0
	scratch_store_b128 off, v[56:59], off
	scratch_store_b128 v1, v[52:55], off offset:-16
.LBB29_252:
	scratch_load_b128 v[52:55], off, off
	s_clause 0x12
	scratch_load_b128 v[56:59], off, s24
	scratch_load_b128 v[60:63], off, s8
	;; [unrolled: 1-line block ×15, first 2 shown]
	; meta instruction
	; meta instruction
	;; [unrolled: 1-line block ×15, first 2 shown]
	scratch_load_b128 v[128:131], off, s14
	scratch_load_b128 v[132:135], off, s21
	;; [unrolled: 1-line block ×4, first 2 shown]
	s_wait_loadcnt 0x13
	global_store_b128 v[14:15], v[52:55], off
	s_wait_loadcnt 0x12
	global_store_b128 v[16:17], v[56:59], off
	s_clause 0x1
	scratch_load_b128 v[14:17], off, s11
	scratch_load_b128 v[52:55], off, s13
	s_wait_loadcnt 0x13
	global_store_b128 v[82:83], v[60:63], off
	s_clause 0x1
	scratch_load_b128 v[56:59], off, s9
	scratch_load_b128 v[60:63], off, s10
	;; [unrolled: 5-line block ×3, first 2 shown]
	s_wait_loadcnt 0x15
	global_store_b128 v[76:77], v[68:71], off
	s_wait_loadcnt 0x14
	global_store_b128 v[78:79], v[84:87], off
	s_clause 0x1
	scratch_load_b128 v[68:71], off, s23
	scratch_load_b128 v[76:79], off, s26
	s_wait_loadcnt 0x15
	global_store_b128 v[74:75], v[88:91], off
	s_clause 0x1
	scratch_load_b128 v[72:75], off, s20
	scratch_load_b128 v[84:87], off, s22
	s_wait_loadcnt 0x16
	global_store_b128 v[2:3], v[92:95], off
	s_wait_loadcnt 0x15
	global_store_b128 v[4:5], v[96:99], off
	;; [unrolled: 2-line block ×21, first 2 shown]
	s_wait_loadcnt 0x0
	s_clause 0x1
	global_store_b128 v[48:49], v[84:87], off
	global_store_b128 v[50:51], v[140:143], off
	s_sendmsg sendmsg(MSG_DEALLOC_VGPRS)
	s_endpgm
	.section	.rodata,"a",@progbits
	.p2align	6, 0x0
	.amdhsa_kernel _ZN9rocsolver6v33100L18getri_kernel_smallILi30E19rocblas_complex_numIdEPS3_EEvT1_iilPiilS6_bb
		.amdhsa_group_segment_fixed_size 1992
		.amdhsa_private_segment_fixed_size 496
		.amdhsa_kernarg_size 60
		.amdhsa_user_sgpr_count 4
		.amdhsa_user_sgpr_dispatch_ptr 1
		.amdhsa_user_sgpr_queue_ptr 0
		.amdhsa_user_sgpr_kernarg_segment_ptr 1
		.amdhsa_user_sgpr_dispatch_id 0
		.amdhsa_user_sgpr_kernarg_preload_length 0
		.amdhsa_user_sgpr_kernarg_preload_offset 0
		.amdhsa_user_sgpr_private_segment_size 0
		.amdhsa_wavefront_size32 1
		.amdhsa_uses_dynamic_stack 0
		.amdhsa_enable_private_segment 1
		.amdhsa_system_sgpr_workgroup_id_x 1
		.amdhsa_system_sgpr_workgroup_id_y 0
		.amdhsa_system_sgpr_workgroup_id_z 0
		.amdhsa_system_sgpr_workgroup_info 0
		.amdhsa_system_vgpr_workitem_id 2
		.amdhsa_next_free_vgpr 144
		.amdhsa_next_free_sgpr 53
		.amdhsa_named_barrier_count 0
		.amdhsa_reserve_vcc 1
		.amdhsa_float_round_mode_32 0
		.amdhsa_float_round_mode_16_64 0
		.amdhsa_float_denorm_mode_32 3
		.amdhsa_float_denorm_mode_16_64 3
		.amdhsa_fp16_overflow 0
		.amdhsa_memory_ordered 1
		.amdhsa_forward_progress 1
		.amdhsa_inst_pref_size 255
		.amdhsa_round_robin_scheduling 0
		.amdhsa_exception_fp_ieee_invalid_op 0
		.amdhsa_exception_fp_denorm_src 0
		.amdhsa_exception_fp_ieee_div_zero 0
		.amdhsa_exception_fp_ieee_overflow 0
		.amdhsa_exception_fp_ieee_underflow 0
		.amdhsa_exception_fp_ieee_inexact 0
		.amdhsa_exception_int_div_zero 0
	.end_amdhsa_kernel
	.section	.text._ZN9rocsolver6v33100L18getri_kernel_smallILi30E19rocblas_complex_numIdEPS3_EEvT1_iilPiilS6_bb,"axG",@progbits,_ZN9rocsolver6v33100L18getri_kernel_smallILi30E19rocblas_complex_numIdEPS3_EEvT1_iilPiilS6_bb,comdat
.Lfunc_end29:
	.size	_ZN9rocsolver6v33100L18getri_kernel_smallILi30E19rocblas_complex_numIdEPS3_EEvT1_iilPiilS6_bb, .Lfunc_end29-_ZN9rocsolver6v33100L18getri_kernel_smallILi30E19rocblas_complex_numIdEPS3_EEvT1_iilPiilS6_bb
                                        ; -- End function
	.set _ZN9rocsolver6v33100L18getri_kernel_smallILi30E19rocblas_complex_numIdEPS3_EEvT1_iilPiilS6_bb.num_vgpr, 144
	.set _ZN9rocsolver6v33100L18getri_kernel_smallILi30E19rocblas_complex_numIdEPS3_EEvT1_iilPiilS6_bb.num_agpr, 0
	.set _ZN9rocsolver6v33100L18getri_kernel_smallILi30E19rocblas_complex_numIdEPS3_EEvT1_iilPiilS6_bb.numbered_sgpr, 53
	.set _ZN9rocsolver6v33100L18getri_kernel_smallILi30E19rocblas_complex_numIdEPS3_EEvT1_iilPiilS6_bb.num_named_barrier, 0
	.set _ZN9rocsolver6v33100L18getri_kernel_smallILi30E19rocblas_complex_numIdEPS3_EEvT1_iilPiilS6_bb.private_seg_size, 496
	.set _ZN9rocsolver6v33100L18getri_kernel_smallILi30E19rocblas_complex_numIdEPS3_EEvT1_iilPiilS6_bb.uses_vcc, 1
	.set _ZN9rocsolver6v33100L18getri_kernel_smallILi30E19rocblas_complex_numIdEPS3_EEvT1_iilPiilS6_bb.uses_flat_scratch, 1
	.set _ZN9rocsolver6v33100L18getri_kernel_smallILi30E19rocblas_complex_numIdEPS3_EEvT1_iilPiilS6_bb.has_dyn_sized_stack, 0
	.set _ZN9rocsolver6v33100L18getri_kernel_smallILi30E19rocblas_complex_numIdEPS3_EEvT1_iilPiilS6_bb.has_recursion, 0
	.set _ZN9rocsolver6v33100L18getri_kernel_smallILi30E19rocblas_complex_numIdEPS3_EEvT1_iilPiilS6_bb.has_indirect_call, 0
	.section	.AMDGPU.csdata,"",@progbits
; Kernel info:
; codeLenInByte = 41536
; TotalNumSgprs: 55
; NumVgprs: 144
; ScratchSize: 496
; MemoryBound: 0
; FloatMode: 240
; IeeeMode: 1
; LDSByteSize: 1992 bytes/workgroup (compile time only)
; SGPRBlocks: 0
; VGPRBlocks: 8
; NumSGPRsForWavesPerEU: 55
; NumVGPRsForWavesPerEU: 144
; NamedBarCnt: 0
; Occupancy: 7
; WaveLimiterHint : 1
; COMPUTE_PGM_RSRC2:SCRATCH_EN: 1
; COMPUTE_PGM_RSRC2:USER_SGPR: 4
; COMPUTE_PGM_RSRC2:TRAP_HANDLER: 0
; COMPUTE_PGM_RSRC2:TGID_X_EN: 1
; COMPUTE_PGM_RSRC2:TGID_Y_EN: 0
; COMPUTE_PGM_RSRC2:TGID_Z_EN: 0
; COMPUTE_PGM_RSRC2:TIDIG_COMP_CNT: 2
	.section	.text._ZN9rocsolver6v33100L18getri_kernel_smallILi31E19rocblas_complex_numIdEPS3_EEvT1_iilPiilS6_bb,"axG",@progbits,_ZN9rocsolver6v33100L18getri_kernel_smallILi31E19rocblas_complex_numIdEPS3_EEvT1_iilPiilS6_bb,comdat
	.globl	_ZN9rocsolver6v33100L18getri_kernel_smallILi31E19rocblas_complex_numIdEPS3_EEvT1_iilPiilS6_bb ; -- Begin function _ZN9rocsolver6v33100L18getri_kernel_smallILi31E19rocblas_complex_numIdEPS3_EEvT1_iilPiilS6_bb
	.p2align	8
	.type	_ZN9rocsolver6v33100L18getri_kernel_smallILi31E19rocblas_complex_numIdEPS3_EEvT1_iilPiilS6_bb,@function
_ZN9rocsolver6v33100L18getri_kernel_smallILi31E19rocblas_complex_numIdEPS3_EEvT1_iilPiilS6_bb: ; @_ZN9rocsolver6v33100L18getri_kernel_smallILi31E19rocblas_complex_numIdEPS3_EEvT1_iilPiilS6_bb
; %bb.0:
	v_and_b32_e32 v1, 0x3ff, v0
	s_mov_b32 s4, exec_lo
	s_delay_alu instid0(VALU_DEP_1)
	v_cmpx_gt_u32_e32 31, v1
	s_cbranch_execz .LBB30_138
; %bb.1:
	s_clause 0x2
	s_load_b32 s8, s[2:3], 0x38
	s_load_b128 s[12:15], s[2:3], 0x10
	s_load_b128 s[4:7], s[2:3], 0x28
	s_getreg_b32 s11, hwreg(HW_REG_IB_STS2, 6, 4)
                                        ; implicit-def: $sgpr16_sgpr17
	s_wait_kmcnt 0x0
	s_bitcmp1_b32 s8, 8
	s_cselect_b32 s43, -1, 0
	s_bfe_u32 s9, ttmp6, 0x4000c
	s_and_b32 s10, ttmp6, 15
	s_add_co_i32 s9, s9, 1
	s_delay_alu instid0(SALU_CYCLE_1) | instskip(NEXT) | instid1(SALU_CYCLE_1)
	s_mul_i32 s9, ttmp9, s9
	s_add_co_i32 s10, s10, s9
	s_cmp_eq_u32 s11, 0
	s_cselect_b32 s18, ttmp9, s10
	s_bfe_u32 s8, s8, 0x10008
	s_ashr_i32 s19, s18, 31
	s_cmp_eq_u32 s8, 0
	s_cbranch_scc1 .LBB30_3
; %bb.2:
	s_load_b32 s8, s[2:3], 0x20
	s_mul_u64 s[4:5], s[4:5], s[18:19]
	s_delay_alu instid0(SALU_CYCLE_1) | instskip(NEXT) | instid1(SALU_CYCLE_1)
	s_lshl_b64 s[4:5], s[4:5], 2
	s_add_nc_u64 s[4:5], s[14:15], s[4:5]
	s_wait_kmcnt 0x0
	s_ashr_i32 s9, s8, 31
	s_delay_alu instid0(SALU_CYCLE_1) | instskip(NEXT) | instid1(SALU_CYCLE_1)
	s_lshl_b64 s[8:9], s[8:9], 2
	s_add_nc_u64 s[16:17], s[4:5], s[8:9]
.LBB30_3:
	s_clause 0x1
	s_load_b128 s[8:11], s[2:3], 0x0
	s_load_b32 s44, s[2:3], 0x38
	s_wait_xcnt 0x0
	s_mul_u64 s[2:3], s[12:13], s[18:19]
	s_movk_i32 s45, 0x130
	s_lshl_b64 s[2:3], s[2:3], 4
	s_movk_i32 s46, 0x140
	s_movk_i32 s47, 0x150
	;; [unrolled: 1-line block ×11, first 2 shown]
	s_mov_b32 s13, 16
	s_movk_i32 s34, 0x50
	s_movk_i32 s36, 0x60
	;; [unrolled: 1-line block ×3, first 2 shown]
	s_wait_kmcnt 0x0
	v_add3_u32 v18, s11, s11, v1
	s_ashr_i32 s5, s10, 31
	s_mov_b32 s4, s10
	s_add_nc_u64 s[2:3], s[8:9], s[2:3]
	s_lshl_b64 s[4:5], s[4:5], 4
	v_dual_add_nc_u32 v20, s11, v18 :: v_dual_lshlrev_b32 v76, 4, v1
	s_add_nc_u64 s[4:5], s[2:3], s[4:5]
	s_clause 0x1
	global_load_b128 v[2:5], v1, s[4:5] scale_offset
	global_load_b128 v[6:9], v18, s[4:5] scale_offset
	v_dual_mov_b32 v77, 0 :: v_dual_add_nc_u32 v22, s11, v20
	s_ashr_i32 s3, s11, 31
	s_mov_b32 s2, s11
	s_clause 0x1
	global_load_b128 v[10:13], v20, s[4:5] scale_offset
	global_load_b128 v[70:73], v22, s[4:5] scale_offset
	v_add_nc_u32_e32 v24, s11, v22
	v_add_nc_u64_e32 v[14:15], s[4:5], v[76:77]
	s_mov_b32 s8, 32
	s_mov_b32 s9, 48
	s_movk_i32 s29, 0x80
	v_add_nc_u32_e32 v26, s11, v24
	s_movk_i32 s33, 0x90
	s_movk_i32 s35, 0xa0
	v_lshl_add_u64 v[16:17], s[2:3], 4, v[14:15]
	s_movk_i32 s38, 0xb0
	v_add_nc_u32_e32 v28, s11, v26
	s_movk_i32 s40, 0xc0
	s_movk_i32 s41, 0xd0
	;; [unrolled: 1-line block ×4, first 2 shown]
	v_add_nc_u32_e32 v30, s11, v28
	s_movk_i32 s28, 0x100
	s_movk_i32 s30, 0x110
	;; [unrolled: 1-line block ×3, first 2 shown]
	s_mov_b32 s26, s45
	v_add_nc_u32_e32 v32, s11, v30
	s_clause 0x2
	global_load_b128 v[78:81], v[16:17], off
	global_load_b128 v[82:85], v24, s[4:5] scale_offset
	global_load_b128 v[86:89], v26, s[4:5] scale_offset
	s_mov_b32 s27, s46
	s_mov_b32 s23, s47
	;; [unrolled: 1-line block ×3, first 2 shown]
	v_add_nc_u32_e32 v34, s11, v32
	s_clause 0x1
	global_load_b128 v[90:93], v28, s[4:5] scale_offset
	global_load_b128 v[94:97], v30, s[4:5] scale_offset
	s_mov_b32 s15, s49
	s_mov_b32 s21, s50
	s_clause 0x1
	global_load_b128 v[98:101], v32, s[4:5] scale_offset
	global_load_b128 v[102:105], v34, s[4:5] scale_offset
	v_add_nc_u32_e32 v36, s11, v34
	s_mov_b32 s12, s51
	s_mov_b32 s14, s52
	;; [unrolled: 1-line block ×4, first 2 shown]
	v_add_nc_u32_e32 v38, s11, v36
	s_mov_b32 s20, s55
	s_mov_b32 s22, s56
	s_bitcmp0_b32 s44, 0
	s_mov_b32 s3, -1
	v_add_nc_u32_e32 v40, s11, v38
	s_delay_alu instid0(VALU_DEP_1) | instskip(NEXT) | instid1(VALU_DEP_1)
	v_add_nc_u32_e32 v42, s11, v40
	v_add_nc_u32_e32 v44, s11, v42
	s_clause 0x1
	global_load_b128 v[106:109], v36, s[4:5] scale_offset
	global_load_b128 v[110:113], v38, s[4:5] scale_offset
	v_add_nc_u32_e32 v46, s11, v44
	s_clause 0x2
	global_load_b128 v[114:117], v40, s[4:5] scale_offset
	global_load_b128 v[118:121], v42, s[4:5] scale_offset
	;; [unrolled: 1-line block ×3, first 2 shown]
	v_add_nc_u32_e32 v48, s11, v46
	s_delay_alu instid0(VALU_DEP_1) | instskip(NEXT) | instid1(VALU_DEP_1)
	v_add_nc_u32_e32 v50, s11, v48
	v_add_nc_u32_e32 v52, s11, v50
	s_delay_alu instid0(VALU_DEP_1) | instskip(NEXT) | instid1(VALU_DEP_1)
	v_add_nc_u32_e32 v54, s11, v52
	v_add_nc_u32_e32 v56, s11, v54
	s_delay_alu instid0(VALU_DEP_1)
	v_add_nc_u32_e32 v58, s11, v56
	s_clause 0x3
	global_load_b128 v[126:129], v46, s[4:5] scale_offset
	global_load_b128 v[130:133], v48, s[4:5] scale_offset
	;; [unrolled: 1-line block ×4, first 2 shown]
	s_wait_loadcnt 0x13
	scratch_store_b128 off, v[2:5], off
	s_wait_loadcnt 0x12
	scratch_store_b128 off, v[6:9], off offset:32
	v_add_nc_u32_e32 v60, s11, v58
	s_clause 0x1
	global_load_b128 v[2:5], v54, s[4:5] scale_offset
	global_load_b128 v[6:9], v56, s[4:5] scale_offset
	s_wait_loadcnt 0x13
	scratch_store_b128 off, v[10:13], off offset:48
	s_wait_loadcnt 0x12
	scratch_store_b128 off, v[70:73], off offset:64
	v_add_nc_u32_e32 v62, s11, v60
	s_delay_alu instid0(VALU_DEP_1) | instskip(NEXT) | instid1(VALU_DEP_1)
	v_add_nc_u32_e32 v64, s11, v62
	v_add_nc_u32_e32 v66, s11, v64
	s_clause 0x1
	global_load_b128 v[10:13], v58, s[4:5] scale_offset
	global_load_b128 v[142:145], v60, s[4:5] scale_offset
	v_add_nc_u32_e32 v68, s11, v66
	s_wait_loadcnt 0x13
	scratch_store_b128 off, v[78:81], off offset:16
	s_wait_xcnt 0x3
	v_add_nc_u32_e32 v70, s11, v68
	s_wait_loadcnt 0x12
	scratch_store_b128 off, v[82:85], off offset:80
	s_wait_loadcnt 0x11
	scratch_store_b128 off, v[86:89], off offset:96
	s_clause 0x1
	global_load_b128 v[78:81], v62, s[4:5] scale_offset
	global_load_b128 v[82:85], v64, s[4:5] scale_offset
	s_wait_loadcnt 0x12
	scratch_store_b128 off, v[90:93], off offset:112
	s_wait_loadcnt 0x11
	scratch_store_b128 off, v[94:97], off offset:128
	v_add_nc_u32_e32 v72, s11, v70
	s_clause 0x1
	global_load_b128 v[86:89], v66, s[4:5] scale_offset
	global_load_b128 v[90:93], v68, s[4:5] scale_offset
	s_wait_loadcnt 0x12
	scratch_store_b128 off, v[98:101], off offset:144
	s_wait_loadcnt 0x11
	scratch_store_b128 off, v[102:105], off offset:160
	s_clause 0x1
	global_load_b128 v[94:97], v70, s[4:5] scale_offset
	global_load_b128 v[98:101], v72, s[4:5] scale_offset
	v_add_nc_u32_e32 v74, s11, v72
	s_mov_b32 s11, 64
	global_load_b128 v[102:105], v74, s[4:5] scale_offset
	s_wait_loadcnt 0x13
	scratch_store_b128 off, v[106:109], off offset:176
	s_wait_loadcnt 0x12
	scratch_store_b128 off, v[110:113], off offset:192
	;; [unrolled: 2-line block ×20, first 2 shown]
	s_cbranch_scc1 .LBB30_136
; %bb.4:
	v_cmp_eq_u32_e64 s2, 0, v1
	s_wait_xcnt 0x0
	s_and_saveexec_b32 s3, s2
; %bb.5:
	v_mov_b32_e32 v2, 0
	ds_store_b32 v2, v2 offset:992
; %bb.6:
	s_or_b32 exec_lo, exec_lo, s3
	s_wait_storecnt_dscnt 0x0
	s_barrier_signal -1
	s_barrier_wait -1
	scratch_load_b128 v[2:5], v1, off scale_offset
	s_wait_loadcnt 0x0
	v_cmp_eq_f64_e32 vcc_lo, 0, v[2:3]
	v_cmp_eq_f64_e64 s3, 0, v[4:5]
	s_and_b32 s3, vcc_lo, s3
	s_delay_alu instid0(SALU_CYCLE_1)
	s_and_saveexec_b32 s44, s3
	s_cbranch_execz .LBB30_10
; %bb.7:
	v_mov_b32_e32 v2, 0
	s_mov_b32 s45, 0
	ds_load_b32 v3, v2 offset:992
	s_wait_dscnt 0x0
	v_readfirstlane_b32 s3, v3
	v_add_nc_u32_e32 v3, 1, v1
	s_cmp_eq_u32 s3, 0
	s_delay_alu instid0(VALU_DEP_1) | instskip(SKIP_1) | instid1(SALU_CYCLE_1)
	v_cmp_gt_i32_e32 vcc_lo, s3, v3
	s_cselect_b32 s46, -1, 0
	s_or_b32 s46, s46, vcc_lo
	s_delay_alu instid0(SALU_CYCLE_1)
	s_and_b32 exec_lo, exec_lo, s46
	s_cbranch_execz .LBB30_10
; %bb.8:
	v_mov_b32_e32 v4, s3
.LBB30_9:                               ; =>This Inner Loop Header: Depth=1
	ds_cmpstore_rtn_b32 v4, v2, v3, v4 offset:992
	s_wait_dscnt 0x0
	v_cmp_ne_u32_e32 vcc_lo, 0, v4
	v_cmp_le_i32_e64 s3, v4, v3
	s_and_b32 s3, vcc_lo, s3
	s_delay_alu instid0(SALU_CYCLE_1) | instskip(NEXT) | instid1(SALU_CYCLE_1)
	s_and_b32 s3, exec_lo, s3
	s_or_b32 s45, s3, s45
	s_delay_alu instid0(SALU_CYCLE_1)
	s_and_not1_b32 exec_lo, exec_lo, s45
	s_cbranch_execnz .LBB30_9
.LBB30_10:
	s_or_b32 exec_lo, exec_lo, s44
	v_mov_b32_e32 v2, 0
	s_barrier_signal -1
	s_barrier_wait -1
	ds_load_b32 v3, v2 offset:992
	s_and_saveexec_b32 s3, s2
	s_cbranch_execz .LBB30_12
; %bb.11:
	s_lshl_b64 s[44:45], s[18:19], 2
	s_delay_alu instid0(SALU_CYCLE_1)
	s_add_nc_u64 s[44:45], s[6:7], s[44:45]
	s_wait_dscnt 0x0
	global_store_b32 v2, v3, s[44:45]
.LBB30_12:
	s_wait_xcnt 0x0
	s_or_b32 exec_lo, exec_lo, s3
	s_wait_dscnt 0x0
	v_cmp_ne_u32_e32 vcc_lo, 0, v3
	s_mov_b32 s3, 0
	s_cbranch_vccnz .LBB30_136
; %bb.13:
	v_lshl_add_u32 v19, v1, 4, 0
                                        ; implicit-def: $vgpr6_vgpr7
                                        ; implicit-def: $vgpr10_vgpr11
	scratch_load_b128 v[2:5], v19, off
	s_wait_loadcnt 0x0
	v_cmp_ngt_f64_e64 s3, |v[2:3]|, |v[4:5]|
	s_wait_xcnt 0x0
	s_and_saveexec_b32 s44, s3
	s_delay_alu instid0(SALU_CYCLE_1)
	s_xor_b32 s3, exec_lo, s44
	s_cbranch_execz .LBB30_15
; %bb.14:
	v_div_scale_f64 v[6:7], null, v[4:5], v[4:5], v[2:3]
	v_div_scale_f64 v[12:13], vcc_lo, v[2:3], v[4:5], v[2:3]
	s_delay_alu instid0(VALU_DEP_2) | instskip(SKIP_1) | instid1(TRANS32_DEP_1)
	v_rcp_f64_e32 v[8:9], v[6:7]
	v_nop
	v_fma_f64 v[10:11], -v[6:7], v[8:9], 1.0
	s_delay_alu instid0(VALU_DEP_1) | instskip(NEXT) | instid1(VALU_DEP_1)
	v_fmac_f64_e32 v[8:9], v[8:9], v[10:11]
	v_fma_f64 v[10:11], -v[6:7], v[8:9], 1.0
	s_delay_alu instid0(VALU_DEP_1) | instskip(NEXT) | instid1(VALU_DEP_1)
	v_fmac_f64_e32 v[8:9], v[8:9], v[10:11]
	v_mul_f64_e32 v[10:11], v[12:13], v[8:9]
	s_delay_alu instid0(VALU_DEP_1) | instskip(NEXT) | instid1(VALU_DEP_1)
	v_fma_f64 v[6:7], -v[6:7], v[10:11], v[12:13]
	v_div_fmas_f64 v[6:7], v[6:7], v[8:9], v[10:11]
	s_delay_alu instid0(VALU_DEP_1) | instskip(NEXT) | instid1(VALU_DEP_1)
	v_div_fixup_f64 v[6:7], v[6:7], v[4:5], v[2:3]
	v_fmac_f64_e32 v[4:5], v[2:3], v[6:7]
	s_delay_alu instid0(VALU_DEP_1) | instskip(SKIP_1) | instid1(VALU_DEP_2)
	v_div_scale_f64 v[2:3], null, v[4:5], v[4:5], 1.0
	v_div_scale_f64 v[12:13], vcc_lo, 1.0, v[4:5], 1.0
	v_rcp_f64_e32 v[8:9], v[2:3]
	v_nop
	s_delay_alu instid0(TRANS32_DEP_1) | instskip(NEXT) | instid1(VALU_DEP_1)
	v_fma_f64 v[10:11], -v[2:3], v[8:9], 1.0
	v_fmac_f64_e32 v[8:9], v[8:9], v[10:11]
	s_delay_alu instid0(VALU_DEP_1) | instskip(NEXT) | instid1(VALU_DEP_1)
	v_fma_f64 v[10:11], -v[2:3], v[8:9], 1.0
	v_fmac_f64_e32 v[8:9], v[8:9], v[10:11]
	s_delay_alu instid0(VALU_DEP_1) | instskip(NEXT) | instid1(VALU_DEP_1)
	v_mul_f64_e32 v[10:11], v[12:13], v[8:9]
	v_fma_f64 v[2:3], -v[2:3], v[10:11], v[12:13]
	s_delay_alu instid0(VALU_DEP_1) | instskip(NEXT) | instid1(VALU_DEP_1)
	v_div_fmas_f64 v[2:3], v[2:3], v[8:9], v[10:11]
	v_div_fixup_f64 v[8:9], v[2:3], v[4:5], 1.0
                                        ; implicit-def: $vgpr2_vgpr3
	s_delay_alu instid0(VALU_DEP_1) | instskip(SKIP_1) | instid1(VALU_DEP_2)
	v_mul_f64_e32 v[6:7], v[6:7], v[8:9]
	v_xor_b32_e32 v9, 0x80000000, v9
	v_xor_b32_e32 v11, 0x80000000, v7
	s_delay_alu instid0(VALU_DEP_3)
	v_mov_b32_e32 v10, v6
.LBB30_15:
	s_and_not1_saveexec_b32 s3, s3
	s_cbranch_execz .LBB30_17
; %bb.16:
	v_div_scale_f64 v[6:7], null, v[2:3], v[2:3], v[4:5]
	v_div_scale_f64 v[12:13], vcc_lo, v[4:5], v[2:3], v[4:5]
	s_delay_alu instid0(VALU_DEP_2) | instskip(SKIP_1) | instid1(TRANS32_DEP_1)
	v_rcp_f64_e32 v[8:9], v[6:7]
	v_nop
	v_fma_f64 v[10:11], -v[6:7], v[8:9], 1.0
	s_delay_alu instid0(VALU_DEP_1) | instskip(NEXT) | instid1(VALU_DEP_1)
	v_fmac_f64_e32 v[8:9], v[8:9], v[10:11]
	v_fma_f64 v[10:11], -v[6:7], v[8:9], 1.0
	s_delay_alu instid0(VALU_DEP_1) | instskip(NEXT) | instid1(VALU_DEP_1)
	v_fmac_f64_e32 v[8:9], v[8:9], v[10:11]
	v_mul_f64_e32 v[10:11], v[12:13], v[8:9]
	s_delay_alu instid0(VALU_DEP_1) | instskip(NEXT) | instid1(VALU_DEP_1)
	v_fma_f64 v[6:7], -v[6:7], v[10:11], v[12:13]
	v_div_fmas_f64 v[6:7], v[6:7], v[8:9], v[10:11]
	s_delay_alu instid0(VALU_DEP_1) | instskip(NEXT) | instid1(VALU_DEP_1)
	v_div_fixup_f64 v[8:9], v[6:7], v[2:3], v[4:5]
	v_fmac_f64_e32 v[2:3], v[4:5], v[8:9]
	s_delay_alu instid0(VALU_DEP_1) | instskip(NEXT) | instid1(VALU_DEP_1)
	v_div_scale_f64 v[4:5], null, v[2:3], v[2:3], 1.0
	v_rcp_f64_e32 v[6:7], v[4:5]
	v_nop
	s_delay_alu instid0(TRANS32_DEP_1) | instskip(NEXT) | instid1(VALU_DEP_1)
	v_fma_f64 v[10:11], -v[4:5], v[6:7], 1.0
	v_fmac_f64_e32 v[6:7], v[6:7], v[10:11]
	s_delay_alu instid0(VALU_DEP_1) | instskip(NEXT) | instid1(VALU_DEP_1)
	v_fma_f64 v[10:11], -v[4:5], v[6:7], 1.0
	v_fmac_f64_e32 v[6:7], v[6:7], v[10:11]
	v_div_scale_f64 v[10:11], vcc_lo, 1.0, v[2:3], 1.0
	s_delay_alu instid0(VALU_DEP_1) | instskip(NEXT) | instid1(VALU_DEP_1)
	v_mul_f64_e32 v[12:13], v[10:11], v[6:7]
	v_fma_f64 v[4:5], -v[4:5], v[12:13], v[10:11]
	s_delay_alu instid0(VALU_DEP_1) | instskip(NEXT) | instid1(VALU_DEP_1)
	v_div_fmas_f64 v[4:5], v[4:5], v[6:7], v[12:13]
	v_div_fixup_f64 v[6:7], v[4:5], v[2:3], 1.0
	s_delay_alu instid0(VALU_DEP_1)
	v_mul_f64_e64 v[8:9], v[8:9], -v[6:7]
	v_xor_b32_e32 v11, 0x80000000, v7
	v_mov_b32_e32 v10, v6
.LBB30_17:
	s_or_b32 exec_lo, exec_lo, s3
	s_clause 0x1
	scratch_store_b128 v19, v[6:9], off
	scratch_load_b128 v[2:5], off, s13
	v_xor_b32_e32 v13, 0x80000000, v9
	v_mov_b32_e32 v12, v8
	s_wait_xcnt 0x1
	v_add_nc_u32_e32 v6, 0x1f0, v76
	ds_store_b128 v76, v[10:13]
	s_wait_loadcnt 0x0
	ds_store_b128 v76, v[2:5] offset:496
	s_wait_storecnt_dscnt 0x0
	s_barrier_signal -1
	s_barrier_wait -1
	s_wait_xcnt 0x0
	s_and_saveexec_b32 s3, s2
	s_cbranch_execz .LBB30_19
; %bb.18:
	scratch_load_b128 v[2:5], v19, off
	ds_load_b128 v[8:11], v6
	v_mov_b32_e32 v7, 0
	ds_load_b128 v[78:81], v7 offset:16
	s_wait_loadcnt_dscnt 0x1
	v_mul_f64_e32 v[12:13], v[8:9], v[4:5]
	v_mul_f64_e32 v[4:5], v[10:11], v[4:5]
	s_delay_alu instid0(VALU_DEP_2) | instskip(NEXT) | instid1(VALU_DEP_2)
	v_fmac_f64_e32 v[12:13], v[10:11], v[2:3]
	v_fma_f64 v[2:3], v[8:9], v[2:3], -v[4:5]
	s_delay_alu instid0(VALU_DEP_2) | instskip(NEXT) | instid1(VALU_DEP_2)
	v_add_f64_e32 v[8:9], 0, v[12:13]
	v_add_f64_e32 v[2:3], 0, v[2:3]
	s_wait_dscnt 0x0
	s_delay_alu instid0(VALU_DEP_2) | instskip(NEXT) | instid1(VALU_DEP_2)
	v_mul_f64_e32 v[10:11], v[8:9], v[80:81]
	v_mul_f64_e32 v[4:5], v[2:3], v[80:81]
	s_delay_alu instid0(VALU_DEP_2) | instskip(NEXT) | instid1(VALU_DEP_2)
	v_fma_f64 v[2:3], v[2:3], v[78:79], -v[10:11]
	v_fmac_f64_e32 v[4:5], v[8:9], v[78:79]
	scratch_store_b128 off, v[2:5], off offset:16
.LBB30_19:
	s_wait_xcnt 0x0
	s_or_b32 exec_lo, exec_lo, s3
	s_wait_storecnt 0x0
	s_barrier_signal -1
	s_barrier_wait -1
	scratch_load_b128 v[2:5], off, s8
	s_mov_b32 s3, exec_lo
	s_wait_loadcnt 0x0
	ds_store_b128 v6, v[2:5]
	s_wait_dscnt 0x0
	s_barrier_signal -1
	s_barrier_wait -1
	v_cmpx_gt_u32_e32 2, v1
	s_cbranch_execz .LBB30_23
; %bb.20:
	scratch_load_b128 v[2:5], v19, off
	ds_load_b128 v[8:11], v6
	s_wait_loadcnt_dscnt 0x0
	v_mul_f64_e32 v[12:13], v[10:11], v[4:5]
	v_mul_f64_e32 v[78:79], v[8:9], v[4:5]
	s_delay_alu instid0(VALU_DEP_2) | instskip(NEXT) | instid1(VALU_DEP_2)
	v_fma_f64 v[4:5], v[8:9], v[2:3], -v[12:13]
	v_fmac_f64_e32 v[78:79], v[10:11], v[2:3]
	s_delay_alu instid0(VALU_DEP_2) | instskip(NEXT) | instid1(VALU_DEP_2)
	v_add_f64_e32 v[4:5], 0, v[4:5]
	v_add_f64_e32 v[2:3], 0, v[78:79]
	s_and_saveexec_b32 s44, s2
	s_cbranch_execz .LBB30_22
; %bb.21:
	scratch_load_b128 v[8:11], off, off offset:16
	v_mov_b32_e32 v7, 0
	ds_load_b128 v[78:81], v7 offset:512
	s_wait_loadcnt_dscnt 0x0
	v_mul_f64_e32 v[12:13], v[78:79], v[10:11]
	v_mul_f64_e32 v[10:11], v[80:81], v[10:11]
	s_delay_alu instid0(VALU_DEP_2) | instskip(NEXT) | instid1(VALU_DEP_2)
	v_fmac_f64_e32 v[12:13], v[80:81], v[8:9]
	v_fma_f64 v[8:9], v[78:79], v[8:9], -v[10:11]
	s_delay_alu instid0(VALU_DEP_2) | instskip(NEXT) | instid1(VALU_DEP_2)
	v_add_f64_e32 v[2:3], v[2:3], v[12:13]
	v_add_f64_e32 v[4:5], v[4:5], v[8:9]
.LBB30_22:
	s_or_b32 exec_lo, exec_lo, s44
	v_mov_b32_e32 v7, 0
	ds_load_b128 v[8:11], v7 offset:32
	s_wait_dscnt 0x0
	v_mul_f64_e32 v[78:79], v[2:3], v[10:11]
	v_mul_f64_e32 v[12:13], v[4:5], v[10:11]
	s_delay_alu instid0(VALU_DEP_2) | instskip(NEXT) | instid1(VALU_DEP_2)
	v_fma_f64 v[10:11], v[4:5], v[8:9], -v[78:79]
	v_fmac_f64_e32 v[12:13], v[2:3], v[8:9]
	scratch_store_b128 off, v[10:13], off offset:32
.LBB30_23:
	s_wait_xcnt 0x0
	s_or_b32 exec_lo, exec_lo, s3
	s_wait_storecnt 0x0
	s_barrier_signal -1
	s_barrier_wait -1
	scratch_load_b128 v[2:5], off, s9
	v_add_nc_u32_e32 v7, -1, v1
	s_mov_b32 s2, exec_lo
	s_wait_loadcnt 0x0
	ds_store_b128 v6, v[2:5]
	s_wait_dscnt 0x0
	s_barrier_signal -1
	s_barrier_wait -1
	v_cmpx_gt_u32_e32 3, v1
	s_cbranch_execz .LBB30_27
; %bb.24:
	v_dual_mov_b32 v10, v76 :: v_dual_add_nc_u32 v8, -1, v1
	v_mov_b64_e32 v[2:3], 0
	v_mov_b64_e32 v[4:5], 0
	v_add_nc_u32_e32 v9, 0x1f0, v76
	s_delay_alu instid0(VALU_DEP_4)
	v_or_b32_e32 v10, 8, v10
	s_mov_b32 s3, 0
.LBB30_25:                              ; =>This Inner Loop Header: Depth=1
	scratch_load_b128 v[78:81], v10, off offset:-8
	ds_load_b128 v[82:85], v9
	s_wait_xcnt 0x0
	v_dual_add_nc_u32 v9, 16, v9 :: v_dual_add_nc_u32 v10, 16, v10
	v_add_nc_u32_e32 v8, 1, v8
	s_delay_alu instid0(VALU_DEP_1) | instskip(SKIP_4) | instid1(VALU_DEP_2)
	v_cmp_lt_u32_e32 vcc_lo, 1, v8
	s_or_b32 s3, vcc_lo, s3
	s_wait_loadcnt_dscnt 0x0
	v_mul_f64_e32 v[12:13], v[84:85], v[80:81]
	v_mul_f64_e32 v[80:81], v[82:83], v[80:81]
	v_fma_f64 v[12:13], v[82:83], v[78:79], -v[12:13]
	s_delay_alu instid0(VALU_DEP_2) | instskip(NEXT) | instid1(VALU_DEP_2)
	v_fmac_f64_e32 v[80:81], v[84:85], v[78:79]
	v_add_f64_e32 v[4:5], v[4:5], v[12:13]
	s_delay_alu instid0(VALU_DEP_2)
	v_add_f64_e32 v[2:3], v[2:3], v[80:81]
	s_and_not1_b32 exec_lo, exec_lo, s3
	s_cbranch_execnz .LBB30_25
; %bb.26:
	s_or_b32 exec_lo, exec_lo, s3
	v_mov_b32_e32 v8, 0
	ds_load_b128 v[8:11], v8 offset:48
	s_wait_dscnt 0x0
	v_mul_f64_e32 v[78:79], v[2:3], v[10:11]
	v_mul_f64_e32 v[12:13], v[4:5], v[10:11]
	s_delay_alu instid0(VALU_DEP_2) | instskip(NEXT) | instid1(VALU_DEP_2)
	v_fma_f64 v[10:11], v[4:5], v[8:9], -v[78:79]
	v_fmac_f64_e32 v[12:13], v[2:3], v[8:9]
	scratch_store_b128 off, v[10:13], off offset:48
.LBB30_27:
	s_wait_xcnt 0x0
	s_or_b32 exec_lo, exec_lo, s2
	s_wait_storecnt 0x0
	s_barrier_signal -1
	s_barrier_wait -1
	scratch_load_b128 v[2:5], off, s11
	s_mov_b32 s2, exec_lo
	s_wait_loadcnt 0x0
	ds_store_b128 v6, v[2:5]
	s_wait_dscnt 0x0
	s_barrier_signal -1
	s_barrier_wait -1
	v_cmpx_gt_u32_e32 4, v1
	s_cbranch_execz .LBB30_31
; %bb.28:
	v_dual_mov_b32 v10, v76 :: v_dual_add_nc_u32 v8, -1, v1
	v_mov_b64_e32 v[2:3], 0
	v_mov_b64_e32 v[4:5], 0
	v_add_nc_u32_e32 v9, 0x1f0, v76
	s_delay_alu instid0(VALU_DEP_4)
	v_or_b32_e32 v10, 8, v10
	s_mov_b32 s3, 0
.LBB30_29:                              ; =>This Inner Loop Header: Depth=1
	scratch_load_b128 v[78:81], v10, off offset:-8
	ds_load_b128 v[82:85], v9
	s_wait_xcnt 0x0
	v_dual_add_nc_u32 v9, 16, v9 :: v_dual_add_nc_u32 v10, 16, v10
	v_add_nc_u32_e32 v8, 1, v8
	s_delay_alu instid0(VALU_DEP_1) | instskip(SKIP_4) | instid1(VALU_DEP_2)
	v_cmp_lt_u32_e32 vcc_lo, 2, v8
	s_or_b32 s3, vcc_lo, s3
	s_wait_loadcnt_dscnt 0x0
	v_mul_f64_e32 v[12:13], v[84:85], v[80:81]
	v_mul_f64_e32 v[80:81], v[82:83], v[80:81]
	v_fma_f64 v[12:13], v[82:83], v[78:79], -v[12:13]
	s_delay_alu instid0(VALU_DEP_2) | instskip(NEXT) | instid1(VALU_DEP_2)
	v_fmac_f64_e32 v[80:81], v[84:85], v[78:79]
	v_add_f64_e32 v[4:5], v[4:5], v[12:13]
	s_delay_alu instid0(VALU_DEP_2)
	v_add_f64_e32 v[2:3], v[2:3], v[80:81]
	s_and_not1_b32 exec_lo, exec_lo, s3
	s_cbranch_execnz .LBB30_29
; %bb.30:
	s_or_b32 exec_lo, exec_lo, s3
	v_mov_b32_e32 v8, 0
	ds_load_b128 v[8:11], v8 offset:64
	s_wait_dscnt 0x0
	v_mul_f64_e32 v[78:79], v[2:3], v[10:11]
	v_mul_f64_e32 v[12:13], v[4:5], v[10:11]
	s_delay_alu instid0(VALU_DEP_2) | instskip(NEXT) | instid1(VALU_DEP_2)
	v_fma_f64 v[10:11], v[4:5], v[8:9], -v[78:79]
	v_fmac_f64_e32 v[12:13], v[2:3], v[8:9]
	scratch_store_b128 off, v[10:13], off offset:64
.LBB30_31:
	s_wait_xcnt 0x0
	s_or_b32 exec_lo, exec_lo, s2
	s_wait_storecnt 0x0
	s_barrier_signal -1
	s_barrier_wait -1
	scratch_load_b128 v[2:5], off, s34
	;; [unrolled: 54-line block ×19, first 2 shown]
	s_mov_b32 s2, exec_lo
	s_wait_loadcnt 0x0
	ds_store_b128 v6, v[2:5]
	s_wait_dscnt 0x0
	s_barrier_signal -1
	s_barrier_wait -1
	v_cmpx_gt_u32_e32 22, v1
	s_cbranch_execz .LBB30_103
; %bb.100:
	v_dual_mov_b32 v10, v76 :: v_dual_add_nc_u32 v8, -1, v1
	v_mov_b64_e32 v[2:3], 0
	v_mov_b64_e32 v[4:5], 0
	v_add_nc_u32_e32 v9, 0x1f0, v76
	s_delay_alu instid0(VALU_DEP_4)
	v_or_b32_e32 v10, 8, v10
	s_mov_b32 s3, 0
.LBB30_101:                             ; =>This Inner Loop Header: Depth=1
	scratch_load_b128 v[78:81], v10, off offset:-8
	ds_load_b128 v[82:85], v9
	s_wait_xcnt 0x0
	v_dual_add_nc_u32 v9, 16, v9 :: v_dual_add_nc_u32 v10, 16, v10
	v_add_nc_u32_e32 v8, 1, v8
	s_delay_alu instid0(VALU_DEP_1) | instskip(SKIP_4) | instid1(VALU_DEP_2)
	v_cmp_lt_u32_e32 vcc_lo, 20, v8
	s_or_b32 s3, vcc_lo, s3
	s_wait_loadcnt_dscnt 0x0
	v_mul_f64_e32 v[12:13], v[84:85], v[80:81]
	v_mul_f64_e32 v[80:81], v[82:83], v[80:81]
	v_fma_f64 v[12:13], v[82:83], v[78:79], -v[12:13]
	s_delay_alu instid0(VALU_DEP_2) | instskip(NEXT) | instid1(VALU_DEP_2)
	v_fmac_f64_e32 v[80:81], v[84:85], v[78:79]
	v_add_f64_e32 v[4:5], v[4:5], v[12:13]
	s_delay_alu instid0(VALU_DEP_2)
	v_add_f64_e32 v[2:3], v[2:3], v[80:81]
	s_and_not1_b32 exec_lo, exec_lo, s3
	s_cbranch_execnz .LBB30_101
; %bb.102:
	s_or_b32 exec_lo, exec_lo, s3
	v_mov_b32_e32 v8, 0
	ds_load_b128 v[8:11], v8 offset:352
	s_wait_dscnt 0x0
	v_mul_f64_e32 v[78:79], v[2:3], v[10:11]
	v_mul_f64_e32 v[12:13], v[4:5], v[10:11]
	s_delay_alu instid0(VALU_DEP_2) | instskip(NEXT) | instid1(VALU_DEP_2)
	v_fma_f64 v[10:11], v[4:5], v[8:9], -v[78:79]
	v_fmac_f64_e32 v[12:13], v[2:3], v[8:9]
	scratch_store_b128 off, v[10:13], off offset:352
.LBB30_103:
	s_wait_xcnt 0x0
	s_or_b32 exec_lo, exec_lo, s2
	s_wait_storecnt 0x0
	s_barrier_signal -1
	s_barrier_wait -1
	scratch_load_b128 v[2:5], off, s15
	s_mov_b32 s2, exec_lo
	s_wait_loadcnt 0x0
	ds_store_b128 v6, v[2:5]
	s_wait_dscnt 0x0
	s_barrier_signal -1
	s_barrier_wait -1
	v_cmpx_gt_u32_e32 23, v1
	s_cbranch_execz .LBB30_107
; %bb.104:
	v_dual_mov_b32 v10, v76 :: v_dual_add_nc_u32 v8, -1, v1
	v_mov_b64_e32 v[2:3], 0
	v_mov_b64_e32 v[4:5], 0
	v_add_nc_u32_e32 v9, 0x1f0, v76
	s_delay_alu instid0(VALU_DEP_4)
	v_or_b32_e32 v10, 8, v10
	s_mov_b32 s3, 0
.LBB30_105:                             ; =>This Inner Loop Header: Depth=1
	scratch_load_b128 v[78:81], v10, off offset:-8
	ds_load_b128 v[82:85], v9
	s_wait_xcnt 0x0
	v_dual_add_nc_u32 v9, 16, v9 :: v_dual_add_nc_u32 v10, 16, v10
	v_add_nc_u32_e32 v8, 1, v8
	s_delay_alu instid0(VALU_DEP_1) | instskip(SKIP_4) | instid1(VALU_DEP_2)
	v_cmp_lt_u32_e32 vcc_lo, 21, v8
	s_or_b32 s3, vcc_lo, s3
	s_wait_loadcnt_dscnt 0x0
	v_mul_f64_e32 v[12:13], v[84:85], v[80:81]
	v_mul_f64_e32 v[80:81], v[82:83], v[80:81]
	v_fma_f64 v[12:13], v[82:83], v[78:79], -v[12:13]
	s_delay_alu instid0(VALU_DEP_2) | instskip(NEXT) | instid1(VALU_DEP_2)
	v_fmac_f64_e32 v[80:81], v[84:85], v[78:79]
	v_add_f64_e32 v[4:5], v[4:5], v[12:13]
	s_delay_alu instid0(VALU_DEP_2)
	v_add_f64_e32 v[2:3], v[2:3], v[80:81]
	s_and_not1_b32 exec_lo, exec_lo, s3
	s_cbranch_execnz .LBB30_105
; %bb.106:
	s_or_b32 exec_lo, exec_lo, s3
	v_mov_b32_e32 v8, 0
	ds_load_b128 v[8:11], v8 offset:368
	s_wait_dscnt 0x0
	v_mul_f64_e32 v[78:79], v[2:3], v[10:11]
	v_mul_f64_e32 v[12:13], v[4:5], v[10:11]
	s_delay_alu instid0(VALU_DEP_2) | instskip(NEXT) | instid1(VALU_DEP_2)
	v_fma_f64 v[10:11], v[4:5], v[8:9], -v[78:79]
	v_fmac_f64_e32 v[12:13], v[2:3], v[8:9]
	scratch_store_b128 off, v[10:13], off offset:368
.LBB30_107:
	s_wait_xcnt 0x0
	s_or_b32 exec_lo, exec_lo, s2
	s_wait_storecnt 0x0
	s_barrier_signal -1
	s_barrier_wait -1
	scratch_load_b128 v[2:5], off, s21
	;; [unrolled: 54-line block ×8, first 2 shown]
	s_mov_b32 s2, exec_lo
	s_wait_loadcnt 0x0
	ds_store_b128 v6, v[2:5]
	s_wait_dscnt 0x0
	s_barrier_signal -1
	s_barrier_wait -1
	v_cmpx_ne_u32_e32 30, v1
	s_cbranch_execz .LBB30_135
; %bb.132:
	v_mov_b32_e32 v8, v76
	v_mov_b64_e32 v[2:3], 0
	v_mov_b64_e32 v[4:5], 0
	s_mov_b32 s3, 0
	s_delay_alu instid0(VALU_DEP_3)
	v_or_b32_e32 v8, 8, v8
.LBB30_133:                             ; =>This Inner Loop Header: Depth=1
	scratch_load_b128 v[10:13], v8, off offset:-8
	ds_load_b128 v[76:79], v6
	v_dual_add_nc_u32 v7, 1, v7 :: v_dual_add_nc_u32 v6, 16, v6
	s_wait_xcnt 0x0
	v_add_nc_u32_e32 v8, 16, v8
	s_delay_alu instid0(VALU_DEP_2) | instskip(SKIP_4) | instid1(VALU_DEP_2)
	v_cmp_lt_u32_e32 vcc_lo, 28, v7
	s_or_b32 s3, vcc_lo, s3
	s_wait_loadcnt_dscnt 0x0
	v_mul_f64_e32 v[80:81], v[78:79], v[12:13]
	v_mul_f64_e32 v[12:13], v[76:77], v[12:13]
	v_fma_f64 v[76:77], v[76:77], v[10:11], -v[80:81]
	s_delay_alu instid0(VALU_DEP_2) | instskip(NEXT) | instid1(VALU_DEP_2)
	v_fmac_f64_e32 v[12:13], v[78:79], v[10:11]
	v_add_f64_e32 v[4:5], v[4:5], v[76:77]
	s_delay_alu instid0(VALU_DEP_2)
	v_add_f64_e32 v[2:3], v[2:3], v[12:13]
	s_and_not1_b32 exec_lo, exec_lo, s3
	s_cbranch_execnz .LBB30_133
; %bb.134:
	s_or_b32 exec_lo, exec_lo, s3
	v_mov_b32_e32 v6, 0
	ds_load_b128 v[6:9], v6 offset:480
	s_wait_dscnt 0x0
	v_mul_f64_e32 v[12:13], v[2:3], v[8:9]
	v_mul_f64_e32 v[10:11], v[4:5], v[8:9]
	s_delay_alu instid0(VALU_DEP_2) | instskip(NEXT) | instid1(VALU_DEP_2)
	v_fma_f64 v[8:9], v[4:5], v[6:7], -v[12:13]
	v_fmac_f64_e32 v[10:11], v[2:3], v[6:7]
	scratch_store_b128 off, v[8:11], off offset:480
.LBB30_135:
	s_wait_xcnt 0x0
	s_or_b32 exec_lo, exec_lo, s2
	s_mov_b32 s3, -1
	s_wait_storecnt 0x0
	s_barrier_signal -1
	s_barrier_wait -1
.LBB30_136:
	s_and_b32 vcc_lo, exec_lo, s3
	s_cbranch_vccz .LBB30_138
; %bb.137:
	s_wait_xcnt 0xa
	v_mov_b32_e32 v2, 0
	s_lshl_b64 s[2:3], s[18:19], 2
	s_delay_alu instid0(SALU_CYCLE_1)
	s_add_nc_u64 s[2:3], s[6:7], s[2:3]
	global_load_b32 v2, v2, s[2:3]
	s_wait_loadcnt 0x0
	v_cmp_ne_u32_e32 vcc_lo, 0, v2
	s_cbranch_vccz .LBB30_139
.LBB30_138:
	s_sendmsg sendmsg(MSG_DEALLOC_VGPRS)
	s_endpgm
.LBB30_139:
	s_wait_xcnt 0xa
	v_lshl_add_u32 v6, v1, 4, 0x1f0
	s_wait_xcnt 0x0
	s_mov_b32 s2, exec_lo
	v_cmpx_eq_u32_e32 30, v1
	s_cbranch_execz .LBB30_141
; %bb.140:
	scratch_load_b128 v[2:5], off, s20
	v_mov_b32_e32 v8, 0
	s_delay_alu instid0(VALU_DEP_1)
	v_dual_mov_b32 v9, v8 :: v_dual_mov_b32 v10, v8
	v_mov_b32_e32 v11, v8
	scratch_store_b128 off, v[8:11], off offset:464
	s_wait_loadcnt 0x0
	ds_store_b128 v6, v[2:5]
.LBB30_141:
	s_wait_xcnt 0x0
	s_or_b32 exec_lo, exec_lo, s2
	s_wait_storecnt_dscnt 0x0
	s_barrier_signal -1
	s_barrier_wait -1
	s_clause 0x1
	scratch_load_b128 v[8:11], off, off offset:480
	scratch_load_b128 v[76:79], off, off offset:464
	v_mov_b32_e32 v2, 0
	s_mov_b32 s2, exec_lo
	ds_load_b128 v[80:83], v2 offset:976
	s_wait_loadcnt_dscnt 0x100
	v_mul_f64_e32 v[4:5], v[82:83], v[10:11]
	v_mul_f64_e32 v[10:11], v[80:81], v[10:11]
	s_delay_alu instid0(VALU_DEP_2) | instskip(NEXT) | instid1(VALU_DEP_2)
	v_fma_f64 v[4:5], v[80:81], v[8:9], -v[4:5]
	v_fmac_f64_e32 v[10:11], v[82:83], v[8:9]
	s_delay_alu instid0(VALU_DEP_2) | instskip(NEXT) | instid1(VALU_DEP_2)
	v_add_f64_e32 v[4:5], 0, v[4:5]
	v_add_f64_e32 v[10:11], 0, v[10:11]
	s_wait_loadcnt 0x0
	s_delay_alu instid0(VALU_DEP_2) | instskip(NEXT) | instid1(VALU_DEP_2)
	v_add_f64_e64 v[8:9], v[76:77], -v[4:5]
	v_add_f64_e64 v[10:11], v[78:79], -v[10:11]
	scratch_store_b128 off, v[8:11], off offset:464
	s_wait_xcnt 0x0
	v_cmpx_lt_u32_e32 28, v1
	s_cbranch_execz .LBB30_143
; %bb.142:
	scratch_load_b128 v[8:11], off, s25
	v_dual_mov_b32 v3, v2 :: v_dual_mov_b32 v4, v2
	v_mov_b32_e32 v5, v2
	scratch_store_b128 off, v[2:5], off offset:448
	s_wait_loadcnt 0x0
	ds_store_b128 v6, v[8:11]
.LBB30_143:
	s_wait_xcnt 0x0
	s_or_b32 exec_lo, exec_lo, s2
	s_wait_storecnt_dscnt 0x0
	s_barrier_signal -1
	s_barrier_wait -1
	s_clause 0x2
	scratch_load_b128 v[8:11], off, off offset:464
	scratch_load_b128 v[76:79], off, off offset:480
	;; [unrolled: 1-line block ×3, first 2 shown]
	ds_load_b128 v[84:87], v2 offset:960
	ds_load_b128 v[2:5], v2 offset:976
	s_mov_b32 s2, exec_lo
	s_wait_loadcnt_dscnt 0x201
	v_mul_f64_e32 v[12:13], v[86:87], v[10:11]
	v_mul_f64_e32 v[10:11], v[84:85], v[10:11]
	s_wait_loadcnt_dscnt 0x100
	v_mul_f64_e32 v[88:89], v[2:3], v[78:79]
	v_mul_f64_e32 v[78:79], v[4:5], v[78:79]
	s_delay_alu instid0(VALU_DEP_4) | instskip(NEXT) | instid1(VALU_DEP_4)
	v_fma_f64 v[12:13], v[84:85], v[8:9], -v[12:13]
	v_fmac_f64_e32 v[10:11], v[86:87], v[8:9]
	s_delay_alu instid0(VALU_DEP_4) | instskip(NEXT) | instid1(VALU_DEP_4)
	v_fmac_f64_e32 v[88:89], v[4:5], v[76:77]
	v_fma_f64 v[2:3], v[2:3], v[76:77], -v[78:79]
	s_delay_alu instid0(VALU_DEP_4) | instskip(NEXT) | instid1(VALU_DEP_4)
	v_add_f64_e32 v[4:5], 0, v[12:13]
	v_add_f64_e32 v[8:9], 0, v[10:11]
	s_delay_alu instid0(VALU_DEP_2) | instskip(NEXT) | instid1(VALU_DEP_2)
	v_add_f64_e32 v[2:3], v[4:5], v[2:3]
	v_add_f64_e32 v[4:5], v[8:9], v[88:89]
	s_wait_loadcnt 0x0
	s_delay_alu instid0(VALU_DEP_2) | instskip(NEXT) | instid1(VALU_DEP_2)
	v_add_f64_e64 v[2:3], v[80:81], -v[2:3]
	v_add_f64_e64 v[4:5], v[82:83], -v[4:5]
	scratch_store_b128 off, v[2:5], off offset:448
	s_wait_xcnt 0x0
	v_cmpx_lt_u32_e32 27, v1
	s_cbranch_execz .LBB30_145
; %bb.144:
	scratch_load_b128 v[2:5], off, s10
	v_mov_b32_e32 v8, 0
	s_delay_alu instid0(VALU_DEP_1)
	v_dual_mov_b32 v9, v8 :: v_dual_mov_b32 v10, v8
	v_mov_b32_e32 v11, v8
	scratch_store_b128 off, v[8:11], off offset:432
	s_wait_loadcnt 0x0
	ds_store_b128 v6, v[2:5]
.LBB30_145:
	s_wait_xcnt 0x0
	s_or_b32 exec_lo, exec_lo, s2
	s_wait_storecnt_dscnt 0x0
	s_barrier_signal -1
	s_barrier_wait -1
	s_clause 0x3
	scratch_load_b128 v[8:11], off, off offset:448
	scratch_load_b128 v[76:79], off, off offset:464
	scratch_load_b128 v[80:83], off, off offset:480
	scratch_load_b128 v[84:87], off, off offset:432
	v_mov_b32_e32 v2, 0
	ds_load_b128 v[88:91], v2 offset:944
	ds_load_b128 v[92:95], v2 offset:960
	s_mov_b32 s2, exec_lo
	s_wait_loadcnt_dscnt 0x301
	v_mul_f64_e32 v[4:5], v[90:91], v[10:11]
	v_mul_f64_e32 v[12:13], v[88:89], v[10:11]
	s_wait_loadcnt_dscnt 0x200
	v_mul_f64_e32 v[96:97], v[92:93], v[78:79]
	v_mul_f64_e32 v[78:79], v[94:95], v[78:79]
	s_delay_alu instid0(VALU_DEP_4) | instskip(NEXT) | instid1(VALU_DEP_4)
	v_fma_f64 v[4:5], v[88:89], v[8:9], -v[4:5]
	v_fmac_f64_e32 v[12:13], v[90:91], v[8:9]
	ds_load_b128 v[8:11], v2 offset:976
	v_fmac_f64_e32 v[96:97], v[94:95], v[76:77]
	v_fma_f64 v[76:77], v[92:93], v[76:77], -v[78:79]
	s_wait_loadcnt_dscnt 0x100
	v_mul_f64_e32 v[88:89], v[8:9], v[82:83]
	v_mul_f64_e32 v[82:83], v[10:11], v[82:83]
	v_add_f64_e32 v[4:5], 0, v[4:5]
	v_add_f64_e32 v[12:13], 0, v[12:13]
	s_delay_alu instid0(VALU_DEP_4) | instskip(NEXT) | instid1(VALU_DEP_4)
	v_fmac_f64_e32 v[88:89], v[10:11], v[80:81]
	v_fma_f64 v[8:9], v[8:9], v[80:81], -v[82:83]
	s_delay_alu instid0(VALU_DEP_4) | instskip(NEXT) | instid1(VALU_DEP_4)
	v_add_f64_e32 v[4:5], v[4:5], v[76:77]
	v_add_f64_e32 v[10:11], v[12:13], v[96:97]
	s_delay_alu instid0(VALU_DEP_2) | instskip(NEXT) | instid1(VALU_DEP_2)
	v_add_f64_e32 v[4:5], v[4:5], v[8:9]
	v_add_f64_e32 v[10:11], v[10:11], v[88:89]
	s_wait_loadcnt 0x0
	s_delay_alu instid0(VALU_DEP_2) | instskip(NEXT) | instid1(VALU_DEP_2)
	v_add_f64_e64 v[8:9], v[84:85], -v[4:5]
	v_add_f64_e64 v[10:11], v[86:87], -v[10:11]
	scratch_store_b128 off, v[8:11], off offset:432
	s_wait_xcnt 0x0
	v_cmpx_lt_u32_e32 26, v1
	s_cbranch_execz .LBB30_147
; %bb.146:
	scratch_load_b128 v[8:11], off, s14
	v_dual_mov_b32 v3, v2 :: v_dual_mov_b32 v4, v2
	v_mov_b32_e32 v5, v2
	scratch_store_b128 off, v[2:5], off offset:416
	s_wait_loadcnt 0x0
	ds_store_b128 v6, v[8:11]
.LBB30_147:
	s_wait_xcnt 0x0
	s_or_b32 exec_lo, exec_lo, s2
	s_wait_storecnt_dscnt 0x0
	s_barrier_signal -1
	s_barrier_wait -1
	s_clause 0x4
	scratch_load_b128 v[8:11], off, off offset:432
	scratch_load_b128 v[76:79], off, off offset:448
	;; [unrolled: 1-line block ×5, first 2 shown]
	ds_load_b128 v[92:95], v2 offset:928
	ds_load_b128 v[96:99], v2 offset:944
	s_mov_b32 s2, exec_lo
	s_wait_loadcnt_dscnt 0x401
	v_mul_f64_e32 v[4:5], v[94:95], v[10:11]
	v_mul_f64_e32 v[12:13], v[92:93], v[10:11]
	s_wait_loadcnt_dscnt 0x300
	v_mul_f64_e32 v[100:101], v[96:97], v[78:79]
	v_mul_f64_e32 v[78:79], v[98:99], v[78:79]
	s_delay_alu instid0(VALU_DEP_4) | instskip(NEXT) | instid1(VALU_DEP_4)
	v_fma_f64 v[92:93], v[92:93], v[8:9], -v[4:5]
	v_fmac_f64_e32 v[12:13], v[94:95], v[8:9]
	ds_load_b128 v[8:11], v2 offset:960
	ds_load_b128 v[2:5], v2 offset:976
	v_fmac_f64_e32 v[100:101], v[98:99], v[76:77]
	v_fma_f64 v[76:77], v[96:97], v[76:77], -v[78:79]
	s_wait_loadcnt_dscnt 0x201
	v_mul_f64_e32 v[94:95], v[8:9], v[82:83]
	v_mul_f64_e32 v[82:83], v[10:11], v[82:83]
	v_add_f64_e32 v[78:79], 0, v[92:93]
	v_add_f64_e32 v[12:13], 0, v[12:13]
	s_wait_loadcnt_dscnt 0x100
	v_mul_f64_e32 v[92:93], v[2:3], v[86:87]
	v_mul_f64_e32 v[86:87], v[4:5], v[86:87]
	v_fmac_f64_e32 v[94:95], v[10:11], v[80:81]
	v_fma_f64 v[8:9], v[8:9], v[80:81], -v[82:83]
	v_add_f64_e32 v[10:11], v[78:79], v[76:77]
	v_add_f64_e32 v[12:13], v[12:13], v[100:101]
	v_fmac_f64_e32 v[92:93], v[4:5], v[84:85]
	v_fma_f64 v[2:3], v[2:3], v[84:85], -v[86:87]
	s_delay_alu instid0(VALU_DEP_4) | instskip(NEXT) | instid1(VALU_DEP_4)
	v_add_f64_e32 v[4:5], v[10:11], v[8:9]
	v_add_f64_e32 v[8:9], v[12:13], v[94:95]
	s_delay_alu instid0(VALU_DEP_2) | instskip(NEXT) | instid1(VALU_DEP_2)
	v_add_f64_e32 v[2:3], v[4:5], v[2:3]
	v_add_f64_e32 v[4:5], v[8:9], v[92:93]
	s_wait_loadcnt 0x0
	s_delay_alu instid0(VALU_DEP_2) | instskip(NEXT) | instid1(VALU_DEP_2)
	v_add_f64_e64 v[2:3], v[88:89], -v[2:3]
	v_add_f64_e64 v[4:5], v[90:91], -v[4:5]
	scratch_store_b128 off, v[2:5], off offset:416
	s_wait_xcnt 0x0
	v_cmpx_lt_u32_e32 25, v1
	s_cbranch_execz .LBB30_149
; %bb.148:
	scratch_load_b128 v[2:5], off, s12
	v_mov_b32_e32 v8, 0
	s_delay_alu instid0(VALU_DEP_1)
	v_dual_mov_b32 v9, v8 :: v_dual_mov_b32 v10, v8
	v_mov_b32_e32 v11, v8
	scratch_store_b128 off, v[8:11], off offset:400
	s_wait_loadcnt 0x0
	ds_store_b128 v6, v[2:5]
.LBB30_149:
	s_wait_xcnt 0x0
	s_or_b32 exec_lo, exec_lo, s2
	s_wait_storecnt_dscnt 0x0
	s_barrier_signal -1
	s_barrier_wait -1
	s_clause 0x5
	scratch_load_b128 v[8:11], off, off offset:416
	scratch_load_b128 v[76:79], off, off offset:432
	;; [unrolled: 1-line block ×6, first 2 shown]
	v_mov_b32_e32 v2, 0
	ds_load_b128 v[96:99], v2 offset:912
	ds_load_b128 v[100:103], v2 offset:928
	s_mov_b32 s2, exec_lo
	s_wait_loadcnt_dscnt 0x501
	v_mul_f64_e32 v[4:5], v[98:99], v[10:11]
	v_mul_f64_e32 v[12:13], v[96:97], v[10:11]
	s_wait_loadcnt_dscnt 0x400
	v_mul_f64_e32 v[104:105], v[100:101], v[78:79]
	v_mul_f64_e32 v[78:79], v[102:103], v[78:79]
	s_delay_alu instid0(VALU_DEP_4) | instskip(NEXT) | instid1(VALU_DEP_4)
	v_fma_f64 v[4:5], v[96:97], v[8:9], -v[4:5]
	v_fmac_f64_e32 v[12:13], v[98:99], v[8:9]
	ds_load_b128 v[8:11], v2 offset:944
	ds_load_b128 v[96:99], v2 offset:960
	v_fmac_f64_e32 v[104:105], v[102:103], v[76:77]
	v_fma_f64 v[76:77], v[100:101], v[76:77], -v[78:79]
	s_wait_loadcnt_dscnt 0x301
	v_mul_f64_e32 v[106:107], v[8:9], v[82:83]
	v_mul_f64_e32 v[82:83], v[10:11], v[82:83]
	s_wait_loadcnt_dscnt 0x200
	v_mul_f64_e32 v[78:79], v[96:97], v[86:87]
	v_mul_f64_e32 v[86:87], v[98:99], v[86:87]
	v_add_f64_e32 v[4:5], 0, v[4:5]
	v_add_f64_e32 v[12:13], 0, v[12:13]
	v_fmac_f64_e32 v[106:107], v[10:11], v[80:81]
	v_fma_f64 v[80:81], v[8:9], v[80:81], -v[82:83]
	ds_load_b128 v[8:11], v2 offset:976
	v_fmac_f64_e32 v[78:79], v[98:99], v[84:85]
	v_fma_f64 v[84:85], v[96:97], v[84:85], -v[86:87]
	v_add_f64_e32 v[4:5], v[4:5], v[76:77]
	v_add_f64_e32 v[12:13], v[12:13], v[104:105]
	s_wait_loadcnt_dscnt 0x100
	v_mul_f64_e32 v[76:77], v[8:9], v[90:91]
	v_mul_f64_e32 v[82:83], v[10:11], v[90:91]
	s_delay_alu instid0(VALU_DEP_4) | instskip(NEXT) | instid1(VALU_DEP_4)
	v_add_f64_e32 v[4:5], v[4:5], v[80:81]
	v_add_f64_e32 v[12:13], v[12:13], v[106:107]
	s_delay_alu instid0(VALU_DEP_4) | instskip(NEXT) | instid1(VALU_DEP_4)
	v_fmac_f64_e32 v[76:77], v[10:11], v[88:89]
	v_fma_f64 v[8:9], v[8:9], v[88:89], -v[82:83]
	s_delay_alu instid0(VALU_DEP_4) | instskip(NEXT) | instid1(VALU_DEP_4)
	v_add_f64_e32 v[4:5], v[4:5], v[84:85]
	v_add_f64_e32 v[10:11], v[12:13], v[78:79]
	s_delay_alu instid0(VALU_DEP_2) | instskip(NEXT) | instid1(VALU_DEP_2)
	v_add_f64_e32 v[4:5], v[4:5], v[8:9]
	v_add_f64_e32 v[10:11], v[10:11], v[76:77]
	s_wait_loadcnt 0x0
	s_delay_alu instid0(VALU_DEP_2) | instskip(NEXT) | instid1(VALU_DEP_2)
	v_add_f64_e64 v[8:9], v[92:93], -v[4:5]
	v_add_f64_e64 v[10:11], v[94:95], -v[10:11]
	scratch_store_b128 off, v[8:11], off offset:400
	s_wait_xcnt 0x0
	v_cmpx_lt_u32_e32 24, v1
	s_cbranch_execz .LBB30_151
; %bb.150:
	scratch_load_b128 v[8:11], off, s21
	v_dual_mov_b32 v3, v2 :: v_dual_mov_b32 v4, v2
	v_mov_b32_e32 v5, v2
	scratch_store_b128 off, v[2:5], off offset:384
	s_wait_loadcnt 0x0
	ds_store_b128 v6, v[8:11]
.LBB30_151:
	s_wait_xcnt 0x0
	s_or_b32 exec_lo, exec_lo, s2
	s_wait_storecnt_dscnt 0x0
	s_barrier_signal -1
	s_barrier_wait -1
	s_clause 0x6
	scratch_load_b128 v[8:11], off, off offset:400
	scratch_load_b128 v[76:79], off, off offset:416
	;; [unrolled: 1-line block ×7, first 2 shown]
	ds_load_b128 v[100:103], v2 offset:896
	ds_load_b128 v[104:107], v2 offset:912
	s_mov_b32 s2, exec_lo
	s_wait_loadcnt_dscnt 0x601
	v_mul_f64_e32 v[4:5], v[102:103], v[10:11]
	v_mul_f64_e32 v[12:13], v[100:101], v[10:11]
	s_wait_loadcnt_dscnt 0x500
	v_mul_f64_e32 v[108:109], v[104:105], v[78:79]
	v_mul_f64_e32 v[78:79], v[106:107], v[78:79]
	s_delay_alu instid0(VALU_DEP_4) | instskip(NEXT) | instid1(VALU_DEP_4)
	v_fma_f64 v[4:5], v[100:101], v[8:9], -v[4:5]
	v_fmac_f64_e32 v[12:13], v[102:103], v[8:9]
	ds_load_b128 v[8:11], v2 offset:928
	ds_load_b128 v[100:103], v2 offset:944
	v_fmac_f64_e32 v[108:109], v[106:107], v[76:77]
	v_fma_f64 v[76:77], v[104:105], v[76:77], -v[78:79]
	s_wait_loadcnt_dscnt 0x401
	v_mul_f64_e32 v[110:111], v[8:9], v[82:83]
	v_mul_f64_e32 v[82:83], v[10:11], v[82:83]
	s_wait_loadcnt_dscnt 0x300
	v_mul_f64_e32 v[78:79], v[100:101], v[86:87]
	v_mul_f64_e32 v[86:87], v[102:103], v[86:87]
	v_add_f64_e32 v[4:5], 0, v[4:5]
	v_add_f64_e32 v[12:13], 0, v[12:13]
	v_fmac_f64_e32 v[110:111], v[10:11], v[80:81]
	v_fma_f64 v[80:81], v[8:9], v[80:81], -v[82:83]
	v_fmac_f64_e32 v[78:79], v[102:103], v[84:85]
	v_fma_f64 v[84:85], v[100:101], v[84:85], -v[86:87]
	v_add_f64_e32 v[76:77], v[4:5], v[76:77]
	v_add_f64_e32 v[12:13], v[12:13], v[108:109]
	ds_load_b128 v[8:11], v2 offset:960
	ds_load_b128 v[2:5], v2 offset:976
	s_wait_loadcnt_dscnt 0x201
	v_mul_f64_e32 v[82:83], v[8:9], v[90:91]
	v_mul_f64_e32 v[90:91], v[10:11], v[90:91]
	s_wait_loadcnt_dscnt 0x100
	v_mul_f64_e32 v[86:87], v[4:5], v[94:95]
	v_add_f64_e32 v[76:77], v[76:77], v[80:81]
	v_add_f64_e32 v[12:13], v[12:13], v[110:111]
	v_mul_f64_e32 v[80:81], v[2:3], v[94:95]
	v_fmac_f64_e32 v[82:83], v[10:11], v[88:89]
	v_fma_f64 v[8:9], v[8:9], v[88:89], -v[90:91]
	v_fma_f64 v[2:3], v[2:3], v[92:93], -v[86:87]
	v_add_f64_e32 v[10:11], v[76:77], v[84:85]
	v_add_f64_e32 v[12:13], v[12:13], v[78:79]
	v_fmac_f64_e32 v[80:81], v[4:5], v[92:93]
	s_delay_alu instid0(VALU_DEP_3) | instskip(NEXT) | instid1(VALU_DEP_3)
	v_add_f64_e32 v[4:5], v[10:11], v[8:9]
	v_add_f64_e32 v[8:9], v[12:13], v[82:83]
	s_delay_alu instid0(VALU_DEP_2) | instskip(NEXT) | instid1(VALU_DEP_2)
	v_add_f64_e32 v[2:3], v[4:5], v[2:3]
	v_add_f64_e32 v[4:5], v[8:9], v[80:81]
	s_wait_loadcnt 0x0
	s_delay_alu instid0(VALU_DEP_2) | instskip(NEXT) | instid1(VALU_DEP_2)
	v_add_f64_e64 v[2:3], v[96:97], -v[2:3]
	v_add_f64_e64 v[4:5], v[98:99], -v[4:5]
	scratch_store_b128 off, v[2:5], off offset:384
	s_wait_xcnt 0x0
	v_cmpx_lt_u32_e32 23, v1
	s_cbranch_execz .LBB30_153
; %bb.152:
	scratch_load_b128 v[2:5], off, s15
	v_mov_b32_e32 v8, 0
	s_delay_alu instid0(VALU_DEP_1)
	v_dual_mov_b32 v9, v8 :: v_dual_mov_b32 v10, v8
	v_mov_b32_e32 v11, v8
	scratch_store_b128 off, v[8:11], off offset:368
	s_wait_loadcnt 0x0
	ds_store_b128 v6, v[2:5]
.LBB30_153:
	s_wait_xcnt 0x0
	s_or_b32 exec_lo, exec_lo, s2
	s_wait_storecnt_dscnt 0x0
	s_barrier_signal -1
	s_barrier_wait -1
	s_clause 0x7
	scratch_load_b128 v[8:11], off, off offset:384
	scratch_load_b128 v[76:79], off, off offset:400
	;; [unrolled: 1-line block ×8, first 2 shown]
	v_mov_b32_e32 v2, 0
	ds_load_b128 v[104:107], v2 offset:880
	ds_load_b128 v[108:111], v2 offset:896
	s_mov_b32 s2, exec_lo
	s_wait_loadcnt_dscnt 0x701
	v_mul_f64_e32 v[4:5], v[106:107], v[10:11]
	v_mul_f64_e32 v[12:13], v[104:105], v[10:11]
	s_wait_loadcnt_dscnt 0x600
	v_mul_f64_e32 v[112:113], v[108:109], v[78:79]
	v_mul_f64_e32 v[78:79], v[110:111], v[78:79]
	s_delay_alu instid0(VALU_DEP_4) | instskip(NEXT) | instid1(VALU_DEP_4)
	v_fma_f64 v[4:5], v[104:105], v[8:9], -v[4:5]
	v_fmac_f64_e32 v[12:13], v[106:107], v[8:9]
	ds_load_b128 v[8:11], v2 offset:912
	ds_load_b128 v[104:107], v2 offset:928
	v_fmac_f64_e32 v[112:113], v[110:111], v[76:77]
	v_fma_f64 v[76:77], v[108:109], v[76:77], -v[78:79]
	s_wait_loadcnt_dscnt 0x501
	v_mul_f64_e32 v[114:115], v[8:9], v[82:83]
	v_mul_f64_e32 v[82:83], v[10:11], v[82:83]
	s_wait_loadcnt_dscnt 0x400
	v_mul_f64_e32 v[108:109], v[104:105], v[86:87]
	v_mul_f64_e32 v[86:87], v[106:107], v[86:87]
	v_add_f64_e32 v[4:5], 0, v[4:5]
	v_add_f64_e32 v[12:13], 0, v[12:13]
	v_fmac_f64_e32 v[114:115], v[10:11], v[80:81]
	v_fma_f64 v[80:81], v[8:9], v[80:81], -v[82:83]
	v_fmac_f64_e32 v[108:109], v[106:107], v[84:85]
	v_fma_f64 v[84:85], v[104:105], v[84:85], -v[86:87]
	v_add_f64_e32 v[4:5], v[4:5], v[76:77]
	v_add_f64_e32 v[12:13], v[12:13], v[112:113]
	ds_load_b128 v[8:11], v2 offset:944
	ds_load_b128 v[76:79], v2 offset:960
	s_wait_loadcnt_dscnt 0x301
	v_mul_f64_e32 v[82:83], v[8:9], v[90:91]
	v_mul_f64_e32 v[90:91], v[10:11], v[90:91]
	s_wait_loadcnt_dscnt 0x200
	v_mul_f64_e32 v[86:87], v[78:79], v[94:95]
	v_add_f64_e32 v[4:5], v[4:5], v[80:81]
	v_add_f64_e32 v[12:13], v[12:13], v[114:115]
	v_mul_f64_e32 v[80:81], v[76:77], v[94:95]
	v_fmac_f64_e32 v[82:83], v[10:11], v[88:89]
	v_fma_f64 v[88:89], v[8:9], v[88:89], -v[90:91]
	ds_load_b128 v[8:11], v2 offset:976
	v_fma_f64 v[76:77], v[76:77], v[92:93], -v[86:87]
	v_add_f64_e32 v[4:5], v[4:5], v[84:85]
	v_add_f64_e32 v[12:13], v[12:13], v[108:109]
	v_fmac_f64_e32 v[80:81], v[78:79], v[92:93]
	s_wait_loadcnt_dscnt 0x100
	v_mul_f64_e32 v[84:85], v[8:9], v[98:99]
	v_mul_f64_e32 v[90:91], v[10:11], v[98:99]
	v_add_f64_e32 v[4:5], v[4:5], v[88:89]
	v_add_f64_e32 v[12:13], v[12:13], v[82:83]
	s_delay_alu instid0(VALU_DEP_4) | instskip(NEXT) | instid1(VALU_DEP_4)
	v_fmac_f64_e32 v[84:85], v[10:11], v[96:97]
	v_fma_f64 v[8:9], v[8:9], v[96:97], -v[90:91]
	s_delay_alu instid0(VALU_DEP_4) | instskip(NEXT) | instid1(VALU_DEP_4)
	v_add_f64_e32 v[4:5], v[4:5], v[76:77]
	v_add_f64_e32 v[10:11], v[12:13], v[80:81]
	s_delay_alu instid0(VALU_DEP_2) | instskip(NEXT) | instid1(VALU_DEP_2)
	v_add_f64_e32 v[4:5], v[4:5], v[8:9]
	v_add_f64_e32 v[10:11], v[10:11], v[84:85]
	s_wait_loadcnt 0x0
	s_delay_alu instid0(VALU_DEP_2) | instskip(NEXT) | instid1(VALU_DEP_2)
	v_add_f64_e64 v[8:9], v[100:101], -v[4:5]
	v_add_f64_e64 v[10:11], v[102:103], -v[10:11]
	scratch_store_b128 off, v[8:11], off offset:368
	s_wait_xcnt 0x0
	v_cmpx_lt_u32_e32 22, v1
	s_cbranch_execz .LBB30_155
; %bb.154:
	scratch_load_b128 v[8:11], off, s24
	v_dual_mov_b32 v3, v2 :: v_dual_mov_b32 v4, v2
	v_mov_b32_e32 v5, v2
	scratch_store_b128 off, v[2:5], off offset:352
	s_wait_loadcnt 0x0
	ds_store_b128 v6, v[8:11]
.LBB30_155:
	s_wait_xcnt 0x0
	s_or_b32 exec_lo, exec_lo, s2
	s_wait_storecnt_dscnt 0x0
	s_barrier_signal -1
	s_barrier_wait -1
	s_clause 0x7
	scratch_load_b128 v[8:11], off, off offset:368
	scratch_load_b128 v[76:79], off, off offset:384
	;; [unrolled: 1-line block ×8, first 2 shown]
	ds_load_b128 v[104:107], v2 offset:864
	ds_load_b128 v[108:111], v2 offset:880
	scratch_load_b128 v[112:115], off, off offset:352
	s_mov_b32 s2, exec_lo
	s_wait_loadcnt_dscnt 0x801
	v_mul_f64_e32 v[4:5], v[106:107], v[10:11]
	v_mul_f64_e32 v[12:13], v[104:105], v[10:11]
	s_wait_loadcnt_dscnt 0x700
	v_mul_f64_e32 v[116:117], v[108:109], v[78:79]
	v_mul_f64_e32 v[78:79], v[110:111], v[78:79]
	s_delay_alu instid0(VALU_DEP_4) | instskip(NEXT) | instid1(VALU_DEP_4)
	v_fma_f64 v[4:5], v[104:105], v[8:9], -v[4:5]
	v_fmac_f64_e32 v[12:13], v[106:107], v[8:9]
	ds_load_b128 v[8:11], v2 offset:896
	ds_load_b128 v[104:107], v2 offset:912
	v_fmac_f64_e32 v[116:117], v[110:111], v[76:77]
	v_fma_f64 v[76:77], v[108:109], v[76:77], -v[78:79]
	s_wait_loadcnt_dscnt 0x601
	v_mul_f64_e32 v[118:119], v[8:9], v[82:83]
	v_mul_f64_e32 v[82:83], v[10:11], v[82:83]
	s_wait_loadcnt_dscnt 0x500
	v_mul_f64_e32 v[108:109], v[104:105], v[86:87]
	v_mul_f64_e32 v[86:87], v[106:107], v[86:87]
	v_add_f64_e32 v[4:5], 0, v[4:5]
	v_add_f64_e32 v[12:13], 0, v[12:13]
	v_fmac_f64_e32 v[118:119], v[10:11], v[80:81]
	v_fma_f64 v[80:81], v[8:9], v[80:81], -v[82:83]
	v_fmac_f64_e32 v[108:109], v[106:107], v[84:85]
	v_fma_f64 v[84:85], v[104:105], v[84:85], -v[86:87]
	v_add_f64_e32 v[4:5], v[4:5], v[76:77]
	v_add_f64_e32 v[12:13], v[12:13], v[116:117]
	ds_load_b128 v[8:11], v2 offset:928
	ds_load_b128 v[76:79], v2 offset:944
	s_wait_loadcnt_dscnt 0x401
	v_mul_f64_e32 v[82:83], v[8:9], v[90:91]
	v_mul_f64_e32 v[90:91], v[10:11], v[90:91]
	s_wait_loadcnt_dscnt 0x300
	v_mul_f64_e32 v[86:87], v[78:79], v[94:95]
	v_add_f64_e32 v[4:5], v[4:5], v[80:81]
	v_add_f64_e32 v[12:13], v[12:13], v[118:119]
	v_mul_f64_e32 v[80:81], v[76:77], v[94:95]
	v_fmac_f64_e32 v[82:83], v[10:11], v[88:89]
	v_fma_f64 v[88:89], v[8:9], v[88:89], -v[90:91]
	v_fma_f64 v[76:77], v[76:77], v[92:93], -v[86:87]
	v_add_f64_e32 v[84:85], v[4:5], v[84:85]
	v_add_f64_e32 v[12:13], v[12:13], v[108:109]
	ds_load_b128 v[8:11], v2 offset:960
	ds_load_b128 v[2:5], v2 offset:976
	v_fmac_f64_e32 v[80:81], v[78:79], v[92:93]
	s_wait_loadcnt_dscnt 0x201
	v_mul_f64_e32 v[90:91], v[8:9], v[98:99]
	v_mul_f64_e32 v[94:95], v[10:11], v[98:99]
	v_add_f64_e32 v[78:79], v[84:85], v[88:89]
	v_add_f64_e32 v[12:13], v[12:13], v[82:83]
	s_wait_loadcnt_dscnt 0x100
	v_mul_f64_e32 v[82:83], v[2:3], v[102:103]
	v_mul_f64_e32 v[84:85], v[4:5], v[102:103]
	v_fmac_f64_e32 v[90:91], v[10:11], v[96:97]
	v_fma_f64 v[8:9], v[8:9], v[96:97], -v[94:95]
	v_add_f64_e32 v[10:11], v[78:79], v[76:77]
	v_add_f64_e32 v[12:13], v[12:13], v[80:81]
	v_fmac_f64_e32 v[82:83], v[4:5], v[100:101]
	v_fma_f64 v[2:3], v[2:3], v[100:101], -v[84:85]
	s_delay_alu instid0(VALU_DEP_4) | instskip(NEXT) | instid1(VALU_DEP_4)
	v_add_f64_e32 v[4:5], v[10:11], v[8:9]
	v_add_f64_e32 v[8:9], v[12:13], v[90:91]
	s_delay_alu instid0(VALU_DEP_2) | instskip(NEXT) | instid1(VALU_DEP_2)
	v_add_f64_e32 v[2:3], v[4:5], v[2:3]
	v_add_f64_e32 v[4:5], v[8:9], v[82:83]
	s_wait_loadcnt 0x0
	s_delay_alu instid0(VALU_DEP_2) | instskip(NEXT) | instid1(VALU_DEP_2)
	v_add_f64_e64 v[2:3], v[112:113], -v[2:3]
	v_add_f64_e64 v[4:5], v[114:115], -v[4:5]
	scratch_store_b128 off, v[2:5], off offset:352
	s_wait_xcnt 0x0
	v_cmpx_lt_u32_e32 21, v1
	s_cbranch_execz .LBB30_157
; %bb.156:
	scratch_load_b128 v[2:5], off, s23
	v_mov_b32_e32 v8, 0
	s_delay_alu instid0(VALU_DEP_1)
	v_dual_mov_b32 v9, v8 :: v_dual_mov_b32 v10, v8
	v_mov_b32_e32 v11, v8
	scratch_store_b128 off, v[8:11], off offset:336
	s_wait_loadcnt 0x0
	ds_store_b128 v6, v[2:5]
.LBB30_157:
	s_wait_xcnt 0x0
	s_or_b32 exec_lo, exec_lo, s2
	s_wait_storecnt_dscnt 0x0
	s_barrier_signal -1
	s_barrier_wait -1
	s_clause 0x8
	scratch_load_b128 v[8:11], off, off offset:352
	scratch_load_b128 v[76:79], off, off offset:368
	;; [unrolled: 1-line block ×9, first 2 shown]
	v_mov_b32_e32 v2, 0
	scratch_load_b128 v[112:115], off, off offset:336
	s_mov_b32 s2, exec_lo
	ds_load_b128 v[108:111], v2 offset:848
	ds_load_b128 v[116:119], v2 offset:864
	s_wait_loadcnt_dscnt 0x901
	v_mul_f64_e32 v[4:5], v[110:111], v[10:11]
	v_mul_f64_e32 v[12:13], v[108:109], v[10:11]
	s_wait_loadcnt_dscnt 0x800
	v_mul_f64_e32 v[120:121], v[116:117], v[78:79]
	v_mul_f64_e32 v[78:79], v[118:119], v[78:79]
	s_delay_alu instid0(VALU_DEP_4) | instskip(NEXT) | instid1(VALU_DEP_4)
	v_fma_f64 v[4:5], v[108:109], v[8:9], -v[4:5]
	v_fmac_f64_e32 v[12:13], v[110:111], v[8:9]
	ds_load_b128 v[8:11], v2 offset:880
	ds_load_b128 v[108:111], v2 offset:896
	v_fmac_f64_e32 v[120:121], v[118:119], v[76:77]
	v_fma_f64 v[76:77], v[116:117], v[76:77], -v[78:79]
	s_wait_loadcnt_dscnt 0x701
	v_mul_f64_e32 v[122:123], v[8:9], v[82:83]
	v_mul_f64_e32 v[82:83], v[10:11], v[82:83]
	s_wait_loadcnt_dscnt 0x600
	v_mul_f64_e32 v[116:117], v[108:109], v[86:87]
	v_mul_f64_e32 v[86:87], v[110:111], v[86:87]
	v_add_f64_e32 v[4:5], 0, v[4:5]
	v_add_f64_e32 v[12:13], 0, v[12:13]
	v_fmac_f64_e32 v[122:123], v[10:11], v[80:81]
	v_fma_f64 v[80:81], v[8:9], v[80:81], -v[82:83]
	v_fmac_f64_e32 v[116:117], v[110:111], v[84:85]
	v_fma_f64 v[84:85], v[108:109], v[84:85], -v[86:87]
	v_add_f64_e32 v[4:5], v[4:5], v[76:77]
	v_add_f64_e32 v[12:13], v[12:13], v[120:121]
	ds_load_b128 v[8:11], v2 offset:912
	ds_load_b128 v[76:79], v2 offset:928
	s_wait_loadcnt_dscnt 0x501
	v_mul_f64_e32 v[118:119], v[8:9], v[90:91]
	v_mul_f64_e32 v[82:83], v[10:11], v[90:91]
	s_wait_loadcnt_dscnt 0x400
	v_mul_f64_e32 v[86:87], v[76:77], v[94:95]
	v_mul_f64_e32 v[90:91], v[78:79], v[94:95]
	v_add_f64_e32 v[4:5], v[4:5], v[80:81]
	v_add_f64_e32 v[12:13], v[12:13], v[122:123]
	v_fmac_f64_e32 v[118:119], v[10:11], v[88:89]
	v_fma_f64 v[88:89], v[8:9], v[88:89], -v[82:83]
	ds_load_b128 v[8:11], v2 offset:944
	ds_load_b128 v[80:83], v2 offset:960
	v_fmac_f64_e32 v[86:87], v[78:79], v[92:93]
	v_fma_f64 v[76:77], v[76:77], v[92:93], -v[90:91]
	v_add_f64_e32 v[4:5], v[4:5], v[84:85]
	v_add_f64_e32 v[12:13], v[12:13], v[116:117]
	s_wait_loadcnt_dscnt 0x301
	v_mul_f64_e32 v[84:85], v[8:9], v[98:99]
	v_mul_f64_e32 v[94:95], v[10:11], v[98:99]
	s_wait_loadcnt_dscnt 0x200
	v_mul_f64_e32 v[78:79], v[80:81], v[102:103]
	v_add_f64_e32 v[4:5], v[4:5], v[88:89]
	v_add_f64_e32 v[12:13], v[12:13], v[118:119]
	v_mul_f64_e32 v[88:89], v[82:83], v[102:103]
	v_fmac_f64_e32 v[84:85], v[10:11], v[96:97]
	v_fma_f64 v[90:91], v[8:9], v[96:97], -v[94:95]
	ds_load_b128 v[8:11], v2 offset:976
	v_fmac_f64_e32 v[78:79], v[82:83], v[100:101]
	v_add_f64_e32 v[4:5], v[4:5], v[76:77]
	v_add_f64_e32 v[12:13], v[12:13], v[86:87]
	s_wait_loadcnt_dscnt 0x100
	v_mul_f64_e32 v[76:77], v[8:9], v[106:107]
	v_mul_f64_e32 v[86:87], v[10:11], v[106:107]
	v_fma_f64 v[80:81], v[80:81], v[100:101], -v[88:89]
	v_add_f64_e32 v[4:5], v[4:5], v[90:91]
	v_add_f64_e32 v[12:13], v[12:13], v[84:85]
	v_fmac_f64_e32 v[76:77], v[10:11], v[104:105]
	v_fma_f64 v[8:9], v[8:9], v[104:105], -v[86:87]
	s_delay_alu instid0(VALU_DEP_4) | instskip(NEXT) | instid1(VALU_DEP_4)
	v_add_f64_e32 v[4:5], v[4:5], v[80:81]
	v_add_f64_e32 v[10:11], v[12:13], v[78:79]
	s_delay_alu instid0(VALU_DEP_2) | instskip(NEXT) | instid1(VALU_DEP_2)
	v_add_f64_e32 v[4:5], v[4:5], v[8:9]
	v_add_f64_e32 v[10:11], v[10:11], v[76:77]
	s_wait_loadcnt 0x0
	s_delay_alu instid0(VALU_DEP_2) | instskip(NEXT) | instid1(VALU_DEP_2)
	v_add_f64_e64 v[8:9], v[112:113], -v[4:5]
	v_add_f64_e64 v[10:11], v[114:115], -v[10:11]
	scratch_store_b128 off, v[8:11], off offset:336
	s_wait_xcnt 0x0
	v_cmpx_lt_u32_e32 20, v1
	s_cbranch_execz .LBB30_159
; %bb.158:
	scratch_load_b128 v[8:11], off, s27
	v_dual_mov_b32 v3, v2 :: v_dual_mov_b32 v4, v2
	v_mov_b32_e32 v5, v2
	scratch_store_b128 off, v[2:5], off offset:320
	s_wait_loadcnt 0x0
	ds_store_b128 v6, v[8:11]
.LBB30_159:
	s_wait_xcnt 0x0
	s_or_b32 exec_lo, exec_lo, s2
	s_wait_storecnt_dscnt 0x0
	s_barrier_signal -1
	s_barrier_wait -1
	s_clause 0x9
	scratch_load_b128 v[8:11], off, off offset:336
	scratch_load_b128 v[76:79], off, off offset:352
	;; [unrolled: 1-line block ×10, first 2 shown]
	ds_load_b128 v[112:115], v2 offset:832
	ds_load_b128 v[116:119], v2 offset:848
	scratch_load_b128 v[120:123], off, off offset:320
	s_mov_b32 s2, exec_lo
	s_wait_loadcnt_dscnt 0xa01
	v_mul_f64_e32 v[4:5], v[114:115], v[10:11]
	v_mul_f64_e32 v[12:13], v[112:113], v[10:11]
	s_wait_loadcnt_dscnt 0x900
	v_mul_f64_e32 v[124:125], v[116:117], v[78:79]
	v_mul_f64_e32 v[78:79], v[118:119], v[78:79]
	s_delay_alu instid0(VALU_DEP_4) | instskip(NEXT) | instid1(VALU_DEP_4)
	v_fma_f64 v[4:5], v[112:113], v[8:9], -v[4:5]
	v_fmac_f64_e32 v[12:13], v[114:115], v[8:9]
	ds_load_b128 v[8:11], v2 offset:864
	ds_load_b128 v[112:115], v2 offset:880
	v_fmac_f64_e32 v[124:125], v[118:119], v[76:77]
	v_fma_f64 v[76:77], v[116:117], v[76:77], -v[78:79]
	s_wait_loadcnt_dscnt 0x801
	v_mul_f64_e32 v[126:127], v[8:9], v[82:83]
	v_mul_f64_e32 v[82:83], v[10:11], v[82:83]
	s_wait_loadcnt_dscnt 0x700
	v_mul_f64_e32 v[116:117], v[112:113], v[86:87]
	v_mul_f64_e32 v[86:87], v[114:115], v[86:87]
	v_add_f64_e32 v[4:5], 0, v[4:5]
	v_add_f64_e32 v[12:13], 0, v[12:13]
	v_fmac_f64_e32 v[126:127], v[10:11], v[80:81]
	v_fma_f64 v[80:81], v[8:9], v[80:81], -v[82:83]
	v_fmac_f64_e32 v[116:117], v[114:115], v[84:85]
	v_fma_f64 v[84:85], v[112:113], v[84:85], -v[86:87]
	v_add_f64_e32 v[4:5], v[4:5], v[76:77]
	v_add_f64_e32 v[12:13], v[12:13], v[124:125]
	ds_load_b128 v[8:11], v2 offset:896
	ds_load_b128 v[76:79], v2 offset:912
	s_wait_loadcnt_dscnt 0x601
	v_mul_f64_e32 v[118:119], v[8:9], v[90:91]
	v_mul_f64_e32 v[82:83], v[10:11], v[90:91]
	s_wait_loadcnt_dscnt 0x500
	v_mul_f64_e32 v[86:87], v[76:77], v[94:95]
	v_mul_f64_e32 v[90:91], v[78:79], v[94:95]
	v_add_f64_e32 v[4:5], v[4:5], v[80:81]
	v_add_f64_e32 v[12:13], v[12:13], v[126:127]
	v_fmac_f64_e32 v[118:119], v[10:11], v[88:89]
	v_fma_f64 v[88:89], v[8:9], v[88:89], -v[82:83]
	ds_load_b128 v[8:11], v2 offset:928
	ds_load_b128 v[80:83], v2 offset:944
	v_fmac_f64_e32 v[86:87], v[78:79], v[92:93]
	v_fma_f64 v[76:77], v[76:77], v[92:93], -v[90:91]
	v_add_f64_e32 v[4:5], v[4:5], v[84:85]
	v_add_f64_e32 v[12:13], v[12:13], v[116:117]
	s_wait_loadcnt_dscnt 0x401
	v_mul_f64_e32 v[84:85], v[8:9], v[98:99]
	v_mul_f64_e32 v[94:95], v[10:11], v[98:99]
	s_wait_loadcnt_dscnt 0x300
	v_mul_f64_e32 v[78:79], v[80:81], v[102:103]
	v_add_f64_e32 v[4:5], v[4:5], v[88:89]
	v_add_f64_e32 v[12:13], v[12:13], v[118:119]
	v_mul_f64_e32 v[88:89], v[82:83], v[102:103]
	v_fmac_f64_e32 v[84:85], v[10:11], v[96:97]
	v_fma_f64 v[90:91], v[8:9], v[96:97], -v[94:95]
	v_fmac_f64_e32 v[78:79], v[82:83], v[100:101]
	v_add_f64_e32 v[76:77], v[4:5], v[76:77]
	v_add_f64_e32 v[12:13], v[12:13], v[86:87]
	ds_load_b128 v[8:11], v2 offset:960
	ds_load_b128 v[2:5], v2 offset:976
	v_fma_f64 v[80:81], v[80:81], v[100:101], -v[88:89]
	s_wait_loadcnt_dscnt 0x201
	v_mul_f64_e32 v[86:87], v[8:9], v[106:107]
	v_mul_f64_e32 v[92:93], v[10:11], v[106:107]
	s_wait_loadcnt_dscnt 0x100
	v_mul_f64_e32 v[82:83], v[2:3], v[110:111]
	v_add_f64_e32 v[76:77], v[76:77], v[90:91]
	v_add_f64_e32 v[12:13], v[12:13], v[84:85]
	v_mul_f64_e32 v[84:85], v[4:5], v[110:111]
	v_fmac_f64_e32 v[86:87], v[10:11], v[104:105]
	v_fma_f64 v[8:9], v[8:9], v[104:105], -v[92:93]
	v_fmac_f64_e32 v[82:83], v[4:5], v[108:109]
	v_add_f64_e32 v[10:11], v[76:77], v[80:81]
	v_add_f64_e32 v[12:13], v[12:13], v[78:79]
	v_fma_f64 v[2:3], v[2:3], v[108:109], -v[84:85]
	s_delay_alu instid0(VALU_DEP_3) | instskip(NEXT) | instid1(VALU_DEP_3)
	v_add_f64_e32 v[4:5], v[10:11], v[8:9]
	v_add_f64_e32 v[8:9], v[12:13], v[86:87]
	s_delay_alu instid0(VALU_DEP_2) | instskip(NEXT) | instid1(VALU_DEP_2)
	v_add_f64_e32 v[2:3], v[4:5], v[2:3]
	v_add_f64_e32 v[4:5], v[8:9], v[82:83]
	s_wait_loadcnt 0x0
	s_delay_alu instid0(VALU_DEP_2) | instskip(NEXT) | instid1(VALU_DEP_2)
	v_add_f64_e64 v[2:3], v[120:121], -v[2:3]
	v_add_f64_e64 v[4:5], v[122:123], -v[4:5]
	scratch_store_b128 off, v[2:5], off offset:320
	s_wait_xcnt 0x0
	v_cmpx_lt_u32_e32 19, v1
	s_cbranch_execz .LBB30_161
; %bb.160:
	scratch_load_b128 v[2:5], off, s26
	v_mov_b32_e32 v8, 0
	s_delay_alu instid0(VALU_DEP_1)
	v_dual_mov_b32 v9, v8 :: v_dual_mov_b32 v10, v8
	v_mov_b32_e32 v11, v8
	scratch_store_b128 off, v[8:11], off offset:304
	s_wait_loadcnt 0x0
	ds_store_b128 v6, v[2:5]
.LBB30_161:
	s_wait_xcnt 0x0
	s_or_b32 exec_lo, exec_lo, s2
	s_wait_storecnt_dscnt 0x0
	s_barrier_signal -1
	s_barrier_wait -1
	s_clause 0x9
	scratch_load_b128 v[8:11], off, off offset:320
	scratch_load_b128 v[76:79], off, off offset:336
	;; [unrolled: 1-line block ×10, first 2 shown]
	v_mov_b32_e32 v2, 0
	s_mov_b32 s2, exec_lo
	ds_load_b128 v[112:115], v2 offset:816
	s_clause 0x1
	scratch_load_b128 v[116:119], off, off offset:480
	scratch_load_b128 v[120:123], off, off offset:304
	s_wait_loadcnt_dscnt 0xb00
	v_mul_f64_e32 v[4:5], v[114:115], v[10:11]
	v_mul_f64_e32 v[12:13], v[112:113], v[10:11]
	ds_load_b128 v[124:127], v2 offset:832
	s_wait_loadcnt_dscnt 0xa00
	v_mul_f64_e32 v[128:129], v[124:125], v[78:79]
	v_mul_f64_e32 v[78:79], v[126:127], v[78:79]
	v_fma_f64 v[4:5], v[112:113], v[8:9], -v[4:5]
	v_fmac_f64_e32 v[12:13], v[114:115], v[8:9]
	ds_load_b128 v[8:11], v2 offset:848
	ds_load_b128 v[112:115], v2 offset:864
	s_wait_loadcnt_dscnt 0x901
	v_mul_f64_e32 v[130:131], v[8:9], v[82:83]
	v_mul_f64_e32 v[82:83], v[10:11], v[82:83]
	v_fmac_f64_e32 v[128:129], v[126:127], v[76:77]
	v_fma_f64 v[76:77], v[124:125], v[76:77], -v[78:79]
	s_wait_loadcnt_dscnt 0x800
	v_mul_f64_e32 v[124:125], v[112:113], v[86:87]
	v_mul_f64_e32 v[86:87], v[114:115], v[86:87]
	v_add_f64_e32 v[4:5], 0, v[4:5]
	v_add_f64_e32 v[12:13], 0, v[12:13]
	v_fmac_f64_e32 v[130:131], v[10:11], v[80:81]
	v_fma_f64 v[80:81], v[8:9], v[80:81], -v[82:83]
	v_fmac_f64_e32 v[124:125], v[114:115], v[84:85]
	v_fma_f64 v[84:85], v[112:113], v[84:85], -v[86:87]
	v_add_f64_e32 v[4:5], v[4:5], v[76:77]
	v_add_f64_e32 v[12:13], v[12:13], v[128:129]
	ds_load_b128 v[8:11], v2 offset:880
	ds_load_b128 v[76:79], v2 offset:896
	s_wait_loadcnt_dscnt 0x701
	v_mul_f64_e32 v[126:127], v[8:9], v[90:91]
	v_mul_f64_e32 v[82:83], v[10:11], v[90:91]
	s_wait_loadcnt_dscnt 0x600
	v_mul_f64_e32 v[86:87], v[76:77], v[94:95]
	v_mul_f64_e32 v[90:91], v[78:79], v[94:95]
	v_add_f64_e32 v[4:5], v[4:5], v[80:81]
	v_add_f64_e32 v[12:13], v[12:13], v[130:131]
	v_fmac_f64_e32 v[126:127], v[10:11], v[88:89]
	v_fma_f64 v[88:89], v[8:9], v[88:89], -v[82:83]
	ds_load_b128 v[8:11], v2 offset:912
	ds_load_b128 v[80:83], v2 offset:928
	v_fmac_f64_e32 v[86:87], v[78:79], v[92:93]
	v_fma_f64 v[76:77], v[76:77], v[92:93], -v[90:91]
	v_add_f64_e32 v[4:5], v[4:5], v[84:85]
	v_add_f64_e32 v[12:13], v[12:13], v[124:125]
	s_wait_loadcnt_dscnt 0x501
	v_mul_f64_e32 v[84:85], v[8:9], v[98:99]
	v_mul_f64_e32 v[94:95], v[10:11], v[98:99]
	s_wait_loadcnt_dscnt 0x400
	v_mul_f64_e32 v[90:91], v[82:83], v[102:103]
	v_add_f64_e32 v[4:5], v[4:5], v[88:89]
	v_add_f64_e32 v[12:13], v[12:13], v[126:127]
	v_mul_f64_e32 v[88:89], v[80:81], v[102:103]
	v_fmac_f64_e32 v[84:85], v[10:11], v[96:97]
	v_fma_f64 v[92:93], v[8:9], v[96:97], -v[94:95]
	v_fma_f64 v[80:81], v[80:81], v[100:101], -v[90:91]
	v_add_f64_e32 v[4:5], v[4:5], v[76:77]
	v_add_f64_e32 v[12:13], v[12:13], v[86:87]
	ds_load_b128 v[8:11], v2 offset:944
	ds_load_b128 v[76:79], v2 offset:960
	v_fmac_f64_e32 v[88:89], v[82:83], v[100:101]
	s_wait_loadcnt_dscnt 0x301
	v_mul_f64_e32 v[86:87], v[8:9], v[106:107]
	v_mul_f64_e32 v[94:95], v[10:11], v[106:107]
	s_wait_loadcnt_dscnt 0x200
	v_mul_f64_e32 v[82:83], v[76:77], v[110:111]
	v_add_f64_e32 v[4:5], v[4:5], v[92:93]
	v_add_f64_e32 v[12:13], v[12:13], v[84:85]
	v_mul_f64_e32 v[84:85], v[78:79], v[110:111]
	v_fmac_f64_e32 v[86:87], v[10:11], v[104:105]
	v_fma_f64 v[90:91], v[8:9], v[104:105], -v[94:95]
	ds_load_b128 v[8:11], v2 offset:976
	v_fmac_f64_e32 v[82:83], v[78:79], v[108:109]
	v_add_f64_e32 v[4:5], v[4:5], v[80:81]
	v_add_f64_e32 v[12:13], v[12:13], v[88:89]
	v_fma_f64 v[76:77], v[76:77], v[108:109], -v[84:85]
	s_wait_loadcnt_dscnt 0x100
	v_mul_f64_e32 v[80:81], v[8:9], v[118:119]
	v_mul_f64_e32 v[88:89], v[10:11], v[118:119]
	v_add_f64_e32 v[4:5], v[4:5], v[90:91]
	v_add_f64_e32 v[12:13], v[12:13], v[86:87]
	s_delay_alu instid0(VALU_DEP_4) | instskip(NEXT) | instid1(VALU_DEP_4)
	v_fmac_f64_e32 v[80:81], v[10:11], v[116:117]
	v_fma_f64 v[8:9], v[8:9], v[116:117], -v[88:89]
	s_delay_alu instid0(VALU_DEP_4) | instskip(NEXT) | instid1(VALU_DEP_4)
	v_add_f64_e32 v[4:5], v[4:5], v[76:77]
	v_add_f64_e32 v[10:11], v[12:13], v[82:83]
	s_delay_alu instid0(VALU_DEP_2) | instskip(NEXT) | instid1(VALU_DEP_2)
	v_add_f64_e32 v[4:5], v[4:5], v[8:9]
	v_add_f64_e32 v[10:11], v[10:11], v[80:81]
	s_wait_loadcnt 0x0
	s_delay_alu instid0(VALU_DEP_2) | instskip(NEXT) | instid1(VALU_DEP_2)
	v_add_f64_e64 v[8:9], v[120:121], -v[4:5]
	v_add_f64_e64 v[10:11], v[122:123], -v[10:11]
	scratch_store_b128 off, v[8:11], off offset:304
	s_wait_xcnt 0x0
	v_cmpx_lt_u32_e32 18, v1
	s_cbranch_execz .LBB30_163
; %bb.162:
	scratch_load_b128 v[8:11], off, s31
	v_dual_mov_b32 v3, v2 :: v_dual_mov_b32 v4, v2
	v_mov_b32_e32 v5, v2
	scratch_store_b128 off, v[2:5], off offset:288
	s_wait_loadcnt 0x0
	ds_store_b128 v6, v[8:11]
.LBB30_163:
	s_wait_xcnt 0x0
	s_or_b32 exec_lo, exec_lo, s2
	s_wait_storecnt_dscnt 0x0
	s_barrier_signal -1
	s_barrier_wait -1
	s_clause 0x9
	scratch_load_b128 v[8:11], off, off offset:304
	scratch_load_b128 v[76:79], off, off offset:320
	;; [unrolled: 1-line block ×10, first 2 shown]
	ds_load_b128 v[112:115], v2 offset:800
	ds_load_b128 v[120:123], v2 offset:816
	s_clause 0x1
	scratch_load_b128 v[116:119], off, off offset:464
	scratch_load_b128 v[124:127], off, off offset:288
	s_mov_b32 s2, exec_lo
	s_wait_loadcnt_dscnt 0xb01
	v_mul_f64_e32 v[4:5], v[114:115], v[10:11]
	v_mul_f64_e32 v[132:133], v[112:113], v[10:11]
	scratch_load_b128 v[10:13], off, off offset:480
	s_wait_loadcnt_dscnt 0xb00
	v_mul_f64_e32 v[134:135], v[120:121], v[78:79]
	v_mul_f64_e32 v[78:79], v[122:123], v[78:79]
	v_fma_f64 v[4:5], v[112:113], v[8:9], -v[4:5]
	v_fmac_f64_e32 v[132:133], v[114:115], v[8:9]
	ds_load_b128 v[112:115], v2 offset:832
	ds_load_b128 v[128:131], v2 offset:848
	v_fmac_f64_e32 v[134:135], v[122:123], v[76:77]
	v_fma_f64 v[76:77], v[120:121], v[76:77], -v[78:79]
	s_wait_loadcnt_dscnt 0xa01
	v_mul_f64_e32 v[8:9], v[112:113], v[82:83]
	v_mul_f64_e32 v[82:83], v[114:115], v[82:83]
	s_wait_loadcnt_dscnt 0x900
	v_mul_f64_e32 v[120:121], v[128:129], v[86:87]
	v_mul_f64_e32 v[86:87], v[130:131], v[86:87]
	v_add_f64_e32 v[4:5], 0, v[4:5]
	v_add_f64_e32 v[78:79], 0, v[132:133]
	v_fmac_f64_e32 v[8:9], v[114:115], v[80:81]
	v_fma_f64 v[112:113], v[112:113], v[80:81], -v[82:83]
	v_fmac_f64_e32 v[120:121], v[130:131], v[84:85]
	v_fma_f64 v[84:85], v[128:129], v[84:85], -v[86:87]
	v_add_f64_e32 v[4:5], v[4:5], v[76:77]
	v_add_f64_e32 v[114:115], v[78:79], v[134:135]
	ds_load_b128 v[76:79], v2 offset:864
	ds_load_b128 v[80:83], v2 offset:880
	s_wait_loadcnt_dscnt 0x801
	v_mul_f64_e32 v[122:123], v[76:77], v[90:91]
	v_mul_f64_e32 v[90:91], v[78:79], v[90:91]
	v_add_f64_e32 v[4:5], v[4:5], v[112:113]
	v_add_f64_e32 v[8:9], v[114:115], v[8:9]
	s_wait_loadcnt_dscnt 0x700
	v_mul_f64_e32 v[112:113], v[80:81], v[94:95]
	v_mul_f64_e32 v[94:95], v[82:83], v[94:95]
	v_fmac_f64_e32 v[122:123], v[78:79], v[88:89]
	v_fma_f64 v[88:89], v[76:77], v[88:89], -v[90:91]
	v_add_f64_e32 v[4:5], v[4:5], v[84:85]
	v_add_f64_e32 v[8:9], v[8:9], v[120:121]
	ds_load_b128 v[76:79], v2 offset:896
	ds_load_b128 v[84:87], v2 offset:912
	v_fmac_f64_e32 v[112:113], v[82:83], v[92:93]
	v_fma_f64 v[80:81], v[80:81], v[92:93], -v[94:95]
	s_wait_loadcnt_dscnt 0x601
	v_mul_f64_e32 v[90:91], v[76:77], v[98:99]
	v_mul_f64_e32 v[98:99], v[78:79], v[98:99]
	s_wait_loadcnt_dscnt 0x500
	v_mul_f64_e32 v[92:93], v[86:87], v[102:103]
	v_add_f64_e32 v[4:5], v[4:5], v[88:89]
	v_add_f64_e32 v[8:9], v[8:9], v[122:123]
	v_mul_f64_e32 v[88:89], v[84:85], v[102:103]
	v_fmac_f64_e32 v[90:91], v[78:79], v[96:97]
	v_fma_f64 v[94:95], v[76:77], v[96:97], -v[98:99]
	v_fma_f64 v[84:85], v[84:85], v[100:101], -v[92:93]
	v_add_f64_e32 v[4:5], v[4:5], v[80:81]
	v_add_f64_e32 v[8:9], v[8:9], v[112:113]
	ds_load_b128 v[76:79], v2 offset:928
	ds_load_b128 v[80:83], v2 offset:944
	v_fmac_f64_e32 v[88:89], v[86:87], v[100:101]
	s_wait_loadcnt_dscnt 0x401
	v_mul_f64_e32 v[96:97], v[76:77], v[106:107]
	v_mul_f64_e32 v[98:99], v[78:79], v[106:107]
	s_wait_loadcnt_dscnt 0x300
	v_mul_f64_e32 v[86:87], v[80:81], v[110:111]
	v_add_f64_e32 v[4:5], v[4:5], v[94:95]
	v_add_f64_e32 v[8:9], v[8:9], v[90:91]
	v_mul_f64_e32 v[90:91], v[82:83], v[110:111]
	v_fmac_f64_e32 v[96:97], v[78:79], v[104:105]
	v_fma_f64 v[92:93], v[76:77], v[104:105], -v[98:99]
	v_fmac_f64_e32 v[86:87], v[82:83], v[108:109]
	v_add_f64_e32 v[84:85], v[4:5], v[84:85]
	v_add_f64_e32 v[8:9], v[8:9], v[88:89]
	ds_load_b128 v[76:79], v2 offset:960
	ds_load_b128 v[2:5], v2 offset:976
	v_fma_f64 v[80:81], v[80:81], v[108:109], -v[90:91]
	s_wait_loadcnt_dscnt 0x201
	v_mul_f64_e32 v[88:89], v[76:77], v[118:119]
	v_mul_f64_e32 v[94:95], v[78:79], v[118:119]
	v_add_f64_e32 v[82:83], v[84:85], v[92:93]
	v_add_f64_e32 v[8:9], v[8:9], v[96:97]
	s_wait_loadcnt_dscnt 0x0
	v_mul_f64_e32 v[84:85], v[2:3], v[12:13]
	v_mul_f64_e32 v[12:13], v[4:5], v[12:13]
	v_fmac_f64_e32 v[88:89], v[78:79], v[116:117]
	v_fma_f64 v[76:77], v[76:77], v[116:117], -v[94:95]
	v_add_f64_e32 v[78:79], v[82:83], v[80:81]
	v_add_f64_e32 v[8:9], v[8:9], v[86:87]
	v_fmac_f64_e32 v[84:85], v[4:5], v[10:11]
	v_fma_f64 v[2:3], v[2:3], v[10:11], -v[12:13]
	s_delay_alu instid0(VALU_DEP_4) | instskip(NEXT) | instid1(VALU_DEP_4)
	v_add_f64_e32 v[4:5], v[78:79], v[76:77]
	v_add_f64_e32 v[8:9], v[8:9], v[88:89]
	s_delay_alu instid0(VALU_DEP_2) | instskip(NEXT) | instid1(VALU_DEP_2)
	v_add_f64_e32 v[2:3], v[4:5], v[2:3]
	v_add_f64_e32 v[4:5], v[8:9], v[84:85]
	s_delay_alu instid0(VALU_DEP_2) | instskip(NEXT) | instid1(VALU_DEP_2)
	v_add_f64_e64 v[2:3], v[124:125], -v[2:3]
	v_add_f64_e64 v[4:5], v[126:127], -v[4:5]
	scratch_store_b128 off, v[2:5], off offset:288
	s_wait_xcnt 0x0
	v_cmpx_lt_u32_e32 17, v1
	s_cbranch_execz .LBB30_165
; %bb.164:
	scratch_load_b128 v[2:5], off, s30
	v_mov_b32_e32 v8, 0
	s_delay_alu instid0(VALU_DEP_1)
	v_dual_mov_b32 v9, v8 :: v_dual_mov_b32 v10, v8
	v_mov_b32_e32 v11, v8
	scratch_store_b128 off, v[8:11], off offset:272
	s_wait_loadcnt 0x0
	ds_store_b128 v6, v[2:5]
.LBB30_165:
	s_wait_xcnt 0x0
	s_or_b32 exec_lo, exec_lo, s2
	s_wait_storecnt_dscnt 0x0
	s_barrier_signal -1
	s_barrier_wait -1
	s_clause 0x9
	scratch_load_b128 v[8:11], off, off offset:288
	scratch_load_b128 v[76:79], off, off offset:304
	;; [unrolled: 1-line block ×10, first 2 shown]
	v_mov_b32_e32 v2, 0
	s_mov_b32 s2, exec_lo
	ds_load_b128 v[112:115], v2 offset:784
	s_clause 0x2
	scratch_load_b128 v[116:119], off, off offset:448
	scratch_load_b128 v[120:123], off, off offset:272
	;; [unrolled: 1-line block ×3, first 2 shown]
	s_wait_loadcnt_dscnt 0xc00
	v_mul_f64_e32 v[4:5], v[114:115], v[10:11]
	v_mul_f64_e32 v[136:137], v[112:113], v[10:11]
	ds_load_b128 v[124:127], v2 offset:800
	scratch_load_b128 v[10:13], off, off offset:464
	ds_load_b128 v[132:135], v2 offset:832
	v_fma_f64 v[4:5], v[112:113], v[8:9], -v[4:5]
	v_fmac_f64_e32 v[136:137], v[114:115], v[8:9]
	ds_load_b128 v[112:115], v2 offset:816
	s_wait_loadcnt_dscnt 0xc02
	v_mul_f64_e32 v[138:139], v[124:125], v[78:79]
	v_mul_f64_e32 v[78:79], v[126:127], v[78:79]
	s_wait_loadcnt_dscnt 0xb00
	v_mul_f64_e32 v[8:9], v[112:113], v[82:83]
	v_mul_f64_e32 v[82:83], v[114:115], v[82:83]
	v_add_f64_e32 v[4:5], 0, v[4:5]
	v_fmac_f64_e32 v[138:139], v[126:127], v[76:77]
	v_fma_f64 v[76:77], v[124:125], v[76:77], -v[78:79]
	v_add_f64_e32 v[78:79], 0, v[136:137]
	s_wait_loadcnt 0xa
	v_mul_f64_e32 v[124:125], v[132:133], v[86:87]
	v_mul_f64_e32 v[86:87], v[134:135], v[86:87]
	v_fmac_f64_e32 v[8:9], v[114:115], v[80:81]
	v_fma_f64 v[112:113], v[112:113], v[80:81], -v[82:83]
	v_add_f64_e32 v[4:5], v[4:5], v[76:77]
	v_add_f64_e32 v[114:115], v[78:79], v[138:139]
	ds_load_b128 v[76:79], v2 offset:848
	ds_load_b128 v[80:83], v2 offset:864
	v_fmac_f64_e32 v[124:125], v[134:135], v[84:85]
	v_fma_f64 v[84:85], v[132:133], v[84:85], -v[86:87]
	s_wait_loadcnt_dscnt 0x901
	v_mul_f64_e32 v[126:127], v[76:77], v[90:91]
	v_mul_f64_e32 v[90:91], v[78:79], v[90:91]
	v_add_f64_e32 v[4:5], v[4:5], v[112:113]
	v_add_f64_e32 v[8:9], v[114:115], v[8:9]
	s_wait_loadcnt_dscnt 0x800
	v_mul_f64_e32 v[112:113], v[80:81], v[94:95]
	v_mul_f64_e32 v[94:95], v[82:83], v[94:95]
	v_fmac_f64_e32 v[126:127], v[78:79], v[88:89]
	v_fma_f64 v[88:89], v[76:77], v[88:89], -v[90:91]
	v_add_f64_e32 v[4:5], v[4:5], v[84:85]
	v_add_f64_e32 v[8:9], v[8:9], v[124:125]
	ds_load_b128 v[76:79], v2 offset:880
	ds_load_b128 v[84:87], v2 offset:896
	v_fmac_f64_e32 v[112:113], v[82:83], v[92:93]
	v_fma_f64 v[80:81], v[80:81], v[92:93], -v[94:95]
	s_wait_loadcnt_dscnt 0x701
	v_mul_f64_e32 v[90:91], v[76:77], v[98:99]
	v_mul_f64_e32 v[98:99], v[78:79], v[98:99]
	s_wait_loadcnt_dscnt 0x600
	v_mul_f64_e32 v[92:93], v[86:87], v[102:103]
	v_add_f64_e32 v[4:5], v[4:5], v[88:89]
	v_add_f64_e32 v[8:9], v[8:9], v[126:127]
	v_mul_f64_e32 v[88:89], v[84:85], v[102:103]
	v_fmac_f64_e32 v[90:91], v[78:79], v[96:97]
	v_fma_f64 v[94:95], v[76:77], v[96:97], -v[98:99]
	v_fma_f64 v[84:85], v[84:85], v[100:101], -v[92:93]
	v_add_f64_e32 v[4:5], v[4:5], v[80:81]
	v_add_f64_e32 v[8:9], v[8:9], v[112:113]
	ds_load_b128 v[76:79], v2 offset:912
	ds_load_b128 v[80:83], v2 offset:928
	v_fmac_f64_e32 v[88:89], v[86:87], v[100:101]
	s_wait_loadcnt_dscnt 0x501
	v_mul_f64_e32 v[96:97], v[76:77], v[106:107]
	v_mul_f64_e32 v[98:99], v[78:79], v[106:107]
	s_wait_loadcnt_dscnt 0x400
	v_mul_f64_e32 v[92:93], v[82:83], v[110:111]
	v_add_f64_e32 v[4:5], v[4:5], v[94:95]
	v_add_f64_e32 v[8:9], v[8:9], v[90:91]
	v_mul_f64_e32 v[90:91], v[80:81], v[110:111]
	v_fmac_f64_e32 v[96:97], v[78:79], v[104:105]
	v_fma_f64 v[94:95], v[76:77], v[104:105], -v[98:99]
	v_fma_f64 v[80:81], v[80:81], v[108:109], -v[92:93]
	v_add_f64_e32 v[4:5], v[4:5], v[84:85]
	v_add_f64_e32 v[8:9], v[8:9], v[88:89]
	ds_load_b128 v[76:79], v2 offset:944
	ds_load_b128 v[84:87], v2 offset:960
	v_fmac_f64_e32 v[90:91], v[82:83], v[108:109]
	s_wait_loadcnt_dscnt 0x301
	v_mul_f64_e32 v[88:89], v[76:77], v[118:119]
	v_mul_f64_e32 v[98:99], v[78:79], v[118:119]
	s_wait_loadcnt_dscnt 0x0
	v_mul_f64_e32 v[82:83], v[84:85], v[12:13]
	v_add_f64_e32 v[4:5], v[4:5], v[94:95]
	v_add_f64_e32 v[8:9], v[8:9], v[96:97]
	v_mul_f64_e32 v[12:13], v[86:87], v[12:13]
	v_fmac_f64_e32 v[88:89], v[78:79], v[116:117]
	v_fma_f64 v[92:93], v[76:77], v[116:117], -v[98:99]
	ds_load_b128 v[76:79], v2 offset:976
	v_fmac_f64_e32 v[82:83], v[86:87], v[10:11]
	v_add_f64_e32 v[4:5], v[4:5], v[80:81]
	v_add_f64_e32 v[8:9], v[8:9], v[90:91]
	v_fma_f64 v[10:11], v[84:85], v[10:11], -v[12:13]
	s_wait_dscnt 0x0
	v_mul_f64_e32 v[80:81], v[76:77], v[130:131]
	v_mul_f64_e32 v[90:91], v[78:79], v[130:131]
	v_add_f64_e32 v[4:5], v[4:5], v[92:93]
	v_add_f64_e32 v[8:9], v[8:9], v[88:89]
	s_delay_alu instid0(VALU_DEP_4) | instskip(NEXT) | instid1(VALU_DEP_4)
	v_fmac_f64_e32 v[80:81], v[78:79], v[128:129]
	v_fma_f64 v[12:13], v[76:77], v[128:129], -v[90:91]
	s_delay_alu instid0(VALU_DEP_4) | instskip(NEXT) | instid1(VALU_DEP_4)
	v_add_f64_e32 v[4:5], v[4:5], v[10:11]
	v_add_f64_e32 v[8:9], v[8:9], v[82:83]
	s_delay_alu instid0(VALU_DEP_2) | instskip(NEXT) | instid1(VALU_DEP_2)
	v_add_f64_e32 v[4:5], v[4:5], v[12:13]
	v_add_f64_e32 v[10:11], v[8:9], v[80:81]
	s_delay_alu instid0(VALU_DEP_2) | instskip(NEXT) | instid1(VALU_DEP_2)
	v_add_f64_e64 v[8:9], v[120:121], -v[4:5]
	v_add_f64_e64 v[10:11], v[122:123], -v[10:11]
	scratch_store_b128 off, v[8:11], off offset:272
	s_wait_xcnt 0x0
	v_cmpx_lt_u32_e32 16, v1
	s_cbranch_execz .LBB30_167
; %bb.166:
	scratch_load_b128 v[8:11], off, s28
	v_dual_mov_b32 v3, v2 :: v_dual_mov_b32 v4, v2
	v_mov_b32_e32 v5, v2
	scratch_store_b128 off, v[2:5], off offset:256
	s_wait_loadcnt 0x0
	ds_store_b128 v6, v[8:11]
.LBB30_167:
	s_wait_xcnt 0x0
	s_or_b32 exec_lo, exec_lo, s2
	s_wait_storecnt_dscnt 0x0
	s_barrier_signal -1
	s_barrier_wait -1
	s_clause 0x9
	scratch_load_b128 v[8:11], off, off offset:272
	scratch_load_b128 v[76:79], off, off offset:288
	;; [unrolled: 1-line block ×10, first 2 shown]
	ds_load_b128 v[112:115], v2 offset:768
	ds_load_b128 v[120:123], v2 offset:784
	s_clause 0x1
	scratch_load_b128 v[116:119], off, off offset:432
	scratch_load_b128 v[124:127], off, off offset:256
	s_mov_b32 s2, exec_lo
	s_wait_loadcnt_dscnt 0xb01
	v_mul_f64_e32 v[4:5], v[114:115], v[10:11]
	v_mul_f64_e32 v[136:137], v[112:113], v[10:11]
	scratch_load_b128 v[10:13], off, off offset:448
	s_wait_loadcnt_dscnt 0xb00
	v_mul_f64_e32 v[138:139], v[120:121], v[78:79]
	v_mul_f64_e32 v[78:79], v[122:123], v[78:79]
	v_fma_f64 v[4:5], v[112:113], v[8:9], -v[4:5]
	v_fmac_f64_e32 v[136:137], v[114:115], v[8:9]
	ds_load_b128 v[112:115], v2 offset:800
	ds_load_b128 v[128:131], v2 offset:816
	scratch_load_b128 v[132:135], off, off offset:464
	v_fmac_f64_e32 v[138:139], v[122:123], v[76:77]
	v_fma_f64 v[120:121], v[120:121], v[76:77], -v[78:79]
	scratch_load_b128 v[76:79], off, off offset:480
	s_wait_loadcnt_dscnt 0xc01
	v_mul_f64_e32 v[8:9], v[112:113], v[82:83]
	v_mul_f64_e32 v[82:83], v[114:115], v[82:83]
	v_add_f64_e32 v[4:5], 0, v[4:5]
	v_add_f64_e32 v[122:123], 0, v[136:137]
	s_wait_loadcnt_dscnt 0xb00
	v_mul_f64_e32 v[136:137], v[128:129], v[86:87]
	v_mul_f64_e32 v[86:87], v[130:131], v[86:87]
	v_fmac_f64_e32 v[8:9], v[114:115], v[80:81]
	v_fma_f64 v[140:141], v[112:113], v[80:81], -v[82:83]
	ds_load_b128 v[80:83], v2 offset:832
	ds_load_b128 v[112:115], v2 offset:848
	v_add_f64_e32 v[4:5], v[4:5], v[120:121]
	v_add_f64_e32 v[120:121], v[122:123], v[138:139]
	v_fmac_f64_e32 v[136:137], v[130:131], v[84:85]
	v_fma_f64 v[84:85], v[128:129], v[84:85], -v[86:87]
	s_wait_loadcnt_dscnt 0xa01
	v_mul_f64_e32 v[122:123], v[80:81], v[90:91]
	v_mul_f64_e32 v[90:91], v[82:83], v[90:91]
	v_add_f64_e32 v[4:5], v[4:5], v[140:141]
	v_add_f64_e32 v[8:9], v[120:121], v[8:9]
	s_wait_loadcnt_dscnt 0x900
	v_mul_f64_e32 v[120:121], v[112:113], v[94:95]
	v_mul_f64_e32 v[94:95], v[114:115], v[94:95]
	v_fmac_f64_e32 v[122:123], v[82:83], v[88:89]
	v_fma_f64 v[88:89], v[80:81], v[88:89], -v[90:91]
	v_add_f64_e32 v[4:5], v[4:5], v[84:85]
	v_add_f64_e32 v[8:9], v[8:9], v[136:137]
	ds_load_b128 v[80:83], v2 offset:864
	ds_load_b128 v[84:87], v2 offset:880
	v_fmac_f64_e32 v[120:121], v[114:115], v[92:93]
	v_fma_f64 v[92:93], v[112:113], v[92:93], -v[94:95]
	s_wait_loadcnt_dscnt 0x801
	v_mul_f64_e32 v[128:129], v[80:81], v[98:99]
	v_mul_f64_e32 v[90:91], v[82:83], v[98:99]
	s_wait_loadcnt_dscnt 0x700
	v_mul_f64_e32 v[94:95], v[84:85], v[102:103]
	v_mul_f64_e32 v[98:99], v[86:87], v[102:103]
	v_add_f64_e32 v[4:5], v[4:5], v[88:89]
	v_add_f64_e32 v[8:9], v[8:9], v[122:123]
	v_fmac_f64_e32 v[128:129], v[82:83], v[96:97]
	v_fma_f64 v[96:97], v[80:81], v[96:97], -v[90:91]
	ds_load_b128 v[80:83], v2 offset:896
	ds_load_b128 v[88:91], v2 offset:912
	v_fmac_f64_e32 v[94:95], v[86:87], v[100:101]
	v_fma_f64 v[84:85], v[84:85], v[100:101], -v[98:99]
	v_add_f64_e32 v[4:5], v[4:5], v[92:93]
	v_add_f64_e32 v[8:9], v[8:9], v[120:121]
	s_wait_loadcnt_dscnt 0x601
	v_mul_f64_e32 v[92:93], v[80:81], v[106:107]
	v_mul_f64_e32 v[102:103], v[82:83], v[106:107]
	s_wait_loadcnt_dscnt 0x500
	v_mul_f64_e32 v[98:99], v[90:91], v[110:111]
	v_add_f64_e32 v[4:5], v[4:5], v[96:97]
	v_add_f64_e32 v[8:9], v[8:9], v[128:129]
	v_mul_f64_e32 v[96:97], v[88:89], v[110:111]
	v_fmac_f64_e32 v[92:93], v[82:83], v[104:105]
	v_fma_f64 v[100:101], v[80:81], v[104:105], -v[102:103]
	v_fma_f64 v[88:89], v[88:89], v[108:109], -v[98:99]
	v_add_f64_e32 v[4:5], v[4:5], v[84:85]
	v_add_f64_e32 v[8:9], v[8:9], v[94:95]
	ds_load_b128 v[80:83], v2 offset:928
	ds_load_b128 v[84:87], v2 offset:944
	v_fmac_f64_e32 v[96:97], v[90:91], v[108:109]
	s_wait_loadcnt_dscnt 0x401
	v_mul_f64_e32 v[94:95], v[80:81], v[118:119]
	v_mul_f64_e32 v[102:103], v[82:83], v[118:119]
	v_add_f64_e32 v[4:5], v[4:5], v[100:101]
	v_add_f64_e32 v[8:9], v[8:9], v[92:93]
	s_wait_loadcnt_dscnt 0x200
	v_mul_f64_e32 v[90:91], v[84:85], v[12:13]
	v_mul_f64_e32 v[12:13], v[86:87], v[12:13]
	v_fmac_f64_e32 v[94:95], v[82:83], v[116:117]
	v_fma_f64 v[92:93], v[80:81], v[116:117], -v[102:103]
	v_add_f64_e32 v[88:89], v[4:5], v[88:89]
	v_add_f64_e32 v[8:9], v[8:9], v[96:97]
	ds_load_b128 v[80:83], v2 offset:960
	ds_load_b128 v[2:5], v2 offset:976
	v_fmac_f64_e32 v[90:91], v[86:87], v[10:11]
	v_fma_f64 v[10:11], v[84:85], v[10:11], -v[12:13]
	s_wait_loadcnt_dscnt 0x101
	v_mul_f64_e32 v[96:97], v[80:81], v[134:135]
	v_mul_f64_e32 v[98:99], v[82:83], v[134:135]
	s_wait_loadcnt_dscnt 0x0
	v_mul_f64_e32 v[84:85], v[2:3], v[78:79]
	v_mul_f64_e32 v[78:79], v[4:5], v[78:79]
	v_add_f64_e32 v[12:13], v[88:89], v[92:93]
	v_add_f64_e32 v[8:9], v[8:9], v[94:95]
	v_fmac_f64_e32 v[96:97], v[82:83], v[132:133]
	v_fma_f64 v[80:81], v[80:81], v[132:133], -v[98:99]
	v_fmac_f64_e32 v[84:85], v[4:5], v[76:77]
	v_fma_f64 v[2:3], v[2:3], v[76:77], -v[78:79]
	v_add_f64_e32 v[10:11], v[12:13], v[10:11]
	v_add_f64_e32 v[8:9], v[8:9], v[90:91]
	s_delay_alu instid0(VALU_DEP_2) | instskip(NEXT) | instid1(VALU_DEP_2)
	v_add_f64_e32 v[4:5], v[10:11], v[80:81]
	v_add_f64_e32 v[8:9], v[8:9], v[96:97]
	s_delay_alu instid0(VALU_DEP_2) | instskip(NEXT) | instid1(VALU_DEP_2)
	v_add_f64_e32 v[2:3], v[4:5], v[2:3]
	v_add_f64_e32 v[4:5], v[8:9], v[84:85]
	s_delay_alu instid0(VALU_DEP_2) | instskip(NEXT) | instid1(VALU_DEP_2)
	v_add_f64_e64 v[2:3], v[124:125], -v[2:3]
	v_add_f64_e64 v[4:5], v[126:127], -v[4:5]
	scratch_store_b128 off, v[2:5], off offset:256
	s_wait_xcnt 0x0
	v_cmpx_lt_u32_e32 15, v1
	s_cbranch_execz .LBB30_169
; %bb.168:
	scratch_load_b128 v[2:5], off, s37
	v_mov_b32_e32 v8, 0
	s_delay_alu instid0(VALU_DEP_1)
	v_dual_mov_b32 v9, v8 :: v_dual_mov_b32 v10, v8
	v_mov_b32_e32 v11, v8
	scratch_store_b128 off, v[8:11], off offset:240
	s_wait_loadcnt 0x0
	ds_store_b128 v6, v[2:5]
.LBB30_169:
	s_wait_xcnt 0x0
	s_or_b32 exec_lo, exec_lo, s2
	s_wait_storecnt_dscnt 0x0
	s_barrier_signal -1
	s_barrier_wait -1
	s_clause 0x9
	scratch_load_b128 v[8:11], off, off offset:256
	scratch_load_b128 v[76:79], off, off offset:272
	;; [unrolled: 1-line block ×10, first 2 shown]
	v_mov_b32_e32 v2, 0
	s_mov_b32 s2, exec_lo
	ds_load_b128 v[112:115], v2 offset:752
	s_clause 0x2
	scratch_load_b128 v[116:119], off, off offset:416
	scratch_load_b128 v[120:123], off, off offset:240
	scratch_load_b128 v[128:131], off, off offset:448
	s_wait_loadcnt_dscnt 0xc00
	v_mul_f64_e32 v[4:5], v[114:115], v[10:11]
	v_mul_f64_e32 v[136:137], v[112:113], v[10:11]
	ds_load_b128 v[124:127], v2 offset:768
	scratch_load_b128 v[10:13], off, off offset:432
	ds_load_b128 v[132:135], v2 offset:800
	v_fma_f64 v[4:5], v[112:113], v[8:9], -v[4:5]
	v_fmac_f64_e32 v[136:137], v[114:115], v[8:9]
	ds_load_b128 v[112:115], v2 offset:784
	s_wait_loadcnt_dscnt 0xc02
	v_mul_f64_e32 v[138:139], v[124:125], v[78:79]
	v_mul_f64_e32 v[78:79], v[126:127], v[78:79]
	s_wait_loadcnt_dscnt 0xb00
	v_mul_f64_e32 v[8:9], v[112:113], v[82:83]
	v_mul_f64_e32 v[82:83], v[114:115], v[82:83]
	v_add_f64_e32 v[4:5], 0, v[4:5]
	v_fmac_f64_e32 v[138:139], v[126:127], v[76:77]
	v_fma_f64 v[124:125], v[124:125], v[76:77], -v[78:79]
	v_add_f64_e32 v[126:127], 0, v[136:137]
	scratch_load_b128 v[76:79], off, off offset:464
	v_fmac_f64_e32 v[8:9], v[114:115], v[80:81]
	v_fma_f64 v[140:141], v[112:113], v[80:81], -v[82:83]
	ds_load_b128 v[80:83], v2 offset:816
	s_wait_loadcnt 0xb
	v_mul_f64_e32 v[136:137], v[132:133], v[86:87]
	v_mul_f64_e32 v[86:87], v[134:135], v[86:87]
	scratch_load_b128 v[112:115], off, off offset:480
	v_add_f64_e32 v[4:5], v[4:5], v[124:125]
	v_add_f64_e32 v[138:139], v[126:127], v[138:139]
	ds_load_b128 v[124:127], v2 offset:832
	s_wait_loadcnt_dscnt 0xb01
	v_mul_f64_e32 v[142:143], v[80:81], v[90:91]
	v_mul_f64_e32 v[90:91], v[82:83], v[90:91]
	v_fmac_f64_e32 v[136:137], v[134:135], v[84:85]
	v_fma_f64 v[84:85], v[132:133], v[84:85], -v[86:87]
	s_wait_loadcnt_dscnt 0xa00
	v_mul_f64_e32 v[132:133], v[124:125], v[94:95]
	v_mul_f64_e32 v[94:95], v[126:127], v[94:95]
	v_add_f64_e32 v[4:5], v[4:5], v[140:141]
	v_add_f64_e32 v[8:9], v[138:139], v[8:9]
	v_fmac_f64_e32 v[142:143], v[82:83], v[88:89]
	v_fma_f64 v[88:89], v[80:81], v[88:89], -v[90:91]
	v_fmac_f64_e32 v[132:133], v[126:127], v[92:93]
	v_fma_f64 v[92:93], v[124:125], v[92:93], -v[94:95]
	v_add_f64_e32 v[4:5], v[4:5], v[84:85]
	v_add_f64_e32 v[8:9], v[8:9], v[136:137]
	ds_load_b128 v[80:83], v2 offset:848
	ds_load_b128 v[84:87], v2 offset:864
	s_wait_loadcnt_dscnt 0x901
	v_mul_f64_e32 v[134:135], v[80:81], v[98:99]
	v_mul_f64_e32 v[90:91], v[82:83], v[98:99]
	s_wait_loadcnt_dscnt 0x800
	v_mul_f64_e32 v[94:95], v[84:85], v[102:103]
	v_mul_f64_e32 v[98:99], v[86:87], v[102:103]
	v_add_f64_e32 v[4:5], v[4:5], v[88:89]
	v_add_f64_e32 v[8:9], v[8:9], v[142:143]
	v_fmac_f64_e32 v[134:135], v[82:83], v[96:97]
	v_fma_f64 v[96:97], v[80:81], v[96:97], -v[90:91]
	ds_load_b128 v[80:83], v2 offset:880
	ds_load_b128 v[88:91], v2 offset:896
	v_fmac_f64_e32 v[94:95], v[86:87], v[100:101]
	v_fma_f64 v[84:85], v[84:85], v[100:101], -v[98:99]
	v_add_f64_e32 v[4:5], v[4:5], v[92:93]
	v_add_f64_e32 v[8:9], v[8:9], v[132:133]
	s_wait_loadcnt_dscnt 0x701
	v_mul_f64_e32 v[92:93], v[80:81], v[106:107]
	v_mul_f64_e32 v[102:103], v[82:83], v[106:107]
	s_wait_loadcnt_dscnt 0x600
	v_mul_f64_e32 v[98:99], v[90:91], v[110:111]
	v_add_f64_e32 v[4:5], v[4:5], v[96:97]
	v_add_f64_e32 v[8:9], v[8:9], v[134:135]
	v_mul_f64_e32 v[96:97], v[88:89], v[110:111]
	v_fmac_f64_e32 v[92:93], v[82:83], v[104:105]
	v_fma_f64 v[100:101], v[80:81], v[104:105], -v[102:103]
	v_fma_f64 v[88:89], v[88:89], v[108:109], -v[98:99]
	v_add_f64_e32 v[4:5], v[4:5], v[84:85]
	v_add_f64_e32 v[8:9], v[8:9], v[94:95]
	ds_load_b128 v[80:83], v2 offset:912
	ds_load_b128 v[84:87], v2 offset:928
	v_fmac_f64_e32 v[96:97], v[90:91], v[108:109]
	s_wait_loadcnt_dscnt 0x501
	v_mul_f64_e32 v[94:95], v[80:81], v[118:119]
	v_mul_f64_e32 v[102:103], v[82:83], v[118:119]
	v_add_f64_e32 v[4:5], v[4:5], v[100:101]
	v_add_f64_e32 v[8:9], v[8:9], v[92:93]
	s_wait_loadcnt_dscnt 0x200
	v_mul_f64_e32 v[92:93], v[84:85], v[12:13]
	v_mul_f64_e32 v[12:13], v[86:87], v[12:13]
	v_fmac_f64_e32 v[94:95], v[82:83], v[116:117]
	v_fma_f64 v[98:99], v[80:81], v[116:117], -v[102:103]
	v_add_f64_e32 v[4:5], v[4:5], v[88:89]
	v_add_f64_e32 v[8:9], v[8:9], v[96:97]
	ds_load_b128 v[80:83], v2 offset:944
	ds_load_b128 v[88:91], v2 offset:960
	v_fmac_f64_e32 v[92:93], v[86:87], v[10:11]
	v_fma_f64 v[10:11], v[84:85], v[10:11], -v[12:13]
	s_wait_dscnt 0x1
	v_mul_f64_e32 v[96:97], v[80:81], v[130:131]
	v_mul_f64_e32 v[100:101], v[82:83], v[130:131]
	v_add_f64_e32 v[4:5], v[4:5], v[98:99]
	v_add_f64_e32 v[8:9], v[8:9], v[94:95]
	s_wait_loadcnt_dscnt 0x100
	v_mul_f64_e32 v[12:13], v[88:89], v[78:79]
	v_mul_f64_e32 v[78:79], v[90:91], v[78:79]
	v_fmac_f64_e32 v[96:97], v[82:83], v[128:129]
	v_fma_f64 v[80:81], v[80:81], v[128:129], -v[100:101]
	v_add_f64_e32 v[4:5], v[4:5], v[10:11]
	v_add_f64_e32 v[82:83], v[8:9], v[92:93]
	ds_load_b128 v[8:11], v2 offset:976
	v_fmac_f64_e32 v[12:13], v[90:91], v[76:77]
	v_fma_f64 v[76:77], v[88:89], v[76:77], -v[78:79]
	s_wait_loadcnt_dscnt 0x0
	v_mul_f64_e32 v[84:85], v[8:9], v[114:115]
	v_mul_f64_e32 v[86:87], v[10:11], v[114:115]
	v_add_f64_e32 v[4:5], v[4:5], v[80:81]
	v_add_f64_e32 v[78:79], v[82:83], v[96:97]
	s_delay_alu instid0(VALU_DEP_4) | instskip(NEXT) | instid1(VALU_DEP_4)
	v_fmac_f64_e32 v[84:85], v[10:11], v[112:113]
	v_fma_f64 v[8:9], v[8:9], v[112:113], -v[86:87]
	s_delay_alu instid0(VALU_DEP_4) | instskip(NEXT) | instid1(VALU_DEP_4)
	v_add_f64_e32 v[4:5], v[4:5], v[76:77]
	v_add_f64_e32 v[10:11], v[78:79], v[12:13]
	s_delay_alu instid0(VALU_DEP_2) | instskip(NEXT) | instid1(VALU_DEP_2)
	v_add_f64_e32 v[4:5], v[4:5], v[8:9]
	v_add_f64_e32 v[10:11], v[10:11], v[84:85]
	s_delay_alu instid0(VALU_DEP_2) | instskip(NEXT) | instid1(VALU_DEP_2)
	v_add_f64_e64 v[8:9], v[120:121], -v[4:5]
	v_add_f64_e64 v[10:11], v[122:123], -v[10:11]
	scratch_store_b128 off, v[8:11], off offset:240
	s_wait_xcnt 0x0
	v_cmpx_lt_u32_e32 14, v1
	s_cbranch_execz .LBB30_171
; %bb.170:
	scratch_load_b128 v[8:11], off, s42
	v_dual_mov_b32 v3, v2 :: v_dual_mov_b32 v4, v2
	v_mov_b32_e32 v5, v2
	scratch_store_b128 off, v[2:5], off offset:224
	s_wait_loadcnt 0x0
	ds_store_b128 v6, v[8:11]
.LBB30_171:
	s_wait_xcnt 0x0
	s_or_b32 exec_lo, exec_lo, s2
	s_wait_storecnt_dscnt 0x0
	s_barrier_signal -1
	s_barrier_wait -1
	s_clause 0x9
	scratch_load_b128 v[8:11], off, off offset:240
	scratch_load_b128 v[76:79], off, off offset:256
	;; [unrolled: 1-line block ×10, first 2 shown]
	ds_load_b128 v[112:115], v2 offset:736
	ds_load_b128 v[120:123], v2 offset:752
	s_clause 0x1
	scratch_load_b128 v[116:119], off, off offset:400
	scratch_load_b128 v[124:127], off, off offset:224
	s_mov_b32 s2, exec_lo
	s_wait_loadcnt_dscnt 0xb01
	v_mul_f64_e32 v[4:5], v[114:115], v[10:11]
	v_mul_f64_e32 v[136:137], v[112:113], v[10:11]
	scratch_load_b128 v[10:13], off, off offset:416
	s_wait_loadcnt_dscnt 0xb00
	v_mul_f64_e32 v[138:139], v[120:121], v[78:79]
	v_mul_f64_e32 v[78:79], v[122:123], v[78:79]
	v_fma_f64 v[4:5], v[112:113], v[8:9], -v[4:5]
	v_fmac_f64_e32 v[136:137], v[114:115], v[8:9]
	ds_load_b128 v[112:115], v2 offset:768
	ds_load_b128 v[128:131], v2 offset:784
	scratch_load_b128 v[132:135], off, off offset:432
	v_fmac_f64_e32 v[138:139], v[122:123], v[76:77]
	v_fma_f64 v[120:121], v[120:121], v[76:77], -v[78:79]
	scratch_load_b128 v[76:79], off, off offset:448
	s_wait_loadcnt_dscnt 0xc01
	v_mul_f64_e32 v[8:9], v[112:113], v[82:83]
	v_mul_f64_e32 v[82:83], v[114:115], v[82:83]
	v_add_f64_e32 v[4:5], 0, v[4:5]
	v_add_f64_e32 v[122:123], 0, v[136:137]
	s_wait_loadcnt_dscnt 0xb00
	v_mul_f64_e32 v[136:137], v[128:129], v[86:87]
	v_mul_f64_e32 v[86:87], v[130:131], v[86:87]
	v_fmac_f64_e32 v[8:9], v[114:115], v[80:81]
	v_fma_f64 v[140:141], v[112:113], v[80:81], -v[82:83]
	ds_load_b128 v[80:83], v2 offset:800
	ds_load_b128 v[112:115], v2 offset:816
	v_add_f64_e32 v[4:5], v[4:5], v[120:121]
	v_add_f64_e32 v[138:139], v[122:123], v[138:139]
	scratch_load_b128 v[120:123], off, off offset:464
	v_fmac_f64_e32 v[136:137], v[130:131], v[84:85]
	v_fma_f64 v[128:129], v[128:129], v[84:85], -v[86:87]
	scratch_load_b128 v[84:87], off, off offset:480
	s_wait_loadcnt_dscnt 0xc01
	v_mul_f64_e32 v[142:143], v[80:81], v[90:91]
	v_mul_f64_e32 v[90:91], v[82:83], v[90:91]
	s_wait_loadcnt_dscnt 0xb00
	v_mul_f64_e32 v[130:131], v[112:113], v[94:95]
	v_mul_f64_e32 v[94:95], v[114:115], v[94:95]
	v_add_f64_e32 v[4:5], v[4:5], v[140:141]
	v_add_f64_e32 v[8:9], v[138:139], v[8:9]
	v_fmac_f64_e32 v[142:143], v[82:83], v[88:89]
	v_fma_f64 v[138:139], v[80:81], v[88:89], -v[90:91]
	ds_load_b128 v[80:83], v2 offset:832
	ds_load_b128 v[88:91], v2 offset:848
	v_fmac_f64_e32 v[130:131], v[114:115], v[92:93]
	v_fma_f64 v[92:93], v[112:113], v[92:93], -v[94:95]
	s_wait_loadcnt_dscnt 0x900
	v_mul_f64_e32 v[112:113], v[88:89], v[102:103]
	v_add_f64_e32 v[4:5], v[4:5], v[128:129]
	v_add_f64_e32 v[8:9], v[8:9], v[136:137]
	v_mul_f64_e32 v[128:129], v[80:81], v[98:99]
	v_mul_f64_e32 v[98:99], v[82:83], v[98:99]
	;; [unrolled: 1-line block ×3, first 2 shown]
	v_fmac_f64_e32 v[112:113], v[90:91], v[100:101]
	v_add_f64_e32 v[4:5], v[4:5], v[138:139]
	v_add_f64_e32 v[8:9], v[8:9], v[142:143]
	v_fmac_f64_e32 v[128:129], v[82:83], v[96:97]
	v_fma_f64 v[96:97], v[80:81], v[96:97], -v[98:99]
	v_fma_f64 v[88:89], v[88:89], v[100:101], -v[102:103]
	v_add_f64_e32 v[4:5], v[4:5], v[92:93]
	v_add_f64_e32 v[8:9], v[8:9], v[130:131]
	ds_load_b128 v[80:83], v2 offset:864
	ds_load_b128 v[92:95], v2 offset:880
	s_wait_loadcnt_dscnt 0x801
	v_mul_f64_e32 v[98:99], v[80:81], v[106:107]
	v_mul_f64_e32 v[106:107], v[82:83], v[106:107]
	s_wait_loadcnt_dscnt 0x700
	v_mul_f64_e32 v[100:101], v[94:95], v[110:111]
	v_add_f64_e32 v[4:5], v[4:5], v[96:97]
	v_add_f64_e32 v[8:9], v[8:9], v[128:129]
	v_mul_f64_e32 v[96:97], v[92:93], v[110:111]
	v_fmac_f64_e32 v[98:99], v[82:83], v[104:105]
	v_fma_f64 v[102:103], v[80:81], v[104:105], -v[106:107]
	v_fma_f64 v[92:93], v[92:93], v[108:109], -v[100:101]
	v_add_f64_e32 v[4:5], v[4:5], v[88:89]
	v_add_f64_e32 v[8:9], v[8:9], v[112:113]
	ds_load_b128 v[80:83], v2 offset:896
	ds_load_b128 v[88:91], v2 offset:912
	v_fmac_f64_e32 v[96:97], v[94:95], v[108:109]
	s_wait_loadcnt_dscnt 0x601
	v_mul_f64_e32 v[104:105], v[80:81], v[118:119]
	v_mul_f64_e32 v[106:107], v[82:83], v[118:119]
	v_add_f64_e32 v[4:5], v[4:5], v[102:103]
	v_add_f64_e32 v[8:9], v[8:9], v[98:99]
	s_wait_loadcnt_dscnt 0x400
	v_mul_f64_e32 v[98:99], v[88:89], v[12:13]
	v_mul_f64_e32 v[12:13], v[90:91], v[12:13]
	v_fmac_f64_e32 v[104:105], v[82:83], v[116:117]
	v_fma_f64 v[100:101], v[80:81], v[116:117], -v[106:107]
	v_add_f64_e32 v[4:5], v[4:5], v[92:93]
	v_add_f64_e32 v[8:9], v[8:9], v[96:97]
	ds_load_b128 v[80:83], v2 offset:928
	ds_load_b128 v[92:95], v2 offset:944
	v_fmac_f64_e32 v[98:99], v[90:91], v[10:11]
	v_fma_f64 v[10:11], v[88:89], v[10:11], -v[12:13]
	s_wait_loadcnt_dscnt 0x301
	v_mul_f64_e32 v[96:97], v[80:81], v[134:135]
	v_mul_f64_e32 v[102:103], v[82:83], v[134:135]
	s_wait_loadcnt_dscnt 0x200
	v_mul_f64_e32 v[12:13], v[92:93], v[78:79]
	v_mul_f64_e32 v[78:79], v[94:95], v[78:79]
	v_add_f64_e32 v[4:5], v[4:5], v[100:101]
	v_add_f64_e32 v[8:9], v[8:9], v[104:105]
	v_fmac_f64_e32 v[96:97], v[82:83], v[132:133]
	v_fma_f64 v[80:81], v[80:81], v[132:133], -v[102:103]
	v_fmac_f64_e32 v[12:13], v[94:95], v[76:77]
	v_fma_f64 v[76:77], v[92:93], v[76:77], -v[78:79]
	v_add_f64_e32 v[82:83], v[4:5], v[10:11]
	v_add_f64_e32 v[88:89], v[8:9], v[98:99]
	ds_load_b128 v[8:11], v2 offset:960
	ds_load_b128 v[2:5], v2 offset:976
	s_wait_loadcnt_dscnt 0x101
	v_mul_f64_e32 v[90:91], v[8:9], v[122:123]
	v_mul_f64_e32 v[98:99], v[10:11], v[122:123]
	v_add_f64_e32 v[78:79], v[82:83], v[80:81]
	v_add_f64_e32 v[80:81], v[88:89], v[96:97]
	s_wait_loadcnt_dscnt 0x0
	v_mul_f64_e32 v[82:83], v[2:3], v[86:87]
	v_mul_f64_e32 v[86:87], v[4:5], v[86:87]
	v_fmac_f64_e32 v[90:91], v[10:11], v[120:121]
	v_fma_f64 v[8:9], v[8:9], v[120:121], -v[98:99]
	v_add_f64_e32 v[10:11], v[78:79], v[76:77]
	v_add_f64_e32 v[12:13], v[80:81], v[12:13]
	v_fmac_f64_e32 v[82:83], v[4:5], v[84:85]
	v_fma_f64 v[2:3], v[2:3], v[84:85], -v[86:87]
	s_delay_alu instid0(VALU_DEP_4) | instskip(NEXT) | instid1(VALU_DEP_4)
	v_add_f64_e32 v[4:5], v[10:11], v[8:9]
	v_add_f64_e32 v[8:9], v[12:13], v[90:91]
	s_delay_alu instid0(VALU_DEP_2) | instskip(NEXT) | instid1(VALU_DEP_2)
	v_add_f64_e32 v[2:3], v[4:5], v[2:3]
	v_add_f64_e32 v[4:5], v[8:9], v[82:83]
	s_delay_alu instid0(VALU_DEP_2) | instskip(NEXT) | instid1(VALU_DEP_2)
	v_add_f64_e64 v[2:3], v[124:125], -v[2:3]
	v_add_f64_e64 v[4:5], v[126:127], -v[4:5]
	scratch_store_b128 off, v[2:5], off offset:224
	s_wait_xcnt 0x0
	v_cmpx_lt_u32_e32 13, v1
	s_cbranch_execz .LBB30_173
; %bb.172:
	scratch_load_b128 v[2:5], off, s41
	v_mov_b32_e32 v8, 0
	s_delay_alu instid0(VALU_DEP_1)
	v_dual_mov_b32 v9, v8 :: v_dual_mov_b32 v10, v8
	v_mov_b32_e32 v11, v8
	scratch_store_b128 off, v[8:11], off offset:208
	s_wait_loadcnt 0x0
	ds_store_b128 v6, v[2:5]
.LBB30_173:
	s_wait_xcnt 0x0
	s_or_b32 exec_lo, exec_lo, s2
	s_wait_storecnt_dscnt 0x0
	s_barrier_signal -1
	s_barrier_wait -1
	s_clause 0x9
	scratch_load_b128 v[8:11], off, off offset:224
	scratch_load_b128 v[76:79], off, off offset:240
	;; [unrolled: 1-line block ×10, first 2 shown]
	v_mov_b32_e32 v2, 0
	s_mov_b32 s2, exec_lo
	ds_load_b128 v[112:115], v2 offset:720
	s_clause 0x2
	scratch_load_b128 v[116:119], off, off offset:384
	scratch_load_b128 v[120:123], off, off offset:208
	scratch_load_b128 v[128:131], off, off offset:416
	s_wait_loadcnt_dscnt 0xc00
	v_mul_f64_e32 v[4:5], v[114:115], v[10:11]
	v_mul_f64_e32 v[136:137], v[112:113], v[10:11]
	ds_load_b128 v[124:127], v2 offset:736
	scratch_load_b128 v[10:13], off, off offset:400
	ds_load_b128 v[132:135], v2 offset:768
	v_fma_f64 v[4:5], v[112:113], v[8:9], -v[4:5]
	v_fmac_f64_e32 v[136:137], v[114:115], v[8:9]
	ds_load_b128 v[112:115], v2 offset:752
	s_wait_loadcnt_dscnt 0xc02
	v_mul_f64_e32 v[138:139], v[124:125], v[78:79]
	v_mul_f64_e32 v[78:79], v[126:127], v[78:79]
	s_wait_loadcnt_dscnt 0xb00
	v_mul_f64_e32 v[8:9], v[112:113], v[82:83]
	v_mul_f64_e32 v[82:83], v[114:115], v[82:83]
	v_add_f64_e32 v[4:5], 0, v[4:5]
	v_fmac_f64_e32 v[138:139], v[126:127], v[76:77]
	v_fma_f64 v[124:125], v[124:125], v[76:77], -v[78:79]
	v_add_f64_e32 v[126:127], 0, v[136:137]
	scratch_load_b128 v[76:79], off, off offset:432
	v_fmac_f64_e32 v[8:9], v[114:115], v[80:81]
	v_fma_f64 v[140:141], v[112:113], v[80:81], -v[82:83]
	ds_load_b128 v[80:83], v2 offset:784
	s_wait_loadcnt 0xb
	v_mul_f64_e32 v[136:137], v[132:133], v[86:87]
	v_mul_f64_e32 v[86:87], v[134:135], v[86:87]
	scratch_load_b128 v[112:115], off, off offset:448
	v_add_f64_e32 v[4:5], v[4:5], v[124:125]
	v_add_f64_e32 v[138:139], v[126:127], v[138:139]
	ds_load_b128 v[124:127], v2 offset:800
	s_wait_loadcnt_dscnt 0xb01
	v_mul_f64_e32 v[142:143], v[80:81], v[90:91]
	v_mul_f64_e32 v[90:91], v[82:83], v[90:91]
	v_fmac_f64_e32 v[136:137], v[134:135], v[84:85]
	v_fma_f64 v[132:133], v[132:133], v[84:85], -v[86:87]
	scratch_load_b128 v[84:87], off, off offset:464
	v_add_f64_e32 v[4:5], v[4:5], v[140:141]
	v_add_f64_e32 v[8:9], v[138:139], v[8:9]
	v_fmac_f64_e32 v[142:143], v[82:83], v[88:89]
	v_fma_f64 v[140:141], v[80:81], v[88:89], -v[90:91]
	ds_load_b128 v[80:83], v2 offset:816
	s_wait_loadcnt_dscnt 0xb01
	v_mul_f64_e32 v[138:139], v[124:125], v[94:95]
	v_mul_f64_e32 v[94:95], v[126:127], v[94:95]
	scratch_load_b128 v[88:91], off, off offset:480
	v_add_f64_e32 v[4:5], v[4:5], v[132:133]
	v_add_f64_e32 v[8:9], v[8:9], v[136:137]
	s_wait_loadcnt_dscnt 0xb00
	v_mul_f64_e32 v[136:137], v[80:81], v[98:99]
	v_mul_f64_e32 v[98:99], v[82:83], v[98:99]
	ds_load_b128 v[132:135], v2 offset:832
	v_fmac_f64_e32 v[138:139], v[126:127], v[92:93]
	v_fma_f64 v[92:93], v[124:125], v[92:93], -v[94:95]
	s_wait_loadcnt_dscnt 0xa00
	v_mul_f64_e32 v[124:125], v[132:133], v[102:103]
	v_mul_f64_e32 v[102:103], v[134:135], v[102:103]
	v_add_f64_e32 v[4:5], v[4:5], v[140:141]
	v_add_f64_e32 v[8:9], v[8:9], v[142:143]
	v_fmac_f64_e32 v[136:137], v[82:83], v[96:97]
	v_fma_f64 v[96:97], v[80:81], v[96:97], -v[98:99]
	v_fmac_f64_e32 v[124:125], v[134:135], v[100:101]
	v_fma_f64 v[100:101], v[132:133], v[100:101], -v[102:103]
	v_add_f64_e32 v[4:5], v[4:5], v[92:93]
	v_add_f64_e32 v[8:9], v[8:9], v[138:139]
	ds_load_b128 v[80:83], v2 offset:848
	ds_load_b128 v[92:95], v2 offset:864
	s_wait_loadcnt_dscnt 0x901
	v_mul_f64_e32 v[126:127], v[80:81], v[106:107]
	v_mul_f64_e32 v[98:99], v[82:83], v[106:107]
	s_wait_loadcnt_dscnt 0x800
	v_mul_f64_e32 v[102:103], v[92:93], v[110:111]
	v_mul_f64_e32 v[106:107], v[94:95], v[110:111]
	v_add_f64_e32 v[4:5], v[4:5], v[96:97]
	v_add_f64_e32 v[8:9], v[8:9], v[136:137]
	v_fmac_f64_e32 v[126:127], v[82:83], v[104:105]
	v_fma_f64 v[104:105], v[80:81], v[104:105], -v[98:99]
	ds_load_b128 v[80:83], v2 offset:880
	ds_load_b128 v[96:99], v2 offset:896
	v_fmac_f64_e32 v[102:103], v[94:95], v[108:109]
	v_fma_f64 v[92:93], v[92:93], v[108:109], -v[106:107]
	v_add_f64_e32 v[4:5], v[4:5], v[100:101]
	v_add_f64_e32 v[8:9], v[8:9], v[124:125]
	s_wait_loadcnt_dscnt 0x701
	v_mul_f64_e32 v[100:101], v[80:81], v[118:119]
	v_mul_f64_e32 v[110:111], v[82:83], v[118:119]
	s_delay_alu instid0(VALU_DEP_4) | instskip(NEXT) | instid1(VALU_DEP_4)
	v_add_f64_e32 v[4:5], v[4:5], v[104:105]
	v_add_f64_e32 v[8:9], v[8:9], v[126:127]
	s_wait_loadcnt_dscnt 0x400
	v_mul_f64_e32 v[104:105], v[96:97], v[12:13]
	v_mul_f64_e32 v[12:13], v[98:99], v[12:13]
	v_fmac_f64_e32 v[100:101], v[82:83], v[116:117]
	v_fma_f64 v[106:107], v[80:81], v[116:117], -v[110:111]
	v_add_f64_e32 v[4:5], v[4:5], v[92:93]
	v_add_f64_e32 v[8:9], v[8:9], v[102:103]
	ds_load_b128 v[80:83], v2 offset:912
	ds_load_b128 v[92:95], v2 offset:928
	v_fmac_f64_e32 v[104:105], v[98:99], v[10:11]
	v_fma_f64 v[10:11], v[96:97], v[10:11], -v[12:13]
	s_wait_dscnt 0x1
	v_mul_f64_e32 v[102:103], v[80:81], v[130:131]
	v_mul_f64_e32 v[108:109], v[82:83], v[130:131]
	v_add_f64_e32 v[4:5], v[4:5], v[106:107]
	v_add_f64_e32 v[8:9], v[8:9], v[100:101]
	s_wait_loadcnt_dscnt 0x300
	v_mul_f64_e32 v[12:13], v[92:93], v[78:79]
	v_mul_f64_e32 v[96:97], v[94:95], v[78:79]
	v_fmac_f64_e32 v[102:103], v[82:83], v[128:129]
	v_fma_f64 v[82:83], v[80:81], v[128:129], -v[108:109]
	v_add_f64_e32 v[4:5], v[4:5], v[10:11]
	v_add_f64_e32 v[98:99], v[8:9], v[104:105]
	ds_load_b128 v[8:11], v2 offset:944
	ds_load_b128 v[78:81], v2 offset:960
	v_fmac_f64_e32 v[12:13], v[94:95], v[76:77]
	v_fma_f64 v[76:77], v[92:93], v[76:77], -v[96:97]
	s_wait_loadcnt_dscnt 0x201
	v_mul_f64_e32 v[100:101], v[8:9], v[114:115]
	v_mul_f64_e32 v[104:105], v[10:11], v[114:115]
	s_wait_loadcnt_dscnt 0x100
	v_mul_f64_e32 v[92:93], v[78:79], v[86:87]
	v_mul_f64_e32 v[86:87], v[80:81], v[86:87]
	v_add_f64_e32 v[4:5], v[4:5], v[82:83]
	v_add_f64_e32 v[82:83], v[98:99], v[102:103]
	v_fmac_f64_e32 v[100:101], v[10:11], v[112:113]
	v_fma_f64 v[94:95], v[8:9], v[112:113], -v[104:105]
	ds_load_b128 v[8:11], v2 offset:976
	v_fmac_f64_e32 v[92:93], v[80:81], v[84:85]
	v_fma_f64 v[78:79], v[78:79], v[84:85], -v[86:87]
	v_add_f64_e32 v[4:5], v[4:5], v[76:77]
	v_add_f64_e32 v[12:13], v[82:83], v[12:13]
	s_wait_loadcnt_dscnt 0x0
	v_mul_f64_e32 v[76:77], v[8:9], v[90:91]
	v_mul_f64_e32 v[82:83], v[10:11], v[90:91]
	s_delay_alu instid0(VALU_DEP_4) | instskip(NEXT) | instid1(VALU_DEP_4)
	v_add_f64_e32 v[4:5], v[4:5], v[94:95]
	v_add_f64_e32 v[12:13], v[12:13], v[100:101]
	s_delay_alu instid0(VALU_DEP_4) | instskip(NEXT) | instid1(VALU_DEP_4)
	v_fmac_f64_e32 v[76:77], v[10:11], v[88:89]
	v_fma_f64 v[8:9], v[8:9], v[88:89], -v[82:83]
	s_delay_alu instid0(VALU_DEP_4) | instskip(NEXT) | instid1(VALU_DEP_4)
	v_add_f64_e32 v[4:5], v[4:5], v[78:79]
	v_add_f64_e32 v[10:11], v[12:13], v[92:93]
	s_delay_alu instid0(VALU_DEP_2) | instskip(NEXT) | instid1(VALU_DEP_2)
	v_add_f64_e32 v[4:5], v[4:5], v[8:9]
	v_add_f64_e32 v[10:11], v[10:11], v[76:77]
	s_delay_alu instid0(VALU_DEP_2) | instskip(NEXT) | instid1(VALU_DEP_2)
	v_add_f64_e64 v[8:9], v[120:121], -v[4:5]
	v_add_f64_e64 v[10:11], v[122:123], -v[10:11]
	scratch_store_b128 off, v[8:11], off offset:208
	s_wait_xcnt 0x0
	v_cmpx_lt_u32_e32 12, v1
	s_cbranch_execz .LBB30_175
; %bb.174:
	scratch_load_b128 v[8:11], off, s40
	v_dual_mov_b32 v3, v2 :: v_dual_mov_b32 v4, v2
	v_mov_b32_e32 v5, v2
	scratch_store_b128 off, v[2:5], off offset:192
	s_wait_loadcnt 0x0
	ds_store_b128 v6, v[8:11]
.LBB30_175:
	s_wait_xcnt 0x0
	s_or_b32 exec_lo, exec_lo, s2
	s_wait_storecnt_dscnt 0x0
	s_barrier_signal -1
	s_barrier_wait -1
	s_clause 0x9
	scratch_load_b128 v[8:11], off, off offset:208
	scratch_load_b128 v[76:79], off, off offset:224
	;; [unrolled: 1-line block ×10, first 2 shown]
	ds_load_b128 v[112:115], v2 offset:704
	ds_load_b128 v[120:123], v2 offset:720
	s_clause 0x1
	scratch_load_b128 v[116:119], off, off offset:368
	scratch_load_b128 v[124:127], off, off offset:192
	s_mov_b32 s2, exec_lo
	s_wait_loadcnt_dscnt 0xb01
	v_mul_f64_e32 v[4:5], v[114:115], v[10:11]
	v_mul_f64_e32 v[136:137], v[112:113], v[10:11]
	scratch_load_b128 v[10:13], off, off offset:384
	s_wait_loadcnt_dscnt 0xb00
	v_mul_f64_e32 v[138:139], v[120:121], v[78:79]
	v_mul_f64_e32 v[78:79], v[122:123], v[78:79]
	v_fma_f64 v[4:5], v[112:113], v[8:9], -v[4:5]
	v_fmac_f64_e32 v[136:137], v[114:115], v[8:9]
	ds_load_b128 v[112:115], v2 offset:736
	ds_load_b128 v[128:131], v2 offset:752
	scratch_load_b128 v[132:135], off, off offset:400
	v_fmac_f64_e32 v[138:139], v[122:123], v[76:77]
	v_fma_f64 v[120:121], v[120:121], v[76:77], -v[78:79]
	scratch_load_b128 v[76:79], off, off offset:416
	s_wait_loadcnt_dscnt 0xc01
	v_mul_f64_e32 v[8:9], v[112:113], v[82:83]
	v_mul_f64_e32 v[82:83], v[114:115], v[82:83]
	v_add_f64_e32 v[4:5], 0, v[4:5]
	v_add_f64_e32 v[122:123], 0, v[136:137]
	s_wait_loadcnt_dscnt 0xb00
	v_mul_f64_e32 v[136:137], v[128:129], v[86:87]
	v_mul_f64_e32 v[86:87], v[130:131], v[86:87]
	v_fmac_f64_e32 v[8:9], v[114:115], v[80:81]
	v_fma_f64 v[140:141], v[112:113], v[80:81], -v[82:83]
	ds_load_b128 v[80:83], v2 offset:768
	ds_load_b128 v[112:115], v2 offset:784
	v_add_f64_e32 v[4:5], v[4:5], v[120:121]
	v_add_f64_e32 v[138:139], v[122:123], v[138:139]
	scratch_load_b128 v[120:123], off, off offset:432
	v_fmac_f64_e32 v[136:137], v[130:131], v[84:85]
	v_fma_f64 v[128:129], v[128:129], v[84:85], -v[86:87]
	scratch_load_b128 v[84:87], off, off offset:448
	s_wait_loadcnt_dscnt 0xc01
	v_mul_f64_e32 v[142:143], v[80:81], v[90:91]
	v_mul_f64_e32 v[90:91], v[82:83], v[90:91]
	v_add_f64_e32 v[4:5], v[4:5], v[140:141]
	v_add_f64_e32 v[8:9], v[138:139], v[8:9]
	s_wait_loadcnt_dscnt 0xb00
	v_mul_f64_e32 v[138:139], v[112:113], v[94:95]
	v_mul_f64_e32 v[94:95], v[114:115], v[94:95]
	v_fmac_f64_e32 v[142:143], v[82:83], v[88:89]
	v_fma_f64 v[140:141], v[80:81], v[88:89], -v[90:91]
	ds_load_b128 v[80:83], v2 offset:800
	ds_load_b128 v[88:91], v2 offset:816
	v_add_f64_e32 v[4:5], v[4:5], v[128:129]
	v_add_f64_e32 v[8:9], v[8:9], v[136:137]
	scratch_load_b128 v[128:131], off, off offset:464
	s_wait_loadcnt_dscnt 0xb01
	v_mul_f64_e32 v[136:137], v[80:81], v[98:99]
	v_mul_f64_e32 v[98:99], v[82:83], v[98:99]
	v_fmac_f64_e32 v[138:139], v[114:115], v[92:93]
	v_fma_f64 v[112:113], v[112:113], v[92:93], -v[94:95]
	scratch_load_b128 v[92:95], off, off offset:480
	s_wait_loadcnt_dscnt 0xb00
	v_mul_f64_e32 v[114:115], v[88:89], v[102:103]
	v_mul_f64_e32 v[102:103], v[90:91], v[102:103]
	v_add_f64_e32 v[4:5], v[4:5], v[140:141]
	v_add_f64_e32 v[8:9], v[8:9], v[142:143]
	v_fmac_f64_e32 v[136:137], v[82:83], v[96:97]
	v_fma_f64 v[140:141], v[80:81], v[96:97], -v[98:99]
	ds_load_b128 v[80:83], v2 offset:832
	ds_load_b128 v[96:99], v2 offset:848
	v_fmac_f64_e32 v[114:115], v[90:91], v[100:101]
	v_fma_f64 v[88:89], v[88:89], v[100:101], -v[102:103]
	s_wait_loadcnt_dscnt 0x900
	v_mul_f64_e32 v[100:101], v[96:97], v[110:111]
	v_mul_f64_e32 v[102:103], v[98:99], v[110:111]
	v_add_f64_e32 v[4:5], v[4:5], v[112:113]
	v_add_f64_e32 v[8:9], v[8:9], v[138:139]
	v_mul_f64_e32 v[112:113], v[80:81], v[106:107]
	v_mul_f64_e32 v[106:107], v[82:83], v[106:107]
	v_fmac_f64_e32 v[100:101], v[98:99], v[108:109]
	v_fma_f64 v[96:97], v[96:97], v[108:109], -v[102:103]
	v_add_f64_e32 v[4:5], v[4:5], v[140:141]
	v_add_f64_e32 v[8:9], v[8:9], v[136:137]
	v_fmac_f64_e32 v[112:113], v[82:83], v[104:105]
	v_fma_f64 v[104:105], v[80:81], v[104:105], -v[106:107]
	s_delay_alu instid0(VALU_DEP_4) | instskip(NEXT) | instid1(VALU_DEP_4)
	v_add_f64_e32 v[4:5], v[4:5], v[88:89]
	v_add_f64_e32 v[8:9], v[8:9], v[114:115]
	ds_load_b128 v[80:83], v2 offset:864
	ds_load_b128 v[88:91], v2 offset:880
	s_wait_loadcnt_dscnt 0x801
	v_mul_f64_e32 v[106:107], v[80:81], v[118:119]
	v_mul_f64_e32 v[110:111], v[82:83], v[118:119]
	v_add_f64_e32 v[4:5], v[4:5], v[104:105]
	v_add_f64_e32 v[8:9], v[8:9], v[112:113]
	s_wait_loadcnt_dscnt 0x600
	v_mul_f64_e32 v[102:103], v[88:89], v[12:13]
	v_mul_f64_e32 v[12:13], v[90:91], v[12:13]
	v_fmac_f64_e32 v[106:107], v[82:83], v[116:117]
	v_fma_f64 v[104:105], v[80:81], v[116:117], -v[110:111]
	v_add_f64_e32 v[4:5], v[4:5], v[96:97]
	v_add_f64_e32 v[8:9], v[8:9], v[100:101]
	ds_load_b128 v[80:83], v2 offset:896
	ds_load_b128 v[96:99], v2 offset:912
	v_fmac_f64_e32 v[102:103], v[90:91], v[10:11]
	v_fma_f64 v[10:11], v[88:89], v[10:11], -v[12:13]
	s_wait_loadcnt_dscnt 0x501
	v_mul_f64_e32 v[100:101], v[80:81], v[134:135]
	v_mul_f64_e32 v[108:109], v[82:83], v[134:135]
	s_wait_loadcnt_dscnt 0x400
	v_mul_f64_e32 v[12:13], v[96:97], v[78:79]
	v_mul_f64_e32 v[88:89], v[98:99], v[78:79]
	v_add_f64_e32 v[4:5], v[4:5], v[104:105]
	v_add_f64_e32 v[8:9], v[8:9], v[106:107]
	v_fmac_f64_e32 v[100:101], v[82:83], v[132:133]
	v_fma_f64 v[82:83], v[80:81], v[132:133], -v[108:109]
	v_fmac_f64_e32 v[12:13], v[98:99], v[76:77]
	v_fma_f64 v[76:77], v[96:97], v[76:77], -v[88:89]
	v_add_f64_e32 v[4:5], v[4:5], v[10:11]
	v_add_f64_e32 v[90:91], v[8:9], v[102:103]
	ds_load_b128 v[8:11], v2 offset:928
	ds_load_b128 v[78:81], v2 offset:944
	s_wait_loadcnt_dscnt 0x301
	v_mul_f64_e32 v[102:103], v[8:9], v[122:123]
	v_mul_f64_e32 v[104:105], v[10:11], v[122:123]
	s_wait_loadcnt_dscnt 0x200
	v_mul_f64_e32 v[88:89], v[78:79], v[86:87]
	v_mul_f64_e32 v[86:87], v[80:81], v[86:87]
	v_add_f64_e32 v[4:5], v[4:5], v[82:83]
	v_add_f64_e32 v[82:83], v[90:91], v[100:101]
	v_fmac_f64_e32 v[102:103], v[10:11], v[120:121]
	v_fma_f64 v[90:91], v[8:9], v[120:121], -v[104:105]
	v_fmac_f64_e32 v[88:89], v[80:81], v[84:85]
	v_fma_f64 v[78:79], v[78:79], v[84:85], -v[86:87]
	v_add_f64_e32 v[76:77], v[4:5], v[76:77]
	v_add_f64_e32 v[12:13], v[82:83], v[12:13]
	ds_load_b128 v[8:11], v2 offset:960
	ds_load_b128 v[2:5], v2 offset:976
	s_wait_loadcnt_dscnt 0x101
	v_mul_f64_e32 v[82:83], v[8:9], v[130:131]
	v_mul_f64_e32 v[96:97], v[10:11], v[130:131]
	s_wait_loadcnt_dscnt 0x0
	v_mul_f64_e32 v[80:81], v[2:3], v[94:95]
	v_mul_f64_e32 v[84:85], v[4:5], v[94:95]
	v_add_f64_e32 v[76:77], v[76:77], v[90:91]
	v_add_f64_e32 v[12:13], v[12:13], v[102:103]
	v_fmac_f64_e32 v[82:83], v[10:11], v[128:129]
	v_fma_f64 v[8:9], v[8:9], v[128:129], -v[96:97]
	v_fmac_f64_e32 v[80:81], v[4:5], v[92:93]
	v_fma_f64 v[2:3], v[2:3], v[92:93], -v[84:85]
	v_add_f64_e32 v[10:11], v[76:77], v[78:79]
	v_add_f64_e32 v[12:13], v[12:13], v[88:89]
	s_delay_alu instid0(VALU_DEP_2) | instskip(NEXT) | instid1(VALU_DEP_2)
	v_add_f64_e32 v[4:5], v[10:11], v[8:9]
	v_add_f64_e32 v[8:9], v[12:13], v[82:83]
	s_delay_alu instid0(VALU_DEP_2) | instskip(NEXT) | instid1(VALU_DEP_2)
	;; [unrolled: 3-line block ×3, first 2 shown]
	v_add_f64_e64 v[2:3], v[124:125], -v[2:3]
	v_add_f64_e64 v[4:5], v[126:127], -v[4:5]
	scratch_store_b128 off, v[2:5], off offset:192
	s_wait_xcnt 0x0
	v_cmpx_lt_u32_e32 11, v1
	s_cbranch_execz .LBB30_177
; %bb.176:
	scratch_load_b128 v[2:5], off, s38
	v_mov_b32_e32 v8, 0
	s_delay_alu instid0(VALU_DEP_1)
	v_dual_mov_b32 v9, v8 :: v_dual_mov_b32 v10, v8
	v_mov_b32_e32 v11, v8
	scratch_store_b128 off, v[8:11], off offset:176
	s_wait_loadcnt 0x0
	ds_store_b128 v6, v[2:5]
.LBB30_177:
	s_wait_xcnt 0x0
	s_or_b32 exec_lo, exec_lo, s2
	s_wait_storecnt_dscnt 0x0
	s_barrier_signal -1
	s_barrier_wait -1
	s_clause 0x9
	scratch_load_b128 v[8:11], off, off offset:192
	scratch_load_b128 v[76:79], off, off offset:208
	;; [unrolled: 1-line block ×10, first 2 shown]
	v_mov_b32_e32 v2, 0
	s_mov_b32 s2, exec_lo
	ds_load_b128 v[112:115], v2 offset:688
	s_clause 0x2
	scratch_load_b128 v[116:119], off, off offset:352
	scratch_load_b128 v[120:123], off, off offset:176
	;; [unrolled: 1-line block ×3, first 2 shown]
	s_wait_loadcnt_dscnt 0xc00
	v_mul_f64_e32 v[4:5], v[114:115], v[10:11]
	v_mul_f64_e32 v[136:137], v[112:113], v[10:11]
	ds_load_b128 v[124:127], v2 offset:704
	scratch_load_b128 v[10:13], off, off offset:368
	ds_load_b128 v[132:135], v2 offset:736
	v_fma_f64 v[4:5], v[112:113], v[8:9], -v[4:5]
	v_fmac_f64_e32 v[136:137], v[114:115], v[8:9]
	ds_load_b128 v[112:115], v2 offset:720
	s_wait_loadcnt_dscnt 0xc02
	v_mul_f64_e32 v[138:139], v[124:125], v[78:79]
	v_mul_f64_e32 v[78:79], v[126:127], v[78:79]
	s_wait_loadcnt_dscnt 0xb00
	v_mul_f64_e32 v[8:9], v[112:113], v[82:83]
	v_mul_f64_e32 v[82:83], v[114:115], v[82:83]
	v_add_f64_e32 v[4:5], 0, v[4:5]
	v_fmac_f64_e32 v[138:139], v[126:127], v[76:77]
	v_fma_f64 v[124:125], v[124:125], v[76:77], -v[78:79]
	v_add_f64_e32 v[126:127], 0, v[136:137]
	scratch_load_b128 v[76:79], off, off offset:400
	v_fmac_f64_e32 v[8:9], v[114:115], v[80:81]
	v_fma_f64 v[140:141], v[112:113], v[80:81], -v[82:83]
	ds_load_b128 v[80:83], v2 offset:752
	s_wait_loadcnt 0xb
	v_mul_f64_e32 v[136:137], v[132:133], v[86:87]
	v_mul_f64_e32 v[86:87], v[134:135], v[86:87]
	scratch_load_b128 v[112:115], off, off offset:416
	v_add_f64_e32 v[4:5], v[4:5], v[124:125]
	v_add_f64_e32 v[138:139], v[126:127], v[138:139]
	ds_load_b128 v[124:127], v2 offset:768
	s_wait_loadcnt_dscnt 0xb01
	v_mul_f64_e32 v[142:143], v[80:81], v[90:91]
	v_mul_f64_e32 v[90:91], v[82:83], v[90:91]
	v_fmac_f64_e32 v[136:137], v[134:135], v[84:85]
	v_fma_f64 v[132:133], v[132:133], v[84:85], -v[86:87]
	scratch_load_b128 v[84:87], off, off offset:432
	v_add_f64_e32 v[4:5], v[4:5], v[140:141]
	v_add_f64_e32 v[8:9], v[138:139], v[8:9]
	v_fmac_f64_e32 v[142:143], v[82:83], v[88:89]
	v_fma_f64 v[140:141], v[80:81], v[88:89], -v[90:91]
	ds_load_b128 v[80:83], v2 offset:784
	s_wait_loadcnt_dscnt 0xb01
	v_mul_f64_e32 v[138:139], v[124:125], v[94:95]
	v_mul_f64_e32 v[94:95], v[126:127], v[94:95]
	scratch_load_b128 v[88:91], off, off offset:448
	v_add_f64_e32 v[4:5], v[4:5], v[132:133]
	v_add_f64_e32 v[8:9], v[8:9], v[136:137]
	s_wait_loadcnt_dscnt 0xb00
	v_mul_f64_e32 v[136:137], v[80:81], v[98:99]
	v_mul_f64_e32 v[98:99], v[82:83], v[98:99]
	ds_load_b128 v[132:135], v2 offset:800
	v_fmac_f64_e32 v[138:139], v[126:127], v[92:93]
	v_fma_f64 v[124:125], v[124:125], v[92:93], -v[94:95]
	scratch_load_b128 v[92:95], off, off offset:464
	v_add_f64_e32 v[4:5], v[4:5], v[140:141]
	v_add_f64_e32 v[8:9], v[8:9], v[142:143]
	v_fmac_f64_e32 v[136:137], v[82:83], v[96:97]
	v_fma_f64 v[142:143], v[80:81], v[96:97], -v[98:99]
	ds_load_b128 v[80:83], v2 offset:816
	s_wait_loadcnt_dscnt 0xb01
	v_mul_f64_e32 v[140:141], v[132:133], v[102:103]
	v_mul_f64_e32 v[102:103], v[134:135], v[102:103]
	scratch_load_b128 v[96:99], off, off offset:480
	v_add_f64_e32 v[4:5], v[4:5], v[124:125]
	v_add_f64_e32 v[8:9], v[8:9], v[138:139]
	s_wait_loadcnt_dscnt 0xb00
	v_mul_f64_e32 v[138:139], v[80:81], v[106:107]
	v_mul_f64_e32 v[106:107], v[82:83], v[106:107]
	ds_load_b128 v[124:127], v2 offset:832
	v_fmac_f64_e32 v[140:141], v[134:135], v[100:101]
	v_fma_f64 v[100:101], v[132:133], v[100:101], -v[102:103]
	s_wait_loadcnt_dscnt 0xa00
	v_mul_f64_e32 v[132:133], v[124:125], v[110:111]
	v_mul_f64_e32 v[110:111], v[126:127], v[110:111]
	v_add_f64_e32 v[4:5], v[4:5], v[142:143]
	v_add_f64_e32 v[8:9], v[8:9], v[136:137]
	v_fmac_f64_e32 v[138:139], v[82:83], v[104:105]
	v_fma_f64 v[104:105], v[80:81], v[104:105], -v[106:107]
	v_fmac_f64_e32 v[132:133], v[126:127], v[108:109]
	v_fma_f64 v[108:109], v[124:125], v[108:109], -v[110:111]
	v_add_f64_e32 v[4:5], v[4:5], v[100:101]
	v_add_f64_e32 v[8:9], v[8:9], v[140:141]
	ds_load_b128 v[80:83], v2 offset:848
	ds_load_b128 v[100:103], v2 offset:864
	s_wait_loadcnt_dscnt 0x901
	v_mul_f64_e32 v[134:135], v[80:81], v[118:119]
	v_mul_f64_e32 v[106:107], v[82:83], v[118:119]
	s_wait_loadcnt_dscnt 0x600
	v_mul_f64_e32 v[110:111], v[100:101], v[12:13]
	v_add_f64_e32 v[4:5], v[4:5], v[104:105]
	v_add_f64_e32 v[8:9], v[8:9], v[138:139]
	v_mul_f64_e32 v[12:13], v[102:103], v[12:13]
	v_fmac_f64_e32 v[134:135], v[82:83], v[116:117]
	v_fma_f64 v[116:117], v[80:81], v[116:117], -v[106:107]
	ds_load_b128 v[80:83], v2 offset:880
	ds_load_b128 v[104:107], v2 offset:896
	v_fmac_f64_e32 v[110:111], v[102:103], v[10:11]
	v_add_f64_e32 v[4:5], v[4:5], v[108:109]
	v_add_f64_e32 v[8:9], v[8:9], v[132:133]
	v_fma_f64 v[10:11], v[100:101], v[10:11], -v[12:13]
	s_wait_dscnt 0x1
	v_mul_f64_e32 v[108:109], v[80:81], v[130:131]
	v_mul_f64_e32 v[118:119], v[82:83], v[130:131]
	v_add_f64_e32 v[4:5], v[4:5], v[116:117]
	v_add_f64_e32 v[8:9], v[8:9], v[134:135]
	s_wait_loadcnt_dscnt 0x500
	v_mul_f64_e32 v[12:13], v[104:105], v[78:79]
	v_mul_f64_e32 v[100:101], v[106:107], v[78:79]
	v_fmac_f64_e32 v[108:109], v[82:83], v[128:129]
	v_fma_f64 v[82:83], v[80:81], v[128:129], -v[118:119]
	v_add_f64_e32 v[4:5], v[4:5], v[10:11]
	v_add_f64_e32 v[102:103], v[8:9], v[110:111]
	ds_load_b128 v[8:11], v2 offset:912
	ds_load_b128 v[78:81], v2 offset:928
	v_fmac_f64_e32 v[12:13], v[106:107], v[76:77]
	v_fma_f64 v[76:77], v[104:105], v[76:77], -v[100:101]
	s_wait_loadcnt_dscnt 0x401
	v_mul_f64_e32 v[110:111], v[8:9], v[114:115]
	v_mul_f64_e32 v[114:115], v[10:11], v[114:115]
	s_wait_loadcnt_dscnt 0x300
	v_mul_f64_e32 v[104:105], v[78:79], v[86:87]
	v_mul_f64_e32 v[86:87], v[80:81], v[86:87]
	v_add_f64_e32 v[4:5], v[4:5], v[82:83]
	v_add_f64_e32 v[82:83], v[102:103], v[108:109]
	v_fmac_f64_e32 v[110:111], v[10:11], v[112:113]
	v_fma_f64 v[106:107], v[8:9], v[112:113], -v[114:115]
	ds_load_b128 v[8:11], v2 offset:944
	ds_load_b128 v[100:103], v2 offset:960
	v_fmac_f64_e32 v[104:105], v[80:81], v[84:85]
	v_fma_f64 v[78:79], v[78:79], v[84:85], -v[86:87]
	v_add_f64_e32 v[4:5], v[4:5], v[76:77]
	v_add_f64_e32 v[12:13], v[82:83], v[12:13]
	s_wait_loadcnt_dscnt 0x201
	v_mul_f64_e32 v[76:77], v[8:9], v[90:91]
	v_mul_f64_e32 v[82:83], v[10:11], v[90:91]
	s_wait_loadcnt_dscnt 0x100
	v_mul_f64_e32 v[80:81], v[100:101], v[94:95]
	v_mul_f64_e32 v[84:85], v[102:103], v[94:95]
	v_add_f64_e32 v[4:5], v[4:5], v[106:107]
	v_add_f64_e32 v[12:13], v[12:13], v[110:111]
	v_fmac_f64_e32 v[76:77], v[10:11], v[88:89]
	v_fma_f64 v[82:83], v[8:9], v[88:89], -v[82:83]
	ds_load_b128 v[8:11], v2 offset:976
	v_fmac_f64_e32 v[80:81], v[102:103], v[92:93]
	v_fma_f64 v[84:85], v[100:101], v[92:93], -v[84:85]
	s_wait_loadcnt_dscnt 0x0
	v_mul_f64_e32 v[86:87], v[10:11], v[98:99]
	v_add_f64_e32 v[4:5], v[4:5], v[78:79]
	v_add_f64_e32 v[12:13], v[12:13], v[104:105]
	v_mul_f64_e32 v[78:79], v[8:9], v[98:99]
	s_delay_alu instid0(VALU_DEP_4) | instskip(NEXT) | instid1(VALU_DEP_4)
	v_fma_f64 v[8:9], v[8:9], v[96:97], -v[86:87]
	v_add_f64_e32 v[4:5], v[4:5], v[82:83]
	s_delay_alu instid0(VALU_DEP_4) | instskip(NEXT) | instid1(VALU_DEP_4)
	v_add_f64_e32 v[12:13], v[12:13], v[76:77]
	v_fmac_f64_e32 v[78:79], v[10:11], v[96:97]
	s_delay_alu instid0(VALU_DEP_3) | instskip(NEXT) | instid1(VALU_DEP_3)
	v_add_f64_e32 v[4:5], v[4:5], v[84:85]
	v_add_f64_e32 v[10:11], v[12:13], v[80:81]
	s_delay_alu instid0(VALU_DEP_2) | instskip(NEXT) | instid1(VALU_DEP_2)
	v_add_f64_e32 v[4:5], v[4:5], v[8:9]
	v_add_f64_e32 v[10:11], v[10:11], v[78:79]
	s_delay_alu instid0(VALU_DEP_2) | instskip(NEXT) | instid1(VALU_DEP_2)
	v_add_f64_e64 v[8:9], v[120:121], -v[4:5]
	v_add_f64_e64 v[10:11], v[122:123], -v[10:11]
	scratch_store_b128 off, v[8:11], off offset:176
	s_wait_xcnt 0x0
	v_cmpx_lt_u32_e32 10, v1
	s_cbranch_execz .LBB30_179
; %bb.178:
	scratch_load_b128 v[8:11], off, s35
	v_dual_mov_b32 v3, v2 :: v_dual_mov_b32 v4, v2
	v_mov_b32_e32 v5, v2
	scratch_store_b128 off, v[2:5], off offset:160
	s_wait_loadcnt 0x0
	ds_store_b128 v6, v[8:11]
.LBB30_179:
	s_wait_xcnt 0x0
	s_or_b32 exec_lo, exec_lo, s2
	s_wait_storecnt_dscnt 0x0
	s_barrier_signal -1
	s_barrier_wait -1
	s_clause 0x9
	scratch_load_b128 v[8:11], off, off offset:176
	scratch_load_b128 v[76:79], off, off offset:192
	;; [unrolled: 1-line block ×10, first 2 shown]
	ds_load_b128 v[112:115], v2 offset:672
	ds_load_b128 v[120:123], v2 offset:688
	s_clause 0x1
	scratch_load_b128 v[116:119], off, off offset:336
	scratch_load_b128 v[124:127], off, off offset:160
	s_mov_b32 s2, exec_lo
	s_wait_loadcnt_dscnt 0xb01
	v_mul_f64_e32 v[4:5], v[114:115], v[10:11]
	v_mul_f64_e32 v[136:137], v[112:113], v[10:11]
	scratch_load_b128 v[10:13], off, off offset:352
	s_wait_loadcnt_dscnt 0xb00
	v_mul_f64_e32 v[138:139], v[120:121], v[78:79]
	v_mul_f64_e32 v[78:79], v[122:123], v[78:79]
	v_fma_f64 v[4:5], v[112:113], v[8:9], -v[4:5]
	v_fmac_f64_e32 v[136:137], v[114:115], v[8:9]
	ds_load_b128 v[112:115], v2 offset:704
	ds_load_b128 v[128:131], v2 offset:720
	scratch_load_b128 v[132:135], off, off offset:368
	v_fmac_f64_e32 v[138:139], v[122:123], v[76:77]
	v_fma_f64 v[120:121], v[120:121], v[76:77], -v[78:79]
	scratch_load_b128 v[76:79], off, off offset:384
	s_wait_loadcnt_dscnt 0xc01
	v_mul_f64_e32 v[8:9], v[112:113], v[82:83]
	v_mul_f64_e32 v[82:83], v[114:115], v[82:83]
	v_add_f64_e32 v[4:5], 0, v[4:5]
	v_add_f64_e32 v[122:123], 0, v[136:137]
	s_wait_loadcnt_dscnt 0xb00
	v_mul_f64_e32 v[136:137], v[128:129], v[86:87]
	v_mul_f64_e32 v[86:87], v[130:131], v[86:87]
	v_fmac_f64_e32 v[8:9], v[114:115], v[80:81]
	v_fma_f64 v[140:141], v[112:113], v[80:81], -v[82:83]
	ds_load_b128 v[80:83], v2 offset:736
	ds_load_b128 v[112:115], v2 offset:752
	v_add_f64_e32 v[4:5], v[4:5], v[120:121]
	v_add_f64_e32 v[138:139], v[122:123], v[138:139]
	scratch_load_b128 v[120:123], off, off offset:400
	v_fmac_f64_e32 v[136:137], v[130:131], v[84:85]
	v_fma_f64 v[128:129], v[128:129], v[84:85], -v[86:87]
	scratch_load_b128 v[84:87], off, off offset:416
	s_wait_loadcnt_dscnt 0xc01
	v_mul_f64_e32 v[142:143], v[80:81], v[90:91]
	v_mul_f64_e32 v[90:91], v[82:83], v[90:91]
	v_add_f64_e32 v[4:5], v[4:5], v[140:141]
	v_add_f64_e32 v[8:9], v[138:139], v[8:9]
	s_wait_loadcnt_dscnt 0xb00
	v_mul_f64_e32 v[138:139], v[112:113], v[94:95]
	v_mul_f64_e32 v[94:95], v[114:115], v[94:95]
	v_fmac_f64_e32 v[142:143], v[82:83], v[88:89]
	v_fma_f64 v[140:141], v[80:81], v[88:89], -v[90:91]
	ds_load_b128 v[80:83], v2 offset:768
	ds_load_b128 v[88:91], v2 offset:784
	v_add_f64_e32 v[4:5], v[4:5], v[128:129]
	v_add_f64_e32 v[8:9], v[8:9], v[136:137]
	scratch_load_b128 v[128:131], off, off offset:432
	s_wait_loadcnt_dscnt 0xb01
	v_mul_f64_e32 v[136:137], v[80:81], v[98:99]
	v_mul_f64_e32 v[98:99], v[82:83], v[98:99]
	v_fmac_f64_e32 v[138:139], v[114:115], v[92:93]
	v_fma_f64 v[112:113], v[112:113], v[92:93], -v[94:95]
	scratch_load_b128 v[92:95], off, off offset:448
	v_add_f64_e32 v[4:5], v[4:5], v[140:141]
	v_add_f64_e32 v[8:9], v[8:9], v[142:143]
	s_wait_loadcnt_dscnt 0xb00
	v_mul_f64_e32 v[140:141], v[88:89], v[102:103]
	v_mul_f64_e32 v[102:103], v[90:91], v[102:103]
	v_fmac_f64_e32 v[136:137], v[82:83], v[96:97]
	v_fma_f64 v[142:143], v[80:81], v[96:97], -v[98:99]
	ds_load_b128 v[80:83], v2 offset:800
	ds_load_b128 v[96:99], v2 offset:816
	v_add_f64_e32 v[4:5], v[4:5], v[112:113]
	v_add_f64_e32 v[8:9], v[8:9], v[138:139]
	scratch_load_b128 v[112:115], off, off offset:464
	s_wait_loadcnt_dscnt 0xb01
	v_mul_f64_e32 v[138:139], v[80:81], v[106:107]
	v_mul_f64_e32 v[106:107], v[82:83], v[106:107]
	v_fmac_f64_e32 v[140:141], v[90:91], v[100:101]
	v_fma_f64 v[100:101], v[88:89], v[100:101], -v[102:103]
	scratch_load_b128 v[88:91], off, off offset:480
	v_add_f64_e32 v[4:5], v[4:5], v[142:143]
	v_add_f64_e32 v[8:9], v[8:9], v[136:137]
	s_wait_loadcnt_dscnt 0xb00
	v_mul_f64_e32 v[136:137], v[96:97], v[110:111]
	v_mul_f64_e32 v[110:111], v[98:99], v[110:111]
	v_fmac_f64_e32 v[138:139], v[82:83], v[104:105]
	v_fma_f64 v[104:105], v[80:81], v[104:105], -v[106:107]
	v_add_f64_e32 v[4:5], v[4:5], v[100:101]
	v_add_f64_e32 v[8:9], v[8:9], v[140:141]
	ds_load_b128 v[80:83], v2 offset:832
	ds_load_b128 v[100:103], v2 offset:848
	v_fmac_f64_e32 v[136:137], v[98:99], v[108:109]
	v_fma_f64 v[96:97], v[96:97], v[108:109], -v[110:111]
	s_wait_loadcnt_dscnt 0xa01
	v_mul_f64_e32 v[106:107], v[80:81], v[118:119]
	v_mul_f64_e32 v[118:119], v[82:83], v[118:119]
	v_add_f64_e32 v[4:5], v[4:5], v[104:105]
	v_add_f64_e32 v[8:9], v[8:9], v[138:139]
	s_wait_loadcnt_dscnt 0x800
	v_mul_f64_e32 v[104:105], v[100:101], v[12:13]
	v_mul_f64_e32 v[12:13], v[102:103], v[12:13]
	v_fmac_f64_e32 v[106:107], v[82:83], v[116:117]
	v_fma_f64 v[108:109], v[80:81], v[116:117], -v[118:119]
	v_add_f64_e32 v[4:5], v[4:5], v[96:97]
	v_add_f64_e32 v[8:9], v[8:9], v[136:137]
	ds_load_b128 v[80:83], v2 offset:864
	ds_load_b128 v[96:99], v2 offset:880
	v_fmac_f64_e32 v[104:105], v[102:103], v[10:11]
	v_fma_f64 v[10:11], v[100:101], v[10:11], -v[12:13]
	s_wait_loadcnt_dscnt 0x701
	v_mul_f64_e32 v[110:111], v[80:81], v[134:135]
	v_mul_f64_e32 v[116:117], v[82:83], v[134:135]
	s_wait_loadcnt_dscnt 0x600
	v_mul_f64_e32 v[12:13], v[96:97], v[78:79]
	v_mul_f64_e32 v[100:101], v[98:99], v[78:79]
	v_add_f64_e32 v[4:5], v[4:5], v[108:109]
	v_add_f64_e32 v[8:9], v[8:9], v[106:107]
	v_fmac_f64_e32 v[110:111], v[82:83], v[132:133]
	v_fma_f64 v[82:83], v[80:81], v[132:133], -v[116:117]
	v_fmac_f64_e32 v[12:13], v[98:99], v[76:77]
	v_fma_f64 v[76:77], v[96:97], v[76:77], -v[100:101]
	v_add_f64_e32 v[4:5], v[4:5], v[10:11]
	v_add_f64_e32 v[102:103], v[8:9], v[104:105]
	ds_load_b128 v[8:11], v2 offset:896
	ds_load_b128 v[78:81], v2 offset:912
	s_wait_loadcnt_dscnt 0x501
	v_mul_f64_e32 v[104:105], v[8:9], v[122:123]
	v_mul_f64_e32 v[106:107], v[10:11], v[122:123]
	s_wait_loadcnt_dscnt 0x400
	v_mul_f64_e32 v[100:101], v[78:79], v[86:87]
	v_mul_f64_e32 v[86:87], v[80:81], v[86:87]
	v_add_f64_e32 v[4:5], v[4:5], v[82:83]
	v_add_f64_e32 v[82:83], v[102:103], v[110:111]
	v_fmac_f64_e32 v[104:105], v[10:11], v[120:121]
	v_fma_f64 v[102:103], v[8:9], v[120:121], -v[106:107]
	ds_load_b128 v[8:11], v2 offset:928
	ds_load_b128 v[96:99], v2 offset:944
	v_fmac_f64_e32 v[100:101], v[80:81], v[84:85]
	v_fma_f64 v[78:79], v[78:79], v[84:85], -v[86:87]
	v_add_f64_e32 v[4:5], v[4:5], v[76:77]
	v_add_f64_e32 v[12:13], v[82:83], v[12:13]
	s_wait_loadcnt_dscnt 0x301
	v_mul_f64_e32 v[76:77], v[8:9], v[130:131]
	v_mul_f64_e32 v[82:83], v[10:11], v[130:131]
	s_wait_loadcnt_dscnt 0x200
	v_mul_f64_e32 v[80:81], v[96:97], v[94:95]
	v_mul_f64_e32 v[84:85], v[98:99], v[94:95]
	v_add_f64_e32 v[4:5], v[4:5], v[102:103]
	v_add_f64_e32 v[12:13], v[12:13], v[104:105]
	v_fmac_f64_e32 v[76:77], v[10:11], v[128:129]
	v_fma_f64 v[82:83], v[8:9], v[128:129], -v[82:83]
	v_fmac_f64_e32 v[80:81], v[98:99], v[92:93]
	v_fma_f64 v[84:85], v[96:97], v[92:93], -v[84:85]
	v_add_f64_e32 v[78:79], v[4:5], v[78:79]
	v_add_f64_e32 v[12:13], v[12:13], v[100:101]
	ds_load_b128 v[8:11], v2 offset:960
	ds_load_b128 v[2:5], v2 offset:976
	s_wait_loadcnt_dscnt 0x101
	v_mul_f64_e32 v[86:87], v[8:9], v[114:115]
	v_mul_f64_e32 v[94:95], v[10:11], v[114:115]
	v_add_f64_e32 v[78:79], v[78:79], v[82:83]
	v_add_f64_e32 v[12:13], v[12:13], v[76:77]
	s_wait_loadcnt_dscnt 0x0
	v_mul_f64_e32 v[76:77], v[2:3], v[90:91]
	v_mul_f64_e32 v[82:83], v[4:5], v[90:91]
	v_fmac_f64_e32 v[86:87], v[10:11], v[112:113]
	v_fma_f64 v[8:9], v[8:9], v[112:113], -v[94:95]
	v_add_f64_e32 v[10:11], v[78:79], v[84:85]
	v_add_f64_e32 v[12:13], v[12:13], v[80:81]
	v_fmac_f64_e32 v[76:77], v[4:5], v[88:89]
	v_fma_f64 v[2:3], v[2:3], v[88:89], -v[82:83]
	s_delay_alu instid0(VALU_DEP_4) | instskip(NEXT) | instid1(VALU_DEP_4)
	v_add_f64_e32 v[4:5], v[10:11], v[8:9]
	v_add_f64_e32 v[8:9], v[12:13], v[86:87]
	s_delay_alu instid0(VALU_DEP_2) | instskip(NEXT) | instid1(VALU_DEP_2)
	v_add_f64_e32 v[2:3], v[4:5], v[2:3]
	v_add_f64_e32 v[4:5], v[8:9], v[76:77]
	s_delay_alu instid0(VALU_DEP_2) | instskip(NEXT) | instid1(VALU_DEP_2)
	v_add_f64_e64 v[2:3], v[124:125], -v[2:3]
	v_add_f64_e64 v[4:5], v[126:127], -v[4:5]
	scratch_store_b128 off, v[2:5], off offset:160
	s_wait_xcnt 0x0
	v_cmpx_lt_u32_e32 9, v1
	s_cbranch_execz .LBB30_181
; %bb.180:
	scratch_load_b128 v[2:5], off, s33
	v_mov_b32_e32 v8, 0
	s_delay_alu instid0(VALU_DEP_1)
	v_dual_mov_b32 v9, v8 :: v_dual_mov_b32 v10, v8
	v_mov_b32_e32 v11, v8
	scratch_store_b128 off, v[8:11], off offset:144
	s_wait_loadcnt 0x0
	ds_store_b128 v6, v[2:5]
.LBB30_181:
	s_wait_xcnt 0x0
	s_or_b32 exec_lo, exec_lo, s2
	s_wait_storecnt_dscnt 0x0
	s_barrier_signal -1
	s_barrier_wait -1
	s_clause 0x9
	scratch_load_b128 v[8:11], off, off offset:160
	scratch_load_b128 v[76:79], off, off offset:176
	;; [unrolled: 1-line block ×10, first 2 shown]
	v_mov_b32_e32 v2, 0
	s_mov_b32 s2, exec_lo
	ds_load_b128 v[112:115], v2 offset:656
	s_clause 0x2
	scratch_load_b128 v[116:119], off, off offset:320
	scratch_load_b128 v[120:123], off, off offset:144
	;; [unrolled: 1-line block ×3, first 2 shown]
	s_wait_loadcnt_dscnt 0xc00
	v_mul_f64_e32 v[4:5], v[114:115], v[10:11]
	v_mul_f64_e32 v[136:137], v[112:113], v[10:11]
	ds_load_b128 v[124:127], v2 offset:672
	scratch_load_b128 v[10:13], off, off offset:336
	ds_load_b128 v[132:135], v2 offset:704
	v_fma_f64 v[4:5], v[112:113], v[8:9], -v[4:5]
	v_fmac_f64_e32 v[136:137], v[114:115], v[8:9]
	ds_load_b128 v[112:115], v2 offset:688
	s_wait_loadcnt_dscnt 0xc02
	v_mul_f64_e32 v[138:139], v[124:125], v[78:79]
	v_mul_f64_e32 v[78:79], v[126:127], v[78:79]
	s_wait_loadcnt_dscnt 0xb00
	v_mul_f64_e32 v[8:9], v[112:113], v[82:83]
	v_mul_f64_e32 v[82:83], v[114:115], v[82:83]
	v_add_f64_e32 v[4:5], 0, v[4:5]
	v_fmac_f64_e32 v[138:139], v[126:127], v[76:77]
	v_fma_f64 v[124:125], v[124:125], v[76:77], -v[78:79]
	v_add_f64_e32 v[126:127], 0, v[136:137]
	scratch_load_b128 v[76:79], off, off offset:368
	v_fmac_f64_e32 v[8:9], v[114:115], v[80:81]
	v_fma_f64 v[140:141], v[112:113], v[80:81], -v[82:83]
	ds_load_b128 v[80:83], v2 offset:720
	s_wait_loadcnt 0xb
	v_mul_f64_e32 v[136:137], v[132:133], v[86:87]
	v_mul_f64_e32 v[86:87], v[134:135], v[86:87]
	scratch_load_b128 v[112:115], off, off offset:384
	v_add_f64_e32 v[4:5], v[4:5], v[124:125]
	v_add_f64_e32 v[138:139], v[126:127], v[138:139]
	ds_load_b128 v[124:127], v2 offset:736
	s_wait_loadcnt_dscnt 0xb01
	v_mul_f64_e32 v[142:143], v[80:81], v[90:91]
	v_mul_f64_e32 v[90:91], v[82:83], v[90:91]
	v_fmac_f64_e32 v[136:137], v[134:135], v[84:85]
	v_fma_f64 v[132:133], v[132:133], v[84:85], -v[86:87]
	scratch_load_b128 v[84:87], off, off offset:400
	v_add_f64_e32 v[4:5], v[4:5], v[140:141]
	v_add_f64_e32 v[8:9], v[138:139], v[8:9]
	v_fmac_f64_e32 v[142:143], v[82:83], v[88:89]
	v_fma_f64 v[140:141], v[80:81], v[88:89], -v[90:91]
	ds_load_b128 v[80:83], v2 offset:752
	s_wait_loadcnt_dscnt 0xb01
	v_mul_f64_e32 v[138:139], v[124:125], v[94:95]
	v_mul_f64_e32 v[94:95], v[126:127], v[94:95]
	scratch_load_b128 v[88:91], off, off offset:416
	v_add_f64_e32 v[4:5], v[4:5], v[132:133]
	v_add_f64_e32 v[8:9], v[8:9], v[136:137]
	s_wait_loadcnt_dscnt 0xb00
	v_mul_f64_e32 v[136:137], v[80:81], v[98:99]
	v_mul_f64_e32 v[98:99], v[82:83], v[98:99]
	ds_load_b128 v[132:135], v2 offset:768
	v_fmac_f64_e32 v[138:139], v[126:127], v[92:93]
	v_fma_f64 v[124:125], v[124:125], v[92:93], -v[94:95]
	scratch_load_b128 v[92:95], off, off offset:432
	v_add_f64_e32 v[4:5], v[4:5], v[140:141]
	v_add_f64_e32 v[8:9], v[8:9], v[142:143]
	v_fmac_f64_e32 v[136:137], v[82:83], v[96:97]
	v_fma_f64 v[142:143], v[80:81], v[96:97], -v[98:99]
	ds_load_b128 v[80:83], v2 offset:784
	s_wait_loadcnt_dscnt 0xb01
	v_mul_f64_e32 v[140:141], v[132:133], v[102:103]
	v_mul_f64_e32 v[102:103], v[134:135], v[102:103]
	scratch_load_b128 v[96:99], off, off offset:448
	v_add_f64_e32 v[4:5], v[4:5], v[124:125]
	v_add_f64_e32 v[8:9], v[8:9], v[138:139]
	s_wait_loadcnt_dscnt 0xb00
	v_mul_f64_e32 v[138:139], v[80:81], v[106:107]
	v_mul_f64_e32 v[106:107], v[82:83], v[106:107]
	ds_load_b128 v[124:127], v2 offset:800
	;; [unrolled: 18-line block ×3, first 2 shown]
	v_fmac_f64_e32 v[136:137], v[126:127], v[108:109]
	v_fma_f64 v[108:109], v[124:125], v[108:109], -v[110:111]
	s_wait_loadcnt_dscnt 0x800
	v_mul_f64_e32 v[124:125], v[132:133], v[12:13]
	v_add_f64_e32 v[4:5], v[4:5], v[142:143]
	v_add_f64_e32 v[8:9], v[8:9], v[138:139]
	v_mul_f64_e32 v[12:13], v[134:135], v[12:13]
	v_fmac_f64_e32 v[140:141], v[82:83], v[116:117]
	v_fma_f64 v[116:117], v[80:81], v[116:117], -v[118:119]
	v_fmac_f64_e32 v[124:125], v[134:135], v[10:11]
	v_add_f64_e32 v[4:5], v[4:5], v[108:109]
	v_add_f64_e32 v[8:9], v[8:9], v[136:137]
	ds_load_b128 v[80:83], v2 offset:848
	ds_load_b128 v[108:111], v2 offset:864
	v_fma_f64 v[10:11], v[132:133], v[10:11], -v[12:13]
	s_wait_dscnt 0x1
	v_mul_f64_e32 v[118:119], v[80:81], v[130:131]
	v_mul_f64_e32 v[126:127], v[82:83], v[130:131]
	v_add_f64_e32 v[4:5], v[4:5], v[116:117]
	v_add_f64_e32 v[8:9], v[8:9], v[140:141]
	s_wait_loadcnt_dscnt 0x700
	v_mul_f64_e32 v[12:13], v[108:109], v[78:79]
	v_mul_f64_e32 v[116:117], v[110:111], v[78:79]
	v_fmac_f64_e32 v[118:119], v[82:83], v[128:129]
	v_fma_f64 v[82:83], v[80:81], v[128:129], -v[126:127]
	v_add_f64_e32 v[4:5], v[4:5], v[10:11]
	v_add_f64_e32 v[124:125], v[8:9], v[124:125]
	ds_load_b128 v[8:11], v2 offset:880
	ds_load_b128 v[78:81], v2 offset:896
	v_fmac_f64_e32 v[12:13], v[110:111], v[76:77]
	v_fma_f64 v[76:77], v[108:109], v[76:77], -v[116:117]
	s_wait_loadcnt_dscnt 0x601
	v_mul_f64_e32 v[126:127], v[8:9], v[114:115]
	v_mul_f64_e32 v[114:115], v[10:11], v[114:115]
	s_wait_loadcnt_dscnt 0x500
	v_mul_f64_e32 v[116:117], v[78:79], v[86:87]
	v_mul_f64_e32 v[86:87], v[80:81], v[86:87]
	v_add_f64_e32 v[4:5], v[4:5], v[82:83]
	v_add_f64_e32 v[82:83], v[124:125], v[118:119]
	v_fmac_f64_e32 v[126:127], v[10:11], v[112:113]
	v_fma_f64 v[112:113], v[8:9], v[112:113], -v[114:115]
	ds_load_b128 v[8:11], v2 offset:912
	ds_load_b128 v[108:111], v2 offset:928
	v_fmac_f64_e32 v[116:117], v[80:81], v[84:85]
	v_fma_f64 v[78:79], v[78:79], v[84:85], -v[86:87]
	v_add_f64_e32 v[4:5], v[4:5], v[76:77]
	v_add_f64_e32 v[12:13], v[82:83], v[12:13]
	s_wait_loadcnt_dscnt 0x401
	v_mul_f64_e32 v[82:83], v[8:9], v[90:91]
	v_mul_f64_e32 v[76:77], v[10:11], v[90:91]
	s_wait_loadcnt_dscnt 0x300
	v_mul_f64_e32 v[80:81], v[108:109], v[94:95]
	v_mul_f64_e32 v[84:85], v[110:111], v[94:95]
	v_add_f64_e32 v[4:5], v[4:5], v[112:113]
	v_add_f64_e32 v[12:13], v[12:13], v[126:127]
	v_fmac_f64_e32 v[82:83], v[10:11], v[88:89]
	v_fma_f64 v[86:87], v[8:9], v[88:89], -v[76:77]
	v_fmac_f64_e32 v[80:81], v[110:111], v[92:93]
	v_fma_f64 v[84:85], v[108:109], v[92:93], -v[84:85]
	v_add_f64_e32 v[4:5], v[4:5], v[78:79]
	v_add_f64_e32 v[12:13], v[12:13], v[116:117]
	ds_load_b128 v[8:11], v2 offset:944
	ds_load_b128 v[76:79], v2 offset:960
	s_wait_loadcnt_dscnt 0x201
	v_mul_f64_e32 v[88:89], v[8:9], v[98:99]
	v_mul_f64_e32 v[90:91], v[10:11], v[98:99]
	v_add_f64_e32 v[4:5], v[4:5], v[86:87]
	v_add_f64_e32 v[12:13], v[12:13], v[82:83]
	s_wait_loadcnt_dscnt 0x100
	v_mul_f64_e32 v[82:83], v[76:77], v[102:103]
	v_mul_f64_e32 v[86:87], v[78:79], v[102:103]
	v_fmac_f64_e32 v[88:89], v[10:11], v[96:97]
	v_fma_f64 v[90:91], v[8:9], v[96:97], -v[90:91]
	ds_load_b128 v[8:11], v2 offset:976
	v_add_f64_e32 v[4:5], v[4:5], v[84:85]
	v_add_f64_e32 v[12:13], v[12:13], v[80:81]
	v_fmac_f64_e32 v[82:83], v[78:79], v[100:101]
	v_fma_f64 v[76:77], v[76:77], v[100:101], -v[86:87]
	s_wait_loadcnt_dscnt 0x0
	v_mul_f64_e32 v[80:81], v[8:9], v[106:107]
	v_mul_f64_e32 v[84:85], v[10:11], v[106:107]
	v_add_f64_e32 v[4:5], v[4:5], v[90:91]
	v_add_f64_e32 v[12:13], v[12:13], v[88:89]
	s_delay_alu instid0(VALU_DEP_4) | instskip(NEXT) | instid1(VALU_DEP_4)
	v_fmac_f64_e32 v[80:81], v[10:11], v[104:105]
	v_fma_f64 v[8:9], v[8:9], v[104:105], -v[84:85]
	s_delay_alu instid0(VALU_DEP_4) | instskip(NEXT) | instid1(VALU_DEP_4)
	v_add_f64_e32 v[4:5], v[4:5], v[76:77]
	v_add_f64_e32 v[10:11], v[12:13], v[82:83]
	s_delay_alu instid0(VALU_DEP_2) | instskip(NEXT) | instid1(VALU_DEP_2)
	v_add_f64_e32 v[4:5], v[4:5], v[8:9]
	v_add_f64_e32 v[10:11], v[10:11], v[80:81]
	s_delay_alu instid0(VALU_DEP_2) | instskip(NEXT) | instid1(VALU_DEP_2)
	v_add_f64_e64 v[8:9], v[120:121], -v[4:5]
	v_add_f64_e64 v[10:11], v[122:123], -v[10:11]
	scratch_store_b128 off, v[8:11], off offset:144
	s_wait_xcnt 0x0
	v_cmpx_lt_u32_e32 8, v1
	s_cbranch_execz .LBB30_183
; %bb.182:
	scratch_load_b128 v[8:11], off, s29
	v_dual_mov_b32 v3, v2 :: v_dual_mov_b32 v4, v2
	v_mov_b32_e32 v5, v2
	scratch_store_b128 off, v[2:5], off offset:128
	s_wait_loadcnt 0x0
	ds_store_b128 v6, v[8:11]
.LBB30_183:
	s_wait_xcnt 0x0
	s_or_b32 exec_lo, exec_lo, s2
	s_wait_storecnt_dscnt 0x0
	s_barrier_signal -1
	s_barrier_wait -1
	s_clause 0x9
	scratch_load_b128 v[8:11], off, off offset:144
	scratch_load_b128 v[76:79], off, off offset:160
	;; [unrolled: 1-line block ×10, first 2 shown]
	ds_load_b128 v[112:115], v2 offset:640
	ds_load_b128 v[120:123], v2 offset:656
	s_clause 0x1
	scratch_load_b128 v[116:119], off, off offset:304
	scratch_load_b128 v[124:127], off, off offset:128
	s_mov_b32 s2, exec_lo
	s_wait_loadcnt_dscnt 0xb01
	v_mul_f64_e32 v[4:5], v[114:115], v[10:11]
	v_mul_f64_e32 v[136:137], v[112:113], v[10:11]
	scratch_load_b128 v[10:13], off, off offset:320
	s_wait_loadcnt_dscnt 0xb00
	v_mul_f64_e32 v[138:139], v[120:121], v[78:79]
	v_mul_f64_e32 v[78:79], v[122:123], v[78:79]
	v_fma_f64 v[4:5], v[112:113], v[8:9], -v[4:5]
	v_fmac_f64_e32 v[136:137], v[114:115], v[8:9]
	ds_load_b128 v[112:115], v2 offset:672
	ds_load_b128 v[128:131], v2 offset:688
	scratch_load_b128 v[132:135], off, off offset:336
	v_fmac_f64_e32 v[138:139], v[122:123], v[76:77]
	v_fma_f64 v[120:121], v[120:121], v[76:77], -v[78:79]
	scratch_load_b128 v[76:79], off, off offset:352
	s_wait_loadcnt_dscnt 0xc01
	v_mul_f64_e32 v[8:9], v[112:113], v[82:83]
	v_mul_f64_e32 v[82:83], v[114:115], v[82:83]
	v_add_f64_e32 v[4:5], 0, v[4:5]
	v_add_f64_e32 v[122:123], 0, v[136:137]
	s_wait_loadcnt_dscnt 0xb00
	v_mul_f64_e32 v[136:137], v[128:129], v[86:87]
	v_mul_f64_e32 v[86:87], v[130:131], v[86:87]
	v_fmac_f64_e32 v[8:9], v[114:115], v[80:81]
	v_fma_f64 v[140:141], v[112:113], v[80:81], -v[82:83]
	ds_load_b128 v[80:83], v2 offset:704
	ds_load_b128 v[112:115], v2 offset:720
	v_add_f64_e32 v[4:5], v[4:5], v[120:121]
	v_add_f64_e32 v[138:139], v[122:123], v[138:139]
	scratch_load_b128 v[120:123], off, off offset:368
	v_fmac_f64_e32 v[136:137], v[130:131], v[84:85]
	v_fma_f64 v[128:129], v[128:129], v[84:85], -v[86:87]
	scratch_load_b128 v[84:87], off, off offset:384
	s_wait_loadcnt_dscnt 0xc01
	v_mul_f64_e32 v[142:143], v[80:81], v[90:91]
	v_mul_f64_e32 v[90:91], v[82:83], v[90:91]
	v_add_f64_e32 v[4:5], v[4:5], v[140:141]
	v_add_f64_e32 v[8:9], v[138:139], v[8:9]
	s_wait_loadcnt_dscnt 0xb00
	v_mul_f64_e32 v[138:139], v[112:113], v[94:95]
	v_mul_f64_e32 v[94:95], v[114:115], v[94:95]
	v_fmac_f64_e32 v[142:143], v[82:83], v[88:89]
	v_fma_f64 v[140:141], v[80:81], v[88:89], -v[90:91]
	ds_load_b128 v[80:83], v2 offset:736
	ds_load_b128 v[88:91], v2 offset:752
	v_add_f64_e32 v[4:5], v[4:5], v[128:129]
	v_add_f64_e32 v[8:9], v[8:9], v[136:137]
	scratch_load_b128 v[128:131], off, off offset:400
	s_wait_loadcnt_dscnt 0xb01
	v_mul_f64_e32 v[136:137], v[80:81], v[98:99]
	v_mul_f64_e32 v[98:99], v[82:83], v[98:99]
	v_fmac_f64_e32 v[138:139], v[114:115], v[92:93]
	v_fma_f64 v[112:113], v[112:113], v[92:93], -v[94:95]
	scratch_load_b128 v[92:95], off, off offset:416
	v_add_f64_e32 v[4:5], v[4:5], v[140:141]
	v_add_f64_e32 v[8:9], v[8:9], v[142:143]
	s_wait_loadcnt_dscnt 0xb00
	v_mul_f64_e32 v[140:141], v[88:89], v[102:103]
	v_mul_f64_e32 v[102:103], v[90:91], v[102:103]
	v_fmac_f64_e32 v[136:137], v[82:83], v[96:97]
	v_fma_f64 v[142:143], v[80:81], v[96:97], -v[98:99]
	ds_load_b128 v[80:83], v2 offset:768
	ds_load_b128 v[96:99], v2 offset:784
	v_add_f64_e32 v[4:5], v[4:5], v[112:113]
	v_add_f64_e32 v[8:9], v[8:9], v[138:139]
	scratch_load_b128 v[112:115], off, off offset:432
	s_wait_loadcnt_dscnt 0xb01
	v_mul_f64_e32 v[138:139], v[80:81], v[106:107]
	v_mul_f64_e32 v[106:107], v[82:83], v[106:107]
	v_fmac_f64_e32 v[140:141], v[90:91], v[100:101]
	v_fma_f64 v[100:101], v[88:89], v[100:101], -v[102:103]
	scratch_load_b128 v[88:91], off, off offset:448
	v_add_f64_e32 v[4:5], v[4:5], v[142:143]
	v_add_f64_e32 v[8:9], v[8:9], v[136:137]
	s_wait_loadcnt_dscnt 0xb00
	v_mul_f64_e32 v[136:137], v[96:97], v[110:111]
	v_mul_f64_e32 v[110:111], v[98:99], v[110:111]
	v_fmac_f64_e32 v[138:139], v[82:83], v[104:105]
	v_fma_f64 v[142:143], v[80:81], v[104:105], -v[106:107]
	v_add_f64_e32 v[4:5], v[4:5], v[100:101]
	v_add_f64_e32 v[8:9], v[8:9], v[140:141]
	ds_load_b128 v[80:83], v2 offset:800
	ds_load_b128 v[100:103], v2 offset:816
	scratch_load_b128 v[104:107], off, off offset:464
	v_fmac_f64_e32 v[136:137], v[98:99], v[108:109]
	v_fma_f64 v[108:109], v[96:97], v[108:109], -v[110:111]
	scratch_load_b128 v[96:99], off, off offset:480
	s_wait_loadcnt_dscnt 0xc01
	v_mul_f64_e32 v[140:141], v[80:81], v[118:119]
	v_mul_f64_e32 v[118:119], v[82:83], v[118:119]
	v_add_f64_e32 v[4:5], v[4:5], v[142:143]
	v_add_f64_e32 v[8:9], v[8:9], v[138:139]
	s_wait_loadcnt_dscnt 0xa00
	v_mul_f64_e32 v[138:139], v[100:101], v[12:13]
	v_mul_f64_e32 v[12:13], v[102:103], v[12:13]
	v_fmac_f64_e32 v[140:141], v[82:83], v[116:117]
	v_fma_f64 v[116:117], v[80:81], v[116:117], -v[118:119]
	v_add_f64_e32 v[4:5], v[4:5], v[108:109]
	v_add_f64_e32 v[8:9], v[8:9], v[136:137]
	ds_load_b128 v[80:83], v2 offset:832
	ds_load_b128 v[108:111], v2 offset:848
	v_fmac_f64_e32 v[138:139], v[102:103], v[10:11]
	v_fma_f64 v[10:11], v[100:101], v[10:11], -v[12:13]
	s_wait_loadcnt_dscnt 0x901
	v_mul_f64_e32 v[118:119], v[80:81], v[134:135]
	v_mul_f64_e32 v[134:135], v[82:83], v[134:135]
	s_wait_loadcnt_dscnt 0x800
	v_mul_f64_e32 v[12:13], v[108:109], v[78:79]
	v_mul_f64_e32 v[100:101], v[110:111], v[78:79]
	v_add_f64_e32 v[4:5], v[4:5], v[116:117]
	v_add_f64_e32 v[8:9], v[8:9], v[140:141]
	v_fmac_f64_e32 v[118:119], v[82:83], v[132:133]
	v_fma_f64 v[82:83], v[80:81], v[132:133], -v[134:135]
	v_fmac_f64_e32 v[12:13], v[110:111], v[76:77]
	v_fma_f64 v[76:77], v[108:109], v[76:77], -v[100:101]
	v_add_f64_e32 v[4:5], v[4:5], v[10:11]
	v_add_f64_e32 v[102:103], v[8:9], v[138:139]
	ds_load_b128 v[8:11], v2 offset:864
	ds_load_b128 v[78:81], v2 offset:880
	s_wait_loadcnt_dscnt 0x701
	v_mul_f64_e32 v[116:117], v[8:9], v[122:123]
	v_mul_f64_e32 v[122:123], v[10:11], v[122:123]
	s_wait_loadcnt_dscnt 0x600
	v_mul_f64_e32 v[108:109], v[78:79], v[86:87]
	v_mul_f64_e32 v[86:87], v[80:81], v[86:87]
	v_add_f64_e32 v[4:5], v[4:5], v[82:83]
	v_add_f64_e32 v[82:83], v[102:103], v[118:119]
	v_fmac_f64_e32 v[116:117], v[10:11], v[120:121]
	v_fma_f64 v[110:111], v[8:9], v[120:121], -v[122:123]
	ds_load_b128 v[8:11], v2 offset:896
	ds_load_b128 v[100:103], v2 offset:912
	v_fmac_f64_e32 v[108:109], v[80:81], v[84:85]
	v_fma_f64 v[78:79], v[78:79], v[84:85], -v[86:87]
	v_add_f64_e32 v[4:5], v[4:5], v[76:77]
	v_add_f64_e32 v[12:13], v[82:83], v[12:13]
	s_wait_loadcnt_dscnt 0x501
	v_mul_f64_e32 v[82:83], v[8:9], v[130:131]
	v_mul_f64_e32 v[76:77], v[10:11], v[130:131]
	s_wait_loadcnt_dscnt 0x400
	v_mul_f64_e32 v[80:81], v[100:101], v[94:95]
	v_mul_f64_e32 v[84:85], v[102:103], v[94:95]
	v_add_f64_e32 v[4:5], v[4:5], v[110:111]
	v_add_f64_e32 v[12:13], v[12:13], v[116:117]
	v_fmac_f64_e32 v[82:83], v[10:11], v[128:129]
	v_fma_f64 v[86:87], v[8:9], v[128:129], -v[76:77]
	v_fmac_f64_e32 v[80:81], v[102:103], v[92:93]
	v_fma_f64 v[84:85], v[100:101], v[92:93], -v[84:85]
	v_add_f64_e32 v[4:5], v[4:5], v[78:79]
	v_add_f64_e32 v[12:13], v[12:13], v[108:109]
	ds_load_b128 v[8:11], v2 offset:928
	ds_load_b128 v[76:79], v2 offset:944
	s_wait_loadcnt_dscnt 0x301
	v_mul_f64_e32 v[94:95], v[8:9], v[114:115]
	v_mul_f64_e32 v[108:109], v[10:11], v[114:115]
	v_add_f64_e32 v[4:5], v[4:5], v[86:87]
	v_add_f64_e32 v[12:13], v[12:13], v[82:83]
	s_wait_loadcnt_dscnt 0x200
	v_mul_f64_e32 v[82:83], v[76:77], v[90:91]
	v_mul_f64_e32 v[86:87], v[78:79], v[90:91]
	v_fmac_f64_e32 v[94:95], v[10:11], v[112:113]
	v_fma_f64 v[90:91], v[8:9], v[112:113], -v[108:109]
	v_add_f64_e32 v[84:85], v[4:5], v[84:85]
	v_add_f64_e32 v[12:13], v[12:13], v[80:81]
	ds_load_b128 v[8:11], v2 offset:960
	ds_load_b128 v[2:5], v2 offset:976
	v_fmac_f64_e32 v[82:83], v[78:79], v[88:89]
	v_fma_f64 v[76:77], v[76:77], v[88:89], -v[86:87]
	s_wait_loadcnt_dscnt 0x101
	v_mul_f64_e32 v[80:81], v[8:9], v[106:107]
	v_mul_f64_e32 v[92:93], v[10:11], v[106:107]
	s_wait_loadcnt_dscnt 0x0
	v_mul_f64_e32 v[86:87], v[4:5], v[98:99]
	v_add_f64_e32 v[78:79], v[84:85], v[90:91]
	v_add_f64_e32 v[12:13], v[12:13], v[94:95]
	v_mul_f64_e32 v[84:85], v[2:3], v[98:99]
	v_fmac_f64_e32 v[80:81], v[10:11], v[104:105]
	v_fma_f64 v[8:9], v[8:9], v[104:105], -v[92:93]
	v_fma_f64 v[2:3], v[2:3], v[96:97], -v[86:87]
	v_add_f64_e32 v[10:11], v[78:79], v[76:77]
	v_add_f64_e32 v[12:13], v[12:13], v[82:83]
	v_fmac_f64_e32 v[84:85], v[4:5], v[96:97]
	s_delay_alu instid0(VALU_DEP_3) | instskip(NEXT) | instid1(VALU_DEP_3)
	v_add_f64_e32 v[4:5], v[10:11], v[8:9]
	v_add_f64_e32 v[8:9], v[12:13], v[80:81]
	s_delay_alu instid0(VALU_DEP_2) | instskip(NEXT) | instid1(VALU_DEP_2)
	v_add_f64_e32 v[2:3], v[4:5], v[2:3]
	v_add_f64_e32 v[4:5], v[8:9], v[84:85]
	s_delay_alu instid0(VALU_DEP_2) | instskip(NEXT) | instid1(VALU_DEP_2)
	v_add_f64_e64 v[2:3], v[124:125], -v[2:3]
	v_add_f64_e64 v[4:5], v[126:127], -v[4:5]
	scratch_store_b128 off, v[2:5], off offset:128
	s_wait_xcnt 0x0
	v_cmpx_lt_u32_e32 7, v1
	s_cbranch_execz .LBB30_185
; %bb.184:
	scratch_load_b128 v[2:5], off, s39
	v_mov_b32_e32 v8, 0
	s_delay_alu instid0(VALU_DEP_1)
	v_dual_mov_b32 v9, v8 :: v_dual_mov_b32 v10, v8
	v_mov_b32_e32 v11, v8
	scratch_store_b128 off, v[8:11], off offset:112
	s_wait_loadcnt 0x0
	ds_store_b128 v6, v[2:5]
.LBB30_185:
	s_wait_xcnt 0x0
	s_or_b32 exec_lo, exec_lo, s2
	s_wait_storecnt_dscnt 0x0
	s_barrier_signal -1
	s_barrier_wait -1
	s_clause 0x9
	scratch_load_b128 v[8:11], off, off offset:128
	scratch_load_b128 v[76:79], off, off offset:144
	;; [unrolled: 1-line block ×10, first 2 shown]
	v_mov_b32_e32 v2, 0
	s_mov_b32 s2, exec_lo
	ds_load_b128 v[112:115], v2 offset:624
	s_clause 0x2
	scratch_load_b128 v[116:119], off, off offset:288
	scratch_load_b128 v[120:123], off, off offset:112
	;; [unrolled: 1-line block ×3, first 2 shown]
	s_wait_loadcnt_dscnt 0xc00
	v_mul_f64_e32 v[4:5], v[114:115], v[10:11]
	v_mul_f64_e32 v[136:137], v[112:113], v[10:11]
	ds_load_b128 v[124:127], v2 offset:640
	scratch_load_b128 v[10:13], off, off offset:304
	ds_load_b128 v[132:135], v2 offset:672
	v_fma_f64 v[4:5], v[112:113], v[8:9], -v[4:5]
	v_fmac_f64_e32 v[136:137], v[114:115], v[8:9]
	ds_load_b128 v[112:115], v2 offset:656
	s_wait_loadcnt_dscnt 0xc02
	v_mul_f64_e32 v[138:139], v[124:125], v[78:79]
	v_mul_f64_e32 v[78:79], v[126:127], v[78:79]
	s_wait_loadcnt_dscnt 0xb00
	v_mul_f64_e32 v[8:9], v[112:113], v[82:83]
	v_mul_f64_e32 v[82:83], v[114:115], v[82:83]
	v_add_f64_e32 v[4:5], 0, v[4:5]
	v_fmac_f64_e32 v[138:139], v[126:127], v[76:77]
	v_fma_f64 v[124:125], v[124:125], v[76:77], -v[78:79]
	v_add_f64_e32 v[126:127], 0, v[136:137]
	scratch_load_b128 v[76:79], off, off offset:336
	v_fmac_f64_e32 v[8:9], v[114:115], v[80:81]
	v_fma_f64 v[140:141], v[112:113], v[80:81], -v[82:83]
	ds_load_b128 v[80:83], v2 offset:688
	s_wait_loadcnt 0xb
	v_mul_f64_e32 v[136:137], v[132:133], v[86:87]
	v_mul_f64_e32 v[86:87], v[134:135], v[86:87]
	scratch_load_b128 v[112:115], off, off offset:352
	v_add_f64_e32 v[4:5], v[4:5], v[124:125]
	v_add_f64_e32 v[138:139], v[126:127], v[138:139]
	ds_load_b128 v[124:127], v2 offset:704
	s_wait_loadcnt_dscnt 0xb01
	v_mul_f64_e32 v[142:143], v[80:81], v[90:91]
	v_mul_f64_e32 v[90:91], v[82:83], v[90:91]
	v_fmac_f64_e32 v[136:137], v[134:135], v[84:85]
	v_fma_f64 v[132:133], v[132:133], v[84:85], -v[86:87]
	scratch_load_b128 v[84:87], off, off offset:368
	v_add_f64_e32 v[4:5], v[4:5], v[140:141]
	v_add_f64_e32 v[8:9], v[138:139], v[8:9]
	v_fmac_f64_e32 v[142:143], v[82:83], v[88:89]
	v_fma_f64 v[140:141], v[80:81], v[88:89], -v[90:91]
	ds_load_b128 v[80:83], v2 offset:720
	s_wait_loadcnt_dscnt 0xb01
	v_mul_f64_e32 v[138:139], v[124:125], v[94:95]
	v_mul_f64_e32 v[94:95], v[126:127], v[94:95]
	scratch_load_b128 v[88:91], off, off offset:384
	v_add_f64_e32 v[4:5], v[4:5], v[132:133]
	v_add_f64_e32 v[8:9], v[8:9], v[136:137]
	s_wait_loadcnt_dscnt 0xb00
	v_mul_f64_e32 v[136:137], v[80:81], v[98:99]
	v_mul_f64_e32 v[98:99], v[82:83], v[98:99]
	ds_load_b128 v[132:135], v2 offset:736
	v_fmac_f64_e32 v[138:139], v[126:127], v[92:93]
	v_fma_f64 v[124:125], v[124:125], v[92:93], -v[94:95]
	scratch_load_b128 v[92:95], off, off offset:400
	v_add_f64_e32 v[4:5], v[4:5], v[140:141]
	v_add_f64_e32 v[8:9], v[8:9], v[142:143]
	v_fmac_f64_e32 v[136:137], v[82:83], v[96:97]
	v_fma_f64 v[142:143], v[80:81], v[96:97], -v[98:99]
	ds_load_b128 v[80:83], v2 offset:752
	s_wait_loadcnt_dscnt 0xb01
	v_mul_f64_e32 v[140:141], v[132:133], v[102:103]
	v_mul_f64_e32 v[102:103], v[134:135], v[102:103]
	scratch_load_b128 v[96:99], off, off offset:416
	v_add_f64_e32 v[4:5], v[4:5], v[124:125]
	v_add_f64_e32 v[8:9], v[8:9], v[138:139]
	s_wait_loadcnt_dscnt 0xb00
	v_mul_f64_e32 v[138:139], v[80:81], v[106:107]
	v_mul_f64_e32 v[106:107], v[82:83], v[106:107]
	ds_load_b128 v[124:127], v2 offset:768
	;; [unrolled: 18-line block ×3, first 2 shown]
	v_fmac_f64_e32 v[136:137], v[126:127], v[108:109]
	v_fma_f64 v[124:125], v[124:125], v[108:109], -v[110:111]
	scratch_load_b128 v[108:111], off, off offset:464
	v_add_f64_e32 v[4:5], v[4:5], v[142:143]
	v_add_f64_e32 v[8:9], v[8:9], v[138:139]
	v_fmac_f64_e32 v[140:141], v[82:83], v[116:117]
	v_fma_f64 v[142:143], v[80:81], v[116:117], -v[118:119]
	ds_load_b128 v[80:83], v2 offset:816
	s_wait_loadcnt_dscnt 0x901
	v_mul_f64_e32 v[138:139], v[132:133], v[12:13]
	v_mul_f64_e32 v[12:13], v[134:135], v[12:13]
	scratch_load_b128 v[116:119], off, off offset:480
	v_add_f64_e32 v[4:5], v[4:5], v[124:125]
	v_add_f64_e32 v[8:9], v[8:9], v[136:137]
	s_wait_dscnt 0x0
	v_mul_f64_e32 v[136:137], v[80:81], v[130:131]
	v_mul_f64_e32 v[130:131], v[82:83], v[130:131]
	ds_load_b128 v[124:127], v2 offset:832
	v_fmac_f64_e32 v[138:139], v[134:135], v[10:11]
	v_fma_f64 v[10:11], v[132:133], v[10:11], -v[12:13]
	v_add_f64_e32 v[4:5], v[4:5], v[142:143]
	v_add_f64_e32 v[8:9], v[8:9], v[140:141]
	s_wait_loadcnt_dscnt 0x900
	v_mul_f64_e32 v[12:13], v[124:125], v[78:79]
	v_mul_f64_e32 v[132:133], v[126:127], v[78:79]
	v_fmac_f64_e32 v[136:137], v[82:83], v[128:129]
	v_fma_f64 v[82:83], v[80:81], v[128:129], -v[130:131]
	v_add_f64_e32 v[4:5], v[4:5], v[10:11]
	v_add_f64_e32 v[128:129], v[8:9], v[138:139]
	ds_load_b128 v[8:11], v2 offset:848
	ds_load_b128 v[78:81], v2 offset:864
	v_fmac_f64_e32 v[12:13], v[126:127], v[76:77]
	v_fma_f64 v[76:77], v[124:125], v[76:77], -v[132:133]
	s_wait_loadcnt_dscnt 0x801
	v_mul_f64_e32 v[130:131], v[8:9], v[114:115]
	v_mul_f64_e32 v[114:115], v[10:11], v[114:115]
	s_wait_loadcnt_dscnt 0x700
	v_mul_f64_e32 v[124:125], v[78:79], v[86:87]
	v_mul_f64_e32 v[86:87], v[80:81], v[86:87]
	v_add_f64_e32 v[4:5], v[4:5], v[82:83]
	v_add_f64_e32 v[82:83], v[128:129], v[136:137]
	v_fmac_f64_e32 v[130:131], v[10:11], v[112:113]
	v_fma_f64 v[126:127], v[8:9], v[112:113], -v[114:115]
	ds_load_b128 v[8:11], v2 offset:880
	ds_load_b128 v[112:115], v2 offset:896
	v_fmac_f64_e32 v[124:125], v[80:81], v[84:85]
	v_fma_f64 v[78:79], v[78:79], v[84:85], -v[86:87]
	v_add_f64_e32 v[4:5], v[4:5], v[76:77]
	v_add_f64_e32 v[12:13], v[82:83], v[12:13]
	s_wait_loadcnt_dscnt 0x601
	v_mul_f64_e32 v[82:83], v[8:9], v[90:91]
	v_mul_f64_e32 v[76:77], v[10:11], v[90:91]
	s_wait_loadcnt_dscnt 0x500
	v_mul_f64_e32 v[80:81], v[112:113], v[94:95]
	v_mul_f64_e32 v[84:85], v[114:115], v[94:95]
	v_add_f64_e32 v[4:5], v[4:5], v[126:127]
	v_add_f64_e32 v[12:13], v[12:13], v[130:131]
	v_fmac_f64_e32 v[82:83], v[10:11], v[88:89]
	v_fma_f64 v[86:87], v[8:9], v[88:89], -v[76:77]
	v_fmac_f64_e32 v[80:81], v[114:115], v[92:93]
	v_fma_f64 v[84:85], v[112:113], v[92:93], -v[84:85]
	v_add_f64_e32 v[4:5], v[4:5], v[78:79]
	v_add_f64_e32 v[12:13], v[12:13], v[124:125]
	ds_load_b128 v[8:11], v2 offset:912
	ds_load_b128 v[76:79], v2 offset:928
	s_wait_loadcnt_dscnt 0x401
	v_mul_f64_e32 v[88:89], v[8:9], v[98:99]
	v_mul_f64_e32 v[90:91], v[10:11], v[98:99]
	s_wait_loadcnt_dscnt 0x300
	v_mul_f64_e32 v[92:93], v[78:79], v[102:103]
	v_add_f64_e32 v[4:5], v[4:5], v[86:87]
	v_add_f64_e32 v[12:13], v[12:13], v[82:83]
	v_mul_f64_e32 v[86:87], v[76:77], v[102:103]
	v_fmac_f64_e32 v[88:89], v[10:11], v[96:97]
	v_fma_f64 v[90:91], v[8:9], v[96:97], -v[90:91]
	v_fma_f64 v[76:77], v[76:77], v[100:101], -v[92:93]
	v_add_f64_e32 v[4:5], v[4:5], v[84:85]
	v_add_f64_e32 v[12:13], v[12:13], v[80:81]
	ds_load_b128 v[8:11], v2 offset:944
	ds_load_b128 v[80:83], v2 offset:960
	v_fmac_f64_e32 v[86:87], v[78:79], v[100:101]
	s_wait_loadcnt_dscnt 0x201
	v_mul_f64_e32 v[84:85], v[8:9], v[106:107]
	v_mul_f64_e32 v[94:95], v[10:11], v[106:107]
	s_wait_loadcnt_dscnt 0x100
	v_mul_f64_e32 v[78:79], v[80:81], v[110:111]
	v_add_f64_e32 v[4:5], v[4:5], v[90:91]
	v_add_f64_e32 v[12:13], v[12:13], v[88:89]
	v_mul_f64_e32 v[88:89], v[82:83], v[110:111]
	v_fmac_f64_e32 v[84:85], v[10:11], v[104:105]
	v_fma_f64 v[90:91], v[8:9], v[104:105], -v[94:95]
	ds_load_b128 v[8:11], v2 offset:976
	v_fmac_f64_e32 v[78:79], v[82:83], v[108:109]
	v_add_f64_e32 v[4:5], v[4:5], v[76:77]
	v_add_f64_e32 v[12:13], v[12:13], v[86:87]
	v_fma_f64 v[80:81], v[80:81], v[108:109], -v[88:89]
	s_wait_loadcnt_dscnt 0x0
	v_mul_f64_e32 v[76:77], v[8:9], v[118:119]
	v_mul_f64_e32 v[86:87], v[10:11], v[118:119]
	v_add_f64_e32 v[4:5], v[4:5], v[90:91]
	v_add_f64_e32 v[12:13], v[12:13], v[84:85]
	s_delay_alu instid0(VALU_DEP_4) | instskip(NEXT) | instid1(VALU_DEP_4)
	v_fmac_f64_e32 v[76:77], v[10:11], v[116:117]
	v_fma_f64 v[8:9], v[8:9], v[116:117], -v[86:87]
	s_delay_alu instid0(VALU_DEP_4) | instskip(NEXT) | instid1(VALU_DEP_4)
	v_add_f64_e32 v[4:5], v[4:5], v[80:81]
	v_add_f64_e32 v[10:11], v[12:13], v[78:79]
	s_delay_alu instid0(VALU_DEP_2) | instskip(NEXT) | instid1(VALU_DEP_2)
	v_add_f64_e32 v[4:5], v[4:5], v[8:9]
	v_add_f64_e32 v[10:11], v[10:11], v[76:77]
	s_delay_alu instid0(VALU_DEP_2) | instskip(NEXT) | instid1(VALU_DEP_2)
	v_add_f64_e64 v[8:9], v[120:121], -v[4:5]
	v_add_f64_e64 v[10:11], v[122:123], -v[10:11]
	scratch_store_b128 off, v[8:11], off offset:112
	s_wait_xcnt 0x0
	v_cmpx_lt_u32_e32 6, v1
	s_cbranch_execz .LBB30_187
; %bb.186:
	scratch_load_b128 v[8:11], off, s36
	v_dual_mov_b32 v3, v2 :: v_dual_mov_b32 v4, v2
	v_mov_b32_e32 v5, v2
	scratch_store_b128 off, v[2:5], off offset:96
	s_wait_loadcnt 0x0
	ds_store_b128 v6, v[8:11]
.LBB30_187:
	s_wait_xcnt 0x0
	s_or_b32 exec_lo, exec_lo, s2
	s_wait_storecnt_dscnt 0x0
	s_barrier_signal -1
	s_barrier_wait -1
	s_clause 0x9
	scratch_load_b128 v[8:11], off, off offset:112
	scratch_load_b128 v[76:79], off, off offset:128
	;; [unrolled: 1-line block ×10, first 2 shown]
	ds_load_b128 v[112:115], v2 offset:608
	ds_load_b128 v[120:123], v2 offset:624
	s_clause 0x1
	scratch_load_b128 v[116:119], off, off offset:272
	scratch_load_b128 v[124:127], off, off offset:96
	s_mov_b32 s2, exec_lo
	s_wait_loadcnt_dscnt 0xb01
	v_mul_f64_e32 v[4:5], v[114:115], v[10:11]
	v_mul_f64_e32 v[136:137], v[112:113], v[10:11]
	scratch_load_b128 v[10:13], off, off offset:288
	s_wait_loadcnt_dscnt 0xb00
	v_mul_f64_e32 v[138:139], v[120:121], v[78:79]
	v_mul_f64_e32 v[78:79], v[122:123], v[78:79]
	v_fma_f64 v[4:5], v[112:113], v[8:9], -v[4:5]
	v_fmac_f64_e32 v[136:137], v[114:115], v[8:9]
	ds_load_b128 v[112:115], v2 offset:640
	ds_load_b128 v[128:131], v2 offset:656
	scratch_load_b128 v[132:135], off, off offset:304
	v_fmac_f64_e32 v[138:139], v[122:123], v[76:77]
	v_fma_f64 v[120:121], v[120:121], v[76:77], -v[78:79]
	scratch_load_b128 v[76:79], off, off offset:320
	s_wait_loadcnt_dscnt 0xc01
	v_mul_f64_e32 v[8:9], v[112:113], v[82:83]
	v_mul_f64_e32 v[82:83], v[114:115], v[82:83]
	v_add_f64_e32 v[4:5], 0, v[4:5]
	v_add_f64_e32 v[122:123], 0, v[136:137]
	s_wait_loadcnt_dscnt 0xb00
	v_mul_f64_e32 v[136:137], v[128:129], v[86:87]
	v_mul_f64_e32 v[86:87], v[130:131], v[86:87]
	v_fmac_f64_e32 v[8:9], v[114:115], v[80:81]
	v_fma_f64 v[140:141], v[112:113], v[80:81], -v[82:83]
	ds_load_b128 v[80:83], v2 offset:672
	ds_load_b128 v[112:115], v2 offset:688
	v_add_f64_e32 v[4:5], v[4:5], v[120:121]
	v_add_f64_e32 v[138:139], v[122:123], v[138:139]
	scratch_load_b128 v[120:123], off, off offset:336
	v_fmac_f64_e32 v[136:137], v[130:131], v[84:85]
	v_fma_f64 v[128:129], v[128:129], v[84:85], -v[86:87]
	scratch_load_b128 v[84:87], off, off offset:352
	s_wait_loadcnt_dscnt 0xc01
	v_mul_f64_e32 v[142:143], v[80:81], v[90:91]
	v_mul_f64_e32 v[90:91], v[82:83], v[90:91]
	v_add_f64_e32 v[4:5], v[4:5], v[140:141]
	v_add_f64_e32 v[8:9], v[138:139], v[8:9]
	s_wait_loadcnt_dscnt 0xb00
	v_mul_f64_e32 v[138:139], v[112:113], v[94:95]
	v_mul_f64_e32 v[94:95], v[114:115], v[94:95]
	v_fmac_f64_e32 v[142:143], v[82:83], v[88:89]
	v_fma_f64 v[140:141], v[80:81], v[88:89], -v[90:91]
	ds_load_b128 v[80:83], v2 offset:704
	ds_load_b128 v[88:91], v2 offset:720
	v_add_f64_e32 v[4:5], v[4:5], v[128:129]
	v_add_f64_e32 v[8:9], v[8:9], v[136:137]
	scratch_load_b128 v[128:131], off, off offset:368
	s_wait_loadcnt_dscnt 0xb01
	v_mul_f64_e32 v[136:137], v[80:81], v[98:99]
	v_mul_f64_e32 v[98:99], v[82:83], v[98:99]
	v_fmac_f64_e32 v[138:139], v[114:115], v[92:93]
	v_fma_f64 v[112:113], v[112:113], v[92:93], -v[94:95]
	scratch_load_b128 v[92:95], off, off offset:384
	v_add_f64_e32 v[4:5], v[4:5], v[140:141]
	v_add_f64_e32 v[8:9], v[8:9], v[142:143]
	s_wait_loadcnt_dscnt 0xb00
	v_mul_f64_e32 v[140:141], v[88:89], v[102:103]
	v_mul_f64_e32 v[102:103], v[90:91], v[102:103]
	v_fmac_f64_e32 v[136:137], v[82:83], v[96:97]
	v_fma_f64 v[142:143], v[80:81], v[96:97], -v[98:99]
	ds_load_b128 v[80:83], v2 offset:736
	ds_load_b128 v[96:99], v2 offset:752
	v_add_f64_e32 v[4:5], v[4:5], v[112:113]
	v_add_f64_e32 v[8:9], v[8:9], v[138:139]
	scratch_load_b128 v[112:115], off, off offset:400
	s_wait_loadcnt_dscnt 0xb01
	v_mul_f64_e32 v[138:139], v[80:81], v[106:107]
	v_mul_f64_e32 v[106:107], v[82:83], v[106:107]
	v_fmac_f64_e32 v[140:141], v[90:91], v[100:101]
	v_fma_f64 v[100:101], v[88:89], v[100:101], -v[102:103]
	scratch_load_b128 v[88:91], off, off offset:416
	v_add_f64_e32 v[4:5], v[4:5], v[142:143]
	v_add_f64_e32 v[8:9], v[8:9], v[136:137]
	s_wait_loadcnt_dscnt 0xb00
	v_mul_f64_e32 v[136:137], v[96:97], v[110:111]
	v_mul_f64_e32 v[110:111], v[98:99], v[110:111]
	v_fmac_f64_e32 v[138:139], v[82:83], v[104:105]
	v_fma_f64 v[142:143], v[80:81], v[104:105], -v[106:107]
	v_add_f64_e32 v[4:5], v[4:5], v[100:101]
	v_add_f64_e32 v[8:9], v[8:9], v[140:141]
	ds_load_b128 v[80:83], v2 offset:768
	ds_load_b128 v[100:103], v2 offset:784
	scratch_load_b128 v[104:107], off, off offset:432
	v_fmac_f64_e32 v[136:137], v[98:99], v[108:109]
	v_fma_f64 v[108:109], v[96:97], v[108:109], -v[110:111]
	scratch_load_b128 v[96:99], off, off offset:448
	s_wait_loadcnt_dscnt 0xc01
	v_mul_f64_e32 v[140:141], v[80:81], v[118:119]
	v_mul_f64_e32 v[118:119], v[82:83], v[118:119]
	v_add_f64_e32 v[4:5], v[4:5], v[142:143]
	v_add_f64_e32 v[8:9], v[8:9], v[138:139]
	s_wait_loadcnt_dscnt 0xa00
	v_mul_f64_e32 v[138:139], v[100:101], v[12:13]
	v_mul_f64_e32 v[12:13], v[102:103], v[12:13]
	v_fmac_f64_e32 v[140:141], v[82:83], v[116:117]
	v_fma_f64 v[142:143], v[80:81], v[116:117], -v[118:119]
	v_add_f64_e32 v[4:5], v[4:5], v[108:109]
	v_add_f64_e32 v[8:9], v[8:9], v[136:137]
	ds_load_b128 v[80:83], v2 offset:800
	ds_load_b128 v[108:111], v2 offset:816
	scratch_load_b128 v[116:119], off, off offset:464
	v_fmac_f64_e32 v[138:139], v[102:103], v[10:11]
	v_fma_f64 v[12:13], v[100:101], v[10:11], -v[12:13]
	s_wait_loadcnt_dscnt 0xa01
	v_mul_f64_e32 v[136:137], v[80:81], v[134:135]
	v_mul_f64_e32 v[134:135], v[82:83], v[134:135]
	v_add_f64_e32 v[4:5], v[4:5], v[142:143]
	v_add_f64_e32 v[100:101], v[8:9], v[140:141]
	scratch_load_b128 v[8:11], off, off offset:480
	s_wait_loadcnt_dscnt 0xa00
	v_mul_f64_e32 v[140:141], v[108:109], v[78:79]
	v_mul_f64_e32 v[142:143], v[110:111], v[78:79]
	v_fmac_f64_e32 v[136:137], v[82:83], v[132:133]
	v_fma_f64 v[82:83], v[80:81], v[132:133], -v[134:135]
	v_add_f64_e32 v[4:5], v[4:5], v[12:13]
	v_add_f64_e32 v[12:13], v[100:101], v[138:139]
	ds_load_b128 v[78:81], v2 offset:832
	ds_load_b128 v[100:103], v2 offset:848
	v_fmac_f64_e32 v[140:141], v[110:111], v[76:77]
	v_fma_f64 v[76:77], v[108:109], v[76:77], -v[142:143]
	s_wait_loadcnt_dscnt 0x901
	v_mul_f64_e32 v[132:133], v[78:79], v[122:123]
	v_mul_f64_e32 v[122:123], v[80:81], v[122:123]
	s_wait_loadcnt_dscnt 0x800
	v_mul_f64_e32 v[108:109], v[100:101], v[86:87]
	v_mul_f64_e32 v[86:87], v[102:103], v[86:87]
	v_add_f64_e32 v[4:5], v[4:5], v[82:83]
	v_add_f64_e32 v[12:13], v[12:13], v[136:137]
	v_fmac_f64_e32 v[132:133], v[80:81], v[120:121]
	v_fma_f64 v[110:111], v[78:79], v[120:121], -v[122:123]
	v_fmac_f64_e32 v[108:109], v[102:103], v[84:85]
	v_fma_f64 v[84:85], v[100:101], v[84:85], -v[86:87]
	v_add_f64_e32 v[4:5], v[4:5], v[76:77]
	v_add_f64_e32 v[12:13], v[12:13], v[140:141]
	ds_load_b128 v[76:79], v2 offset:864
	ds_load_b128 v[80:83], v2 offset:880
	s_wait_loadcnt_dscnt 0x701
	v_mul_f64_e32 v[120:121], v[76:77], v[130:131]
	v_mul_f64_e32 v[122:123], v[78:79], v[130:131]
	s_wait_loadcnt_dscnt 0x600
	v_mul_f64_e32 v[100:101], v[80:81], v[94:95]
	v_mul_f64_e32 v[94:95], v[82:83], v[94:95]
	v_add_f64_e32 v[4:5], v[4:5], v[110:111]
	v_add_f64_e32 v[12:13], v[12:13], v[132:133]
	v_fmac_f64_e32 v[120:121], v[78:79], v[128:129]
	v_fma_f64 v[102:103], v[76:77], v[128:129], -v[122:123]
	v_fmac_f64_e32 v[100:101], v[82:83], v[92:93]
	v_fma_f64 v[80:81], v[80:81], v[92:93], -v[94:95]
	v_add_f64_e32 v[4:5], v[4:5], v[84:85]
	v_add_f64_e32 v[12:13], v[12:13], v[108:109]
	ds_load_b128 v[76:79], v2 offset:896
	ds_load_b128 v[84:87], v2 offset:912
	;; [unrolled: 16-line block ×4, first 2 shown]
	s_wait_loadcnt_dscnt 0x101
	v_mul_f64_e32 v[92:93], v[76:77], v[118:119]
	v_mul_f64_e32 v[94:95], v[78:79], v[118:119]
	v_add_f64_e32 v[82:83], v[84:85], v[90:91]
	v_add_f64_e32 v[12:13], v[12:13], v[100:101]
	s_wait_loadcnt_dscnt 0x0
	v_mul_f64_e32 v[84:85], v[2:3], v[10:11]
	v_mul_f64_e32 v[10:11], v[4:5], v[10:11]
	v_fmac_f64_e32 v[92:93], v[78:79], v[116:117]
	v_fma_f64 v[76:77], v[76:77], v[116:117], -v[94:95]
	v_add_f64_e32 v[78:79], v[82:83], v[80:81]
	v_add_f64_e32 v[12:13], v[12:13], v[86:87]
	v_fmac_f64_e32 v[84:85], v[4:5], v[8:9]
	v_fma_f64 v[2:3], v[2:3], v[8:9], -v[10:11]
	s_delay_alu instid0(VALU_DEP_4) | instskip(NEXT) | instid1(VALU_DEP_4)
	v_add_f64_e32 v[4:5], v[78:79], v[76:77]
	v_add_f64_e32 v[8:9], v[12:13], v[92:93]
	s_delay_alu instid0(VALU_DEP_2) | instskip(NEXT) | instid1(VALU_DEP_2)
	v_add_f64_e32 v[2:3], v[4:5], v[2:3]
	v_add_f64_e32 v[4:5], v[8:9], v[84:85]
	s_delay_alu instid0(VALU_DEP_2) | instskip(NEXT) | instid1(VALU_DEP_2)
	v_add_f64_e64 v[2:3], v[124:125], -v[2:3]
	v_add_f64_e64 v[4:5], v[126:127], -v[4:5]
	scratch_store_b128 off, v[2:5], off offset:96
	s_wait_xcnt 0x0
	v_cmpx_lt_u32_e32 5, v1
	s_cbranch_execz .LBB30_189
; %bb.188:
	scratch_load_b128 v[2:5], off, s34
	v_mov_b32_e32 v8, 0
	s_delay_alu instid0(VALU_DEP_1)
	v_dual_mov_b32 v9, v8 :: v_dual_mov_b32 v10, v8
	v_mov_b32_e32 v11, v8
	scratch_store_b128 off, v[8:11], off offset:80
	s_wait_loadcnt 0x0
	ds_store_b128 v6, v[2:5]
.LBB30_189:
	s_wait_xcnt 0x0
	s_or_b32 exec_lo, exec_lo, s2
	s_wait_storecnt_dscnt 0x0
	s_barrier_signal -1
	s_barrier_wait -1
	s_clause 0x9
	scratch_load_b128 v[8:11], off, off offset:96
	scratch_load_b128 v[76:79], off, off offset:112
	scratch_load_b128 v[80:83], off, off offset:128
	scratch_load_b128 v[84:87], off, off offset:144
	scratch_load_b128 v[88:91], off, off offset:160
	scratch_load_b128 v[92:95], off, off offset:176
	scratch_load_b128 v[96:99], off, off offset:192
	scratch_load_b128 v[100:103], off, off offset:208
	scratch_load_b128 v[104:107], off, off offset:224
	scratch_load_b128 v[108:111], off, off offset:240
	v_mov_b32_e32 v2, 0
	s_mov_b32 s2, exec_lo
	ds_load_b128 v[112:115], v2 offset:592
	s_clause 0x2
	scratch_load_b128 v[116:119], off, off offset:256
	scratch_load_b128 v[120:123], off, off offset:80
	;; [unrolled: 1-line block ×3, first 2 shown]
	s_wait_loadcnt_dscnt 0xc00
	v_mul_f64_e32 v[4:5], v[114:115], v[10:11]
	v_mul_f64_e32 v[136:137], v[112:113], v[10:11]
	ds_load_b128 v[124:127], v2 offset:608
	scratch_load_b128 v[10:13], off, off offset:272
	ds_load_b128 v[132:135], v2 offset:640
	v_fma_f64 v[4:5], v[112:113], v[8:9], -v[4:5]
	v_fmac_f64_e32 v[136:137], v[114:115], v[8:9]
	ds_load_b128 v[112:115], v2 offset:624
	s_wait_loadcnt_dscnt 0xc02
	v_mul_f64_e32 v[138:139], v[124:125], v[78:79]
	v_mul_f64_e32 v[78:79], v[126:127], v[78:79]
	s_wait_loadcnt_dscnt 0xb00
	v_mul_f64_e32 v[8:9], v[112:113], v[82:83]
	v_mul_f64_e32 v[82:83], v[114:115], v[82:83]
	v_add_f64_e32 v[4:5], 0, v[4:5]
	v_fmac_f64_e32 v[138:139], v[126:127], v[76:77]
	v_fma_f64 v[124:125], v[124:125], v[76:77], -v[78:79]
	v_add_f64_e32 v[126:127], 0, v[136:137]
	scratch_load_b128 v[76:79], off, off offset:304
	v_fmac_f64_e32 v[8:9], v[114:115], v[80:81]
	v_fma_f64 v[140:141], v[112:113], v[80:81], -v[82:83]
	ds_load_b128 v[80:83], v2 offset:656
	s_wait_loadcnt 0xb
	v_mul_f64_e32 v[136:137], v[132:133], v[86:87]
	v_mul_f64_e32 v[86:87], v[134:135], v[86:87]
	scratch_load_b128 v[112:115], off, off offset:320
	v_add_f64_e32 v[4:5], v[4:5], v[124:125]
	v_add_f64_e32 v[138:139], v[126:127], v[138:139]
	ds_load_b128 v[124:127], v2 offset:672
	s_wait_loadcnt_dscnt 0xb01
	v_mul_f64_e32 v[142:143], v[80:81], v[90:91]
	v_mul_f64_e32 v[90:91], v[82:83], v[90:91]
	v_fmac_f64_e32 v[136:137], v[134:135], v[84:85]
	v_fma_f64 v[132:133], v[132:133], v[84:85], -v[86:87]
	scratch_load_b128 v[84:87], off, off offset:336
	v_add_f64_e32 v[4:5], v[4:5], v[140:141]
	v_add_f64_e32 v[8:9], v[138:139], v[8:9]
	v_fmac_f64_e32 v[142:143], v[82:83], v[88:89]
	v_fma_f64 v[140:141], v[80:81], v[88:89], -v[90:91]
	ds_load_b128 v[80:83], v2 offset:688
	s_wait_loadcnt_dscnt 0xb01
	v_mul_f64_e32 v[138:139], v[124:125], v[94:95]
	v_mul_f64_e32 v[94:95], v[126:127], v[94:95]
	scratch_load_b128 v[88:91], off, off offset:352
	v_add_f64_e32 v[4:5], v[4:5], v[132:133]
	v_add_f64_e32 v[8:9], v[8:9], v[136:137]
	s_wait_loadcnt_dscnt 0xb00
	v_mul_f64_e32 v[136:137], v[80:81], v[98:99]
	v_mul_f64_e32 v[98:99], v[82:83], v[98:99]
	ds_load_b128 v[132:135], v2 offset:704
	v_fmac_f64_e32 v[138:139], v[126:127], v[92:93]
	v_fma_f64 v[124:125], v[124:125], v[92:93], -v[94:95]
	scratch_load_b128 v[92:95], off, off offset:368
	v_add_f64_e32 v[4:5], v[4:5], v[140:141]
	v_add_f64_e32 v[8:9], v[8:9], v[142:143]
	v_fmac_f64_e32 v[136:137], v[82:83], v[96:97]
	v_fma_f64 v[142:143], v[80:81], v[96:97], -v[98:99]
	ds_load_b128 v[80:83], v2 offset:720
	s_wait_loadcnt_dscnt 0xb01
	v_mul_f64_e32 v[140:141], v[132:133], v[102:103]
	v_mul_f64_e32 v[102:103], v[134:135], v[102:103]
	scratch_load_b128 v[96:99], off, off offset:384
	v_add_f64_e32 v[4:5], v[4:5], v[124:125]
	v_add_f64_e32 v[8:9], v[8:9], v[138:139]
	s_wait_loadcnt_dscnt 0xb00
	v_mul_f64_e32 v[138:139], v[80:81], v[106:107]
	v_mul_f64_e32 v[106:107], v[82:83], v[106:107]
	ds_load_b128 v[124:127], v2 offset:736
	;; [unrolled: 18-line block ×3, first 2 shown]
	v_fmac_f64_e32 v[136:137], v[126:127], v[108:109]
	v_fma_f64 v[124:125], v[124:125], v[108:109], -v[110:111]
	scratch_load_b128 v[108:111], off, off offset:432
	v_add_f64_e32 v[4:5], v[4:5], v[142:143]
	v_add_f64_e32 v[8:9], v[8:9], v[138:139]
	v_fmac_f64_e32 v[140:141], v[82:83], v[116:117]
	v_fma_f64 v[142:143], v[80:81], v[116:117], -v[118:119]
	ds_load_b128 v[80:83], v2 offset:784
	s_wait_loadcnt_dscnt 0x901
	v_mul_f64_e32 v[138:139], v[132:133], v[12:13]
	v_mul_f64_e32 v[12:13], v[134:135], v[12:13]
	scratch_load_b128 v[116:119], off, off offset:448
	v_add_f64_e32 v[4:5], v[4:5], v[124:125]
	v_add_f64_e32 v[8:9], v[8:9], v[136:137]
	s_wait_dscnt 0x0
	v_mul_f64_e32 v[136:137], v[80:81], v[130:131]
	v_mul_f64_e32 v[130:131], v[82:83], v[130:131]
	ds_load_b128 v[124:127], v2 offset:800
	v_fmac_f64_e32 v[138:139], v[134:135], v[10:11]
	v_fma_f64 v[12:13], v[132:133], v[10:11], -v[12:13]
	v_add_f64_e32 v[4:5], v[4:5], v[142:143]
	v_add_f64_e32 v[132:133], v[8:9], v[140:141]
	scratch_load_b128 v[8:11], off, off offset:464
	v_fmac_f64_e32 v[136:137], v[82:83], v[128:129]
	v_fma_f64 v[82:83], v[80:81], v[128:129], -v[130:131]
	scratch_load_b128 v[128:131], off, off offset:480
	v_add_f64_e32 v[4:5], v[4:5], v[12:13]
	v_add_f64_e32 v[12:13], v[132:133], v[138:139]
	ds_load_b128 v[132:135], v2 offset:832
	s_wait_loadcnt_dscnt 0xb01
	v_mul_f64_e32 v[140:141], v[124:125], v[78:79]
	v_mul_f64_e32 v[142:143], v[126:127], v[78:79]
	ds_load_b128 v[78:81], v2 offset:816
	s_wait_loadcnt_dscnt 0xa00
	v_mul_f64_e32 v[138:139], v[78:79], v[114:115]
	v_mul_f64_e32 v[114:115], v[80:81], v[114:115]
	v_add_f64_e32 v[4:5], v[4:5], v[82:83]
	v_add_f64_e32 v[12:13], v[12:13], v[136:137]
	v_fmac_f64_e32 v[140:141], v[126:127], v[76:77]
	v_fma_f64 v[76:77], v[124:125], v[76:77], -v[142:143]
	s_wait_loadcnt 0x9
	v_mul_f64_e32 v[124:125], v[132:133], v[86:87]
	v_mul_f64_e32 v[86:87], v[134:135], v[86:87]
	v_fmac_f64_e32 v[138:139], v[80:81], v[112:113]
	v_fma_f64 v[112:113], v[78:79], v[112:113], -v[114:115]
	v_add_f64_e32 v[12:13], v[12:13], v[140:141]
	v_add_f64_e32 v[4:5], v[4:5], v[76:77]
	ds_load_b128 v[76:79], v2 offset:848
	ds_load_b128 v[80:83], v2 offset:864
	v_fmac_f64_e32 v[124:125], v[134:135], v[84:85]
	v_fma_f64 v[84:85], v[132:133], v[84:85], -v[86:87]
	s_wait_loadcnt_dscnt 0x801
	v_mul_f64_e32 v[114:115], v[76:77], v[90:91]
	v_mul_f64_e32 v[90:91], v[78:79], v[90:91]
	v_add_f64_e32 v[12:13], v[12:13], v[138:139]
	v_add_f64_e32 v[4:5], v[4:5], v[112:113]
	s_wait_loadcnt_dscnt 0x700
	v_mul_f64_e32 v[112:113], v[80:81], v[94:95]
	v_mul_f64_e32 v[94:95], v[82:83], v[94:95]
	v_fmac_f64_e32 v[114:115], v[78:79], v[88:89]
	v_fma_f64 v[88:89], v[76:77], v[88:89], -v[90:91]
	v_add_f64_e32 v[12:13], v[12:13], v[124:125]
	v_add_f64_e32 v[4:5], v[4:5], v[84:85]
	ds_load_b128 v[76:79], v2 offset:880
	ds_load_b128 v[84:87], v2 offset:896
	v_fmac_f64_e32 v[112:113], v[82:83], v[92:93]
	v_fma_f64 v[80:81], v[80:81], v[92:93], -v[94:95]
	s_wait_loadcnt_dscnt 0x601
	v_mul_f64_e32 v[90:91], v[76:77], v[98:99]
	v_mul_f64_e32 v[98:99], v[78:79], v[98:99]
	s_wait_loadcnt_dscnt 0x500
	v_mul_f64_e32 v[92:93], v[86:87], v[102:103]
	v_add_f64_e32 v[12:13], v[12:13], v[114:115]
	v_add_f64_e32 v[4:5], v[4:5], v[88:89]
	v_mul_f64_e32 v[88:89], v[84:85], v[102:103]
	v_fmac_f64_e32 v[90:91], v[78:79], v[96:97]
	v_fma_f64 v[94:95], v[76:77], v[96:97], -v[98:99]
	v_fma_f64 v[84:85], v[84:85], v[100:101], -v[92:93]
	v_add_f64_e32 v[12:13], v[12:13], v[112:113]
	v_add_f64_e32 v[4:5], v[4:5], v[80:81]
	ds_load_b128 v[76:79], v2 offset:912
	ds_load_b128 v[80:83], v2 offset:928
	v_fmac_f64_e32 v[88:89], v[86:87], v[100:101]
	s_wait_loadcnt_dscnt 0x401
	v_mul_f64_e32 v[96:97], v[76:77], v[106:107]
	v_mul_f64_e32 v[98:99], v[78:79], v[106:107]
	s_wait_loadcnt_dscnt 0x300
	v_mul_f64_e32 v[92:93], v[82:83], v[110:111]
	v_add_f64_e32 v[12:13], v[12:13], v[90:91]
	v_add_f64_e32 v[4:5], v[4:5], v[94:95]
	v_mul_f64_e32 v[90:91], v[80:81], v[110:111]
	v_fmac_f64_e32 v[96:97], v[78:79], v[104:105]
	v_fma_f64 v[94:95], v[76:77], v[104:105], -v[98:99]
	v_fma_f64 v[80:81], v[80:81], v[108:109], -v[92:93]
	v_add_f64_e32 v[12:13], v[12:13], v[88:89]
	v_add_f64_e32 v[4:5], v[4:5], v[84:85]
	ds_load_b128 v[76:79], v2 offset:944
	ds_load_b128 v[84:87], v2 offset:960
	v_fmac_f64_e32 v[90:91], v[82:83], v[108:109]
	s_wait_loadcnt_dscnt 0x201
	v_mul_f64_e32 v[88:89], v[76:77], v[118:119]
	v_mul_f64_e32 v[98:99], v[78:79], v[118:119]
	s_wait_loadcnt_dscnt 0x100
	v_mul_f64_e32 v[82:83], v[84:85], v[10:11]
	v_add_f64_e32 v[12:13], v[12:13], v[96:97]
	v_add_f64_e32 v[4:5], v[4:5], v[94:95]
	v_mul_f64_e32 v[92:93], v[86:87], v[10:11]
	v_fmac_f64_e32 v[88:89], v[78:79], v[116:117]
	v_fma_f64 v[76:77], v[76:77], v[116:117], -v[98:99]
	v_fmac_f64_e32 v[82:83], v[86:87], v[8:9]
	v_add_f64_e32 v[78:79], v[12:13], v[90:91]
	v_add_f64_e32 v[4:5], v[4:5], v[80:81]
	ds_load_b128 v[10:13], v2 offset:976
	v_fma_f64 v[8:9], v[84:85], v[8:9], -v[92:93]
	s_wait_loadcnt_dscnt 0x0
	v_mul_f64_e32 v[80:81], v[10:11], v[130:131]
	v_mul_f64_e32 v[90:91], v[12:13], v[130:131]
	v_add_f64_e32 v[4:5], v[4:5], v[76:77]
	v_add_f64_e32 v[76:77], v[78:79], v[88:89]
	s_delay_alu instid0(VALU_DEP_4) | instskip(NEXT) | instid1(VALU_DEP_4)
	v_fmac_f64_e32 v[80:81], v[12:13], v[128:129]
	v_fma_f64 v[10:11], v[10:11], v[128:129], -v[90:91]
	s_delay_alu instid0(VALU_DEP_4) | instskip(NEXT) | instid1(VALU_DEP_4)
	v_add_f64_e32 v[4:5], v[4:5], v[8:9]
	v_add_f64_e32 v[8:9], v[76:77], v[82:83]
	s_delay_alu instid0(VALU_DEP_2) | instskip(NEXT) | instid1(VALU_DEP_2)
	v_add_f64_e32 v[4:5], v[4:5], v[10:11]
	v_add_f64_e32 v[10:11], v[8:9], v[80:81]
	s_delay_alu instid0(VALU_DEP_2) | instskip(NEXT) | instid1(VALU_DEP_2)
	v_add_f64_e64 v[8:9], v[120:121], -v[4:5]
	v_add_f64_e64 v[10:11], v[122:123], -v[10:11]
	scratch_store_b128 off, v[8:11], off offset:80
	s_wait_xcnt 0x0
	v_cmpx_lt_u32_e32 4, v1
	s_cbranch_execz .LBB30_191
; %bb.190:
	scratch_load_b128 v[8:11], off, s11
	v_dual_mov_b32 v3, v2 :: v_dual_mov_b32 v4, v2
	v_mov_b32_e32 v5, v2
	scratch_store_b128 off, v[2:5], off offset:64
	s_wait_loadcnt 0x0
	ds_store_b128 v6, v[8:11]
.LBB30_191:
	s_wait_xcnt 0x0
	s_or_b32 exec_lo, exec_lo, s2
	s_wait_storecnt_dscnt 0x0
	s_barrier_signal -1
	s_barrier_wait -1
	s_clause 0x9
	scratch_load_b128 v[8:11], off, off offset:80
	scratch_load_b128 v[76:79], off, off offset:96
	;; [unrolled: 1-line block ×10, first 2 shown]
	ds_load_b128 v[112:115], v2 offset:576
	ds_load_b128 v[120:123], v2 offset:592
	s_clause 0x1
	scratch_load_b128 v[116:119], off, off offset:240
	scratch_load_b128 v[124:127], off, off offset:64
	s_mov_b32 s2, exec_lo
	s_wait_loadcnt_dscnt 0xb01
	v_mul_f64_e32 v[4:5], v[114:115], v[10:11]
	v_mul_f64_e32 v[136:137], v[112:113], v[10:11]
	scratch_load_b128 v[10:13], off, off offset:256
	s_wait_loadcnt_dscnt 0xb00
	v_mul_f64_e32 v[138:139], v[120:121], v[78:79]
	v_mul_f64_e32 v[78:79], v[122:123], v[78:79]
	v_fma_f64 v[4:5], v[112:113], v[8:9], -v[4:5]
	v_fmac_f64_e32 v[136:137], v[114:115], v[8:9]
	ds_load_b128 v[112:115], v2 offset:608
	ds_load_b128 v[128:131], v2 offset:624
	scratch_load_b128 v[132:135], off, off offset:272
	v_fmac_f64_e32 v[138:139], v[122:123], v[76:77]
	v_fma_f64 v[120:121], v[120:121], v[76:77], -v[78:79]
	scratch_load_b128 v[76:79], off, off offset:288
	s_wait_loadcnt_dscnt 0xc01
	v_mul_f64_e32 v[8:9], v[112:113], v[82:83]
	v_mul_f64_e32 v[82:83], v[114:115], v[82:83]
	v_add_f64_e32 v[4:5], 0, v[4:5]
	v_add_f64_e32 v[122:123], 0, v[136:137]
	s_wait_loadcnt_dscnt 0xb00
	v_mul_f64_e32 v[136:137], v[128:129], v[86:87]
	v_mul_f64_e32 v[86:87], v[130:131], v[86:87]
	v_fmac_f64_e32 v[8:9], v[114:115], v[80:81]
	v_fma_f64 v[140:141], v[112:113], v[80:81], -v[82:83]
	ds_load_b128 v[80:83], v2 offset:640
	ds_load_b128 v[112:115], v2 offset:656
	v_add_f64_e32 v[4:5], v[4:5], v[120:121]
	v_add_f64_e32 v[138:139], v[122:123], v[138:139]
	scratch_load_b128 v[120:123], off, off offset:304
	v_fmac_f64_e32 v[136:137], v[130:131], v[84:85]
	v_fma_f64 v[128:129], v[128:129], v[84:85], -v[86:87]
	scratch_load_b128 v[84:87], off, off offset:320
	s_wait_loadcnt_dscnt 0xc01
	v_mul_f64_e32 v[142:143], v[80:81], v[90:91]
	v_mul_f64_e32 v[90:91], v[82:83], v[90:91]
	v_add_f64_e32 v[4:5], v[4:5], v[140:141]
	v_add_f64_e32 v[8:9], v[138:139], v[8:9]
	s_wait_loadcnt_dscnt 0xb00
	v_mul_f64_e32 v[138:139], v[112:113], v[94:95]
	v_mul_f64_e32 v[94:95], v[114:115], v[94:95]
	v_fmac_f64_e32 v[142:143], v[82:83], v[88:89]
	v_fma_f64 v[140:141], v[80:81], v[88:89], -v[90:91]
	ds_load_b128 v[80:83], v2 offset:672
	ds_load_b128 v[88:91], v2 offset:688
	v_add_f64_e32 v[4:5], v[4:5], v[128:129]
	v_add_f64_e32 v[8:9], v[8:9], v[136:137]
	scratch_load_b128 v[128:131], off, off offset:336
	s_wait_loadcnt_dscnt 0xb01
	v_mul_f64_e32 v[136:137], v[80:81], v[98:99]
	v_mul_f64_e32 v[98:99], v[82:83], v[98:99]
	v_fmac_f64_e32 v[138:139], v[114:115], v[92:93]
	v_fma_f64 v[112:113], v[112:113], v[92:93], -v[94:95]
	scratch_load_b128 v[92:95], off, off offset:352
	v_add_f64_e32 v[4:5], v[4:5], v[140:141]
	v_add_f64_e32 v[8:9], v[8:9], v[142:143]
	s_wait_loadcnt_dscnt 0xb00
	v_mul_f64_e32 v[140:141], v[88:89], v[102:103]
	v_mul_f64_e32 v[102:103], v[90:91], v[102:103]
	v_fmac_f64_e32 v[136:137], v[82:83], v[96:97]
	v_fma_f64 v[142:143], v[80:81], v[96:97], -v[98:99]
	ds_load_b128 v[80:83], v2 offset:704
	ds_load_b128 v[96:99], v2 offset:720
	v_add_f64_e32 v[4:5], v[4:5], v[112:113]
	v_add_f64_e32 v[8:9], v[8:9], v[138:139]
	scratch_load_b128 v[112:115], off, off offset:368
	s_wait_loadcnt_dscnt 0xb01
	v_mul_f64_e32 v[138:139], v[80:81], v[106:107]
	v_mul_f64_e32 v[106:107], v[82:83], v[106:107]
	v_fmac_f64_e32 v[140:141], v[90:91], v[100:101]
	v_fma_f64 v[100:101], v[88:89], v[100:101], -v[102:103]
	scratch_load_b128 v[88:91], off, off offset:384
	v_add_f64_e32 v[4:5], v[4:5], v[142:143]
	v_add_f64_e32 v[8:9], v[8:9], v[136:137]
	s_wait_loadcnt_dscnt 0xb00
	v_mul_f64_e32 v[136:137], v[96:97], v[110:111]
	v_mul_f64_e32 v[110:111], v[98:99], v[110:111]
	v_fmac_f64_e32 v[138:139], v[82:83], v[104:105]
	v_fma_f64 v[142:143], v[80:81], v[104:105], -v[106:107]
	v_add_f64_e32 v[4:5], v[4:5], v[100:101]
	v_add_f64_e32 v[8:9], v[8:9], v[140:141]
	ds_load_b128 v[80:83], v2 offset:736
	ds_load_b128 v[100:103], v2 offset:752
	scratch_load_b128 v[104:107], off, off offset:400
	v_fmac_f64_e32 v[136:137], v[98:99], v[108:109]
	v_fma_f64 v[108:109], v[96:97], v[108:109], -v[110:111]
	scratch_load_b128 v[96:99], off, off offset:416
	s_wait_loadcnt_dscnt 0xc01
	v_mul_f64_e32 v[140:141], v[80:81], v[118:119]
	v_mul_f64_e32 v[118:119], v[82:83], v[118:119]
	v_add_f64_e32 v[4:5], v[4:5], v[142:143]
	v_add_f64_e32 v[8:9], v[8:9], v[138:139]
	s_wait_loadcnt_dscnt 0xa00
	v_mul_f64_e32 v[138:139], v[100:101], v[12:13]
	v_mul_f64_e32 v[12:13], v[102:103], v[12:13]
	v_fmac_f64_e32 v[140:141], v[82:83], v[116:117]
	v_fma_f64 v[142:143], v[80:81], v[116:117], -v[118:119]
	v_add_f64_e32 v[4:5], v[4:5], v[108:109]
	v_add_f64_e32 v[8:9], v[8:9], v[136:137]
	ds_load_b128 v[80:83], v2 offset:768
	ds_load_b128 v[108:111], v2 offset:784
	scratch_load_b128 v[116:119], off, off offset:432
	v_fmac_f64_e32 v[138:139], v[102:103], v[10:11]
	v_fma_f64 v[12:13], v[100:101], v[10:11], -v[12:13]
	s_wait_loadcnt_dscnt 0xa01
	v_mul_f64_e32 v[136:137], v[80:81], v[134:135]
	v_mul_f64_e32 v[134:135], v[82:83], v[134:135]
	v_add_f64_e32 v[4:5], v[4:5], v[142:143]
	v_add_f64_e32 v[100:101], v[8:9], v[140:141]
	scratch_load_b128 v[8:11], off, off offset:448
	s_wait_loadcnt_dscnt 0xa00
	v_mul_f64_e32 v[140:141], v[108:109], v[78:79]
	v_mul_f64_e32 v[142:143], v[110:111], v[78:79]
	v_fmac_f64_e32 v[136:137], v[82:83], v[132:133]
	v_fma_f64 v[82:83], v[80:81], v[132:133], -v[134:135]
	v_add_f64_e32 v[4:5], v[4:5], v[12:13]
	v_add_f64_e32 v[12:13], v[100:101], v[138:139]
	ds_load_b128 v[78:81], v2 offset:800
	ds_load_b128 v[100:103], v2 offset:816
	scratch_load_b128 v[132:135], off, off offset:464
	v_fmac_f64_e32 v[140:141], v[110:111], v[76:77]
	v_fma_f64 v[76:77], v[108:109], v[76:77], -v[142:143]
	scratch_load_b128 v[108:111], off, off offset:480
	s_wait_loadcnt_dscnt 0xb01
	v_mul_f64_e32 v[138:139], v[78:79], v[122:123]
	v_mul_f64_e32 v[122:123], v[80:81], v[122:123]
	v_add_f64_e32 v[4:5], v[4:5], v[82:83]
	v_add_f64_e32 v[12:13], v[12:13], v[136:137]
	s_wait_loadcnt_dscnt 0xa00
	v_mul_f64_e32 v[136:137], v[100:101], v[86:87]
	v_mul_f64_e32 v[86:87], v[102:103], v[86:87]
	v_fmac_f64_e32 v[138:139], v[80:81], v[120:121]
	v_fma_f64 v[120:121], v[78:79], v[120:121], -v[122:123]
	v_add_f64_e32 v[4:5], v[4:5], v[76:77]
	v_add_f64_e32 v[12:13], v[12:13], v[140:141]
	ds_load_b128 v[76:79], v2 offset:832
	ds_load_b128 v[80:83], v2 offset:848
	v_fmac_f64_e32 v[136:137], v[102:103], v[84:85]
	v_fma_f64 v[84:85], v[100:101], v[84:85], -v[86:87]
	s_wait_loadcnt_dscnt 0x901
	v_mul_f64_e32 v[122:123], v[76:77], v[130:131]
	v_mul_f64_e32 v[130:131], v[78:79], v[130:131]
	s_wait_loadcnt_dscnt 0x800
	v_mul_f64_e32 v[100:101], v[80:81], v[94:95]
	v_mul_f64_e32 v[94:95], v[82:83], v[94:95]
	v_add_f64_e32 v[4:5], v[4:5], v[120:121]
	v_add_f64_e32 v[12:13], v[12:13], v[138:139]
	v_fmac_f64_e32 v[122:123], v[78:79], v[128:129]
	v_fma_f64 v[102:103], v[76:77], v[128:129], -v[130:131]
	v_fmac_f64_e32 v[100:101], v[82:83], v[92:93]
	v_fma_f64 v[80:81], v[80:81], v[92:93], -v[94:95]
	v_add_f64_e32 v[4:5], v[4:5], v[84:85]
	v_add_f64_e32 v[12:13], v[12:13], v[136:137]
	ds_load_b128 v[76:79], v2 offset:864
	ds_load_b128 v[84:87], v2 offset:880
	s_wait_loadcnt_dscnt 0x701
	v_mul_f64_e32 v[120:121], v[76:77], v[114:115]
	v_mul_f64_e32 v[114:115], v[78:79], v[114:115]
	s_wait_loadcnt_dscnt 0x600
	v_mul_f64_e32 v[92:93], v[84:85], v[90:91]
	v_mul_f64_e32 v[90:91], v[86:87], v[90:91]
	v_add_f64_e32 v[4:5], v[4:5], v[102:103]
	v_add_f64_e32 v[12:13], v[12:13], v[122:123]
	v_fmac_f64_e32 v[120:121], v[78:79], v[112:113]
	v_fma_f64 v[94:95], v[76:77], v[112:113], -v[114:115]
	v_fmac_f64_e32 v[92:93], v[86:87], v[88:89]
	v_fma_f64 v[84:85], v[84:85], v[88:89], -v[90:91]
	v_add_f64_e32 v[4:5], v[4:5], v[80:81]
	v_add_f64_e32 v[12:13], v[12:13], v[100:101]
	ds_load_b128 v[76:79], v2 offset:896
	ds_load_b128 v[80:83], v2 offset:912
	;; [unrolled: 16-line block ×3, first 2 shown]
	s_wait_loadcnt_dscnt 0x301
	v_mul_f64_e32 v[92:93], v[76:77], v[118:119]
	v_mul_f64_e32 v[98:99], v[78:79], v[118:119]
	v_add_f64_e32 v[4:5], v[4:5], v[94:95]
	v_add_f64_e32 v[12:13], v[12:13], v[100:101]
	s_wait_loadcnt_dscnt 0x200
	v_mul_f64_e32 v[82:83], v[84:85], v[10:11]
	v_mul_f64_e32 v[90:91], v[86:87], v[10:11]
	v_fmac_f64_e32 v[92:93], v[78:79], v[116:117]
	v_fma_f64 v[76:77], v[76:77], v[116:117], -v[98:99]
	v_add_f64_e32 v[78:79], v[4:5], v[80:81]
	v_add_f64_e32 v[80:81], v[12:13], v[88:89]
	ds_load_b128 v[10:13], v2 offset:960
	ds_load_b128 v[2:5], v2 offset:976
	v_fmac_f64_e32 v[82:83], v[86:87], v[8:9]
	v_fma_f64 v[8:9], v[84:85], v[8:9], -v[90:91]
	s_wait_loadcnt_dscnt 0x101
	v_mul_f64_e32 v[88:89], v[10:11], v[134:135]
	v_mul_f64_e32 v[94:95], v[12:13], v[134:135]
	s_wait_loadcnt_dscnt 0x0
	v_mul_f64_e32 v[84:85], v[4:5], v[110:111]
	v_add_f64_e32 v[76:77], v[78:79], v[76:77]
	v_add_f64_e32 v[78:79], v[80:81], v[92:93]
	v_mul_f64_e32 v[80:81], v[2:3], v[110:111]
	v_fmac_f64_e32 v[88:89], v[12:13], v[132:133]
	v_fma_f64 v[10:11], v[10:11], v[132:133], -v[94:95]
	v_fma_f64 v[2:3], v[2:3], v[108:109], -v[84:85]
	v_add_f64_e32 v[8:9], v[76:77], v[8:9]
	v_add_f64_e32 v[12:13], v[78:79], v[82:83]
	v_fmac_f64_e32 v[80:81], v[4:5], v[108:109]
	s_delay_alu instid0(VALU_DEP_3) | instskip(NEXT) | instid1(VALU_DEP_3)
	v_add_f64_e32 v[4:5], v[8:9], v[10:11]
	v_add_f64_e32 v[8:9], v[12:13], v[88:89]
	s_delay_alu instid0(VALU_DEP_2) | instskip(NEXT) | instid1(VALU_DEP_2)
	v_add_f64_e32 v[2:3], v[4:5], v[2:3]
	v_add_f64_e32 v[4:5], v[8:9], v[80:81]
	s_delay_alu instid0(VALU_DEP_2) | instskip(NEXT) | instid1(VALU_DEP_2)
	v_add_f64_e64 v[2:3], v[124:125], -v[2:3]
	v_add_f64_e64 v[4:5], v[126:127], -v[4:5]
	scratch_store_b128 off, v[2:5], off offset:64
	s_wait_xcnt 0x0
	v_cmpx_lt_u32_e32 3, v1
	s_cbranch_execz .LBB30_193
; %bb.192:
	scratch_load_b128 v[2:5], off, s9
	v_mov_b32_e32 v8, 0
	s_delay_alu instid0(VALU_DEP_1)
	v_dual_mov_b32 v9, v8 :: v_dual_mov_b32 v10, v8
	v_mov_b32_e32 v11, v8
	scratch_store_b128 off, v[8:11], off offset:48
	s_wait_loadcnt 0x0
	ds_store_b128 v6, v[2:5]
.LBB30_193:
	s_wait_xcnt 0x0
	s_or_b32 exec_lo, exec_lo, s2
	s_wait_storecnt_dscnt 0x0
	s_barrier_signal -1
	s_barrier_wait -1
	s_clause 0x9
	scratch_load_b128 v[8:11], off, off offset:64
	scratch_load_b128 v[76:79], off, off offset:80
	;; [unrolled: 1-line block ×10, first 2 shown]
	v_mov_b32_e32 v2, 0
	s_mov_b32 s2, exec_lo
	ds_load_b128 v[112:115], v2 offset:560
	s_clause 0x2
	scratch_load_b128 v[116:119], off, off offset:224
	scratch_load_b128 v[120:123], off, off offset:48
	;; [unrolled: 1-line block ×3, first 2 shown]
	s_wait_loadcnt_dscnt 0xc00
	v_mul_f64_e32 v[4:5], v[114:115], v[10:11]
	v_mul_f64_e32 v[136:137], v[112:113], v[10:11]
	ds_load_b128 v[124:127], v2 offset:576
	scratch_load_b128 v[10:13], off, off offset:240
	ds_load_b128 v[132:135], v2 offset:608
	v_fma_f64 v[4:5], v[112:113], v[8:9], -v[4:5]
	v_fmac_f64_e32 v[136:137], v[114:115], v[8:9]
	ds_load_b128 v[112:115], v2 offset:592
	s_wait_loadcnt_dscnt 0xc02
	v_mul_f64_e32 v[138:139], v[124:125], v[78:79]
	v_mul_f64_e32 v[78:79], v[126:127], v[78:79]
	s_wait_loadcnt_dscnt 0xb00
	v_mul_f64_e32 v[8:9], v[112:113], v[82:83]
	v_mul_f64_e32 v[82:83], v[114:115], v[82:83]
	v_add_f64_e32 v[4:5], 0, v[4:5]
	v_fmac_f64_e32 v[138:139], v[126:127], v[76:77]
	v_fma_f64 v[124:125], v[124:125], v[76:77], -v[78:79]
	v_add_f64_e32 v[126:127], 0, v[136:137]
	scratch_load_b128 v[76:79], off, off offset:272
	v_fmac_f64_e32 v[8:9], v[114:115], v[80:81]
	v_fma_f64 v[140:141], v[112:113], v[80:81], -v[82:83]
	ds_load_b128 v[80:83], v2 offset:624
	s_wait_loadcnt 0xb
	v_mul_f64_e32 v[136:137], v[132:133], v[86:87]
	v_mul_f64_e32 v[86:87], v[134:135], v[86:87]
	scratch_load_b128 v[112:115], off, off offset:288
	v_add_f64_e32 v[4:5], v[4:5], v[124:125]
	v_add_f64_e32 v[138:139], v[126:127], v[138:139]
	ds_load_b128 v[124:127], v2 offset:640
	s_wait_loadcnt_dscnt 0xb01
	v_mul_f64_e32 v[142:143], v[80:81], v[90:91]
	v_mul_f64_e32 v[90:91], v[82:83], v[90:91]
	v_fmac_f64_e32 v[136:137], v[134:135], v[84:85]
	v_fma_f64 v[132:133], v[132:133], v[84:85], -v[86:87]
	scratch_load_b128 v[84:87], off, off offset:304
	v_add_f64_e32 v[4:5], v[4:5], v[140:141]
	v_add_f64_e32 v[8:9], v[138:139], v[8:9]
	v_fmac_f64_e32 v[142:143], v[82:83], v[88:89]
	v_fma_f64 v[140:141], v[80:81], v[88:89], -v[90:91]
	ds_load_b128 v[80:83], v2 offset:656
	s_wait_loadcnt_dscnt 0xb01
	v_mul_f64_e32 v[138:139], v[124:125], v[94:95]
	v_mul_f64_e32 v[94:95], v[126:127], v[94:95]
	scratch_load_b128 v[88:91], off, off offset:320
	v_add_f64_e32 v[4:5], v[4:5], v[132:133]
	v_add_f64_e32 v[8:9], v[8:9], v[136:137]
	s_wait_loadcnt_dscnt 0xb00
	v_mul_f64_e32 v[136:137], v[80:81], v[98:99]
	v_mul_f64_e32 v[98:99], v[82:83], v[98:99]
	ds_load_b128 v[132:135], v2 offset:672
	v_fmac_f64_e32 v[138:139], v[126:127], v[92:93]
	v_fma_f64 v[124:125], v[124:125], v[92:93], -v[94:95]
	scratch_load_b128 v[92:95], off, off offset:336
	v_add_f64_e32 v[4:5], v[4:5], v[140:141]
	v_add_f64_e32 v[8:9], v[8:9], v[142:143]
	v_fmac_f64_e32 v[136:137], v[82:83], v[96:97]
	v_fma_f64 v[142:143], v[80:81], v[96:97], -v[98:99]
	ds_load_b128 v[80:83], v2 offset:688
	s_wait_loadcnt_dscnt 0xb01
	v_mul_f64_e32 v[140:141], v[132:133], v[102:103]
	v_mul_f64_e32 v[102:103], v[134:135], v[102:103]
	scratch_load_b128 v[96:99], off, off offset:352
	v_add_f64_e32 v[4:5], v[4:5], v[124:125]
	v_add_f64_e32 v[8:9], v[8:9], v[138:139]
	s_wait_loadcnt_dscnt 0xb00
	v_mul_f64_e32 v[138:139], v[80:81], v[106:107]
	v_mul_f64_e32 v[106:107], v[82:83], v[106:107]
	ds_load_b128 v[124:127], v2 offset:704
	;; [unrolled: 18-line block ×3, first 2 shown]
	v_fmac_f64_e32 v[136:137], v[126:127], v[108:109]
	v_fma_f64 v[124:125], v[124:125], v[108:109], -v[110:111]
	scratch_load_b128 v[108:111], off, off offset:400
	v_add_f64_e32 v[4:5], v[4:5], v[142:143]
	v_add_f64_e32 v[8:9], v[8:9], v[138:139]
	v_fmac_f64_e32 v[140:141], v[82:83], v[116:117]
	v_fma_f64 v[142:143], v[80:81], v[116:117], -v[118:119]
	ds_load_b128 v[80:83], v2 offset:752
	s_wait_loadcnt_dscnt 0x901
	v_mul_f64_e32 v[138:139], v[132:133], v[12:13]
	v_mul_f64_e32 v[12:13], v[134:135], v[12:13]
	scratch_load_b128 v[116:119], off, off offset:416
	v_add_f64_e32 v[4:5], v[4:5], v[124:125]
	v_add_f64_e32 v[8:9], v[8:9], v[136:137]
	s_wait_dscnt 0x0
	v_mul_f64_e32 v[136:137], v[80:81], v[130:131]
	v_mul_f64_e32 v[130:131], v[82:83], v[130:131]
	ds_load_b128 v[124:127], v2 offset:768
	v_fmac_f64_e32 v[138:139], v[134:135], v[10:11]
	v_fma_f64 v[12:13], v[132:133], v[10:11], -v[12:13]
	v_add_f64_e32 v[4:5], v[4:5], v[142:143]
	v_add_f64_e32 v[132:133], v[8:9], v[140:141]
	scratch_load_b128 v[8:11], off, off offset:432
	v_fmac_f64_e32 v[136:137], v[82:83], v[128:129]
	v_fma_f64 v[82:83], v[80:81], v[128:129], -v[130:131]
	scratch_load_b128 v[128:131], off, off offset:448
	v_add_f64_e32 v[4:5], v[4:5], v[12:13]
	v_add_f64_e32 v[12:13], v[132:133], v[138:139]
	ds_load_b128 v[132:135], v2 offset:800
	s_wait_loadcnt_dscnt 0xb01
	v_mul_f64_e32 v[140:141], v[124:125], v[78:79]
	v_mul_f64_e32 v[142:143], v[126:127], v[78:79]
	ds_load_b128 v[78:81], v2 offset:784
	s_wait_loadcnt_dscnt 0xa00
	v_mul_f64_e32 v[138:139], v[78:79], v[114:115]
	v_mul_f64_e32 v[114:115], v[80:81], v[114:115]
	v_add_f64_e32 v[4:5], v[4:5], v[82:83]
	v_add_f64_e32 v[12:13], v[12:13], v[136:137]
	s_wait_loadcnt 0x9
	v_mul_f64_e32 v[136:137], v[132:133], v[86:87]
	v_fmac_f64_e32 v[140:141], v[126:127], v[76:77]
	v_fma_f64 v[76:77], v[124:125], v[76:77], -v[142:143]
	scratch_load_b128 v[124:127], off, off offset:464
	v_mul_f64_e32 v[86:87], v[134:135], v[86:87]
	v_fmac_f64_e32 v[138:139], v[80:81], v[112:113]
	v_fma_f64 v[142:143], v[78:79], v[112:113], -v[114:115]
	scratch_load_b128 v[80:83], off, off offset:480
	ds_load_b128 v[112:115], v2 offset:832
	v_fmac_f64_e32 v[136:137], v[134:135], v[84:85]
	v_add_f64_e32 v[12:13], v[12:13], v[140:141]
	v_add_f64_e32 v[4:5], v[4:5], v[76:77]
	ds_load_b128 v[76:79], v2 offset:816
	v_fma_f64 v[84:85], v[132:133], v[84:85], -v[86:87]
	s_wait_loadcnt_dscnt 0x901
	v_mul_f64_e32 v[132:133], v[112:113], v[94:95]
	v_mul_f64_e32 v[94:95], v[114:115], v[94:95]
	s_wait_dscnt 0x0
	v_mul_f64_e32 v[140:141], v[76:77], v[90:91]
	v_mul_f64_e32 v[90:91], v[78:79], v[90:91]
	v_add_f64_e32 v[12:13], v[12:13], v[138:139]
	v_add_f64_e32 v[4:5], v[4:5], v[142:143]
	v_fmac_f64_e32 v[132:133], v[114:115], v[92:93]
	v_fma_f64 v[92:93], v[112:113], v[92:93], -v[94:95]
	v_fmac_f64_e32 v[140:141], v[78:79], v[88:89]
	v_fma_f64 v[88:89], v[76:77], v[88:89], -v[90:91]
	v_add_f64_e32 v[12:13], v[12:13], v[136:137]
	v_add_f64_e32 v[4:5], v[4:5], v[84:85]
	ds_load_b128 v[76:79], v2 offset:848
	ds_load_b128 v[84:87], v2 offset:864
	s_wait_loadcnt_dscnt 0x801
	v_mul_f64_e32 v[134:135], v[76:77], v[98:99]
	v_mul_f64_e32 v[90:91], v[78:79], v[98:99]
	s_wait_loadcnt_dscnt 0x700
	v_mul_f64_e32 v[94:95], v[84:85], v[102:103]
	v_mul_f64_e32 v[98:99], v[86:87], v[102:103]
	v_add_f64_e32 v[12:13], v[12:13], v[140:141]
	v_add_f64_e32 v[4:5], v[4:5], v[88:89]
	v_fmac_f64_e32 v[134:135], v[78:79], v[96:97]
	v_fma_f64 v[96:97], v[76:77], v[96:97], -v[90:91]
	ds_load_b128 v[76:79], v2 offset:880
	ds_load_b128 v[88:91], v2 offset:896
	v_fmac_f64_e32 v[94:95], v[86:87], v[100:101]
	v_fma_f64 v[84:85], v[84:85], v[100:101], -v[98:99]
	v_add_f64_e32 v[12:13], v[12:13], v[132:133]
	v_add_f64_e32 v[4:5], v[4:5], v[92:93]
	s_wait_loadcnt_dscnt 0x601
	v_mul_f64_e32 v[92:93], v[76:77], v[106:107]
	v_mul_f64_e32 v[102:103], v[78:79], v[106:107]
	s_wait_loadcnt_dscnt 0x500
	v_mul_f64_e32 v[98:99], v[90:91], v[110:111]
	v_add_f64_e32 v[12:13], v[12:13], v[134:135]
	v_add_f64_e32 v[4:5], v[4:5], v[96:97]
	v_mul_f64_e32 v[96:97], v[88:89], v[110:111]
	v_fmac_f64_e32 v[92:93], v[78:79], v[104:105]
	v_fma_f64 v[100:101], v[76:77], v[104:105], -v[102:103]
	v_fma_f64 v[88:89], v[88:89], v[108:109], -v[98:99]
	v_add_f64_e32 v[12:13], v[12:13], v[94:95]
	v_add_f64_e32 v[4:5], v[4:5], v[84:85]
	ds_load_b128 v[76:79], v2 offset:912
	ds_load_b128 v[84:87], v2 offset:928
	v_fmac_f64_e32 v[96:97], v[90:91], v[108:109]
	s_wait_loadcnt_dscnt 0x401
	v_mul_f64_e32 v[94:95], v[76:77], v[118:119]
	v_mul_f64_e32 v[102:103], v[78:79], v[118:119]
	s_wait_loadcnt_dscnt 0x300
	v_mul_f64_e32 v[90:91], v[84:85], v[10:11]
	v_add_f64_e32 v[12:13], v[12:13], v[92:93]
	v_add_f64_e32 v[4:5], v[4:5], v[100:101]
	v_mul_f64_e32 v[92:93], v[86:87], v[10:11]
	v_fmac_f64_e32 v[94:95], v[78:79], v[116:117]
	v_fma_f64 v[98:99], v[76:77], v[116:117], -v[102:103]
	v_fmac_f64_e32 v[90:91], v[86:87], v[8:9]
	v_add_f64_e32 v[4:5], v[4:5], v[88:89]
	v_add_f64_e32 v[88:89], v[12:13], v[96:97]
	ds_load_b128 v[10:13], v2 offset:944
	ds_load_b128 v[76:79], v2 offset:960
	v_fma_f64 v[8:9], v[84:85], v[8:9], -v[92:93]
	s_wait_loadcnt_dscnt 0x201
	v_mul_f64_e32 v[96:97], v[10:11], v[130:131]
	v_mul_f64_e32 v[100:101], v[12:13], v[130:131]
	v_add_f64_e32 v[4:5], v[4:5], v[98:99]
	v_add_f64_e32 v[84:85], v[88:89], v[94:95]
	s_wait_loadcnt_dscnt 0x100
	v_mul_f64_e32 v[86:87], v[76:77], v[126:127]
	v_mul_f64_e32 v[88:89], v[78:79], v[126:127]
	v_fmac_f64_e32 v[96:97], v[12:13], v[128:129]
	v_fma_f64 v[12:13], v[10:11], v[128:129], -v[100:101]
	v_add_f64_e32 v[4:5], v[4:5], v[8:9]
	v_add_f64_e32 v[84:85], v[84:85], v[90:91]
	ds_load_b128 v[8:11], v2 offset:976
	v_fmac_f64_e32 v[86:87], v[78:79], v[124:125]
	v_fma_f64 v[76:77], v[76:77], v[124:125], -v[88:89]
	s_wait_loadcnt_dscnt 0x0
	v_mul_f64_e32 v[90:91], v[8:9], v[82:83]
	v_mul_f64_e32 v[82:83], v[10:11], v[82:83]
	v_add_f64_e32 v[4:5], v[4:5], v[12:13]
	v_add_f64_e32 v[12:13], v[84:85], v[96:97]
	s_delay_alu instid0(VALU_DEP_4) | instskip(NEXT) | instid1(VALU_DEP_4)
	v_fmac_f64_e32 v[90:91], v[10:11], v[80:81]
	v_fma_f64 v[8:9], v[8:9], v[80:81], -v[82:83]
	s_delay_alu instid0(VALU_DEP_4) | instskip(NEXT) | instid1(VALU_DEP_4)
	v_add_f64_e32 v[4:5], v[4:5], v[76:77]
	v_add_f64_e32 v[10:11], v[12:13], v[86:87]
	s_delay_alu instid0(VALU_DEP_2) | instskip(NEXT) | instid1(VALU_DEP_2)
	v_add_f64_e32 v[4:5], v[4:5], v[8:9]
	v_add_f64_e32 v[10:11], v[10:11], v[90:91]
	s_delay_alu instid0(VALU_DEP_2) | instskip(NEXT) | instid1(VALU_DEP_2)
	v_add_f64_e64 v[8:9], v[120:121], -v[4:5]
	v_add_f64_e64 v[10:11], v[122:123], -v[10:11]
	scratch_store_b128 off, v[8:11], off offset:48
	s_wait_xcnt 0x0
	v_cmpx_lt_u32_e32 2, v1
	s_cbranch_execz .LBB30_195
; %bb.194:
	scratch_load_b128 v[8:11], off, s8
	v_dual_mov_b32 v3, v2 :: v_dual_mov_b32 v4, v2
	v_mov_b32_e32 v5, v2
	scratch_store_b128 off, v[2:5], off offset:32
	s_wait_loadcnt 0x0
	ds_store_b128 v6, v[8:11]
.LBB30_195:
	s_wait_xcnt 0x0
	s_or_b32 exec_lo, exec_lo, s2
	s_wait_storecnt_dscnt 0x0
	s_barrier_signal -1
	s_barrier_wait -1
	s_clause 0x9
	scratch_load_b128 v[8:11], off, off offset:48
	scratch_load_b128 v[76:79], off, off offset:64
	;; [unrolled: 1-line block ×10, first 2 shown]
	ds_load_b128 v[112:115], v2 offset:544
	ds_load_b128 v[116:119], v2 offset:560
	s_clause 0x1
	scratch_load_b128 v[120:123], off, off offset:208
	scratch_load_b128 v[124:127], off, off offset:32
	s_mov_b32 s2, exec_lo
	v_ashrrev_i32_e32 v21, 31, v20
	v_ashrrev_i32_e32 v25, 31, v24
	;; [unrolled: 1-line block ×3, first 2 shown]
	v_dual_ashrrev_i32 v33, 31, v32 :: v_dual_ashrrev_i32 v19, 31, v18
	v_dual_ashrrev_i32 v23, 31, v22 :: v_dual_ashrrev_i32 v37, 31, v36
	;; [unrolled: 1-line block ×10, first 2 shown]
	v_ashrrev_i32_e32 v59, 31, v58
	v_ashrrev_i32_e32 v63, 31, v62
	v_dual_ashrrev_i32 v67, 31, v66 :: v_dual_ashrrev_i32 v73, 31, v72
	v_ashrrev_i32_e32 v71, 31, v70
	v_ashrrev_i32_e32 v75, 31, v74
	s_wait_loadcnt_dscnt 0xb01
	v_mul_f64_e32 v[4:5], v[114:115], v[10:11]
	v_mul_f64_e32 v[136:137], v[112:113], v[10:11]
	scratch_load_b128 v[10:13], off, off offset:224
	s_wait_loadcnt_dscnt 0xb00
	v_mul_f64_e32 v[138:139], v[116:117], v[78:79]
	v_mul_f64_e32 v[78:79], v[118:119], v[78:79]
	v_fma_f64 v[4:5], v[112:113], v[8:9], -v[4:5]
	v_fmac_f64_e32 v[136:137], v[114:115], v[8:9]
	ds_load_b128 v[112:115], v2 offset:576
	ds_load_b128 v[128:131], v2 offset:592
	scratch_load_b128 v[132:135], off, off offset:240
	v_fmac_f64_e32 v[138:139], v[118:119], v[76:77]
	v_fma_f64 v[116:117], v[116:117], v[76:77], -v[78:79]
	scratch_load_b128 v[76:79], off, off offset:256
	s_wait_loadcnt_dscnt 0xc01
	v_mul_f64_e32 v[8:9], v[112:113], v[82:83]
	v_mul_f64_e32 v[82:83], v[114:115], v[82:83]
	v_add_f64_e32 v[4:5], 0, v[4:5]
	v_add_f64_e32 v[118:119], 0, v[136:137]
	s_wait_loadcnt_dscnt 0xb00
	v_mul_f64_e32 v[136:137], v[128:129], v[86:87]
	v_mul_f64_e32 v[86:87], v[130:131], v[86:87]
	v_fmac_f64_e32 v[8:9], v[114:115], v[80:81]
	v_fma_f64 v[140:141], v[112:113], v[80:81], -v[82:83]
	ds_load_b128 v[80:83], v2 offset:608
	ds_load_b128 v[112:115], v2 offset:624
	v_add_f64_e32 v[4:5], v[4:5], v[116:117]
	v_add_f64_e32 v[138:139], v[118:119], v[138:139]
	scratch_load_b128 v[116:119], off, off offset:272
	v_fmac_f64_e32 v[136:137], v[130:131], v[84:85]
	v_fma_f64 v[128:129], v[128:129], v[84:85], -v[86:87]
	scratch_load_b128 v[84:87], off, off offset:288
	s_wait_loadcnt_dscnt 0xc01
	v_mul_f64_e32 v[142:143], v[80:81], v[90:91]
	v_mul_f64_e32 v[90:91], v[82:83], v[90:91]
	v_add_f64_e32 v[4:5], v[4:5], v[140:141]
	v_add_f64_e32 v[8:9], v[138:139], v[8:9]
	s_wait_loadcnt_dscnt 0xb00
	v_mul_f64_e32 v[138:139], v[112:113], v[94:95]
	v_mul_f64_e32 v[94:95], v[114:115], v[94:95]
	v_fmac_f64_e32 v[142:143], v[82:83], v[88:89]
	v_fma_f64 v[140:141], v[80:81], v[88:89], -v[90:91]
	ds_load_b128 v[80:83], v2 offset:640
	ds_load_b128 v[88:91], v2 offset:656
	v_add_f64_e32 v[4:5], v[4:5], v[128:129]
	v_add_f64_e32 v[8:9], v[8:9], v[136:137]
	scratch_load_b128 v[128:131], off, off offset:304
	v_fmac_f64_e32 v[138:139], v[114:115], v[92:93]
	v_fma_f64 v[112:113], v[112:113], v[92:93], -v[94:95]
	s_wait_loadcnt_dscnt 0xb01
	v_mul_f64_e32 v[136:137], v[80:81], v[98:99]
	v_mul_f64_e32 v[98:99], v[82:83], v[98:99]
	scratch_load_b128 v[92:95], off, off offset:320
	v_add_f64_e32 v[4:5], v[4:5], v[140:141]
	v_add_f64_e32 v[8:9], v[8:9], v[142:143]
	s_wait_loadcnt_dscnt 0xb00
	v_mul_f64_e32 v[140:141], v[88:89], v[102:103]
	v_mul_f64_e32 v[102:103], v[90:91], v[102:103]
	v_fmac_f64_e32 v[136:137], v[82:83], v[96:97]
	v_fma_f64 v[142:143], v[80:81], v[96:97], -v[98:99]
	ds_load_b128 v[80:83], v2 offset:672
	ds_load_b128 v[96:99], v2 offset:688
	v_add_f64_e32 v[4:5], v[4:5], v[112:113]
	v_add_f64_e32 v[8:9], v[8:9], v[138:139]
	scratch_load_b128 v[112:115], off, off offset:336
	v_fmac_f64_e32 v[140:141], v[90:91], v[100:101]
	v_fma_f64 v[100:101], v[88:89], v[100:101], -v[102:103]
	s_wait_loadcnt_dscnt 0xb01
	v_mul_f64_e32 v[138:139], v[80:81], v[106:107]
	v_mul_f64_e32 v[102:103], v[82:83], v[106:107]
	scratch_load_b128 v[88:91], off, off offset:352
	v_add_f64_e32 v[4:5], v[4:5], v[142:143]
	v_add_f64_e32 v[8:9], v[8:9], v[136:137]
	s_wait_loadcnt_dscnt 0xb00
	v_mul_f64_e32 v[136:137], v[96:97], v[110:111]
	v_mul_f64_e32 v[110:111], v[98:99], v[110:111]
	v_fmac_f64_e32 v[138:139], v[82:83], v[104:105]
	v_fma_f64 v[142:143], v[80:81], v[104:105], -v[102:103]
	v_add_f64_e32 v[4:5], v[4:5], v[100:101]
	v_add_f64_e32 v[8:9], v[8:9], v[140:141]
	ds_load_b128 v[80:83], v2 offset:704
	ds_load_b128 v[100:103], v2 offset:720
	scratch_load_b128 v[104:107], off, off offset:368
	v_fmac_f64_e32 v[136:137], v[98:99], v[108:109]
	v_fma_f64 v[108:109], v[96:97], v[108:109], -v[110:111]
	scratch_load_b128 v[96:99], off, off offset:384
	s_wait_loadcnt_dscnt 0xc01
	v_mul_f64_e32 v[140:141], v[80:81], v[122:123]
	v_mul_f64_e32 v[110:111], v[82:83], v[122:123]
	v_add_f64_e32 v[4:5], v[4:5], v[142:143]
	v_add_f64_e32 v[8:9], v[8:9], v[138:139]
	s_wait_loadcnt_dscnt 0xa00
	v_mul_f64_e32 v[138:139], v[100:101], v[12:13]
	v_mul_f64_e32 v[12:13], v[102:103], v[12:13]
	v_fmac_f64_e32 v[140:141], v[82:83], v[120:121]
	v_fma_f64 v[142:143], v[80:81], v[120:121], -v[110:111]
	v_add_f64_e32 v[4:5], v[4:5], v[108:109]
	v_add_f64_e32 v[8:9], v[8:9], v[136:137]
	ds_load_b128 v[80:83], v2 offset:736
	ds_load_b128 v[108:111], v2 offset:752
	scratch_load_b128 v[120:123], off, off offset:400
	v_fmac_f64_e32 v[138:139], v[102:103], v[10:11]
	v_fma_f64 v[12:13], v[100:101], v[10:11], -v[12:13]
	s_wait_loadcnt_dscnt 0xa01
	v_mul_f64_e32 v[136:137], v[80:81], v[134:135]
	v_mul_f64_e32 v[100:101], v[82:83], v[134:135]
	v_add_f64_e32 v[4:5], v[4:5], v[142:143]
	v_add_f64_e32 v[102:103], v[8:9], v[140:141]
	scratch_load_b128 v[8:11], off, off offset:416
	s_wait_loadcnt_dscnt 0xa00
	v_mul_f64_e32 v[140:141], v[108:109], v[78:79]
	v_mul_f64_e32 v[142:143], v[110:111], v[78:79]
	v_fmac_f64_e32 v[136:137], v[82:83], v[132:133]
	v_fma_f64 v[82:83], v[80:81], v[132:133], -v[100:101]
	v_add_f64_e32 v[4:5], v[4:5], v[12:13]
	v_add_f64_e32 v[12:13], v[102:103], v[138:139]
	ds_load_b128 v[78:81], v2 offset:768
	ds_load_b128 v[100:103], v2 offset:784
	scratch_load_b128 v[132:135], off, off offset:432
	v_fmac_f64_e32 v[140:141], v[110:111], v[76:77]
	v_fma_f64 v[76:77], v[108:109], v[76:77], -v[142:143]
	scratch_load_b128 v[108:111], off, off offset:448
	s_wait_loadcnt_dscnt 0xb01
	v_mul_f64_e32 v[138:139], v[78:79], v[118:119]
	v_mul_f64_e32 v[118:119], v[80:81], v[118:119]
	v_add_f64_e32 v[4:5], v[4:5], v[82:83]
	v_add_f64_e32 v[12:13], v[12:13], v[136:137]
	s_wait_loadcnt_dscnt 0xa00
	v_mul_f64_e32 v[136:137], v[100:101], v[86:87]
	v_mul_f64_e32 v[86:87], v[102:103], v[86:87]
	v_fmac_f64_e32 v[138:139], v[80:81], v[116:117]
	v_fma_f64 v[142:143], v[78:79], v[116:117], -v[118:119]
	v_add_f64_e32 v[4:5], v[4:5], v[76:77]
	v_add_f64_e32 v[12:13], v[12:13], v[140:141]
	ds_load_b128 v[76:79], v2 offset:800
	ds_load_b128 v[80:83], v2 offset:816
	scratch_load_b128 v[116:119], off, off offset:464
	v_fmac_f64_e32 v[136:137], v[102:103], v[84:85]
	v_fma_f64 v[100:101], v[100:101], v[84:85], -v[86:87]
	scratch_load_b128 v[84:87], off, off offset:480
	s_wait_loadcnt_dscnt 0xb01
	v_mul_f64_e32 v[140:141], v[76:77], v[130:131]
	v_mul_f64_e32 v[102:103], v[78:79], v[130:131]
	s_wait_loadcnt_dscnt 0xa00
	v_mul_f64_e32 v[130:131], v[80:81], v[94:95]
	v_mul_f64_e32 v[94:95], v[82:83], v[94:95]
	v_add_f64_e32 v[4:5], v[4:5], v[142:143]
	v_add_f64_e32 v[12:13], v[12:13], v[138:139]
	v_fmac_f64_e32 v[140:141], v[78:79], v[128:129]
	v_fma_f64 v[128:129], v[76:77], v[128:129], -v[102:103]
	v_fmac_f64_e32 v[130:131], v[82:83], v[92:93]
	v_fma_f64 v[80:81], v[80:81], v[92:93], -v[94:95]
	v_add_f64_e32 v[4:5], v[4:5], v[100:101]
	v_add_f64_e32 v[12:13], v[12:13], v[136:137]
	ds_load_b128 v[76:79], v2 offset:832
	ds_load_b128 v[100:103], v2 offset:848
	s_wait_loadcnt_dscnt 0x901
	v_mul_f64_e32 v[136:137], v[76:77], v[114:115]
	v_mul_f64_e32 v[114:115], v[78:79], v[114:115]
	s_wait_loadcnt_dscnt 0x800
	v_mul_f64_e32 v[92:93], v[100:101], v[90:91]
	v_mul_f64_e32 v[90:91], v[102:103], v[90:91]
	v_add_f64_e32 v[4:5], v[4:5], v[128:129]
	v_add_f64_e32 v[12:13], v[12:13], v[140:141]
	v_fmac_f64_e32 v[136:137], v[78:79], v[112:113]
	v_fma_f64 v[94:95], v[76:77], v[112:113], -v[114:115]
	v_fmac_f64_e32 v[92:93], v[102:103], v[88:89]
	v_fma_f64 v[88:89], v[100:101], v[88:89], -v[90:91]
	v_add_f64_e32 v[4:5], v[4:5], v[80:81]
	v_add_f64_e32 v[12:13], v[12:13], v[130:131]
	ds_load_b128 v[76:79], v2 offset:864
	ds_load_b128 v[80:83], v2 offset:880
	s_wait_loadcnt_dscnt 0x701
	v_mul_f64_e32 v[112:113], v[76:77], v[106:107]
	v_mul_f64_e32 v[106:107], v[78:79], v[106:107]
	v_add_f64_e32 v[4:5], v[4:5], v[94:95]
	v_add_f64_e32 v[12:13], v[12:13], v[136:137]
	s_wait_loadcnt_dscnt 0x600
	v_mul_f64_e32 v[94:95], v[80:81], v[98:99]
	v_mul_f64_e32 v[98:99], v[82:83], v[98:99]
	v_fmac_f64_e32 v[112:113], v[78:79], v[104:105]
	v_fma_f64 v[100:101], v[76:77], v[104:105], -v[106:107]
	v_add_f64_e32 v[4:5], v[4:5], v[88:89]
	v_add_f64_e32 v[12:13], v[12:13], v[92:93]
	ds_load_b128 v[76:79], v2 offset:896
	ds_load_b128 v[88:91], v2 offset:912
	v_fmac_f64_e32 v[94:95], v[82:83], v[96:97]
	v_fma_f64 v[80:81], v[80:81], v[96:97], -v[98:99]
	s_wait_loadcnt_dscnt 0x501
	v_mul_f64_e32 v[92:93], v[76:77], v[122:123]
	v_mul_f64_e32 v[102:103], v[78:79], v[122:123]
	v_add_f64_e32 v[4:5], v[4:5], v[100:101]
	v_add_f64_e32 v[12:13], v[12:13], v[112:113]
	s_wait_loadcnt_dscnt 0x400
	v_mul_f64_e32 v[82:83], v[88:89], v[10:11]
	v_mul_f64_e32 v[96:97], v[90:91], v[10:11]
	v_fmac_f64_e32 v[92:93], v[78:79], v[120:121]
	v_fma_f64 v[98:99], v[76:77], v[120:121], -v[102:103]
	v_add_f64_e32 v[4:5], v[4:5], v[80:81]
	v_add_f64_e32 v[80:81], v[12:13], v[94:95]
	ds_load_b128 v[10:13], v2 offset:928
	ds_load_b128 v[76:79], v2 offset:944
	v_fmac_f64_e32 v[82:83], v[90:91], v[8:9]
	v_fma_f64 v[8:9], v[88:89], v[8:9], -v[96:97]
	s_wait_loadcnt_dscnt 0x301
	v_mul_f64_e32 v[94:95], v[10:11], v[134:135]
	v_mul_f64_e32 v[100:101], v[12:13], v[134:135]
	s_wait_loadcnt_dscnt 0x200
	v_mul_f64_e32 v[88:89], v[76:77], v[110:111]
	v_mul_f64_e32 v[90:91], v[78:79], v[110:111]
	v_add_f64_e32 v[4:5], v[4:5], v[98:99]
	v_add_f64_e32 v[80:81], v[80:81], v[92:93]
	v_fmac_f64_e32 v[94:95], v[12:13], v[132:133]
	v_fma_f64 v[12:13], v[10:11], v[132:133], -v[100:101]
	v_fmac_f64_e32 v[88:89], v[78:79], v[108:109]
	v_fma_f64 v[76:77], v[76:77], v[108:109], -v[90:91]
	v_add_f64_e32 v[92:93], v[4:5], v[8:9]
	v_add_f64_e32 v[80:81], v[80:81], v[82:83]
	ds_load_b128 v[8:11], v2 offset:960
	ds_load_b128 v[2:5], v2 offset:976
	s_wait_loadcnt_dscnt 0x101
	v_mul_f64_e32 v[82:83], v[8:9], v[118:119]
	v_mul_f64_e32 v[96:97], v[10:11], v[118:119]
	v_add_f64_e32 v[12:13], v[92:93], v[12:13]
	v_add_f64_e32 v[78:79], v[80:81], v[94:95]
	s_wait_loadcnt_dscnt 0x0
	v_mul_f64_e32 v[80:81], v[2:3], v[86:87]
	v_mul_f64_e32 v[86:87], v[4:5], v[86:87]
	v_fmac_f64_e32 v[82:83], v[10:11], v[116:117]
	v_fma_f64 v[8:9], v[8:9], v[116:117], -v[96:97]
	v_add_f64_e32 v[10:11], v[12:13], v[76:77]
	v_add_f64_e32 v[12:13], v[78:79], v[88:89]
	v_fmac_f64_e32 v[80:81], v[4:5], v[84:85]
	v_fma_f64 v[2:3], v[2:3], v[84:85], -v[86:87]
	s_delay_alu instid0(VALU_DEP_4) | instskip(NEXT) | instid1(VALU_DEP_4)
	v_add_f64_e32 v[4:5], v[10:11], v[8:9]
	v_add_f64_e32 v[8:9], v[12:13], v[82:83]
	s_delay_alu instid0(VALU_DEP_2) | instskip(NEXT) | instid1(VALU_DEP_2)
	v_add_f64_e32 v[2:3], v[4:5], v[2:3]
	v_add_f64_e32 v[4:5], v[8:9], v[80:81]
	s_delay_alu instid0(VALU_DEP_2) | instskip(NEXT) | instid1(VALU_DEP_2)
	v_add_f64_e64 v[2:3], v[124:125], -v[2:3]
	v_add_f64_e64 v[4:5], v[126:127], -v[4:5]
	scratch_store_b128 off, v[2:5], off offset:32
	s_wait_xcnt 0x0
	v_cmpx_lt_u32_e32 1, v1
	s_cbranch_execz .LBB30_197
; %bb.196:
	scratch_load_b128 v[2:5], off, s13
	v_mov_b32_e32 v8, 0
	s_delay_alu instid0(VALU_DEP_1)
	v_dual_mov_b32 v9, v8 :: v_dual_mov_b32 v10, v8
	v_mov_b32_e32 v11, v8
	scratch_store_b128 off, v[8:11], off offset:16
	s_wait_loadcnt 0x0
	ds_store_b128 v6, v[2:5]
.LBB30_197:
	s_wait_xcnt 0x0
	s_or_b32 exec_lo, exec_lo, s2
	s_wait_storecnt_dscnt 0x0
	s_barrier_signal -1
	s_barrier_wait -1
	s_clause 0x9
	scratch_load_b128 v[8:11], off, off offset:32
	scratch_load_b128 v[76:79], off, off offset:48
	;; [unrolled: 1-line block ×10, first 2 shown]
	v_mov_b32_e32 v2, 0
	s_clause 0x2
	scratch_load_b128 v[116:119], off, off offset:192
	scratch_load_b128 v[120:123], off, off offset:208
	;; [unrolled: 1-line block ×3, first 2 shown]
	s_mov_b32 s2, exec_lo
	ds_load_b128 v[112:115], v2 offset:528
	s_wait_loadcnt_dscnt 0xc00
	v_mul_f64_e32 v[4:5], v[114:115], v[10:11]
	v_mul_f64_e32 v[128:129], v[112:113], v[10:11]
	ds_load_b128 v[10:13], v2 offset:544
	v_fma_f64 v[4:5], v[112:113], v[8:9], -v[4:5]
	v_fmac_f64_e32 v[128:129], v[114:115], v[8:9]
	ds_load_b128 v[112:115], v2 offset:560
	s_wait_loadcnt_dscnt 0xb01
	v_mul_f64_e32 v[130:131], v[10:11], v[78:79]
	v_mul_f64_e32 v[78:79], v[12:13], v[78:79]
	s_wait_loadcnt_dscnt 0xa00
	v_mul_f64_e32 v[132:133], v[112:113], v[82:83]
	v_mul_f64_e32 v[82:83], v[114:115], v[82:83]
	v_add_f64_e32 v[4:5], 0, v[4:5]
	v_add_f64_e32 v[128:129], 0, v[128:129]
	v_fmac_f64_e32 v[130:131], v[12:13], v[76:77]
	v_fma_f64 v[12:13], v[10:11], v[76:77], -v[78:79]
	ds_load_b128 v[8:11], v2 offset:576
	scratch_load_b128 v[76:79], off, off offset:240
	v_fmac_f64_e32 v[132:133], v[114:115], v[80:81]
	v_fma_f64 v[136:137], v[112:113], v[80:81], -v[82:83]
	ds_load_b128 v[80:83], v2 offset:592
	s_wait_loadcnt_dscnt 0xa01
	v_mul_f64_e32 v[134:135], v[8:9], v[86:87]
	v_mul_f64_e32 v[86:87], v[10:11], v[86:87]
	scratch_load_b128 v[112:115], off, off offset:256
	v_add_f64_e32 v[4:5], v[4:5], v[12:13]
	v_add_f64_e32 v[12:13], v[128:129], v[130:131]
	s_wait_loadcnt_dscnt 0xa00
	v_mul_f64_e32 v[128:129], v[80:81], v[90:91]
	v_mul_f64_e32 v[90:91], v[82:83], v[90:91]
	v_fmac_f64_e32 v[134:135], v[10:11], v[84:85]
	v_fma_f64 v[130:131], v[8:9], v[84:85], -v[86:87]
	ds_load_b128 v[8:11], v2 offset:608
	scratch_load_b128 v[84:87], off, off offset:272
	v_add_f64_e32 v[4:5], v[4:5], v[136:137]
	v_add_f64_e32 v[12:13], v[12:13], v[132:133]
	v_fmac_f64_e32 v[128:129], v[82:83], v[88:89]
	v_fma_f64 v[136:137], v[80:81], v[88:89], -v[90:91]
	ds_load_b128 v[80:83], v2 offset:624
	s_wait_loadcnt_dscnt 0xa01
	v_mul_f64_e32 v[132:133], v[8:9], v[94:95]
	v_mul_f64_e32 v[94:95], v[10:11], v[94:95]
	scratch_load_b128 v[88:91], off, off offset:288
	v_add_f64_e32 v[4:5], v[4:5], v[130:131]
	v_add_f64_e32 v[12:13], v[12:13], v[134:135]
	s_wait_loadcnt_dscnt 0xa00
	v_mul_f64_e32 v[130:131], v[80:81], v[98:99]
	v_mul_f64_e32 v[98:99], v[82:83], v[98:99]
	v_fmac_f64_e32 v[132:133], v[10:11], v[92:93]
	v_fma_f64 v[134:135], v[8:9], v[92:93], -v[94:95]
	ds_load_b128 v[8:11], v2 offset:640
	scratch_load_b128 v[92:95], off, off offset:304
	v_add_f64_e32 v[4:5], v[4:5], v[136:137]
	v_add_f64_e32 v[12:13], v[12:13], v[128:129]
	v_fmac_f64_e32 v[130:131], v[82:83], v[96:97]
	v_fma_f64 v[136:137], v[80:81], v[96:97], -v[98:99]
	ds_load_b128 v[80:83], v2 offset:656
	s_wait_loadcnt_dscnt 0xa01
	v_mul_f64_e32 v[128:129], v[8:9], v[102:103]
	v_mul_f64_e32 v[102:103], v[10:11], v[102:103]
	scratch_load_b128 v[96:99], off, off offset:320
	v_add_f64_e32 v[4:5], v[4:5], v[134:135]
	v_add_f64_e32 v[12:13], v[12:13], v[132:133]
	s_wait_loadcnt_dscnt 0xa00
	v_mul_f64_e32 v[132:133], v[80:81], v[106:107]
	v_mul_f64_e32 v[106:107], v[82:83], v[106:107]
	v_fmac_f64_e32 v[128:129], v[10:11], v[100:101]
	v_fma_f64 v[134:135], v[8:9], v[100:101], -v[102:103]
	scratch_load_b128 v[100:103], off, off offset:336
	ds_load_b128 v[8:11], v2 offset:672
	v_add_f64_e32 v[4:5], v[4:5], v[136:137]
	v_add_f64_e32 v[12:13], v[12:13], v[130:131]
	v_fmac_f64_e32 v[132:133], v[82:83], v[104:105]
	v_fma_f64 v[136:137], v[80:81], v[104:105], -v[106:107]
	ds_load_b128 v[80:83], v2 offset:688
	s_wait_loadcnt_dscnt 0xa01
	v_mul_f64_e32 v[130:131], v[8:9], v[110:111]
	v_mul_f64_e32 v[110:111], v[10:11], v[110:111]
	scratch_load_b128 v[104:107], off, off offset:352
	v_add_f64_e32 v[4:5], v[4:5], v[134:135]
	v_add_f64_e32 v[12:13], v[12:13], v[128:129]
	s_wait_loadcnt_dscnt 0xa00
	v_mul_f64_e32 v[128:129], v[80:81], v[118:119]
	v_mul_f64_e32 v[118:119], v[82:83], v[118:119]
	v_fmac_f64_e32 v[130:131], v[10:11], v[108:109]
	v_fma_f64 v[134:135], v[8:9], v[108:109], -v[110:111]
	ds_load_b128 v[8:11], v2 offset:704
	scratch_load_b128 v[108:111], off, off offset:368
	v_add_f64_e32 v[4:5], v[4:5], v[136:137]
	v_add_f64_e32 v[12:13], v[12:13], v[132:133]
	v_fmac_f64_e32 v[128:129], v[82:83], v[116:117]
	v_fma_f64 v[136:137], v[80:81], v[116:117], -v[118:119]
	ds_load_b128 v[80:83], v2 offset:720
	s_wait_loadcnt_dscnt 0xa01
	v_mul_f64_e32 v[132:133], v[8:9], v[122:123]
	v_mul_f64_e32 v[122:123], v[10:11], v[122:123]
	scratch_load_b128 v[116:119], off, off offset:384
	v_add_f64_e32 v[4:5], v[4:5], v[134:135]
	v_add_f64_e32 v[12:13], v[12:13], v[130:131]
	s_wait_loadcnt_dscnt 0xa00
	v_mul_f64_e32 v[130:131], v[80:81], v[126:127]
	v_mul_f64_e32 v[126:127], v[82:83], v[126:127]
	v_fmac_f64_e32 v[132:133], v[10:11], v[120:121]
	v_fma_f64 v[134:135], v[8:9], v[120:121], -v[122:123]
	ds_load_b128 v[8:11], v2 offset:736
	scratch_load_b128 v[120:123], off, off offset:400
	v_add_f64_e32 v[4:5], v[4:5], v[136:137]
	v_add_f64_e32 v[12:13], v[12:13], v[128:129]
	s_wait_loadcnt_dscnt 0xa00
	v_mul_f64_e32 v[136:137], v[8:9], v[78:79]
	v_mul_f64_e32 v[128:129], v[10:11], v[78:79]
	v_fmac_f64_e32 v[130:131], v[82:83], v[124:125]
	v_fma_f64 v[82:83], v[80:81], v[124:125], -v[126:127]
	ds_load_b128 v[78:81], v2 offset:752
	scratch_load_b128 v[124:127], off, off offset:416
	v_add_f64_e32 v[4:5], v[4:5], v[134:135]
	v_add_f64_e32 v[12:13], v[12:13], v[132:133]
	v_fmac_f64_e32 v[136:137], v[10:11], v[76:77]
	v_fma_f64 v[76:77], v[8:9], v[76:77], -v[128:129]
	ds_load_b128 v[8:11], v2 offset:768
	s_wait_loadcnt_dscnt 0xa01
	v_mul_f64_e32 v[132:133], v[78:79], v[114:115]
	v_mul_f64_e32 v[114:115], v[80:81], v[114:115]
	s_wait_loadcnt_dscnt 0x900
	v_mul_f64_e32 v[134:135], v[8:9], v[86:87]
	v_mul_f64_e32 v[86:87], v[10:11], v[86:87]
	v_add_f64_e32 v[4:5], v[4:5], v[82:83]
	v_add_f64_e32 v[12:13], v[12:13], v[130:131]
	scratch_load_b128 v[128:131], off, off offset:432
	v_fmac_f64_e32 v[132:133], v[80:81], v[112:113]
	v_fma_f64 v[112:113], v[78:79], v[112:113], -v[114:115]
	scratch_load_b128 v[80:83], off, off offset:448
	v_fmac_f64_e32 v[134:135], v[10:11], v[84:85]
	v_add_f64_e32 v[4:5], v[4:5], v[76:77]
	v_add_f64_e32 v[12:13], v[12:13], v[136:137]
	ds_load_b128 v[76:79], v2 offset:784
	v_fma_f64 v[136:137], v[8:9], v[84:85], -v[86:87]
	ds_load_b128 v[8:11], v2 offset:800
	scratch_load_b128 v[84:87], off, off offset:464
	s_wait_loadcnt_dscnt 0xb01
	v_mul_f64_e32 v[114:115], v[76:77], v[90:91]
	v_mul_f64_e32 v[90:91], v[78:79], v[90:91]
	v_add_f64_e32 v[4:5], v[4:5], v[112:113]
	v_add_f64_e32 v[12:13], v[12:13], v[132:133]
	s_wait_loadcnt_dscnt 0xa00
	v_mul_f64_e32 v[112:113], v[8:9], v[94:95]
	v_mul_f64_e32 v[94:95], v[10:11], v[94:95]
	v_fmac_f64_e32 v[114:115], v[78:79], v[88:89]
	v_fma_f64 v[132:133], v[76:77], v[88:89], -v[90:91]
	ds_load_b128 v[76:79], v2 offset:816
	scratch_load_b128 v[88:91], off, off offset:480
	v_add_f64_e32 v[4:5], v[4:5], v[136:137]
	v_add_f64_e32 v[12:13], v[12:13], v[134:135]
	v_fmac_f64_e32 v[112:113], v[10:11], v[92:93]
	v_fma_f64 v[92:93], v[8:9], v[92:93], -v[94:95]
	ds_load_b128 v[8:11], v2 offset:832
	s_wait_loadcnt_dscnt 0x900
	v_mul_f64_e32 v[94:95], v[10:11], v[102:103]
	v_add_f64_e32 v[4:5], v[4:5], v[132:133]
	v_add_f64_e32 v[12:13], v[12:13], v[114:115]
	v_mul_f64_e32 v[114:115], v[8:9], v[102:103]
	s_delay_alu instid0(VALU_DEP_3) | instskip(NEXT) | instid1(VALU_DEP_3)
	v_add_f64_e32 v[4:5], v[4:5], v[92:93]
	v_add_f64_e32 v[12:13], v[12:13], v[112:113]
	s_delay_alu instid0(VALU_DEP_3)
	v_fmac_f64_e32 v[114:115], v[10:11], v[100:101]
	v_fma_f64 v[100:101], v[8:9], v[100:101], -v[94:95]
	scratch_load_b128 v[92:95], off, off offset:16
	v_mul_f64_e32 v[134:135], v[76:77], v[98:99]
	v_mul_f64_e32 v[98:99], v[78:79], v[98:99]
	ds_load_b128 v[8:11], v2 offset:864
	v_fmac_f64_e32 v[134:135], v[78:79], v[96:97]
	v_fma_f64 v[96:97], v[76:77], v[96:97], -v[98:99]
	ds_load_b128 v[76:79], v2 offset:848
	s_wait_loadcnt_dscnt 0x900
	v_mul_f64_e32 v[98:99], v[76:77], v[106:107]
	v_mul_f64_e32 v[102:103], v[78:79], v[106:107]
	s_wait_loadcnt 0x8
	v_mul_f64_e32 v[106:107], v[10:11], v[110:111]
	v_add_f64_e32 v[12:13], v[12:13], v[134:135]
	v_add_f64_e32 v[4:5], v[4:5], v[96:97]
	v_mul_f64_e32 v[96:97], v[8:9], v[110:111]
	v_fmac_f64_e32 v[98:99], v[78:79], v[104:105]
	v_fma_f64 v[102:103], v[76:77], v[104:105], -v[102:103]
	ds_load_b128 v[76:79], v2 offset:880
	v_fma_f64 v[106:107], v[8:9], v[108:109], -v[106:107]
	v_add_f64_e32 v[12:13], v[12:13], v[114:115]
	v_add_f64_e32 v[4:5], v[4:5], v[100:101]
	v_fmac_f64_e32 v[96:97], v[10:11], v[108:109]
	ds_load_b128 v[8:11], v2 offset:896
	s_wait_loadcnt_dscnt 0x701
	v_mul_f64_e32 v[100:101], v[76:77], v[118:119]
	v_mul_f64_e32 v[104:105], v[78:79], v[118:119]
	v_add_f64_e32 v[12:13], v[12:13], v[98:99]
	v_add_f64_e32 v[4:5], v[4:5], v[102:103]
	s_wait_loadcnt_dscnt 0x600
	v_mul_f64_e32 v[98:99], v[8:9], v[122:123]
	v_mul_f64_e32 v[102:103], v[10:11], v[122:123]
	v_fmac_f64_e32 v[100:101], v[78:79], v[116:117]
	v_fma_f64 v[104:105], v[76:77], v[116:117], -v[104:105]
	ds_load_b128 v[76:79], v2 offset:912
	v_add_f64_e32 v[12:13], v[12:13], v[96:97]
	v_add_f64_e32 v[4:5], v[4:5], v[106:107]
	v_fmac_f64_e32 v[98:99], v[10:11], v[120:121]
	v_fma_f64 v[102:103], v[8:9], v[120:121], -v[102:103]
	ds_load_b128 v[8:11], v2 offset:928
	s_wait_loadcnt_dscnt 0x501
	v_mul_f64_e32 v[96:97], v[76:77], v[126:127]
	v_mul_f64_e32 v[106:107], v[78:79], v[126:127]
	v_add_f64_e32 v[12:13], v[12:13], v[100:101]
	v_add_f64_e32 v[4:5], v[4:5], v[104:105]
	s_wait_loadcnt_dscnt 0x400
	v_mul_f64_e32 v[100:101], v[8:9], v[130:131]
	v_mul_f64_e32 v[104:105], v[10:11], v[130:131]
	v_fmac_f64_e32 v[96:97], v[78:79], v[124:125]
	v_fma_f64 v[106:107], v[76:77], v[124:125], -v[106:107]
	ds_load_b128 v[76:79], v2 offset:944
	v_add_f64_e32 v[12:13], v[12:13], v[98:99]
	v_add_f64_e32 v[4:5], v[4:5], v[102:103]
	v_fmac_f64_e32 v[100:101], v[10:11], v[128:129]
	v_fma_f64 v[102:103], v[8:9], v[128:129], -v[104:105]
	ds_load_b128 v[8:11], v2 offset:960
	s_wait_loadcnt_dscnt 0x301
	v_mul_f64_e32 v[98:99], v[76:77], v[82:83]
	v_mul_f64_e32 v[82:83], v[78:79], v[82:83]
	v_add_f64_e32 v[12:13], v[12:13], v[96:97]
	v_add_f64_e32 v[4:5], v[4:5], v[106:107]
	s_wait_loadcnt_dscnt 0x200
	v_mul_f64_e32 v[96:97], v[8:9], v[86:87]
	v_mul_f64_e32 v[86:87], v[10:11], v[86:87]
	v_fmac_f64_e32 v[98:99], v[78:79], v[80:81]
	v_fma_f64 v[80:81], v[76:77], v[80:81], -v[82:83]
	ds_load_b128 v[76:79], v2 offset:976
	s_wait_loadcnt_dscnt 0x100
	v_mul_f64_e32 v[82:83], v[76:77], v[90:91]
	v_mul_f64_e32 v[90:91], v[78:79], v[90:91]
	v_add_f64_e32 v[12:13], v[12:13], v[100:101]
	v_add_f64_e32 v[4:5], v[4:5], v[102:103]
	v_fmac_f64_e32 v[96:97], v[10:11], v[84:85]
	v_fma_f64 v[8:9], v[8:9], v[84:85], -v[86:87]
	v_fmac_f64_e32 v[82:83], v[78:79], v[88:89]
	v_add_f64_e32 v[10:11], v[12:13], v[98:99]
	v_add_f64_e32 v[4:5], v[4:5], v[80:81]
	v_fma_f64 v[12:13], v[76:77], v[88:89], -v[90:91]
	s_delay_alu instid0(VALU_DEP_2) | instskip(NEXT) | instid1(VALU_DEP_4)
	v_add_f64_e32 v[4:5], v[4:5], v[8:9]
	v_add_f64_e32 v[8:9], v[10:11], v[96:97]
	s_delay_alu instid0(VALU_DEP_2) | instskip(NEXT) | instid1(VALU_DEP_2)
	v_add_f64_e32 v[4:5], v[4:5], v[12:13]
	v_add_f64_e32 v[10:11], v[8:9], v[82:83]
	s_wait_loadcnt 0x0
	s_delay_alu instid0(VALU_DEP_2) | instskip(NEXT) | instid1(VALU_DEP_2)
	v_add_f64_e64 v[8:9], v[92:93], -v[4:5]
	v_add_f64_e64 v[10:11], v[94:95], -v[10:11]
	scratch_store_b128 off, v[8:11], off offset:16
	s_wait_xcnt 0x0
	v_cmpx_ne_u32_e32 0, v1
	s_cbranch_execz .LBB30_199
; %bb.198:
	scratch_load_b128 v[8:11], off, off
	v_dual_mov_b32 v3, v2 :: v_dual_mov_b32 v4, v2
	v_mov_b32_e32 v5, v2
	scratch_store_b128 off, v[2:5], off
	s_wait_loadcnt 0x0
	ds_store_b128 v6, v[8:11]
.LBB30_199:
	s_wait_xcnt 0x0
	s_or_b32 exec_lo, exec_lo, s2
	s_wait_storecnt_dscnt 0x0
	s_barrier_signal -1
	s_barrier_wait -1
	s_clause 0x9
	scratch_load_b128 v[4:7], off, off offset:16
	scratch_load_b128 v[8:11], off, off offset:32
	;; [unrolled: 1-line block ×10, first 2 shown]
	ds_load_b128 v[108:111], v2 offset:512
	ds_load_b128 v[116:119], v2 offset:528
	s_clause 0x2
	scratch_load_b128 v[112:115], off, off offset:176
	scratch_load_b128 v[120:123], off, off
	scratch_load_b128 v[124:127], off, off offset:192
	s_and_b32 vcc_lo, exec_lo, s43
	s_wait_loadcnt_dscnt 0xc01
	v_mul_f64_e32 v[12:13], v[110:111], v[6:7]
	v_mul_f64_e32 v[128:129], v[108:109], v[6:7]
	s_wait_loadcnt_dscnt 0xb00
	v_mul_f64_e32 v[130:131], v[116:117], v[10:11]
	v_mul_f64_e32 v[132:133], v[118:119], v[10:11]
	s_delay_alu instid0(VALU_DEP_4) | instskip(NEXT) | instid1(VALU_DEP_4)
	v_fma_f64 v[134:135], v[108:109], v[4:5], -v[12:13]
	v_fmac_f64_e32 v[128:129], v[110:111], v[4:5]
	ds_load_b128 v[4:7], v2 offset:544
	ds_load_b128 v[10:13], v2 offset:560
	scratch_load_b128 v[108:111], off, off offset:208
	v_fmac_f64_e32 v[130:131], v[118:119], v[8:9]
	v_fma_f64 v[8:9], v[116:117], v[8:9], -v[132:133]
	scratch_load_b128 v[116:119], off, off offset:224
	s_wait_loadcnt_dscnt 0xc01
	v_mul_f64_e32 v[136:137], v[4:5], v[78:79]
	v_mul_f64_e32 v[78:79], v[6:7], v[78:79]
	v_add_f64_e32 v[132:133], 0, v[134:135]
	v_add_f64_e32 v[128:129], 0, v[128:129]
	s_wait_loadcnt_dscnt 0xb00
	v_mul_f64_e32 v[134:135], v[10:11], v[82:83]
	v_mul_f64_e32 v[82:83], v[12:13], v[82:83]
	v_fmac_f64_e32 v[136:137], v[6:7], v[76:77]
	v_fma_f64 v[138:139], v[4:5], v[76:77], -v[78:79]
	ds_load_b128 v[4:7], v2 offset:576
	ds_load_b128 v[76:79], v2 offset:592
	v_add_f64_e32 v[8:9], v[132:133], v[8:9]
	v_add_f64_e32 v[132:133], v[128:129], v[130:131]
	scratch_load_b128 v[128:131], off, off offset:240
	v_fmac_f64_e32 v[134:135], v[12:13], v[80:81]
	v_fma_f64 v[12:13], v[10:11], v[80:81], -v[82:83]
	s_wait_loadcnt_dscnt 0xb01
	v_mul_f64_e32 v[140:141], v[4:5], v[86:87]
	v_mul_f64_e32 v[80:81], v[6:7], v[86:87]
	v_add_f64_e32 v[82:83], v[8:9], v[138:139]
	v_add_f64_e32 v[86:87], v[132:133], v[136:137]
	scratch_load_b128 v[8:11], off, off offset:256
	s_wait_loadcnt_dscnt 0xb00
	v_mul_f64_e32 v[132:133], v[76:77], v[90:91]
	v_mul_f64_e32 v[90:91], v[78:79], v[90:91]
	v_fmac_f64_e32 v[140:141], v[6:7], v[84:85]
	v_fma_f64 v[136:137], v[4:5], v[84:85], -v[80:81]
	v_add_f64_e32 v[12:13], v[82:83], v[12:13]
	v_add_f64_e32 v[134:135], v[86:87], v[134:135]
	ds_load_b128 v[4:7], v2 offset:608
	ds_load_b128 v[80:83], v2 offset:624
	scratch_load_b128 v[84:87], off, off offset:272
	v_fmac_f64_e32 v[132:133], v[78:79], v[88:89]
	v_fma_f64 v[88:89], v[76:77], v[88:89], -v[90:91]
	scratch_load_b128 v[76:79], off, off offset:288
	s_wait_loadcnt_dscnt 0xc01
	v_mul_f64_e32 v[138:139], v[4:5], v[94:95]
	v_mul_f64_e32 v[90:91], v[6:7], v[94:95]
	v_add_f64_e32 v[12:13], v[12:13], v[136:137]
	v_add_f64_e32 v[94:95], v[134:135], v[140:141]
	s_wait_loadcnt_dscnt 0xb00
	v_mul_f64_e32 v[134:135], v[80:81], v[98:99]
	v_mul_f64_e32 v[98:99], v[82:83], v[98:99]
	v_fmac_f64_e32 v[138:139], v[6:7], v[92:93]
	v_fma_f64 v[136:137], v[4:5], v[92:93], -v[90:91]
	v_add_f64_e32 v[12:13], v[12:13], v[88:89]
	v_add_f64_e32 v[132:133], v[94:95], v[132:133]
	ds_load_b128 v[4:7], v2 offset:640
	ds_load_b128 v[88:91], v2 offset:656
	scratch_load_b128 v[92:95], off, off offset:304
	v_fmac_f64_e32 v[134:135], v[82:83], v[96:97]
	v_fma_f64 v[96:97], v[80:81], v[96:97], -v[98:99]
	scratch_load_b128 v[80:83], off, off offset:320
	s_wait_loadcnt_dscnt 0xc01
	v_mul_f64_e32 v[140:141], v[4:5], v[102:103]
	v_mul_f64_e32 v[98:99], v[6:7], v[102:103]
	v_add_f64_e32 v[12:13], v[12:13], v[136:137]
	v_add_f64_e32 v[102:103], v[132:133], v[138:139]
	;; [unrolled: 18-line block ×4, first 2 shown]
	s_wait_loadcnt_dscnt 0xa00
	v_mul_f64_e32 v[132:133], v[104:105], v[118:119]
	v_mul_f64_e32 v[118:119], v[106:107], v[118:119]
	v_fmac_f64_e32 v[140:141], v[6:7], v[108:109]
	v_fma_f64 v[136:137], v[4:5], v[108:109], -v[110:111]
	ds_load_b128 v[4:7], v2 offset:736
	ds_load_b128 v[108:111], v2 offset:752
	v_add_f64_e32 v[12:13], v[12:13], v[124:125]
	v_add_f64_e32 v[134:135], v[126:127], v[134:135]
	scratch_load_b128 v[124:127], off, off offset:400
	v_fmac_f64_e32 v[132:133], v[106:107], v[116:117]
	v_fma_f64 v[116:117], v[104:105], v[116:117], -v[118:119]
	scratch_load_b128 v[104:107], off, off offset:416
	s_wait_loadcnt_dscnt 0xb01
	v_mul_f64_e32 v[138:139], v[4:5], v[130:131]
	v_mul_f64_e32 v[118:119], v[6:7], v[130:131]
	v_add_f64_e32 v[12:13], v[12:13], v[136:137]
	v_add_f64_e32 v[130:131], v[134:135], v[140:141]
	s_wait_loadcnt_dscnt 0xa00
	v_mul_f64_e32 v[134:135], v[108:109], v[10:11]
	v_mul_f64_e32 v[136:137], v[110:111], v[10:11]
	v_fmac_f64_e32 v[138:139], v[6:7], v[128:129]
	v_fma_f64 v[128:129], v[4:5], v[128:129], -v[118:119]
	v_add_f64_e32 v[140:141], v[12:13], v[116:117]
	v_add_f64_e32 v[130:131], v[130:131], v[132:133]
	ds_load_b128 v[4:7], v2 offset:768
	ds_load_b128 v[10:13], v2 offset:784
	scratch_load_b128 v[116:119], off, off offset:432
	v_fmac_f64_e32 v[134:135], v[110:111], v[8:9]
	v_fma_f64 v[8:9], v[108:109], v[8:9], -v[136:137]
	scratch_load_b128 v[108:111], off, off offset:448
	s_wait_loadcnt_dscnt 0xb01
	v_mul_f64_e32 v[132:133], v[4:5], v[86:87]
	v_mul_f64_e32 v[86:87], v[6:7], v[86:87]
	s_wait_loadcnt_dscnt 0xa00
	v_mul_f64_e32 v[136:137], v[10:11], v[78:79]
	v_mul_f64_e32 v[78:79], v[12:13], v[78:79]
	v_add_f64_e32 v[128:129], v[140:141], v[128:129]
	v_add_f64_e32 v[130:131], v[130:131], v[138:139]
	v_fmac_f64_e32 v[132:133], v[6:7], v[84:85]
	v_fma_f64 v[138:139], v[4:5], v[84:85], -v[86:87]
	ds_load_b128 v[4:7], v2 offset:800
	ds_load_b128 v[84:87], v2 offset:816
	v_fmac_f64_e32 v[136:137], v[12:13], v[76:77]
	v_fma_f64 v[12:13], v[10:11], v[76:77], -v[78:79]
	v_add_f64_e32 v[8:9], v[128:129], v[8:9]
	v_add_f64_e32 v[134:135], v[130:131], v[134:135]
	scratch_load_b128 v[128:131], off, off offset:464
	s_wait_loadcnt_dscnt 0xa01
	v_mul_f64_e32 v[140:141], v[4:5], v[94:95]
	v_mul_f64_e32 v[76:77], v[6:7], v[94:95]
	v_add_f64_e32 v[78:79], v[8:9], v[138:139]
	v_add_f64_e32 v[94:95], v[134:135], v[132:133]
	scratch_load_b128 v[8:11], off, off offset:480
	s_wait_loadcnt_dscnt 0xa00
	v_mul_f64_e32 v[132:133], v[84:85], v[82:83]
	v_mul_f64_e32 v[82:83], v[86:87], v[82:83]
	v_fmac_f64_e32 v[140:141], v[6:7], v[92:93]
	v_fma_f64 v[92:93], v[4:5], v[92:93], -v[76:77]
	v_add_f64_e32 v[12:13], v[78:79], v[12:13]
	v_add_f64_e32 v[94:95], v[94:95], v[136:137]
	ds_load_b128 v[4:7], v2 offset:832
	ds_load_b128 v[76:79], v2 offset:848
	v_fmac_f64_e32 v[132:133], v[86:87], v[80:81]
	v_fma_f64 v[80:81], v[84:85], v[80:81], -v[82:83]
	s_wait_loadcnt_dscnt 0x901
	v_mul_f64_e32 v[134:135], v[4:5], v[102:103]
	v_mul_f64_e32 v[102:103], v[6:7], v[102:103]
	s_wait_loadcnt_dscnt 0x800
	v_mul_f64_e32 v[84:85], v[76:77], v[90:91]
	v_mul_f64_e32 v[86:87], v[78:79], v[90:91]
	v_add_f64_e32 v[12:13], v[12:13], v[92:93]
	v_add_f64_e32 v[82:83], v[94:95], v[140:141]
	v_fmac_f64_e32 v[134:135], v[6:7], v[100:101]
	v_fma_f64 v[90:91], v[4:5], v[100:101], -v[102:103]
	v_fmac_f64_e32 v[84:85], v[78:79], v[88:89]
	v_fma_f64 v[76:77], v[76:77], v[88:89], -v[86:87]
	v_add_f64_e32 v[12:13], v[12:13], v[80:81]
	v_add_f64_e32 v[92:93], v[82:83], v[132:133]
	ds_load_b128 v[4:7], v2 offset:864
	ds_load_b128 v[80:83], v2 offset:880
	s_wait_loadcnt_dscnt 0x701
	v_mul_f64_e32 v[94:95], v[4:5], v[114:115]
	v_mul_f64_e32 v[100:101], v[6:7], v[114:115]
	s_wait_loadcnt_dscnt 0x600
	v_mul_f64_e32 v[86:87], v[80:81], v[98:99]
	v_mul_f64_e32 v[88:89], v[82:83], v[98:99]
	v_add_f64_e32 v[12:13], v[12:13], v[90:91]
	v_add_f64_e32 v[78:79], v[92:93], v[134:135]
	v_fmac_f64_e32 v[94:95], v[6:7], v[112:113]
	v_fma_f64 v[90:91], v[4:5], v[112:113], -v[100:101]
	v_fmac_f64_e32 v[86:87], v[82:83], v[96:97]
	v_fma_f64 v[80:81], v[80:81], v[96:97], -v[88:89]
	v_add_f64_e32 v[12:13], v[12:13], v[76:77]
	v_add_f64_e32 v[84:85], v[78:79], v[84:85]
	ds_load_b128 v[4:7], v2 offset:896
	ds_load_b128 v[76:79], v2 offset:912
	s_wait_loadcnt_dscnt 0x501
	v_mul_f64_e32 v[92:93], v[4:5], v[126:127]
	v_mul_f64_e32 v[98:99], v[6:7], v[126:127]
	s_wait_loadcnt_dscnt 0x400
	v_mul_f64_e32 v[88:89], v[78:79], v[106:107]
	v_add_f64_e32 v[12:13], v[12:13], v[90:91]
	v_add_f64_e32 v[82:83], v[84:85], v[94:95]
	v_mul_f64_e32 v[84:85], v[76:77], v[106:107]
	v_fmac_f64_e32 v[92:93], v[6:7], v[124:125]
	v_fma_f64 v[90:91], v[4:5], v[124:125], -v[98:99]
	v_fma_f64 v[76:77], v[76:77], v[104:105], -v[88:89]
	v_add_f64_e32 v[12:13], v[12:13], v[80:81]
	v_add_f64_e32 v[86:87], v[82:83], v[86:87]
	ds_load_b128 v[4:7], v2 offset:928
	ds_load_b128 v[80:83], v2 offset:944
	v_fmac_f64_e32 v[84:85], v[78:79], v[104:105]
	s_wait_loadcnt_dscnt 0x301
	v_mul_f64_e32 v[94:95], v[4:5], v[118:119]
	v_mul_f64_e32 v[96:97], v[6:7], v[118:119]
	s_wait_loadcnt_dscnt 0x200
	v_mul_f64_e32 v[88:89], v[82:83], v[110:111]
	v_add_f64_e32 v[12:13], v[12:13], v[90:91]
	v_add_f64_e32 v[78:79], v[86:87], v[92:93]
	v_mul_f64_e32 v[86:87], v[80:81], v[110:111]
	v_fmac_f64_e32 v[94:95], v[6:7], v[116:117]
	v_fma_f64 v[90:91], v[4:5], v[116:117], -v[96:97]
	v_fma_f64 v[80:81], v[80:81], v[108:109], -v[88:89]
	v_add_f64_e32 v[12:13], v[12:13], v[76:77]
	v_add_f64_e32 v[84:85], v[78:79], v[84:85]
	ds_load_b128 v[4:7], v2 offset:960
	ds_load_b128 v[76:79], v2 offset:976
	v_fmac_f64_e32 v[86:87], v[82:83], v[108:109]
	s_wait_loadcnt_dscnt 0x101
	v_mul_f64_e32 v[2:3], v[4:5], v[130:131]
	v_mul_f64_e32 v[92:93], v[6:7], v[130:131]
	v_add_f64_e32 v[12:13], v[12:13], v[90:91]
	v_add_f64_e32 v[82:83], v[84:85], v[94:95]
	s_wait_loadcnt_dscnt 0x0
	v_mul_f64_e32 v[84:85], v[76:77], v[10:11]
	v_mul_f64_e32 v[10:11], v[78:79], v[10:11]
	v_fmac_f64_e32 v[2:3], v[6:7], v[128:129]
	v_fma_f64 v[4:5], v[4:5], v[128:129], -v[92:93]
	v_add_f64_e32 v[6:7], v[12:13], v[80:81]
	v_add_f64_e32 v[12:13], v[82:83], v[86:87]
	v_fmac_f64_e32 v[84:85], v[78:79], v[8:9]
	v_fma_f64 v[8:9], v[76:77], v[8:9], -v[10:11]
	v_lshl_add_u64 v[86:87], v[18:19], 4, s[4:5]
	v_lshl_add_u64 v[82:83], v[22:23], 4, s[4:5]
	;; [unrolled: 1-line block ×16, first 2 shown]
	v_add_f64_e32 v[4:5], v[6:7], v[4:5]
	v_add_f64_e32 v[2:3], v[12:13], v[2:3]
	v_lshl_add_u64 v[6:7], v[34:35], 4, s[4:5]
	v_lshl_add_u64 v[12:13], v[40:41], 4, s[4:5]
	;; [unrolled: 1-line block ×4, first 2 shown]
	v_add_f64_e32 v[4:5], v[4:5], v[8:9]
	v_add_f64_e32 v[2:3], v[2:3], v[84:85]
	v_lshl_add_u64 v[84:85], v[20:21], 4, s[4:5]
	v_lshl_add_u64 v[8:9], v[36:37], 4, s[4:5]
	;; [unrolled: 1-line block ×5, first 2 shown]
	v_add_f64_e64 v[88:89], v[120:121], -v[4:5]
	v_add_f64_e64 v[90:91], v[122:123], -v[2:3]
	v_lshl_add_u64 v[2:3], v[30:31], 4, s[4:5]
	v_lshl_add_u64 v[4:5], v[32:33], 4, s[4:5]
	;; [unrolled: 1-line block ×4, first 2 shown]
	scratch_store_b128 off, v[88:91], off
	s_cbranch_vccz .LBB30_260
; %bb.200:
	v_mov_b32_e32 v52, 0
	s_load_b64 s[2:3], s[0:1], 0x4
	v_bfe_u32 v54, v0, 10, 10
	v_bfe_u32 v0, v0, 20, 10
	global_load_b32 v53, v52, s[16:17] offset:116
	s_wait_kmcnt 0x0
	s_lshr_b32 s0, s2, 16
	v_mul_u32_u24_e32 v54, s3, v54
	s_mul_i32 s0, s0, s3
	s_delay_alu instid0(SALU_CYCLE_1) | instskip(NEXT) | instid1(VALU_DEP_1)
	v_mul_u32_u24_e32 v1, s0, v1
	v_add3_u32 v0, v1, v54, v0
	s_delay_alu instid0(VALU_DEP_1)
	v_lshl_add_u32 v0, v0, 4, 0x3e8
	s_wait_loadcnt 0x0
	v_cmp_ne_u32_e32 vcc_lo, 30, v53
	s_cbranch_vccz .LBB30_202
; %bb.201:
	v_lshlrev_b32_e32 v1, 4, v53
	s_clause 0x1
	scratch_load_b128 v[54:57], off, s20
	scratch_load_b128 v[58:61], v1, off offset:-16
	s_wait_loadcnt 0x1
	ds_store_2addr_b64 v0, v[54:55], v[56:57] offset1:1
	s_wait_loadcnt 0x0
	s_clause 0x1
	scratch_store_b128 off, v[58:61], s20
	scratch_store_b128 v1, v[54:57], off offset:-16
.LBB30_202:
	global_load_b32 v1, v52, s[16:17] offset:112
	s_wait_loadcnt 0x0
	v_cmp_eq_u32_e32 vcc_lo, 29, v1
	s_cbranch_vccnz .LBB30_204
; %bb.203:
	v_lshlrev_b32_e32 v1, 4, v1
	s_clause 0x1
	scratch_load_b128 v[52:55], off, s25
	scratch_load_b128 v[56:59], v1, off offset:-16
	s_wait_loadcnt 0x1
	ds_store_2addr_b64 v0, v[52:53], v[54:55] offset1:1
	s_wait_loadcnt 0x0
	s_clause 0x1
	scratch_store_b128 off, v[56:59], s25
	scratch_store_b128 v1, v[52:55], off offset:-16
.LBB30_204:
	s_wait_xcnt 0x0
	v_mov_b32_e32 v1, 0
	global_load_b32 v52, v1, s[16:17] offset:108
	s_wait_loadcnt 0x0
	v_cmp_eq_u32_e32 vcc_lo, 28, v52
	s_cbranch_vccnz .LBB30_206
; %bb.205:
	v_lshlrev_b32_e32 v52, 4, v52
	s_delay_alu instid0(VALU_DEP_1)
	v_mov_b32_e32 v60, v52
	s_clause 0x1
	scratch_load_b128 v[52:55], off, s10
	scratch_load_b128 v[56:59], v60, off offset:-16
	s_wait_loadcnt 0x1
	ds_store_2addr_b64 v0, v[52:53], v[54:55] offset1:1
	s_wait_loadcnt 0x0
	s_clause 0x1
	scratch_store_b128 off, v[56:59], s10
	scratch_store_b128 v60, v[52:55], off offset:-16
.LBB30_206:
	global_load_b32 v1, v1, s[16:17] offset:104
	s_wait_loadcnt 0x0
	v_cmp_eq_u32_e32 vcc_lo, 27, v1
	s_cbranch_vccnz .LBB30_208
; %bb.207:
	s_wait_xcnt 0x0
	v_lshlrev_b32_e32 v1, 4, v1
	s_clause 0x1
	scratch_load_b128 v[52:55], off, s14
	scratch_load_b128 v[56:59], v1, off offset:-16
	s_wait_loadcnt 0x1
	ds_store_2addr_b64 v0, v[52:53], v[54:55] offset1:1
	s_wait_loadcnt 0x0
	s_clause 0x1
	scratch_store_b128 off, v[56:59], s14
	scratch_store_b128 v1, v[52:55], off offset:-16
.LBB30_208:
	s_wait_xcnt 0x0
	v_mov_b32_e32 v1, 0
	global_load_b32 v52, v1, s[16:17] offset:100
	s_wait_loadcnt 0x0
	v_cmp_eq_u32_e32 vcc_lo, 26, v52
	s_cbranch_vccnz .LBB30_210
; %bb.209:
	v_lshlrev_b32_e32 v52, 4, v52
	s_delay_alu instid0(VALU_DEP_1)
	v_mov_b32_e32 v60, v52
	s_clause 0x1
	scratch_load_b128 v[52:55], off, s12
	scratch_load_b128 v[56:59], v60, off offset:-16
	s_wait_loadcnt 0x1
	ds_store_2addr_b64 v0, v[52:53], v[54:55] offset1:1
	s_wait_loadcnt 0x0
	s_clause 0x1
	scratch_store_b128 off, v[56:59], s12
	scratch_store_b128 v60, v[52:55], off offset:-16
.LBB30_210:
	global_load_b32 v1, v1, s[16:17] offset:96
	s_wait_loadcnt 0x0
	v_cmp_eq_u32_e32 vcc_lo, 25, v1
	s_cbranch_vccnz .LBB30_212
; %bb.211:
	s_wait_xcnt 0x0
	v_lshlrev_b32_e32 v1, 4, v1
	s_clause 0x1
	scratch_load_b128 v[52:55], off, s21
	scratch_load_b128 v[56:59], v1, off offset:-16
	s_wait_loadcnt 0x1
	ds_store_2addr_b64 v0, v[52:53], v[54:55] offset1:1
	s_wait_loadcnt 0x0
	s_clause 0x1
	scratch_store_b128 off, v[56:59], s21
	scratch_store_b128 v1, v[52:55], off offset:-16
.LBB30_212:
	;; [unrolled: 37-line block ×13, first 2 shown]
	s_wait_xcnt 0x0
	v_mov_b32_e32 v1, 0
	global_load_b32 v52, v1, s[16:17] offset:4
	s_wait_loadcnt 0x0
	v_cmp_eq_u32_e32 vcc_lo, 2, v52
	s_cbranch_vccnz .LBB30_258
; %bb.257:
	v_lshlrev_b32_e32 v52, 4, v52
	s_delay_alu instid0(VALU_DEP_1)
	v_mov_b32_e32 v60, v52
	s_clause 0x1
	scratch_load_b128 v[52:55], off, s13
	scratch_load_b128 v[56:59], v60, off offset:-16
	s_wait_loadcnt 0x1
	ds_store_2addr_b64 v0, v[52:53], v[54:55] offset1:1
	s_wait_loadcnt 0x0
	s_clause 0x1
	scratch_store_b128 off, v[56:59], s13
	scratch_store_b128 v60, v[52:55], off offset:-16
.LBB30_258:
	global_load_b32 v1, v1, s[16:17]
	s_wait_loadcnt 0x0
	v_cmp_eq_u32_e32 vcc_lo, 1, v1
	s_cbranch_vccnz .LBB30_260
; %bb.259:
	s_wait_xcnt 0x0
	v_lshlrev_b32_e32 v1, 4, v1
	scratch_load_b128 v[52:55], off, off
	scratch_load_b128 v[56:59], v1, off offset:-16
	s_wait_loadcnt 0x1
	ds_store_2addr_b64 v0, v[52:53], v[54:55] offset1:1
	s_wait_loadcnt 0x0
	scratch_store_b128 off, v[56:59], off
	scratch_store_b128 v1, v[52:55], off offset:-16
.LBB30_260:
	scratch_load_b128 v[52:55], off, off
	s_clause 0x11
	scratch_load_b128 v[56:59], off, s13
	scratch_load_b128 v[60:63], off, s8
	;; [unrolled: 1-line block ×15, first 2 shown]
	; meta instruction
	; meta instruction
	;; [unrolled: 1-line block ×15, first 2 shown]
	scratch_load_b128 v[128:131], off, s28
	scratch_load_b128 v[132:135], off, s30
	;; [unrolled: 1-line block ×3, first 2 shown]
	s_wait_loadcnt 0x12
	global_store_b128 v[14:15], v[52:55], off
	s_clause 0x1
	scratch_load_b128 v[52:55], off, s26
	scratch_load_b128 v[140:143], off, s27
	s_wait_loadcnt 0x13
	global_store_b128 v[16:17], v[56:59], off
	s_wait_loadcnt 0x12
	global_store_b128 v[86:87], v[60:63], off
	s_clause 0x1
	scratch_load_b128 v[14:17], off, s23
	scratch_load_b128 v[56:59], off, s24
	s_wait_loadcnt 0x13
	global_store_b128 v[84:85], v[64:67], off
	s_clause 0x1
	scratch_load_b128 v[60:63], off, s15
	scratch_load_b128 v[64:67], off, s21
	;; [unrolled: 5-line block ×3, first 2 shown]
	s_wait_loadcnt 0x15
	global_store_b128 v[78:79], v[72:75], off
	s_wait_loadcnt 0x14
	global_store_b128 v[80:81], v[88:91], off
	s_clause 0x1
	scratch_load_b128 v[72:75], off, s10
	scratch_load_b128 v[78:81], off, s25
	s_wait_loadcnt 0x15
	global_store_b128 v[76:77], v[92:95], off
	s_clause 0x1
	scratch_load_b128 v[86:89], off, s20
	scratch_load_b128 v[90:93], off, s22
	s_wait_loadcnt 0x16
	global_store_b128 v[2:3], v[96:99], off
	s_wait_loadcnt 0x15
	global_store_b128 v[4:5], v[100:103], off
	;; [unrolled: 2-line block ×23, first 2 shown]
	s_sendmsg sendmsg(MSG_DEALLOC_VGPRS)
	s_endpgm
	.section	.rodata,"a",@progbits
	.p2align	6, 0x0
	.amdhsa_kernel _ZN9rocsolver6v33100L18getri_kernel_smallILi31E19rocblas_complex_numIdEPS3_EEvT1_iilPiilS6_bb
		.amdhsa_group_segment_fixed_size 2024
		.amdhsa_private_segment_fixed_size 512
		.amdhsa_kernarg_size 60
		.amdhsa_user_sgpr_count 4
		.amdhsa_user_sgpr_dispatch_ptr 1
		.amdhsa_user_sgpr_queue_ptr 0
		.amdhsa_user_sgpr_kernarg_segment_ptr 1
		.amdhsa_user_sgpr_dispatch_id 0
		.amdhsa_user_sgpr_kernarg_preload_length 0
		.amdhsa_user_sgpr_kernarg_preload_offset 0
		.amdhsa_user_sgpr_private_segment_size 0
		.amdhsa_wavefront_size32 1
		.amdhsa_uses_dynamic_stack 0
		.amdhsa_enable_private_segment 1
		.amdhsa_system_sgpr_workgroup_id_x 1
		.amdhsa_system_sgpr_workgroup_id_y 0
		.amdhsa_system_sgpr_workgroup_id_z 0
		.amdhsa_system_sgpr_workgroup_info 0
		.amdhsa_system_vgpr_workitem_id 2
		.amdhsa_next_free_vgpr 146
		.amdhsa_next_free_sgpr 57
		.amdhsa_named_barrier_count 0
		.amdhsa_reserve_vcc 1
		.amdhsa_float_round_mode_32 0
		.amdhsa_float_round_mode_16_64 0
		.amdhsa_float_denorm_mode_32 3
		.amdhsa_float_denorm_mode_16_64 3
		.amdhsa_fp16_overflow 0
		.amdhsa_memory_ordered 1
		.amdhsa_forward_progress 1
		.amdhsa_inst_pref_size 255
		.amdhsa_round_robin_scheduling 0
		.amdhsa_exception_fp_ieee_invalid_op 0
		.amdhsa_exception_fp_denorm_src 0
		.amdhsa_exception_fp_ieee_div_zero 0
		.amdhsa_exception_fp_ieee_overflow 0
		.amdhsa_exception_fp_ieee_underflow 0
		.amdhsa_exception_fp_ieee_inexact 0
		.amdhsa_exception_int_div_zero 0
	.end_amdhsa_kernel
	.section	.text._ZN9rocsolver6v33100L18getri_kernel_smallILi31E19rocblas_complex_numIdEPS3_EEvT1_iilPiilS6_bb,"axG",@progbits,_ZN9rocsolver6v33100L18getri_kernel_smallILi31E19rocblas_complex_numIdEPS3_EEvT1_iilPiilS6_bb,comdat
.Lfunc_end30:
	.size	_ZN9rocsolver6v33100L18getri_kernel_smallILi31E19rocblas_complex_numIdEPS3_EEvT1_iilPiilS6_bb, .Lfunc_end30-_ZN9rocsolver6v33100L18getri_kernel_smallILi31E19rocblas_complex_numIdEPS3_EEvT1_iilPiilS6_bb
                                        ; -- End function
	.set _ZN9rocsolver6v33100L18getri_kernel_smallILi31E19rocblas_complex_numIdEPS3_EEvT1_iilPiilS6_bb.num_vgpr, 146
	.set _ZN9rocsolver6v33100L18getri_kernel_smallILi31E19rocblas_complex_numIdEPS3_EEvT1_iilPiilS6_bb.num_agpr, 0
	.set _ZN9rocsolver6v33100L18getri_kernel_smallILi31E19rocblas_complex_numIdEPS3_EEvT1_iilPiilS6_bb.numbered_sgpr, 57
	.set _ZN9rocsolver6v33100L18getri_kernel_smallILi31E19rocblas_complex_numIdEPS3_EEvT1_iilPiilS6_bb.num_named_barrier, 0
	.set _ZN9rocsolver6v33100L18getri_kernel_smallILi31E19rocblas_complex_numIdEPS3_EEvT1_iilPiilS6_bb.private_seg_size, 512
	.set _ZN9rocsolver6v33100L18getri_kernel_smallILi31E19rocblas_complex_numIdEPS3_EEvT1_iilPiilS6_bb.uses_vcc, 1
	.set _ZN9rocsolver6v33100L18getri_kernel_smallILi31E19rocblas_complex_numIdEPS3_EEvT1_iilPiilS6_bb.uses_flat_scratch, 1
	.set _ZN9rocsolver6v33100L18getri_kernel_smallILi31E19rocblas_complex_numIdEPS3_EEvT1_iilPiilS6_bb.has_dyn_sized_stack, 0
	.set _ZN9rocsolver6v33100L18getri_kernel_smallILi31E19rocblas_complex_numIdEPS3_EEvT1_iilPiilS6_bb.has_recursion, 0
	.set _ZN9rocsolver6v33100L18getri_kernel_smallILi31E19rocblas_complex_numIdEPS3_EEvT1_iilPiilS6_bb.has_indirect_call, 0
	.section	.AMDGPU.csdata,"",@progbits
; Kernel info:
; codeLenInByte = 43684
; TotalNumSgprs: 59
; NumVgprs: 146
; ScratchSize: 512
; MemoryBound: 0
; FloatMode: 240
; IeeeMode: 1
; LDSByteSize: 2024 bytes/workgroup (compile time only)
; SGPRBlocks: 0
; VGPRBlocks: 9
; NumSGPRsForWavesPerEU: 59
; NumVGPRsForWavesPerEU: 146
; NamedBarCnt: 0
; Occupancy: 6
; WaveLimiterHint : 1
; COMPUTE_PGM_RSRC2:SCRATCH_EN: 1
; COMPUTE_PGM_RSRC2:USER_SGPR: 4
; COMPUTE_PGM_RSRC2:TRAP_HANDLER: 0
; COMPUTE_PGM_RSRC2:TGID_X_EN: 1
; COMPUTE_PGM_RSRC2:TGID_Y_EN: 0
; COMPUTE_PGM_RSRC2:TGID_Z_EN: 0
; COMPUTE_PGM_RSRC2:TIDIG_COMP_CNT: 2
	.section	.text._ZN9rocsolver6v33100L18getri_kernel_smallILi32E19rocblas_complex_numIdEPS3_EEvT1_iilPiilS6_bb,"axG",@progbits,_ZN9rocsolver6v33100L18getri_kernel_smallILi32E19rocblas_complex_numIdEPS3_EEvT1_iilPiilS6_bb,comdat
	.globl	_ZN9rocsolver6v33100L18getri_kernel_smallILi32E19rocblas_complex_numIdEPS3_EEvT1_iilPiilS6_bb ; -- Begin function _ZN9rocsolver6v33100L18getri_kernel_smallILi32E19rocblas_complex_numIdEPS3_EEvT1_iilPiilS6_bb
	.p2align	8
	.type	_ZN9rocsolver6v33100L18getri_kernel_smallILi32E19rocblas_complex_numIdEPS3_EEvT1_iilPiilS6_bb,@function
_ZN9rocsolver6v33100L18getri_kernel_smallILi32E19rocblas_complex_numIdEPS3_EEvT1_iilPiilS6_bb: ; @_ZN9rocsolver6v33100L18getri_kernel_smallILi32E19rocblas_complex_numIdEPS3_EEvT1_iilPiilS6_bb
; %bb.0:
	v_and_b32_e32 v1, 0x3ff, v0
	s_mov_b32 s4, exec_lo
	s_delay_alu instid0(VALU_DEP_1)
	v_cmpx_gt_u32_e32 32, v1
	s_cbranch_execz .LBB31_142
; %bb.1:
	s_clause 0x2
	s_load_b32 s8, s[2:3], 0x38
	s_load_b128 s[12:15], s[2:3], 0x10
	s_load_b128 s[4:7], s[2:3], 0x28
	s_getreg_b32 s11, hwreg(HW_REG_IB_STS2, 6, 4)
                                        ; implicit-def: $sgpr16_sgpr17
	s_wait_kmcnt 0x0
	s_bitcmp1_b32 s8, 8
	s_cselect_b32 s44, -1, 0
	s_bfe_u32 s9, ttmp6, 0x4000c
	s_and_b32 s10, ttmp6, 15
	s_add_co_i32 s9, s9, 1
	s_delay_alu instid0(SALU_CYCLE_1) | instskip(NEXT) | instid1(SALU_CYCLE_1)
	s_mul_i32 s9, ttmp9, s9
	s_add_co_i32 s10, s10, s9
	s_cmp_eq_u32 s11, 0
	s_cselect_b32 s18, ttmp9, s10
	s_bfe_u32 s8, s8, 0x10008
	s_ashr_i32 s19, s18, 31
	s_cmp_eq_u32 s8, 0
	s_cbranch_scc1 .LBB31_3
; %bb.2:
	s_load_b32 s8, s[2:3], 0x20
	s_mul_u64 s[4:5], s[4:5], s[18:19]
	s_delay_alu instid0(SALU_CYCLE_1) | instskip(NEXT) | instid1(SALU_CYCLE_1)
	s_lshl_b64 s[4:5], s[4:5], 2
	s_add_nc_u64 s[4:5], s[14:15], s[4:5]
	s_wait_kmcnt 0x0
	s_ashr_i32 s9, s8, 31
	s_delay_alu instid0(SALU_CYCLE_1) | instskip(NEXT) | instid1(SALU_CYCLE_1)
	s_lshl_b64 s[8:9], s[8:9], 2
	s_add_nc_u64 s[16:17], s[4:5], s[8:9]
.LBB31_3:
	s_clause 0x1
	s_load_b128 s[8:11], s[2:3], 0x0
	s_load_b32 s45, s[2:3], 0x38
	s_wait_xcnt 0x0
	s_mul_u64 s[2:3], s[12:13], s[18:19]
	s_movk_i32 s22, 0x110
	s_lshl_b64 s[2:3], s[2:3], 4
	s_movk_i32 s24, 0x130
	s_movk_i32 s26, 0x140
	;; [unrolled: 1-line block ×13, first 2 shown]
	s_mov_b32 s31, 16
	s_mov_b32 s27, 32
	s_wait_kmcnt 0x0
	v_add3_u32 v18, s11, s11, v1
	s_ashr_i32 s5, s10, 31
	s_mov_b32 s4, s10
	s_add_nc_u64 s[2:3], s[8:9], s[2:3]
	s_lshl_b64 s[4:5], s[4:5], 4
	v_dual_add_nc_u32 v20, s11, v18 :: v_dual_lshlrev_b32 v78, 4, v1
	s_add_nc_u64 s[4:5], s[2:3], s[4:5]
	s_clause 0x1
	global_load_b128 v[2:5], v1, s[4:5] scale_offset
	global_load_b128 v[6:9], v18, s[4:5] scale_offset
	v_dual_mov_b32 v79, 0 :: v_dual_add_nc_u32 v22, s11, v20
	s_ashr_i32 s3, s11, 31
	s_mov_b32 s2, s11
	s_clause 0x1
	global_load_b128 v[10:13], v20, s[4:5] scale_offset
	global_load_b128 v[70:73], v22, s[4:5] scale_offset
	v_add_nc_u32_e32 v24, s11, v22
	v_add_nc_u64_e32 v[14:15], s[4:5], v[78:79]
	s_mov_b32 s29, 48
	s_mov_b32 s30, 64
	s_movk_i32 s35, 0x50
	v_add_nc_u32_e32 v26, s11, v24
	s_movk_i32 s37, 0x60
	s_movk_i32 s40, 0x70
	v_lshl_add_u64 v[16:17], s[2:3], 4, v[14:15]
	s_movk_i32 s33, 0x80
	v_add_nc_u32_e32 v28, s11, v26
	s_movk_i32 s34, 0x90
	s_movk_i32 s36, 0xa0
	;; [unrolled: 1-line block ×4, first 2 shown]
	v_add_nc_u32_e32 v30, s11, v28
	s_movk_i32 s42, 0xd0
	s_movk_i32 s43, 0xe0
	;; [unrolled: 1-line block ×4, first 2 shown]
	v_add_nc_u32_e32 v32, s11, v30
	s_clause 0x2
	global_load_b128 v[74:77], v[16:17], off
	global_load_b128 v[80:83], v24, s[4:5] scale_offset
	global_load_b128 v[84:87], v26, s[4:5] scale_offset
	s_movk_i32 s23, 0x120
	s_mov_b32 s21, s22
	s_mov_b32 s13, s24
	v_add_nc_u32_e32 v34, s11, v32
	s_clause 0x1
	global_load_b128 v[88:91], v28, s[4:5] scale_offset
	global_load_b128 v[92:95], v30, s[4:5] scale_offset
	s_mov_b32 s15, s26
	s_mov_b32 s10, s28
	s_clause 0x1
	global_load_b128 v[96:99], v32, s[4:5] scale_offset
	global_load_b128 v[100:103], v34, s[4:5] scale_offset
	v_add_nc_u32_e32 v36, s11, v34
	s_mov_b32 s8, s47
	s_mov_b32 s9, s48
	;; [unrolled: 1-line block ×4, first 2 shown]
	v_add_nc_u32_e32 v38, s11, v36
	s_mov_b32 s20, s51
	s_mov_b32 s22, s52
	;; [unrolled: 1-line block ×4, first 2 shown]
	v_add_nc_u32_e32 v40, s11, v38
	s_mov_b32 s28, s55
	s_bitcmp0_b32 s45, 0
	s_mov_b32 s3, -1
	s_delay_alu instid0(VALU_DEP_1) | instskip(SKIP_2) | instid1(VALU_DEP_1)
	v_add_nc_u32_e32 v42, s11, v40
	global_load_b128 v[104:107], v36, s[4:5] scale_offset
	v_add_nc_u32_e32 v44, s11, v42
	v_add_nc_u32_e32 v46, s11, v44
	s_clause 0x3
	global_load_b128 v[108:111], v38, s[4:5] scale_offset
	global_load_b128 v[112:115], v40, s[4:5] scale_offset
	;; [unrolled: 1-line block ×4, first 2 shown]
	v_add_nc_u32_e32 v48, s11, v46
	s_delay_alu instid0(VALU_DEP_1) | instskip(NEXT) | instid1(VALU_DEP_1)
	v_add_nc_u32_e32 v50, s11, v48
	v_add_nc_u32_e32 v52, s11, v50
	s_delay_alu instid0(VALU_DEP_1) | instskip(NEXT) | instid1(VALU_DEP_1)
	v_add_nc_u32_e32 v54, s11, v52
	v_add_nc_u32_e32 v56, s11, v54
	s_delay_alu instid0(VALU_DEP_1)
	v_add_nc_u32_e32 v58, s11, v56
	s_clause 0x3
	global_load_b128 v[124:127], v46, s[4:5] scale_offset
	global_load_b128 v[128:131], v48, s[4:5] scale_offset
	;; [unrolled: 1-line block ×4, first 2 shown]
	s_wait_loadcnt 0x13
	scratch_store_b128 off, v[2:5], off
	s_wait_loadcnt 0x12
	scratch_store_b128 off, v[6:9], off offset:32
	v_add_nc_u32_e32 v60, s11, v58
	s_clause 0x1
	global_load_b128 v[2:5], v54, s[4:5] scale_offset
	global_load_b128 v[6:9], v56, s[4:5] scale_offset
	s_wait_loadcnt 0x13
	scratch_store_b128 off, v[10:13], off offset:48
	s_wait_loadcnt 0x12
	scratch_store_b128 off, v[70:73], off offset:64
	v_add_nc_u32_e32 v62, s11, v60
	s_delay_alu instid0(VALU_DEP_1) | instskip(NEXT) | instid1(VALU_DEP_1)
	v_add_nc_u32_e32 v64, s11, v62
	v_add_nc_u32_e32 v66, s11, v64
	s_clause 0x1
	global_load_b128 v[10:13], v58, s[4:5] scale_offset
	global_load_b128 v[140:143], v60, s[4:5] scale_offset
	v_add_nc_u32_e32 v68, s11, v66
	s_wait_loadcnt 0x13
	scratch_store_b128 off, v[74:77], off offset:16
	s_wait_xcnt 0x3
	v_add_nc_u32_e32 v70, s11, v68
	s_wait_loadcnt 0x12
	scratch_store_b128 off, v[80:83], off offset:80
	s_wait_loadcnt 0x11
	scratch_store_b128 off, v[84:87], off offset:96
	s_clause 0x1
	global_load_b128 v[80:83], v62, s[4:5] scale_offset
	global_load_b128 v[84:87], v64, s[4:5] scale_offset
	s_wait_loadcnt 0x12
	scratch_store_b128 off, v[88:91], off offset:112
	s_wait_loadcnt 0x11
	scratch_store_b128 off, v[92:95], off offset:128
	v_add_nc_u32_e32 v72, s11, v70
	s_clause 0x1
	global_load_b128 v[88:91], v66, s[4:5] scale_offset
	global_load_b128 v[92:95], v68, s[4:5] scale_offset
	s_wait_loadcnt 0x12
	scratch_store_b128 off, v[96:99], off offset:144
	s_wait_loadcnt 0x11
	scratch_store_b128 off, v[100:103], off offset:160
	s_clause 0x1
	global_load_b128 v[96:99], v70, s[4:5] scale_offset
	global_load_b128 v[100:103], v72, s[4:5] scale_offset
	v_add_nc_u32_e32 v74, s11, v72
	s_delay_alu instid0(VALU_DEP_1)
	v_add_nc_u32_e32 v76, s11, v74
	s_mov_b32 s11, s46
	s_wait_loadcnt 0x12
	scratch_store_b128 off, v[104:107], off offset:176
	s_wait_loadcnt 0x11
	scratch_store_b128 off, v[108:111], off offset:192
	;; [unrolled: 2-line block ×3, first 2 shown]
	s_clause 0x1
	global_load_b128 v[104:107], v74, s[4:5] scale_offset
	global_load_b128 v[108:111], v76, s[4:5] scale_offset
	s_wait_loadcnt 0x11
	scratch_store_b128 off, v[116:119], off offset:224
	s_wait_loadcnt 0x10
	scratch_store_b128 off, v[120:123], off offset:240
	;; [unrolled: 2-line block ×18, first 2 shown]
	s_cbranch_scc1 .LBB31_140
; %bb.4:
	v_cmp_eq_u32_e64 s2, 0, v1
	s_wait_xcnt 0x0
	s_and_saveexec_b32 s3, s2
; %bb.5:
	v_mov_b32_e32 v2, 0
	ds_store_b32 v2, v2 offset:1024
; %bb.6:
	s_or_b32 exec_lo, exec_lo, s3
	s_wait_storecnt_dscnt 0x0
	s_barrier_signal -1
	s_barrier_wait -1
	scratch_load_b128 v[2:5], v1, off scale_offset
	s_wait_loadcnt 0x0
	v_cmp_eq_f64_e32 vcc_lo, 0, v[2:3]
	v_cmp_eq_f64_e64 s3, 0, v[4:5]
	s_and_b32 s3, vcc_lo, s3
	s_delay_alu instid0(SALU_CYCLE_1)
	s_and_saveexec_b32 s45, s3
	s_cbranch_execz .LBB31_10
; %bb.7:
	v_mov_b32_e32 v2, 0
	s_mov_b32 s46, 0
	ds_load_b32 v3, v2 offset:1024
	s_wait_dscnt 0x0
	v_readfirstlane_b32 s3, v3
	v_add_nc_u32_e32 v3, 1, v1
	s_cmp_eq_u32 s3, 0
	s_delay_alu instid0(VALU_DEP_1) | instskip(SKIP_1) | instid1(SALU_CYCLE_1)
	v_cmp_gt_i32_e32 vcc_lo, s3, v3
	s_cselect_b32 s47, -1, 0
	s_or_b32 s47, s47, vcc_lo
	s_delay_alu instid0(SALU_CYCLE_1)
	s_and_b32 exec_lo, exec_lo, s47
	s_cbranch_execz .LBB31_10
; %bb.8:
	v_mov_b32_e32 v4, s3
.LBB31_9:                               ; =>This Inner Loop Header: Depth=1
	ds_cmpstore_rtn_b32 v4, v2, v3, v4 offset:1024
	s_wait_dscnt 0x0
	v_cmp_ne_u32_e32 vcc_lo, 0, v4
	v_cmp_le_i32_e64 s3, v4, v3
	s_and_b32 s3, vcc_lo, s3
	s_delay_alu instid0(SALU_CYCLE_1) | instskip(NEXT) | instid1(SALU_CYCLE_1)
	s_and_b32 s3, exec_lo, s3
	s_or_b32 s46, s3, s46
	s_delay_alu instid0(SALU_CYCLE_1)
	s_and_not1_b32 exec_lo, exec_lo, s46
	s_cbranch_execnz .LBB31_9
.LBB31_10:
	s_or_b32 exec_lo, exec_lo, s45
	v_mov_b32_e32 v2, 0
	s_barrier_signal -1
	s_barrier_wait -1
	ds_load_b32 v3, v2 offset:1024
	s_and_saveexec_b32 s3, s2
	s_cbranch_execz .LBB31_12
; %bb.11:
	s_lshl_b64 s[46:47], s[18:19], 2
	s_delay_alu instid0(SALU_CYCLE_1)
	s_add_nc_u64 s[46:47], s[6:7], s[46:47]
	s_wait_dscnt 0x0
	global_store_b32 v2, v3, s[46:47]
.LBB31_12:
	s_wait_xcnt 0x0
	s_or_b32 exec_lo, exec_lo, s3
	s_wait_dscnt 0x0
	v_cmp_ne_u32_e32 vcc_lo, 0, v3
	s_mov_b32 s3, 0
	s_cbranch_vccnz .LBB31_140
; %bb.13:
	v_lshl_add_u32 v19, v1, 4, 0
                                        ; implicit-def: $vgpr6_vgpr7
                                        ; implicit-def: $vgpr10_vgpr11
	scratch_load_b128 v[2:5], v19, off
	s_wait_loadcnt 0x0
	v_cmp_ngt_f64_e64 s3, |v[2:3]|, |v[4:5]|
	s_wait_xcnt 0x0
	s_and_saveexec_b32 s45, s3
	s_delay_alu instid0(SALU_CYCLE_1)
	s_xor_b32 s3, exec_lo, s45
	s_cbranch_execz .LBB31_15
; %bb.14:
	v_div_scale_f64 v[6:7], null, v[4:5], v[4:5], v[2:3]
	v_div_scale_f64 v[12:13], vcc_lo, v[2:3], v[4:5], v[2:3]
	s_delay_alu instid0(VALU_DEP_2) | instskip(SKIP_1) | instid1(TRANS32_DEP_1)
	v_rcp_f64_e32 v[8:9], v[6:7]
	v_nop
	v_fma_f64 v[10:11], -v[6:7], v[8:9], 1.0
	s_delay_alu instid0(VALU_DEP_1) | instskip(NEXT) | instid1(VALU_DEP_1)
	v_fmac_f64_e32 v[8:9], v[8:9], v[10:11]
	v_fma_f64 v[10:11], -v[6:7], v[8:9], 1.0
	s_delay_alu instid0(VALU_DEP_1) | instskip(NEXT) | instid1(VALU_DEP_1)
	v_fmac_f64_e32 v[8:9], v[8:9], v[10:11]
	v_mul_f64_e32 v[10:11], v[12:13], v[8:9]
	s_delay_alu instid0(VALU_DEP_1) | instskip(NEXT) | instid1(VALU_DEP_1)
	v_fma_f64 v[6:7], -v[6:7], v[10:11], v[12:13]
	v_div_fmas_f64 v[6:7], v[6:7], v[8:9], v[10:11]
	s_delay_alu instid0(VALU_DEP_1) | instskip(NEXT) | instid1(VALU_DEP_1)
	v_div_fixup_f64 v[6:7], v[6:7], v[4:5], v[2:3]
	v_fmac_f64_e32 v[4:5], v[2:3], v[6:7]
	s_delay_alu instid0(VALU_DEP_1) | instskip(SKIP_1) | instid1(VALU_DEP_2)
	v_div_scale_f64 v[2:3], null, v[4:5], v[4:5], 1.0
	v_div_scale_f64 v[12:13], vcc_lo, 1.0, v[4:5], 1.0
	v_rcp_f64_e32 v[8:9], v[2:3]
	v_nop
	s_delay_alu instid0(TRANS32_DEP_1) | instskip(NEXT) | instid1(VALU_DEP_1)
	v_fma_f64 v[10:11], -v[2:3], v[8:9], 1.0
	v_fmac_f64_e32 v[8:9], v[8:9], v[10:11]
	s_delay_alu instid0(VALU_DEP_1) | instskip(NEXT) | instid1(VALU_DEP_1)
	v_fma_f64 v[10:11], -v[2:3], v[8:9], 1.0
	v_fmac_f64_e32 v[8:9], v[8:9], v[10:11]
	s_delay_alu instid0(VALU_DEP_1) | instskip(NEXT) | instid1(VALU_DEP_1)
	v_mul_f64_e32 v[10:11], v[12:13], v[8:9]
	v_fma_f64 v[2:3], -v[2:3], v[10:11], v[12:13]
	s_delay_alu instid0(VALU_DEP_1) | instskip(NEXT) | instid1(VALU_DEP_1)
	v_div_fmas_f64 v[2:3], v[2:3], v[8:9], v[10:11]
	v_div_fixup_f64 v[8:9], v[2:3], v[4:5], 1.0
                                        ; implicit-def: $vgpr2_vgpr3
	s_delay_alu instid0(VALU_DEP_1) | instskip(SKIP_1) | instid1(VALU_DEP_2)
	v_mul_f64_e32 v[6:7], v[6:7], v[8:9]
	v_xor_b32_e32 v9, 0x80000000, v9
	v_xor_b32_e32 v11, 0x80000000, v7
	s_delay_alu instid0(VALU_DEP_3)
	v_mov_b32_e32 v10, v6
.LBB31_15:
	s_and_not1_saveexec_b32 s3, s3
	s_cbranch_execz .LBB31_17
; %bb.16:
	v_div_scale_f64 v[6:7], null, v[2:3], v[2:3], v[4:5]
	v_div_scale_f64 v[12:13], vcc_lo, v[4:5], v[2:3], v[4:5]
	s_delay_alu instid0(VALU_DEP_2) | instskip(SKIP_1) | instid1(TRANS32_DEP_1)
	v_rcp_f64_e32 v[8:9], v[6:7]
	v_nop
	v_fma_f64 v[10:11], -v[6:7], v[8:9], 1.0
	s_delay_alu instid0(VALU_DEP_1) | instskip(NEXT) | instid1(VALU_DEP_1)
	v_fmac_f64_e32 v[8:9], v[8:9], v[10:11]
	v_fma_f64 v[10:11], -v[6:7], v[8:9], 1.0
	s_delay_alu instid0(VALU_DEP_1) | instskip(NEXT) | instid1(VALU_DEP_1)
	v_fmac_f64_e32 v[8:9], v[8:9], v[10:11]
	v_mul_f64_e32 v[10:11], v[12:13], v[8:9]
	s_delay_alu instid0(VALU_DEP_1) | instskip(NEXT) | instid1(VALU_DEP_1)
	v_fma_f64 v[6:7], -v[6:7], v[10:11], v[12:13]
	v_div_fmas_f64 v[6:7], v[6:7], v[8:9], v[10:11]
	s_delay_alu instid0(VALU_DEP_1) | instskip(NEXT) | instid1(VALU_DEP_1)
	v_div_fixup_f64 v[8:9], v[6:7], v[2:3], v[4:5]
	v_fmac_f64_e32 v[2:3], v[4:5], v[8:9]
	s_delay_alu instid0(VALU_DEP_1) | instskip(NEXT) | instid1(VALU_DEP_1)
	v_div_scale_f64 v[4:5], null, v[2:3], v[2:3], 1.0
	v_rcp_f64_e32 v[6:7], v[4:5]
	v_nop
	s_delay_alu instid0(TRANS32_DEP_1) | instskip(NEXT) | instid1(VALU_DEP_1)
	v_fma_f64 v[10:11], -v[4:5], v[6:7], 1.0
	v_fmac_f64_e32 v[6:7], v[6:7], v[10:11]
	s_delay_alu instid0(VALU_DEP_1) | instskip(NEXT) | instid1(VALU_DEP_1)
	v_fma_f64 v[10:11], -v[4:5], v[6:7], 1.0
	v_fmac_f64_e32 v[6:7], v[6:7], v[10:11]
	v_div_scale_f64 v[10:11], vcc_lo, 1.0, v[2:3], 1.0
	s_delay_alu instid0(VALU_DEP_1) | instskip(NEXT) | instid1(VALU_DEP_1)
	v_mul_f64_e32 v[12:13], v[10:11], v[6:7]
	v_fma_f64 v[4:5], -v[4:5], v[12:13], v[10:11]
	s_delay_alu instid0(VALU_DEP_1) | instskip(NEXT) | instid1(VALU_DEP_1)
	v_div_fmas_f64 v[4:5], v[4:5], v[6:7], v[12:13]
	v_div_fixup_f64 v[6:7], v[4:5], v[2:3], 1.0
	s_delay_alu instid0(VALU_DEP_1)
	v_mul_f64_e64 v[8:9], v[8:9], -v[6:7]
	v_xor_b32_e32 v11, 0x80000000, v7
	v_mov_b32_e32 v10, v6
.LBB31_17:
	s_or_b32 exec_lo, exec_lo, s3
	s_clause 0x1
	scratch_store_b128 v19, v[6:9], off
	scratch_load_b128 v[2:5], off, s31
	v_xor_b32_e32 v13, 0x80000000, v9
	v_mov_b32_e32 v12, v8
	s_wait_xcnt 0x1
	v_add_nc_u32_e32 v6, 0x200, v78
	ds_store_b128 v78, v[10:13]
	s_wait_loadcnt 0x0
	ds_store_b128 v78, v[2:5] offset:512
	s_wait_storecnt_dscnt 0x0
	s_barrier_signal -1
	s_barrier_wait -1
	s_wait_xcnt 0x0
	s_and_saveexec_b32 s3, s2
	s_cbranch_execz .LBB31_19
; %bb.18:
	scratch_load_b128 v[2:5], v19, off
	ds_load_b128 v[8:11], v6
	v_mov_b32_e32 v7, 0
	ds_load_b128 v[80:83], v7 offset:16
	s_wait_loadcnt_dscnt 0x1
	v_mul_f64_e32 v[12:13], v[8:9], v[4:5]
	v_mul_f64_e32 v[4:5], v[10:11], v[4:5]
	s_delay_alu instid0(VALU_DEP_2) | instskip(NEXT) | instid1(VALU_DEP_2)
	v_fmac_f64_e32 v[12:13], v[10:11], v[2:3]
	v_fma_f64 v[2:3], v[8:9], v[2:3], -v[4:5]
	s_delay_alu instid0(VALU_DEP_2) | instskip(NEXT) | instid1(VALU_DEP_2)
	v_add_f64_e32 v[8:9], 0, v[12:13]
	v_add_f64_e32 v[2:3], 0, v[2:3]
	s_wait_dscnt 0x0
	s_delay_alu instid0(VALU_DEP_2) | instskip(NEXT) | instid1(VALU_DEP_2)
	v_mul_f64_e32 v[10:11], v[8:9], v[82:83]
	v_mul_f64_e32 v[4:5], v[2:3], v[82:83]
	s_delay_alu instid0(VALU_DEP_2) | instskip(NEXT) | instid1(VALU_DEP_2)
	v_fma_f64 v[2:3], v[2:3], v[80:81], -v[10:11]
	v_fmac_f64_e32 v[4:5], v[8:9], v[80:81]
	scratch_store_b128 off, v[2:5], off offset:16
.LBB31_19:
	s_wait_xcnt 0x0
	s_or_b32 exec_lo, exec_lo, s3
	s_wait_storecnt 0x0
	s_barrier_signal -1
	s_barrier_wait -1
	scratch_load_b128 v[2:5], off, s27
	s_mov_b32 s3, exec_lo
	s_wait_loadcnt 0x0
	ds_store_b128 v6, v[2:5]
	s_wait_dscnt 0x0
	s_barrier_signal -1
	s_barrier_wait -1
	v_cmpx_gt_u32_e32 2, v1
	s_cbranch_execz .LBB31_23
; %bb.20:
	scratch_load_b128 v[2:5], v19, off
	ds_load_b128 v[8:11], v6
	s_wait_loadcnt_dscnt 0x0
	v_mul_f64_e32 v[12:13], v[10:11], v[4:5]
	v_mul_f64_e32 v[80:81], v[8:9], v[4:5]
	s_delay_alu instid0(VALU_DEP_2) | instskip(NEXT) | instid1(VALU_DEP_2)
	v_fma_f64 v[4:5], v[8:9], v[2:3], -v[12:13]
	v_fmac_f64_e32 v[80:81], v[10:11], v[2:3]
	s_delay_alu instid0(VALU_DEP_2) | instskip(NEXT) | instid1(VALU_DEP_2)
	v_add_f64_e32 v[4:5], 0, v[4:5]
	v_add_f64_e32 v[2:3], 0, v[80:81]
	s_and_saveexec_b32 s45, s2
	s_cbranch_execz .LBB31_22
; %bb.21:
	scratch_load_b128 v[8:11], off, off offset:16
	v_mov_b32_e32 v7, 0
	ds_load_b128 v[80:83], v7 offset:528
	s_wait_loadcnt_dscnt 0x0
	v_mul_f64_e32 v[12:13], v[80:81], v[10:11]
	v_mul_f64_e32 v[10:11], v[82:83], v[10:11]
	s_delay_alu instid0(VALU_DEP_2) | instskip(NEXT) | instid1(VALU_DEP_2)
	v_fmac_f64_e32 v[12:13], v[82:83], v[8:9]
	v_fma_f64 v[8:9], v[80:81], v[8:9], -v[10:11]
	s_delay_alu instid0(VALU_DEP_2) | instskip(NEXT) | instid1(VALU_DEP_2)
	v_add_f64_e32 v[2:3], v[2:3], v[12:13]
	v_add_f64_e32 v[4:5], v[4:5], v[8:9]
.LBB31_22:
	s_or_b32 exec_lo, exec_lo, s45
	v_mov_b32_e32 v7, 0
	ds_load_b128 v[8:11], v7 offset:32
	s_wait_dscnt 0x0
	v_mul_f64_e32 v[80:81], v[2:3], v[10:11]
	v_mul_f64_e32 v[12:13], v[4:5], v[10:11]
	s_delay_alu instid0(VALU_DEP_2) | instskip(NEXT) | instid1(VALU_DEP_2)
	v_fma_f64 v[10:11], v[4:5], v[8:9], -v[80:81]
	v_fmac_f64_e32 v[12:13], v[2:3], v[8:9]
	scratch_store_b128 off, v[10:13], off offset:32
.LBB31_23:
	s_wait_xcnt 0x0
	s_or_b32 exec_lo, exec_lo, s3
	s_wait_storecnt 0x0
	s_barrier_signal -1
	s_barrier_wait -1
	scratch_load_b128 v[2:5], off, s29
	v_add_nc_u32_e32 v7, -1, v1
	s_mov_b32 s2, exec_lo
	s_wait_loadcnt 0x0
	ds_store_b128 v6, v[2:5]
	s_wait_dscnt 0x0
	s_barrier_signal -1
	s_barrier_wait -1
	v_cmpx_gt_u32_e32 3, v1
	s_cbranch_execz .LBB31_27
; %bb.24:
	v_dual_mov_b32 v10, v78 :: v_dual_add_nc_u32 v8, -1, v1
	v_mov_b64_e32 v[2:3], 0
	v_mov_b64_e32 v[4:5], 0
	v_add_nc_u32_e32 v9, 0x200, v78
	s_delay_alu instid0(VALU_DEP_4)
	v_or_b32_e32 v10, 8, v10
	s_mov_b32 s3, 0
.LBB31_25:                              ; =>This Inner Loop Header: Depth=1
	scratch_load_b128 v[80:83], v10, off offset:-8
	ds_load_b128 v[84:87], v9
	v_dual_add_nc_u32 v8, 1, v8 :: v_dual_add_nc_u32 v9, 16, v9
	s_wait_xcnt 0x0
	v_add_nc_u32_e32 v10, 16, v10
	s_delay_alu instid0(VALU_DEP_2) | instskip(SKIP_4) | instid1(VALU_DEP_2)
	v_cmp_lt_u32_e32 vcc_lo, 1, v8
	s_or_b32 s3, vcc_lo, s3
	s_wait_loadcnt_dscnt 0x0
	v_mul_f64_e32 v[12:13], v[86:87], v[82:83]
	v_mul_f64_e32 v[82:83], v[84:85], v[82:83]
	v_fma_f64 v[12:13], v[84:85], v[80:81], -v[12:13]
	s_delay_alu instid0(VALU_DEP_2) | instskip(NEXT) | instid1(VALU_DEP_2)
	v_fmac_f64_e32 v[82:83], v[86:87], v[80:81]
	v_add_f64_e32 v[4:5], v[4:5], v[12:13]
	s_delay_alu instid0(VALU_DEP_2)
	v_add_f64_e32 v[2:3], v[2:3], v[82:83]
	s_and_not1_b32 exec_lo, exec_lo, s3
	s_cbranch_execnz .LBB31_25
; %bb.26:
	s_or_b32 exec_lo, exec_lo, s3
	v_mov_b32_e32 v8, 0
	ds_load_b128 v[8:11], v8 offset:48
	s_wait_dscnt 0x0
	v_mul_f64_e32 v[80:81], v[2:3], v[10:11]
	v_mul_f64_e32 v[12:13], v[4:5], v[10:11]
	s_delay_alu instid0(VALU_DEP_2) | instskip(NEXT) | instid1(VALU_DEP_2)
	v_fma_f64 v[10:11], v[4:5], v[8:9], -v[80:81]
	v_fmac_f64_e32 v[12:13], v[2:3], v[8:9]
	scratch_store_b128 off, v[10:13], off offset:48
.LBB31_27:
	s_wait_xcnt 0x0
	s_or_b32 exec_lo, exec_lo, s2
	s_wait_storecnt 0x0
	s_barrier_signal -1
	s_barrier_wait -1
	scratch_load_b128 v[2:5], off, s30
	s_mov_b32 s2, exec_lo
	s_wait_loadcnt 0x0
	ds_store_b128 v6, v[2:5]
	s_wait_dscnt 0x0
	s_barrier_signal -1
	s_barrier_wait -1
	v_cmpx_gt_u32_e32 4, v1
	s_cbranch_execz .LBB31_31
; %bb.28:
	v_dual_mov_b32 v10, v78 :: v_dual_add_nc_u32 v8, -1, v1
	v_mov_b64_e32 v[2:3], 0
	v_mov_b64_e32 v[4:5], 0
	v_add_nc_u32_e32 v9, 0x200, v78
	s_delay_alu instid0(VALU_DEP_4)
	v_or_b32_e32 v10, 8, v10
	s_mov_b32 s3, 0
.LBB31_29:                              ; =>This Inner Loop Header: Depth=1
	scratch_load_b128 v[80:83], v10, off offset:-8
	ds_load_b128 v[84:87], v9
	v_dual_add_nc_u32 v8, 1, v8 :: v_dual_add_nc_u32 v9, 16, v9
	s_wait_xcnt 0x0
	v_add_nc_u32_e32 v10, 16, v10
	s_delay_alu instid0(VALU_DEP_2) | instskip(SKIP_4) | instid1(VALU_DEP_2)
	v_cmp_lt_u32_e32 vcc_lo, 2, v8
	s_or_b32 s3, vcc_lo, s3
	s_wait_loadcnt_dscnt 0x0
	v_mul_f64_e32 v[12:13], v[86:87], v[82:83]
	v_mul_f64_e32 v[82:83], v[84:85], v[82:83]
	v_fma_f64 v[12:13], v[84:85], v[80:81], -v[12:13]
	s_delay_alu instid0(VALU_DEP_2) | instskip(NEXT) | instid1(VALU_DEP_2)
	v_fmac_f64_e32 v[82:83], v[86:87], v[80:81]
	v_add_f64_e32 v[4:5], v[4:5], v[12:13]
	s_delay_alu instid0(VALU_DEP_2)
	v_add_f64_e32 v[2:3], v[2:3], v[82:83]
	s_and_not1_b32 exec_lo, exec_lo, s3
	s_cbranch_execnz .LBB31_29
; %bb.30:
	s_or_b32 exec_lo, exec_lo, s3
	v_mov_b32_e32 v8, 0
	ds_load_b128 v[8:11], v8 offset:64
	s_wait_dscnt 0x0
	v_mul_f64_e32 v[80:81], v[2:3], v[10:11]
	v_mul_f64_e32 v[12:13], v[4:5], v[10:11]
	s_delay_alu instid0(VALU_DEP_2) | instskip(NEXT) | instid1(VALU_DEP_2)
	v_fma_f64 v[10:11], v[4:5], v[8:9], -v[80:81]
	v_fmac_f64_e32 v[12:13], v[2:3], v[8:9]
	scratch_store_b128 off, v[10:13], off offset:64
.LBB31_31:
	s_wait_xcnt 0x0
	s_or_b32 exec_lo, exec_lo, s2
	s_wait_storecnt 0x0
	s_barrier_signal -1
	s_barrier_wait -1
	scratch_load_b128 v[2:5], off, s35
	;; [unrolled: 54-line block ×19, first 2 shown]
	s_mov_b32 s2, exec_lo
	s_wait_loadcnt 0x0
	ds_store_b128 v6, v[2:5]
	s_wait_dscnt 0x0
	s_barrier_signal -1
	s_barrier_wait -1
	v_cmpx_gt_u32_e32 22, v1
	s_cbranch_execz .LBB31_103
; %bb.100:
	v_dual_mov_b32 v10, v78 :: v_dual_add_nc_u32 v8, -1, v1
	v_mov_b64_e32 v[2:3], 0
	v_mov_b64_e32 v[4:5], 0
	v_add_nc_u32_e32 v9, 0x200, v78
	s_delay_alu instid0(VALU_DEP_4)
	v_or_b32_e32 v10, 8, v10
	s_mov_b32 s3, 0
.LBB31_101:                             ; =>This Inner Loop Header: Depth=1
	scratch_load_b128 v[80:83], v10, off offset:-8
	ds_load_b128 v[84:87], v9
	v_dual_add_nc_u32 v8, 1, v8 :: v_dual_add_nc_u32 v9, 16, v9
	s_wait_xcnt 0x0
	v_add_nc_u32_e32 v10, 16, v10
	s_delay_alu instid0(VALU_DEP_2) | instskip(SKIP_4) | instid1(VALU_DEP_2)
	v_cmp_lt_u32_e32 vcc_lo, 20, v8
	s_or_b32 s3, vcc_lo, s3
	s_wait_loadcnt_dscnt 0x0
	v_mul_f64_e32 v[12:13], v[86:87], v[82:83]
	v_mul_f64_e32 v[82:83], v[84:85], v[82:83]
	v_fma_f64 v[12:13], v[84:85], v[80:81], -v[12:13]
	s_delay_alu instid0(VALU_DEP_2) | instskip(NEXT) | instid1(VALU_DEP_2)
	v_fmac_f64_e32 v[82:83], v[86:87], v[80:81]
	v_add_f64_e32 v[4:5], v[4:5], v[12:13]
	s_delay_alu instid0(VALU_DEP_2)
	v_add_f64_e32 v[2:3], v[2:3], v[82:83]
	s_and_not1_b32 exec_lo, exec_lo, s3
	s_cbranch_execnz .LBB31_101
; %bb.102:
	s_or_b32 exec_lo, exec_lo, s3
	v_mov_b32_e32 v8, 0
	ds_load_b128 v[8:11], v8 offset:352
	s_wait_dscnt 0x0
	v_mul_f64_e32 v[80:81], v[2:3], v[10:11]
	v_mul_f64_e32 v[12:13], v[4:5], v[10:11]
	s_delay_alu instid0(VALU_DEP_2) | instskip(NEXT) | instid1(VALU_DEP_2)
	v_fma_f64 v[10:11], v[4:5], v[8:9], -v[80:81]
	v_fmac_f64_e32 v[12:13], v[2:3], v[8:9]
	scratch_store_b128 off, v[10:13], off offset:352
.LBB31_103:
	s_wait_xcnt 0x0
	s_or_b32 exec_lo, exec_lo, s2
	s_wait_storecnt 0x0
	s_barrier_signal -1
	s_barrier_wait -1
	scratch_load_b128 v[2:5], off, s8
	s_mov_b32 s2, exec_lo
	s_wait_loadcnt 0x0
	ds_store_b128 v6, v[2:5]
	s_wait_dscnt 0x0
	s_barrier_signal -1
	s_barrier_wait -1
	v_cmpx_gt_u32_e32 23, v1
	s_cbranch_execz .LBB31_107
; %bb.104:
	v_dual_mov_b32 v10, v78 :: v_dual_add_nc_u32 v8, -1, v1
	v_mov_b64_e32 v[2:3], 0
	v_mov_b64_e32 v[4:5], 0
	v_add_nc_u32_e32 v9, 0x200, v78
	s_delay_alu instid0(VALU_DEP_4)
	v_or_b32_e32 v10, 8, v10
	s_mov_b32 s3, 0
.LBB31_105:                             ; =>This Inner Loop Header: Depth=1
	scratch_load_b128 v[80:83], v10, off offset:-8
	ds_load_b128 v[84:87], v9
	v_dual_add_nc_u32 v8, 1, v8 :: v_dual_add_nc_u32 v9, 16, v9
	s_wait_xcnt 0x0
	v_add_nc_u32_e32 v10, 16, v10
	s_delay_alu instid0(VALU_DEP_2) | instskip(SKIP_4) | instid1(VALU_DEP_2)
	v_cmp_lt_u32_e32 vcc_lo, 21, v8
	s_or_b32 s3, vcc_lo, s3
	s_wait_loadcnt_dscnt 0x0
	v_mul_f64_e32 v[12:13], v[86:87], v[82:83]
	v_mul_f64_e32 v[82:83], v[84:85], v[82:83]
	v_fma_f64 v[12:13], v[84:85], v[80:81], -v[12:13]
	s_delay_alu instid0(VALU_DEP_2) | instskip(NEXT) | instid1(VALU_DEP_2)
	v_fmac_f64_e32 v[82:83], v[86:87], v[80:81]
	v_add_f64_e32 v[4:5], v[4:5], v[12:13]
	s_delay_alu instid0(VALU_DEP_2)
	v_add_f64_e32 v[2:3], v[2:3], v[82:83]
	s_and_not1_b32 exec_lo, exec_lo, s3
	s_cbranch_execnz .LBB31_105
; %bb.106:
	s_or_b32 exec_lo, exec_lo, s3
	v_mov_b32_e32 v8, 0
	ds_load_b128 v[8:11], v8 offset:368
	s_wait_dscnt 0x0
	v_mul_f64_e32 v[80:81], v[2:3], v[10:11]
	v_mul_f64_e32 v[12:13], v[4:5], v[10:11]
	s_delay_alu instid0(VALU_DEP_2) | instskip(NEXT) | instid1(VALU_DEP_2)
	v_fma_f64 v[10:11], v[4:5], v[8:9], -v[80:81]
	v_fmac_f64_e32 v[12:13], v[2:3], v[8:9]
	scratch_store_b128 off, v[10:13], off offset:368
.LBB31_107:
	s_wait_xcnt 0x0
	s_or_b32 exec_lo, exec_lo, s2
	s_wait_storecnt 0x0
	s_barrier_signal -1
	s_barrier_wait -1
	scratch_load_b128 v[2:5], off, s9
	s_mov_b32 s2, exec_lo
	s_wait_loadcnt 0x0
	ds_store_b128 v6, v[2:5]
	s_wait_dscnt 0x0
	s_barrier_signal -1
	s_barrier_wait -1
	v_cmpx_gt_u32_e32 24, v1
	s_cbranch_execz .LBB31_111
; %bb.108:
	v_dual_mov_b32 v10, v78 :: v_dual_add_nc_u32 v8, -1, v1
	v_mov_b64_e32 v[2:3], 0
	v_mov_b64_e32 v[4:5], 0
	v_add_nc_u32_e32 v9, 0x200, v78
	s_delay_alu instid0(VALU_DEP_4)
	v_or_b32_e32 v10, 8, v10
	s_mov_b32 s3, 0
.LBB31_109:                             ; =>This Inner Loop Header: Depth=1
	scratch_load_b128 v[80:83], v10, off offset:-8
	ds_load_b128 v[84:87], v9
	v_dual_add_nc_u32 v8, 1, v8 :: v_dual_add_nc_u32 v9, 16, v9
	s_wait_xcnt 0x0
	v_add_nc_u32_e32 v10, 16, v10
	s_delay_alu instid0(VALU_DEP_2) | instskip(SKIP_4) | instid1(VALU_DEP_2)
	v_cmp_lt_u32_e32 vcc_lo, 22, v8
	s_or_b32 s3, vcc_lo, s3
	s_wait_loadcnt_dscnt 0x0
	v_mul_f64_e32 v[12:13], v[86:87], v[82:83]
	v_mul_f64_e32 v[82:83], v[84:85], v[82:83]
	v_fma_f64 v[12:13], v[84:85], v[80:81], -v[12:13]
	s_delay_alu instid0(VALU_DEP_2) | instskip(NEXT) | instid1(VALU_DEP_2)
	v_fmac_f64_e32 v[82:83], v[86:87], v[80:81]
	v_add_f64_e32 v[4:5], v[4:5], v[12:13]
	s_delay_alu instid0(VALU_DEP_2)
	v_add_f64_e32 v[2:3], v[2:3], v[82:83]
	s_and_not1_b32 exec_lo, exec_lo, s3
	s_cbranch_execnz .LBB31_109
; %bb.110:
	s_or_b32 exec_lo, exec_lo, s3
	v_mov_b32_e32 v8, 0
	ds_load_b128 v[8:11], v8 offset:384
	s_wait_dscnt 0x0
	v_mul_f64_e32 v[80:81], v[2:3], v[10:11]
	v_mul_f64_e32 v[12:13], v[4:5], v[10:11]
	s_delay_alu instid0(VALU_DEP_2) | instskip(NEXT) | instid1(VALU_DEP_2)
	v_fma_f64 v[10:11], v[4:5], v[8:9], -v[80:81]
	v_fmac_f64_e32 v[12:13], v[2:3], v[8:9]
	scratch_store_b128 off, v[10:13], off offset:384
.LBB31_111:
	s_wait_xcnt 0x0
	s_or_b32 exec_lo, exec_lo, s2
	s_wait_storecnt 0x0
	s_barrier_signal -1
	s_barrier_wait -1
	scratch_load_b128 v[2:5], off, s24
	s_mov_b32 s2, exec_lo
	s_wait_loadcnt 0x0
	ds_store_b128 v6, v[2:5]
	s_wait_dscnt 0x0
	s_barrier_signal -1
	s_barrier_wait -1
	v_cmpx_gt_u32_e32 25, v1
	s_cbranch_execz .LBB31_115
; %bb.112:
	v_dual_mov_b32 v10, v78 :: v_dual_add_nc_u32 v8, -1, v1
	v_mov_b64_e32 v[2:3], 0
	v_mov_b64_e32 v[4:5], 0
	v_add_nc_u32_e32 v9, 0x200, v78
	s_delay_alu instid0(VALU_DEP_4)
	v_or_b32_e32 v10, 8, v10
	s_mov_b32 s3, 0
.LBB31_113:                             ; =>This Inner Loop Header: Depth=1
	scratch_load_b128 v[80:83], v10, off offset:-8
	ds_load_b128 v[84:87], v9
	v_dual_add_nc_u32 v8, 1, v8 :: v_dual_add_nc_u32 v9, 16, v9
	s_wait_xcnt 0x0
	v_add_nc_u32_e32 v10, 16, v10
	s_delay_alu instid0(VALU_DEP_2) | instskip(SKIP_4) | instid1(VALU_DEP_2)
	v_cmp_lt_u32_e32 vcc_lo, 23, v8
	s_or_b32 s3, vcc_lo, s3
	s_wait_loadcnt_dscnt 0x0
	v_mul_f64_e32 v[12:13], v[86:87], v[82:83]
	v_mul_f64_e32 v[82:83], v[84:85], v[82:83]
	v_fma_f64 v[12:13], v[84:85], v[80:81], -v[12:13]
	s_delay_alu instid0(VALU_DEP_2) | instskip(NEXT) | instid1(VALU_DEP_2)
	v_fmac_f64_e32 v[82:83], v[86:87], v[80:81]
	v_add_f64_e32 v[4:5], v[4:5], v[12:13]
	s_delay_alu instid0(VALU_DEP_2)
	v_add_f64_e32 v[2:3], v[2:3], v[82:83]
	s_and_not1_b32 exec_lo, exec_lo, s3
	s_cbranch_execnz .LBB31_113
; %bb.114:
	s_or_b32 exec_lo, exec_lo, s3
	v_mov_b32_e32 v8, 0
	ds_load_b128 v[8:11], v8 offset:400
	s_wait_dscnt 0x0
	v_mul_f64_e32 v[80:81], v[2:3], v[10:11]
	v_mul_f64_e32 v[12:13], v[4:5], v[10:11]
	s_delay_alu instid0(VALU_DEP_2) | instskip(NEXT) | instid1(VALU_DEP_2)
	v_fma_f64 v[10:11], v[4:5], v[8:9], -v[80:81]
	v_fmac_f64_e32 v[12:13], v[2:3], v[8:9]
	scratch_store_b128 off, v[10:13], off offset:400
.LBB31_115:
	s_wait_xcnt 0x0
	s_or_b32 exec_lo, exec_lo, s2
	s_wait_storecnt 0x0
	s_barrier_signal -1
	s_barrier_wait -1
	scratch_load_b128 v[2:5], off, s26
	s_mov_b32 s2, exec_lo
	s_wait_loadcnt 0x0
	ds_store_b128 v6, v[2:5]
	s_wait_dscnt 0x0
	s_barrier_signal -1
	s_barrier_wait -1
	v_cmpx_gt_u32_e32 26, v1
	s_cbranch_execz .LBB31_119
; %bb.116:
	v_dual_mov_b32 v10, v78 :: v_dual_add_nc_u32 v8, -1, v1
	v_mov_b64_e32 v[2:3], 0
	v_mov_b64_e32 v[4:5], 0
	v_add_nc_u32_e32 v9, 0x200, v78
	s_delay_alu instid0(VALU_DEP_4)
	v_or_b32_e32 v10, 8, v10
	s_mov_b32 s3, 0
.LBB31_117:                             ; =>This Inner Loop Header: Depth=1
	scratch_load_b128 v[80:83], v10, off offset:-8
	ds_load_b128 v[84:87], v9
	v_dual_add_nc_u32 v8, 1, v8 :: v_dual_add_nc_u32 v9, 16, v9
	s_wait_xcnt 0x0
	v_add_nc_u32_e32 v10, 16, v10
	s_delay_alu instid0(VALU_DEP_2) | instskip(SKIP_4) | instid1(VALU_DEP_2)
	v_cmp_lt_u32_e32 vcc_lo, 24, v8
	s_or_b32 s3, vcc_lo, s3
	s_wait_loadcnt_dscnt 0x0
	v_mul_f64_e32 v[12:13], v[86:87], v[82:83]
	v_mul_f64_e32 v[82:83], v[84:85], v[82:83]
	v_fma_f64 v[12:13], v[84:85], v[80:81], -v[12:13]
	s_delay_alu instid0(VALU_DEP_2) | instskip(NEXT) | instid1(VALU_DEP_2)
	v_fmac_f64_e32 v[82:83], v[86:87], v[80:81]
	v_add_f64_e32 v[4:5], v[4:5], v[12:13]
	s_delay_alu instid0(VALU_DEP_2)
	v_add_f64_e32 v[2:3], v[2:3], v[82:83]
	s_and_not1_b32 exec_lo, exec_lo, s3
	s_cbranch_execnz .LBB31_117
; %bb.118:
	s_or_b32 exec_lo, exec_lo, s3
	v_mov_b32_e32 v8, 0
	ds_load_b128 v[8:11], v8 offset:416
	s_wait_dscnt 0x0
	v_mul_f64_e32 v[80:81], v[2:3], v[10:11]
	v_mul_f64_e32 v[12:13], v[4:5], v[10:11]
	s_delay_alu instid0(VALU_DEP_2) | instskip(NEXT) | instid1(VALU_DEP_2)
	v_fma_f64 v[10:11], v[4:5], v[8:9], -v[80:81]
	v_fmac_f64_e32 v[12:13], v[2:3], v[8:9]
	scratch_store_b128 off, v[10:13], off offset:416
.LBB31_119:
	s_wait_xcnt 0x0
	s_or_b32 exec_lo, exec_lo, s2
	s_wait_storecnt 0x0
	s_barrier_signal -1
	s_barrier_wait -1
	scratch_load_b128 v[2:5], off, s20
	s_mov_b32 s2, exec_lo
	s_wait_loadcnt 0x0
	ds_store_b128 v6, v[2:5]
	s_wait_dscnt 0x0
	s_barrier_signal -1
	s_barrier_wait -1
	v_cmpx_gt_u32_e32 27, v1
	s_cbranch_execz .LBB31_123
; %bb.120:
	v_dual_mov_b32 v10, v78 :: v_dual_add_nc_u32 v8, -1, v1
	v_mov_b64_e32 v[2:3], 0
	v_mov_b64_e32 v[4:5], 0
	v_add_nc_u32_e32 v9, 0x200, v78
	s_delay_alu instid0(VALU_DEP_4)
	v_or_b32_e32 v10, 8, v10
	s_mov_b32 s3, 0
.LBB31_121:                             ; =>This Inner Loop Header: Depth=1
	scratch_load_b128 v[80:83], v10, off offset:-8
	ds_load_b128 v[84:87], v9
	v_dual_add_nc_u32 v8, 1, v8 :: v_dual_add_nc_u32 v9, 16, v9
	s_wait_xcnt 0x0
	v_add_nc_u32_e32 v10, 16, v10
	s_delay_alu instid0(VALU_DEP_2) | instskip(SKIP_4) | instid1(VALU_DEP_2)
	v_cmp_lt_u32_e32 vcc_lo, 25, v8
	s_or_b32 s3, vcc_lo, s3
	s_wait_loadcnt_dscnt 0x0
	v_mul_f64_e32 v[12:13], v[86:87], v[82:83]
	v_mul_f64_e32 v[82:83], v[84:85], v[82:83]
	v_fma_f64 v[12:13], v[84:85], v[80:81], -v[12:13]
	s_delay_alu instid0(VALU_DEP_2) | instskip(NEXT) | instid1(VALU_DEP_2)
	v_fmac_f64_e32 v[82:83], v[86:87], v[80:81]
	v_add_f64_e32 v[4:5], v[4:5], v[12:13]
	s_delay_alu instid0(VALU_DEP_2)
	v_add_f64_e32 v[2:3], v[2:3], v[82:83]
	s_and_not1_b32 exec_lo, exec_lo, s3
	s_cbranch_execnz .LBB31_121
; %bb.122:
	s_or_b32 exec_lo, exec_lo, s3
	v_mov_b32_e32 v8, 0
	ds_load_b128 v[8:11], v8 offset:432
	s_wait_dscnt 0x0
	v_mul_f64_e32 v[80:81], v[2:3], v[10:11]
	v_mul_f64_e32 v[12:13], v[4:5], v[10:11]
	s_delay_alu instid0(VALU_DEP_2) | instskip(NEXT) | instid1(VALU_DEP_2)
	v_fma_f64 v[10:11], v[4:5], v[8:9], -v[80:81]
	v_fmac_f64_e32 v[12:13], v[2:3], v[8:9]
	scratch_store_b128 off, v[10:13], off offset:432
.LBB31_123:
	s_wait_xcnt 0x0
	s_or_b32 exec_lo, exec_lo, s2
	s_wait_storecnt 0x0
	s_barrier_signal -1
	s_barrier_wait -1
	scratch_load_b128 v[2:5], off, s22
	s_mov_b32 s2, exec_lo
	s_wait_loadcnt 0x0
	ds_store_b128 v6, v[2:5]
	s_wait_dscnt 0x0
	s_barrier_signal -1
	s_barrier_wait -1
	v_cmpx_gt_u32_e32 28, v1
	s_cbranch_execz .LBB31_127
; %bb.124:
	v_dual_mov_b32 v10, v78 :: v_dual_add_nc_u32 v8, -1, v1
	v_mov_b64_e32 v[2:3], 0
	v_mov_b64_e32 v[4:5], 0
	v_add_nc_u32_e32 v9, 0x200, v78
	s_delay_alu instid0(VALU_DEP_4)
	v_or_b32_e32 v10, 8, v10
	s_mov_b32 s3, 0
.LBB31_125:                             ; =>This Inner Loop Header: Depth=1
	scratch_load_b128 v[80:83], v10, off offset:-8
	ds_load_b128 v[84:87], v9
	v_dual_add_nc_u32 v8, 1, v8 :: v_dual_add_nc_u32 v9, 16, v9
	s_wait_xcnt 0x0
	v_add_nc_u32_e32 v10, 16, v10
	s_delay_alu instid0(VALU_DEP_2) | instskip(SKIP_4) | instid1(VALU_DEP_2)
	v_cmp_lt_u32_e32 vcc_lo, 26, v8
	s_or_b32 s3, vcc_lo, s3
	s_wait_loadcnt_dscnt 0x0
	v_mul_f64_e32 v[12:13], v[86:87], v[82:83]
	v_mul_f64_e32 v[82:83], v[84:85], v[82:83]
	v_fma_f64 v[12:13], v[84:85], v[80:81], -v[12:13]
	s_delay_alu instid0(VALU_DEP_2) | instskip(NEXT) | instid1(VALU_DEP_2)
	v_fmac_f64_e32 v[82:83], v[86:87], v[80:81]
	v_add_f64_e32 v[4:5], v[4:5], v[12:13]
	s_delay_alu instid0(VALU_DEP_2)
	v_add_f64_e32 v[2:3], v[2:3], v[82:83]
	s_and_not1_b32 exec_lo, exec_lo, s3
	s_cbranch_execnz .LBB31_125
; %bb.126:
	s_or_b32 exec_lo, exec_lo, s3
	v_mov_b32_e32 v8, 0
	ds_load_b128 v[8:11], v8 offset:448
	s_wait_dscnt 0x0
	v_mul_f64_e32 v[80:81], v[2:3], v[10:11]
	v_mul_f64_e32 v[12:13], v[4:5], v[10:11]
	s_delay_alu instid0(VALU_DEP_2) | instskip(NEXT) | instid1(VALU_DEP_2)
	v_fma_f64 v[10:11], v[4:5], v[8:9], -v[80:81]
	v_fmac_f64_e32 v[12:13], v[2:3], v[8:9]
	scratch_store_b128 off, v[10:13], off offset:448
.LBB31_127:
	s_wait_xcnt 0x0
	s_or_b32 exec_lo, exec_lo, s2
	s_wait_storecnt 0x0
	s_barrier_signal -1
	s_barrier_wait -1
	scratch_load_b128 v[2:5], off, s12
	s_mov_b32 s2, exec_lo
	s_wait_loadcnt 0x0
	ds_store_b128 v6, v[2:5]
	s_wait_dscnt 0x0
	s_barrier_signal -1
	s_barrier_wait -1
	v_cmpx_gt_u32_e32 29, v1
	s_cbranch_execz .LBB31_131
; %bb.128:
	v_dual_mov_b32 v10, v78 :: v_dual_add_nc_u32 v8, -1, v1
	v_mov_b64_e32 v[2:3], 0
	v_mov_b64_e32 v[4:5], 0
	v_add_nc_u32_e32 v9, 0x200, v78
	s_delay_alu instid0(VALU_DEP_4)
	v_or_b32_e32 v10, 8, v10
	s_mov_b32 s3, 0
.LBB31_129:                             ; =>This Inner Loop Header: Depth=1
	scratch_load_b128 v[80:83], v10, off offset:-8
	ds_load_b128 v[84:87], v9
	v_dual_add_nc_u32 v8, 1, v8 :: v_dual_add_nc_u32 v9, 16, v9
	s_wait_xcnt 0x0
	v_add_nc_u32_e32 v10, 16, v10
	s_delay_alu instid0(VALU_DEP_2) | instskip(SKIP_4) | instid1(VALU_DEP_2)
	v_cmp_lt_u32_e32 vcc_lo, 27, v8
	s_or_b32 s3, vcc_lo, s3
	s_wait_loadcnt_dscnt 0x0
	v_mul_f64_e32 v[12:13], v[86:87], v[82:83]
	v_mul_f64_e32 v[82:83], v[84:85], v[82:83]
	v_fma_f64 v[12:13], v[84:85], v[80:81], -v[12:13]
	s_delay_alu instid0(VALU_DEP_2) | instskip(NEXT) | instid1(VALU_DEP_2)
	v_fmac_f64_e32 v[82:83], v[86:87], v[80:81]
	v_add_f64_e32 v[4:5], v[4:5], v[12:13]
	s_delay_alu instid0(VALU_DEP_2)
	v_add_f64_e32 v[2:3], v[2:3], v[82:83]
	s_and_not1_b32 exec_lo, exec_lo, s3
	s_cbranch_execnz .LBB31_129
; %bb.130:
	s_or_b32 exec_lo, exec_lo, s3
	v_mov_b32_e32 v8, 0
	ds_load_b128 v[8:11], v8 offset:464
	s_wait_dscnt 0x0
	v_mul_f64_e32 v[80:81], v[2:3], v[10:11]
	v_mul_f64_e32 v[12:13], v[4:5], v[10:11]
	s_delay_alu instid0(VALU_DEP_2) | instskip(NEXT) | instid1(VALU_DEP_2)
	v_fma_f64 v[10:11], v[4:5], v[8:9], -v[80:81]
	v_fmac_f64_e32 v[12:13], v[2:3], v[8:9]
	scratch_store_b128 off, v[10:13], off offset:464
.LBB31_131:
	s_wait_xcnt 0x0
	s_or_b32 exec_lo, exec_lo, s2
	s_wait_storecnt 0x0
	s_barrier_signal -1
	s_barrier_wait -1
	scratch_load_b128 v[2:5], off, s14
	s_mov_b32 s2, exec_lo
	s_wait_loadcnt 0x0
	ds_store_b128 v6, v[2:5]
	s_wait_dscnt 0x0
	s_barrier_signal -1
	s_barrier_wait -1
	v_cmpx_gt_u32_e32 30, v1
	s_cbranch_execz .LBB31_135
; %bb.132:
	v_dual_mov_b32 v10, v78 :: v_dual_add_nc_u32 v8, -1, v1
	v_mov_b64_e32 v[2:3], 0
	v_mov_b64_e32 v[4:5], 0
	v_add_nc_u32_e32 v9, 0x200, v78
	s_delay_alu instid0(VALU_DEP_4)
	v_or_b32_e32 v10, 8, v10
	s_mov_b32 s3, 0
.LBB31_133:                             ; =>This Inner Loop Header: Depth=1
	scratch_load_b128 v[80:83], v10, off offset:-8
	ds_load_b128 v[84:87], v9
	v_dual_add_nc_u32 v8, 1, v8 :: v_dual_add_nc_u32 v9, 16, v9
	s_wait_xcnt 0x0
	v_add_nc_u32_e32 v10, 16, v10
	s_delay_alu instid0(VALU_DEP_2) | instskip(SKIP_4) | instid1(VALU_DEP_2)
	v_cmp_lt_u32_e32 vcc_lo, 28, v8
	s_or_b32 s3, vcc_lo, s3
	s_wait_loadcnt_dscnt 0x0
	v_mul_f64_e32 v[12:13], v[86:87], v[82:83]
	v_mul_f64_e32 v[82:83], v[84:85], v[82:83]
	v_fma_f64 v[12:13], v[84:85], v[80:81], -v[12:13]
	s_delay_alu instid0(VALU_DEP_2) | instskip(NEXT) | instid1(VALU_DEP_2)
	v_fmac_f64_e32 v[82:83], v[86:87], v[80:81]
	v_add_f64_e32 v[4:5], v[4:5], v[12:13]
	s_delay_alu instid0(VALU_DEP_2)
	v_add_f64_e32 v[2:3], v[2:3], v[82:83]
	s_and_not1_b32 exec_lo, exec_lo, s3
	s_cbranch_execnz .LBB31_133
; %bb.134:
	s_or_b32 exec_lo, exec_lo, s3
	v_mov_b32_e32 v8, 0
	ds_load_b128 v[8:11], v8 offset:480
	s_wait_dscnt 0x0
	v_mul_f64_e32 v[80:81], v[2:3], v[10:11]
	v_mul_f64_e32 v[12:13], v[4:5], v[10:11]
	s_delay_alu instid0(VALU_DEP_2) | instskip(NEXT) | instid1(VALU_DEP_2)
	v_fma_f64 v[10:11], v[4:5], v[8:9], -v[80:81]
	v_fmac_f64_e32 v[12:13], v[2:3], v[8:9]
	scratch_store_b128 off, v[10:13], off offset:480
.LBB31_135:
	s_wait_xcnt 0x0
	s_or_b32 exec_lo, exec_lo, s2
	s_wait_storecnt 0x0
	s_barrier_signal -1
	s_barrier_wait -1
	scratch_load_b128 v[2:5], off, s28
	s_mov_b32 s2, exec_lo
	s_wait_loadcnt 0x0
	ds_store_b128 v6, v[2:5]
	s_wait_dscnt 0x0
	s_barrier_signal -1
	s_barrier_wait -1
	v_cmpx_ne_u32_e32 31, v1
	s_cbranch_execz .LBB31_139
; %bb.136:
	v_mov_b32_e32 v8, v78
	v_mov_b64_e32 v[2:3], 0
	v_mov_b64_e32 v[4:5], 0
	s_mov_b32 s3, 0
	s_delay_alu instid0(VALU_DEP_3)
	v_or_b32_e32 v8, 8, v8
.LBB31_137:                             ; =>This Inner Loop Header: Depth=1
	scratch_load_b128 v[10:13], v8, off offset:-8
	ds_load_b128 v[78:81], v6
	v_dual_add_nc_u32 v7, 1, v7 :: v_dual_add_nc_u32 v6, 16, v6
	s_wait_xcnt 0x0
	v_add_nc_u32_e32 v8, 16, v8
	s_delay_alu instid0(VALU_DEP_2) | instskip(SKIP_4) | instid1(VALU_DEP_2)
	v_cmp_lt_u32_e32 vcc_lo, 29, v7
	s_or_b32 s3, vcc_lo, s3
	s_wait_loadcnt_dscnt 0x0
	v_mul_f64_e32 v[82:83], v[80:81], v[12:13]
	v_mul_f64_e32 v[12:13], v[78:79], v[12:13]
	v_fma_f64 v[78:79], v[78:79], v[10:11], -v[82:83]
	s_delay_alu instid0(VALU_DEP_2) | instskip(NEXT) | instid1(VALU_DEP_2)
	v_fmac_f64_e32 v[12:13], v[80:81], v[10:11]
	v_add_f64_e32 v[4:5], v[4:5], v[78:79]
	s_delay_alu instid0(VALU_DEP_2)
	v_add_f64_e32 v[2:3], v[2:3], v[12:13]
	s_and_not1_b32 exec_lo, exec_lo, s3
	s_cbranch_execnz .LBB31_137
; %bb.138:
	s_or_b32 exec_lo, exec_lo, s3
	v_mov_b32_e32 v6, 0
	ds_load_b128 v[6:9], v6 offset:496
	s_wait_dscnt 0x0
	v_mul_f64_e32 v[12:13], v[2:3], v[8:9]
	v_mul_f64_e32 v[10:11], v[4:5], v[8:9]
	s_delay_alu instid0(VALU_DEP_2) | instskip(NEXT) | instid1(VALU_DEP_2)
	v_fma_f64 v[8:9], v[4:5], v[6:7], -v[12:13]
	v_fmac_f64_e32 v[10:11], v[2:3], v[6:7]
	scratch_store_b128 off, v[8:11], off offset:496
.LBB31_139:
	s_wait_xcnt 0x0
	s_or_b32 exec_lo, exec_lo, s2
	s_mov_b32 s3, -1
	s_wait_storecnt 0x0
	s_barrier_signal -1
	s_barrier_wait -1
.LBB31_140:
	s_and_b32 vcc_lo, exec_lo, s3
	s_cbranch_vccz .LBB31_142
; %bb.141:
	s_wait_xcnt 0xb
	v_mov_b32_e32 v2, 0
	s_lshl_b64 s[2:3], s[18:19], 2
	s_delay_alu instid0(SALU_CYCLE_1)
	s_add_nc_u64 s[2:3], s[6:7], s[2:3]
	global_load_b32 v2, v2, s[2:3]
	s_wait_loadcnt 0x0
	v_cmp_ne_u32_e32 vcc_lo, 0, v2
	s_cbranch_vccz .LBB31_143
.LBB31_142:
	s_sendmsg sendmsg(MSG_DEALLOC_VGPRS)
	s_endpgm
.LBB31_143:
	s_wait_xcnt 0xb
	v_lshl_add_u32 v6, v1, 4, 0x200
	s_wait_xcnt 0x0
	s_mov_b32 s2, exec_lo
	v_cmpx_eq_u32_e32 31, v1
	s_cbranch_execz .LBB31_145
; %bb.144:
	scratch_load_b128 v[2:5], off, s14
	v_mov_b32_e32 v8, 0
	s_delay_alu instid0(VALU_DEP_1)
	v_dual_mov_b32 v9, v8 :: v_dual_mov_b32 v10, v8
	v_mov_b32_e32 v11, v8
	scratch_store_b128 off, v[8:11], off offset:480
	s_wait_loadcnt 0x0
	ds_store_b128 v6, v[2:5]
.LBB31_145:
	s_wait_xcnt 0x0
	s_or_b32 exec_lo, exec_lo, s2
	s_wait_storecnt_dscnt 0x0
	s_barrier_signal -1
	s_barrier_wait -1
	s_clause 0x1
	scratch_load_b128 v[8:11], off, off offset:496
	scratch_load_b128 v[78:81], off, off offset:480
	v_mov_b32_e32 v2, 0
	s_mov_b32 s2, exec_lo
	ds_load_b128 v[82:85], v2 offset:1008
	s_wait_loadcnt_dscnt 0x100
	v_mul_f64_e32 v[4:5], v[84:85], v[10:11]
	v_mul_f64_e32 v[10:11], v[82:83], v[10:11]
	s_delay_alu instid0(VALU_DEP_2) | instskip(NEXT) | instid1(VALU_DEP_2)
	v_fma_f64 v[4:5], v[82:83], v[8:9], -v[4:5]
	v_fmac_f64_e32 v[10:11], v[84:85], v[8:9]
	s_delay_alu instid0(VALU_DEP_2) | instskip(NEXT) | instid1(VALU_DEP_2)
	v_add_f64_e32 v[4:5], 0, v[4:5]
	v_add_f64_e32 v[10:11], 0, v[10:11]
	s_wait_loadcnt 0x0
	s_delay_alu instid0(VALU_DEP_2) | instskip(NEXT) | instid1(VALU_DEP_2)
	v_add_f64_e64 v[8:9], v[78:79], -v[4:5]
	v_add_f64_e64 v[10:11], v[80:81], -v[10:11]
	scratch_store_b128 off, v[8:11], off offset:480
	s_wait_xcnt 0x0
	v_cmpx_lt_u32_e32 29, v1
	s_cbranch_execz .LBB31_147
; %bb.146:
	scratch_load_b128 v[8:11], off, s12
	v_dual_mov_b32 v3, v2 :: v_dual_mov_b32 v4, v2
	v_mov_b32_e32 v5, v2
	scratch_store_b128 off, v[2:5], off offset:464
	s_wait_loadcnt 0x0
	ds_store_b128 v6, v[8:11]
.LBB31_147:
	s_wait_xcnt 0x0
	s_or_b32 exec_lo, exec_lo, s2
	s_wait_storecnt_dscnt 0x0
	s_barrier_signal -1
	s_barrier_wait -1
	s_clause 0x2
	scratch_load_b128 v[8:11], off, off offset:480
	scratch_load_b128 v[78:81], off, off offset:496
	;; [unrolled: 1-line block ×3, first 2 shown]
	ds_load_b128 v[86:89], v2 offset:992
	ds_load_b128 v[2:5], v2 offset:1008
	s_mov_b32 s2, exec_lo
	s_wait_loadcnt_dscnt 0x201
	v_mul_f64_e32 v[12:13], v[88:89], v[10:11]
	v_mul_f64_e32 v[10:11], v[86:87], v[10:11]
	s_wait_loadcnt_dscnt 0x100
	v_mul_f64_e32 v[90:91], v[2:3], v[80:81]
	v_mul_f64_e32 v[80:81], v[4:5], v[80:81]
	s_delay_alu instid0(VALU_DEP_4) | instskip(NEXT) | instid1(VALU_DEP_4)
	v_fma_f64 v[12:13], v[86:87], v[8:9], -v[12:13]
	v_fmac_f64_e32 v[10:11], v[88:89], v[8:9]
	s_delay_alu instid0(VALU_DEP_4) | instskip(NEXT) | instid1(VALU_DEP_4)
	v_fmac_f64_e32 v[90:91], v[4:5], v[78:79]
	v_fma_f64 v[2:3], v[2:3], v[78:79], -v[80:81]
	s_delay_alu instid0(VALU_DEP_4) | instskip(NEXT) | instid1(VALU_DEP_4)
	v_add_f64_e32 v[4:5], 0, v[12:13]
	v_add_f64_e32 v[8:9], 0, v[10:11]
	s_delay_alu instid0(VALU_DEP_2) | instskip(NEXT) | instid1(VALU_DEP_2)
	v_add_f64_e32 v[2:3], v[4:5], v[2:3]
	v_add_f64_e32 v[4:5], v[8:9], v[90:91]
	s_wait_loadcnt 0x0
	s_delay_alu instid0(VALU_DEP_2) | instskip(NEXT) | instid1(VALU_DEP_2)
	v_add_f64_e64 v[2:3], v[82:83], -v[2:3]
	v_add_f64_e64 v[4:5], v[84:85], -v[4:5]
	scratch_store_b128 off, v[2:5], off offset:464
	s_wait_xcnt 0x0
	v_cmpx_lt_u32_e32 28, v1
	s_cbranch_execz .LBB31_149
; %bb.148:
	scratch_load_b128 v[2:5], off, s22
	v_mov_b32_e32 v8, 0
	s_delay_alu instid0(VALU_DEP_1)
	v_dual_mov_b32 v9, v8 :: v_dual_mov_b32 v10, v8
	v_mov_b32_e32 v11, v8
	scratch_store_b128 off, v[8:11], off offset:448
	s_wait_loadcnt 0x0
	ds_store_b128 v6, v[2:5]
.LBB31_149:
	s_wait_xcnt 0x0
	s_or_b32 exec_lo, exec_lo, s2
	s_wait_storecnt_dscnt 0x0
	s_barrier_signal -1
	s_barrier_wait -1
	s_clause 0x3
	scratch_load_b128 v[8:11], off, off offset:464
	scratch_load_b128 v[78:81], off, off offset:480
	;; [unrolled: 1-line block ×4, first 2 shown]
	v_mov_b32_e32 v2, 0
	ds_load_b128 v[90:93], v2 offset:976
	ds_load_b128 v[94:97], v2 offset:992
	s_mov_b32 s2, exec_lo
	s_wait_loadcnt_dscnt 0x301
	v_mul_f64_e32 v[4:5], v[92:93], v[10:11]
	v_mul_f64_e32 v[12:13], v[90:91], v[10:11]
	s_wait_loadcnt_dscnt 0x200
	v_mul_f64_e32 v[98:99], v[94:95], v[80:81]
	v_mul_f64_e32 v[80:81], v[96:97], v[80:81]
	s_delay_alu instid0(VALU_DEP_4) | instskip(NEXT) | instid1(VALU_DEP_4)
	v_fma_f64 v[4:5], v[90:91], v[8:9], -v[4:5]
	v_fmac_f64_e32 v[12:13], v[92:93], v[8:9]
	ds_load_b128 v[8:11], v2 offset:1008
	v_fmac_f64_e32 v[98:99], v[96:97], v[78:79]
	v_fma_f64 v[78:79], v[94:95], v[78:79], -v[80:81]
	s_wait_loadcnt_dscnt 0x100
	v_mul_f64_e32 v[90:91], v[8:9], v[84:85]
	v_mul_f64_e32 v[84:85], v[10:11], v[84:85]
	v_add_f64_e32 v[4:5], 0, v[4:5]
	v_add_f64_e32 v[12:13], 0, v[12:13]
	s_delay_alu instid0(VALU_DEP_4) | instskip(NEXT) | instid1(VALU_DEP_4)
	v_fmac_f64_e32 v[90:91], v[10:11], v[82:83]
	v_fma_f64 v[8:9], v[8:9], v[82:83], -v[84:85]
	s_delay_alu instid0(VALU_DEP_4) | instskip(NEXT) | instid1(VALU_DEP_4)
	v_add_f64_e32 v[4:5], v[4:5], v[78:79]
	v_add_f64_e32 v[10:11], v[12:13], v[98:99]
	s_delay_alu instid0(VALU_DEP_2) | instskip(NEXT) | instid1(VALU_DEP_2)
	v_add_f64_e32 v[4:5], v[4:5], v[8:9]
	v_add_f64_e32 v[10:11], v[10:11], v[90:91]
	s_wait_loadcnt 0x0
	s_delay_alu instid0(VALU_DEP_2) | instskip(NEXT) | instid1(VALU_DEP_2)
	v_add_f64_e64 v[8:9], v[86:87], -v[4:5]
	v_add_f64_e64 v[10:11], v[88:89], -v[10:11]
	scratch_store_b128 off, v[8:11], off offset:448
	s_wait_xcnt 0x0
	v_cmpx_lt_u32_e32 27, v1
	s_cbranch_execz .LBB31_151
; %bb.150:
	scratch_load_b128 v[8:11], off, s20
	v_dual_mov_b32 v3, v2 :: v_dual_mov_b32 v4, v2
	v_mov_b32_e32 v5, v2
	scratch_store_b128 off, v[2:5], off offset:432
	s_wait_loadcnt 0x0
	ds_store_b128 v6, v[8:11]
.LBB31_151:
	s_wait_xcnt 0x0
	s_or_b32 exec_lo, exec_lo, s2
	s_wait_storecnt_dscnt 0x0
	s_barrier_signal -1
	s_barrier_wait -1
	s_clause 0x4
	scratch_load_b128 v[8:11], off, off offset:448
	scratch_load_b128 v[78:81], off, off offset:464
	;; [unrolled: 1-line block ×5, first 2 shown]
	ds_load_b128 v[94:97], v2 offset:960
	ds_load_b128 v[98:101], v2 offset:976
	s_mov_b32 s2, exec_lo
	s_wait_loadcnt_dscnt 0x401
	v_mul_f64_e32 v[4:5], v[96:97], v[10:11]
	v_mul_f64_e32 v[12:13], v[94:95], v[10:11]
	s_wait_loadcnt_dscnt 0x300
	v_mul_f64_e32 v[102:103], v[98:99], v[80:81]
	v_mul_f64_e32 v[80:81], v[100:101], v[80:81]
	s_delay_alu instid0(VALU_DEP_4) | instskip(NEXT) | instid1(VALU_DEP_4)
	v_fma_f64 v[94:95], v[94:95], v[8:9], -v[4:5]
	v_fmac_f64_e32 v[12:13], v[96:97], v[8:9]
	ds_load_b128 v[8:11], v2 offset:992
	ds_load_b128 v[2:5], v2 offset:1008
	v_fmac_f64_e32 v[102:103], v[100:101], v[78:79]
	v_fma_f64 v[78:79], v[98:99], v[78:79], -v[80:81]
	s_wait_loadcnt_dscnt 0x201
	v_mul_f64_e32 v[96:97], v[8:9], v[84:85]
	v_mul_f64_e32 v[84:85], v[10:11], v[84:85]
	v_add_f64_e32 v[80:81], 0, v[94:95]
	v_add_f64_e32 v[12:13], 0, v[12:13]
	s_wait_loadcnt_dscnt 0x100
	v_mul_f64_e32 v[94:95], v[2:3], v[88:89]
	v_mul_f64_e32 v[88:89], v[4:5], v[88:89]
	v_fmac_f64_e32 v[96:97], v[10:11], v[82:83]
	v_fma_f64 v[8:9], v[8:9], v[82:83], -v[84:85]
	v_add_f64_e32 v[10:11], v[80:81], v[78:79]
	v_add_f64_e32 v[12:13], v[12:13], v[102:103]
	v_fmac_f64_e32 v[94:95], v[4:5], v[86:87]
	v_fma_f64 v[2:3], v[2:3], v[86:87], -v[88:89]
	s_delay_alu instid0(VALU_DEP_4) | instskip(NEXT) | instid1(VALU_DEP_4)
	v_add_f64_e32 v[4:5], v[10:11], v[8:9]
	v_add_f64_e32 v[8:9], v[12:13], v[96:97]
	s_delay_alu instid0(VALU_DEP_2) | instskip(NEXT) | instid1(VALU_DEP_2)
	v_add_f64_e32 v[2:3], v[4:5], v[2:3]
	v_add_f64_e32 v[4:5], v[8:9], v[94:95]
	s_wait_loadcnt 0x0
	s_delay_alu instid0(VALU_DEP_2) | instskip(NEXT) | instid1(VALU_DEP_2)
	v_add_f64_e64 v[2:3], v[90:91], -v[2:3]
	v_add_f64_e64 v[4:5], v[92:93], -v[4:5]
	scratch_store_b128 off, v[2:5], off offset:432
	s_wait_xcnt 0x0
	v_cmpx_lt_u32_e32 26, v1
	s_cbranch_execz .LBB31_153
; %bb.152:
	scratch_load_b128 v[2:5], off, s26
	v_mov_b32_e32 v8, 0
	s_delay_alu instid0(VALU_DEP_1)
	v_dual_mov_b32 v9, v8 :: v_dual_mov_b32 v10, v8
	v_mov_b32_e32 v11, v8
	scratch_store_b128 off, v[8:11], off offset:416
	s_wait_loadcnt 0x0
	ds_store_b128 v6, v[2:5]
.LBB31_153:
	s_wait_xcnt 0x0
	s_or_b32 exec_lo, exec_lo, s2
	s_wait_storecnt_dscnt 0x0
	s_barrier_signal -1
	s_barrier_wait -1
	s_clause 0x5
	scratch_load_b128 v[8:11], off, off offset:432
	scratch_load_b128 v[78:81], off, off offset:448
	scratch_load_b128 v[82:85], off, off offset:464
	scratch_load_b128 v[86:89], off, off offset:480
	scratch_load_b128 v[90:93], off, off offset:496
	scratch_load_b128 v[94:97], off, off offset:416
	v_mov_b32_e32 v2, 0
	ds_load_b128 v[98:101], v2 offset:944
	ds_load_b128 v[102:105], v2 offset:960
	s_mov_b32 s2, exec_lo
	s_wait_loadcnt_dscnt 0x501
	v_mul_f64_e32 v[4:5], v[100:101], v[10:11]
	v_mul_f64_e32 v[12:13], v[98:99], v[10:11]
	s_wait_loadcnt_dscnt 0x400
	v_mul_f64_e32 v[106:107], v[102:103], v[80:81]
	v_mul_f64_e32 v[80:81], v[104:105], v[80:81]
	s_delay_alu instid0(VALU_DEP_4) | instskip(NEXT) | instid1(VALU_DEP_4)
	v_fma_f64 v[4:5], v[98:99], v[8:9], -v[4:5]
	v_fmac_f64_e32 v[12:13], v[100:101], v[8:9]
	ds_load_b128 v[8:11], v2 offset:976
	ds_load_b128 v[98:101], v2 offset:992
	v_fmac_f64_e32 v[106:107], v[104:105], v[78:79]
	v_fma_f64 v[78:79], v[102:103], v[78:79], -v[80:81]
	s_wait_loadcnt_dscnt 0x301
	v_mul_f64_e32 v[108:109], v[8:9], v[84:85]
	v_mul_f64_e32 v[84:85], v[10:11], v[84:85]
	s_wait_loadcnt_dscnt 0x200
	v_mul_f64_e32 v[80:81], v[98:99], v[88:89]
	v_mul_f64_e32 v[88:89], v[100:101], v[88:89]
	v_add_f64_e32 v[4:5], 0, v[4:5]
	v_add_f64_e32 v[12:13], 0, v[12:13]
	v_fmac_f64_e32 v[108:109], v[10:11], v[82:83]
	v_fma_f64 v[82:83], v[8:9], v[82:83], -v[84:85]
	ds_load_b128 v[8:11], v2 offset:1008
	v_fmac_f64_e32 v[80:81], v[100:101], v[86:87]
	v_fma_f64 v[86:87], v[98:99], v[86:87], -v[88:89]
	v_add_f64_e32 v[4:5], v[4:5], v[78:79]
	v_add_f64_e32 v[12:13], v[12:13], v[106:107]
	s_wait_loadcnt_dscnt 0x100
	v_mul_f64_e32 v[78:79], v[8:9], v[92:93]
	v_mul_f64_e32 v[84:85], v[10:11], v[92:93]
	s_delay_alu instid0(VALU_DEP_4) | instskip(NEXT) | instid1(VALU_DEP_4)
	v_add_f64_e32 v[4:5], v[4:5], v[82:83]
	v_add_f64_e32 v[12:13], v[12:13], v[108:109]
	s_delay_alu instid0(VALU_DEP_4) | instskip(NEXT) | instid1(VALU_DEP_4)
	v_fmac_f64_e32 v[78:79], v[10:11], v[90:91]
	v_fma_f64 v[8:9], v[8:9], v[90:91], -v[84:85]
	s_delay_alu instid0(VALU_DEP_4) | instskip(NEXT) | instid1(VALU_DEP_4)
	v_add_f64_e32 v[4:5], v[4:5], v[86:87]
	v_add_f64_e32 v[10:11], v[12:13], v[80:81]
	s_delay_alu instid0(VALU_DEP_2) | instskip(NEXT) | instid1(VALU_DEP_2)
	v_add_f64_e32 v[4:5], v[4:5], v[8:9]
	v_add_f64_e32 v[10:11], v[10:11], v[78:79]
	s_wait_loadcnt 0x0
	s_delay_alu instid0(VALU_DEP_2) | instskip(NEXT) | instid1(VALU_DEP_2)
	v_add_f64_e64 v[8:9], v[94:95], -v[4:5]
	v_add_f64_e64 v[10:11], v[96:97], -v[10:11]
	scratch_store_b128 off, v[8:11], off offset:416
	s_wait_xcnt 0x0
	v_cmpx_lt_u32_e32 25, v1
	s_cbranch_execz .LBB31_155
; %bb.154:
	scratch_load_b128 v[8:11], off, s24
	v_dual_mov_b32 v3, v2 :: v_dual_mov_b32 v4, v2
	v_mov_b32_e32 v5, v2
	scratch_store_b128 off, v[2:5], off offset:400
	s_wait_loadcnt 0x0
	ds_store_b128 v6, v[8:11]
.LBB31_155:
	s_wait_xcnt 0x0
	s_or_b32 exec_lo, exec_lo, s2
	s_wait_storecnt_dscnt 0x0
	s_barrier_signal -1
	s_barrier_wait -1
	s_clause 0x6
	scratch_load_b128 v[8:11], off, off offset:416
	scratch_load_b128 v[78:81], off, off offset:432
	;; [unrolled: 1-line block ×7, first 2 shown]
	ds_load_b128 v[102:105], v2 offset:928
	ds_load_b128 v[106:109], v2 offset:944
	s_mov_b32 s2, exec_lo
	s_wait_loadcnt_dscnt 0x601
	v_mul_f64_e32 v[4:5], v[104:105], v[10:11]
	v_mul_f64_e32 v[12:13], v[102:103], v[10:11]
	s_wait_loadcnt_dscnt 0x500
	v_mul_f64_e32 v[110:111], v[106:107], v[80:81]
	v_mul_f64_e32 v[80:81], v[108:109], v[80:81]
	s_delay_alu instid0(VALU_DEP_4) | instskip(NEXT) | instid1(VALU_DEP_4)
	v_fma_f64 v[4:5], v[102:103], v[8:9], -v[4:5]
	v_fmac_f64_e32 v[12:13], v[104:105], v[8:9]
	ds_load_b128 v[8:11], v2 offset:960
	ds_load_b128 v[102:105], v2 offset:976
	v_fmac_f64_e32 v[110:111], v[108:109], v[78:79]
	v_fma_f64 v[78:79], v[106:107], v[78:79], -v[80:81]
	s_wait_loadcnt_dscnt 0x401
	v_mul_f64_e32 v[112:113], v[8:9], v[84:85]
	v_mul_f64_e32 v[84:85], v[10:11], v[84:85]
	s_wait_loadcnt_dscnt 0x300
	v_mul_f64_e32 v[80:81], v[102:103], v[88:89]
	v_mul_f64_e32 v[88:89], v[104:105], v[88:89]
	v_add_f64_e32 v[4:5], 0, v[4:5]
	v_add_f64_e32 v[12:13], 0, v[12:13]
	v_fmac_f64_e32 v[112:113], v[10:11], v[82:83]
	v_fma_f64 v[82:83], v[8:9], v[82:83], -v[84:85]
	v_fmac_f64_e32 v[80:81], v[104:105], v[86:87]
	v_fma_f64 v[86:87], v[102:103], v[86:87], -v[88:89]
	v_add_f64_e32 v[78:79], v[4:5], v[78:79]
	v_add_f64_e32 v[12:13], v[12:13], v[110:111]
	ds_load_b128 v[8:11], v2 offset:992
	ds_load_b128 v[2:5], v2 offset:1008
	s_wait_loadcnt_dscnt 0x201
	v_mul_f64_e32 v[84:85], v[8:9], v[92:93]
	v_mul_f64_e32 v[92:93], v[10:11], v[92:93]
	s_wait_loadcnt_dscnt 0x100
	v_mul_f64_e32 v[88:89], v[4:5], v[96:97]
	v_add_f64_e32 v[78:79], v[78:79], v[82:83]
	v_add_f64_e32 v[12:13], v[12:13], v[112:113]
	v_mul_f64_e32 v[82:83], v[2:3], v[96:97]
	v_fmac_f64_e32 v[84:85], v[10:11], v[90:91]
	v_fma_f64 v[8:9], v[8:9], v[90:91], -v[92:93]
	v_fma_f64 v[2:3], v[2:3], v[94:95], -v[88:89]
	v_add_f64_e32 v[10:11], v[78:79], v[86:87]
	v_add_f64_e32 v[12:13], v[12:13], v[80:81]
	v_fmac_f64_e32 v[82:83], v[4:5], v[94:95]
	s_delay_alu instid0(VALU_DEP_3) | instskip(NEXT) | instid1(VALU_DEP_3)
	v_add_f64_e32 v[4:5], v[10:11], v[8:9]
	v_add_f64_e32 v[8:9], v[12:13], v[84:85]
	s_delay_alu instid0(VALU_DEP_2) | instskip(NEXT) | instid1(VALU_DEP_2)
	v_add_f64_e32 v[2:3], v[4:5], v[2:3]
	v_add_f64_e32 v[4:5], v[8:9], v[82:83]
	s_wait_loadcnt 0x0
	s_delay_alu instid0(VALU_DEP_2) | instskip(NEXT) | instid1(VALU_DEP_2)
	v_add_f64_e64 v[2:3], v[98:99], -v[2:3]
	v_add_f64_e64 v[4:5], v[100:101], -v[4:5]
	scratch_store_b128 off, v[2:5], off offset:400
	s_wait_xcnt 0x0
	v_cmpx_lt_u32_e32 24, v1
	s_cbranch_execz .LBB31_157
; %bb.156:
	scratch_load_b128 v[2:5], off, s9
	v_mov_b32_e32 v8, 0
	s_delay_alu instid0(VALU_DEP_1)
	v_dual_mov_b32 v9, v8 :: v_dual_mov_b32 v10, v8
	v_mov_b32_e32 v11, v8
	scratch_store_b128 off, v[8:11], off offset:384
	s_wait_loadcnt 0x0
	ds_store_b128 v6, v[2:5]
.LBB31_157:
	s_wait_xcnt 0x0
	s_or_b32 exec_lo, exec_lo, s2
	s_wait_storecnt_dscnt 0x0
	s_barrier_signal -1
	s_barrier_wait -1
	s_clause 0x7
	scratch_load_b128 v[8:11], off, off offset:400
	scratch_load_b128 v[78:81], off, off offset:416
	;; [unrolled: 1-line block ×8, first 2 shown]
	v_mov_b32_e32 v2, 0
	ds_load_b128 v[106:109], v2 offset:912
	ds_load_b128 v[110:113], v2 offset:928
	s_mov_b32 s2, exec_lo
	s_wait_loadcnt_dscnt 0x701
	v_mul_f64_e32 v[4:5], v[108:109], v[10:11]
	v_mul_f64_e32 v[12:13], v[106:107], v[10:11]
	s_wait_loadcnt_dscnt 0x600
	v_mul_f64_e32 v[114:115], v[110:111], v[80:81]
	v_mul_f64_e32 v[80:81], v[112:113], v[80:81]
	s_delay_alu instid0(VALU_DEP_4) | instskip(NEXT) | instid1(VALU_DEP_4)
	v_fma_f64 v[4:5], v[106:107], v[8:9], -v[4:5]
	v_fmac_f64_e32 v[12:13], v[108:109], v[8:9]
	ds_load_b128 v[8:11], v2 offset:944
	ds_load_b128 v[106:109], v2 offset:960
	v_fmac_f64_e32 v[114:115], v[112:113], v[78:79]
	v_fma_f64 v[78:79], v[110:111], v[78:79], -v[80:81]
	s_wait_loadcnt_dscnt 0x501
	v_mul_f64_e32 v[116:117], v[8:9], v[84:85]
	v_mul_f64_e32 v[84:85], v[10:11], v[84:85]
	s_wait_loadcnt_dscnt 0x400
	v_mul_f64_e32 v[110:111], v[106:107], v[88:89]
	v_mul_f64_e32 v[88:89], v[108:109], v[88:89]
	v_add_f64_e32 v[4:5], 0, v[4:5]
	v_add_f64_e32 v[12:13], 0, v[12:13]
	v_fmac_f64_e32 v[116:117], v[10:11], v[82:83]
	v_fma_f64 v[82:83], v[8:9], v[82:83], -v[84:85]
	v_fmac_f64_e32 v[110:111], v[108:109], v[86:87]
	v_fma_f64 v[86:87], v[106:107], v[86:87], -v[88:89]
	v_add_f64_e32 v[4:5], v[4:5], v[78:79]
	v_add_f64_e32 v[12:13], v[12:13], v[114:115]
	ds_load_b128 v[8:11], v2 offset:976
	ds_load_b128 v[78:81], v2 offset:992
	s_wait_loadcnt_dscnt 0x301
	v_mul_f64_e32 v[84:85], v[8:9], v[92:93]
	v_mul_f64_e32 v[92:93], v[10:11], v[92:93]
	s_wait_loadcnt_dscnt 0x200
	v_mul_f64_e32 v[88:89], v[80:81], v[96:97]
	v_add_f64_e32 v[4:5], v[4:5], v[82:83]
	v_add_f64_e32 v[12:13], v[12:13], v[116:117]
	v_mul_f64_e32 v[82:83], v[78:79], v[96:97]
	v_fmac_f64_e32 v[84:85], v[10:11], v[90:91]
	v_fma_f64 v[90:91], v[8:9], v[90:91], -v[92:93]
	ds_load_b128 v[8:11], v2 offset:1008
	v_fma_f64 v[78:79], v[78:79], v[94:95], -v[88:89]
	v_add_f64_e32 v[4:5], v[4:5], v[86:87]
	v_add_f64_e32 v[12:13], v[12:13], v[110:111]
	v_fmac_f64_e32 v[82:83], v[80:81], v[94:95]
	s_wait_loadcnt_dscnt 0x100
	v_mul_f64_e32 v[86:87], v[8:9], v[100:101]
	v_mul_f64_e32 v[92:93], v[10:11], v[100:101]
	v_add_f64_e32 v[4:5], v[4:5], v[90:91]
	v_add_f64_e32 v[12:13], v[12:13], v[84:85]
	s_delay_alu instid0(VALU_DEP_4) | instskip(NEXT) | instid1(VALU_DEP_4)
	v_fmac_f64_e32 v[86:87], v[10:11], v[98:99]
	v_fma_f64 v[8:9], v[8:9], v[98:99], -v[92:93]
	s_delay_alu instid0(VALU_DEP_4) | instskip(NEXT) | instid1(VALU_DEP_4)
	v_add_f64_e32 v[4:5], v[4:5], v[78:79]
	v_add_f64_e32 v[10:11], v[12:13], v[82:83]
	s_delay_alu instid0(VALU_DEP_2) | instskip(NEXT) | instid1(VALU_DEP_2)
	v_add_f64_e32 v[4:5], v[4:5], v[8:9]
	v_add_f64_e32 v[10:11], v[10:11], v[86:87]
	s_wait_loadcnt 0x0
	s_delay_alu instid0(VALU_DEP_2) | instskip(NEXT) | instid1(VALU_DEP_2)
	v_add_f64_e64 v[8:9], v[102:103], -v[4:5]
	v_add_f64_e64 v[10:11], v[104:105], -v[10:11]
	scratch_store_b128 off, v[8:11], off offset:384
	s_wait_xcnt 0x0
	v_cmpx_lt_u32_e32 23, v1
	s_cbranch_execz .LBB31_159
; %bb.158:
	scratch_load_b128 v[8:11], off, s8
	v_dual_mov_b32 v3, v2 :: v_dual_mov_b32 v4, v2
	v_mov_b32_e32 v5, v2
	scratch_store_b128 off, v[2:5], off offset:368
	s_wait_loadcnt 0x0
	ds_store_b128 v6, v[8:11]
.LBB31_159:
	s_wait_xcnt 0x0
	s_or_b32 exec_lo, exec_lo, s2
	s_wait_storecnt_dscnt 0x0
	s_barrier_signal -1
	s_barrier_wait -1
	s_clause 0x7
	scratch_load_b128 v[8:11], off, off offset:384
	scratch_load_b128 v[78:81], off, off offset:400
	;; [unrolled: 1-line block ×8, first 2 shown]
	ds_load_b128 v[106:109], v2 offset:896
	ds_load_b128 v[110:113], v2 offset:912
	scratch_load_b128 v[114:117], off, off offset:368
	s_mov_b32 s2, exec_lo
	s_wait_loadcnt_dscnt 0x801
	v_mul_f64_e32 v[4:5], v[108:109], v[10:11]
	v_mul_f64_e32 v[12:13], v[106:107], v[10:11]
	s_wait_loadcnt_dscnt 0x700
	v_mul_f64_e32 v[118:119], v[110:111], v[80:81]
	v_mul_f64_e32 v[80:81], v[112:113], v[80:81]
	s_delay_alu instid0(VALU_DEP_4) | instskip(NEXT) | instid1(VALU_DEP_4)
	v_fma_f64 v[4:5], v[106:107], v[8:9], -v[4:5]
	v_fmac_f64_e32 v[12:13], v[108:109], v[8:9]
	ds_load_b128 v[8:11], v2 offset:928
	ds_load_b128 v[106:109], v2 offset:944
	v_fmac_f64_e32 v[118:119], v[112:113], v[78:79]
	v_fma_f64 v[78:79], v[110:111], v[78:79], -v[80:81]
	s_wait_loadcnt_dscnt 0x601
	v_mul_f64_e32 v[120:121], v[8:9], v[84:85]
	v_mul_f64_e32 v[84:85], v[10:11], v[84:85]
	s_wait_loadcnt_dscnt 0x500
	v_mul_f64_e32 v[110:111], v[106:107], v[88:89]
	v_mul_f64_e32 v[88:89], v[108:109], v[88:89]
	v_add_f64_e32 v[4:5], 0, v[4:5]
	v_add_f64_e32 v[12:13], 0, v[12:13]
	v_fmac_f64_e32 v[120:121], v[10:11], v[82:83]
	v_fma_f64 v[82:83], v[8:9], v[82:83], -v[84:85]
	v_fmac_f64_e32 v[110:111], v[108:109], v[86:87]
	v_fma_f64 v[86:87], v[106:107], v[86:87], -v[88:89]
	v_add_f64_e32 v[4:5], v[4:5], v[78:79]
	v_add_f64_e32 v[12:13], v[12:13], v[118:119]
	ds_load_b128 v[8:11], v2 offset:960
	ds_load_b128 v[78:81], v2 offset:976
	s_wait_loadcnt_dscnt 0x401
	v_mul_f64_e32 v[84:85], v[8:9], v[92:93]
	v_mul_f64_e32 v[92:93], v[10:11], v[92:93]
	s_wait_loadcnt_dscnt 0x300
	v_mul_f64_e32 v[88:89], v[80:81], v[96:97]
	v_add_f64_e32 v[4:5], v[4:5], v[82:83]
	v_add_f64_e32 v[12:13], v[12:13], v[120:121]
	v_mul_f64_e32 v[82:83], v[78:79], v[96:97]
	v_fmac_f64_e32 v[84:85], v[10:11], v[90:91]
	v_fma_f64 v[90:91], v[8:9], v[90:91], -v[92:93]
	v_fma_f64 v[78:79], v[78:79], v[94:95], -v[88:89]
	v_add_f64_e32 v[86:87], v[4:5], v[86:87]
	v_add_f64_e32 v[12:13], v[12:13], v[110:111]
	ds_load_b128 v[8:11], v2 offset:992
	ds_load_b128 v[2:5], v2 offset:1008
	v_fmac_f64_e32 v[82:83], v[80:81], v[94:95]
	s_wait_loadcnt_dscnt 0x201
	v_mul_f64_e32 v[92:93], v[8:9], v[100:101]
	v_mul_f64_e32 v[96:97], v[10:11], v[100:101]
	v_add_f64_e32 v[80:81], v[86:87], v[90:91]
	v_add_f64_e32 v[12:13], v[12:13], v[84:85]
	s_wait_loadcnt_dscnt 0x100
	v_mul_f64_e32 v[84:85], v[2:3], v[104:105]
	v_mul_f64_e32 v[86:87], v[4:5], v[104:105]
	v_fmac_f64_e32 v[92:93], v[10:11], v[98:99]
	v_fma_f64 v[8:9], v[8:9], v[98:99], -v[96:97]
	v_add_f64_e32 v[10:11], v[80:81], v[78:79]
	v_add_f64_e32 v[12:13], v[12:13], v[82:83]
	v_fmac_f64_e32 v[84:85], v[4:5], v[102:103]
	v_fma_f64 v[2:3], v[2:3], v[102:103], -v[86:87]
	s_delay_alu instid0(VALU_DEP_4) | instskip(NEXT) | instid1(VALU_DEP_4)
	v_add_f64_e32 v[4:5], v[10:11], v[8:9]
	v_add_f64_e32 v[8:9], v[12:13], v[92:93]
	s_delay_alu instid0(VALU_DEP_2) | instskip(NEXT) | instid1(VALU_DEP_2)
	v_add_f64_e32 v[2:3], v[4:5], v[2:3]
	v_add_f64_e32 v[4:5], v[8:9], v[84:85]
	s_wait_loadcnt 0x0
	s_delay_alu instid0(VALU_DEP_2) | instskip(NEXT) | instid1(VALU_DEP_2)
	v_add_f64_e64 v[2:3], v[114:115], -v[2:3]
	v_add_f64_e64 v[4:5], v[116:117], -v[4:5]
	scratch_store_b128 off, v[2:5], off offset:368
	s_wait_xcnt 0x0
	v_cmpx_lt_u32_e32 22, v1
	s_cbranch_execz .LBB31_161
; %bb.160:
	scratch_load_b128 v[2:5], off, s11
	v_mov_b32_e32 v8, 0
	s_delay_alu instid0(VALU_DEP_1)
	v_dual_mov_b32 v9, v8 :: v_dual_mov_b32 v10, v8
	v_mov_b32_e32 v11, v8
	scratch_store_b128 off, v[8:11], off offset:352
	s_wait_loadcnt 0x0
	ds_store_b128 v6, v[2:5]
.LBB31_161:
	s_wait_xcnt 0x0
	s_or_b32 exec_lo, exec_lo, s2
	s_wait_storecnt_dscnt 0x0
	s_barrier_signal -1
	s_barrier_wait -1
	s_clause 0x8
	scratch_load_b128 v[8:11], off, off offset:368
	scratch_load_b128 v[78:81], off, off offset:384
	scratch_load_b128 v[82:85], off, off offset:400
	scratch_load_b128 v[86:89], off, off offset:416
	scratch_load_b128 v[90:93], off, off offset:432
	scratch_load_b128 v[94:97], off, off offset:448
	scratch_load_b128 v[98:101], off, off offset:464
	scratch_load_b128 v[102:105], off, off offset:480
	scratch_load_b128 v[106:109], off, off offset:496
	v_mov_b32_e32 v2, 0
	scratch_load_b128 v[114:117], off, off offset:352
	s_mov_b32 s2, exec_lo
	ds_load_b128 v[110:113], v2 offset:880
	ds_load_b128 v[118:121], v2 offset:896
	s_wait_loadcnt_dscnt 0x901
	v_mul_f64_e32 v[4:5], v[112:113], v[10:11]
	v_mul_f64_e32 v[12:13], v[110:111], v[10:11]
	s_wait_loadcnt_dscnt 0x800
	v_mul_f64_e32 v[122:123], v[118:119], v[80:81]
	v_mul_f64_e32 v[80:81], v[120:121], v[80:81]
	s_delay_alu instid0(VALU_DEP_4) | instskip(NEXT) | instid1(VALU_DEP_4)
	v_fma_f64 v[4:5], v[110:111], v[8:9], -v[4:5]
	v_fmac_f64_e32 v[12:13], v[112:113], v[8:9]
	ds_load_b128 v[8:11], v2 offset:912
	ds_load_b128 v[110:113], v2 offset:928
	v_fmac_f64_e32 v[122:123], v[120:121], v[78:79]
	v_fma_f64 v[78:79], v[118:119], v[78:79], -v[80:81]
	s_wait_loadcnt_dscnt 0x701
	v_mul_f64_e32 v[124:125], v[8:9], v[84:85]
	v_mul_f64_e32 v[84:85], v[10:11], v[84:85]
	s_wait_loadcnt_dscnt 0x600
	v_mul_f64_e32 v[118:119], v[110:111], v[88:89]
	v_mul_f64_e32 v[88:89], v[112:113], v[88:89]
	v_add_f64_e32 v[4:5], 0, v[4:5]
	v_add_f64_e32 v[12:13], 0, v[12:13]
	v_fmac_f64_e32 v[124:125], v[10:11], v[82:83]
	v_fma_f64 v[82:83], v[8:9], v[82:83], -v[84:85]
	v_fmac_f64_e32 v[118:119], v[112:113], v[86:87]
	v_fma_f64 v[86:87], v[110:111], v[86:87], -v[88:89]
	v_add_f64_e32 v[4:5], v[4:5], v[78:79]
	v_add_f64_e32 v[12:13], v[12:13], v[122:123]
	ds_load_b128 v[8:11], v2 offset:944
	ds_load_b128 v[78:81], v2 offset:960
	s_wait_loadcnt_dscnt 0x501
	v_mul_f64_e32 v[120:121], v[8:9], v[92:93]
	v_mul_f64_e32 v[84:85], v[10:11], v[92:93]
	s_wait_loadcnt_dscnt 0x400
	v_mul_f64_e32 v[88:89], v[78:79], v[96:97]
	v_mul_f64_e32 v[92:93], v[80:81], v[96:97]
	v_add_f64_e32 v[4:5], v[4:5], v[82:83]
	v_add_f64_e32 v[12:13], v[12:13], v[124:125]
	v_fmac_f64_e32 v[120:121], v[10:11], v[90:91]
	v_fma_f64 v[90:91], v[8:9], v[90:91], -v[84:85]
	ds_load_b128 v[8:11], v2 offset:976
	ds_load_b128 v[82:85], v2 offset:992
	v_fmac_f64_e32 v[88:89], v[80:81], v[94:95]
	v_fma_f64 v[78:79], v[78:79], v[94:95], -v[92:93]
	v_add_f64_e32 v[4:5], v[4:5], v[86:87]
	v_add_f64_e32 v[12:13], v[12:13], v[118:119]
	s_wait_loadcnt_dscnt 0x301
	v_mul_f64_e32 v[86:87], v[8:9], v[100:101]
	v_mul_f64_e32 v[96:97], v[10:11], v[100:101]
	s_wait_loadcnt_dscnt 0x200
	v_mul_f64_e32 v[80:81], v[82:83], v[104:105]
	v_add_f64_e32 v[4:5], v[4:5], v[90:91]
	v_add_f64_e32 v[12:13], v[12:13], v[120:121]
	v_mul_f64_e32 v[90:91], v[84:85], v[104:105]
	v_fmac_f64_e32 v[86:87], v[10:11], v[98:99]
	v_fma_f64 v[92:93], v[8:9], v[98:99], -v[96:97]
	ds_load_b128 v[8:11], v2 offset:1008
	v_fmac_f64_e32 v[80:81], v[84:85], v[102:103]
	v_add_f64_e32 v[4:5], v[4:5], v[78:79]
	v_add_f64_e32 v[12:13], v[12:13], v[88:89]
	s_wait_loadcnt_dscnt 0x100
	v_mul_f64_e32 v[78:79], v[8:9], v[108:109]
	v_mul_f64_e32 v[88:89], v[10:11], v[108:109]
	v_fma_f64 v[82:83], v[82:83], v[102:103], -v[90:91]
	v_add_f64_e32 v[4:5], v[4:5], v[92:93]
	v_add_f64_e32 v[12:13], v[12:13], v[86:87]
	v_fmac_f64_e32 v[78:79], v[10:11], v[106:107]
	v_fma_f64 v[8:9], v[8:9], v[106:107], -v[88:89]
	s_delay_alu instid0(VALU_DEP_4) | instskip(NEXT) | instid1(VALU_DEP_4)
	v_add_f64_e32 v[4:5], v[4:5], v[82:83]
	v_add_f64_e32 v[10:11], v[12:13], v[80:81]
	s_delay_alu instid0(VALU_DEP_2) | instskip(NEXT) | instid1(VALU_DEP_2)
	v_add_f64_e32 v[4:5], v[4:5], v[8:9]
	v_add_f64_e32 v[10:11], v[10:11], v[78:79]
	s_wait_loadcnt 0x0
	s_delay_alu instid0(VALU_DEP_2) | instskip(NEXT) | instid1(VALU_DEP_2)
	v_add_f64_e64 v[8:9], v[114:115], -v[4:5]
	v_add_f64_e64 v[10:11], v[116:117], -v[10:11]
	scratch_store_b128 off, v[8:11], off offset:352
	s_wait_xcnt 0x0
	v_cmpx_lt_u32_e32 21, v1
	s_cbranch_execz .LBB31_163
; %bb.162:
	scratch_load_b128 v[8:11], off, s10
	v_dual_mov_b32 v3, v2 :: v_dual_mov_b32 v4, v2
	v_mov_b32_e32 v5, v2
	scratch_store_b128 off, v[2:5], off offset:336
	s_wait_loadcnt 0x0
	ds_store_b128 v6, v[8:11]
.LBB31_163:
	s_wait_xcnt 0x0
	s_or_b32 exec_lo, exec_lo, s2
	s_wait_storecnt_dscnt 0x0
	s_barrier_signal -1
	s_barrier_wait -1
	s_clause 0x9
	scratch_load_b128 v[8:11], off, off offset:352
	scratch_load_b128 v[78:81], off, off offset:368
	;; [unrolled: 1-line block ×10, first 2 shown]
	ds_load_b128 v[114:117], v2 offset:864
	ds_load_b128 v[118:121], v2 offset:880
	scratch_load_b128 v[122:125], off, off offset:336
	s_mov_b32 s2, exec_lo
	s_wait_loadcnt_dscnt 0xa01
	v_mul_f64_e32 v[4:5], v[116:117], v[10:11]
	v_mul_f64_e32 v[12:13], v[114:115], v[10:11]
	s_wait_loadcnt_dscnt 0x900
	v_mul_f64_e32 v[126:127], v[118:119], v[80:81]
	v_mul_f64_e32 v[80:81], v[120:121], v[80:81]
	s_delay_alu instid0(VALU_DEP_4) | instskip(NEXT) | instid1(VALU_DEP_4)
	v_fma_f64 v[4:5], v[114:115], v[8:9], -v[4:5]
	v_fmac_f64_e32 v[12:13], v[116:117], v[8:9]
	ds_load_b128 v[8:11], v2 offset:896
	ds_load_b128 v[114:117], v2 offset:912
	v_fmac_f64_e32 v[126:127], v[120:121], v[78:79]
	v_fma_f64 v[78:79], v[118:119], v[78:79], -v[80:81]
	s_wait_loadcnt_dscnt 0x801
	v_mul_f64_e32 v[128:129], v[8:9], v[84:85]
	v_mul_f64_e32 v[84:85], v[10:11], v[84:85]
	s_wait_loadcnt_dscnt 0x700
	v_mul_f64_e32 v[118:119], v[114:115], v[88:89]
	v_mul_f64_e32 v[88:89], v[116:117], v[88:89]
	v_add_f64_e32 v[4:5], 0, v[4:5]
	v_add_f64_e32 v[12:13], 0, v[12:13]
	v_fmac_f64_e32 v[128:129], v[10:11], v[82:83]
	v_fma_f64 v[82:83], v[8:9], v[82:83], -v[84:85]
	v_fmac_f64_e32 v[118:119], v[116:117], v[86:87]
	v_fma_f64 v[86:87], v[114:115], v[86:87], -v[88:89]
	v_add_f64_e32 v[4:5], v[4:5], v[78:79]
	v_add_f64_e32 v[12:13], v[12:13], v[126:127]
	ds_load_b128 v[8:11], v2 offset:928
	ds_load_b128 v[78:81], v2 offset:944
	s_wait_loadcnt_dscnt 0x601
	v_mul_f64_e32 v[120:121], v[8:9], v[92:93]
	v_mul_f64_e32 v[84:85], v[10:11], v[92:93]
	s_wait_loadcnt_dscnt 0x500
	v_mul_f64_e32 v[88:89], v[78:79], v[96:97]
	v_mul_f64_e32 v[92:93], v[80:81], v[96:97]
	v_add_f64_e32 v[4:5], v[4:5], v[82:83]
	v_add_f64_e32 v[12:13], v[12:13], v[128:129]
	v_fmac_f64_e32 v[120:121], v[10:11], v[90:91]
	v_fma_f64 v[90:91], v[8:9], v[90:91], -v[84:85]
	ds_load_b128 v[8:11], v2 offset:960
	ds_load_b128 v[82:85], v2 offset:976
	v_fmac_f64_e32 v[88:89], v[80:81], v[94:95]
	v_fma_f64 v[78:79], v[78:79], v[94:95], -v[92:93]
	v_add_f64_e32 v[4:5], v[4:5], v[86:87]
	v_add_f64_e32 v[12:13], v[12:13], v[118:119]
	s_wait_loadcnt_dscnt 0x401
	v_mul_f64_e32 v[86:87], v[8:9], v[100:101]
	v_mul_f64_e32 v[96:97], v[10:11], v[100:101]
	s_wait_loadcnt_dscnt 0x300
	v_mul_f64_e32 v[80:81], v[82:83], v[104:105]
	v_add_f64_e32 v[4:5], v[4:5], v[90:91]
	v_add_f64_e32 v[12:13], v[12:13], v[120:121]
	v_mul_f64_e32 v[90:91], v[84:85], v[104:105]
	v_fmac_f64_e32 v[86:87], v[10:11], v[98:99]
	v_fma_f64 v[92:93], v[8:9], v[98:99], -v[96:97]
	v_fmac_f64_e32 v[80:81], v[84:85], v[102:103]
	v_add_f64_e32 v[78:79], v[4:5], v[78:79]
	v_add_f64_e32 v[12:13], v[12:13], v[88:89]
	ds_load_b128 v[8:11], v2 offset:992
	ds_load_b128 v[2:5], v2 offset:1008
	v_fma_f64 v[82:83], v[82:83], v[102:103], -v[90:91]
	s_wait_loadcnt_dscnt 0x201
	v_mul_f64_e32 v[88:89], v[8:9], v[108:109]
	v_mul_f64_e32 v[94:95], v[10:11], v[108:109]
	s_wait_loadcnt_dscnt 0x100
	v_mul_f64_e32 v[84:85], v[2:3], v[112:113]
	v_add_f64_e32 v[78:79], v[78:79], v[92:93]
	v_add_f64_e32 v[12:13], v[12:13], v[86:87]
	v_mul_f64_e32 v[86:87], v[4:5], v[112:113]
	v_fmac_f64_e32 v[88:89], v[10:11], v[106:107]
	v_fma_f64 v[8:9], v[8:9], v[106:107], -v[94:95]
	v_fmac_f64_e32 v[84:85], v[4:5], v[110:111]
	v_add_f64_e32 v[10:11], v[78:79], v[82:83]
	v_add_f64_e32 v[12:13], v[12:13], v[80:81]
	v_fma_f64 v[2:3], v[2:3], v[110:111], -v[86:87]
	s_delay_alu instid0(VALU_DEP_3) | instskip(NEXT) | instid1(VALU_DEP_3)
	v_add_f64_e32 v[4:5], v[10:11], v[8:9]
	v_add_f64_e32 v[8:9], v[12:13], v[88:89]
	s_delay_alu instid0(VALU_DEP_2) | instskip(NEXT) | instid1(VALU_DEP_2)
	v_add_f64_e32 v[2:3], v[4:5], v[2:3]
	v_add_f64_e32 v[4:5], v[8:9], v[84:85]
	s_wait_loadcnt 0x0
	s_delay_alu instid0(VALU_DEP_2) | instskip(NEXT) | instid1(VALU_DEP_2)
	v_add_f64_e64 v[2:3], v[122:123], -v[2:3]
	v_add_f64_e64 v[4:5], v[124:125], -v[4:5]
	scratch_store_b128 off, v[2:5], off offset:336
	s_wait_xcnt 0x0
	v_cmpx_lt_u32_e32 20, v1
	s_cbranch_execz .LBB31_165
; %bb.164:
	scratch_load_b128 v[2:5], off, s15
	v_mov_b32_e32 v8, 0
	s_delay_alu instid0(VALU_DEP_1)
	v_dual_mov_b32 v9, v8 :: v_dual_mov_b32 v10, v8
	v_mov_b32_e32 v11, v8
	scratch_store_b128 off, v[8:11], off offset:320
	s_wait_loadcnt 0x0
	ds_store_b128 v6, v[2:5]
.LBB31_165:
	s_wait_xcnt 0x0
	s_or_b32 exec_lo, exec_lo, s2
	s_wait_storecnt_dscnt 0x0
	s_barrier_signal -1
	s_barrier_wait -1
	s_clause 0x9
	scratch_load_b128 v[8:11], off, off offset:336
	scratch_load_b128 v[78:81], off, off offset:352
	;; [unrolled: 1-line block ×10, first 2 shown]
	v_mov_b32_e32 v2, 0
	s_mov_b32 s2, exec_lo
	ds_load_b128 v[114:117], v2 offset:848
	s_clause 0x1
	scratch_load_b128 v[118:121], off, off offset:496
	scratch_load_b128 v[122:125], off, off offset:320
	s_wait_loadcnt_dscnt 0xb00
	v_mul_f64_e32 v[4:5], v[116:117], v[10:11]
	v_mul_f64_e32 v[12:13], v[114:115], v[10:11]
	ds_load_b128 v[126:129], v2 offset:864
	s_wait_loadcnt_dscnt 0xa00
	v_mul_f64_e32 v[130:131], v[126:127], v[80:81]
	v_mul_f64_e32 v[80:81], v[128:129], v[80:81]
	v_fma_f64 v[4:5], v[114:115], v[8:9], -v[4:5]
	v_fmac_f64_e32 v[12:13], v[116:117], v[8:9]
	ds_load_b128 v[8:11], v2 offset:880
	ds_load_b128 v[114:117], v2 offset:896
	s_wait_loadcnt_dscnt 0x901
	v_mul_f64_e32 v[132:133], v[8:9], v[84:85]
	v_mul_f64_e32 v[84:85], v[10:11], v[84:85]
	v_fmac_f64_e32 v[130:131], v[128:129], v[78:79]
	v_fma_f64 v[78:79], v[126:127], v[78:79], -v[80:81]
	s_wait_loadcnt_dscnt 0x800
	v_mul_f64_e32 v[126:127], v[114:115], v[88:89]
	v_mul_f64_e32 v[88:89], v[116:117], v[88:89]
	v_add_f64_e32 v[4:5], 0, v[4:5]
	v_add_f64_e32 v[12:13], 0, v[12:13]
	v_fmac_f64_e32 v[132:133], v[10:11], v[82:83]
	v_fma_f64 v[82:83], v[8:9], v[82:83], -v[84:85]
	v_fmac_f64_e32 v[126:127], v[116:117], v[86:87]
	v_fma_f64 v[86:87], v[114:115], v[86:87], -v[88:89]
	v_add_f64_e32 v[4:5], v[4:5], v[78:79]
	v_add_f64_e32 v[12:13], v[12:13], v[130:131]
	ds_load_b128 v[8:11], v2 offset:912
	ds_load_b128 v[78:81], v2 offset:928
	s_wait_loadcnt_dscnt 0x701
	v_mul_f64_e32 v[128:129], v[8:9], v[92:93]
	v_mul_f64_e32 v[84:85], v[10:11], v[92:93]
	s_wait_loadcnt_dscnt 0x600
	v_mul_f64_e32 v[88:89], v[78:79], v[96:97]
	v_mul_f64_e32 v[92:93], v[80:81], v[96:97]
	v_add_f64_e32 v[4:5], v[4:5], v[82:83]
	v_add_f64_e32 v[12:13], v[12:13], v[132:133]
	v_fmac_f64_e32 v[128:129], v[10:11], v[90:91]
	v_fma_f64 v[90:91], v[8:9], v[90:91], -v[84:85]
	ds_load_b128 v[8:11], v2 offset:944
	ds_load_b128 v[82:85], v2 offset:960
	v_fmac_f64_e32 v[88:89], v[80:81], v[94:95]
	v_fma_f64 v[78:79], v[78:79], v[94:95], -v[92:93]
	v_add_f64_e32 v[4:5], v[4:5], v[86:87]
	v_add_f64_e32 v[12:13], v[12:13], v[126:127]
	s_wait_loadcnt_dscnt 0x501
	v_mul_f64_e32 v[86:87], v[8:9], v[100:101]
	v_mul_f64_e32 v[96:97], v[10:11], v[100:101]
	s_wait_loadcnt_dscnt 0x400
	v_mul_f64_e32 v[92:93], v[84:85], v[104:105]
	v_add_f64_e32 v[4:5], v[4:5], v[90:91]
	v_add_f64_e32 v[12:13], v[12:13], v[128:129]
	v_mul_f64_e32 v[90:91], v[82:83], v[104:105]
	v_fmac_f64_e32 v[86:87], v[10:11], v[98:99]
	v_fma_f64 v[94:95], v[8:9], v[98:99], -v[96:97]
	v_fma_f64 v[82:83], v[82:83], v[102:103], -v[92:93]
	v_add_f64_e32 v[4:5], v[4:5], v[78:79]
	v_add_f64_e32 v[12:13], v[12:13], v[88:89]
	ds_load_b128 v[8:11], v2 offset:976
	ds_load_b128 v[78:81], v2 offset:992
	v_fmac_f64_e32 v[90:91], v[84:85], v[102:103]
	s_wait_loadcnt_dscnt 0x301
	v_mul_f64_e32 v[88:89], v[8:9], v[108:109]
	v_mul_f64_e32 v[96:97], v[10:11], v[108:109]
	s_wait_loadcnt_dscnt 0x200
	v_mul_f64_e32 v[84:85], v[78:79], v[112:113]
	v_add_f64_e32 v[4:5], v[4:5], v[94:95]
	v_add_f64_e32 v[12:13], v[12:13], v[86:87]
	v_mul_f64_e32 v[86:87], v[80:81], v[112:113]
	v_fmac_f64_e32 v[88:89], v[10:11], v[106:107]
	v_fma_f64 v[92:93], v[8:9], v[106:107], -v[96:97]
	ds_load_b128 v[8:11], v2 offset:1008
	v_fmac_f64_e32 v[84:85], v[80:81], v[110:111]
	v_add_f64_e32 v[4:5], v[4:5], v[82:83]
	v_add_f64_e32 v[12:13], v[12:13], v[90:91]
	v_fma_f64 v[78:79], v[78:79], v[110:111], -v[86:87]
	s_wait_loadcnt_dscnt 0x100
	v_mul_f64_e32 v[82:83], v[8:9], v[120:121]
	v_mul_f64_e32 v[90:91], v[10:11], v[120:121]
	v_add_f64_e32 v[4:5], v[4:5], v[92:93]
	v_add_f64_e32 v[12:13], v[12:13], v[88:89]
	s_delay_alu instid0(VALU_DEP_4) | instskip(NEXT) | instid1(VALU_DEP_4)
	v_fmac_f64_e32 v[82:83], v[10:11], v[118:119]
	v_fma_f64 v[8:9], v[8:9], v[118:119], -v[90:91]
	s_delay_alu instid0(VALU_DEP_4) | instskip(NEXT) | instid1(VALU_DEP_4)
	v_add_f64_e32 v[4:5], v[4:5], v[78:79]
	v_add_f64_e32 v[10:11], v[12:13], v[84:85]
	s_delay_alu instid0(VALU_DEP_2) | instskip(NEXT) | instid1(VALU_DEP_2)
	v_add_f64_e32 v[4:5], v[4:5], v[8:9]
	v_add_f64_e32 v[10:11], v[10:11], v[82:83]
	s_wait_loadcnt 0x0
	s_delay_alu instid0(VALU_DEP_2) | instskip(NEXT) | instid1(VALU_DEP_2)
	v_add_f64_e64 v[8:9], v[122:123], -v[4:5]
	v_add_f64_e64 v[10:11], v[124:125], -v[10:11]
	scratch_store_b128 off, v[8:11], off offset:320
	s_wait_xcnt 0x0
	v_cmpx_lt_u32_e32 19, v1
	s_cbranch_execz .LBB31_167
; %bb.166:
	scratch_load_b128 v[8:11], off, s13
	v_dual_mov_b32 v3, v2 :: v_dual_mov_b32 v4, v2
	v_mov_b32_e32 v5, v2
	scratch_store_b128 off, v[2:5], off offset:304
	s_wait_loadcnt 0x0
	ds_store_b128 v6, v[8:11]
.LBB31_167:
	s_wait_xcnt 0x0
	s_or_b32 exec_lo, exec_lo, s2
	s_wait_storecnt_dscnt 0x0
	s_barrier_signal -1
	s_barrier_wait -1
	s_clause 0x9
	scratch_load_b128 v[8:11], off, off offset:320
	scratch_load_b128 v[78:81], off, off offset:336
	;; [unrolled: 1-line block ×10, first 2 shown]
	ds_load_b128 v[114:117], v2 offset:832
	ds_load_b128 v[122:125], v2 offset:848
	s_clause 0x1
	scratch_load_b128 v[118:121], off, off offset:480
	scratch_load_b128 v[126:129], off, off offset:304
	s_mov_b32 s2, exec_lo
	s_wait_loadcnt_dscnt 0xb01
	v_mul_f64_e32 v[4:5], v[116:117], v[10:11]
	v_mul_f64_e32 v[134:135], v[114:115], v[10:11]
	scratch_load_b128 v[10:13], off, off offset:496
	s_wait_loadcnt_dscnt 0xb00
	v_mul_f64_e32 v[136:137], v[122:123], v[80:81]
	v_mul_f64_e32 v[80:81], v[124:125], v[80:81]
	v_fma_f64 v[4:5], v[114:115], v[8:9], -v[4:5]
	v_fmac_f64_e32 v[134:135], v[116:117], v[8:9]
	ds_load_b128 v[114:117], v2 offset:864
	ds_load_b128 v[130:133], v2 offset:880
	v_fmac_f64_e32 v[136:137], v[124:125], v[78:79]
	v_fma_f64 v[78:79], v[122:123], v[78:79], -v[80:81]
	s_wait_loadcnt_dscnt 0xa01
	v_mul_f64_e32 v[8:9], v[114:115], v[84:85]
	v_mul_f64_e32 v[84:85], v[116:117], v[84:85]
	s_wait_loadcnt_dscnt 0x900
	v_mul_f64_e32 v[122:123], v[130:131], v[88:89]
	v_mul_f64_e32 v[88:89], v[132:133], v[88:89]
	v_add_f64_e32 v[4:5], 0, v[4:5]
	v_add_f64_e32 v[80:81], 0, v[134:135]
	v_fmac_f64_e32 v[8:9], v[116:117], v[82:83]
	v_fma_f64 v[114:115], v[114:115], v[82:83], -v[84:85]
	v_fmac_f64_e32 v[122:123], v[132:133], v[86:87]
	v_fma_f64 v[86:87], v[130:131], v[86:87], -v[88:89]
	v_add_f64_e32 v[4:5], v[4:5], v[78:79]
	v_add_f64_e32 v[116:117], v[80:81], v[136:137]
	ds_load_b128 v[78:81], v2 offset:896
	ds_load_b128 v[82:85], v2 offset:912
	s_wait_loadcnt_dscnt 0x801
	v_mul_f64_e32 v[124:125], v[78:79], v[92:93]
	v_mul_f64_e32 v[92:93], v[80:81], v[92:93]
	v_add_f64_e32 v[4:5], v[4:5], v[114:115]
	v_add_f64_e32 v[8:9], v[116:117], v[8:9]
	s_wait_loadcnt_dscnt 0x700
	v_mul_f64_e32 v[114:115], v[82:83], v[96:97]
	v_mul_f64_e32 v[96:97], v[84:85], v[96:97]
	v_fmac_f64_e32 v[124:125], v[80:81], v[90:91]
	v_fma_f64 v[90:91], v[78:79], v[90:91], -v[92:93]
	v_add_f64_e32 v[4:5], v[4:5], v[86:87]
	v_add_f64_e32 v[8:9], v[8:9], v[122:123]
	ds_load_b128 v[78:81], v2 offset:928
	ds_load_b128 v[86:89], v2 offset:944
	v_fmac_f64_e32 v[114:115], v[84:85], v[94:95]
	v_fma_f64 v[82:83], v[82:83], v[94:95], -v[96:97]
	s_wait_loadcnt_dscnt 0x601
	v_mul_f64_e32 v[92:93], v[78:79], v[100:101]
	v_mul_f64_e32 v[100:101], v[80:81], v[100:101]
	s_wait_loadcnt_dscnt 0x500
	v_mul_f64_e32 v[94:95], v[88:89], v[104:105]
	v_add_f64_e32 v[4:5], v[4:5], v[90:91]
	v_add_f64_e32 v[8:9], v[8:9], v[124:125]
	v_mul_f64_e32 v[90:91], v[86:87], v[104:105]
	v_fmac_f64_e32 v[92:93], v[80:81], v[98:99]
	v_fma_f64 v[96:97], v[78:79], v[98:99], -v[100:101]
	v_fma_f64 v[86:87], v[86:87], v[102:103], -v[94:95]
	v_add_f64_e32 v[4:5], v[4:5], v[82:83]
	v_add_f64_e32 v[8:9], v[8:9], v[114:115]
	ds_load_b128 v[78:81], v2 offset:960
	ds_load_b128 v[82:85], v2 offset:976
	v_fmac_f64_e32 v[90:91], v[88:89], v[102:103]
	s_wait_loadcnt_dscnt 0x401
	v_mul_f64_e32 v[98:99], v[78:79], v[108:109]
	v_mul_f64_e32 v[100:101], v[80:81], v[108:109]
	s_wait_loadcnt_dscnt 0x300
	v_mul_f64_e32 v[88:89], v[82:83], v[112:113]
	v_add_f64_e32 v[4:5], v[4:5], v[96:97]
	v_add_f64_e32 v[8:9], v[8:9], v[92:93]
	v_mul_f64_e32 v[92:93], v[84:85], v[112:113]
	v_fmac_f64_e32 v[98:99], v[80:81], v[106:107]
	v_fma_f64 v[94:95], v[78:79], v[106:107], -v[100:101]
	v_fmac_f64_e32 v[88:89], v[84:85], v[110:111]
	v_add_f64_e32 v[86:87], v[4:5], v[86:87]
	v_add_f64_e32 v[8:9], v[8:9], v[90:91]
	ds_load_b128 v[78:81], v2 offset:992
	ds_load_b128 v[2:5], v2 offset:1008
	v_fma_f64 v[82:83], v[82:83], v[110:111], -v[92:93]
	s_wait_loadcnt_dscnt 0x201
	v_mul_f64_e32 v[90:91], v[78:79], v[120:121]
	v_mul_f64_e32 v[96:97], v[80:81], v[120:121]
	v_add_f64_e32 v[84:85], v[86:87], v[94:95]
	v_add_f64_e32 v[8:9], v[8:9], v[98:99]
	s_wait_loadcnt_dscnt 0x0
	v_mul_f64_e32 v[86:87], v[2:3], v[12:13]
	v_mul_f64_e32 v[12:13], v[4:5], v[12:13]
	v_fmac_f64_e32 v[90:91], v[80:81], v[118:119]
	v_fma_f64 v[78:79], v[78:79], v[118:119], -v[96:97]
	v_add_f64_e32 v[80:81], v[84:85], v[82:83]
	v_add_f64_e32 v[8:9], v[8:9], v[88:89]
	v_fmac_f64_e32 v[86:87], v[4:5], v[10:11]
	v_fma_f64 v[2:3], v[2:3], v[10:11], -v[12:13]
	s_delay_alu instid0(VALU_DEP_4) | instskip(NEXT) | instid1(VALU_DEP_4)
	v_add_f64_e32 v[4:5], v[80:81], v[78:79]
	v_add_f64_e32 v[8:9], v[8:9], v[90:91]
	s_delay_alu instid0(VALU_DEP_2) | instskip(NEXT) | instid1(VALU_DEP_2)
	v_add_f64_e32 v[2:3], v[4:5], v[2:3]
	v_add_f64_e32 v[4:5], v[8:9], v[86:87]
	s_delay_alu instid0(VALU_DEP_2) | instskip(NEXT) | instid1(VALU_DEP_2)
	v_add_f64_e64 v[2:3], v[126:127], -v[2:3]
	v_add_f64_e64 v[4:5], v[128:129], -v[4:5]
	scratch_store_b128 off, v[2:5], off offset:304
	s_wait_xcnt 0x0
	v_cmpx_lt_u32_e32 18, v1
	s_cbranch_execz .LBB31_169
; %bb.168:
	scratch_load_b128 v[2:5], off, s23
	v_mov_b32_e32 v8, 0
	s_delay_alu instid0(VALU_DEP_1)
	v_dual_mov_b32 v9, v8 :: v_dual_mov_b32 v10, v8
	v_mov_b32_e32 v11, v8
	scratch_store_b128 off, v[8:11], off offset:288
	s_wait_loadcnt 0x0
	ds_store_b128 v6, v[2:5]
.LBB31_169:
	s_wait_xcnt 0x0
	s_or_b32 exec_lo, exec_lo, s2
	s_wait_storecnt_dscnt 0x0
	s_barrier_signal -1
	s_barrier_wait -1
	s_clause 0x9
	scratch_load_b128 v[8:11], off, off offset:304
	scratch_load_b128 v[78:81], off, off offset:320
	;; [unrolled: 1-line block ×10, first 2 shown]
	v_mov_b32_e32 v2, 0
	s_mov_b32 s2, exec_lo
	ds_load_b128 v[114:117], v2 offset:816
	s_clause 0x2
	scratch_load_b128 v[118:121], off, off offset:464
	scratch_load_b128 v[122:125], off, off offset:288
	;; [unrolled: 1-line block ×3, first 2 shown]
	s_wait_loadcnt_dscnt 0xc00
	v_mul_f64_e32 v[4:5], v[116:117], v[10:11]
	v_mul_f64_e32 v[138:139], v[114:115], v[10:11]
	ds_load_b128 v[126:129], v2 offset:832
	scratch_load_b128 v[10:13], off, off offset:480
	ds_load_b128 v[134:137], v2 offset:864
	v_fma_f64 v[4:5], v[114:115], v[8:9], -v[4:5]
	v_fmac_f64_e32 v[138:139], v[116:117], v[8:9]
	ds_load_b128 v[114:117], v2 offset:848
	s_wait_loadcnt_dscnt 0xc02
	v_mul_f64_e32 v[140:141], v[126:127], v[80:81]
	v_mul_f64_e32 v[80:81], v[128:129], v[80:81]
	s_wait_loadcnt_dscnt 0xb00
	v_mul_f64_e32 v[8:9], v[114:115], v[84:85]
	v_mul_f64_e32 v[84:85], v[116:117], v[84:85]
	v_add_f64_e32 v[4:5], 0, v[4:5]
	v_fmac_f64_e32 v[140:141], v[128:129], v[78:79]
	v_fma_f64 v[78:79], v[126:127], v[78:79], -v[80:81]
	v_add_f64_e32 v[80:81], 0, v[138:139]
	s_wait_loadcnt 0xa
	v_mul_f64_e32 v[126:127], v[134:135], v[88:89]
	v_mul_f64_e32 v[88:89], v[136:137], v[88:89]
	v_fmac_f64_e32 v[8:9], v[116:117], v[82:83]
	v_fma_f64 v[114:115], v[114:115], v[82:83], -v[84:85]
	v_add_f64_e32 v[4:5], v[4:5], v[78:79]
	v_add_f64_e32 v[116:117], v[80:81], v[140:141]
	ds_load_b128 v[78:81], v2 offset:880
	ds_load_b128 v[82:85], v2 offset:896
	v_fmac_f64_e32 v[126:127], v[136:137], v[86:87]
	v_fma_f64 v[86:87], v[134:135], v[86:87], -v[88:89]
	s_wait_loadcnt_dscnt 0x901
	v_mul_f64_e32 v[128:129], v[78:79], v[92:93]
	v_mul_f64_e32 v[92:93], v[80:81], v[92:93]
	v_add_f64_e32 v[4:5], v[4:5], v[114:115]
	v_add_f64_e32 v[8:9], v[116:117], v[8:9]
	s_wait_loadcnt_dscnt 0x800
	v_mul_f64_e32 v[114:115], v[82:83], v[96:97]
	v_mul_f64_e32 v[96:97], v[84:85], v[96:97]
	v_fmac_f64_e32 v[128:129], v[80:81], v[90:91]
	v_fma_f64 v[90:91], v[78:79], v[90:91], -v[92:93]
	v_add_f64_e32 v[4:5], v[4:5], v[86:87]
	v_add_f64_e32 v[8:9], v[8:9], v[126:127]
	ds_load_b128 v[78:81], v2 offset:912
	ds_load_b128 v[86:89], v2 offset:928
	v_fmac_f64_e32 v[114:115], v[84:85], v[94:95]
	v_fma_f64 v[82:83], v[82:83], v[94:95], -v[96:97]
	s_wait_loadcnt_dscnt 0x701
	v_mul_f64_e32 v[92:93], v[78:79], v[100:101]
	v_mul_f64_e32 v[100:101], v[80:81], v[100:101]
	s_wait_loadcnt_dscnt 0x600
	v_mul_f64_e32 v[94:95], v[88:89], v[104:105]
	v_add_f64_e32 v[4:5], v[4:5], v[90:91]
	v_add_f64_e32 v[8:9], v[8:9], v[128:129]
	v_mul_f64_e32 v[90:91], v[86:87], v[104:105]
	v_fmac_f64_e32 v[92:93], v[80:81], v[98:99]
	v_fma_f64 v[96:97], v[78:79], v[98:99], -v[100:101]
	v_fma_f64 v[86:87], v[86:87], v[102:103], -v[94:95]
	v_add_f64_e32 v[4:5], v[4:5], v[82:83]
	v_add_f64_e32 v[8:9], v[8:9], v[114:115]
	ds_load_b128 v[78:81], v2 offset:944
	ds_load_b128 v[82:85], v2 offset:960
	v_fmac_f64_e32 v[90:91], v[88:89], v[102:103]
	s_wait_loadcnt_dscnt 0x501
	v_mul_f64_e32 v[98:99], v[78:79], v[108:109]
	v_mul_f64_e32 v[100:101], v[80:81], v[108:109]
	s_wait_loadcnt_dscnt 0x400
	v_mul_f64_e32 v[94:95], v[84:85], v[112:113]
	v_add_f64_e32 v[4:5], v[4:5], v[96:97]
	v_add_f64_e32 v[8:9], v[8:9], v[92:93]
	v_mul_f64_e32 v[92:93], v[82:83], v[112:113]
	v_fmac_f64_e32 v[98:99], v[80:81], v[106:107]
	v_fma_f64 v[96:97], v[78:79], v[106:107], -v[100:101]
	v_fma_f64 v[82:83], v[82:83], v[110:111], -v[94:95]
	v_add_f64_e32 v[4:5], v[4:5], v[86:87]
	v_add_f64_e32 v[8:9], v[8:9], v[90:91]
	ds_load_b128 v[78:81], v2 offset:976
	ds_load_b128 v[86:89], v2 offset:992
	v_fmac_f64_e32 v[92:93], v[84:85], v[110:111]
	s_wait_loadcnt_dscnt 0x301
	v_mul_f64_e32 v[90:91], v[78:79], v[120:121]
	v_mul_f64_e32 v[100:101], v[80:81], v[120:121]
	s_wait_loadcnt_dscnt 0x0
	v_mul_f64_e32 v[84:85], v[86:87], v[12:13]
	v_add_f64_e32 v[4:5], v[4:5], v[96:97]
	v_add_f64_e32 v[8:9], v[8:9], v[98:99]
	v_mul_f64_e32 v[12:13], v[88:89], v[12:13]
	v_fmac_f64_e32 v[90:91], v[80:81], v[118:119]
	v_fma_f64 v[94:95], v[78:79], v[118:119], -v[100:101]
	ds_load_b128 v[78:81], v2 offset:1008
	v_fmac_f64_e32 v[84:85], v[88:89], v[10:11]
	v_add_f64_e32 v[4:5], v[4:5], v[82:83]
	v_add_f64_e32 v[8:9], v[8:9], v[92:93]
	v_fma_f64 v[10:11], v[86:87], v[10:11], -v[12:13]
	s_wait_dscnt 0x0
	v_mul_f64_e32 v[82:83], v[78:79], v[132:133]
	v_mul_f64_e32 v[92:93], v[80:81], v[132:133]
	v_add_f64_e32 v[4:5], v[4:5], v[94:95]
	v_add_f64_e32 v[8:9], v[8:9], v[90:91]
	s_delay_alu instid0(VALU_DEP_4) | instskip(NEXT) | instid1(VALU_DEP_4)
	v_fmac_f64_e32 v[82:83], v[80:81], v[130:131]
	v_fma_f64 v[12:13], v[78:79], v[130:131], -v[92:93]
	s_delay_alu instid0(VALU_DEP_4) | instskip(NEXT) | instid1(VALU_DEP_4)
	v_add_f64_e32 v[4:5], v[4:5], v[10:11]
	v_add_f64_e32 v[8:9], v[8:9], v[84:85]
	s_delay_alu instid0(VALU_DEP_2) | instskip(NEXT) | instid1(VALU_DEP_2)
	v_add_f64_e32 v[4:5], v[4:5], v[12:13]
	v_add_f64_e32 v[10:11], v[8:9], v[82:83]
	s_delay_alu instid0(VALU_DEP_2) | instskip(NEXT) | instid1(VALU_DEP_2)
	v_add_f64_e64 v[8:9], v[122:123], -v[4:5]
	v_add_f64_e64 v[10:11], v[124:125], -v[10:11]
	scratch_store_b128 off, v[8:11], off offset:288
	s_wait_xcnt 0x0
	v_cmpx_lt_u32_e32 17, v1
	s_cbranch_execz .LBB31_171
; %bb.170:
	scratch_load_b128 v[8:11], off, s21
	v_dual_mov_b32 v3, v2 :: v_dual_mov_b32 v4, v2
	v_mov_b32_e32 v5, v2
	scratch_store_b128 off, v[2:5], off offset:272
	s_wait_loadcnt 0x0
	ds_store_b128 v6, v[8:11]
.LBB31_171:
	s_wait_xcnt 0x0
	s_or_b32 exec_lo, exec_lo, s2
	s_wait_storecnt_dscnt 0x0
	s_barrier_signal -1
	s_barrier_wait -1
	s_clause 0x9
	scratch_load_b128 v[8:11], off, off offset:288
	scratch_load_b128 v[78:81], off, off offset:304
	;; [unrolled: 1-line block ×10, first 2 shown]
	ds_load_b128 v[114:117], v2 offset:800
	ds_load_b128 v[122:125], v2 offset:816
	s_clause 0x1
	scratch_load_b128 v[118:121], off, off offset:448
	scratch_load_b128 v[126:129], off, off offset:272
	s_mov_b32 s2, exec_lo
	s_wait_loadcnt_dscnt 0xb01
	v_mul_f64_e32 v[4:5], v[116:117], v[10:11]
	v_mul_f64_e32 v[138:139], v[114:115], v[10:11]
	scratch_load_b128 v[10:13], off, off offset:464
	s_wait_loadcnt_dscnt 0xb00
	v_mul_f64_e32 v[140:141], v[122:123], v[80:81]
	v_mul_f64_e32 v[80:81], v[124:125], v[80:81]
	v_fma_f64 v[4:5], v[114:115], v[8:9], -v[4:5]
	v_fmac_f64_e32 v[138:139], v[116:117], v[8:9]
	ds_load_b128 v[114:117], v2 offset:832
	ds_load_b128 v[130:133], v2 offset:848
	scratch_load_b128 v[134:137], off, off offset:480
	v_fmac_f64_e32 v[140:141], v[124:125], v[78:79]
	v_fma_f64 v[122:123], v[122:123], v[78:79], -v[80:81]
	scratch_load_b128 v[78:81], off, off offset:496
	s_wait_loadcnt_dscnt 0xc01
	v_mul_f64_e32 v[8:9], v[114:115], v[84:85]
	v_mul_f64_e32 v[84:85], v[116:117], v[84:85]
	v_add_f64_e32 v[4:5], 0, v[4:5]
	v_add_f64_e32 v[124:125], 0, v[138:139]
	s_wait_loadcnt_dscnt 0xb00
	v_mul_f64_e32 v[138:139], v[130:131], v[88:89]
	v_mul_f64_e32 v[88:89], v[132:133], v[88:89]
	v_fmac_f64_e32 v[8:9], v[116:117], v[82:83]
	v_fma_f64 v[142:143], v[114:115], v[82:83], -v[84:85]
	ds_load_b128 v[82:85], v2 offset:864
	ds_load_b128 v[114:117], v2 offset:880
	v_add_f64_e32 v[4:5], v[4:5], v[122:123]
	v_add_f64_e32 v[122:123], v[124:125], v[140:141]
	v_fmac_f64_e32 v[138:139], v[132:133], v[86:87]
	v_fma_f64 v[86:87], v[130:131], v[86:87], -v[88:89]
	s_wait_loadcnt_dscnt 0xa01
	v_mul_f64_e32 v[124:125], v[82:83], v[92:93]
	v_mul_f64_e32 v[92:93], v[84:85], v[92:93]
	v_add_f64_e32 v[4:5], v[4:5], v[142:143]
	v_add_f64_e32 v[8:9], v[122:123], v[8:9]
	s_wait_loadcnt_dscnt 0x900
	v_mul_f64_e32 v[122:123], v[114:115], v[96:97]
	v_mul_f64_e32 v[96:97], v[116:117], v[96:97]
	v_fmac_f64_e32 v[124:125], v[84:85], v[90:91]
	v_fma_f64 v[90:91], v[82:83], v[90:91], -v[92:93]
	v_add_f64_e32 v[4:5], v[4:5], v[86:87]
	v_add_f64_e32 v[8:9], v[8:9], v[138:139]
	ds_load_b128 v[82:85], v2 offset:896
	ds_load_b128 v[86:89], v2 offset:912
	v_fmac_f64_e32 v[122:123], v[116:117], v[94:95]
	v_fma_f64 v[94:95], v[114:115], v[94:95], -v[96:97]
	s_wait_loadcnt_dscnt 0x801
	v_mul_f64_e32 v[130:131], v[82:83], v[100:101]
	v_mul_f64_e32 v[92:93], v[84:85], v[100:101]
	s_wait_loadcnt_dscnt 0x700
	v_mul_f64_e32 v[96:97], v[86:87], v[104:105]
	v_mul_f64_e32 v[100:101], v[88:89], v[104:105]
	v_add_f64_e32 v[4:5], v[4:5], v[90:91]
	v_add_f64_e32 v[8:9], v[8:9], v[124:125]
	v_fmac_f64_e32 v[130:131], v[84:85], v[98:99]
	v_fma_f64 v[98:99], v[82:83], v[98:99], -v[92:93]
	ds_load_b128 v[82:85], v2 offset:928
	ds_load_b128 v[90:93], v2 offset:944
	v_fmac_f64_e32 v[96:97], v[88:89], v[102:103]
	v_fma_f64 v[86:87], v[86:87], v[102:103], -v[100:101]
	v_add_f64_e32 v[4:5], v[4:5], v[94:95]
	v_add_f64_e32 v[8:9], v[8:9], v[122:123]
	s_wait_loadcnt_dscnt 0x601
	v_mul_f64_e32 v[94:95], v[82:83], v[108:109]
	v_mul_f64_e32 v[104:105], v[84:85], v[108:109]
	s_wait_loadcnt_dscnt 0x500
	v_mul_f64_e32 v[100:101], v[92:93], v[112:113]
	v_add_f64_e32 v[4:5], v[4:5], v[98:99]
	v_add_f64_e32 v[8:9], v[8:9], v[130:131]
	v_mul_f64_e32 v[98:99], v[90:91], v[112:113]
	v_fmac_f64_e32 v[94:95], v[84:85], v[106:107]
	v_fma_f64 v[102:103], v[82:83], v[106:107], -v[104:105]
	v_fma_f64 v[90:91], v[90:91], v[110:111], -v[100:101]
	v_add_f64_e32 v[4:5], v[4:5], v[86:87]
	v_add_f64_e32 v[8:9], v[8:9], v[96:97]
	ds_load_b128 v[82:85], v2 offset:960
	ds_load_b128 v[86:89], v2 offset:976
	v_fmac_f64_e32 v[98:99], v[92:93], v[110:111]
	s_wait_loadcnt_dscnt 0x401
	v_mul_f64_e32 v[96:97], v[82:83], v[120:121]
	v_mul_f64_e32 v[104:105], v[84:85], v[120:121]
	v_add_f64_e32 v[4:5], v[4:5], v[102:103]
	v_add_f64_e32 v[8:9], v[8:9], v[94:95]
	s_wait_loadcnt_dscnt 0x200
	v_mul_f64_e32 v[92:93], v[86:87], v[12:13]
	v_mul_f64_e32 v[12:13], v[88:89], v[12:13]
	v_fmac_f64_e32 v[96:97], v[84:85], v[118:119]
	v_fma_f64 v[94:95], v[82:83], v[118:119], -v[104:105]
	v_add_f64_e32 v[90:91], v[4:5], v[90:91]
	v_add_f64_e32 v[8:9], v[8:9], v[98:99]
	ds_load_b128 v[82:85], v2 offset:992
	ds_load_b128 v[2:5], v2 offset:1008
	v_fmac_f64_e32 v[92:93], v[88:89], v[10:11]
	v_fma_f64 v[10:11], v[86:87], v[10:11], -v[12:13]
	s_wait_loadcnt_dscnt 0x101
	v_mul_f64_e32 v[98:99], v[82:83], v[136:137]
	v_mul_f64_e32 v[100:101], v[84:85], v[136:137]
	s_wait_loadcnt_dscnt 0x0
	v_mul_f64_e32 v[86:87], v[2:3], v[80:81]
	v_mul_f64_e32 v[80:81], v[4:5], v[80:81]
	v_add_f64_e32 v[12:13], v[90:91], v[94:95]
	v_add_f64_e32 v[8:9], v[8:9], v[96:97]
	v_fmac_f64_e32 v[98:99], v[84:85], v[134:135]
	v_fma_f64 v[82:83], v[82:83], v[134:135], -v[100:101]
	v_fmac_f64_e32 v[86:87], v[4:5], v[78:79]
	v_fma_f64 v[2:3], v[2:3], v[78:79], -v[80:81]
	v_add_f64_e32 v[10:11], v[12:13], v[10:11]
	v_add_f64_e32 v[8:9], v[8:9], v[92:93]
	s_delay_alu instid0(VALU_DEP_2) | instskip(NEXT) | instid1(VALU_DEP_2)
	v_add_f64_e32 v[4:5], v[10:11], v[82:83]
	v_add_f64_e32 v[8:9], v[8:9], v[98:99]
	s_delay_alu instid0(VALU_DEP_2) | instskip(NEXT) | instid1(VALU_DEP_2)
	;; [unrolled: 3-line block ×3, first 2 shown]
	v_add_f64_e64 v[2:3], v[126:127], -v[2:3]
	v_add_f64_e64 v[4:5], v[128:129], -v[4:5]
	scratch_store_b128 off, v[2:5], off offset:272
	s_wait_xcnt 0x0
	v_cmpx_lt_u32_e32 16, v1
	s_cbranch_execz .LBB31_173
; %bb.172:
	scratch_load_b128 v[2:5], off, s25
	v_mov_b32_e32 v8, 0
	s_delay_alu instid0(VALU_DEP_1)
	v_dual_mov_b32 v9, v8 :: v_dual_mov_b32 v10, v8
	v_mov_b32_e32 v11, v8
	scratch_store_b128 off, v[8:11], off offset:256
	s_wait_loadcnt 0x0
	ds_store_b128 v6, v[2:5]
.LBB31_173:
	s_wait_xcnt 0x0
	s_or_b32 exec_lo, exec_lo, s2
	s_wait_storecnt_dscnt 0x0
	s_barrier_signal -1
	s_barrier_wait -1
	s_clause 0x9
	scratch_load_b128 v[8:11], off, off offset:272
	scratch_load_b128 v[78:81], off, off offset:288
	scratch_load_b128 v[82:85], off, off offset:304
	scratch_load_b128 v[86:89], off, off offset:320
	scratch_load_b128 v[90:93], off, off offset:336
	scratch_load_b128 v[94:97], off, off offset:352
	scratch_load_b128 v[98:101], off, off offset:368
	scratch_load_b128 v[102:105], off, off offset:384
	scratch_load_b128 v[106:109], off, off offset:400
	scratch_load_b128 v[110:113], off, off offset:416
	v_mov_b32_e32 v2, 0
	s_mov_b32 s2, exec_lo
	ds_load_b128 v[114:117], v2 offset:784
	s_clause 0x2
	scratch_load_b128 v[118:121], off, off offset:432
	scratch_load_b128 v[122:125], off, off offset:256
	;; [unrolled: 1-line block ×3, first 2 shown]
	s_wait_loadcnt_dscnt 0xc00
	v_mul_f64_e32 v[4:5], v[116:117], v[10:11]
	v_mul_f64_e32 v[138:139], v[114:115], v[10:11]
	ds_load_b128 v[126:129], v2 offset:800
	scratch_load_b128 v[10:13], off, off offset:448
	ds_load_b128 v[134:137], v2 offset:832
	v_fma_f64 v[4:5], v[114:115], v[8:9], -v[4:5]
	v_fmac_f64_e32 v[138:139], v[116:117], v[8:9]
	ds_load_b128 v[114:117], v2 offset:816
	s_wait_loadcnt_dscnt 0xc02
	v_mul_f64_e32 v[140:141], v[126:127], v[80:81]
	v_mul_f64_e32 v[80:81], v[128:129], v[80:81]
	s_wait_loadcnt_dscnt 0xb00
	v_mul_f64_e32 v[8:9], v[114:115], v[84:85]
	v_mul_f64_e32 v[84:85], v[116:117], v[84:85]
	v_add_f64_e32 v[4:5], 0, v[4:5]
	v_fmac_f64_e32 v[140:141], v[128:129], v[78:79]
	v_fma_f64 v[126:127], v[126:127], v[78:79], -v[80:81]
	v_add_f64_e32 v[128:129], 0, v[138:139]
	scratch_load_b128 v[78:81], off, off offset:480
	v_fmac_f64_e32 v[8:9], v[116:117], v[82:83]
	v_fma_f64 v[142:143], v[114:115], v[82:83], -v[84:85]
	ds_load_b128 v[82:85], v2 offset:848
	s_wait_loadcnt 0xb
	v_mul_f64_e32 v[138:139], v[134:135], v[88:89]
	v_mul_f64_e32 v[88:89], v[136:137], v[88:89]
	scratch_load_b128 v[114:117], off, off offset:496
	v_add_f64_e32 v[4:5], v[4:5], v[126:127]
	v_add_f64_e32 v[140:141], v[128:129], v[140:141]
	ds_load_b128 v[126:129], v2 offset:864
	s_wait_loadcnt_dscnt 0xb01
	v_mul_f64_e32 v[144:145], v[82:83], v[92:93]
	v_mul_f64_e32 v[92:93], v[84:85], v[92:93]
	v_fmac_f64_e32 v[138:139], v[136:137], v[86:87]
	v_fma_f64 v[86:87], v[134:135], v[86:87], -v[88:89]
	s_wait_loadcnt_dscnt 0xa00
	v_mul_f64_e32 v[134:135], v[126:127], v[96:97]
	v_mul_f64_e32 v[96:97], v[128:129], v[96:97]
	v_add_f64_e32 v[4:5], v[4:5], v[142:143]
	v_add_f64_e32 v[8:9], v[140:141], v[8:9]
	v_fmac_f64_e32 v[144:145], v[84:85], v[90:91]
	v_fma_f64 v[90:91], v[82:83], v[90:91], -v[92:93]
	v_fmac_f64_e32 v[134:135], v[128:129], v[94:95]
	v_fma_f64 v[94:95], v[126:127], v[94:95], -v[96:97]
	v_add_f64_e32 v[4:5], v[4:5], v[86:87]
	v_add_f64_e32 v[8:9], v[8:9], v[138:139]
	ds_load_b128 v[82:85], v2 offset:880
	ds_load_b128 v[86:89], v2 offset:896
	s_wait_loadcnt_dscnt 0x901
	v_mul_f64_e32 v[136:137], v[82:83], v[100:101]
	v_mul_f64_e32 v[92:93], v[84:85], v[100:101]
	s_wait_loadcnt_dscnt 0x800
	v_mul_f64_e32 v[96:97], v[86:87], v[104:105]
	v_mul_f64_e32 v[100:101], v[88:89], v[104:105]
	v_add_f64_e32 v[4:5], v[4:5], v[90:91]
	v_add_f64_e32 v[8:9], v[8:9], v[144:145]
	v_fmac_f64_e32 v[136:137], v[84:85], v[98:99]
	v_fma_f64 v[98:99], v[82:83], v[98:99], -v[92:93]
	ds_load_b128 v[82:85], v2 offset:912
	ds_load_b128 v[90:93], v2 offset:928
	v_fmac_f64_e32 v[96:97], v[88:89], v[102:103]
	v_fma_f64 v[86:87], v[86:87], v[102:103], -v[100:101]
	v_add_f64_e32 v[4:5], v[4:5], v[94:95]
	v_add_f64_e32 v[8:9], v[8:9], v[134:135]
	s_wait_loadcnt_dscnt 0x701
	v_mul_f64_e32 v[94:95], v[82:83], v[108:109]
	v_mul_f64_e32 v[104:105], v[84:85], v[108:109]
	s_wait_loadcnt_dscnt 0x600
	v_mul_f64_e32 v[100:101], v[92:93], v[112:113]
	v_add_f64_e32 v[4:5], v[4:5], v[98:99]
	v_add_f64_e32 v[8:9], v[8:9], v[136:137]
	v_mul_f64_e32 v[98:99], v[90:91], v[112:113]
	v_fmac_f64_e32 v[94:95], v[84:85], v[106:107]
	v_fma_f64 v[102:103], v[82:83], v[106:107], -v[104:105]
	v_fma_f64 v[90:91], v[90:91], v[110:111], -v[100:101]
	v_add_f64_e32 v[4:5], v[4:5], v[86:87]
	v_add_f64_e32 v[8:9], v[8:9], v[96:97]
	ds_load_b128 v[82:85], v2 offset:944
	ds_load_b128 v[86:89], v2 offset:960
	v_fmac_f64_e32 v[98:99], v[92:93], v[110:111]
	s_wait_loadcnt_dscnt 0x501
	v_mul_f64_e32 v[96:97], v[82:83], v[120:121]
	v_mul_f64_e32 v[104:105], v[84:85], v[120:121]
	v_add_f64_e32 v[4:5], v[4:5], v[102:103]
	v_add_f64_e32 v[8:9], v[8:9], v[94:95]
	s_wait_loadcnt_dscnt 0x200
	v_mul_f64_e32 v[94:95], v[86:87], v[12:13]
	v_mul_f64_e32 v[12:13], v[88:89], v[12:13]
	v_fmac_f64_e32 v[96:97], v[84:85], v[118:119]
	v_fma_f64 v[100:101], v[82:83], v[118:119], -v[104:105]
	v_add_f64_e32 v[4:5], v[4:5], v[90:91]
	v_add_f64_e32 v[8:9], v[8:9], v[98:99]
	ds_load_b128 v[82:85], v2 offset:976
	ds_load_b128 v[90:93], v2 offset:992
	v_fmac_f64_e32 v[94:95], v[88:89], v[10:11]
	v_fma_f64 v[10:11], v[86:87], v[10:11], -v[12:13]
	s_wait_dscnt 0x1
	v_mul_f64_e32 v[98:99], v[82:83], v[132:133]
	v_mul_f64_e32 v[102:103], v[84:85], v[132:133]
	v_add_f64_e32 v[4:5], v[4:5], v[100:101]
	v_add_f64_e32 v[8:9], v[8:9], v[96:97]
	s_wait_loadcnt_dscnt 0x100
	v_mul_f64_e32 v[12:13], v[90:91], v[80:81]
	v_mul_f64_e32 v[80:81], v[92:93], v[80:81]
	v_fmac_f64_e32 v[98:99], v[84:85], v[130:131]
	v_fma_f64 v[82:83], v[82:83], v[130:131], -v[102:103]
	v_add_f64_e32 v[4:5], v[4:5], v[10:11]
	v_add_f64_e32 v[84:85], v[8:9], v[94:95]
	ds_load_b128 v[8:11], v2 offset:1008
	v_fmac_f64_e32 v[12:13], v[92:93], v[78:79]
	v_fma_f64 v[78:79], v[90:91], v[78:79], -v[80:81]
	s_wait_loadcnt_dscnt 0x0
	v_mul_f64_e32 v[86:87], v[8:9], v[116:117]
	v_mul_f64_e32 v[88:89], v[10:11], v[116:117]
	v_add_f64_e32 v[4:5], v[4:5], v[82:83]
	v_add_f64_e32 v[80:81], v[84:85], v[98:99]
	s_delay_alu instid0(VALU_DEP_4) | instskip(NEXT) | instid1(VALU_DEP_4)
	v_fmac_f64_e32 v[86:87], v[10:11], v[114:115]
	v_fma_f64 v[8:9], v[8:9], v[114:115], -v[88:89]
	s_delay_alu instid0(VALU_DEP_4) | instskip(NEXT) | instid1(VALU_DEP_4)
	v_add_f64_e32 v[4:5], v[4:5], v[78:79]
	v_add_f64_e32 v[10:11], v[80:81], v[12:13]
	s_delay_alu instid0(VALU_DEP_2) | instskip(NEXT) | instid1(VALU_DEP_2)
	v_add_f64_e32 v[4:5], v[4:5], v[8:9]
	v_add_f64_e32 v[10:11], v[10:11], v[86:87]
	s_delay_alu instid0(VALU_DEP_2) | instskip(NEXT) | instid1(VALU_DEP_2)
	v_add_f64_e64 v[8:9], v[122:123], -v[4:5]
	v_add_f64_e64 v[10:11], v[124:125], -v[10:11]
	scratch_store_b128 off, v[8:11], off offset:256
	s_wait_xcnt 0x0
	v_cmpx_lt_u32_e32 15, v1
	s_cbranch_execz .LBB31_175
; %bb.174:
	scratch_load_b128 v[8:11], off, s38
	v_dual_mov_b32 v3, v2 :: v_dual_mov_b32 v4, v2
	v_mov_b32_e32 v5, v2
	scratch_store_b128 off, v[2:5], off offset:240
	s_wait_loadcnt 0x0
	ds_store_b128 v6, v[8:11]
.LBB31_175:
	s_wait_xcnt 0x0
	s_or_b32 exec_lo, exec_lo, s2
	s_wait_storecnt_dscnt 0x0
	s_barrier_signal -1
	s_barrier_wait -1
	s_clause 0x9
	scratch_load_b128 v[8:11], off, off offset:256
	scratch_load_b128 v[78:81], off, off offset:272
	;; [unrolled: 1-line block ×10, first 2 shown]
	ds_load_b128 v[114:117], v2 offset:768
	ds_load_b128 v[122:125], v2 offset:784
	s_clause 0x1
	scratch_load_b128 v[118:121], off, off offset:416
	scratch_load_b128 v[126:129], off, off offset:240
	s_mov_b32 s2, exec_lo
	s_wait_loadcnt_dscnt 0xb01
	v_mul_f64_e32 v[4:5], v[116:117], v[10:11]
	v_mul_f64_e32 v[138:139], v[114:115], v[10:11]
	scratch_load_b128 v[10:13], off, off offset:432
	s_wait_loadcnt_dscnt 0xb00
	v_mul_f64_e32 v[140:141], v[122:123], v[80:81]
	v_mul_f64_e32 v[80:81], v[124:125], v[80:81]
	v_fma_f64 v[4:5], v[114:115], v[8:9], -v[4:5]
	v_fmac_f64_e32 v[138:139], v[116:117], v[8:9]
	ds_load_b128 v[114:117], v2 offset:800
	ds_load_b128 v[130:133], v2 offset:816
	scratch_load_b128 v[134:137], off, off offset:448
	v_fmac_f64_e32 v[140:141], v[124:125], v[78:79]
	v_fma_f64 v[122:123], v[122:123], v[78:79], -v[80:81]
	scratch_load_b128 v[78:81], off, off offset:464
	s_wait_loadcnt_dscnt 0xc01
	v_mul_f64_e32 v[8:9], v[114:115], v[84:85]
	v_mul_f64_e32 v[84:85], v[116:117], v[84:85]
	v_add_f64_e32 v[4:5], 0, v[4:5]
	v_add_f64_e32 v[124:125], 0, v[138:139]
	s_wait_loadcnt_dscnt 0xb00
	v_mul_f64_e32 v[138:139], v[130:131], v[88:89]
	v_mul_f64_e32 v[88:89], v[132:133], v[88:89]
	v_fmac_f64_e32 v[8:9], v[116:117], v[82:83]
	v_fma_f64 v[142:143], v[114:115], v[82:83], -v[84:85]
	ds_load_b128 v[82:85], v2 offset:832
	ds_load_b128 v[114:117], v2 offset:848
	v_add_f64_e32 v[4:5], v[4:5], v[122:123]
	v_add_f64_e32 v[140:141], v[124:125], v[140:141]
	scratch_load_b128 v[122:125], off, off offset:480
	v_fmac_f64_e32 v[138:139], v[132:133], v[86:87]
	v_fma_f64 v[130:131], v[130:131], v[86:87], -v[88:89]
	scratch_load_b128 v[86:89], off, off offset:496
	s_wait_loadcnt_dscnt 0xc01
	v_mul_f64_e32 v[144:145], v[82:83], v[92:93]
	v_mul_f64_e32 v[92:93], v[84:85], v[92:93]
	s_wait_loadcnt_dscnt 0xb00
	v_mul_f64_e32 v[132:133], v[114:115], v[96:97]
	v_mul_f64_e32 v[96:97], v[116:117], v[96:97]
	v_add_f64_e32 v[4:5], v[4:5], v[142:143]
	v_add_f64_e32 v[8:9], v[140:141], v[8:9]
	v_fmac_f64_e32 v[144:145], v[84:85], v[90:91]
	v_fma_f64 v[140:141], v[82:83], v[90:91], -v[92:93]
	ds_load_b128 v[82:85], v2 offset:864
	ds_load_b128 v[90:93], v2 offset:880
	v_fmac_f64_e32 v[132:133], v[116:117], v[94:95]
	v_fma_f64 v[94:95], v[114:115], v[94:95], -v[96:97]
	s_wait_loadcnt_dscnt 0x900
	v_mul_f64_e32 v[114:115], v[90:91], v[104:105]
	v_add_f64_e32 v[4:5], v[4:5], v[130:131]
	v_add_f64_e32 v[8:9], v[8:9], v[138:139]
	v_mul_f64_e32 v[130:131], v[82:83], v[100:101]
	v_mul_f64_e32 v[100:101], v[84:85], v[100:101]
	;; [unrolled: 1-line block ×3, first 2 shown]
	v_fmac_f64_e32 v[114:115], v[92:93], v[102:103]
	v_add_f64_e32 v[4:5], v[4:5], v[140:141]
	v_add_f64_e32 v[8:9], v[8:9], v[144:145]
	v_fmac_f64_e32 v[130:131], v[84:85], v[98:99]
	v_fma_f64 v[98:99], v[82:83], v[98:99], -v[100:101]
	v_fma_f64 v[90:91], v[90:91], v[102:103], -v[104:105]
	v_add_f64_e32 v[4:5], v[4:5], v[94:95]
	v_add_f64_e32 v[8:9], v[8:9], v[132:133]
	ds_load_b128 v[82:85], v2 offset:896
	ds_load_b128 v[94:97], v2 offset:912
	s_wait_loadcnt_dscnt 0x801
	v_mul_f64_e32 v[100:101], v[82:83], v[108:109]
	v_mul_f64_e32 v[108:109], v[84:85], v[108:109]
	s_wait_loadcnt_dscnt 0x700
	v_mul_f64_e32 v[102:103], v[96:97], v[112:113]
	v_add_f64_e32 v[4:5], v[4:5], v[98:99]
	v_add_f64_e32 v[8:9], v[8:9], v[130:131]
	v_mul_f64_e32 v[98:99], v[94:95], v[112:113]
	v_fmac_f64_e32 v[100:101], v[84:85], v[106:107]
	v_fma_f64 v[104:105], v[82:83], v[106:107], -v[108:109]
	v_fma_f64 v[94:95], v[94:95], v[110:111], -v[102:103]
	v_add_f64_e32 v[4:5], v[4:5], v[90:91]
	v_add_f64_e32 v[8:9], v[8:9], v[114:115]
	ds_load_b128 v[82:85], v2 offset:928
	ds_load_b128 v[90:93], v2 offset:944
	v_fmac_f64_e32 v[98:99], v[96:97], v[110:111]
	s_wait_loadcnt_dscnt 0x601
	v_mul_f64_e32 v[106:107], v[82:83], v[120:121]
	v_mul_f64_e32 v[108:109], v[84:85], v[120:121]
	v_add_f64_e32 v[4:5], v[4:5], v[104:105]
	v_add_f64_e32 v[8:9], v[8:9], v[100:101]
	s_wait_loadcnt_dscnt 0x400
	v_mul_f64_e32 v[100:101], v[90:91], v[12:13]
	v_mul_f64_e32 v[12:13], v[92:93], v[12:13]
	v_fmac_f64_e32 v[106:107], v[84:85], v[118:119]
	v_fma_f64 v[102:103], v[82:83], v[118:119], -v[108:109]
	v_add_f64_e32 v[4:5], v[4:5], v[94:95]
	v_add_f64_e32 v[8:9], v[8:9], v[98:99]
	ds_load_b128 v[82:85], v2 offset:960
	ds_load_b128 v[94:97], v2 offset:976
	v_fmac_f64_e32 v[100:101], v[92:93], v[10:11]
	v_fma_f64 v[10:11], v[90:91], v[10:11], -v[12:13]
	s_wait_loadcnt_dscnt 0x301
	v_mul_f64_e32 v[98:99], v[82:83], v[136:137]
	v_mul_f64_e32 v[104:105], v[84:85], v[136:137]
	s_wait_loadcnt_dscnt 0x200
	v_mul_f64_e32 v[12:13], v[94:95], v[80:81]
	v_mul_f64_e32 v[80:81], v[96:97], v[80:81]
	v_add_f64_e32 v[4:5], v[4:5], v[102:103]
	v_add_f64_e32 v[8:9], v[8:9], v[106:107]
	v_fmac_f64_e32 v[98:99], v[84:85], v[134:135]
	v_fma_f64 v[82:83], v[82:83], v[134:135], -v[104:105]
	v_fmac_f64_e32 v[12:13], v[96:97], v[78:79]
	v_fma_f64 v[78:79], v[94:95], v[78:79], -v[80:81]
	v_add_f64_e32 v[84:85], v[4:5], v[10:11]
	v_add_f64_e32 v[90:91], v[8:9], v[100:101]
	ds_load_b128 v[8:11], v2 offset:992
	ds_load_b128 v[2:5], v2 offset:1008
	s_wait_loadcnt_dscnt 0x101
	v_mul_f64_e32 v[92:93], v[8:9], v[124:125]
	v_mul_f64_e32 v[100:101], v[10:11], v[124:125]
	v_add_f64_e32 v[80:81], v[84:85], v[82:83]
	v_add_f64_e32 v[82:83], v[90:91], v[98:99]
	s_wait_loadcnt_dscnt 0x0
	v_mul_f64_e32 v[84:85], v[2:3], v[88:89]
	v_mul_f64_e32 v[88:89], v[4:5], v[88:89]
	v_fmac_f64_e32 v[92:93], v[10:11], v[122:123]
	v_fma_f64 v[8:9], v[8:9], v[122:123], -v[100:101]
	v_add_f64_e32 v[10:11], v[80:81], v[78:79]
	v_add_f64_e32 v[12:13], v[82:83], v[12:13]
	v_fmac_f64_e32 v[84:85], v[4:5], v[86:87]
	v_fma_f64 v[2:3], v[2:3], v[86:87], -v[88:89]
	s_delay_alu instid0(VALU_DEP_4) | instskip(NEXT) | instid1(VALU_DEP_4)
	v_add_f64_e32 v[4:5], v[10:11], v[8:9]
	v_add_f64_e32 v[8:9], v[12:13], v[92:93]
	s_delay_alu instid0(VALU_DEP_2) | instskip(NEXT) | instid1(VALU_DEP_2)
	v_add_f64_e32 v[2:3], v[4:5], v[2:3]
	v_add_f64_e32 v[4:5], v[8:9], v[84:85]
	s_delay_alu instid0(VALU_DEP_2) | instskip(NEXT) | instid1(VALU_DEP_2)
	v_add_f64_e64 v[2:3], v[126:127], -v[2:3]
	v_add_f64_e64 v[4:5], v[128:129], -v[4:5]
	scratch_store_b128 off, v[2:5], off offset:240
	s_wait_xcnt 0x0
	v_cmpx_lt_u32_e32 14, v1
	s_cbranch_execz .LBB31_177
; %bb.176:
	scratch_load_b128 v[2:5], off, s43
	v_mov_b32_e32 v8, 0
	s_delay_alu instid0(VALU_DEP_1)
	v_dual_mov_b32 v9, v8 :: v_dual_mov_b32 v10, v8
	v_mov_b32_e32 v11, v8
	scratch_store_b128 off, v[8:11], off offset:224
	s_wait_loadcnt 0x0
	ds_store_b128 v6, v[2:5]
.LBB31_177:
	s_wait_xcnt 0x0
	s_or_b32 exec_lo, exec_lo, s2
	s_wait_storecnt_dscnt 0x0
	s_barrier_signal -1
	s_barrier_wait -1
	s_clause 0x9
	scratch_load_b128 v[8:11], off, off offset:240
	scratch_load_b128 v[78:81], off, off offset:256
	scratch_load_b128 v[82:85], off, off offset:272
	scratch_load_b128 v[86:89], off, off offset:288
	scratch_load_b128 v[90:93], off, off offset:304
	scratch_load_b128 v[94:97], off, off offset:320
	scratch_load_b128 v[98:101], off, off offset:336
	scratch_load_b128 v[102:105], off, off offset:352
	scratch_load_b128 v[106:109], off, off offset:368
	scratch_load_b128 v[110:113], off, off offset:384
	v_mov_b32_e32 v2, 0
	s_mov_b32 s2, exec_lo
	ds_load_b128 v[114:117], v2 offset:752
	s_clause 0x2
	scratch_load_b128 v[118:121], off, off offset:400
	scratch_load_b128 v[122:125], off, off offset:224
	;; [unrolled: 1-line block ×3, first 2 shown]
	s_wait_loadcnt_dscnt 0xc00
	v_mul_f64_e32 v[4:5], v[116:117], v[10:11]
	v_mul_f64_e32 v[138:139], v[114:115], v[10:11]
	ds_load_b128 v[126:129], v2 offset:768
	scratch_load_b128 v[10:13], off, off offset:416
	ds_load_b128 v[134:137], v2 offset:800
	v_fma_f64 v[4:5], v[114:115], v[8:9], -v[4:5]
	v_fmac_f64_e32 v[138:139], v[116:117], v[8:9]
	ds_load_b128 v[114:117], v2 offset:784
	s_wait_loadcnt_dscnt 0xc02
	v_mul_f64_e32 v[140:141], v[126:127], v[80:81]
	v_mul_f64_e32 v[80:81], v[128:129], v[80:81]
	s_wait_loadcnt_dscnt 0xb00
	v_mul_f64_e32 v[8:9], v[114:115], v[84:85]
	v_mul_f64_e32 v[84:85], v[116:117], v[84:85]
	v_add_f64_e32 v[4:5], 0, v[4:5]
	v_fmac_f64_e32 v[140:141], v[128:129], v[78:79]
	v_fma_f64 v[126:127], v[126:127], v[78:79], -v[80:81]
	v_add_f64_e32 v[128:129], 0, v[138:139]
	scratch_load_b128 v[78:81], off, off offset:448
	v_fmac_f64_e32 v[8:9], v[116:117], v[82:83]
	v_fma_f64 v[142:143], v[114:115], v[82:83], -v[84:85]
	ds_load_b128 v[82:85], v2 offset:816
	s_wait_loadcnt 0xb
	v_mul_f64_e32 v[138:139], v[134:135], v[88:89]
	v_mul_f64_e32 v[88:89], v[136:137], v[88:89]
	scratch_load_b128 v[114:117], off, off offset:464
	v_add_f64_e32 v[4:5], v[4:5], v[126:127]
	v_add_f64_e32 v[140:141], v[128:129], v[140:141]
	ds_load_b128 v[126:129], v2 offset:832
	s_wait_loadcnt_dscnt 0xb01
	v_mul_f64_e32 v[144:145], v[82:83], v[92:93]
	v_mul_f64_e32 v[92:93], v[84:85], v[92:93]
	v_fmac_f64_e32 v[138:139], v[136:137], v[86:87]
	v_fma_f64 v[134:135], v[134:135], v[86:87], -v[88:89]
	scratch_load_b128 v[86:89], off, off offset:480
	v_add_f64_e32 v[4:5], v[4:5], v[142:143]
	v_add_f64_e32 v[8:9], v[140:141], v[8:9]
	v_fmac_f64_e32 v[144:145], v[84:85], v[90:91]
	v_fma_f64 v[142:143], v[82:83], v[90:91], -v[92:93]
	ds_load_b128 v[82:85], v2 offset:848
	s_wait_loadcnt_dscnt 0xb01
	v_mul_f64_e32 v[140:141], v[126:127], v[96:97]
	v_mul_f64_e32 v[96:97], v[128:129], v[96:97]
	scratch_load_b128 v[90:93], off, off offset:496
	v_add_f64_e32 v[4:5], v[4:5], v[134:135]
	v_add_f64_e32 v[8:9], v[8:9], v[138:139]
	s_wait_loadcnt_dscnt 0xb00
	v_mul_f64_e32 v[138:139], v[82:83], v[100:101]
	v_mul_f64_e32 v[100:101], v[84:85], v[100:101]
	ds_load_b128 v[134:137], v2 offset:864
	v_fmac_f64_e32 v[140:141], v[128:129], v[94:95]
	v_fma_f64 v[94:95], v[126:127], v[94:95], -v[96:97]
	s_wait_loadcnt_dscnt 0xa00
	v_mul_f64_e32 v[126:127], v[134:135], v[104:105]
	v_mul_f64_e32 v[104:105], v[136:137], v[104:105]
	v_add_f64_e32 v[4:5], v[4:5], v[142:143]
	v_add_f64_e32 v[8:9], v[8:9], v[144:145]
	v_fmac_f64_e32 v[138:139], v[84:85], v[98:99]
	v_fma_f64 v[98:99], v[82:83], v[98:99], -v[100:101]
	v_fmac_f64_e32 v[126:127], v[136:137], v[102:103]
	v_fma_f64 v[102:103], v[134:135], v[102:103], -v[104:105]
	v_add_f64_e32 v[4:5], v[4:5], v[94:95]
	v_add_f64_e32 v[8:9], v[8:9], v[140:141]
	ds_load_b128 v[82:85], v2 offset:880
	ds_load_b128 v[94:97], v2 offset:896
	s_wait_loadcnt_dscnt 0x901
	v_mul_f64_e32 v[128:129], v[82:83], v[108:109]
	v_mul_f64_e32 v[100:101], v[84:85], v[108:109]
	s_wait_loadcnt_dscnt 0x800
	v_mul_f64_e32 v[104:105], v[94:95], v[112:113]
	v_mul_f64_e32 v[108:109], v[96:97], v[112:113]
	v_add_f64_e32 v[4:5], v[4:5], v[98:99]
	v_add_f64_e32 v[8:9], v[8:9], v[138:139]
	v_fmac_f64_e32 v[128:129], v[84:85], v[106:107]
	v_fma_f64 v[106:107], v[82:83], v[106:107], -v[100:101]
	ds_load_b128 v[82:85], v2 offset:912
	ds_load_b128 v[98:101], v2 offset:928
	v_fmac_f64_e32 v[104:105], v[96:97], v[110:111]
	v_fma_f64 v[94:95], v[94:95], v[110:111], -v[108:109]
	v_add_f64_e32 v[4:5], v[4:5], v[102:103]
	v_add_f64_e32 v[8:9], v[8:9], v[126:127]
	s_wait_loadcnt_dscnt 0x701
	v_mul_f64_e32 v[102:103], v[82:83], v[120:121]
	v_mul_f64_e32 v[112:113], v[84:85], v[120:121]
	s_delay_alu instid0(VALU_DEP_4) | instskip(NEXT) | instid1(VALU_DEP_4)
	v_add_f64_e32 v[4:5], v[4:5], v[106:107]
	v_add_f64_e32 v[8:9], v[8:9], v[128:129]
	s_wait_loadcnt_dscnt 0x400
	v_mul_f64_e32 v[106:107], v[98:99], v[12:13]
	v_mul_f64_e32 v[12:13], v[100:101], v[12:13]
	v_fmac_f64_e32 v[102:103], v[84:85], v[118:119]
	v_fma_f64 v[108:109], v[82:83], v[118:119], -v[112:113]
	v_add_f64_e32 v[4:5], v[4:5], v[94:95]
	v_add_f64_e32 v[8:9], v[8:9], v[104:105]
	ds_load_b128 v[82:85], v2 offset:944
	ds_load_b128 v[94:97], v2 offset:960
	v_fmac_f64_e32 v[106:107], v[100:101], v[10:11]
	v_fma_f64 v[10:11], v[98:99], v[10:11], -v[12:13]
	s_wait_dscnt 0x1
	v_mul_f64_e32 v[104:105], v[82:83], v[132:133]
	v_mul_f64_e32 v[110:111], v[84:85], v[132:133]
	v_add_f64_e32 v[4:5], v[4:5], v[108:109]
	v_add_f64_e32 v[8:9], v[8:9], v[102:103]
	s_wait_loadcnt_dscnt 0x300
	v_mul_f64_e32 v[12:13], v[94:95], v[80:81]
	v_mul_f64_e32 v[98:99], v[96:97], v[80:81]
	v_fmac_f64_e32 v[104:105], v[84:85], v[130:131]
	v_fma_f64 v[84:85], v[82:83], v[130:131], -v[110:111]
	v_add_f64_e32 v[4:5], v[4:5], v[10:11]
	v_add_f64_e32 v[100:101], v[8:9], v[106:107]
	ds_load_b128 v[8:11], v2 offset:976
	ds_load_b128 v[80:83], v2 offset:992
	v_fmac_f64_e32 v[12:13], v[96:97], v[78:79]
	v_fma_f64 v[78:79], v[94:95], v[78:79], -v[98:99]
	s_wait_loadcnt_dscnt 0x201
	v_mul_f64_e32 v[102:103], v[8:9], v[116:117]
	v_mul_f64_e32 v[106:107], v[10:11], v[116:117]
	s_wait_loadcnt_dscnt 0x100
	v_mul_f64_e32 v[94:95], v[80:81], v[88:89]
	v_mul_f64_e32 v[88:89], v[82:83], v[88:89]
	v_add_f64_e32 v[4:5], v[4:5], v[84:85]
	v_add_f64_e32 v[84:85], v[100:101], v[104:105]
	v_fmac_f64_e32 v[102:103], v[10:11], v[114:115]
	v_fma_f64 v[96:97], v[8:9], v[114:115], -v[106:107]
	ds_load_b128 v[8:11], v2 offset:1008
	v_fmac_f64_e32 v[94:95], v[82:83], v[86:87]
	v_fma_f64 v[80:81], v[80:81], v[86:87], -v[88:89]
	v_add_f64_e32 v[4:5], v[4:5], v[78:79]
	v_add_f64_e32 v[12:13], v[84:85], v[12:13]
	s_wait_loadcnt_dscnt 0x0
	v_mul_f64_e32 v[78:79], v[8:9], v[92:93]
	v_mul_f64_e32 v[84:85], v[10:11], v[92:93]
	s_delay_alu instid0(VALU_DEP_4) | instskip(NEXT) | instid1(VALU_DEP_4)
	v_add_f64_e32 v[4:5], v[4:5], v[96:97]
	v_add_f64_e32 v[12:13], v[12:13], v[102:103]
	s_delay_alu instid0(VALU_DEP_4) | instskip(NEXT) | instid1(VALU_DEP_4)
	v_fmac_f64_e32 v[78:79], v[10:11], v[90:91]
	v_fma_f64 v[8:9], v[8:9], v[90:91], -v[84:85]
	s_delay_alu instid0(VALU_DEP_4) | instskip(NEXT) | instid1(VALU_DEP_4)
	v_add_f64_e32 v[4:5], v[4:5], v[80:81]
	v_add_f64_e32 v[10:11], v[12:13], v[94:95]
	s_delay_alu instid0(VALU_DEP_2) | instskip(NEXT) | instid1(VALU_DEP_2)
	v_add_f64_e32 v[4:5], v[4:5], v[8:9]
	v_add_f64_e32 v[10:11], v[10:11], v[78:79]
	s_delay_alu instid0(VALU_DEP_2) | instskip(NEXT) | instid1(VALU_DEP_2)
	v_add_f64_e64 v[8:9], v[122:123], -v[4:5]
	v_add_f64_e64 v[10:11], v[124:125], -v[10:11]
	scratch_store_b128 off, v[8:11], off offset:224
	s_wait_xcnt 0x0
	v_cmpx_lt_u32_e32 13, v1
	s_cbranch_execz .LBB31_179
; %bb.178:
	scratch_load_b128 v[8:11], off, s42
	v_dual_mov_b32 v3, v2 :: v_dual_mov_b32 v4, v2
	v_mov_b32_e32 v5, v2
	scratch_store_b128 off, v[2:5], off offset:208
	s_wait_loadcnt 0x0
	ds_store_b128 v6, v[8:11]
.LBB31_179:
	s_wait_xcnt 0x0
	s_or_b32 exec_lo, exec_lo, s2
	s_wait_storecnt_dscnt 0x0
	s_barrier_signal -1
	s_barrier_wait -1
	s_clause 0x9
	scratch_load_b128 v[8:11], off, off offset:224
	scratch_load_b128 v[78:81], off, off offset:240
	;; [unrolled: 1-line block ×10, first 2 shown]
	ds_load_b128 v[114:117], v2 offset:736
	ds_load_b128 v[122:125], v2 offset:752
	s_clause 0x1
	scratch_load_b128 v[118:121], off, off offset:384
	scratch_load_b128 v[126:129], off, off offset:208
	s_mov_b32 s2, exec_lo
	s_wait_loadcnt_dscnt 0xb01
	v_mul_f64_e32 v[4:5], v[116:117], v[10:11]
	v_mul_f64_e32 v[138:139], v[114:115], v[10:11]
	scratch_load_b128 v[10:13], off, off offset:400
	s_wait_loadcnt_dscnt 0xb00
	v_mul_f64_e32 v[140:141], v[122:123], v[80:81]
	v_mul_f64_e32 v[80:81], v[124:125], v[80:81]
	v_fma_f64 v[4:5], v[114:115], v[8:9], -v[4:5]
	v_fmac_f64_e32 v[138:139], v[116:117], v[8:9]
	ds_load_b128 v[114:117], v2 offset:768
	ds_load_b128 v[130:133], v2 offset:784
	scratch_load_b128 v[134:137], off, off offset:416
	v_fmac_f64_e32 v[140:141], v[124:125], v[78:79]
	v_fma_f64 v[122:123], v[122:123], v[78:79], -v[80:81]
	scratch_load_b128 v[78:81], off, off offset:432
	s_wait_loadcnt_dscnt 0xc01
	v_mul_f64_e32 v[8:9], v[114:115], v[84:85]
	v_mul_f64_e32 v[84:85], v[116:117], v[84:85]
	v_add_f64_e32 v[4:5], 0, v[4:5]
	v_add_f64_e32 v[124:125], 0, v[138:139]
	s_wait_loadcnt_dscnt 0xb00
	v_mul_f64_e32 v[138:139], v[130:131], v[88:89]
	v_mul_f64_e32 v[88:89], v[132:133], v[88:89]
	v_fmac_f64_e32 v[8:9], v[116:117], v[82:83]
	v_fma_f64 v[142:143], v[114:115], v[82:83], -v[84:85]
	ds_load_b128 v[82:85], v2 offset:800
	ds_load_b128 v[114:117], v2 offset:816
	v_add_f64_e32 v[4:5], v[4:5], v[122:123]
	v_add_f64_e32 v[140:141], v[124:125], v[140:141]
	scratch_load_b128 v[122:125], off, off offset:448
	v_fmac_f64_e32 v[138:139], v[132:133], v[86:87]
	v_fma_f64 v[130:131], v[130:131], v[86:87], -v[88:89]
	scratch_load_b128 v[86:89], off, off offset:464
	s_wait_loadcnt_dscnt 0xc01
	v_mul_f64_e32 v[144:145], v[82:83], v[92:93]
	v_mul_f64_e32 v[92:93], v[84:85], v[92:93]
	v_add_f64_e32 v[4:5], v[4:5], v[142:143]
	v_add_f64_e32 v[8:9], v[140:141], v[8:9]
	s_wait_loadcnt_dscnt 0xb00
	v_mul_f64_e32 v[140:141], v[114:115], v[96:97]
	v_mul_f64_e32 v[96:97], v[116:117], v[96:97]
	v_fmac_f64_e32 v[144:145], v[84:85], v[90:91]
	v_fma_f64 v[142:143], v[82:83], v[90:91], -v[92:93]
	ds_load_b128 v[82:85], v2 offset:832
	ds_load_b128 v[90:93], v2 offset:848
	v_add_f64_e32 v[4:5], v[4:5], v[130:131]
	v_add_f64_e32 v[8:9], v[8:9], v[138:139]
	scratch_load_b128 v[130:133], off, off offset:480
	s_wait_loadcnt_dscnt 0xb01
	v_mul_f64_e32 v[138:139], v[82:83], v[100:101]
	v_mul_f64_e32 v[100:101], v[84:85], v[100:101]
	v_fmac_f64_e32 v[140:141], v[116:117], v[94:95]
	v_fma_f64 v[114:115], v[114:115], v[94:95], -v[96:97]
	scratch_load_b128 v[94:97], off, off offset:496
	s_wait_loadcnt_dscnt 0xb00
	v_mul_f64_e32 v[116:117], v[90:91], v[104:105]
	v_mul_f64_e32 v[104:105], v[92:93], v[104:105]
	v_add_f64_e32 v[4:5], v[4:5], v[142:143]
	v_add_f64_e32 v[8:9], v[8:9], v[144:145]
	v_fmac_f64_e32 v[138:139], v[84:85], v[98:99]
	v_fma_f64 v[142:143], v[82:83], v[98:99], -v[100:101]
	ds_load_b128 v[82:85], v2 offset:864
	ds_load_b128 v[98:101], v2 offset:880
	v_fmac_f64_e32 v[116:117], v[92:93], v[102:103]
	v_fma_f64 v[90:91], v[90:91], v[102:103], -v[104:105]
	s_wait_loadcnt_dscnt 0x900
	v_mul_f64_e32 v[102:103], v[98:99], v[112:113]
	v_mul_f64_e32 v[104:105], v[100:101], v[112:113]
	v_add_f64_e32 v[4:5], v[4:5], v[114:115]
	v_add_f64_e32 v[8:9], v[8:9], v[140:141]
	v_mul_f64_e32 v[114:115], v[82:83], v[108:109]
	v_mul_f64_e32 v[108:109], v[84:85], v[108:109]
	v_fmac_f64_e32 v[102:103], v[100:101], v[110:111]
	v_fma_f64 v[98:99], v[98:99], v[110:111], -v[104:105]
	v_add_f64_e32 v[4:5], v[4:5], v[142:143]
	v_add_f64_e32 v[8:9], v[8:9], v[138:139]
	v_fmac_f64_e32 v[114:115], v[84:85], v[106:107]
	v_fma_f64 v[106:107], v[82:83], v[106:107], -v[108:109]
	s_delay_alu instid0(VALU_DEP_4) | instskip(NEXT) | instid1(VALU_DEP_4)
	v_add_f64_e32 v[4:5], v[4:5], v[90:91]
	v_add_f64_e32 v[8:9], v[8:9], v[116:117]
	ds_load_b128 v[82:85], v2 offset:896
	ds_load_b128 v[90:93], v2 offset:912
	s_wait_loadcnt_dscnt 0x801
	v_mul_f64_e32 v[108:109], v[82:83], v[120:121]
	v_mul_f64_e32 v[112:113], v[84:85], v[120:121]
	v_add_f64_e32 v[4:5], v[4:5], v[106:107]
	v_add_f64_e32 v[8:9], v[8:9], v[114:115]
	s_wait_loadcnt_dscnt 0x600
	v_mul_f64_e32 v[104:105], v[90:91], v[12:13]
	v_mul_f64_e32 v[12:13], v[92:93], v[12:13]
	v_fmac_f64_e32 v[108:109], v[84:85], v[118:119]
	v_fma_f64 v[106:107], v[82:83], v[118:119], -v[112:113]
	v_add_f64_e32 v[4:5], v[4:5], v[98:99]
	v_add_f64_e32 v[8:9], v[8:9], v[102:103]
	ds_load_b128 v[82:85], v2 offset:928
	ds_load_b128 v[98:101], v2 offset:944
	v_fmac_f64_e32 v[104:105], v[92:93], v[10:11]
	v_fma_f64 v[10:11], v[90:91], v[10:11], -v[12:13]
	s_wait_loadcnt_dscnt 0x501
	v_mul_f64_e32 v[102:103], v[82:83], v[136:137]
	v_mul_f64_e32 v[110:111], v[84:85], v[136:137]
	s_wait_loadcnt_dscnt 0x400
	v_mul_f64_e32 v[12:13], v[98:99], v[80:81]
	v_mul_f64_e32 v[90:91], v[100:101], v[80:81]
	v_add_f64_e32 v[4:5], v[4:5], v[106:107]
	v_add_f64_e32 v[8:9], v[8:9], v[108:109]
	v_fmac_f64_e32 v[102:103], v[84:85], v[134:135]
	v_fma_f64 v[84:85], v[82:83], v[134:135], -v[110:111]
	v_fmac_f64_e32 v[12:13], v[100:101], v[78:79]
	v_fma_f64 v[78:79], v[98:99], v[78:79], -v[90:91]
	v_add_f64_e32 v[4:5], v[4:5], v[10:11]
	v_add_f64_e32 v[92:93], v[8:9], v[104:105]
	ds_load_b128 v[8:11], v2 offset:960
	ds_load_b128 v[80:83], v2 offset:976
	s_wait_loadcnt_dscnt 0x301
	v_mul_f64_e32 v[104:105], v[8:9], v[124:125]
	v_mul_f64_e32 v[106:107], v[10:11], v[124:125]
	s_wait_loadcnt_dscnt 0x200
	v_mul_f64_e32 v[90:91], v[80:81], v[88:89]
	v_mul_f64_e32 v[88:89], v[82:83], v[88:89]
	v_add_f64_e32 v[4:5], v[4:5], v[84:85]
	v_add_f64_e32 v[84:85], v[92:93], v[102:103]
	v_fmac_f64_e32 v[104:105], v[10:11], v[122:123]
	v_fma_f64 v[92:93], v[8:9], v[122:123], -v[106:107]
	v_fmac_f64_e32 v[90:91], v[82:83], v[86:87]
	v_fma_f64 v[80:81], v[80:81], v[86:87], -v[88:89]
	v_add_f64_e32 v[78:79], v[4:5], v[78:79]
	v_add_f64_e32 v[12:13], v[84:85], v[12:13]
	ds_load_b128 v[8:11], v2 offset:992
	ds_load_b128 v[2:5], v2 offset:1008
	s_wait_loadcnt_dscnt 0x101
	v_mul_f64_e32 v[84:85], v[8:9], v[132:133]
	v_mul_f64_e32 v[98:99], v[10:11], v[132:133]
	s_wait_loadcnt_dscnt 0x0
	v_mul_f64_e32 v[82:83], v[2:3], v[96:97]
	v_mul_f64_e32 v[86:87], v[4:5], v[96:97]
	v_add_f64_e32 v[78:79], v[78:79], v[92:93]
	v_add_f64_e32 v[12:13], v[12:13], v[104:105]
	v_fmac_f64_e32 v[84:85], v[10:11], v[130:131]
	v_fma_f64 v[8:9], v[8:9], v[130:131], -v[98:99]
	v_fmac_f64_e32 v[82:83], v[4:5], v[94:95]
	v_fma_f64 v[2:3], v[2:3], v[94:95], -v[86:87]
	v_add_f64_e32 v[10:11], v[78:79], v[80:81]
	v_add_f64_e32 v[12:13], v[12:13], v[90:91]
	s_delay_alu instid0(VALU_DEP_2) | instskip(NEXT) | instid1(VALU_DEP_2)
	v_add_f64_e32 v[4:5], v[10:11], v[8:9]
	v_add_f64_e32 v[8:9], v[12:13], v[84:85]
	s_delay_alu instid0(VALU_DEP_2) | instskip(NEXT) | instid1(VALU_DEP_2)
	;; [unrolled: 3-line block ×3, first 2 shown]
	v_add_f64_e64 v[2:3], v[126:127], -v[2:3]
	v_add_f64_e64 v[4:5], v[128:129], -v[4:5]
	scratch_store_b128 off, v[2:5], off offset:208
	s_wait_xcnt 0x0
	v_cmpx_lt_u32_e32 12, v1
	s_cbranch_execz .LBB31_181
; %bb.180:
	scratch_load_b128 v[2:5], off, s41
	v_mov_b32_e32 v8, 0
	s_delay_alu instid0(VALU_DEP_1)
	v_dual_mov_b32 v9, v8 :: v_dual_mov_b32 v10, v8
	v_mov_b32_e32 v11, v8
	scratch_store_b128 off, v[8:11], off offset:192
	s_wait_loadcnt 0x0
	ds_store_b128 v6, v[2:5]
.LBB31_181:
	s_wait_xcnt 0x0
	s_or_b32 exec_lo, exec_lo, s2
	s_wait_storecnt_dscnt 0x0
	s_barrier_signal -1
	s_barrier_wait -1
	s_clause 0x9
	scratch_load_b128 v[8:11], off, off offset:208
	scratch_load_b128 v[78:81], off, off offset:224
	;; [unrolled: 1-line block ×10, first 2 shown]
	v_mov_b32_e32 v2, 0
	s_mov_b32 s2, exec_lo
	ds_load_b128 v[114:117], v2 offset:720
	s_clause 0x2
	scratch_load_b128 v[118:121], off, off offset:368
	scratch_load_b128 v[122:125], off, off offset:192
	;; [unrolled: 1-line block ×3, first 2 shown]
	s_wait_loadcnt_dscnt 0xc00
	v_mul_f64_e32 v[4:5], v[116:117], v[10:11]
	v_mul_f64_e32 v[138:139], v[114:115], v[10:11]
	ds_load_b128 v[126:129], v2 offset:736
	scratch_load_b128 v[10:13], off, off offset:384
	ds_load_b128 v[134:137], v2 offset:768
	v_fma_f64 v[4:5], v[114:115], v[8:9], -v[4:5]
	v_fmac_f64_e32 v[138:139], v[116:117], v[8:9]
	ds_load_b128 v[114:117], v2 offset:752
	s_wait_loadcnt_dscnt 0xc02
	v_mul_f64_e32 v[140:141], v[126:127], v[80:81]
	v_mul_f64_e32 v[80:81], v[128:129], v[80:81]
	s_wait_loadcnt_dscnt 0xb00
	v_mul_f64_e32 v[8:9], v[114:115], v[84:85]
	v_mul_f64_e32 v[84:85], v[116:117], v[84:85]
	v_add_f64_e32 v[4:5], 0, v[4:5]
	v_fmac_f64_e32 v[140:141], v[128:129], v[78:79]
	v_fma_f64 v[126:127], v[126:127], v[78:79], -v[80:81]
	v_add_f64_e32 v[128:129], 0, v[138:139]
	scratch_load_b128 v[78:81], off, off offset:416
	v_fmac_f64_e32 v[8:9], v[116:117], v[82:83]
	v_fma_f64 v[142:143], v[114:115], v[82:83], -v[84:85]
	ds_load_b128 v[82:85], v2 offset:784
	s_wait_loadcnt 0xb
	v_mul_f64_e32 v[138:139], v[134:135], v[88:89]
	v_mul_f64_e32 v[88:89], v[136:137], v[88:89]
	scratch_load_b128 v[114:117], off, off offset:432
	v_add_f64_e32 v[4:5], v[4:5], v[126:127]
	v_add_f64_e32 v[140:141], v[128:129], v[140:141]
	ds_load_b128 v[126:129], v2 offset:800
	s_wait_loadcnt_dscnt 0xb01
	v_mul_f64_e32 v[144:145], v[82:83], v[92:93]
	v_mul_f64_e32 v[92:93], v[84:85], v[92:93]
	v_fmac_f64_e32 v[138:139], v[136:137], v[86:87]
	v_fma_f64 v[134:135], v[134:135], v[86:87], -v[88:89]
	scratch_load_b128 v[86:89], off, off offset:448
	v_add_f64_e32 v[4:5], v[4:5], v[142:143]
	v_add_f64_e32 v[8:9], v[140:141], v[8:9]
	v_fmac_f64_e32 v[144:145], v[84:85], v[90:91]
	v_fma_f64 v[142:143], v[82:83], v[90:91], -v[92:93]
	ds_load_b128 v[82:85], v2 offset:816
	s_wait_loadcnt_dscnt 0xb01
	v_mul_f64_e32 v[140:141], v[126:127], v[96:97]
	v_mul_f64_e32 v[96:97], v[128:129], v[96:97]
	scratch_load_b128 v[90:93], off, off offset:464
	v_add_f64_e32 v[4:5], v[4:5], v[134:135]
	v_add_f64_e32 v[8:9], v[8:9], v[138:139]
	s_wait_loadcnt_dscnt 0xb00
	v_mul_f64_e32 v[138:139], v[82:83], v[100:101]
	v_mul_f64_e32 v[100:101], v[84:85], v[100:101]
	ds_load_b128 v[134:137], v2 offset:832
	v_fmac_f64_e32 v[140:141], v[128:129], v[94:95]
	v_fma_f64 v[126:127], v[126:127], v[94:95], -v[96:97]
	scratch_load_b128 v[94:97], off, off offset:480
	v_add_f64_e32 v[4:5], v[4:5], v[142:143]
	v_add_f64_e32 v[8:9], v[8:9], v[144:145]
	v_fmac_f64_e32 v[138:139], v[84:85], v[98:99]
	v_fma_f64 v[144:145], v[82:83], v[98:99], -v[100:101]
	ds_load_b128 v[82:85], v2 offset:848
	s_wait_loadcnt_dscnt 0xb01
	v_mul_f64_e32 v[142:143], v[134:135], v[104:105]
	v_mul_f64_e32 v[104:105], v[136:137], v[104:105]
	scratch_load_b128 v[98:101], off, off offset:496
	v_add_f64_e32 v[4:5], v[4:5], v[126:127]
	v_add_f64_e32 v[8:9], v[8:9], v[140:141]
	s_wait_loadcnt_dscnt 0xb00
	v_mul_f64_e32 v[140:141], v[82:83], v[108:109]
	v_mul_f64_e32 v[108:109], v[84:85], v[108:109]
	ds_load_b128 v[126:129], v2 offset:864
	v_fmac_f64_e32 v[142:143], v[136:137], v[102:103]
	v_fma_f64 v[102:103], v[134:135], v[102:103], -v[104:105]
	s_wait_loadcnt_dscnt 0xa00
	v_mul_f64_e32 v[134:135], v[126:127], v[112:113]
	v_mul_f64_e32 v[112:113], v[128:129], v[112:113]
	v_add_f64_e32 v[4:5], v[4:5], v[144:145]
	v_add_f64_e32 v[8:9], v[8:9], v[138:139]
	v_fmac_f64_e32 v[140:141], v[84:85], v[106:107]
	v_fma_f64 v[106:107], v[82:83], v[106:107], -v[108:109]
	v_fmac_f64_e32 v[134:135], v[128:129], v[110:111]
	v_fma_f64 v[110:111], v[126:127], v[110:111], -v[112:113]
	v_add_f64_e32 v[4:5], v[4:5], v[102:103]
	v_add_f64_e32 v[8:9], v[8:9], v[142:143]
	ds_load_b128 v[82:85], v2 offset:880
	ds_load_b128 v[102:105], v2 offset:896
	s_wait_loadcnt_dscnt 0x901
	v_mul_f64_e32 v[136:137], v[82:83], v[120:121]
	v_mul_f64_e32 v[108:109], v[84:85], v[120:121]
	s_wait_loadcnt_dscnt 0x600
	v_mul_f64_e32 v[112:113], v[102:103], v[12:13]
	v_add_f64_e32 v[4:5], v[4:5], v[106:107]
	v_add_f64_e32 v[8:9], v[8:9], v[140:141]
	v_mul_f64_e32 v[12:13], v[104:105], v[12:13]
	v_fmac_f64_e32 v[136:137], v[84:85], v[118:119]
	v_fma_f64 v[118:119], v[82:83], v[118:119], -v[108:109]
	ds_load_b128 v[82:85], v2 offset:912
	ds_load_b128 v[106:109], v2 offset:928
	v_fmac_f64_e32 v[112:113], v[104:105], v[10:11]
	v_add_f64_e32 v[4:5], v[4:5], v[110:111]
	v_add_f64_e32 v[8:9], v[8:9], v[134:135]
	v_fma_f64 v[10:11], v[102:103], v[10:11], -v[12:13]
	s_wait_dscnt 0x1
	v_mul_f64_e32 v[110:111], v[82:83], v[132:133]
	v_mul_f64_e32 v[120:121], v[84:85], v[132:133]
	v_add_f64_e32 v[4:5], v[4:5], v[118:119]
	v_add_f64_e32 v[8:9], v[8:9], v[136:137]
	s_wait_loadcnt_dscnt 0x500
	v_mul_f64_e32 v[12:13], v[106:107], v[80:81]
	v_mul_f64_e32 v[102:103], v[108:109], v[80:81]
	v_fmac_f64_e32 v[110:111], v[84:85], v[130:131]
	v_fma_f64 v[84:85], v[82:83], v[130:131], -v[120:121]
	v_add_f64_e32 v[4:5], v[4:5], v[10:11]
	v_add_f64_e32 v[104:105], v[8:9], v[112:113]
	ds_load_b128 v[8:11], v2 offset:944
	ds_load_b128 v[80:83], v2 offset:960
	v_fmac_f64_e32 v[12:13], v[108:109], v[78:79]
	v_fma_f64 v[78:79], v[106:107], v[78:79], -v[102:103]
	s_wait_loadcnt_dscnt 0x401
	v_mul_f64_e32 v[112:113], v[8:9], v[116:117]
	v_mul_f64_e32 v[116:117], v[10:11], v[116:117]
	s_wait_loadcnt_dscnt 0x300
	v_mul_f64_e32 v[106:107], v[80:81], v[88:89]
	v_mul_f64_e32 v[88:89], v[82:83], v[88:89]
	v_add_f64_e32 v[4:5], v[4:5], v[84:85]
	v_add_f64_e32 v[84:85], v[104:105], v[110:111]
	v_fmac_f64_e32 v[112:113], v[10:11], v[114:115]
	v_fma_f64 v[108:109], v[8:9], v[114:115], -v[116:117]
	ds_load_b128 v[8:11], v2 offset:976
	ds_load_b128 v[102:105], v2 offset:992
	v_fmac_f64_e32 v[106:107], v[82:83], v[86:87]
	v_fma_f64 v[80:81], v[80:81], v[86:87], -v[88:89]
	v_add_f64_e32 v[4:5], v[4:5], v[78:79]
	v_add_f64_e32 v[12:13], v[84:85], v[12:13]
	s_wait_loadcnt_dscnt 0x201
	v_mul_f64_e32 v[78:79], v[8:9], v[92:93]
	v_mul_f64_e32 v[84:85], v[10:11], v[92:93]
	s_wait_loadcnt_dscnt 0x100
	v_mul_f64_e32 v[82:83], v[102:103], v[96:97]
	v_mul_f64_e32 v[86:87], v[104:105], v[96:97]
	v_add_f64_e32 v[4:5], v[4:5], v[108:109]
	v_add_f64_e32 v[12:13], v[12:13], v[112:113]
	v_fmac_f64_e32 v[78:79], v[10:11], v[90:91]
	v_fma_f64 v[84:85], v[8:9], v[90:91], -v[84:85]
	ds_load_b128 v[8:11], v2 offset:1008
	v_fmac_f64_e32 v[82:83], v[104:105], v[94:95]
	v_fma_f64 v[86:87], v[102:103], v[94:95], -v[86:87]
	s_wait_loadcnt_dscnt 0x0
	v_mul_f64_e32 v[88:89], v[10:11], v[100:101]
	v_add_f64_e32 v[4:5], v[4:5], v[80:81]
	v_add_f64_e32 v[12:13], v[12:13], v[106:107]
	v_mul_f64_e32 v[80:81], v[8:9], v[100:101]
	s_delay_alu instid0(VALU_DEP_4) | instskip(NEXT) | instid1(VALU_DEP_4)
	v_fma_f64 v[8:9], v[8:9], v[98:99], -v[88:89]
	v_add_f64_e32 v[4:5], v[4:5], v[84:85]
	s_delay_alu instid0(VALU_DEP_4) | instskip(NEXT) | instid1(VALU_DEP_4)
	v_add_f64_e32 v[12:13], v[12:13], v[78:79]
	v_fmac_f64_e32 v[80:81], v[10:11], v[98:99]
	s_delay_alu instid0(VALU_DEP_3) | instskip(NEXT) | instid1(VALU_DEP_3)
	v_add_f64_e32 v[4:5], v[4:5], v[86:87]
	v_add_f64_e32 v[10:11], v[12:13], v[82:83]
	s_delay_alu instid0(VALU_DEP_2) | instskip(NEXT) | instid1(VALU_DEP_2)
	v_add_f64_e32 v[4:5], v[4:5], v[8:9]
	v_add_f64_e32 v[10:11], v[10:11], v[80:81]
	s_delay_alu instid0(VALU_DEP_2) | instskip(NEXT) | instid1(VALU_DEP_2)
	v_add_f64_e64 v[8:9], v[122:123], -v[4:5]
	v_add_f64_e64 v[10:11], v[124:125], -v[10:11]
	scratch_store_b128 off, v[8:11], off offset:192
	s_wait_xcnt 0x0
	v_cmpx_lt_u32_e32 11, v1
	s_cbranch_execz .LBB31_183
; %bb.182:
	scratch_load_b128 v[8:11], off, s39
	v_dual_mov_b32 v3, v2 :: v_dual_mov_b32 v4, v2
	v_mov_b32_e32 v5, v2
	scratch_store_b128 off, v[2:5], off offset:176
	s_wait_loadcnt 0x0
	ds_store_b128 v6, v[8:11]
.LBB31_183:
	s_wait_xcnt 0x0
	s_or_b32 exec_lo, exec_lo, s2
	s_wait_storecnt_dscnt 0x0
	s_barrier_signal -1
	s_barrier_wait -1
	s_clause 0x9
	scratch_load_b128 v[8:11], off, off offset:192
	scratch_load_b128 v[78:81], off, off offset:208
	;; [unrolled: 1-line block ×10, first 2 shown]
	ds_load_b128 v[114:117], v2 offset:704
	ds_load_b128 v[122:125], v2 offset:720
	s_clause 0x1
	scratch_load_b128 v[118:121], off, off offset:352
	scratch_load_b128 v[126:129], off, off offset:176
	s_mov_b32 s2, exec_lo
	s_wait_loadcnt_dscnt 0xb01
	v_mul_f64_e32 v[4:5], v[116:117], v[10:11]
	v_mul_f64_e32 v[138:139], v[114:115], v[10:11]
	scratch_load_b128 v[10:13], off, off offset:368
	s_wait_loadcnt_dscnt 0xb00
	v_mul_f64_e32 v[140:141], v[122:123], v[80:81]
	v_mul_f64_e32 v[80:81], v[124:125], v[80:81]
	v_fma_f64 v[4:5], v[114:115], v[8:9], -v[4:5]
	v_fmac_f64_e32 v[138:139], v[116:117], v[8:9]
	ds_load_b128 v[114:117], v2 offset:736
	ds_load_b128 v[130:133], v2 offset:752
	scratch_load_b128 v[134:137], off, off offset:384
	v_fmac_f64_e32 v[140:141], v[124:125], v[78:79]
	v_fma_f64 v[122:123], v[122:123], v[78:79], -v[80:81]
	scratch_load_b128 v[78:81], off, off offset:400
	s_wait_loadcnt_dscnt 0xc01
	v_mul_f64_e32 v[8:9], v[114:115], v[84:85]
	v_mul_f64_e32 v[84:85], v[116:117], v[84:85]
	v_add_f64_e32 v[4:5], 0, v[4:5]
	v_add_f64_e32 v[124:125], 0, v[138:139]
	s_wait_loadcnt_dscnt 0xb00
	v_mul_f64_e32 v[138:139], v[130:131], v[88:89]
	v_mul_f64_e32 v[88:89], v[132:133], v[88:89]
	v_fmac_f64_e32 v[8:9], v[116:117], v[82:83]
	v_fma_f64 v[142:143], v[114:115], v[82:83], -v[84:85]
	ds_load_b128 v[82:85], v2 offset:768
	ds_load_b128 v[114:117], v2 offset:784
	v_add_f64_e32 v[4:5], v[4:5], v[122:123]
	v_add_f64_e32 v[140:141], v[124:125], v[140:141]
	scratch_load_b128 v[122:125], off, off offset:416
	v_fmac_f64_e32 v[138:139], v[132:133], v[86:87]
	v_fma_f64 v[130:131], v[130:131], v[86:87], -v[88:89]
	scratch_load_b128 v[86:89], off, off offset:432
	s_wait_loadcnt_dscnt 0xc01
	v_mul_f64_e32 v[144:145], v[82:83], v[92:93]
	v_mul_f64_e32 v[92:93], v[84:85], v[92:93]
	v_add_f64_e32 v[4:5], v[4:5], v[142:143]
	v_add_f64_e32 v[8:9], v[140:141], v[8:9]
	s_wait_loadcnt_dscnt 0xb00
	v_mul_f64_e32 v[140:141], v[114:115], v[96:97]
	v_mul_f64_e32 v[96:97], v[116:117], v[96:97]
	v_fmac_f64_e32 v[144:145], v[84:85], v[90:91]
	v_fma_f64 v[142:143], v[82:83], v[90:91], -v[92:93]
	ds_load_b128 v[82:85], v2 offset:800
	ds_load_b128 v[90:93], v2 offset:816
	v_add_f64_e32 v[4:5], v[4:5], v[130:131]
	v_add_f64_e32 v[8:9], v[8:9], v[138:139]
	scratch_load_b128 v[130:133], off, off offset:448
	s_wait_loadcnt_dscnt 0xb01
	v_mul_f64_e32 v[138:139], v[82:83], v[100:101]
	v_mul_f64_e32 v[100:101], v[84:85], v[100:101]
	v_fmac_f64_e32 v[140:141], v[116:117], v[94:95]
	v_fma_f64 v[114:115], v[114:115], v[94:95], -v[96:97]
	scratch_load_b128 v[94:97], off, off offset:464
	v_add_f64_e32 v[4:5], v[4:5], v[142:143]
	v_add_f64_e32 v[8:9], v[8:9], v[144:145]
	s_wait_loadcnt_dscnt 0xb00
	v_mul_f64_e32 v[142:143], v[90:91], v[104:105]
	v_mul_f64_e32 v[104:105], v[92:93], v[104:105]
	v_fmac_f64_e32 v[138:139], v[84:85], v[98:99]
	v_fma_f64 v[144:145], v[82:83], v[98:99], -v[100:101]
	ds_load_b128 v[82:85], v2 offset:832
	ds_load_b128 v[98:101], v2 offset:848
	v_add_f64_e32 v[4:5], v[4:5], v[114:115]
	v_add_f64_e32 v[8:9], v[8:9], v[140:141]
	scratch_load_b128 v[114:117], off, off offset:480
	s_wait_loadcnt_dscnt 0xb01
	v_mul_f64_e32 v[140:141], v[82:83], v[108:109]
	v_mul_f64_e32 v[108:109], v[84:85], v[108:109]
	v_fmac_f64_e32 v[142:143], v[92:93], v[102:103]
	v_fma_f64 v[102:103], v[90:91], v[102:103], -v[104:105]
	scratch_load_b128 v[90:93], off, off offset:496
	v_add_f64_e32 v[4:5], v[4:5], v[144:145]
	v_add_f64_e32 v[8:9], v[8:9], v[138:139]
	s_wait_loadcnt_dscnt 0xb00
	v_mul_f64_e32 v[138:139], v[98:99], v[112:113]
	v_mul_f64_e32 v[112:113], v[100:101], v[112:113]
	v_fmac_f64_e32 v[140:141], v[84:85], v[106:107]
	v_fma_f64 v[106:107], v[82:83], v[106:107], -v[108:109]
	v_add_f64_e32 v[4:5], v[4:5], v[102:103]
	v_add_f64_e32 v[8:9], v[8:9], v[142:143]
	ds_load_b128 v[82:85], v2 offset:864
	ds_load_b128 v[102:105], v2 offset:880
	v_fmac_f64_e32 v[138:139], v[100:101], v[110:111]
	v_fma_f64 v[98:99], v[98:99], v[110:111], -v[112:113]
	s_wait_loadcnt_dscnt 0xa01
	v_mul_f64_e32 v[108:109], v[82:83], v[120:121]
	v_mul_f64_e32 v[120:121], v[84:85], v[120:121]
	v_add_f64_e32 v[4:5], v[4:5], v[106:107]
	v_add_f64_e32 v[8:9], v[8:9], v[140:141]
	s_wait_loadcnt_dscnt 0x800
	v_mul_f64_e32 v[106:107], v[102:103], v[12:13]
	v_mul_f64_e32 v[12:13], v[104:105], v[12:13]
	v_fmac_f64_e32 v[108:109], v[84:85], v[118:119]
	v_fma_f64 v[110:111], v[82:83], v[118:119], -v[120:121]
	v_add_f64_e32 v[4:5], v[4:5], v[98:99]
	v_add_f64_e32 v[8:9], v[8:9], v[138:139]
	ds_load_b128 v[82:85], v2 offset:896
	ds_load_b128 v[98:101], v2 offset:912
	v_fmac_f64_e32 v[106:107], v[104:105], v[10:11]
	v_fma_f64 v[10:11], v[102:103], v[10:11], -v[12:13]
	s_wait_loadcnt_dscnt 0x701
	v_mul_f64_e32 v[112:113], v[82:83], v[136:137]
	v_mul_f64_e32 v[118:119], v[84:85], v[136:137]
	s_wait_loadcnt_dscnt 0x600
	v_mul_f64_e32 v[12:13], v[98:99], v[80:81]
	v_mul_f64_e32 v[102:103], v[100:101], v[80:81]
	v_add_f64_e32 v[4:5], v[4:5], v[110:111]
	v_add_f64_e32 v[8:9], v[8:9], v[108:109]
	v_fmac_f64_e32 v[112:113], v[84:85], v[134:135]
	v_fma_f64 v[84:85], v[82:83], v[134:135], -v[118:119]
	v_fmac_f64_e32 v[12:13], v[100:101], v[78:79]
	v_fma_f64 v[78:79], v[98:99], v[78:79], -v[102:103]
	v_add_f64_e32 v[4:5], v[4:5], v[10:11]
	v_add_f64_e32 v[104:105], v[8:9], v[106:107]
	ds_load_b128 v[8:11], v2 offset:928
	ds_load_b128 v[80:83], v2 offset:944
	s_wait_loadcnt_dscnt 0x501
	v_mul_f64_e32 v[106:107], v[8:9], v[124:125]
	v_mul_f64_e32 v[108:109], v[10:11], v[124:125]
	s_wait_loadcnt_dscnt 0x400
	v_mul_f64_e32 v[102:103], v[80:81], v[88:89]
	v_mul_f64_e32 v[88:89], v[82:83], v[88:89]
	v_add_f64_e32 v[4:5], v[4:5], v[84:85]
	v_add_f64_e32 v[84:85], v[104:105], v[112:113]
	v_fmac_f64_e32 v[106:107], v[10:11], v[122:123]
	v_fma_f64 v[104:105], v[8:9], v[122:123], -v[108:109]
	ds_load_b128 v[8:11], v2 offset:960
	ds_load_b128 v[98:101], v2 offset:976
	v_fmac_f64_e32 v[102:103], v[82:83], v[86:87]
	v_fma_f64 v[80:81], v[80:81], v[86:87], -v[88:89]
	v_add_f64_e32 v[4:5], v[4:5], v[78:79]
	v_add_f64_e32 v[12:13], v[84:85], v[12:13]
	s_wait_loadcnt_dscnt 0x301
	v_mul_f64_e32 v[78:79], v[8:9], v[132:133]
	v_mul_f64_e32 v[84:85], v[10:11], v[132:133]
	s_wait_loadcnt_dscnt 0x200
	v_mul_f64_e32 v[82:83], v[98:99], v[96:97]
	v_mul_f64_e32 v[86:87], v[100:101], v[96:97]
	v_add_f64_e32 v[4:5], v[4:5], v[104:105]
	v_add_f64_e32 v[12:13], v[12:13], v[106:107]
	v_fmac_f64_e32 v[78:79], v[10:11], v[130:131]
	v_fma_f64 v[84:85], v[8:9], v[130:131], -v[84:85]
	v_fmac_f64_e32 v[82:83], v[100:101], v[94:95]
	v_fma_f64 v[86:87], v[98:99], v[94:95], -v[86:87]
	v_add_f64_e32 v[80:81], v[4:5], v[80:81]
	v_add_f64_e32 v[12:13], v[12:13], v[102:103]
	ds_load_b128 v[8:11], v2 offset:992
	ds_load_b128 v[2:5], v2 offset:1008
	s_wait_loadcnt_dscnt 0x101
	v_mul_f64_e32 v[88:89], v[8:9], v[116:117]
	v_mul_f64_e32 v[96:97], v[10:11], v[116:117]
	v_add_f64_e32 v[80:81], v[80:81], v[84:85]
	v_add_f64_e32 v[12:13], v[12:13], v[78:79]
	s_wait_loadcnt_dscnt 0x0
	v_mul_f64_e32 v[78:79], v[2:3], v[92:93]
	v_mul_f64_e32 v[84:85], v[4:5], v[92:93]
	v_fmac_f64_e32 v[88:89], v[10:11], v[114:115]
	v_fma_f64 v[8:9], v[8:9], v[114:115], -v[96:97]
	v_add_f64_e32 v[10:11], v[80:81], v[86:87]
	v_add_f64_e32 v[12:13], v[12:13], v[82:83]
	v_fmac_f64_e32 v[78:79], v[4:5], v[90:91]
	v_fma_f64 v[2:3], v[2:3], v[90:91], -v[84:85]
	s_delay_alu instid0(VALU_DEP_4) | instskip(NEXT) | instid1(VALU_DEP_4)
	v_add_f64_e32 v[4:5], v[10:11], v[8:9]
	v_add_f64_e32 v[8:9], v[12:13], v[88:89]
	s_delay_alu instid0(VALU_DEP_2) | instskip(NEXT) | instid1(VALU_DEP_2)
	v_add_f64_e32 v[2:3], v[4:5], v[2:3]
	v_add_f64_e32 v[4:5], v[8:9], v[78:79]
	s_delay_alu instid0(VALU_DEP_2) | instskip(NEXT) | instid1(VALU_DEP_2)
	v_add_f64_e64 v[2:3], v[126:127], -v[2:3]
	v_add_f64_e64 v[4:5], v[128:129], -v[4:5]
	scratch_store_b128 off, v[2:5], off offset:176
	s_wait_xcnt 0x0
	v_cmpx_lt_u32_e32 10, v1
	s_cbranch_execz .LBB31_185
; %bb.184:
	scratch_load_b128 v[2:5], off, s36
	v_mov_b32_e32 v8, 0
	s_delay_alu instid0(VALU_DEP_1)
	v_dual_mov_b32 v9, v8 :: v_dual_mov_b32 v10, v8
	v_mov_b32_e32 v11, v8
	scratch_store_b128 off, v[8:11], off offset:160
	s_wait_loadcnt 0x0
	ds_store_b128 v6, v[2:5]
.LBB31_185:
	s_wait_xcnt 0x0
	s_or_b32 exec_lo, exec_lo, s2
	s_wait_storecnt_dscnt 0x0
	s_barrier_signal -1
	s_barrier_wait -1
	s_clause 0x9
	scratch_load_b128 v[8:11], off, off offset:176
	scratch_load_b128 v[78:81], off, off offset:192
	;; [unrolled: 1-line block ×10, first 2 shown]
	v_mov_b32_e32 v2, 0
	s_mov_b32 s2, exec_lo
	ds_load_b128 v[114:117], v2 offset:688
	s_clause 0x2
	scratch_load_b128 v[118:121], off, off offset:336
	scratch_load_b128 v[122:125], off, off offset:160
	;; [unrolled: 1-line block ×3, first 2 shown]
	s_wait_loadcnt_dscnt 0xc00
	v_mul_f64_e32 v[4:5], v[116:117], v[10:11]
	v_mul_f64_e32 v[138:139], v[114:115], v[10:11]
	ds_load_b128 v[126:129], v2 offset:704
	scratch_load_b128 v[10:13], off, off offset:352
	ds_load_b128 v[134:137], v2 offset:736
	v_fma_f64 v[4:5], v[114:115], v[8:9], -v[4:5]
	v_fmac_f64_e32 v[138:139], v[116:117], v[8:9]
	ds_load_b128 v[114:117], v2 offset:720
	s_wait_loadcnt_dscnt 0xc02
	v_mul_f64_e32 v[140:141], v[126:127], v[80:81]
	v_mul_f64_e32 v[80:81], v[128:129], v[80:81]
	s_wait_loadcnt_dscnt 0xb00
	v_mul_f64_e32 v[8:9], v[114:115], v[84:85]
	v_mul_f64_e32 v[84:85], v[116:117], v[84:85]
	v_add_f64_e32 v[4:5], 0, v[4:5]
	v_fmac_f64_e32 v[140:141], v[128:129], v[78:79]
	v_fma_f64 v[126:127], v[126:127], v[78:79], -v[80:81]
	v_add_f64_e32 v[128:129], 0, v[138:139]
	scratch_load_b128 v[78:81], off, off offset:384
	v_fmac_f64_e32 v[8:9], v[116:117], v[82:83]
	v_fma_f64 v[142:143], v[114:115], v[82:83], -v[84:85]
	ds_load_b128 v[82:85], v2 offset:752
	s_wait_loadcnt 0xb
	v_mul_f64_e32 v[138:139], v[134:135], v[88:89]
	v_mul_f64_e32 v[88:89], v[136:137], v[88:89]
	scratch_load_b128 v[114:117], off, off offset:400
	v_add_f64_e32 v[4:5], v[4:5], v[126:127]
	v_add_f64_e32 v[140:141], v[128:129], v[140:141]
	ds_load_b128 v[126:129], v2 offset:768
	s_wait_loadcnt_dscnt 0xb01
	v_mul_f64_e32 v[144:145], v[82:83], v[92:93]
	v_mul_f64_e32 v[92:93], v[84:85], v[92:93]
	v_fmac_f64_e32 v[138:139], v[136:137], v[86:87]
	v_fma_f64 v[134:135], v[134:135], v[86:87], -v[88:89]
	scratch_load_b128 v[86:89], off, off offset:416
	v_add_f64_e32 v[4:5], v[4:5], v[142:143]
	v_add_f64_e32 v[8:9], v[140:141], v[8:9]
	v_fmac_f64_e32 v[144:145], v[84:85], v[90:91]
	v_fma_f64 v[142:143], v[82:83], v[90:91], -v[92:93]
	ds_load_b128 v[82:85], v2 offset:784
	s_wait_loadcnt_dscnt 0xb01
	v_mul_f64_e32 v[140:141], v[126:127], v[96:97]
	v_mul_f64_e32 v[96:97], v[128:129], v[96:97]
	scratch_load_b128 v[90:93], off, off offset:432
	v_add_f64_e32 v[4:5], v[4:5], v[134:135]
	v_add_f64_e32 v[8:9], v[8:9], v[138:139]
	s_wait_loadcnt_dscnt 0xb00
	v_mul_f64_e32 v[138:139], v[82:83], v[100:101]
	v_mul_f64_e32 v[100:101], v[84:85], v[100:101]
	ds_load_b128 v[134:137], v2 offset:800
	v_fmac_f64_e32 v[140:141], v[128:129], v[94:95]
	v_fma_f64 v[126:127], v[126:127], v[94:95], -v[96:97]
	scratch_load_b128 v[94:97], off, off offset:448
	v_add_f64_e32 v[4:5], v[4:5], v[142:143]
	v_add_f64_e32 v[8:9], v[8:9], v[144:145]
	v_fmac_f64_e32 v[138:139], v[84:85], v[98:99]
	v_fma_f64 v[144:145], v[82:83], v[98:99], -v[100:101]
	ds_load_b128 v[82:85], v2 offset:816
	s_wait_loadcnt_dscnt 0xb01
	v_mul_f64_e32 v[142:143], v[134:135], v[104:105]
	v_mul_f64_e32 v[104:105], v[136:137], v[104:105]
	scratch_load_b128 v[98:101], off, off offset:464
	v_add_f64_e32 v[4:5], v[4:5], v[126:127]
	v_add_f64_e32 v[8:9], v[8:9], v[140:141]
	s_wait_loadcnt_dscnt 0xb00
	v_mul_f64_e32 v[140:141], v[82:83], v[108:109]
	v_mul_f64_e32 v[108:109], v[84:85], v[108:109]
	ds_load_b128 v[126:129], v2 offset:832
	;; [unrolled: 18-line block ×3, first 2 shown]
	v_fmac_f64_e32 v[138:139], v[128:129], v[110:111]
	v_fma_f64 v[110:111], v[126:127], v[110:111], -v[112:113]
	s_wait_loadcnt_dscnt 0x800
	v_mul_f64_e32 v[126:127], v[134:135], v[12:13]
	v_add_f64_e32 v[4:5], v[4:5], v[144:145]
	v_add_f64_e32 v[8:9], v[8:9], v[140:141]
	v_mul_f64_e32 v[12:13], v[136:137], v[12:13]
	v_fmac_f64_e32 v[142:143], v[84:85], v[118:119]
	v_fma_f64 v[118:119], v[82:83], v[118:119], -v[120:121]
	v_fmac_f64_e32 v[126:127], v[136:137], v[10:11]
	v_add_f64_e32 v[4:5], v[4:5], v[110:111]
	v_add_f64_e32 v[8:9], v[8:9], v[138:139]
	ds_load_b128 v[82:85], v2 offset:880
	ds_load_b128 v[110:113], v2 offset:896
	v_fma_f64 v[10:11], v[134:135], v[10:11], -v[12:13]
	s_wait_dscnt 0x1
	v_mul_f64_e32 v[120:121], v[82:83], v[132:133]
	v_mul_f64_e32 v[128:129], v[84:85], v[132:133]
	v_add_f64_e32 v[4:5], v[4:5], v[118:119]
	v_add_f64_e32 v[8:9], v[8:9], v[142:143]
	s_wait_loadcnt_dscnt 0x700
	v_mul_f64_e32 v[12:13], v[110:111], v[80:81]
	v_mul_f64_e32 v[118:119], v[112:113], v[80:81]
	v_fmac_f64_e32 v[120:121], v[84:85], v[130:131]
	v_fma_f64 v[84:85], v[82:83], v[130:131], -v[128:129]
	v_add_f64_e32 v[4:5], v[4:5], v[10:11]
	v_add_f64_e32 v[126:127], v[8:9], v[126:127]
	ds_load_b128 v[8:11], v2 offset:912
	ds_load_b128 v[80:83], v2 offset:928
	v_fmac_f64_e32 v[12:13], v[112:113], v[78:79]
	v_fma_f64 v[78:79], v[110:111], v[78:79], -v[118:119]
	s_wait_loadcnt_dscnt 0x601
	v_mul_f64_e32 v[128:129], v[8:9], v[116:117]
	v_mul_f64_e32 v[116:117], v[10:11], v[116:117]
	s_wait_loadcnt_dscnt 0x500
	v_mul_f64_e32 v[118:119], v[80:81], v[88:89]
	v_mul_f64_e32 v[88:89], v[82:83], v[88:89]
	v_add_f64_e32 v[4:5], v[4:5], v[84:85]
	v_add_f64_e32 v[84:85], v[126:127], v[120:121]
	v_fmac_f64_e32 v[128:129], v[10:11], v[114:115]
	v_fma_f64 v[114:115], v[8:9], v[114:115], -v[116:117]
	ds_load_b128 v[8:11], v2 offset:944
	ds_load_b128 v[110:113], v2 offset:960
	v_fmac_f64_e32 v[118:119], v[82:83], v[86:87]
	v_fma_f64 v[80:81], v[80:81], v[86:87], -v[88:89]
	v_add_f64_e32 v[4:5], v[4:5], v[78:79]
	v_add_f64_e32 v[12:13], v[84:85], v[12:13]
	s_wait_loadcnt_dscnt 0x401
	v_mul_f64_e32 v[84:85], v[8:9], v[92:93]
	v_mul_f64_e32 v[78:79], v[10:11], v[92:93]
	s_wait_loadcnt_dscnt 0x300
	v_mul_f64_e32 v[82:83], v[110:111], v[96:97]
	v_mul_f64_e32 v[86:87], v[112:113], v[96:97]
	v_add_f64_e32 v[4:5], v[4:5], v[114:115]
	v_add_f64_e32 v[12:13], v[12:13], v[128:129]
	v_fmac_f64_e32 v[84:85], v[10:11], v[90:91]
	v_fma_f64 v[88:89], v[8:9], v[90:91], -v[78:79]
	v_fmac_f64_e32 v[82:83], v[112:113], v[94:95]
	v_fma_f64 v[86:87], v[110:111], v[94:95], -v[86:87]
	v_add_f64_e32 v[4:5], v[4:5], v[80:81]
	v_add_f64_e32 v[12:13], v[12:13], v[118:119]
	ds_load_b128 v[8:11], v2 offset:976
	ds_load_b128 v[78:81], v2 offset:992
	s_wait_loadcnt_dscnt 0x201
	v_mul_f64_e32 v[90:91], v[8:9], v[100:101]
	v_mul_f64_e32 v[92:93], v[10:11], v[100:101]
	v_add_f64_e32 v[4:5], v[4:5], v[88:89]
	v_add_f64_e32 v[12:13], v[12:13], v[84:85]
	s_wait_loadcnt_dscnt 0x100
	v_mul_f64_e32 v[84:85], v[78:79], v[104:105]
	v_mul_f64_e32 v[88:89], v[80:81], v[104:105]
	v_fmac_f64_e32 v[90:91], v[10:11], v[98:99]
	v_fma_f64 v[92:93], v[8:9], v[98:99], -v[92:93]
	ds_load_b128 v[8:11], v2 offset:1008
	v_add_f64_e32 v[4:5], v[4:5], v[86:87]
	v_add_f64_e32 v[12:13], v[12:13], v[82:83]
	v_fmac_f64_e32 v[84:85], v[80:81], v[102:103]
	v_fma_f64 v[78:79], v[78:79], v[102:103], -v[88:89]
	s_wait_loadcnt_dscnt 0x0
	v_mul_f64_e32 v[82:83], v[8:9], v[108:109]
	v_mul_f64_e32 v[86:87], v[10:11], v[108:109]
	v_add_f64_e32 v[4:5], v[4:5], v[92:93]
	v_add_f64_e32 v[12:13], v[12:13], v[90:91]
	s_delay_alu instid0(VALU_DEP_4) | instskip(NEXT) | instid1(VALU_DEP_4)
	v_fmac_f64_e32 v[82:83], v[10:11], v[106:107]
	v_fma_f64 v[8:9], v[8:9], v[106:107], -v[86:87]
	s_delay_alu instid0(VALU_DEP_4) | instskip(NEXT) | instid1(VALU_DEP_4)
	v_add_f64_e32 v[4:5], v[4:5], v[78:79]
	v_add_f64_e32 v[10:11], v[12:13], v[84:85]
	s_delay_alu instid0(VALU_DEP_2) | instskip(NEXT) | instid1(VALU_DEP_2)
	v_add_f64_e32 v[4:5], v[4:5], v[8:9]
	v_add_f64_e32 v[10:11], v[10:11], v[82:83]
	s_delay_alu instid0(VALU_DEP_2) | instskip(NEXT) | instid1(VALU_DEP_2)
	v_add_f64_e64 v[8:9], v[122:123], -v[4:5]
	v_add_f64_e64 v[10:11], v[124:125], -v[10:11]
	scratch_store_b128 off, v[8:11], off offset:160
	s_wait_xcnt 0x0
	v_cmpx_lt_u32_e32 9, v1
	s_cbranch_execz .LBB31_187
; %bb.186:
	scratch_load_b128 v[8:11], off, s34
	v_dual_mov_b32 v3, v2 :: v_dual_mov_b32 v4, v2
	v_mov_b32_e32 v5, v2
	scratch_store_b128 off, v[2:5], off offset:144
	s_wait_loadcnt 0x0
	ds_store_b128 v6, v[8:11]
.LBB31_187:
	s_wait_xcnt 0x0
	s_or_b32 exec_lo, exec_lo, s2
	s_wait_storecnt_dscnt 0x0
	s_barrier_signal -1
	s_barrier_wait -1
	s_clause 0x9
	scratch_load_b128 v[8:11], off, off offset:160
	scratch_load_b128 v[78:81], off, off offset:176
	scratch_load_b128 v[82:85], off, off offset:192
	scratch_load_b128 v[86:89], off, off offset:208
	scratch_load_b128 v[90:93], off, off offset:224
	scratch_load_b128 v[94:97], off, off offset:240
	scratch_load_b128 v[98:101], off, off offset:256
	scratch_load_b128 v[102:105], off, off offset:272
	scratch_load_b128 v[106:109], off, off offset:288
	scratch_load_b128 v[110:113], off, off offset:304
	ds_load_b128 v[114:117], v2 offset:672
	ds_load_b128 v[122:125], v2 offset:688
	s_clause 0x1
	scratch_load_b128 v[118:121], off, off offset:320
	scratch_load_b128 v[126:129], off, off offset:144
	s_mov_b32 s2, exec_lo
	s_wait_loadcnt_dscnt 0xb01
	v_mul_f64_e32 v[4:5], v[116:117], v[10:11]
	v_mul_f64_e32 v[138:139], v[114:115], v[10:11]
	scratch_load_b128 v[10:13], off, off offset:336
	s_wait_loadcnt_dscnt 0xb00
	v_mul_f64_e32 v[140:141], v[122:123], v[80:81]
	v_mul_f64_e32 v[80:81], v[124:125], v[80:81]
	v_fma_f64 v[4:5], v[114:115], v[8:9], -v[4:5]
	v_fmac_f64_e32 v[138:139], v[116:117], v[8:9]
	ds_load_b128 v[114:117], v2 offset:704
	ds_load_b128 v[130:133], v2 offset:720
	scratch_load_b128 v[134:137], off, off offset:352
	v_fmac_f64_e32 v[140:141], v[124:125], v[78:79]
	v_fma_f64 v[122:123], v[122:123], v[78:79], -v[80:81]
	scratch_load_b128 v[78:81], off, off offset:368
	s_wait_loadcnt_dscnt 0xc01
	v_mul_f64_e32 v[8:9], v[114:115], v[84:85]
	v_mul_f64_e32 v[84:85], v[116:117], v[84:85]
	v_add_f64_e32 v[4:5], 0, v[4:5]
	v_add_f64_e32 v[124:125], 0, v[138:139]
	s_wait_loadcnt_dscnt 0xb00
	v_mul_f64_e32 v[138:139], v[130:131], v[88:89]
	v_mul_f64_e32 v[88:89], v[132:133], v[88:89]
	v_fmac_f64_e32 v[8:9], v[116:117], v[82:83]
	v_fma_f64 v[142:143], v[114:115], v[82:83], -v[84:85]
	ds_load_b128 v[82:85], v2 offset:736
	ds_load_b128 v[114:117], v2 offset:752
	v_add_f64_e32 v[4:5], v[4:5], v[122:123]
	v_add_f64_e32 v[140:141], v[124:125], v[140:141]
	scratch_load_b128 v[122:125], off, off offset:384
	v_fmac_f64_e32 v[138:139], v[132:133], v[86:87]
	v_fma_f64 v[130:131], v[130:131], v[86:87], -v[88:89]
	scratch_load_b128 v[86:89], off, off offset:400
	s_wait_loadcnt_dscnt 0xc01
	v_mul_f64_e32 v[144:145], v[82:83], v[92:93]
	v_mul_f64_e32 v[92:93], v[84:85], v[92:93]
	v_add_f64_e32 v[4:5], v[4:5], v[142:143]
	v_add_f64_e32 v[8:9], v[140:141], v[8:9]
	s_wait_loadcnt_dscnt 0xb00
	v_mul_f64_e32 v[140:141], v[114:115], v[96:97]
	v_mul_f64_e32 v[96:97], v[116:117], v[96:97]
	v_fmac_f64_e32 v[144:145], v[84:85], v[90:91]
	v_fma_f64 v[142:143], v[82:83], v[90:91], -v[92:93]
	ds_load_b128 v[82:85], v2 offset:768
	ds_load_b128 v[90:93], v2 offset:784
	v_add_f64_e32 v[4:5], v[4:5], v[130:131]
	v_add_f64_e32 v[8:9], v[8:9], v[138:139]
	scratch_load_b128 v[130:133], off, off offset:416
	s_wait_loadcnt_dscnt 0xb01
	v_mul_f64_e32 v[138:139], v[82:83], v[100:101]
	v_mul_f64_e32 v[100:101], v[84:85], v[100:101]
	v_fmac_f64_e32 v[140:141], v[116:117], v[94:95]
	v_fma_f64 v[114:115], v[114:115], v[94:95], -v[96:97]
	scratch_load_b128 v[94:97], off, off offset:432
	v_add_f64_e32 v[4:5], v[4:5], v[142:143]
	v_add_f64_e32 v[8:9], v[8:9], v[144:145]
	s_wait_loadcnt_dscnt 0xb00
	v_mul_f64_e32 v[142:143], v[90:91], v[104:105]
	v_mul_f64_e32 v[104:105], v[92:93], v[104:105]
	v_fmac_f64_e32 v[138:139], v[84:85], v[98:99]
	v_fma_f64 v[144:145], v[82:83], v[98:99], -v[100:101]
	ds_load_b128 v[82:85], v2 offset:800
	ds_load_b128 v[98:101], v2 offset:816
	v_add_f64_e32 v[4:5], v[4:5], v[114:115]
	v_add_f64_e32 v[8:9], v[8:9], v[140:141]
	scratch_load_b128 v[114:117], off, off offset:448
	s_wait_loadcnt_dscnt 0xb01
	v_mul_f64_e32 v[140:141], v[82:83], v[108:109]
	v_mul_f64_e32 v[108:109], v[84:85], v[108:109]
	v_fmac_f64_e32 v[142:143], v[92:93], v[102:103]
	v_fma_f64 v[102:103], v[90:91], v[102:103], -v[104:105]
	scratch_load_b128 v[90:93], off, off offset:464
	v_add_f64_e32 v[4:5], v[4:5], v[144:145]
	v_add_f64_e32 v[8:9], v[8:9], v[138:139]
	s_wait_loadcnt_dscnt 0xb00
	v_mul_f64_e32 v[138:139], v[98:99], v[112:113]
	v_mul_f64_e32 v[112:113], v[100:101], v[112:113]
	v_fmac_f64_e32 v[140:141], v[84:85], v[106:107]
	v_fma_f64 v[144:145], v[82:83], v[106:107], -v[108:109]
	v_add_f64_e32 v[4:5], v[4:5], v[102:103]
	v_add_f64_e32 v[8:9], v[8:9], v[142:143]
	ds_load_b128 v[82:85], v2 offset:832
	ds_load_b128 v[102:105], v2 offset:848
	scratch_load_b128 v[106:109], off, off offset:480
	v_fmac_f64_e32 v[138:139], v[100:101], v[110:111]
	v_fma_f64 v[110:111], v[98:99], v[110:111], -v[112:113]
	scratch_load_b128 v[98:101], off, off offset:496
	s_wait_loadcnt_dscnt 0xc01
	v_mul_f64_e32 v[142:143], v[82:83], v[120:121]
	v_mul_f64_e32 v[120:121], v[84:85], v[120:121]
	v_add_f64_e32 v[4:5], v[4:5], v[144:145]
	v_add_f64_e32 v[8:9], v[8:9], v[140:141]
	s_wait_loadcnt_dscnt 0xa00
	v_mul_f64_e32 v[140:141], v[102:103], v[12:13]
	v_mul_f64_e32 v[12:13], v[104:105], v[12:13]
	v_fmac_f64_e32 v[142:143], v[84:85], v[118:119]
	v_fma_f64 v[118:119], v[82:83], v[118:119], -v[120:121]
	v_add_f64_e32 v[4:5], v[4:5], v[110:111]
	v_add_f64_e32 v[8:9], v[8:9], v[138:139]
	ds_load_b128 v[82:85], v2 offset:864
	ds_load_b128 v[110:113], v2 offset:880
	v_fmac_f64_e32 v[140:141], v[104:105], v[10:11]
	v_fma_f64 v[10:11], v[102:103], v[10:11], -v[12:13]
	s_wait_loadcnt_dscnt 0x901
	v_mul_f64_e32 v[120:121], v[82:83], v[136:137]
	v_mul_f64_e32 v[136:137], v[84:85], v[136:137]
	s_wait_loadcnt_dscnt 0x800
	v_mul_f64_e32 v[12:13], v[110:111], v[80:81]
	v_mul_f64_e32 v[102:103], v[112:113], v[80:81]
	v_add_f64_e32 v[4:5], v[4:5], v[118:119]
	v_add_f64_e32 v[8:9], v[8:9], v[142:143]
	v_fmac_f64_e32 v[120:121], v[84:85], v[134:135]
	v_fma_f64 v[84:85], v[82:83], v[134:135], -v[136:137]
	v_fmac_f64_e32 v[12:13], v[112:113], v[78:79]
	v_fma_f64 v[78:79], v[110:111], v[78:79], -v[102:103]
	v_add_f64_e32 v[4:5], v[4:5], v[10:11]
	v_add_f64_e32 v[104:105], v[8:9], v[140:141]
	ds_load_b128 v[8:11], v2 offset:896
	ds_load_b128 v[80:83], v2 offset:912
	s_wait_loadcnt_dscnt 0x701
	v_mul_f64_e32 v[118:119], v[8:9], v[124:125]
	v_mul_f64_e32 v[124:125], v[10:11], v[124:125]
	s_wait_loadcnt_dscnt 0x600
	v_mul_f64_e32 v[110:111], v[80:81], v[88:89]
	v_mul_f64_e32 v[88:89], v[82:83], v[88:89]
	v_add_f64_e32 v[4:5], v[4:5], v[84:85]
	v_add_f64_e32 v[84:85], v[104:105], v[120:121]
	v_fmac_f64_e32 v[118:119], v[10:11], v[122:123]
	v_fma_f64 v[112:113], v[8:9], v[122:123], -v[124:125]
	ds_load_b128 v[8:11], v2 offset:928
	ds_load_b128 v[102:105], v2 offset:944
	v_fmac_f64_e32 v[110:111], v[82:83], v[86:87]
	v_fma_f64 v[80:81], v[80:81], v[86:87], -v[88:89]
	v_add_f64_e32 v[4:5], v[4:5], v[78:79]
	v_add_f64_e32 v[12:13], v[84:85], v[12:13]
	s_wait_loadcnt_dscnt 0x501
	v_mul_f64_e32 v[84:85], v[8:9], v[132:133]
	v_mul_f64_e32 v[78:79], v[10:11], v[132:133]
	s_wait_loadcnt_dscnt 0x400
	v_mul_f64_e32 v[82:83], v[102:103], v[96:97]
	v_mul_f64_e32 v[86:87], v[104:105], v[96:97]
	v_add_f64_e32 v[4:5], v[4:5], v[112:113]
	v_add_f64_e32 v[12:13], v[12:13], v[118:119]
	v_fmac_f64_e32 v[84:85], v[10:11], v[130:131]
	v_fma_f64 v[88:89], v[8:9], v[130:131], -v[78:79]
	v_fmac_f64_e32 v[82:83], v[104:105], v[94:95]
	v_fma_f64 v[86:87], v[102:103], v[94:95], -v[86:87]
	v_add_f64_e32 v[4:5], v[4:5], v[80:81]
	v_add_f64_e32 v[12:13], v[12:13], v[110:111]
	ds_load_b128 v[8:11], v2 offset:960
	ds_load_b128 v[78:81], v2 offset:976
	s_wait_loadcnt_dscnt 0x301
	v_mul_f64_e32 v[96:97], v[8:9], v[116:117]
	v_mul_f64_e32 v[110:111], v[10:11], v[116:117]
	v_add_f64_e32 v[4:5], v[4:5], v[88:89]
	v_add_f64_e32 v[12:13], v[12:13], v[84:85]
	s_wait_loadcnt_dscnt 0x200
	v_mul_f64_e32 v[84:85], v[78:79], v[92:93]
	v_mul_f64_e32 v[88:89], v[80:81], v[92:93]
	v_fmac_f64_e32 v[96:97], v[10:11], v[114:115]
	v_fma_f64 v[92:93], v[8:9], v[114:115], -v[110:111]
	v_add_f64_e32 v[86:87], v[4:5], v[86:87]
	v_add_f64_e32 v[12:13], v[12:13], v[82:83]
	ds_load_b128 v[8:11], v2 offset:992
	ds_load_b128 v[2:5], v2 offset:1008
	v_fmac_f64_e32 v[84:85], v[80:81], v[90:91]
	v_fma_f64 v[78:79], v[78:79], v[90:91], -v[88:89]
	s_wait_loadcnt_dscnt 0x101
	v_mul_f64_e32 v[82:83], v[8:9], v[108:109]
	v_mul_f64_e32 v[94:95], v[10:11], v[108:109]
	s_wait_loadcnt_dscnt 0x0
	v_mul_f64_e32 v[88:89], v[4:5], v[100:101]
	v_add_f64_e32 v[80:81], v[86:87], v[92:93]
	v_add_f64_e32 v[12:13], v[12:13], v[96:97]
	v_mul_f64_e32 v[86:87], v[2:3], v[100:101]
	v_fmac_f64_e32 v[82:83], v[10:11], v[106:107]
	v_fma_f64 v[8:9], v[8:9], v[106:107], -v[94:95]
	v_fma_f64 v[2:3], v[2:3], v[98:99], -v[88:89]
	v_add_f64_e32 v[10:11], v[80:81], v[78:79]
	v_add_f64_e32 v[12:13], v[12:13], v[84:85]
	v_fmac_f64_e32 v[86:87], v[4:5], v[98:99]
	s_delay_alu instid0(VALU_DEP_3) | instskip(NEXT) | instid1(VALU_DEP_3)
	v_add_f64_e32 v[4:5], v[10:11], v[8:9]
	v_add_f64_e32 v[8:9], v[12:13], v[82:83]
	s_delay_alu instid0(VALU_DEP_2) | instskip(NEXT) | instid1(VALU_DEP_2)
	v_add_f64_e32 v[2:3], v[4:5], v[2:3]
	v_add_f64_e32 v[4:5], v[8:9], v[86:87]
	s_delay_alu instid0(VALU_DEP_2) | instskip(NEXT) | instid1(VALU_DEP_2)
	v_add_f64_e64 v[2:3], v[126:127], -v[2:3]
	v_add_f64_e64 v[4:5], v[128:129], -v[4:5]
	scratch_store_b128 off, v[2:5], off offset:144
	s_wait_xcnt 0x0
	v_cmpx_lt_u32_e32 8, v1
	s_cbranch_execz .LBB31_189
; %bb.188:
	scratch_load_b128 v[2:5], off, s33
	v_mov_b32_e32 v8, 0
	s_delay_alu instid0(VALU_DEP_1)
	v_dual_mov_b32 v9, v8 :: v_dual_mov_b32 v10, v8
	v_mov_b32_e32 v11, v8
	scratch_store_b128 off, v[8:11], off offset:128
	s_wait_loadcnt 0x0
	ds_store_b128 v6, v[2:5]
.LBB31_189:
	s_wait_xcnt 0x0
	s_or_b32 exec_lo, exec_lo, s2
	s_wait_storecnt_dscnt 0x0
	s_barrier_signal -1
	s_barrier_wait -1
	s_clause 0x9
	scratch_load_b128 v[8:11], off, off offset:144
	scratch_load_b128 v[78:81], off, off offset:160
	;; [unrolled: 1-line block ×10, first 2 shown]
	v_mov_b32_e32 v2, 0
	s_mov_b32 s2, exec_lo
	ds_load_b128 v[114:117], v2 offset:656
	s_clause 0x2
	scratch_load_b128 v[118:121], off, off offset:304
	scratch_load_b128 v[122:125], off, off offset:128
	;; [unrolled: 1-line block ×3, first 2 shown]
	s_wait_loadcnt_dscnt 0xc00
	v_mul_f64_e32 v[4:5], v[116:117], v[10:11]
	v_mul_f64_e32 v[138:139], v[114:115], v[10:11]
	ds_load_b128 v[126:129], v2 offset:672
	scratch_load_b128 v[10:13], off, off offset:320
	ds_load_b128 v[134:137], v2 offset:704
	v_fma_f64 v[4:5], v[114:115], v[8:9], -v[4:5]
	v_fmac_f64_e32 v[138:139], v[116:117], v[8:9]
	ds_load_b128 v[114:117], v2 offset:688
	s_wait_loadcnt_dscnt 0xc02
	v_mul_f64_e32 v[140:141], v[126:127], v[80:81]
	v_mul_f64_e32 v[80:81], v[128:129], v[80:81]
	s_wait_loadcnt_dscnt 0xb00
	v_mul_f64_e32 v[8:9], v[114:115], v[84:85]
	v_mul_f64_e32 v[84:85], v[116:117], v[84:85]
	v_add_f64_e32 v[4:5], 0, v[4:5]
	v_fmac_f64_e32 v[140:141], v[128:129], v[78:79]
	v_fma_f64 v[126:127], v[126:127], v[78:79], -v[80:81]
	v_add_f64_e32 v[128:129], 0, v[138:139]
	scratch_load_b128 v[78:81], off, off offset:352
	v_fmac_f64_e32 v[8:9], v[116:117], v[82:83]
	v_fma_f64 v[142:143], v[114:115], v[82:83], -v[84:85]
	ds_load_b128 v[82:85], v2 offset:720
	s_wait_loadcnt 0xb
	v_mul_f64_e32 v[138:139], v[134:135], v[88:89]
	v_mul_f64_e32 v[88:89], v[136:137], v[88:89]
	scratch_load_b128 v[114:117], off, off offset:368
	v_add_f64_e32 v[4:5], v[4:5], v[126:127]
	v_add_f64_e32 v[140:141], v[128:129], v[140:141]
	ds_load_b128 v[126:129], v2 offset:736
	s_wait_loadcnt_dscnt 0xb01
	v_mul_f64_e32 v[144:145], v[82:83], v[92:93]
	v_mul_f64_e32 v[92:93], v[84:85], v[92:93]
	v_fmac_f64_e32 v[138:139], v[136:137], v[86:87]
	v_fma_f64 v[134:135], v[134:135], v[86:87], -v[88:89]
	scratch_load_b128 v[86:89], off, off offset:384
	v_add_f64_e32 v[4:5], v[4:5], v[142:143]
	v_add_f64_e32 v[8:9], v[140:141], v[8:9]
	v_fmac_f64_e32 v[144:145], v[84:85], v[90:91]
	v_fma_f64 v[142:143], v[82:83], v[90:91], -v[92:93]
	ds_load_b128 v[82:85], v2 offset:752
	s_wait_loadcnt_dscnt 0xb01
	v_mul_f64_e32 v[140:141], v[126:127], v[96:97]
	v_mul_f64_e32 v[96:97], v[128:129], v[96:97]
	scratch_load_b128 v[90:93], off, off offset:400
	v_add_f64_e32 v[4:5], v[4:5], v[134:135]
	v_add_f64_e32 v[8:9], v[8:9], v[138:139]
	s_wait_loadcnt_dscnt 0xb00
	v_mul_f64_e32 v[138:139], v[82:83], v[100:101]
	v_mul_f64_e32 v[100:101], v[84:85], v[100:101]
	ds_load_b128 v[134:137], v2 offset:768
	v_fmac_f64_e32 v[140:141], v[128:129], v[94:95]
	v_fma_f64 v[126:127], v[126:127], v[94:95], -v[96:97]
	scratch_load_b128 v[94:97], off, off offset:416
	v_add_f64_e32 v[4:5], v[4:5], v[142:143]
	v_add_f64_e32 v[8:9], v[8:9], v[144:145]
	v_fmac_f64_e32 v[138:139], v[84:85], v[98:99]
	v_fma_f64 v[144:145], v[82:83], v[98:99], -v[100:101]
	ds_load_b128 v[82:85], v2 offset:784
	s_wait_loadcnt_dscnt 0xb01
	v_mul_f64_e32 v[142:143], v[134:135], v[104:105]
	v_mul_f64_e32 v[104:105], v[136:137], v[104:105]
	scratch_load_b128 v[98:101], off, off offset:432
	v_add_f64_e32 v[4:5], v[4:5], v[126:127]
	v_add_f64_e32 v[8:9], v[8:9], v[140:141]
	s_wait_loadcnt_dscnt 0xb00
	v_mul_f64_e32 v[140:141], v[82:83], v[108:109]
	v_mul_f64_e32 v[108:109], v[84:85], v[108:109]
	ds_load_b128 v[126:129], v2 offset:800
	;; [unrolled: 18-line block ×3, first 2 shown]
	v_fmac_f64_e32 v[138:139], v[128:129], v[110:111]
	v_fma_f64 v[126:127], v[126:127], v[110:111], -v[112:113]
	scratch_load_b128 v[110:113], off, off offset:480
	v_add_f64_e32 v[4:5], v[4:5], v[144:145]
	v_add_f64_e32 v[8:9], v[8:9], v[140:141]
	v_fmac_f64_e32 v[142:143], v[84:85], v[118:119]
	v_fma_f64 v[144:145], v[82:83], v[118:119], -v[120:121]
	ds_load_b128 v[82:85], v2 offset:848
	s_wait_loadcnt_dscnt 0x901
	v_mul_f64_e32 v[140:141], v[134:135], v[12:13]
	v_mul_f64_e32 v[12:13], v[136:137], v[12:13]
	scratch_load_b128 v[118:121], off, off offset:496
	v_add_f64_e32 v[4:5], v[4:5], v[126:127]
	v_add_f64_e32 v[8:9], v[8:9], v[138:139]
	s_wait_dscnt 0x0
	v_mul_f64_e32 v[138:139], v[82:83], v[132:133]
	v_mul_f64_e32 v[132:133], v[84:85], v[132:133]
	ds_load_b128 v[126:129], v2 offset:864
	v_fmac_f64_e32 v[140:141], v[136:137], v[10:11]
	v_fma_f64 v[10:11], v[134:135], v[10:11], -v[12:13]
	v_add_f64_e32 v[4:5], v[4:5], v[144:145]
	v_add_f64_e32 v[8:9], v[8:9], v[142:143]
	s_wait_loadcnt_dscnt 0x900
	v_mul_f64_e32 v[12:13], v[126:127], v[80:81]
	v_mul_f64_e32 v[134:135], v[128:129], v[80:81]
	v_fmac_f64_e32 v[138:139], v[84:85], v[130:131]
	v_fma_f64 v[84:85], v[82:83], v[130:131], -v[132:133]
	v_add_f64_e32 v[4:5], v[4:5], v[10:11]
	v_add_f64_e32 v[130:131], v[8:9], v[140:141]
	ds_load_b128 v[8:11], v2 offset:880
	ds_load_b128 v[80:83], v2 offset:896
	v_fmac_f64_e32 v[12:13], v[128:129], v[78:79]
	v_fma_f64 v[78:79], v[126:127], v[78:79], -v[134:135]
	s_wait_loadcnt_dscnt 0x801
	v_mul_f64_e32 v[132:133], v[8:9], v[116:117]
	v_mul_f64_e32 v[116:117], v[10:11], v[116:117]
	s_wait_loadcnt_dscnt 0x700
	v_mul_f64_e32 v[126:127], v[80:81], v[88:89]
	v_mul_f64_e32 v[88:89], v[82:83], v[88:89]
	v_add_f64_e32 v[4:5], v[4:5], v[84:85]
	v_add_f64_e32 v[84:85], v[130:131], v[138:139]
	v_fmac_f64_e32 v[132:133], v[10:11], v[114:115]
	v_fma_f64 v[128:129], v[8:9], v[114:115], -v[116:117]
	ds_load_b128 v[8:11], v2 offset:912
	ds_load_b128 v[114:117], v2 offset:928
	v_fmac_f64_e32 v[126:127], v[82:83], v[86:87]
	v_fma_f64 v[80:81], v[80:81], v[86:87], -v[88:89]
	v_add_f64_e32 v[4:5], v[4:5], v[78:79]
	v_add_f64_e32 v[12:13], v[84:85], v[12:13]
	s_wait_loadcnt_dscnt 0x601
	v_mul_f64_e32 v[84:85], v[8:9], v[92:93]
	v_mul_f64_e32 v[78:79], v[10:11], v[92:93]
	s_wait_loadcnt_dscnt 0x500
	v_mul_f64_e32 v[82:83], v[114:115], v[96:97]
	v_mul_f64_e32 v[86:87], v[116:117], v[96:97]
	v_add_f64_e32 v[4:5], v[4:5], v[128:129]
	v_add_f64_e32 v[12:13], v[12:13], v[132:133]
	v_fmac_f64_e32 v[84:85], v[10:11], v[90:91]
	v_fma_f64 v[88:89], v[8:9], v[90:91], -v[78:79]
	v_fmac_f64_e32 v[82:83], v[116:117], v[94:95]
	v_fma_f64 v[86:87], v[114:115], v[94:95], -v[86:87]
	v_add_f64_e32 v[4:5], v[4:5], v[80:81]
	v_add_f64_e32 v[12:13], v[12:13], v[126:127]
	ds_load_b128 v[8:11], v2 offset:944
	ds_load_b128 v[78:81], v2 offset:960
	s_wait_loadcnt_dscnt 0x401
	v_mul_f64_e32 v[90:91], v[8:9], v[100:101]
	v_mul_f64_e32 v[92:93], v[10:11], v[100:101]
	s_wait_loadcnt_dscnt 0x300
	v_mul_f64_e32 v[94:95], v[80:81], v[104:105]
	v_add_f64_e32 v[4:5], v[4:5], v[88:89]
	v_add_f64_e32 v[12:13], v[12:13], v[84:85]
	v_mul_f64_e32 v[88:89], v[78:79], v[104:105]
	v_fmac_f64_e32 v[90:91], v[10:11], v[98:99]
	v_fma_f64 v[92:93], v[8:9], v[98:99], -v[92:93]
	v_fma_f64 v[78:79], v[78:79], v[102:103], -v[94:95]
	v_add_f64_e32 v[4:5], v[4:5], v[86:87]
	v_add_f64_e32 v[12:13], v[12:13], v[82:83]
	ds_load_b128 v[8:11], v2 offset:976
	ds_load_b128 v[82:85], v2 offset:992
	v_fmac_f64_e32 v[88:89], v[80:81], v[102:103]
	s_wait_loadcnt_dscnt 0x201
	v_mul_f64_e32 v[86:87], v[8:9], v[108:109]
	v_mul_f64_e32 v[96:97], v[10:11], v[108:109]
	s_wait_loadcnt_dscnt 0x100
	v_mul_f64_e32 v[80:81], v[82:83], v[112:113]
	v_add_f64_e32 v[4:5], v[4:5], v[92:93]
	v_add_f64_e32 v[12:13], v[12:13], v[90:91]
	v_mul_f64_e32 v[90:91], v[84:85], v[112:113]
	v_fmac_f64_e32 v[86:87], v[10:11], v[106:107]
	v_fma_f64 v[92:93], v[8:9], v[106:107], -v[96:97]
	ds_load_b128 v[8:11], v2 offset:1008
	v_fmac_f64_e32 v[80:81], v[84:85], v[110:111]
	v_add_f64_e32 v[4:5], v[4:5], v[78:79]
	v_add_f64_e32 v[12:13], v[12:13], v[88:89]
	v_fma_f64 v[82:83], v[82:83], v[110:111], -v[90:91]
	s_wait_loadcnt_dscnt 0x0
	v_mul_f64_e32 v[78:79], v[8:9], v[120:121]
	v_mul_f64_e32 v[88:89], v[10:11], v[120:121]
	v_add_f64_e32 v[4:5], v[4:5], v[92:93]
	v_add_f64_e32 v[12:13], v[12:13], v[86:87]
	s_delay_alu instid0(VALU_DEP_4) | instskip(NEXT) | instid1(VALU_DEP_4)
	v_fmac_f64_e32 v[78:79], v[10:11], v[118:119]
	v_fma_f64 v[8:9], v[8:9], v[118:119], -v[88:89]
	s_delay_alu instid0(VALU_DEP_4) | instskip(NEXT) | instid1(VALU_DEP_4)
	v_add_f64_e32 v[4:5], v[4:5], v[82:83]
	v_add_f64_e32 v[10:11], v[12:13], v[80:81]
	s_delay_alu instid0(VALU_DEP_2) | instskip(NEXT) | instid1(VALU_DEP_2)
	v_add_f64_e32 v[4:5], v[4:5], v[8:9]
	v_add_f64_e32 v[10:11], v[10:11], v[78:79]
	s_delay_alu instid0(VALU_DEP_2) | instskip(NEXT) | instid1(VALU_DEP_2)
	v_add_f64_e64 v[8:9], v[122:123], -v[4:5]
	v_add_f64_e64 v[10:11], v[124:125], -v[10:11]
	scratch_store_b128 off, v[8:11], off offset:128
	s_wait_xcnt 0x0
	v_cmpx_lt_u32_e32 7, v1
	s_cbranch_execz .LBB31_191
; %bb.190:
	scratch_load_b128 v[8:11], off, s40
	v_dual_mov_b32 v3, v2 :: v_dual_mov_b32 v4, v2
	v_mov_b32_e32 v5, v2
	scratch_store_b128 off, v[2:5], off offset:112
	s_wait_loadcnt 0x0
	ds_store_b128 v6, v[8:11]
.LBB31_191:
	s_wait_xcnt 0x0
	s_or_b32 exec_lo, exec_lo, s2
	s_wait_storecnt_dscnt 0x0
	s_barrier_signal -1
	s_barrier_wait -1
	s_clause 0x9
	scratch_load_b128 v[8:11], off, off offset:128
	scratch_load_b128 v[78:81], off, off offset:144
	;; [unrolled: 1-line block ×10, first 2 shown]
	ds_load_b128 v[114:117], v2 offset:640
	ds_load_b128 v[122:125], v2 offset:656
	s_clause 0x1
	scratch_load_b128 v[118:121], off, off offset:288
	scratch_load_b128 v[126:129], off, off offset:112
	s_mov_b32 s2, exec_lo
	s_wait_loadcnt_dscnt 0xb01
	v_mul_f64_e32 v[4:5], v[116:117], v[10:11]
	v_mul_f64_e32 v[138:139], v[114:115], v[10:11]
	scratch_load_b128 v[10:13], off, off offset:304
	s_wait_loadcnt_dscnt 0xb00
	v_mul_f64_e32 v[140:141], v[122:123], v[80:81]
	v_mul_f64_e32 v[80:81], v[124:125], v[80:81]
	v_fma_f64 v[4:5], v[114:115], v[8:9], -v[4:5]
	v_fmac_f64_e32 v[138:139], v[116:117], v[8:9]
	ds_load_b128 v[114:117], v2 offset:672
	ds_load_b128 v[130:133], v2 offset:688
	scratch_load_b128 v[134:137], off, off offset:320
	v_fmac_f64_e32 v[140:141], v[124:125], v[78:79]
	v_fma_f64 v[122:123], v[122:123], v[78:79], -v[80:81]
	scratch_load_b128 v[78:81], off, off offset:336
	s_wait_loadcnt_dscnt 0xc01
	v_mul_f64_e32 v[8:9], v[114:115], v[84:85]
	v_mul_f64_e32 v[84:85], v[116:117], v[84:85]
	v_add_f64_e32 v[4:5], 0, v[4:5]
	v_add_f64_e32 v[124:125], 0, v[138:139]
	s_wait_loadcnt_dscnt 0xb00
	v_mul_f64_e32 v[138:139], v[130:131], v[88:89]
	v_mul_f64_e32 v[88:89], v[132:133], v[88:89]
	v_fmac_f64_e32 v[8:9], v[116:117], v[82:83]
	v_fma_f64 v[142:143], v[114:115], v[82:83], -v[84:85]
	ds_load_b128 v[82:85], v2 offset:704
	ds_load_b128 v[114:117], v2 offset:720
	v_add_f64_e32 v[4:5], v[4:5], v[122:123]
	v_add_f64_e32 v[140:141], v[124:125], v[140:141]
	scratch_load_b128 v[122:125], off, off offset:352
	v_fmac_f64_e32 v[138:139], v[132:133], v[86:87]
	v_fma_f64 v[130:131], v[130:131], v[86:87], -v[88:89]
	scratch_load_b128 v[86:89], off, off offset:368
	s_wait_loadcnt_dscnt 0xc01
	v_mul_f64_e32 v[144:145], v[82:83], v[92:93]
	v_mul_f64_e32 v[92:93], v[84:85], v[92:93]
	v_add_f64_e32 v[4:5], v[4:5], v[142:143]
	v_add_f64_e32 v[8:9], v[140:141], v[8:9]
	s_wait_loadcnt_dscnt 0xb00
	v_mul_f64_e32 v[140:141], v[114:115], v[96:97]
	v_mul_f64_e32 v[96:97], v[116:117], v[96:97]
	v_fmac_f64_e32 v[144:145], v[84:85], v[90:91]
	v_fma_f64 v[142:143], v[82:83], v[90:91], -v[92:93]
	ds_load_b128 v[82:85], v2 offset:736
	ds_load_b128 v[90:93], v2 offset:752
	v_add_f64_e32 v[4:5], v[4:5], v[130:131]
	v_add_f64_e32 v[8:9], v[8:9], v[138:139]
	scratch_load_b128 v[130:133], off, off offset:384
	s_wait_loadcnt_dscnt 0xb01
	v_mul_f64_e32 v[138:139], v[82:83], v[100:101]
	v_mul_f64_e32 v[100:101], v[84:85], v[100:101]
	v_fmac_f64_e32 v[140:141], v[116:117], v[94:95]
	v_fma_f64 v[114:115], v[114:115], v[94:95], -v[96:97]
	scratch_load_b128 v[94:97], off, off offset:400
	v_add_f64_e32 v[4:5], v[4:5], v[142:143]
	v_add_f64_e32 v[8:9], v[8:9], v[144:145]
	s_wait_loadcnt_dscnt 0xb00
	v_mul_f64_e32 v[142:143], v[90:91], v[104:105]
	v_mul_f64_e32 v[104:105], v[92:93], v[104:105]
	v_fmac_f64_e32 v[138:139], v[84:85], v[98:99]
	v_fma_f64 v[144:145], v[82:83], v[98:99], -v[100:101]
	ds_load_b128 v[82:85], v2 offset:768
	ds_load_b128 v[98:101], v2 offset:784
	v_add_f64_e32 v[4:5], v[4:5], v[114:115]
	v_add_f64_e32 v[8:9], v[8:9], v[140:141]
	scratch_load_b128 v[114:117], off, off offset:416
	s_wait_loadcnt_dscnt 0xb01
	v_mul_f64_e32 v[140:141], v[82:83], v[108:109]
	v_mul_f64_e32 v[108:109], v[84:85], v[108:109]
	v_fmac_f64_e32 v[142:143], v[92:93], v[102:103]
	v_fma_f64 v[102:103], v[90:91], v[102:103], -v[104:105]
	scratch_load_b128 v[90:93], off, off offset:432
	v_add_f64_e32 v[4:5], v[4:5], v[144:145]
	v_add_f64_e32 v[8:9], v[8:9], v[138:139]
	s_wait_loadcnt_dscnt 0xb00
	v_mul_f64_e32 v[138:139], v[98:99], v[112:113]
	v_mul_f64_e32 v[112:113], v[100:101], v[112:113]
	v_fmac_f64_e32 v[140:141], v[84:85], v[106:107]
	v_fma_f64 v[144:145], v[82:83], v[106:107], -v[108:109]
	v_add_f64_e32 v[4:5], v[4:5], v[102:103]
	v_add_f64_e32 v[8:9], v[8:9], v[142:143]
	ds_load_b128 v[82:85], v2 offset:800
	ds_load_b128 v[102:105], v2 offset:816
	scratch_load_b128 v[106:109], off, off offset:448
	v_fmac_f64_e32 v[138:139], v[100:101], v[110:111]
	v_fma_f64 v[110:111], v[98:99], v[110:111], -v[112:113]
	scratch_load_b128 v[98:101], off, off offset:464
	s_wait_loadcnt_dscnt 0xc01
	v_mul_f64_e32 v[142:143], v[82:83], v[120:121]
	v_mul_f64_e32 v[120:121], v[84:85], v[120:121]
	v_add_f64_e32 v[4:5], v[4:5], v[144:145]
	v_add_f64_e32 v[8:9], v[8:9], v[140:141]
	s_wait_loadcnt_dscnt 0xa00
	v_mul_f64_e32 v[140:141], v[102:103], v[12:13]
	v_mul_f64_e32 v[12:13], v[104:105], v[12:13]
	v_fmac_f64_e32 v[142:143], v[84:85], v[118:119]
	v_fma_f64 v[144:145], v[82:83], v[118:119], -v[120:121]
	v_add_f64_e32 v[4:5], v[4:5], v[110:111]
	v_add_f64_e32 v[8:9], v[8:9], v[138:139]
	ds_load_b128 v[82:85], v2 offset:832
	ds_load_b128 v[110:113], v2 offset:848
	scratch_load_b128 v[118:121], off, off offset:480
	v_fmac_f64_e32 v[140:141], v[104:105], v[10:11]
	v_fma_f64 v[12:13], v[102:103], v[10:11], -v[12:13]
	s_wait_loadcnt_dscnt 0xa01
	v_mul_f64_e32 v[138:139], v[82:83], v[136:137]
	v_mul_f64_e32 v[136:137], v[84:85], v[136:137]
	v_add_f64_e32 v[4:5], v[4:5], v[144:145]
	v_add_f64_e32 v[102:103], v[8:9], v[142:143]
	scratch_load_b128 v[8:11], off, off offset:496
	s_wait_loadcnt_dscnt 0xa00
	v_mul_f64_e32 v[142:143], v[110:111], v[80:81]
	v_mul_f64_e32 v[144:145], v[112:113], v[80:81]
	v_fmac_f64_e32 v[138:139], v[84:85], v[134:135]
	v_fma_f64 v[84:85], v[82:83], v[134:135], -v[136:137]
	v_add_f64_e32 v[4:5], v[4:5], v[12:13]
	v_add_f64_e32 v[12:13], v[102:103], v[140:141]
	ds_load_b128 v[80:83], v2 offset:864
	ds_load_b128 v[102:105], v2 offset:880
	v_fmac_f64_e32 v[142:143], v[112:113], v[78:79]
	v_fma_f64 v[78:79], v[110:111], v[78:79], -v[144:145]
	s_wait_loadcnt_dscnt 0x901
	v_mul_f64_e32 v[134:135], v[80:81], v[124:125]
	v_mul_f64_e32 v[124:125], v[82:83], v[124:125]
	s_wait_loadcnt_dscnt 0x800
	v_mul_f64_e32 v[110:111], v[102:103], v[88:89]
	v_mul_f64_e32 v[88:89], v[104:105], v[88:89]
	v_add_f64_e32 v[4:5], v[4:5], v[84:85]
	v_add_f64_e32 v[12:13], v[12:13], v[138:139]
	v_fmac_f64_e32 v[134:135], v[82:83], v[122:123]
	v_fma_f64 v[112:113], v[80:81], v[122:123], -v[124:125]
	v_fmac_f64_e32 v[110:111], v[104:105], v[86:87]
	v_fma_f64 v[86:87], v[102:103], v[86:87], -v[88:89]
	v_add_f64_e32 v[4:5], v[4:5], v[78:79]
	v_add_f64_e32 v[12:13], v[12:13], v[142:143]
	ds_load_b128 v[78:81], v2 offset:896
	ds_load_b128 v[82:85], v2 offset:912
	s_wait_loadcnt_dscnt 0x701
	v_mul_f64_e32 v[122:123], v[78:79], v[132:133]
	v_mul_f64_e32 v[124:125], v[80:81], v[132:133]
	s_wait_loadcnt_dscnt 0x600
	v_mul_f64_e32 v[102:103], v[82:83], v[96:97]
	v_mul_f64_e32 v[96:97], v[84:85], v[96:97]
	v_add_f64_e32 v[4:5], v[4:5], v[112:113]
	v_add_f64_e32 v[12:13], v[12:13], v[134:135]
	v_fmac_f64_e32 v[122:123], v[80:81], v[130:131]
	v_fma_f64 v[104:105], v[78:79], v[130:131], -v[124:125]
	v_fmac_f64_e32 v[102:103], v[84:85], v[94:95]
	v_fma_f64 v[82:83], v[82:83], v[94:95], -v[96:97]
	v_add_f64_e32 v[4:5], v[4:5], v[86:87]
	v_add_f64_e32 v[12:13], v[12:13], v[110:111]
	ds_load_b128 v[78:81], v2 offset:928
	ds_load_b128 v[86:89], v2 offset:944
	;; [unrolled: 16-line block ×4, first 2 shown]
	s_wait_loadcnt_dscnt 0x101
	v_mul_f64_e32 v[94:95], v[78:79], v[120:121]
	v_mul_f64_e32 v[96:97], v[80:81], v[120:121]
	v_add_f64_e32 v[84:85], v[86:87], v[92:93]
	v_add_f64_e32 v[12:13], v[12:13], v[102:103]
	s_wait_loadcnt_dscnt 0x0
	v_mul_f64_e32 v[86:87], v[2:3], v[10:11]
	v_mul_f64_e32 v[10:11], v[4:5], v[10:11]
	v_fmac_f64_e32 v[94:95], v[80:81], v[118:119]
	v_fma_f64 v[78:79], v[78:79], v[118:119], -v[96:97]
	v_add_f64_e32 v[80:81], v[84:85], v[82:83]
	v_add_f64_e32 v[12:13], v[12:13], v[88:89]
	v_fmac_f64_e32 v[86:87], v[4:5], v[8:9]
	v_fma_f64 v[2:3], v[2:3], v[8:9], -v[10:11]
	s_delay_alu instid0(VALU_DEP_4) | instskip(NEXT) | instid1(VALU_DEP_4)
	v_add_f64_e32 v[4:5], v[80:81], v[78:79]
	v_add_f64_e32 v[8:9], v[12:13], v[94:95]
	s_delay_alu instid0(VALU_DEP_2) | instskip(NEXT) | instid1(VALU_DEP_2)
	v_add_f64_e32 v[2:3], v[4:5], v[2:3]
	v_add_f64_e32 v[4:5], v[8:9], v[86:87]
	s_delay_alu instid0(VALU_DEP_2) | instskip(NEXT) | instid1(VALU_DEP_2)
	v_add_f64_e64 v[2:3], v[126:127], -v[2:3]
	v_add_f64_e64 v[4:5], v[128:129], -v[4:5]
	scratch_store_b128 off, v[2:5], off offset:112
	s_wait_xcnt 0x0
	v_cmpx_lt_u32_e32 6, v1
	s_cbranch_execz .LBB31_193
; %bb.192:
	scratch_load_b128 v[2:5], off, s37
	v_mov_b32_e32 v8, 0
	s_delay_alu instid0(VALU_DEP_1)
	v_dual_mov_b32 v9, v8 :: v_dual_mov_b32 v10, v8
	v_mov_b32_e32 v11, v8
	scratch_store_b128 off, v[8:11], off offset:96
	s_wait_loadcnt 0x0
	ds_store_b128 v6, v[2:5]
.LBB31_193:
	s_wait_xcnt 0x0
	s_or_b32 exec_lo, exec_lo, s2
	s_wait_storecnt_dscnt 0x0
	s_barrier_signal -1
	s_barrier_wait -1
	s_clause 0x9
	scratch_load_b128 v[8:11], off, off offset:112
	scratch_load_b128 v[78:81], off, off offset:128
	;; [unrolled: 1-line block ×10, first 2 shown]
	v_mov_b32_e32 v2, 0
	s_mov_b32 s2, exec_lo
	ds_load_b128 v[114:117], v2 offset:624
	s_clause 0x2
	scratch_load_b128 v[118:121], off, off offset:272
	scratch_load_b128 v[122:125], off, off offset:96
	;; [unrolled: 1-line block ×3, first 2 shown]
	s_wait_loadcnt_dscnt 0xc00
	v_mul_f64_e32 v[4:5], v[116:117], v[10:11]
	v_mul_f64_e32 v[138:139], v[114:115], v[10:11]
	ds_load_b128 v[126:129], v2 offset:640
	scratch_load_b128 v[10:13], off, off offset:288
	ds_load_b128 v[134:137], v2 offset:672
	v_fma_f64 v[4:5], v[114:115], v[8:9], -v[4:5]
	v_fmac_f64_e32 v[138:139], v[116:117], v[8:9]
	ds_load_b128 v[114:117], v2 offset:656
	s_wait_loadcnt_dscnt 0xc02
	v_mul_f64_e32 v[140:141], v[126:127], v[80:81]
	v_mul_f64_e32 v[80:81], v[128:129], v[80:81]
	s_wait_loadcnt_dscnt 0xb00
	v_mul_f64_e32 v[8:9], v[114:115], v[84:85]
	v_mul_f64_e32 v[84:85], v[116:117], v[84:85]
	v_add_f64_e32 v[4:5], 0, v[4:5]
	v_fmac_f64_e32 v[140:141], v[128:129], v[78:79]
	v_fma_f64 v[126:127], v[126:127], v[78:79], -v[80:81]
	v_add_f64_e32 v[128:129], 0, v[138:139]
	scratch_load_b128 v[78:81], off, off offset:320
	v_fmac_f64_e32 v[8:9], v[116:117], v[82:83]
	v_fma_f64 v[142:143], v[114:115], v[82:83], -v[84:85]
	ds_load_b128 v[82:85], v2 offset:688
	s_wait_loadcnt 0xb
	v_mul_f64_e32 v[138:139], v[134:135], v[88:89]
	v_mul_f64_e32 v[88:89], v[136:137], v[88:89]
	scratch_load_b128 v[114:117], off, off offset:336
	v_add_f64_e32 v[4:5], v[4:5], v[126:127]
	v_add_f64_e32 v[140:141], v[128:129], v[140:141]
	ds_load_b128 v[126:129], v2 offset:704
	s_wait_loadcnt_dscnt 0xb01
	v_mul_f64_e32 v[144:145], v[82:83], v[92:93]
	v_mul_f64_e32 v[92:93], v[84:85], v[92:93]
	v_fmac_f64_e32 v[138:139], v[136:137], v[86:87]
	v_fma_f64 v[134:135], v[134:135], v[86:87], -v[88:89]
	scratch_load_b128 v[86:89], off, off offset:352
	v_add_f64_e32 v[4:5], v[4:5], v[142:143]
	v_add_f64_e32 v[8:9], v[140:141], v[8:9]
	v_fmac_f64_e32 v[144:145], v[84:85], v[90:91]
	v_fma_f64 v[142:143], v[82:83], v[90:91], -v[92:93]
	ds_load_b128 v[82:85], v2 offset:720
	s_wait_loadcnt_dscnt 0xb01
	v_mul_f64_e32 v[140:141], v[126:127], v[96:97]
	v_mul_f64_e32 v[96:97], v[128:129], v[96:97]
	scratch_load_b128 v[90:93], off, off offset:368
	v_add_f64_e32 v[4:5], v[4:5], v[134:135]
	v_add_f64_e32 v[8:9], v[8:9], v[138:139]
	s_wait_loadcnt_dscnt 0xb00
	v_mul_f64_e32 v[138:139], v[82:83], v[100:101]
	v_mul_f64_e32 v[100:101], v[84:85], v[100:101]
	ds_load_b128 v[134:137], v2 offset:736
	v_fmac_f64_e32 v[140:141], v[128:129], v[94:95]
	v_fma_f64 v[126:127], v[126:127], v[94:95], -v[96:97]
	scratch_load_b128 v[94:97], off, off offset:384
	v_add_f64_e32 v[4:5], v[4:5], v[142:143]
	v_add_f64_e32 v[8:9], v[8:9], v[144:145]
	v_fmac_f64_e32 v[138:139], v[84:85], v[98:99]
	v_fma_f64 v[144:145], v[82:83], v[98:99], -v[100:101]
	ds_load_b128 v[82:85], v2 offset:752
	s_wait_loadcnt_dscnt 0xb01
	v_mul_f64_e32 v[142:143], v[134:135], v[104:105]
	v_mul_f64_e32 v[104:105], v[136:137], v[104:105]
	scratch_load_b128 v[98:101], off, off offset:400
	v_add_f64_e32 v[4:5], v[4:5], v[126:127]
	v_add_f64_e32 v[8:9], v[8:9], v[140:141]
	s_wait_loadcnt_dscnt 0xb00
	v_mul_f64_e32 v[140:141], v[82:83], v[108:109]
	v_mul_f64_e32 v[108:109], v[84:85], v[108:109]
	ds_load_b128 v[126:129], v2 offset:768
	;; [unrolled: 18-line block ×3, first 2 shown]
	v_fmac_f64_e32 v[138:139], v[128:129], v[110:111]
	v_fma_f64 v[126:127], v[126:127], v[110:111], -v[112:113]
	scratch_load_b128 v[110:113], off, off offset:448
	v_add_f64_e32 v[4:5], v[4:5], v[144:145]
	v_add_f64_e32 v[8:9], v[8:9], v[140:141]
	v_fmac_f64_e32 v[142:143], v[84:85], v[118:119]
	v_fma_f64 v[144:145], v[82:83], v[118:119], -v[120:121]
	ds_load_b128 v[82:85], v2 offset:816
	s_wait_loadcnt_dscnt 0x901
	v_mul_f64_e32 v[140:141], v[134:135], v[12:13]
	v_mul_f64_e32 v[12:13], v[136:137], v[12:13]
	scratch_load_b128 v[118:121], off, off offset:464
	v_add_f64_e32 v[4:5], v[4:5], v[126:127]
	v_add_f64_e32 v[8:9], v[8:9], v[138:139]
	s_wait_dscnt 0x0
	v_mul_f64_e32 v[138:139], v[82:83], v[132:133]
	v_mul_f64_e32 v[132:133], v[84:85], v[132:133]
	ds_load_b128 v[126:129], v2 offset:832
	v_fmac_f64_e32 v[140:141], v[136:137], v[10:11]
	v_fma_f64 v[12:13], v[134:135], v[10:11], -v[12:13]
	v_add_f64_e32 v[4:5], v[4:5], v[144:145]
	v_add_f64_e32 v[134:135], v[8:9], v[142:143]
	scratch_load_b128 v[8:11], off, off offset:480
	v_fmac_f64_e32 v[138:139], v[84:85], v[130:131]
	v_fma_f64 v[84:85], v[82:83], v[130:131], -v[132:133]
	scratch_load_b128 v[130:133], off, off offset:496
	v_add_f64_e32 v[4:5], v[4:5], v[12:13]
	v_add_f64_e32 v[12:13], v[134:135], v[140:141]
	ds_load_b128 v[134:137], v2 offset:864
	s_wait_loadcnt_dscnt 0xb01
	v_mul_f64_e32 v[142:143], v[126:127], v[80:81]
	v_mul_f64_e32 v[144:145], v[128:129], v[80:81]
	ds_load_b128 v[80:83], v2 offset:848
	s_wait_loadcnt_dscnt 0xa00
	v_mul_f64_e32 v[140:141], v[80:81], v[116:117]
	v_mul_f64_e32 v[116:117], v[82:83], v[116:117]
	v_add_f64_e32 v[4:5], v[4:5], v[84:85]
	v_add_f64_e32 v[12:13], v[12:13], v[138:139]
	v_fmac_f64_e32 v[142:143], v[128:129], v[78:79]
	v_fma_f64 v[78:79], v[126:127], v[78:79], -v[144:145]
	s_wait_loadcnt 0x9
	v_mul_f64_e32 v[126:127], v[134:135], v[88:89]
	v_mul_f64_e32 v[88:89], v[136:137], v[88:89]
	v_fmac_f64_e32 v[140:141], v[82:83], v[114:115]
	v_fma_f64 v[114:115], v[80:81], v[114:115], -v[116:117]
	v_add_f64_e32 v[12:13], v[12:13], v[142:143]
	v_add_f64_e32 v[4:5], v[4:5], v[78:79]
	ds_load_b128 v[78:81], v2 offset:880
	ds_load_b128 v[82:85], v2 offset:896
	v_fmac_f64_e32 v[126:127], v[136:137], v[86:87]
	v_fma_f64 v[86:87], v[134:135], v[86:87], -v[88:89]
	s_wait_loadcnt_dscnt 0x801
	v_mul_f64_e32 v[116:117], v[78:79], v[92:93]
	v_mul_f64_e32 v[92:93], v[80:81], v[92:93]
	v_add_f64_e32 v[12:13], v[12:13], v[140:141]
	v_add_f64_e32 v[4:5], v[4:5], v[114:115]
	s_wait_loadcnt_dscnt 0x700
	v_mul_f64_e32 v[114:115], v[82:83], v[96:97]
	v_mul_f64_e32 v[96:97], v[84:85], v[96:97]
	v_fmac_f64_e32 v[116:117], v[80:81], v[90:91]
	v_fma_f64 v[90:91], v[78:79], v[90:91], -v[92:93]
	v_add_f64_e32 v[12:13], v[12:13], v[126:127]
	v_add_f64_e32 v[4:5], v[4:5], v[86:87]
	ds_load_b128 v[78:81], v2 offset:912
	ds_load_b128 v[86:89], v2 offset:928
	v_fmac_f64_e32 v[114:115], v[84:85], v[94:95]
	v_fma_f64 v[82:83], v[82:83], v[94:95], -v[96:97]
	s_wait_loadcnt_dscnt 0x601
	v_mul_f64_e32 v[92:93], v[78:79], v[100:101]
	v_mul_f64_e32 v[100:101], v[80:81], v[100:101]
	s_wait_loadcnt_dscnt 0x500
	v_mul_f64_e32 v[94:95], v[88:89], v[104:105]
	v_add_f64_e32 v[12:13], v[12:13], v[116:117]
	v_add_f64_e32 v[4:5], v[4:5], v[90:91]
	v_mul_f64_e32 v[90:91], v[86:87], v[104:105]
	v_fmac_f64_e32 v[92:93], v[80:81], v[98:99]
	v_fma_f64 v[96:97], v[78:79], v[98:99], -v[100:101]
	v_fma_f64 v[86:87], v[86:87], v[102:103], -v[94:95]
	v_add_f64_e32 v[12:13], v[12:13], v[114:115]
	v_add_f64_e32 v[4:5], v[4:5], v[82:83]
	ds_load_b128 v[78:81], v2 offset:944
	ds_load_b128 v[82:85], v2 offset:960
	v_fmac_f64_e32 v[90:91], v[88:89], v[102:103]
	s_wait_loadcnt_dscnt 0x401
	v_mul_f64_e32 v[98:99], v[78:79], v[108:109]
	v_mul_f64_e32 v[100:101], v[80:81], v[108:109]
	s_wait_loadcnt_dscnt 0x300
	v_mul_f64_e32 v[94:95], v[84:85], v[112:113]
	v_add_f64_e32 v[12:13], v[12:13], v[92:93]
	v_add_f64_e32 v[4:5], v[4:5], v[96:97]
	v_mul_f64_e32 v[92:93], v[82:83], v[112:113]
	v_fmac_f64_e32 v[98:99], v[80:81], v[106:107]
	v_fma_f64 v[96:97], v[78:79], v[106:107], -v[100:101]
	v_fma_f64 v[82:83], v[82:83], v[110:111], -v[94:95]
	v_add_f64_e32 v[12:13], v[12:13], v[90:91]
	v_add_f64_e32 v[4:5], v[4:5], v[86:87]
	ds_load_b128 v[78:81], v2 offset:976
	ds_load_b128 v[86:89], v2 offset:992
	v_fmac_f64_e32 v[92:93], v[84:85], v[110:111]
	s_wait_loadcnt_dscnt 0x201
	v_mul_f64_e32 v[90:91], v[78:79], v[120:121]
	v_mul_f64_e32 v[100:101], v[80:81], v[120:121]
	s_wait_loadcnt_dscnt 0x100
	v_mul_f64_e32 v[84:85], v[86:87], v[10:11]
	v_add_f64_e32 v[12:13], v[12:13], v[98:99]
	v_add_f64_e32 v[4:5], v[4:5], v[96:97]
	v_mul_f64_e32 v[94:95], v[88:89], v[10:11]
	v_fmac_f64_e32 v[90:91], v[80:81], v[118:119]
	v_fma_f64 v[78:79], v[78:79], v[118:119], -v[100:101]
	v_fmac_f64_e32 v[84:85], v[88:89], v[8:9]
	v_add_f64_e32 v[80:81], v[12:13], v[92:93]
	v_add_f64_e32 v[4:5], v[4:5], v[82:83]
	ds_load_b128 v[10:13], v2 offset:1008
	v_fma_f64 v[8:9], v[86:87], v[8:9], -v[94:95]
	s_wait_loadcnt_dscnt 0x0
	v_mul_f64_e32 v[82:83], v[10:11], v[132:133]
	v_mul_f64_e32 v[92:93], v[12:13], v[132:133]
	v_add_f64_e32 v[4:5], v[4:5], v[78:79]
	v_add_f64_e32 v[78:79], v[80:81], v[90:91]
	s_delay_alu instid0(VALU_DEP_4) | instskip(NEXT) | instid1(VALU_DEP_4)
	v_fmac_f64_e32 v[82:83], v[12:13], v[130:131]
	v_fma_f64 v[10:11], v[10:11], v[130:131], -v[92:93]
	s_delay_alu instid0(VALU_DEP_4) | instskip(NEXT) | instid1(VALU_DEP_4)
	v_add_f64_e32 v[4:5], v[4:5], v[8:9]
	v_add_f64_e32 v[8:9], v[78:79], v[84:85]
	s_delay_alu instid0(VALU_DEP_2) | instskip(NEXT) | instid1(VALU_DEP_2)
	v_add_f64_e32 v[4:5], v[4:5], v[10:11]
	v_add_f64_e32 v[10:11], v[8:9], v[82:83]
	s_delay_alu instid0(VALU_DEP_2) | instskip(NEXT) | instid1(VALU_DEP_2)
	v_add_f64_e64 v[8:9], v[122:123], -v[4:5]
	v_add_f64_e64 v[10:11], v[124:125], -v[10:11]
	scratch_store_b128 off, v[8:11], off offset:96
	s_wait_xcnt 0x0
	v_cmpx_lt_u32_e32 5, v1
	s_cbranch_execz .LBB31_195
; %bb.194:
	scratch_load_b128 v[8:11], off, s35
	v_dual_mov_b32 v3, v2 :: v_dual_mov_b32 v4, v2
	v_mov_b32_e32 v5, v2
	scratch_store_b128 off, v[2:5], off offset:80
	s_wait_loadcnt 0x0
	ds_store_b128 v6, v[8:11]
.LBB31_195:
	s_wait_xcnt 0x0
	s_or_b32 exec_lo, exec_lo, s2
	s_wait_storecnt_dscnt 0x0
	s_barrier_signal -1
	s_barrier_wait -1
	s_clause 0x9
	scratch_load_b128 v[8:11], off, off offset:96
	scratch_load_b128 v[78:81], off, off offset:112
	;; [unrolled: 1-line block ×10, first 2 shown]
	ds_load_b128 v[114:117], v2 offset:608
	ds_load_b128 v[122:125], v2 offset:624
	s_clause 0x1
	scratch_load_b128 v[118:121], off, off offset:256
	scratch_load_b128 v[126:129], off, off offset:80
	s_mov_b32 s2, exec_lo
	s_wait_loadcnt_dscnt 0xb01
	v_mul_f64_e32 v[4:5], v[116:117], v[10:11]
	v_mul_f64_e32 v[138:139], v[114:115], v[10:11]
	scratch_load_b128 v[10:13], off, off offset:272
	s_wait_loadcnt_dscnt 0xb00
	v_mul_f64_e32 v[140:141], v[122:123], v[80:81]
	v_mul_f64_e32 v[80:81], v[124:125], v[80:81]
	v_fma_f64 v[4:5], v[114:115], v[8:9], -v[4:5]
	v_fmac_f64_e32 v[138:139], v[116:117], v[8:9]
	ds_load_b128 v[114:117], v2 offset:640
	ds_load_b128 v[130:133], v2 offset:656
	scratch_load_b128 v[134:137], off, off offset:288
	v_fmac_f64_e32 v[140:141], v[124:125], v[78:79]
	v_fma_f64 v[122:123], v[122:123], v[78:79], -v[80:81]
	scratch_load_b128 v[78:81], off, off offset:304
	s_wait_loadcnt_dscnt 0xc01
	v_mul_f64_e32 v[8:9], v[114:115], v[84:85]
	v_mul_f64_e32 v[84:85], v[116:117], v[84:85]
	v_add_f64_e32 v[4:5], 0, v[4:5]
	v_add_f64_e32 v[124:125], 0, v[138:139]
	s_wait_loadcnt_dscnt 0xb00
	v_mul_f64_e32 v[138:139], v[130:131], v[88:89]
	v_mul_f64_e32 v[88:89], v[132:133], v[88:89]
	v_fmac_f64_e32 v[8:9], v[116:117], v[82:83]
	v_fma_f64 v[142:143], v[114:115], v[82:83], -v[84:85]
	ds_load_b128 v[82:85], v2 offset:672
	ds_load_b128 v[114:117], v2 offset:688
	v_add_f64_e32 v[4:5], v[4:5], v[122:123]
	v_add_f64_e32 v[140:141], v[124:125], v[140:141]
	scratch_load_b128 v[122:125], off, off offset:320
	v_fmac_f64_e32 v[138:139], v[132:133], v[86:87]
	v_fma_f64 v[130:131], v[130:131], v[86:87], -v[88:89]
	scratch_load_b128 v[86:89], off, off offset:336
	s_wait_loadcnt_dscnt 0xc01
	v_mul_f64_e32 v[144:145], v[82:83], v[92:93]
	v_mul_f64_e32 v[92:93], v[84:85], v[92:93]
	v_add_f64_e32 v[4:5], v[4:5], v[142:143]
	v_add_f64_e32 v[8:9], v[140:141], v[8:9]
	s_wait_loadcnt_dscnt 0xb00
	v_mul_f64_e32 v[140:141], v[114:115], v[96:97]
	v_mul_f64_e32 v[96:97], v[116:117], v[96:97]
	v_fmac_f64_e32 v[144:145], v[84:85], v[90:91]
	v_fma_f64 v[142:143], v[82:83], v[90:91], -v[92:93]
	ds_load_b128 v[82:85], v2 offset:704
	ds_load_b128 v[90:93], v2 offset:720
	v_add_f64_e32 v[4:5], v[4:5], v[130:131]
	v_add_f64_e32 v[8:9], v[8:9], v[138:139]
	scratch_load_b128 v[130:133], off, off offset:352
	s_wait_loadcnt_dscnt 0xb01
	v_mul_f64_e32 v[138:139], v[82:83], v[100:101]
	v_mul_f64_e32 v[100:101], v[84:85], v[100:101]
	v_fmac_f64_e32 v[140:141], v[116:117], v[94:95]
	v_fma_f64 v[114:115], v[114:115], v[94:95], -v[96:97]
	scratch_load_b128 v[94:97], off, off offset:368
	v_add_f64_e32 v[4:5], v[4:5], v[142:143]
	v_add_f64_e32 v[8:9], v[8:9], v[144:145]
	s_wait_loadcnt_dscnt 0xb00
	v_mul_f64_e32 v[142:143], v[90:91], v[104:105]
	v_mul_f64_e32 v[104:105], v[92:93], v[104:105]
	v_fmac_f64_e32 v[138:139], v[84:85], v[98:99]
	v_fma_f64 v[144:145], v[82:83], v[98:99], -v[100:101]
	ds_load_b128 v[82:85], v2 offset:736
	ds_load_b128 v[98:101], v2 offset:752
	v_add_f64_e32 v[4:5], v[4:5], v[114:115]
	v_add_f64_e32 v[8:9], v[8:9], v[140:141]
	scratch_load_b128 v[114:117], off, off offset:384
	s_wait_loadcnt_dscnt 0xb01
	v_mul_f64_e32 v[140:141], v[82:83], v[108:109]
	v_mul_f64_e32 v[108:109], v[84:85], v[108:109]
	v_fmac_f64_e32 v[142:143], v[92:93], v[102:103]
	v_fma_f64 v[102:103], v[90:91], v[102:103], -v[104:105]
	scratch_load_b128 v[90:93], off, off offset:400
	v_add_f64_e32 v[4:5], v[4:5], v[144:145]
	v_add_f64_e32 v[8:9], v[8:9], v[138:139]
	s_wait_loadcnt_dscnt 0xb00
	v_mul_f64_e32 v[138:139], v[98:99], v[112:113]
	v_mul_f64_e32 v[112:113], v[100:101], v[112:113]
	v_fmac_f64_e32 v[140:141], v[84:85], v[106:107]
	v_fma_f64 v[144:145], v[82:83], v[106:107], -v[108:109]
	v_add_f64_e32 v[4:5], v[4:5], v[102:103]
	v_add_f64_e32 v[8:9], v[8:9], v[142:143]
	ds_load_b128 v[82:85], v2 offset:768
	ds_load_b128 v[102:105], v2 offset:784
	scratch_load_b128 v[106:109], off, off offset:416
	v_fmac_f64_e32 v[138:139], v[100:101], v[110:111]
	v_fma_f64 v[110:111], v[98:99], v[110:111], -v[112:113]
	scratch_load_b128 v[98:101], off, off offset:432
	s_wait_loadcnt_dscnt 0xc01
	v_mul_f64_e32 v[142:143], v[82:83], v[120:121]
	v_mul_f64_e32 v[120:121], v[84:85], v[120:121]
	v_add_f64_e32 v[4:5], v[4:5], v[144:145]
	v_add_f64_e32 v[8:9], v[8:9], v[140:141]
	s_wait_loadcnt_dscnt 0xa00
	v_mul_f64_e32 v[140:141], v[102:103], v[12:13]
	v_mul_f64_e32 v[12:13], v[104:105], v[12:13]
	v_fmac_f64_e32 v[142:143], v[84:85], v[118:119]
	v_fma_f64 v[144:145], v[82:83], v[118:119], -v[120:121]
	v_add_f64_e32 v[4:5], v[4:5], v[110:111]
	v_add_f64_e32 v[8:9], v[8:9], v[138:139]
	ds_load_b128 v[82:85], v2 offset:800
	ds_load_b128 v[110:113], v2 offset:816
	scratch_load_b128 v[118:121], off, off offset:448
	v_fmac_f64_e32 v[140:141], v[104:105], v[10:11]
	v_fma_f64 v[12:13], v[102:103], v[10:11], -v[12:13]
	s_wait_loadcnt_dscnt 0xa01
	v_mul_f64_e32 v[138:139], v[82:83], v[136:137]
	v_mul_f64_e32 v[136:137], v[84:85], v[136:137]
	v_add_f64_e32 v[4:5], v[4:5], v[144:145]
	v_add_f64_e32 v[102:103], v[8:9], v[142:143]
	scratch_load_b128 v[8:11], off, off offset:464
	s_wait_loadcnt_dscnt 0xa00
	v_mul_f64_e32 v[142:143], v[110:111], v[80:81]
	v_mul_f64_e32 v[144:145], v[112:113], v[80:81]
	v_fmac_f64_e32 v[138:139], v[84:85], v[134:135]
	v_fma_f64 v[84:85], v[82:83], v[134:135], -v[136:137]
	v_add_f64_e32 v[4:5], v[4:5], v[12:13]
	v_add_f64_e32 v[12:13], v[102:103], v[140:141]
	ds_load_b128 v[80:83], v2 offset:832
	ds_load_b128 v[102:105], v2 offset:848
	scratch_load_b128 v[134:137], off, off offset:480
	v_fmac_f64_e32 v[142:143], v[112:113], v[78:79]
	v_fma_f64 v[78:79], v[110:111], v[78:79], -v[144:145]
	scratch_load_b128 v[110:113], off, off offset:496
	s_wait_loadcnt_dscnt 0xb01
	v_mul_f64_e32 v[140:141], v[80:81], v[124:125]
	v_mul_f64_e32 v[124:125], v[82:83], v[124:125]
	v_add_f64_e32 v[4:5], v[4:5], v[84:85]
	v_add_f64_e32 v[12:13], v[12:13], v[138:139]
	s_wait_loadcnt_dscnt 0xa00
	v_mul_f64_e32 v[138:139], v[102:103], v[88:89]
	v_mul_f64_e32 v[88:89], v[104:105], v[88:89]
	v_fmac_f64_e32 v[140:141], v[82:83], v[122:123]
	v_fma_f64 v[122:123], v[80:81], v[122:123], -v[124:125]
	v_add_f64_e32 v[4:5], v[4:5], v[78:79]
	v_add_f64_e32 v[12:13], v[12:13], v[142:143]
	ds_load_b128 v[78:81], v2 offset:864
	ds_load_b128 v[82:85], v2 offset:880
	v_fmac_f64_e32 v[138:139], v[104:105], v[86:87]
	v_fma_f64 v[86:87], v[102:103], v[86:87], -v[88:89]
	s_wait_loadcnt_dscnt 0x901
	v_mul_f64_e32 v[124:125], v[78:79], v[132:133]
	v_mul_f64_e32 v[132:133], v[80:81], v[132:133]
	s_wait_loadcnt_dscnt 0x800
	v_mul_f64_e32 v[102:103], v[82:83], v[96:97]
	v_mul_f64_e32 v[96:97], v[84:85], v[96:97]
	v_add_f64_e32 v[4:5], v[4:5], v[122:123]
	v_add_f64_e32 v[12:13], v[12:13], v[140:141]
	v_fmac_f64_e32 v[124:125], v[80:81], v[130:131]
	v_fma_f64 v[104:105], v[78:79], v[130:131], -v[132:133]
	v_fmac_f64_e32 v[102:103], v[84:85], v[94:95]
	v_fma_f64 v[82:83], v[82:83], v[94:95], -v[96:97]
	v_add_f64_e32 v[4:5], v[4:5], v[86:87]
	v_add_f64_e32 v[12:13], v[12:13], v[138:139]
	ds_load_b128 v[78:81], v2 offset:896
	ds_load_b128 v[86:89], v2 offset:912
	s_wait_loadcnt_dscnt 0x701
	v_mul_f64_e32 v[122:123], v[78:79], v[116:117]
	v_mul_f64_e32 v[116:117], v[80:81], v[116:117]
	s_wait_loadcnt_dscnt 0x600
	v_mul_f64_e32 v[94:95], v[86:87], v[92:93]
	v_mul_f64_e32 v[92:93], v[88:89], v[92:93]
	v_add_f64_e32 v[4:5], v[4:5], v[104:105]
	v_add_f64_e32 v[12:13], v[12:13], v[124:125]
	v_fmac_f64_e32 v[122:123], v[80:81], v[114:115]
	v_fma_f64 v[96:97], v[78:79], v[114:115], -v[116:117]
	v_fmac_f64_e32 v[94:95], v[88:89], v[90:91]
	v_fma_f64 v[86:87], v[86:87], v[90:91], -v[92:93]
	v_add_f64_e32 v[4:5], v[4:5], v[82:83]
	v_add_f64_e32 v[12:13], v[12:13], v[102:103]
	ds_load_b128 v[78:81], v2 offset:928
	ds_load_b128 v[82:85], v2 offset:944
	;; [unrolled: 16-line block ×3, first 2 shown]
	s_wait_loadcnt_dscnt 0x301
	v_mul_f64_e32 v[94:95], v[78:79], v[120:121]
	v_mul_f64_e32 v[100:101], v[80:81], v[120:121]
	v_add_f64_e32 v[4:5], v[4:5], v[96:97]
	v_add_f64_e32 v[12:13], v[12:13], v[102:103]
	s_wait_loadcnt_dscnt 0x200
	v_mul_f64_e32 v[84:85], v[86:87], v[10:11]
	v_mul_f64_e32 v[92:93], v[88:89], v[10:11]
	v_fmac_f64_e32 v[94:95], v[80:81], v[118:119]
	v_fma_f64 v[78:79], v[78:79], v[118:119], -v[100:101]
	v_add_f64_e32 v[80:81], v[4:5], v[82:83]
	v_add_f64_e32 v[82:83], v[12:13], v[90:91]
	ds_load_b128 v[10:13], v2 offset:992
	ds_load_b128 v[2:5], v2 offset:1008
	v_fmac_f64_e32 v[84:85], v[88:89], v[8:9]
	v_fma_f64 v[8:9], v[86:87], v[8:9], -v[92:93]
	s_wait_loadcnt_dscnt 0x101
	v_mul_f64_e32 v[90:91], v[10:11], v[136:137]
	v_mul_f64_e32 v[96:97], v[12:13], v[136:137]
	s_wait_loadcnt_dscnt 0x0
	v_mul_f64_e32 v[86:87], v[4:5], v[112:113]
	v_add_f64_e32 v[78:79], v[80:81], v[78:79]
	v_add_f64_e32 v[80:81], v[82:83], v[94:95]
	v_mul_f64_e32 v[82:83], v[2:3], v[112:113]
	v_fmac_f64_e32 v[90:91], v[12:13], v[134:135]
	v_fma_f64 v[10:11], v[10:11], v[134:135], -v[96:97]
	v_fma_f64 v[2:3], v[2:3], v[110:111], -v[86:87]
	v_add_f64_e32 v[8:9], v[78:79], v[8:9]
	v_add_f64_e32 v[12:13], v[80:81], v[84:85]
	v_fmac_f64_e32 v[82:83], v[4:5], v[110:111]
	s_delay_alu instid0(VALU_DEP_3) | instskip(NEXT) | instid1(VALU_DEP_3)
	v_add_f64_e32 v[4:5], v[8:9], v[10:11]
	v_add_f64_e32 v[8:9], v[12:13], v[90:91]
	s_delay_alu instid0(VALU_DEP_2) | instskip(NEXT) | instid1(VALU_DEP_2)
	v_add_f64_e32 v[2:3], v[4:5], v[2:3]
	v_add_f64_e32 v[4:5], v[8:9], v[82:83]
	s_delay_alu instid0(VALU_DEP_2) | instskip(NEXT) | instid1(VALU_DEP_2)
	v_add_f64_e64 v[2:3], v[126:127], -v[2:3]
	v_add_f64_e64 v[4:5], v[128:129], -v[4:5]
	scratch_store_b128 off, v[2:5], off offset:80
	s_wait_xcnt 0x0
	v_cmpx_lt_u32_e32 4, v1
	s_cbranch_execz .LBB31_197
; %bb.196:
	scratch_load_b128 v[2:5], off, s30
	v_mov_b32_e32 v8, 0
	s_delay_alu instid0(VALU_DEP_1)
	v_dual_mov_b32 v9, v8 :: v_dual_mov_b32 v10, v8
	v_mov_b32_e32 v11, v8
	scratch_store_b128 off, v[8:11], off offset:64
	s_wait_loadcnt 0x0
	ds_store_b128 v6, v[2:5]
.LBB31_197:
	s_wait_xcnt 0x0
	s_or_b32 exec_lo, exec_lo, s2
	s_wait_storecnt_dscnt 0x0
	s_barrier_signal -1
	s_barrier_wait -1
	s_clause 0x9
	scratch_load_b128 v[8:11], off, off offset:80
	scratch_load_b128 v[78:81], off, off offset:96
	;; [unrolled: 1-line block ×10, first 2 shown]
	v_mov_b32_e32 v2, 0
	s_mov_b32 s2, exec_lo
	ds_load_b128 v[114:117], v2 offset:592
	s_clause 0x2
	scratch_load_b128 v[118:121], off, off offset:240
	scratch_load_b128 v[122:125], off, off offset:64
	;; [unrolled: 1-line block ×3, first 2 shown]
	s_wait_loadcnt_dscnt 0xc00
	v_mul_f64_e32 v[4:5], v[116:117], v[10:11]
	v_mul_f64_e32 v[138:139], v[114:115], v[10:11]
	ds_load_b128 v[126:129], v2 offset:608
	scratch_load_b128 v[10:13], off, off offset:256
	ds_load_b128 v[134:137], v2 offset:640
	v_fma_f64 v[4:5], v[114:115], v[8:9], -v[4:5]
	v_fmac_f64_e32 v[138:139], v[116:117], v[8:9]
	ds_load_b128 v[114:117], v2 offset:624
	s_wait_loadcnt_dscnt 0xc02
	v_mul_f64_e32 v[140:141], v[126:127], v[80:81]
	v_mul_f64_e32 v[80:81], v[128:129], v[80:81]
	s_wait_loadcnt_dscnt 0xb00
	v_mul_f64_e32 v[8:9], v[114:115], v[84:85]
	v_mul_f64_e32 v[84:85], v[116:117], v[84:85]
	v_add_f64_e32 v[4:5], 0, v[4:5]
	v_fmac_f64_e32 v[140:141], v[128:129], v[78:79]
	v_fma_f64 v[126:127], v[126:127], v[78:79], -v[80:81]
	v_add_f64_e32 v[128:129], 0, v[138:139]
	scratch_load_b128 v[78:81], off, off offset:288
	v_fmac_f64_e32 v[8:9], v[116:117], v[82:83]
	v_fma_f64 v[142:143], v[114:115], v[82:83], -v[84:85]
	ds_load_b128 v[82:85], v2 offset:656
	s_wait_loadcnt 0xb
	v_mul_f64_e32 v[138:139], v[134:135], v[88:89]
	v_mul_f64_e32 v[88:89], v[136:137], v[88:89]
	scratch_load_b128 v[114:117], off, off offset:304
	v_add_f64_e32 v[4:5], v[4:5], v[126:127]
	v_add_f64_e32 v[140:141], v[128:129], v[140:141]
	ds_load_b128 v[126:129], v2 offset:672
	s_wait_loadcnt_dscnt 0xb01
	v_mul_f64_e32 v[144:145], v[82:83], v[92:93]
	v_mul_f64_e32 v[92:93], v[84:85], v[92:93]
	v_fmac_f64_e32 v[138:139], v[136:137], v[86:87]
	v_fma_f64 v[134:135], v[134:135], v[86:87], -v[88:89]
	scratch_load_b128 v[86:89], off, off offset:320
	v_add_f64_e32 v[4:5], v[4:5], v[142:143]
	v_add_f64_e32 v[8:9], v[140:141], v[8:9]
	v_fmac_f64_e32 v[144:145], v[84:85], v[90:91]
	v_fma_f64 v[142:143], v[82:83], v[90:91], -v[92:93]
	ds_load_b128 v[82:85], v2 offset:688
	s_wait_loadcnt_dscnt 0xb01
	v_mul_f64_e32 v[140:141], v[126:127], v[96:97]
	v_mul_f64_e32 v[96:97], v[128:129], v[96:97]
	scratch_load_b128 v[90:93], off, off offset:336
	v_add_f64_e32 v[4:5], v[4:5], v[134:135]
	v_add_f64_e32 v[8:9], v[8:9], v[138:139]
	s_wait_loadcnt_dscnt 0xb00
	v_mul_f64_e32 v[138:139], v[82:83], v[100:101]
	v_mul_f64_e32 v[100:101], v[84:85], v[100:101]
	ds_load_b128 v[134:137], v2 offset:704
	v_fmac_f64_e32 v[140:141], v[128:129], v[94:95]
	v_fma_f64 v[126:127], v[126:127], v[94:95], -v[96:97]
	scratch_load_b128 v[94:97], off, off offset:352
	v_add_f64_e32 v[4:5], v[4:5], v[142:143]
	v_add_f64_e32 v[8:9], v[8:9], v[144:145]
	v_fmac_f64_e32 v[138:139], v[84:85], v[98:99]
	v_fma_f64 v[144:145], v[82:83], v[98:99], -v[100:101]
	ds_load_b128 v[82:85], v2 offset:720
	s_wait_loadcnt_dscnt 0xb01
	v_mul_f64_e32 v[142:143], v[134:135], v[104:105]
	v_mul_f64_e32 v[104:105], v[136:137], v[104:105]
	scratch_load_b128 v[98:101], off, off offset:368
	v_add_f64_e32 v[4:5], v[4:5], v[126:127]
	v_add_f64_e32 v[8:9], v[8:9], v[140:141]
	s_wait_loadcnt_dscnt 0xb00
	v_mul_f64_e32 v[140:141], v[82:83], v[108:109]
	v_mul_f64_e32 v[108:109], v[84:85], v[108:109]
	ds_load_b128 v[126:129], v2 offset:736
	;; [unrolled: 18-line block ×3, first 2 shown]
	v_fmac_f64_e32 v[138:139], v[128:129], v[110:111]
	v_fma_f64 v[126:127], v[126:127], v[110:111], -v[112:113]
	scratch_load_b128 v[110:113], off, off offset:416
	v_add_f64_e32 v[4:5], v[4:5], v[144:145]
	v_add_f64_e32 v[8:9], v[8:9], v[140:141]
	v_fmac_f64_e32 v[142:143], v[84:85], v[118:119]
	v_fma_f64 v[144:145], v[82:83], v[118:119], -v[120:121]
	ds_load_b128 v[82:85], v2 offset:784
	s_wait_loadcnt_dscnt 0x901
	v_mul_f64_e32 v[140:141], v[134:135], v[12:13]
	v_mul_f64_e32 v[12:13], v[136:137], v[12:13]
	scratch_load_b128 v[118:121], off, off offset:432
	v_add_f64_e32 v[4:5], v[4:5], v[126:127]
	v_add_f64_e32 v[8:9], v[8:9], v[138:139]
	s_wait_dscnt 0x0
	v_mul_f64_e32 v[138:139], v[82:83], v[132:133]
	v_mul_f64_e32 v[132:133], v[84:85], v[132:133]
	ds_load_b128 v[126:129], v2 offset:800
	v_fmac_f64_e32 v[140:141], v[136:137], v[10:11]
	v_fma_f64 v[12:13], v[134:135], v[10:11], -v[12:13]
	v_add_f64_e32 v[4:5], v[4:5], v[144:145]
	v_add_f64_e32 v[134:135], v[8:9], v[142:143]
	scratch_load_b128 v[8:11], off, off offset:448
	v_fmac_f64_e32 v[138:139], v[84:85], v[130:131]
	v_fma_f64 v[84:85], v[82:83], v[130:131], -v[132:133]
	scratch_load_b128 v[130:133], off, off offset:464
	v_add_f64_e32 v[4:5], v[4:5], v[12:13]
	v_add_f64_e32 v[12:13], v[134:135], v[140:141]
	ds_load_b128 v[134:137], v2 offset:832
	s_wait_loadcnt_dscnt 0xb01
	v_mul_f64_e32 v[142:143], v[126:127], v[80:81]
	v_mul_f64_e32 v[144:145], v[128:129], v[80:81]
	ds_load_b128 v[80:83], v2 offset:816
	s_wait_loadcnt_dscnt 0xa00
	v_mul_f64_e32 v[140:141], v[80:81], v[116:117]
	v_mul_f64_e32 v[116:117], v[82:83], v[116:117]
	v_add_f64_e32 v[4:5], v[4:5], v[84:85]
	v_add_f64_e32 v[12:13], v[12:13], v[138:139]
	s_wait_loadcnt 0x9
	v_mul_f64_e32 v[138:139], v[134:135], v[88:89]
	v_fmac_f64_e32 v[142:143], v[128:129], v[78:79]
	v_fma_f64 v[78:79], v[126:127], v[78:79], -v[144:145]
	scratch_load_b128 v[126:129], off, off offset:480
	v_mul_f64_e32 v[88:89], v[136:137], v[88:89]
	v_fmac_f64_e32 v[140:141], v[82:83], v[114:115]
	v_fma_f64 v[144:145], v[80:81], v[114:115], -v[116:117]
	scratch_load_b128 v[82:85], off, off offset:496
	ds_load_b128 v[114:117], v2 offset:864
	v_fmac_f64_e32 v[138:139], v[136:137], v[86:87]
	v_add_f64_e32 v[12:13], v[12:13], v[142:143]
	v_add_f64_e32 v[4:5], v[4:5], v[78:79]
	ds_load_b128 v[78:81], v2 offset:848
	v_fma_f64 v[86:87], v[134:135], v[86:87], -v[88:89]
	s_wait_loadcnt_dscnt 0x901
	v_mul_f64_e32 v[134:135], v[114:115], v[96:97]
	v_mul_f64_e32 v[96:97], v[116:117], v[96:97]
	s_wait_dscnt 0x0
	v_mul_f64_e32 v[142:143], v[78:79], v[92:93]
	v_mul_f64_e32 v[92:93], v[80:81], v[92:93]
	v_add_f64_e32 v[12:13], v[12:13], v[140:141]
	v_add_f64_e32 v[4:5], v[4:5], v[144:145]
	v_fmac_f64_e32 v[134:135], v[116:117], v[94:95]
	v_fma_f64 v[94:95], v[114:115], v[94:95], -v[96:97]
	v_fmac_f64_e32 v[142:143], v[80:81], v[90:91]
	v_fma_f64 v[90:91], v[78:79], v[90:91], -v[92:93]
	v_add_f64_e32 v[12:13], v[12:13], v[138:139]
	v_add_f64_e32 v[4:5], v[4:5], v[86:87]
	ds_load_b128 v[78:81], v2 offset:880
	ds_load_b128 v[86:89], v2 offset:896
	s_wait_loadcnt_dscnt 0x801
	v_mul_f64_e32 v[136:137], v[78:79], v[100:101]
	v_mul_f64_e32 v[92:93], v[80:81], v[100:101]
	s_wait_loadcnt_dscnt 0x700
	v_mul_f64_e32 v[96:97], v[86:87], v[104:105]
	v_mul_f64_e32 v[100:101], v[88:89], v[104:105]
	v_add_f64_e32 v[12:13], v[12:13], v[142:143]
	v_add_f64_e32 v[4:5], v[4:5], v[90:91]
	v_fmac_f64_e32 v[136:137], v[80:81], v[98:99]
	v_fma_f64 v[98:99], v[78:79], v[98:99], -v[92:93]
	ds_load_b128 v[78:81], v2 offset:912
	ds_load_b128 v[90:93], v2 offset:928
	v_fmac_f64_e32 v[96:97], v[88:89], v[102:103]
	v_fma_f64 v[86:87], v[86:87], v[102:103], -v[100:101]
	v_add_f64_e32 v[12:13], v[12:13], v[134:135]
	v_add_f64_e32 v[4:5], v[4:5], v[94:95]
	s_wait_loadcnt_dscnt 0x601
	v_mul_f64_e32 v[94:95], v[78:79], v[108:109]
	v_mul_f64_e32 v[104:105], v[80:81], v[108:109]
	s_wait_loadcnt_dscnt 0x500
	v_mul_f64_e32 v[100:101], v[92:93], v[112:113]
	v_add_f64_e32 v[12:13], v[12:13], v[136:137]
	v_add_f64_e32 v[4:5], v[4:5], v[98:99]
	v_mul_f64_e32 v[98:99], v[90:91], v[112:113]
	v_fmac_f64_e32 v[94:95], v[80:81], v[106:107]
	v_fma_f64 v[102:103], v[78:79], v[106:107], -v[104:105]
	v_fma_f64 v[90:91], v[90:91], v[110:111], -v[100:101]
	v_add_f64_e32 v[12:13], v[12:13], v[96:97]
	v_add_f64_e32 v[4:5], v[4:5], v[86:87]
	ds_load_b128 v[78:81], v2 offset:944
	ds_load_b128 v[86:89], v2 offset:960
	v_fmac_f64_e32 v[98:99], v[92:93], v[110:111]
	s_wait_loadcnt_dscnt 0x401
	v_mul_f64_e32 v[96:97], v[78:79], v[120:121]
	v_mul_f64_e32 v[104:105], v[80:81], v[120:121]
	s_wait_loadcnt_dscnt 0x300
	v_mul_f64_e32 v[92:93], v[86:87], v[10:11]
	v_add_f64_e32 v[12:13], v[12:13], v[94:95]
	v_add_f64_e32 v[4:5], v[4:5], v[102:103]
	v_mul_f64_e32 v[94:95], v[88:89], v[10:11]
	v_fmac_f64_e32 v[96:97], v[80:81], v[118:119]
	v_fma_f64 v[100:101], v[78:79], v[118:119], -v[104:105]
	v_fmac_f64_e32 v[92:93], v[88:89], v[8:9]
	v_add_f64_e32 v[4:5], v[4:5], v[90:91]
	v_add_f64_e32 v[90:91], v[12:13], v[98:99]
	ds_load_b128 v[10:13], v2 offset:976
	ds_load_b128 v[78:81], v2 offset:992
	v_fma_f64 v[8:9], v[86:87], v[8:9], -v[94:95]
	s_wait_loadcnt_dscnt 0x201
	v_mul_f64_e32 v[98:99], v[10:11], v[132:133]
	v_mul_f64_e32 v[102:103], v[12:13], v[132:133]
	v_add_f64_e32 v[4:5], v[4:5], v[100:101]
	v_add_f64_e32 v[86:87], v[90:91], v[96:97]
	s_wait_loadcnt_dscnt 0x100
	v_mul_f64_e32 v[88:89], v[78:79], v[128:129]
	v_mul_f64_e32 v[90:91], v[80:81], v[128:129]
	v_fmac_f64_e32 v[98:99], v[12:13], v[130:131]
	v_fma_f64 v[12:13], v[10:11], v[130:131], -v[102:103]
	v_add_f64_e32 v[4:5], v[4:5], v[8:9]
	v_add_f64_e32 v[86:87], v[86:87], v[92:93]
	ds_load_b128 v[8:11], v2 offset:1008
	v_fmac_f64_e32 v[88:89], v[80:81], v[126:127]
	v_fma_f64 v[78:79], v[78:79], v[126:127], -v[90:91]
	s_wait_loadcnt_dscnt 0x0
	v_mul_f64_e32 v[92:93], v[8:9], v[84:85]
	v_mul_f64_e32 v[84:85], v[10:11], v[84:85]
	v_add_f64_e32 v[4:5], v[4:5], v[12:13]
	v_add_f64_e32 v[12:13], v[86:87], v[98:99]
	s_delay_alu instid0(VALU_DEP_4) | instskip(NEXT) | instid1(VALU_DEP_4)
	v_fmac_f64_e32 v[92:93], v[10:11], v[82:83]
	v_fma_f64 v[8:9], v[8:9], v[82:83], -v[84:85]
	s_delay_alu instid0(VALU_DEP_4) | instskip(NEXT) | instid1(VALU_DEP_4)
	v_add_f64_e32 v[4:5], v[4:5], v[78:79]
	v_add_f64_e32 v[10:11], v[12:13], v[88:89]
	s_delay_alu instid0(VALU_DEP_2) | instskip(NEXT) | instid1(VALU_DEP_2)
	v_add_f64_e32 v[4:5], v[4:5], v[8:9]
	v_add_f64_e32 v[10:11], v[10:11], v[92:93]
	s_delay_alu instid0(VALU_DEP_2) | instskip(NEXT) | instid1(VALU_DEP_2)
	v_add_f64_e64 v[8:9], v[122:123], -v[4:5]
	v_add_f64_e64 v[10:11], v[124:125], -v[10:11]
	scratch_store_b128 off, v[8:11], off offset:64
	s_wait_xcnt 0x0
	v_cmpx_lt_u32_e32 3, v1
	s_cbranch_execz .LBB31_199
; %bb.198:
	scratch_load_b128 v[8:11], off, s29
	v_dual_mov_b32 v3, v2 :: v_dual_mov_b32 v4, v2
	v_mov_b32_e32 v5, v2
	scratch_store_b128 off, v[2:5], off offset:48
	s_wait_loadcnt 0x0
	ds_store_b128 v6, v[8:11]
.LBB31_199:
	s_wait_xcnt 0x0
	s_or_b32 exec_lo, exec_lo, s2
	s_wait_storecnt_dscnt 0x0
	s_barrier_signal -1
	s_barrier_wait -1
	s_clause 0x9
	scratch_load_b128 v[8:11], off, off offset:64
	scratch_load_b128 v[78:81], off, off offset:80
	;; [unrolled: 1-line block ×10, first 2 shown]
	ds_load_b128 v[114:117], v2 offset:576
	ds_load_b128 v[122:125], v2 offset:592
	s_clause 0x1
	scratch_load_b128 v[118:121], off, off offset:224
	scratch_load_b128 v[126:129], off, off offset:48
	s_mov_b32 s2, exec_lo
	s_wait_loadcnt_dscnt 0xb01
	v_mul_f64_e32 v[4:5], v[116:117], v[10:11]
	v_mul_f64_e32 v[138:139], v[114:115], v[10:11]
	scratch_load_b128 v[10:13], off, off offset:240
	s_wait_loadcnt_dscnt 0xb00
	v_mul_f64_e32 v[140:141], v[122:123], v[80:81]
	v_mul_f64_e32 v[80:81], v[124:125], v[80:81]
	v_fma_f64 v[4:5], v[114:115], v[8:9], -v[4:5]
	v_fmac_f64_e32 v[138:139], v[116:117], v[8:9]
	ds_load_b128 v[114:117], v2 offset:608
	ds_load_b128 v[130:133], v2 offset:624
	scratch_load_b128 v[134:137], off, off offset:256
	v_fmac_f64_e32 v[140:141], v[124:125], v[78:79]
	v_fma_f64 v[122:123], v[122:123], v[78:79], -v[80:81]
	scratch_load_b128 v[78:81], off, off offset:272
	s_wait_loadcnt_dscnt 0xc01
	v_mul_f64_e32 v[8:9], v[114:115], v[84:85]
	v_mul_f64_e32 v[84:85], v[116:117], v[84:85]
	v_add_f64_e32 v[4:5], 0, v[4:5]
	v_add_f64_e32 v[124:125], 0, v[138:139]
	s_wait_loadcnt_dscnt 0xb00
	v_mul_f64_e32 v[138:139], v[130:131], v[88:89]
	v_mul_f64_e32 v[88:89], v[132:133], v[88:89]
	v_fmac_f64_e32 v[8:9], v[116:117], v[82:83]
	v_fma_f64 v[142:143], v[114:115], v[82:83], -v[84:85]
	ds_load_b128 v[82:85], v2 offset:640
	ds_load_b128 v[114:117], v2 offset:656
	v_add_f64_e32 v[4:5], v[4:5], v[122:123]
	v_add_f64_e32 v[140:141], v[124:125], v[140:141]
	scratch_load_b128 v[122:125], off, off offset:288
	v_fmac_f64_e32 v[138:139], v[132:133], v[86:87]
	v_fma_f64 v[130:131], v[130:131], v[86:87], -v[88:89]
	scratch_load_b128 v[86:89], off, off offset:304
	s_wait_loadcnt_dscnt 0xc01
	v_mul_f64_e32 v[144:145], v[82:83], v[92:93]
	v_mul_f64_e32 v[92:93], v[84:85], v[92:93]
	v_add_f64_e32 v[4:5], v[4:5], v[142:143]
	v_add_f64_e32 v[8:9], v[140:141], v[8:9]
	s_wait_loadcnt_dscnt 0xb00
	v_mul_f64_e32 v[140:141], v[114:115], v[96:97]
	v_mul_f64_e32 v[96:97], v[116:117], v[96:97]
	v_fmac_f64_e32 v[144:145], v[84:85], v[90:91]
	v_fma_f64 v[142:143], v[82:83], v[90:91], -v[92:93]
	ds_load_b128 v[82:85], v2 offset:672
	ds_load_b128 v[90:93], v2 offset:688
	v_add_f64_e32 v[4:5], v[4:5], v[130:131]
	v_add_f64_e32 v[8:9], v[8:9], v[138:139]
	scratch_load_b128 v[130:133], off, off offset:320
	s_wait_loadcnt_dscnt 0xb01
	v_mul_f64_e32 v[138:139], v[82:83], v[100:101]
	v_mul_f64_e32 v[100:101], v[84:85], v[100:101]
	v_fmac_f64_e32 v[140:141], v[116:117], v[94:95]
	v_fma_f64 v[114:115], v[114:115], v[94:95], -v[96:97]
	scratch_load_b128 v[94:97], off, off offset:336
	v_add_f64_e32 v[4:5], v[4:5], v[142:143]
	v_add_f64_e32 v[8:9], v[8:9], v[144:145]
	s_wait_loadcnt_dscnt 0xb00
	v_mul_f64_e32 v[142:143], v[90:91], v[104:105]
	v_mul_f64_e32 v[104:105], v[92:93], v[104:105]
	v_fmac_f64_e32 v[138:139], v[84:85], v[98:99]
	v_fma_f64 v[144:145], v[82:83], v[98:99], -v[100:101]
	ds_load_b128 v[82:85], v2 offset:704
	ds_load_b128 v[98:101], v2 offset:720
	v_add_f64_e32 v[4:5], v[4:5], v[114:115]
	v_add_f64_e32 v[8:9], v[8:9], v[140:141]
	scratch_load_b128 v[114:117], off, off offset:352
	s_wait_loadcnt_dscnt 0xb01
	v_mul_f64_e32 v[140:141], v[82:83], v[108:109]
	v_mul_f64_e32 v[108:109], v[84:85], v[108:109]
	v_fmac_f64_e32 v[142:143], v[92:93], v[102:103]
	v_fma_f64 v[102:103], v[90:91], v[102:103], -v[104:105]
	scratch_load_b128 v[90:93], off, off offset:368
	v_add_f64_e32 v[4:5], v[4:5], v[144:145]
	v_add_f64_e32 v[8:9], v[8:9], v[138:139]
	s_wait_loadcnt_dscnt 0xb00
	v_mul_f64_e32 v[138:139], v[98:99], v[112:113]
	v_mul_f64_e32 v[112:113], v[100:101], v[112:113]
	v_fmac_f64_e32 v[140:141], v[84:85], v[106:107]
	v_fma_f64 v[144:145], v[82:83], v[106:107], -v[108:109]
	v_add_f64_e32 v[4:5], v[4:5], v[102:103]
	v_add_f64_e32 v[8:9], v[8:9], v[142:143]
	ds_load_b128 v[82:85], v2 offset:736
	ds_load_b128 v[102:105], v2 offset:752
	scratch_load_b128 v[106:109], off, off offset:384
	v_fmac_f64_e32 v[138:139], v[100:101], v[110:111]
	v_fma_f64 v[110:111], v[98:99], v[110:111], -v[112:113]
	scratch_load_b128 v[98:101], off, off offset:400
	s_wait_loadcnt_dscnt 0xc01
	v_mul_f64_e32 v[142:143], v[82:83], v[120:121]
	v_mul_f64_e32 v[120:121], v[84:85], v[120:121]
	v_add_f64_e32 v[4:5], v[4:5], v[144:145]
	v_add_f64_e32 v[8:9], v[8:9], v[140:141]
	s_wait_loadcnt_dscnt 0xa00
	v_mul_f64_e32 v[140:141], v[102:103], v[12:13]
	v_mul_f64_e32 v[12:13], v[104:105], v[12:13]
	v_fmac_f64_e32 v[142:143], v[84:85], v[118:119]
	v_fma_f64 v[144:145], v[82:83], v[118:119], -v[120:121]
	v_add_f64_e32 v[4:5], v[4:5], v[110:111]
	v_add_f64_e32 v[8:9], v[8:9], v[138:139]
	ds_load_b128 v[82:85], v2 offset:768
	ds_load_b128 v[110:113], v2 offset:784
	scratch_load_b128 v[118:121], off, off offset:416
	v_fmac_f64_e32 v[140:141], v[104:105], v[10:11]
	v_fma_f64 v[12:13], v[102:103], v[10:11], -v[12:13]
	s_wait_loadcnt_dscnt 0xa01
	v_mul_f64_e32 v[138:139], v[82:83], v[136:137]
	v_mul_f64_e32 v[136:137], v[84:85], v[136:137]
	v_add_f64_e32 v[4:5], v[4:5], v[144:145]
	v_add_f64_e32 v[102:103], v[8:9], v[142:143]
	scratch_load_b128 v[8:11], off, off offset:432
	s_wait_loadcnt_dscnt 0xa00
	v_mul_f64_e32 v[142:143], v[110:111], v[80:81]
	v_mul_f64_e32 v[144:145], v[112:113], v[80:81]
	v_fmac_f64_e32 v[138:139], v[84:85], v[134:135]
	v_fma_f64 v[84:85], v[82:83], v[134:135], -v[136:137]
	v_add_f64_e32 v[4:5], v[4:5], v[12:13]
	v_add_f64_e32 v[12:13], v[102:103], v[140:141]
	ds_load_b128 v[80:83], v2 offset:800
	ds_load_b128 v[102:105], v2 offset:816
	scratch_load_b128 v[134:137], off, off offset:448
	v_fmac_f64_e32 v[142:143], v[112:113], v[78:79]
	v_fma_f64 v[78:79], v[110:111], v[78:79], -v[144:145]
	scratch_load_b128 v[110:113], off, off offset:464
	s_wait_loadcnt_dscnt 0xb01
	v_mul_f64_e32 v[140:141], v[80:81], v[124:125]
	v_mul_f64_e32 v[124:125], v[82:83], v[124:125]
	v_add_f64_e32 v[4:5], v[4:5], v[84:85]
	v_add_f64_e32 v[12:13], v[12:13], v[138:139]
	s_wait_loadcnt_dscnt 0xa00
	v_mul_f64_e32 v[138:139], v[102:103], v[88:89]
	v_mul_f64_e32 v[88:89], v[104:105], v[88:89]
	v_fmac_f64_e32 v[140:141], v[82:83], v[122:123]
	v_fma_f64 v[144:145], v[80:81], v[122:123], -v[124:125]
	v_add_f64_e32 v[4:5], v[4:5], v[78:79]
	v_add_f64_e32 v[12:13], v[12:13], v[142:143]
	ds_load_b128 v[78:81], v2 offset:832
	ds_load_b128 v[82:85], v2 offset:848
	scratch_load_b128 v[122:125], off, off offset:480
	v_fmac_f64_e32 v[138:139], v[104:105], v[86:87]
	v_fma_f64 v[102:103], v[102:103], v[86:87], -v[88:89]
	scratch_load_b128 v[86:89], off, off offset:496
	s_wait_loadcnt_dscnt 0xb01
	v_mul_f64_e32 v[142:143], v[78:79], v[132:133]
	v_mul_f64_e32 v[132:133], v[80:81], v[132:133]
	v_add_f64_e32 v[4:5], v[4:5], v[144:145]
	v_add_f64_e32 v[12:13], v[12:13], v[140:141]
	s_wait_loadcnt_dscnt 0xa00
	v_mul_f64_e32 v[140:141], v[82:83], v[96:97]
	v_mul_f64_e32 v[96:97], v[84:85], v[96:97]
	v_fmac_f64_e32 v[142:143], v[80:81], v[130:131]
	v_fma_f64 v[130:131], v[78:79], v[130:131], -v[132:133]
	v_add_f64_e32 v[4:5], v[4:5], v[102:103]
	v_add_f64_e32 v[12:13], v[12:13], v[138:139]
	ds_load_b128 v[78:81], v2 offset:864
	ds_load_b128 v[102:105], v2 offset:880
	v_fmac_f64_e32 v[140:141], v[84:85], v[94:95]
	v_fma_f64 v[82:83], v[82:83], v[94:95], -v[96:97]
	s_wait_loadcnt_dscnt 0x901
	v_mul_f64_e32 v[132:133], v[78:79], v[116:117]
	v_mul_f64_e32 v[116:117], v[80:81], v[116:117]
	s_wait_loadcnt_dscnt 0x800
	v_mul_f64_e32 v[94:95], v[102:103], v[92:93]
	v_mul_f64_e32 v[92:93], v[104:105], v[92:93]
	v_add_f64_e32 v[4:5], v[4:5], v[130:131]
	v_add_f64_e32 v[12:13], v[12:13], v[142:143]
	v_fmac_f64_e32 v[132:133], v[80:81], v[114:115]
	v_fma_f64 v[96:97], v[78:79], v[114:115], -v[116:117]
	v_fmac_f64_e32 v[94:95], v[104:105], v[90:91]
	v_fma_f64 v[90:91], v[102:103], v[90:91], -v[92:93]
	v_add_f64_e32 v[4:5], v[4:5], v[82:83]
	v_add_f64_e32 v[12:13], v[12:13], v[140:141]
	ds_load_b128 v[78:81], v2 offset:896
	ds_load_b128 v[82:85], v2 offset:912
	s_wait_loadcnt_dscnt 0x701
	v_mul_f64_e32 v[114:115], v[78:79], v[108:109]
	v_mul_f64_e32 v[108:109], v[80:81], v[108:109]
	v_add_f64_e32 v[4:5], v[4:5], v[96:97]
	v_add_f64_e32 v[12:13], v[12:13], v[132:133]
	s_wait_loadcnt_dscnt 0x600
	v_mul_f64_e32 v[96:97], v[82:83], v[100:101]
	v_mul_f64_e32 v[100:101], v[84:85], v[100:101]
	v_fmac_f64_e32 v[114:115], v[80:81], v[106:107]
	v_fma_f64 v[102:103], v[78:79], v[106:107], -v[108:109]
	v_add_f64_e32 v[4:5], v[4:5], v[90:91]
	v_add_f64_e32 v[12:13], v[12:13], v[94:95]
	ds_load_b128 v[78:81], v2 offset:928
	ds_load_b128 v[90:93], v2 offset:944
	v_fmac_f64_e32 v[96:97], v[84:85], v[98:99]
	v_fma_f64 v[82:83], v[82:83], v[98:99], -v[100:101]
	s_wait_loadcnt_dscnt 0x501
	v_mul_f64_e32 v[94:95], v[78:79], v[120:121]
	v_mul_f64_e32 v[104:105], v[80:81], v[120:121]
	v_add_f64_e32 v[4:5], v[4:5], v[102:103]
	v_add_f64_e32 v[12:13], v[12:13], v[114:115]
	s_wait_loadcnt_dscnt 0x400
	v_mul_f64_e32 v[84:85], v[90:91], v[10:11]
	v_mul_f64_e32 v[98:99], v[92:93], v[10:11]
	v_fmac_f64_e32 v[94:95], v[80:81], v[118:119]
	v_fma_f64 v[100:101], v[78:79], v[118:119], -v[104:105]
	v_add_f64_e32 v[4:5], v[4:5], v[82:83]
	v_add_f64_e32 v[82:83], v[12:13], v[96:97]
	ds_load_b128 v[10:13], v2 offset:960
	ds_load_b128 v[78:81], v2 offset:976
	v_fmac_f64_e32 v[84:85], v[92:93], v[8:9]
	v_fma_f64 v[8:9], v[90:91], v[8:9], -v[98:99]
	s_wait_loadcnt_dscnt 0x301
	v_mul_f64_e32 v[96:97], v[10:11], v[136:137]
	v_mul_f64_e32 v[102:103], v[12:13], v[136:137]
	s_wait_loadcnt_dscnt 0x200
	v_mul_f64_e32 v[90:91], v[78:79], v[112:113]
	v_mul_f64_e32 v[92:93], v[80:81], v[112:113]
	v_add_f64_e32 v[4:5], v[4:5], v[100:101]
	v_add_f64_e32 v[82:83], v[82:83], v[94:95]
	v_fmac_f64_e32 v[96:97], v[12:13], v[134:135]
	v_fma_f64 v[12:13], v[10:11], v[134:135], -v[102:103]
	v_fmac_f64_e32 v[90:91], v[80:81], v[110:111]
	v_fma_f64 v[78:79], v[78:79], v[110:111], -v[92:93]
	v_add_f64_e32 v[94:95], v[4:5], v[8:9]
	v_add_f64_e32 v[82:83], v[82:83], v[84:85]
	ds_load_b128 v[8:11], v2 offset:992
	ds_load_b128 v[2:5], v2 offset:1008
	s_wait_loadcnt_dscnt 0x101
	v_mul_f64_e32 v[84:85], v[8:9], v[124:125]
	v_mul_f64_e32 v[98:99], v[10:11], v[124:125]
	v_add_f64_e32 v[12:13], v[94:95], v[12:13]
	v_add_f64_e32 v[80:81], v[82:83], v[96:97]
	s_wait_loadcnt_dscnt 0x0
	v_mul_f64_e32 v[82:83], v[2:3], v[88:89]
	v_mul_f64_e32 v[88:89], v[4:5], v[88:89]
	v_fmac_f64_e32 v[84:85], v[10:11], v[122:123]
	v_fma_f64 v[8:9], v[8:9], v[122:123], -v[98:99]
	v_add_f64_e32 v[10:11], v[12:13], v[78:79]
	v_add_f64_e32 v[12:13], v[80:81], v[90:91]
	v_fmac_f64_e32 v[82:83], v[4:5], v[86:87]
	v_fma_f64 v[2:3], v[2:3], v[86:87], -v[88:89]
	s_delay_alu instid0(VALU_DEP_4) | instskip(NEXT) | instid1(VALU_DEP_4)
	v_add_f64_e32 v[4:5], v[10:11], v[8:9]
	v_add_f64_e32 v[8:9], v[12:13], v[84:85]
	s_delay_alu instid0(VALU_DEP_2) | instskip(NEXT) | instid1(VALU_DEP_2)
	v_add_f64_e32 v[2:3], v[4:5], v[2:3]
	v_add_f64_e32 v[4:5], v[8:9], v[82:83]
	s_delay_alu instid0(VALU_DEP_2) | instskip(NEXT) | instid1(VALU_DEP_2)
	v_add_f64_e64 v[2:3], v[126:127], -v[2:3]
	v_add_f64_e64 v[4:5], v[128:129], -v[4:5]
	scratch_store_b128 off, v[2:5], off offset:48
	s_wait_xcnt 0x0
	v_cmpx_lt_u32_e32 2, v1
	s_cbranch_execz .LBB31_201
; %bb.200:
	scratch_load_b128 v[2:5], off, s27
	v_mov_b32_e32 v8, 0
	s_delay_alu instid0(VALU_DEP_1)
	v_dual_mov_b32 v9, v8 :: v_dual_mov_b32 v10, v8
	v_mov_b32_e32 v11, v8
	scratch_store_b128 off, v[8:11], off offset:32
	s_wait_loadcnt 0x0
	ds_store_b128 v6, v[2:5]
.LBB31_201:
	s_wait_xcnt 0x0
	s_or_b32 exec_lo, exec_lo, s2
	s_wait_storecnt_dscnt 0x0
	s_barrier_signal -1
	s_barrier_wait -1
	s_clause 0x9
	scratch_load_b128 v[8:11], off, off offset:48
	scratch_load_b128 v[78:81], off, off offset:64
	;; [unrolled: 1-line block ×10, first 2 shown]
	v_mov_b32_e32 v2, 0
	s_mov_b32 s2, exec_lo
	v_dual_ashrrev_i32 v21, 31, v20 :: v_dual_ashrrev_i32 v19, 31, v18
	v_ashrrev_i32_e32 v23, 31, v22
	ds_load_b128 v[114:117], v2 offset:560
	s_clause 0x1
	scratch_load_b128 v[118:121], off, off offset:208
	scratch_load_b128 v[122:125], off, off offset:32
	v_ashrrev_i32_e32 v27, 31, v26
	v_ashrrev_i32_e32 v31, 31, v30
	v_dual_ashrrev_i32 v35, 31, v34 :: v_dual_ashrrev_i32 v25, 31, v24
	v_ashrrev_i32_e32 v43, 31, v42
	v_dual_ashrrev_i32 v47, 31, v46 :: v_dual_ashrrev_i32 v29, 31, v28
	v_dual_ashrrev_i32 v39, 31, v38 :: v_dual_ashrrev_i32 v33, 31, v32
	v_ashrrev_i32_e32 v41, 31, v40
	v_dual_ashrrev_i32 v37, 31, v36 :: v_dual_ashrrev_i32 v51, 31, v50
	v_ashrrev_i32_e32 v55, 31, v54
	v_dual_ashrrev_i32 v59, 31, v58 :: v_dual_ashrrev_i32 v45, 31, v44
	v_dual_ashrrev_i32 v63, 31, v62 :: v_dual_ashrrev_i32 v49, 31, v48
	;; [unrolled: 1-line block ×3, first 2 shown]
	v_ashrrev_i32_e32 v71, 31, v70
	v_dual_ashrrev_i32 v75, 31, v74 :: v_dual_ashrrev_i32 v57, 31, v56
	v_ashrrev_i32_e32 v61, 31, v60
	v_ashrrev_i32_e32 v65, 31, v64
	;; [unrolled: 1-line block ×4, first 2 shown]
	s_wait_loadcnt_dscnt 0xb00
	v_dual_mul_f64 v[4:5], v[116:117], v[10:11] :: v_dual_ashrrev_i32 v77, 31, v76
	v_mul_f64_e32 v[134:135], v[114:115], v[10:11]
	ds_load_b128 v[126:129], v2 offset:576
	ds_load_b128 v[130:133], v2 offset:592
	scratch_load_b128 v[10:13], off, off offset:224
	s_wait_loadcnt_dscnt 0xb01
	v_mul_f64_e32 v[136:137], v[126:127], v[80:81]
	v_mul_f64_e32 v[80:81], v[128:129], v[80:81]
	v_fma_f64 v[4:5], v[114:115], v[8:9], -v[4:5]
	v_fmac_f64_e32 v[134:135], v[116:117], v[8:9]
	s_wait_loadcnt_dscnt 0xa00
	v_mul_f64_e32 v[8:9], v[130:131], v[84:85]
	v_mul_f64_e32 v[84:85], v[132:133], v[84:85]
	ds_load_b128 v[114:117], v2 offset:608
	v_fmac_f64_e32 v[136:137], v[128:129], v[78:79]
	v_fma_f64 v[138:139], v[126:127], v[78:79], -v[80:81]
	scratch_load_b128 v[78:81], off, off offset:240
	ds_load_b128 v[126:129], v2 offset:624
	s_wait_loadcnt_dscnt 0xa01
	v_mul_f64_e32 v[140:141], v[114:115], v[88:89]
	v_mul_f64_e32 v[88:89], v[116:117], v[88:89]
	v_add_f64_e32 v[4:5], 0, v[4:5]
	v_add_f64_e32 v[134:135], 0, v[134:135]
	v_fmac_f64_e32 v[8:9], v[132:133], v[82:83]
	v_fma_f64 v[142:143], v[130:131], v[82:83], -v[84:85]
	scratch_load_b128 v[82:85], off, off offset:256
	ds_load_b128 v[130:133], v2 offset:640
	v_fmac_f64_e32 v[140:141], v[116:117], v[86:87]
	v_fma_f64 v[114:115], v[114:115], v[86:87], -v[88:89]
	scratch_load_b128 v[86:89], off, off offset:272
	v_add_f64_e32 v[4:5], v[4:5], v[138:139]
	v_add_f64_e32 v[134:135], v[134:135], v[136:137]
	s_wait_loadcnt_dscnt 0xb01
	v_mul_f64_e32 v[136:137], v[126:127], v[92:93]
	v_mul_f64_e32 v[92:93], v[128:129], v[92:93]
	s_delay_alu instid0(VALU_DEP_4) | instskip(NEXT) | instid1(VALU_DEP_4)
	v_add_f64_e32 v[4:5], v[4:5], v[142:143]
	v_add_f64_e32 v[8:9], v[134:135], v[8:9]
	s_delay_alu instid0(VALU_DEP_4) | instskip(NEXT) | instid1(VALU_DEP_4)
	v_fmac_f64_e32 v[136:137], v[128:129], v[90:91]
	v_fma_f64 v[138:139], v[126:127], v[90:91], -v[92:93]
	s_clause 0x1
	scratch_load_b128 v[90:93], off, off offset:288
	scratch_load_b128 v[126:129], off, off offset:304
	v_add_f64_e32 v[4:5], v[4:5], v[114:115]
	v_add_f64_e32 v[8:9], v[8:9], v[140:141]
	ds_load_b128 v[114:117], v2 offset:656
	s_wait_loadcnt_dscnt 0xc01
	v_mul_f64_e32 v[134:135], v[130:131], v[96:97]
	v_mul_f64_e32 v[96:97], v[132:133], v[96:97]
	s_wait_loadcnt_dscnt 0xb00
	v_mul_f64_e32 v[142:143], v[114:115], v[100:101]
	v_mul_f64_e32 v[100:101], v[116:117], v[100:101]
	v_add_f64_e32 v[4:5], v[4:5], v[138:139]
	v_add_f64_e32 v[8:9], v[8:9], v[136:137]
	v_fmac_f64_e32 v[134:135], v[132:133], v[94:95]
	v_fma_f64 v[140:141], v[130:131], v[94:95], -v[96:97]
	ds_load_b128 v[94:97], v2 offset:672
	scratch_load_b128 v[130:133], off, off offset:320
	v_fmac_f64_e32 v[142:143], v[116:117], v[98:99]
	v_fma_f64 v[138:139], v[114:115], v[98:99], -v[100:101]
	ds_load_b128 v[98:101], v2 offset:688
	ds_load_b128 v[114:117], v2 offset:704
	s_wait_loadcnt_dscnt 0xb02
	v_mul_f64_e32 v[136:137], v[94:95], v[104:105]
	v_mul_f64_e32 v[104:105], v[96:97], v[104:105]
	v_add_f64_e32 v[8:9], v[8:9], v[134:135]
	v_add_f64_e32 v[4:5], v[4:5], v[140:141]
	s_wait_loadcnt_dscnt 0xa01
	v_mul_f64_e32 v[134:135], v[98:99], v[108:109]
	v_fmac_f64_e32 v[136:137], v[96:97], v[102:103]
	v_fma_f64 v[102:103], v[94:95], v[102:103], -v[104:105]
	v_mul_f64_e32 v[104:105], v[100:101], v[108:109]
	scratch_load_b128 v[94:97], off, off offset:336
	v_add_f64_e32 v[8:9], v[8:9], v[142:143]
	v_add_f64_e32 v[4:5], v[4:5], v[138:139]
	s_wait_loadcnt_dscnt 0xa00
	v_mul_f64_e32 v[138:139], v[114:115], v[112:113]
	v_mul_f64_e32 v[112:113], v[116:117], v[112:113]
	v_fmac_f64_e32 v[134:135], v[100:101], v[106:107]
	v_fma_f64 v[140:141], v[98:99], v[106:107], -v[104:105]
	scratch_load_b128 v[98:101], off, off offset:352
	v_add_f64_e32 v[8:9], v[8:9], v[136:137]
	v_add_f64_e32 v[4:5], v[4:5], v[102:103]
	ds_load_b128 v[102:105], v2 offset:720
	ds_load_b128 v[106:109], v2 offset:736
	v_fmac_f64_e32 v[138:139], v[116:117], v[110:111]
	v_fma_f64 v[114:115], v[114:115], v[110:111], -v[112:113]
	scratch_load_b128 v[110:113], off, off offset:368
	s_wait_loadcnt_dscnt 0xb01
	v_mul_f64_e32 v[136:137], v[102:103], v[120:121]
	v_mul_f64_e32 v[116:117], v[104:105], v[120:121]
	v_add_f64_e32 v[8:9], v[8:9], v[134:135]
	v_add_f64_e32 v[4:5], v[4:5], v[140:141]
	s_wait_loadcnt_dscnt 0x900
	v_mul_f64_e32 v[134:135], v[106:107], v[12:13]
	v_mul_f64_e32 v[12:13], v[108:109], v[12:13]
	v_fmac_f64_e32 v[136:137], v[104:105], v[118:119]
	v_fma_f64 v[140:141], v[102:103], v[118:119], -v[116:117]
	scratch_load_b128 v[102:105], off, off offset:384
	v_add_f64_e32 v[138:139], v[8:9], v[138:139]
	v_add_f64_e32 v[4:5], v[4:5], v[114:115]
	ds_load_b128 v[114:117], v2 offset:752
	ds_load_b128 v[118:121], v2 offset:768
	v_fmac_f64_e32 v[134:135], v[108:109], v[10:11]
	v_fma_f64 v[12:13], v[106:107], v[10:11], -v[12:13]
	scratch_load_b128 v[8:11], off, off offset:400
	s_wait_loadcnt_dscnt 0xa01
	v_mul_f64_e32 v[142:143], v[114:115], v[80:81]
	v_mul_f64_e32 v[80:81], v[116:117], v[80:81]
	;; [unrolled: 18-line block ×3, first 2 shown]
	v_add_f64_e32 v[4:5], v[4:5], v[138:139]
	v_add_f64_e32 v[12:13], v[12:13], v[142:143]
	s_wait_loadcnt_dscnt 0x900
	v_mul_f64_e32 v[138:139], v[114:115], v[92:93]
	v_mul_f64_e32 v[92:93], v[116:117], v[92:93]
	v_fmac_f64_e32 v[134:135], v[108:109], v[86:87]
	v_fma_f64 v[140:141], v[106:107], v[86:87], -v[88:89]
	scratch_load_b128 v[86:89], off, off offset:448
	v_add_f64_e32 v[4:5], v[4:5], v[118:119]
	v_add_f64_e32 v[12:13], v[12:13], v[136:137]
	ds_load_b128 v[106:109], v2 offset:816
	ds_load_b128 v[118:121], v2 offset:832
	v_fmac_f64_e32 v[138:139], v[116:117], v[90:91]
	v_fma_f64 v[142:143], v[114:115], v[90:91], -v[92:93]
	s_clause 0x1
	scratch_load_b128 v[90:93], off, off offset:464
	scratch_load_b128 v[114:117], off, off offset:480
	s_wait_loadcnt_dscnt 0xb01
	v_mul_f64_e32 v[136:137], v[106:107], v[128:129]
	v_mul_f64_e32 v[128:129], v[108:109], v[128:129]
	v_add_f64_e32 v[4:5], v[4:5], v[140:141]
	v_add_f64_e32 v[12:13], v[12:13], v[134:135]
	s_wait_loadcnt_dscnt 0xa00
	v_mul_f64_e32 v[134:135], v[118:119], v[132:133]
	v_mul_f64_e32 v[132:133], v[120:121], v[132:133]
	v_fmac_f64_e32 v[136:137], v[108:109], v[126:127]
	v_fma_f64 v[140:141], v[106:107], v[126:127], -v[128:129]
	ds_load_b128 v[106:109], v2 offset:848
	scratch_load_b128 v[126:129], off, off offset:496
	v_add_f64_e32 v[4:5], v[4:5], v[142:143]
	v_add_f64_e32 v[12:13], v[12:13], v[138:139]
	v_fmac_f64_e32 v[134:135], v[120:121], v[130:131]
	v_fma_f64 v[130:131], v[118:119], v[130:131], -v[132:133]
	ds_load_b128 v[118:121], v2 offset:864
	s_wait_loadcnt_dscnt 0xa01
	v_mul_f64_e32 v[132:133], v[106:107], v[96:97]
	v_mul_f64_e32 v[96:97], v[108:109], v[96:97]
	v_add_f64_e32 v[4:5], v[4:5], v[140:141]
	v_add_f64_e32 v[12:13], v[12:13], v[136:137]
	s_wait_loadcnt_dscnt 0x900
	v_mul_f64_e32 v[136:137], v[118:119], v[100:101]
	v_mul_f64_e32 v[100:101], v[120:121], v[100:101]
	v_fmac_f64_e32 v[132:133], v[108:109], v[94:95]
	v_fma_f64 v[138:139], v[106:107], v[94:95], -v[96:97]
	ds_load_b128 v[94:97], v2 offset:880
	ds_load_b128 v[106:109], v2 offset:896
	v_add_f64_e32 v[4:5], v[4:5], v[130:131]
	v_add_f64_e32 v[12:13], v[12:13], v[134:135]
	s_wait_loadcnt_dscnt 0x801
	v_mul_f64_e32 v[130:131], v[94:95], v[112:113]
	v_mul_f64_e32 v[112:113], v[96:97], v[112:113]
	v_fmac_f64_e32 v[136:137], v[120:121], v[98:99]
	v_fma_f64 v[98:99], v[118:119], v[98:99], -v[100:101]
	v_add_f64_e32 v[4:5], v[4:5], v[138:139]
	v_add_f64_e32 v[12:13], v[12:13], v[132:133]
	v_fmac_f64_e32 v[130:131], v[96:97], v[110:111]
	v_fma_f64 v[110:111], v[94:95], v[110:111], -v[112:113]
	s_wait_loadcnt_dscnt 0x700
	v_mul_f64_e32 v[118:119], v[106:107], v[104:105]
	v_mul_f64_e32 v[104:105], v[108:109], v[104:105]
	v_add_f64_e32 v[4:5], v[4:5], v[98:99]
	v_add_f64_e32 v[12:13], v[12:13], v[136:137]
	ds_load_b128 v[94:97], v2 offset:912
	ds_load_b128 v[98:101], v2 offset:928
	s_wait_loadcnt_dscnt 0x601
	v_mul_f64_e32 v[112:113], v[94:95], v[10:11]
	v_mul_f64_e32 v[10:11], v[96:97], v[10:11]
	v_fmac_f64_e32 v[118:119], v[108:109], v[102:103]
	v_fma_f64 v[102:103], v[106:107], v[102:103], -v[104:105]
	v_add_f64_e32 v[4:5], v[4:5], v[110:111]
	v_add_f64_e32 v[12:13], v[12:13], v[130:131]
	v_fmac_f64_e32 v[112:113], v[96:97], v[8:9]
	s_wait_loadcnt_dscnt 0x500
	v_mul_f64_e32 v[104:105], v[98:99], v[80:81]
	v_mul_f64_e32 v[80:81], v[100:101], v[80:81]
	v_fma_f64 v[106:107], v[94:95], v[8:9], -v[10:11]
	ds_load_b128 v[8:11], v2 offset:944
	ds_load_b128 v[94:97], v2 offset:960
	v_add_f64_e32 v[4:5], v[4:5], v[102:103]
	v_add_f64_e32 v[12:13], v[12:13], v[118:119]
	s_wait_loadcnt_dscnt 0x401
	v_mul_f64_e32 v[102:103], v[8:9], v[84:85]
	v_mul_f64_e32 v[84:85], v[10:11], v[84:85]
	v_fmac_f64_e32 v[104:105], v[100:101], v[78:79]
	v_fma_f64 v[78:79], v[98:99], v[78:79], -v[80:81]
	v_add_f64_e32 v[4:5], v[4:5], v[106:107]
	v_add_f64_e32 v[12:13], v[12:13], v[112:113]
	v_fmac_f64_e32 v[102:103], v[10:11], v[82:83]
	v_fma_f64 v[82:83], v[8:9], v[82:83], -v[84:85]
	s_wait_loadcnt_dscnt 0x300
	v_mul_f64_e32 v[98:99], v[94:95], v[88:89]
	v_mul_f64_e32 v[88:89], v[96:97], v[88:89]
	v_add_f64_e32 v[4:5], v[4:5], v[78:79]
	v_add_f64_e32 v[12:13], v[12:13], v[104:105]
	ds_load_b128 v[8:11], v2 offset:976
	ds_load_b128 v[78:81], v2 offset:992
	s_wait_loadcnt_dscnt 0x201
	v_mul_f64_e32 v[84:85], v[8:9], v[92:93]
	v_mul_f64_e32 v[92:93], v[10:11], v[92:93]
	v_fmac_f64_e32 v[98:99], v[96:97], v[86:87]
	v_fma_f64 v[86:87], v[94:95], v[86:87], -v[88:89]
	s_wait_loadcnt_dscnt 0x100
	v_mul_f64_e32 v[88:89], v[80:81], v[116:117]
	v_add_f64_e32 v[4:5], v[4:5], v[82:83]
	v_add_f64_e32 v[12:13], v[12:13], v[102:103]
	v_mul_f64_e32 v[82:83], v[78:79], v[116:117]
	v_fmac_f64_e32 v[84:85], v[10:11], v[90:91]
	v_fma_f64 v[90:91], v[8:9], v[90:91], -v[92:93]
	ds_load_b128 v[8:11], v2 offset:1008
	v_fma_f64 v[78:79], v[78:79], v[114:115], -v[88:89]
	v_add_f64_e32 v[4:5], v[4:5], v[86:87]
	v_add_f64_e32 v[12:13], v[12:13], v[98:99]
	v_fmac_f64_e32 v[82:83], v[80:81], v[114:115]
	s_wait_loadcnt_dscnt 0x0
	v_mul_f64_e32 v[86:87], v[8:9], v[128:129]
	v_mul_f64_e32 v[92:93], v[10:11], v[128:129]
	v_add_f64_e32 v[4:5], v[4:5], v[90:91]
	v_add_f64_e32 v[12:13], v[12:13], v[84:85]
	s_delay_alu instid0(VALU_DEP_4) | instskip(NEXT) | instid1(VALU_DEP_4)
	v_fmac_f64_e32 v[86:87], v[10:11], v[126:127]
	v_fma_f64 v[8:9], v[8:9], v[126:127], -v[92:93]
	s_delay_alu instid0(VALU_DEP_4) | instskip(NEXT) | instid1(VALU_DEP_4)
	v_add_f64_e32 v[4:5], v[4:5], v[78:79]
	v_add_f64_e32 v[10:11], v[12:13], v[82:83]
	s_delay_alu instid0(VALU_DEP_2) | instskip(NEXT) | instid1(VALU_DEP_2)
	v_add_f64_e32 v[4:5], v[4:5], v[8:9]
	v_add_f64_e32 v[10:11], v[10:11], v[86:87]
	s_delay_alu instid0(VALU_DEP_2) | instskip(NEXT) | instid1(VALU_DEP_2)
	v_add_f64_e64 v[8:9], v[122:123], -v[4:5]
	v_add_f64_e64 v[10:11], v[124:125], -v[10:11]
	scratch_store_b128 off, v[8:11], off offset:32
	s_wait_xcnt 0x0
	v_cmpx_lt_u32_e32 1, v1
	s_cbranch_execz .LBB31_203
; %bb.202:
	scratch_load_b128 v[8:11], off, s31
	v_dual_mov_b32 v3, v2 :: v_dual_mov_b32 v4, v2
	v_mov_b32_e32 v5, v2
	scratch_store_b128 off, v[2:5], off offset:16
	s_wait_loadcnt 0x0
	ds_store_b128 v6, v[8:11]
.LBB31_203:
	s_wait_xcnt 0x0
	s_or_b32 exec_lo, exec_lo, s2
	s_wait_storecnt_dscnt 0x0
	s_barrier_signal -1
	s_barrier_wait -1
	s_clause 0x9
	scratch_load_b128 v[8:11], off, off offset:32
	scratch_load_b128 v[78:81], off, off offset:48
	;; [unrolled: 1-line block ×10, first 2 shown]
	ds_load_b128 v[114:117], v2 offset:544
	s_clause 0x2
	scratch_load_b128 v[118:121], off, off offset:192
	scratch_load_b128 v[122:125], off, off offset:208
	;; [unrolled: 1-line block ×3, first 2 shown]
	s_mov_b32 s2, exec_lo
	s_wait_loadcnt_dscnt 0xc00
	v_mul_f64_e32 v[4:5], v[116:117], v[10:11]
	v_mul_f64_e32 v[130:131], v[114:115], v[10:11]
	ds_load_b128 v[10:13], v2 offset:560
	v_fma_f64 v[4:5], v[114:115], v[8:9], -v[4:5]
	v_fmac_f64_e32 v[130:131], v[116:117], v[8:9]
	ds_load_b128 v[114:117], v2 offset:576
	s_wait_loadcnt_dscnt 0xb01
	v_mul_f64_e32 v[132:133], v[10:11], v[80:81]
	v_mul_f64_e32 v[80:81], v[12:13], v[80:81]
	s_wait_loadcnt_dscnt 0xa00
	v_mul_f64_e32 v[134:135], v[114:115], v[84:85]
	v_mul_f64_e32 v[84:85], v[116:117], v[84:85]
	v_add_f64_e32 v[4:5], 0, v[4:5]
	v_add_f64_e32 v[130:131], 0, v[130:131]
	v_fmac_f64_e32 v[132:133], v[12:13], v[78:79]
	v_fma_f64 v[12:13], v[10:11], v[78:79], -v[80:81]
	ds_load_b128 v[8:11], v2 offset:592
	scratch_load_b128 v[78:81], off, off offset:240
	v_fmac_f64_e32 v[134:135], v[116:117], v[82:83]
	v_fma_f64 v[138:139], v[114:115], v[82:83], -v[84:85]
	ds_load_b128 v[82:85], v2 offset:608
	s_wait_loadcnt_dscnt 0xa01
	v_mul_f64_e32 v[136:137], v[8:9], v[88:89]
	v_mul_f64_e32 v[88:89], v[10:11], v[88:89]
	scratch_load_b128 v[114:117], off, off offset:256
	v_add_f64_e32 v[4:5], v[4:5], v[12:13]
	v_add_f64_e32 v[12:13], v[130:131], v[132:133]
	s_wait_loadcnt_dscnt 0xa00
	v_mul_f64_e32 v[130:131], v[82:83], v[92:93]
	v_mul_f64_e32 v[92:93], v[84:85], v[92:93]
	v_fmac_f64_e32 v[136:137], v[10:11], v[86:87]
	v_fma_f64 v[132:133], v[8:9], v[86:87], -v[88:89]
	ds_load_b128 v[8:11], v2 offset:624
	scratch_load_b128 v[86:89], off, off offset:272
	v_add_f64_e32 v[4:5], v[4:5], v[138:139]
	v_add_f64_e32 v[12:13], v[12:13], v[134:135]
	v_fmac_f64_e32 v[130:131], v[84:85], v[90:91]
	v_fma_f64 v[138:139], v[82:83], v[90:91], -v[92:93]
	ds_load_b128 v[82:85], v2 offset:640
	s_wait_loadcnt_dscnt 0xa01
	v_mul_f64_e32 v[134:135], v[8:9], v[96:97]
	v_mul_f64_e32 v[96:97], v[10:11], v[96:97]
	scratch_load_b128 v[90:93], off, off offset:288
	v_add_f64_e32 v[4:5], v[4:5], v[132:133]
	v_add_f64_e32 v[12:13], v[12:13], v[136:137]
	s_wait_loadcnt_dscnt 0xa00
	v_mul_f64_e32 v[132:133], v[82:83], v[100:101]
	v_mul_f64_e32 v[100:101], v[84:85], v[100:101]
	v_fmac_f64_e32 v[134:135], v[10:11], v[94:95]
	v_fma_f64 v[136:137], v[8:9], v[94:95], -v[96:97]
	ds_load_b128 v[8:11], v2 offset:656
	scratch_load_b128 v[94:97], off, off offset:304
	v_add_f64_e32 v[4:5], v[4:5], v[138:139]
	v_add_f64_e32 v[12:13], v[12:13], v[130:131]
	;; [unrolled: 18-line block ×5, first 2 shown]
	s_wait_loadcnt_dscnt 0xa00
	v_mul_f64_e32 v[138:139], v[8:9], v[80:81]
	v_mul_f64_e32 v[130:131], v[10:11], v[80:81]
	v_fmac_f64_e32 v[132:133], v[84:85], v[126:127]
	v_fma_f64 v[84:85], v[82:83], v[126:127], -v[128:129]
	ds_load_b128 v[80:83], v2 offset:768
	scratch_load_b128 v[126:129], off, off offset:416
	v_add_f64_e32 v[4:5], v[4:5], v[136:137]
	v_add_f64_e32 v[12:13], v[12:13], v[134:135]
	v_fmac_f64_e32 v[138:139], v[10:11], v[78:79]
	v_fma_f64 v[78:79], v[8:9], v[78:79], -v[130:131]
	ds_load_b128 v[8:11], v2 offset:784
	s_wait_loadcnt_dscnt 0xa01
	v_mul_f64_e32 v[134:135], v[80:81], v[116:117]
	v_mul_f64_e32 v[116:117], v[82:83], v[116:117]
	s_wait_loadcnt_dscnt 0x900
	v_mul_f64_e32 v[136:137], v[8:9], v[88:89]
	v_mul_f64_e32 v[88:89], v[10:11], v[88:89]
	v_add_f64_e32 v[4:5], v[4:5], v[84:85]
	v_add_f64_e32 v[12:13], v[12:13], v[132:133]
	scratch_load_b128 v[130:133], off, off offset:432
	v_fmac_f64_e32 v[134:135], v[82:83], v[114:115]
	v_fma_f64 v[114:115], v[80:81], v[114:115], -v[116:117]
	scratch_load_b128 v[82:85], off, off offset:448
	v_fmac_f64_e32 v[136:137], v[10:11], v[86:87]
	v_add_f64_e32 v[4:5], v[4:5], v[78:79]
	v_add_f64_e32 v[12:13], v[12:13], v[138:139]
	ds_load_b128 v[78:81], v2 offset:800
	v_fma_f64 v[138:139], v[8:9], v[86:87], -v[88:89]
	ds_load_b128 v[8:11], v2 offset:816
	scratch_load_b128 v[86:89], off, off offset:464
	s_wait_loadcnt_dscnt 0xb01
	v_mul_f64_e32 v[116:117], v[78:79], v[92:93]
	v_mul_f64_e32 v[92:93], v[80:81], v[92:93]
	v_add_f64_e32 v[4:5], v[4:5], v[114:115]
	v_add_f64_e32 v[12:13], v[12:13], v[134:135]
	s_wait_loadcnt_dscnt 0xa00
	v_mul_f64_e32 v[114:115], v[8:9], v[96:97]
	v_mul_f64_e32 v[96:97], v[10:11], v[96:97]
	v_fmac_f64_e32 v[116:117], v[80:81], v[90:91]
	v_fma_f64 v[134:135], v[78:79], v[90:91], -v[92:93]
	ds_load_b128 v[78:81], v2 offset:832
	scratch_load_b128 v[90:93], off, off offset:480
	v_add_f64_e32 v[4:5], v[4:5], v[138:139]
	v_add_f64_e32 v[12:13], v[12:13], v[136:137]
	v_fmac_f64_e32 v[114:115], v[10:11], v[94:95]
	v_fma_f64 v[138:139], v[8:9], v[94:95], -v[96:97]
	ds_load_b128 v[8:11], v2 offset:848
	scratch_load_b128 v[94:97], off, off offset:496
	s_wait_loadcnt_dscnt 0xb01
	v_mul_f64_e32 v[136:137], v[78:79], v[100:101]
	v_mul_f64_e32 v[100:101], v[80:81], v[100:101]
	v_add_f64_e32 v[4:5], v[4:5], v[134:135]
	v_add_f64_e32 v[12:13], v[12:13], v[116:117]
	s_delay_alu instid0(VALU_DEP_4) | instskip(NEXT) | instid1(VALU_DEP_4)
	v_fmac_f64_e32 v[136:137], v[80:81], v[98:99]
	v_fma_f64 v[98:99], v[78:79], v[98:99], -v[100:101]
	ds_load_b128 v[78:81], v2 offset:864
	v_add_f64_e32 v[4:5], v[4:5], v[138:139]
	v_add_f64_e32 v[12:13], v[12:13], v[114:115]
	s_wait_loadcnt_dscnt 0x900
	v_mul_f64_e32 v[114:115], v[78:79], v[108:109]
	v_mul_f64_e32 v[100:101], v[80:81], v[108:109]
	s_delay_alu instid0(VALU_DEP_4) | instskip(NEXT) | instid1(VALU_DEP_4)
	v_add_f64_e32 v[4:5], v[4:5], v[98:99]
	v_add_f64_e32 v[12:13], v[12:13], v[136:137]
	s_delay_alu instid0(VALU_DEP_4) | instskip(NEXT) | instid1(VALU_DEP_4)
	v_fmac_f64_e32 v[114:115], v[80:81], v[106:107]
	v_fma_f64 v[106:107], v[78:79], v[106:107], -v[100:101]
	scratch_load_b128 v[98:101], off, off offset:16
	v_mul_f64_e32 v[116:117], v[8:9], v[104:105]
	v_mul_f64_e32 v[104:105], v[10:11], v[104:105]
	ds_load_b128 v[78:81], v2 offset:896
	v_fmac_f64_e32 v[116:117], v[10:11], v[102:103]
	v_fma_f64 v[102:103], v[8:9], v[102:103], -v[104:105]
	ds_load_b128 v[8:11], v2 offset:880
	s_wait_loadcnt_dscnt 0x900
	v_mul_f64_e32 v[104:105], v[8:9], v[112:113]
	v_mul_f64_e32 v[108:109], v[10:11], v[112:113]
	s_wait_loadcnt 0x8
	v_mul_f64_e32 v[112:113], v[80:81], v[120:121]
	v_add_f64_e32 v[12:13], v[12:13], v[116:117]
	v_add_f64_e32 v[4:5], v[4:5], v[102:103]
	v_mul_f64_e32 v[102:103], v[78:79], v[120:121]
	v_fmac_f64_e32 v[104:105], v[10:11], v[110:111]
	v_fma_f64 v[108:109], v[8:9], v[110:111], -v[108:109]
	ds_load_b128 v[8:11], v2 offset:912
	v_fma_f64 v[112:113], v[78:79], v[118:119], -v[112:113]
	v_add_f64_e32 v[12:13], v[12:13], v[114:115]
	v_add_f64_e32 v[4:5], v[4:5], v[106:107]
	v_fmac_f64_e32 v[102:103], v[80:81], v[118:119]
	ds_load_b128 v[78:81], v2 offset:928
	s_wait_loadcnt_dscnt 0x701
	v_mul_f64_e32 v[106:107], v[8:9], v[124:125]
	v_mul_f64_e32 v[110:111], v[10:11], v[124:125]
	v_add_f64_e32 v[12:13], v[12:13], v[104:105]
	v_add_f64_e32 v[4:5], v[4:5], v[108:109]
	s_wait_loadcnt_dscnt 0x600
	v_mul_f64_e32 v[104:105], v[78:79], v[128:129]
	v_mul_f64_e32 v[108:109], v[80:81], v[128:129]
	v_fmac_f64_e32 v[106:107], v[10:11], v[122:123]
	v_fma_f64 v[110:111], v[8:9], v[122:123], -v[110:111]
	ds_load_b128 v[8:11], v2 offset:944
	v_add_f64_e32 v[12:13], v[12:13], v[102:103]
	v_add_f64_e32 v[4:5], v[4:5], v[112:113]
	v_fmac_f64_e32 v[104:105], v[80:81], v[126:127]
	v_fma_f64 v[108:109], v[78:79], v[126:127], -v[108:109]
	ds_load_b128 v[78:81], v2 offset:960
	s_wait_loadcnt_dscnt 0x501
	v_mul_f64_e32 v[102:103], v[8:9], v[132:133]
	v_mul_f64_e32 v[112:113], v[10:11], v[132:133]
	v_add_f64_e32 v[12:13], v[12:13], v[106:107]
	v_add_f64_e32 v[4:5], v[4:5], v[110:111]
	s_wait_loadcnt_dscnt 0x400
	v_mul_f64_e32 v[106:107], v[78:79], v[84:85]
	v_mul_f64_e32 v[84:85], v[80:81], v[84:85]
	v_fmac_f64_e32 v[102:103], v[10:11], v[130:131]
	v_fma_f64 v[110:111], v[8:9], v[130:131], -v[112:113]
	ds_load_b128 v[8:11], v2 offset:976
	v_add_f64_e32 v[12:13], v[12:13], v[104:105]
	v_add_f64_e32 v[4:5], v[4:5], v[108:109]
	v_fmac_f64_e32 v[106:107], v[80:81], v[82:83]
	v_fma_f64 v[82:83], v[78:79], v[82:83], -v[84:85]
	ds_load_b128 v[78:81], v2 offset:992
	s_wait_loadcnt_dscnt 0x301
	v_mul_f64_e32 v[104:105], v[8:9], v[88:89]
	v_mul_f64_e32 v[88:89], v[10:11], v[88:89]
	s_wait_loadcnt_dscnt 0x200
	v_mul_f64_e32 v[84:85], v[78:79], v[92:93]
	v_mul_f64_e32 v[92:93], v[80:81], v[92:93]
	v_add_f64_e32 v[12:13], v[12:13], v[102:103]
	v_add_f64_e32 v[4:5], v[4:5], v[110:111]
	v_fmac_f64_e32 v[104:105], v[10:11], v[86:87]
	v_fma_f64 v[8:9], v[8:9], v[86:87], -v[88:89]
	v_fmac_f64_e32 v[84:85], v[80:81], v[90:91]
	v_fma_f64 v[78:79], v[78:79], v[90:91], -v[92:93]
	v_add_f64_e32 v[12:13], v[12:13], v[106:107]
	v_add_f64_e32 v[10:11], v[4:5], v[82:83]
	ds_load_b128 v[2:5], v2 offset:1008
	s_wait_loadcnt_dscnt 0x100
	v_mul_f64_e32 v[82:83], v[2:3], v[96:97]
	v_mul_f64_e32 v[86:87], v[4:5], v[96:97]
	v_add_f64_e32 v[8:9], v[10:11], v[8:9]
	v_add_f64_e32 v[10:11], v[12:13], v[104:105]
	s_delay_alu instid0(VALU_DEP_4) | instskip(NEXT) | instid1(VALU_DEP_4)
	v_fmac_f64_e32 v[82:83], v[4:5], v[94:95]
	v_fma_f64 v[2:3], v[2:3], v[94:95], -v[86:87]
	s_delay_alu instid0(VALU_DEP_4) | instskip(NEXT) | instid1(VALU_DEP_4)
	v_add_f64_e32 v[4:5], v[8:9], v[78:79]
	v_add_f64_e32 v[8:9], v[10:11], v[84:85]
	s_delay_alu instid0(VALU_DEP_2) | instskip(NEXT) | instid1(VALU_DEP_2)
	v_add_f64_e32 v[2:3], v[4:5], v[2:3]
	v_add_f64_e32 v[4:5], v[8:9], v[82:83]
	s_wait_loadcnt 0x0
	s_delay_alu instid0(VALU_DEP_2) | instskip(NEXT) | instid1(VALU_DEP_2)
	v_add_f64_e64 v[2:3], v[98:99], -v[2:3]
	v_add_f64_e64 v[4:5], v[100:101], -v[4:5]
	scratch_store_b128 off, v[2:5], off offset:16
	s_wait_xcnt 0x0
	v_cmpx_ne_u32_e32 0, v1
	s_cbranch_execz .LBB31_205
; %bb.204:
	scratch_load_b128 v[2:5], off, off
	v_mov_b32_e32 v8, 0
	s_delay_alu instid0(VALU_DEP_1)
	v_dual_mov_b32 v9, v8 :: v_dual_mov_b32 v10, v8
	v_mov_b32_e32 v11, v8
	scratch_store_b128 off, v[8:11], off
	s_wait_loadcnt 0x0
	ds_store_b128 v6, v[2:5]
.LBB31_205:
	s_wait_xcnt 0x0
	s_or_b32 exec_lo, exec_lo, s2
	s_wait_storecnt_dscnt 0x0
	s_barrier_signal -1
	s_barrier_wait -1
	s_clause 0x9
	scratch_load_b128 v[2:5], off, off offset:16
	scratch_load_b128 v[6:9], off, off offset:32
	;; [unrolled: 1-line block ×10, first 2 shown]
	v_mov_b32_e32 v92, 0
	s_and_b32 vcc_lo, exec_lo, s44
	ds_load_b128 v[110:113], v92 offset:528
	s_clause 0x2
	scratch_load_b128 v[114:117], off, off offset:176
	scratch_load_b128 v[118:121], off, off
	scratch_load_b128 v[126:129], off, off offset:192
	s_wait_loadcnt_dscnt 0xc00
	v_mul_f64_e32 v[90:91], v[112:113], v[4:5]
	v_mul_f64_e32 v[134:135], v[110:111], v[4:5]
	ds_load_b128 v[122:125], v92 offset:544
	ds_load_b128 v[130:133], v92 offset:576
	v_fma_f64 v[90:91], v[110:111], v[2:3], -v[90:91]
	v_fmac_f64_e32 v[134:135], v[112:113], v[2:3]
	ds_load_b128 v[2:5], v92 offset:560
	s_wait_loadcnt_dscnt 0xb02
	v_mul_f64_e32 v[136:137], v[122:123], v[8:9]
	v_mul_f64_e32 v[8:9], v[124:125], v[8:9]
	scratch_load_b128 v[110:113], off, off offset:208
	s_wait_loadcnt_dscnt 0xb00
	v_mul_f64_e32 v[138:139], v[2:3], v[12:13]
	v_mul_f64_e32 v[12:13], v[4:5], v[12:13]
	v_add_f64_e32 v[90:91], 0, v[90:91]
	v_fmac_f64_e32 v[136:137], v[124:125], v[6:7]
	v_fma_f64 v[122:123], v[122:123], v[6:7], -v[8:9]
	v_add_f64_e32 v[124:125], 0, v[134:135]
	scratch_load_b128 v[6:9], off, off offset:224
	v_fmac_f64_e32 v[138:139], v[4:5], v[10:11]
	v_fma_f64 v[140:141], v[2:3], v[10:11], -v[12:13]
	ds_load_b128 v[2:5], v92 offset:592
	s_wait_loadcnt 0xb
	v_mul_f64_e32 v[134:135], v[130:131], v[80:81]
	v_mul_f64_e32 v[80:81], v[132:133], v[80:81]
	scratch_load_b128 v[10:13], off, off offset:240
	v_add_f64_e32 v[90:91], v[90:91], v[122:123]
	v_add_f64_e32 v[136:137], v[124:125], v[136:137]
	ds_load_b128 v[122:125], v92 offset:608
	s_wait_loadcnt_dscnt 0xb01
	v_mul_f64_e32 v[142:143], v[2:3], v[84:85]
	v_mul_f64_e32 v[84:85], v[4:5], v[84:85]
	v_fmac_f64_e32 v[134:135], v[132:133], v[78:79]
	v_fma_f64 v[130:131], v[130:131], v[78:79], -v[80:81]
	scratch_load_b128 v[78:81], off, off offset:256
	v_add_f64_e32 v[90:91], v[90:91], v[140:141]
	v_add_f64_e32 v[132:133], v[136:137], v[138:139]
	v_fmac_f64_e32 v[142:143], v[4:5], v[82:83]
	v_fma_f64 v[140:141], v[2:3], v[82:83], -v[84:85]
	ds_load_b128 v[2:5], v92 offset:624
	s_wait_loadcnt_dscnt 0xb01
	v_mul_f64_e32 v[136:137], v[122:123], v[88:89]
	v_mul_f64_e32 v[138:139], v[124:125], v[88:89]
	scratch_load_b128 v[82:85], off, off offset:272
	v_add_f64_e32 v[130:131], v[90:91], v[130:131]
	v_add_f64_e32 v[132:133], v[132:133], v[134:135]
	s_wait_loadcnt_dscnt 0xb00
	v_mul_f64_e32 v[134:135], v[2:3], v[96:97]
	v_mul_f64_e32 v[96:97], v[4:5], v[96:97]
	ds_load_b128 v[88:91], v92 offset:640
	v_fmac_f64_e32 v[136:137], v[124:125], v[86:87]
	v_fma_f64 v[86:87], v[122:123], v[86:87], -v[138:139]
	scratch_load_b128 v[122:125], off, off offset:288
	v_add_f64_e32 v[130:131], v[130:131], v[140:141]
	v_add_f64_e32 v[132:133], v[132:133], v[142:143]
	v_fmac_f64_e32 v[134:135], v[4:5], v[94:95]
	v_fma_f64 v[140:141], v[2:3], v[94:95], -v[96:97]
	ds_load_b128 v[2:5], v92 offset:656
	s_wait_loadcnt_dscnt 0xb01
	v_mul_f64_e32 v[138:139], v[88:89], v[100:101]
	v_mul_f64_e32 v[100:101], v[90:91], v[100:101]
	scratch_load_b128 v[94:97], off, off offset:304
	s_wait_loadcnt_dscnt 0xb00
	v_mul_f64_e32 v[142:143], v[2:3], v[104:105]
	v_add_f64_e32 v[86:87], v[130:131], v[86:87]
	v_add_f64_e32 v[136:137], v[132:133], v[136:137]
	ds_load_b128 v[130:133], v92 offset:672
	v_fmac_f64_e32 v[138:139], v[90:91], v[98:99]
	v_fma_f64 v[90:91], v[88:89], v[98:99], -v[100:101]
	v_mul_f64_e32 v[98:99], v[4:5], v[104:105]
	v_fmac_f64_e32 v[142:143], v[4:5], v[102:103]
	v_add_f64_e32 v[100:101], v[86:87], v[140:141]
	v_add_f64_e32 v[104:105], v[136:137], v[134:135]
	scratch_load_b128 v[86:89], off, off offset:320
	v_fma_f64 v[136:137], v[2:3], v[102:103], -v[98:99]
	ds_load_b128 v[2:5], v92 offset:688
	s_wait_loadcnt_dscnt 0xb01
	v_mul_f64_e32 v[134:135], v[130:131], v[108:109]
	v_mul_f64_e32 v[108:109], v[132:133], v[108:109]
	s_wait_loadcnt_dscnt 0xa00
	v_mul_f64_e32 v[140:141], v[2:3], v[116:117]
	v_mul_f64_e32 v[116:117], v[4:5], v[116:117]
	v_add_f64_e32 v[90:91], v[100:101], v[90:91]
	v_add_f64_e32 v[138:139], v[104:105], v[138:139]
	scratch_load_b128 v[98:101], off, off offset:336
	ds_load_b128 v[102:105], v92 offset:704
	v_fmac_f64_e32 v[134:135], v[132:133], v[106:107]
	v_fma_f64 v[130:131], v[130:131], v[106:107], -v[108:109]
	scratch_load_b128 v[106:109], off, off offset:352
	v_fmac_f64_e32 v[140:141], v[4:5], v[114:115]
	v_add_f64_e32 v[90:91], v[90:91], v[136:137]
	v_add_f64_e32 v[132:133], v[138:139], v[142:143]
	v_fma_f64 v[142:143], v[2:3], v[114:115], -v[116:117]
	ds_load_b128 v[2:5], v92 offset:720
	s_wait_loadcnt_dscnt 0xa01
	v_mul_f64_e32 v[136:137], v[102:103], v[128:129]
	v_mul_f64_e32 v[138:139], v[104:105], v[128:129]
	scratch_load_b128 v[114:117], off, off offset:368
	v_add_f64_e32 v[90:91], v[90:91], v[130:131]
	v_add_f64_e32 v[132:133], v[132:133], v[134:135]
	s_wait_loadcnt_dscnt 0xa00
	v_mul_f64_e32 v[144:145], v[2:3], v[112:113]
	v_mul_f64_e32 v[112:113], v[4:5], v[112:113]
	v_fmac_f64_e32 v[136:137], v[104:105], v[126:127]
	v_fma_f64 v[126:127], v[102:103], v[126:127], -v[138:139]
	ds_load_b128 v[128:131], v92 offset:736
	scratch_load_b128 v[102:105], off, off offset:384
	v_add_f64_e32 v[90:91], v[90:91], v[142:143]
	v_add_f64_e32 v[132:133], v[132:133], v[140:141]
	v_fmac_f64_e32 v[144:145], v[4:5], v[110:111]
	v_fma_f64 v[140:141], v[2:3], v[110:111], -v[112:113]
	ds_load_b128 v[2:5], v92 offset:752
	s_wait_loadcnt_dscnt 0xa01
	v_mul_f64_e32 v[138:139], v[128:129], v[8:9]
	v_mul_f64_e32 v[8:9], v[130:131], v[8:9]
	scratch_load_b128 v[110:113], off, off offset:400
	v_add_f64_e32 v[90:91], v[90:91], v[126:127]
	v_add_f64_e32 v[126:127], v[132:133], v[136:137]
	s_wait_loadcnt_dscnt 0xa00
	v_mul_f64_e32 v[136:137], v[2:3], v[12:13]
	v_mul_f64_e32 v[12:13], v[4:5], v[12:13]
	ds_load_b128 v[132:135], v92 offset:768
	v_fmac_f64_e32 v[138:139], v[130:131], v[6:7]
	v_fma_f64 v[128:129], v[128:129], v[6:7], -v[8:9]
	scratch_load_b128 v[6:9], off, off offset:416
	v_add_f64_e32 v[90:91], v[90:91], v[140:141]
	v_add_f64_e32 v[126:127], v[126:127], v[144:145]
	v_fmac_f64_e32 v[136:137], v[4:5], v[10:11]
	v_fma_f64 v[140:141], v[2:3], v[10:11], -v[12:13]
	ds_load_b128 v[2:5], v92 offset:784
	s_wait_loadcnt_dscnt 0xa01
	v_mul_f64_e32 v[130:131], v[132:133], v[80:81]
	v_mul_f64_e32 v[80:81], v[134:135], v[80:81]
	scratch_load_b128 v[10:13], off, off offset:432
	s_wait_loadcnt_dscnt 0xa00
	v_mul_f64_e32 v[142:143], v[2:3], v[84:85]
	v_mul_f64_e32 v[84:85], v[4:5], v[84:85]
	v_add_f64_e32 v[90:91], v[90:91], v[128:129]
	v_add_f64_e32 v[138:139], v[126:127], v[138:139]
	ds_load_b128 v[126:129], v92 offset:800
	v_fmac_f64_e32 v[130:131], v[134:135], v[78:79]
	v_fma_f64 v[132:133], v[132:133], v[78:79], -v[80:81]
	scratch_load_b128 v[78:81], off, off offset:448
	v_fmac_f64_e32 v[142:143], v[4:5], v[82:83]
	v_add_f64_e32 v[90:91], v[90:91], v[140:141]
	v_add_f64_e32 v[134:135], v[138:139], v[136:137]
	v_fma_f64 v[138:139], v[2:3], v[82:83], -v[84:85]
	ds_load_b128 v[2:5], v92 offset:816
	s_wait_loadcnt_dscnt 0xa01
	v_mul_f64_e32 v[136:137], v[126:127], v[124:125]
	v_mul_f64_e32 v[124:125], v[128:129], v[124:125]
	scratch_load_b128 v[82:85], off, off offset:464
	s_wait_loadcnt_dscnt 0xa00
	v_mul_f64_e32 v[140:141], v[2:3], v[96:97]
	v_mul_f64_e32 v[96:97], v[4:5], v[96:97]
	v_add_f64_e32 v[90:91], v[90:91], v[132:133]
	v_add_f64_e32 v[134:135], v[134:135], v[130:131]
	ds_load_b128 v[130:133], v92 offset:832
	v_fmac_f64_e32 v[136:137], v[128:129], v[122:123]
	v_fma_f64 v[126:127], v[126:127], v[122:123], -v[124:125]
	scratch_load_b128 v[122:125], off, off offset:480
	v_fmac_f64_e32 v[140:141], v[4:5], v[94:95]
	v_add_f64_e32 v[90:91], v[90:91], v[138:139]
	v_add_f64_e32 v[128:129], v[134:135], v[142:143]
	v_fma_f64 v[142:143], v[2:3], v[94:95], -v[96:97]
	ds_load_b128 v[2:5], v92 offset:848
	s_wait_loadcnt_dscnt 0xa01
	v_mul_f64_e32 v[134:135], v[130:131], v[88:89]
	v_mul_f64_e32 v[138:139], v[132:133], v[88:89]
	ds_load_b128 v[94:97], v92 offset:864
	v_add_f64_e32 v[126:127], v[90:91], v[126:127]
	v_add_f64_e32 v[128:129], v[128:129], v[136:137]
	scratch_load_b128 v[88:91], off, off offset:496
	s_wait_loadcnt_dscnt 0xa01
	v_mul_f64_e32 v[136:137], v[2:3], v[100:101]
	v_fmac_f64_e32 v[134:135], v[132:133], v[86:87]
	v_fma_f64 v[86:87], v[130:131], v[86:87], -v[138:139]
	v_mul_f64_e32 v[100:101], v[4:5], v[100:101]
	s_wait_loadcnt_dscnt 0x900
	v_mul_f64_e32 v[130:131], v[94:95], v[108:109]
	v_mul_f64_e32 v[108:109], v[96:97], v[108:109]
	v_add_f64_e32 v[126:127], v[126:127], v[142:143]
	v_add_f64_e32 v[128:129], v[128:129], v[140:141]
	v_fmac_f64_e32 v[136:137], v[4:5], v[98:99]
	v_fma_f64 v[132:133], v[2:3], v[98:99], -v[100:101]
	ds_load_b128 v[2:5], v92 offset:880
	ds_load_b128 v[98:101], v92 offset:896
	v_fmac_f64_e32 v[130:131], v[96:97], v[106:107]
	v_fma_f64 v[94:95], v[94:95], v[106:107], -v[108:109]
	v_add_f64_e32 v[86:87], v[126:127], v[86:87]
	v_add_f64_e32 v[126:127], v[128:129], v[134:135]
	s_wait_loadcnt_dscnt 0x801
	v_mul_f64_e32 v[128:129], v[2:3], v[116:117]
	v_mul_f64_e32 v[116:117], v[4:5], v[116:117]
	s_wait_loadcnt_dscnt 0x700
	v_mul_f64_e32 v[106:107], v[98:99], v[104:105]
	v_mul_f64_e32 v[104:105], v[100:101], v[104:105]
	v_add_f64_e32 v[86:87], v[86:87], v[132:133]
	v_add_f64_e32 v[96:97], v[126:127], v[136:137]
	v_fmac_f64_e32 v[128:129], v[4:5], v[114:115]
	v_fma_f64 v[108:109], v[2:3], v[114:115], -v[116:117]
	v_fmac_f64_e32 v[106:107], v[100:101], v[102:103]
	v_fma_f64 v[98:99], v[98:99], v[102:103], -v[104:105]
	v_add_f64_e32 v[86:87], v[86:87], v[94:95]
	v_add_f64_e32 v[114:115], v[96:97], v[130:131]
	ds_load_b128 v[2:5], v92 offset:912
	ds_load_b128 v[94:97], v92 offset:928
	s_wait_loadcnt_dscnt 0x601
	v_mul_f64_e32 v[116:117], v[2:3], v[112:113]
	v_mul_f64_e32 v[112:113], v[4:5], v[112:113]
	s_wait_loadcnt_dscnt 0x500
	v_mul_f64_e32 v[102:103], v[94:95], v[8:9]
	v_mul_f64_e32 v[8:9], v[96:97], v[8:9]
	v_add_f64_e32 v[86:87], v[86:87], v[108:109]
	v_add_f64_e32 v[100:101], v[114:115], v[128:129]
	v_fmac_f64_e32 v[116:117], v[4:5], v[110:111]
	v_fma_f64 v[104:105], v[2:3], v[110:111], -v[112:113]
	v_fmac_f64_e32 v[102:103], v[96:97], v[6:7]
	v_fma_f64 v[6:7], v[94:95], v[6:7], -v[8:9]
	v_add_f64_e32 v[86:87], v[86:87], v[98:99]
	v_add_f64_e32 v[106:107], v[100:101], v[106:107]
	ds_load_b128 v[2:5], v92 offset:944
	ds_load_b128 v[98:101], v92 offset:960
	;; [unrolled: 16-line block ×3, first 2 shown]
	s_wait_loadcnt_dscnt 0x201
	v_mul_f64_e32 v[96:97], v[2:3], v[84:85]
	v_mul_f64_e32 v[84:85], v[4:5], v[84:85]
	s_wait_loadcnt_dscnt 0x100
	v_mul_f64_e32 v[80:81], v[6:7], v[124:125]
	v_add_f64_e32 v[10:11], v[12:13], v[10:11]
	v_add_f64_e32 v[12:13], v[86:87], v[108:109]
	v_mul_f64_e32 v[86:87], v[8:9], v[124:125]
	v_fmac_f64_e32 v[96:97], v[4:5], v[82:83]
	v_fma_f64 v[82:83], v[2:3], v[82:83], -v[84:85]
	ds_load_b128 v[2:5], v92 offset:1008
	v_fmac_f64_e32 v[80:81], v[8:9], v[122:123]
	v_add_f64_e32 v[10:11], v[10:11], v[78:79]
	v_add_f64_e32 v[12:13], v[12:13], v[94:95]
	v_fma_f64 v[6:7], v[6:7], v[122:123], -v[86:87]
	v_lshl_add_u64 v[86:87], v[22:23], 4, s[4:5]
	v_lshl_add_u64 v[22:23], v[48:49], 4, s[4:5]
	;; [unrolled: 1-line block ×3, first 2 shown]
	s_wait_loadcnt_dscnt 0x0
	v_mul_f64_e32 v[78:79], v[2:3], v[90:91]
	v_mul_f64_e32 v[84:85], v[4:5], v[90:91]
	v_lshl_add_u64 v[90:91], v[20:21], 4, s[4:5]
	v_lshl_add_u64 v[20:21], v[46:47], 4, s[4:5]
	v_lshl_add_u64 v[46:47], v[72:73], 4, s[4:5]
	v_add_f64_e32 v[8:9], v[10:11], v[82:83]
	v_add_f64_e32 v[10:11], v[12:13], v[96:97]
	v_lshl_add_u64 v[82:83], v[28:29], 4, s[4:5]
	v_lshl_add_u64 v[12:13], v[42:43], 4, s[4:5]
	;; [unrolled: 1-line block ×4, first 2 shown]
	v_fmac_f64_e32 v[78:79], v[4:5], v[88:89]
	v_fma_f64 v[2:3], v[2:3], v[88:89], -v[84:85]
	v_lshl_add_u64 v[88:89], v[18:19], 4, s[4:5]
	v_lshl_add_u64 v[84:85], v[24:25], 4, s[4:5]
	;; [unrolled: 1-line block ×6, first 2 shown]
	v_add_f64_e32 v[4:5], v[8:9], v[6:7]
	v_add_f64_e32 v[6:7], v[10:11], v[80:81]
	v_lshl_add_u64 v[80:81], v[26:27], 4, s[4:5]
	v_lshl_add_u64 v[8:9], v[38:39], 4, s[4:5]
	;; [unrolled: 1-line block ×6, first 2 shown]
	v_add_f64_e32 v[2:3], v[4:5], v[2:3]
	v_add_f64_e32 v[4:5], v[6:7], v[78:79]
	v_lshl_add_u64 v[78:79], v[30:31], 4, s[4:5]
	v_lshl_add_u64 v[6:7], v[36:37], 4, s[4:5]
	;; [unrolled: 1-line block ×4, first 2 shown]
	v_add_f64_e64 v[94:95], v[118:119], -v[2:3]
	v_add_f64_e64 v[96:97], v[120:121], -v[4:5]
	v_lshl_add_u64 v[2:3], v[32:33], 4, s[4:5]
	v_lshl_add_u64 v[4:5], v[34:35], 4, s[4:5]
	;; [unrolled: 1-line block ×4, first 2 shown]
	scratch_store_b128 off, v[94:97], off
	s_cbranch_vccz .LBB31_268
; %bb.206:
	global_load_b32 v52, v92, s[16:17] offset:120
	s_load_b64 s[2:3], s[0:1], 0x4
	v_bfe_u32 v53, v0, 10, 10
	v_bfe_u32 v0, v0, 20, 10
	s_wait_kmcnt 0x0
	s_lshr_b32 s0, s2, 16
	s_delay_alu instid0(VALU_DEP_2) | instskip(SKIP_1) | instid1(SALU_CYCLE_1)
	v_mul_u32_u24_e32 v53, s3, v53
	s_mul_i32 s0, s0, s3
	v_mul_u32_u24_e32 v1, s0, v1
	s_delay_alu instid0(VALU_DEP_1) | instskip(NEXT) | instid1(VALU_DEP_1)
	v_add3_u32 v0, v1, v53, v0
	v_lshl_add_u32 v0, v0, 4, 0x408
	s_wait_loadcnt 0x0
	v_cmp_ne_u32_e32 vcc_lo, 31, v52
	s_cbranch_vccz .LBB31_208
; %bb.207:
	v_lshlrev_b32_e32 v1, 4, v52
	s_clause 0x1
	scratch_load_b128 v[52:55], off, s14
	scratch_load_b128 v[56:59], v1, off offset:-16
	s_wait_loadcnt 0x1
	ds_store_2addr_b64 v0, v[52:53], v[54:55] offset1:1
	s_wait_loadcnt 0x0
	s_clause 0x1
	scratch_store_b128 off, v[56:59], s14
	scratch_store_b128 v1, v[52:55], off offset:-16
.LBB31_208:
	s_wait_xcnt 0x0
	v_mov_b32_e32 v1, 0
	global_load_b32 v52, v1, s[16:17] offset:116
	s_wait_loadcnt 0x0
	v_cmp_eq_u32_e32 vcc_lo, 30, v52
	s_cbranch_vccnz .LBB31_210
; %bb.209:
	v_lshlrev_b32_e32 v52, 4, v52
	s_delay_alu instid0(VALU_DEP_1)
	v_mov_b32_e32 v60, v52
	s_clause 0x1
	scratch_load_b128 v[52:55], off, s12
	scratch_load_b128 v[56:59], v60, off offset:-16
	s_wait_loadcnt 0x1
	ds_store_2addr_b64 v0, v[52:53], v[54:55] offset1:1
	s_wait_loadcnt 0x0
	s_clause 0x1
	scratch_store_b128 off, v[56:59], s12
	scratch_store_b128 v60, v[52:55], off offset:-16
.LBB31_210:
	global_load_b32 v1, v1, s[16:17] offset:112
	s_wait_loadcnt 0x0
	v_cmp_eq_u32_e32 vcc_lo, 29, v1
	s_cbranch_vccnz .LBB31_212
; %bb.211:
	s_wait_xcnt 0x0
	v_lshlrev_b32_e32 v1, 4, v1
	s_clause 0x1
	scratch_load_b128 v[52:55], off, s22
	scratch_load_b128 v[56:59], v1, off offset:-16
	s_wait_loadcnt 0x1
	ds_store_2addr_b64 v0, v[52:53], v[54:55] offset1:1
	s_wait_loadcnt 0x0
	s_clause 0x1
	scratch_store_b128 off, v[56:59], s22
	scratch_store_b128 v1, v[52:55], off offset:-16
.LBB31_212:
	s_wait_xcnt 0x0
	v_mov_b32_e32 v1, 0
	global_load_b32 v52, v1, s[16:17] offset:108
	s_wait_loadcnt 0x0
	v_cmp_eq_u32_e32 vcc_lo, 28, v52
	s_cbranch_vccnz .LBB31_214
; %bb.213:
	v_lshlrev_b32_e32 v52, 4, v52
	s_delay_alu instid0(VALU_DEP_1)
	v_mov_b32_e32 v60, v52
	s_clause 0x1
	scratch_load_b128 v[52:55], off, s20
	scratch_load_b128 v[56:59], v60, off offset:-16
	s_wait_loadcnt 0x1
	ds_store_2addr_b64 v0, v[52:53], v[54:55] offset1:1
	s_wait_loadcnt 0x0
	s_clause 0x1
	scratch_store_b128 off, v[56:59], s20
	scratch_store_b128 v60, v[52:55], off offset:-16
.LBB31_214:
	global_load_b32 v1, v1, s[16:17] offset:104
	s_wait_loadcnt 0x0
	v_cmp_eq_u32_e32 vcc_lo, 27, v1
	s_cbranch_vccnz .LBB31_216
; %bb.215:
	s_wait_xcnt 0x0
	v_lshlrev_b32_e32 v1, 4, v1
	s_clause 0x1
	scratch_load_b128 v[52:55], off, s26
	scratch_load_b128 v[56:59], v1, off offset:-16
	s_wait_loadcnt 0x1
	ds_store_2addr_b64 v0, v[52:53], v[54:55] offset1:1
	s_wait_loadcnt 0x0
	s_clause 0x1
	scratch_store_b128 off, v[56:59], s26
	scratch_store_b128 v1, v[52:55], off offset:-16
.LBB31_216:
	;; [unrolled: 37-line block ×14, first 2 shown]
	s_wait_xcnt 0x0
	v_mov_b32_e32 v1, 0
	global_load_b32 v52, v1, s[16:17] offset:4
	s_wait_loadcnt 0x0
	v_cmp_eq_u32_e32 vcc_lo, 2, v52
	s_cbranch_vccnz .LBB31_266
; %bb.265:
	v_lshlrev_b32_e32 v52, 4, v52
	s_delay_alu instid0(VALU_DEP_1)
	v_mov_b32_e32 v60, v52
	s_clause 0x1
	scratch_load_b128 v[52:55], off, s31
	scratch_load_b128 v[56:59], v60, off offset:-16
	s_wait_loadcnt 0x1
	ds_store_2addr_b64 v0, v[52:53], v[54:55] offset1:1
	s_wait_loadcnt 0x0
	s_clause 0x1
	scratch_store_b128 off, v[56:59], s31
	scratch_store_b128 v60, v[52:55], off offset:-16
.LBB31_266:
	global_load_b32 v1, v1, s[16:17]
	s_wait_loadcnt 0x0
	v_cmp_eq_u32_e32 vcc_lo, 1, v1
	s_cbranch_vccnz .LBB31_268
; %bb.267:
	s_wait_xcnt 0x0
	v_lshlrev_b32_e32 v1, 4, v1
	scratch_load_b128 v[52:55], off, off
	scratch_load_b128 v[56:59], v1, off offset:-16
	s_wait_loadcnt 0x1
	ds_store_2addr_b64 v0, v[52:53], v[54:55] offset1:1
	s_wait_loadcnt 0x0
	scratch_store_b128 off, v[56:59], off
	scratch_store_b128 v1, v[52:55], off offset:-16
.LBB31_268:
	scratch_load_b128 v[52:55], off, off
	s_clause 0x10
	scratch_load_b128 v[56:59], off, s31
	scratch_load_b128 v[60:63], off, s27
	;; [unrolled: 1-line block ×15, first 2 shown]
	; meta instruction
	; meta instruction
	;; [unrolled: 1-line block ×15, first 2 shown]
	scratch_load_b128 v[132:135], off, s25
	scratch_load_b128 v[136:139], off, s28
	s_wait_loadcnt 0x11
	global_store_b128 v[14:15], v[52:55], off
	s_clause 0x1
	scratch_load_b128 v[52:55], off, s21
	scratch_load_b128 v[140:143], off, s23
	s_wait_loadcnt 0x12
	global_store_b128 v[16:17], v[56:59], off
	s_clause 0x1
	scratch_load_b128 v[14:17], off, s13
	scratch_load_b128 v[56:59], off, s15
	s_wait_loadcnt 0x13
	global_store_b128 v[88:89], v[60:63], off
	s_wait_loadcnt 0x12
	global_store_b128 v[90:91], v[64:67], off
	s_clause 0x1
	scratch_load_b128 v[60:63], off, s10
	scratch_load_b128 v[64:67], off, s11
	s_wait_loadcnt 0x13
	global_store_b128 v[86:87], v[68:71], off
	s_clause 0x1
	scratch_load_b128 v[68:71], off, s8
	scratch_load_b128 v[86:89], off, s9
	;; [unrolled: 5-line block ×3, first 2 shown]
	s_wait_loadcnt 0x15
	global_store_b128 v[80:81], v[92:95], off
	s_wait_loadcnt 0x14
	global_store_b128 v[82:83], v[96:99], off
	s_clause 0x1
	scratch_load_b128 v[80:83], off, s20
	scratch_load_b128 v[90:93], off, s22
	s_wait_loadcnt 0x15
	global_store_b128 v[78:79], v[100:103], off
	s_clause 0x1
	scratch_load_b128 v[76:79], off, s12
	scratch_load_b128 v[94:97], off, s14
	s_wait_loadcnt 0x16
	global_store_b128 v[2:3], v[104:107], off
	s_wait_loadcnt 0x15
	global_store_b128 v[4:5], v[108:111], off
	;; [unrolled: 2-line block ×21, first 2 shown]
	s_wait_loadcnt 0x0
	s_clause 0x1
	global_store_b128 v[48:49], v[94:97], off
	global_store_b128 v[50:51], v[136:139], off
	s_sendmsg sendmsg(MSG_DEALLOC_VGPRS)
	s_endpgm
	.section	.rodata,"a",@progbits
	.p2align	6, 0x0
	.amdhsa_kernel _ZN9rocsolver6v33100L18getri_kernel_smallILi32E19rocblas_complex_numIdEPS3_EEvT1_iilPiilS6_bb
		.amdhsa_group_segment_fixed_size 2056
		.amdhsa_private_segment_fixed_size 528
		.amdhsa_kernarg_size 60
		.amdhsa_user_sgpr_count 4
		.amdhsa_user_sgpr_dispatch_ptr 1
		.amdhsa_user_sgpr_queue_ptr 0
		.amdhsa_user_sgpr_kernarg_segment_ptr 1
		.amdhsa_user_sgpr_dispatch_id 0
		.amdhsa_user_sgpr_kernarg_preload_length 0
		.amdhsa_user_sgpr_kernarg_preload_offset 0
		.amdhsa_user_sgpr_private_segment_size 0
		.amdhsa_wavefront_size32 1
		.amdhsa_uses_dynamic_stack 0
		.amdhsa_enable_private_segment 1
		.amdhsa_system_sgpr_workgroup_id_x 1
		.amdhsa_system_sgpr_workgroup_id_y 0
		.amdhsa_system_sgpr_workgroup_id_z 0
		.amdhsa_system_sgpr_workgroup_info 0
		.amdhsa_system_vgpr_workitem_id 2
		.amdhsa_next_free_vgpr 148
		.amdhsa_next_free_sgpr 56
		.amdhsa_named_barrier_count 0
		.amdhsa_reserve_vcc 1
		.amdhsa_float_round_mode_32 0
		.amdhsa_float_round_mode_16_64 0
		.amdhsa_float_denorm_mode_32 3
		.amdhsa_float_denorm_mode_16_64 3
		.amdhsa_fp16_overflow 0
		.amdhsa_memory_ordered 1
		.amdhsa_forward_progress 1
		.amdhsa_inst_pref_size 255
		.amdhsa_round_robin_scheduling 0
		.amdhsa_exception_fp_ieee_invalid_op 0
		.amdhsa_exception_fp_denorm_src 0
		.amdhsa_exception_fp_ieee_div_zero 0
		.amdhsa_exception_fp_ieee_overflow 0
		.amdhsa_exception_fp_ieee_underflow 0
		.amdhsa_exception_fp_ieee_inexact 0
		.amdhsa_exception_int_div_zero 0
	.end_amdhsa_kernel
	.section	.text._ZN9rocsolver6v33100L18getri_kernel_smallILi32E19rocblas_complex_numIdEPS3_EEvT1_iilPiilS6_bb,"axG",@progbits,_ZN9rocsolver6v33100L18getri_kernel_smallILi32E19rocblas_complex_numIdEPS3_EEvT1_iilPiilS6_bb,comdat
.Lfunc_end31:
	.size	_ZN9rocsolver6v33100L18getri_kernel_smallILi32E19rocblas_complex_numIdEPS3_EEvT1_iilPiilS6_bb, .Lfunc_end31-_ZN9rocsolver6v33100L18getri_kernel_smallILi32E19rocblas_complex_numIdEPS3_EEvT1_iilPiilS6_bb
                                        ; -- End function
	.set _ZN9rocsolver6v33100L18getri_kernel_smallILi32E19rocblas_complex_numIdEPS3_EEvT1_iilPiilS6_bb.num_vgpr, 148
	.set _ZN9rocsolver6v33100L18getri_kernel_smallILi32E19rocblas_complex_numIdEPS3_EEvT1_iilPiilS6_bb.num_agpr, 0
	.set _ZN9rocsolver6v33100L18getri_kernel_smallILi32E19rocblas_complex_numIdEPS3_EEvT1_iilPiilS6_bb.numbered_sgpr, 56
	.set _ZN9rocsolver6v33100L18getri_kernel_smallILi32E19rocblas_complex_numIdEPS3_EEvT1_iilPiilS6_bb.num_named_barrier, 0
	.set _ZN9rocsolver6v33100L18getri_kernel_smallILi32E19rocblas_complex_numIdEPS3_EEvT1_iilPiilS6_bb.private_seg_size, 528
	.set _ZN9rocsolver6v33100L18getri_kernel_smallILi32E19rocblas_complex_numIdEPS3_EEvT1_iilPiilS6_bb.uses_vcc, 1
	.set _ZN9rocsolver6v33100L18getri_kernel_smallILi32E19rocblas_complex_numIdEPS3_EEvT1_iilPiilS6_bb.uses_flat_scratch, 1
	.set _ZN9rocsolver6v33100L18getri_kernel_smallILi32E19rocblas_complex_numIdEPS3_EEvT1_iilPiilS6_bb.has_dyn_sized_stack, 0
	.set _ZN9rocsolver6v33100L18getri_kernel_smallILi32E19rocblas_complex_numIdEPS3_EEvT1_iilPiilS6_bb.has_recursion, 0
	.set _ZN9rocsolver6v33100L18getri_kernel_smallILi32E19rocblas_complex_numIdEPS3_EEvT1_iilPiilS6_bb.has_indirect_call, 0
	.section	.AMDGPU.csdata,"",@progbits
; Kernel info:
; codeLenInByte = 45944
; TotalNumSgprs: 58
; NumVgprs: 148
; ScratchSize: 528
; MemoryBound: 0
; FloatMode: 240
; IeeeMode: 1
; LDSByteSize: 2056 bytes/workgroup (compile time only)
; SGPRBlocks: 0
; VGPRBlocks: 9
; NumSGPRsForWavesPerEU: 58
; NumVGPRsForWavesPerEU: 148
; NamedBarCnt: 0
; Occupancy: 6
; WaveLimiterHint : 1
; COMPUTE_PGM_RSRC2:SCRATCH_EN: 1
; COMPUTE_PGM_RSRC2:USER_SGPR: 4
; COMPUTE_PGM_RSRC2:TRAP_HANDLER: 0
; COMPUTE_PGM_RSRC2:TGID_X_EN: 1
; COMPUTE_PGM_RSRC2:TGID_Y_EN: 0
; COMPUTE_PGM_RSRC2:TGID_Z_EN: 0
; COMPUTE_PGM_RSRC2:TIDIG_COMP_CNT: 2
	.section	.text._ZN9rocsolver6v33100L18getri_kernel_smallILi33E19rocblas_complex_numIdEPS3_EEvT1_iilPiilS6_bb,"axG",@progbits,_ZN9rocsolver6v33100L18getri_kernel_smallILi33E19rocblas_complex_numIdEPS3_EEvT1_iilPiilS6_bb,comdat
	.globl	_ZN9rocsolver6v33100L18getri_kernel_smallILi33E19rocblas_complex_numIdEPS3_EEvT1_iilPiilS6_bb ; -- Begin function _ZN9rocsolver6v33100L18getri_kernel_smallILi33E19rocblas_complex_numIdEPS3_EEvT1_iilPiilS6_bb
	.p2align	8
	.type	_ZN9rocsolver6v33100L18getri_kernel_smallILi33E19rocblas_complex_numIdEPS3_EEvT1_iilPiilS6_bb,@function
_ZN9rocsolver6v33100L18getri_kernel_smallILi33E19rocblas_complex_numIdEPS3_EEvT1_iilPiilS6_bb: ; @_ZN9rocsolver6v33100L18getri_kernel_smallILi33E19rocblas_complex_numIdEPS3_EEvT1_iilPiilS6_bb
; %bb.0:
	v_and_b32_e32 v1, 0x3ff, v0
	s_mov_b32 s4, exec_lo
	s_delay_alu instid0(VALU_DEP_1)
	v_cmpx_gt_u32_e32 33, v1
	s_cbranch_execz .LBB32_146
; %bb.1:
	s_clause 0x2
	s_load_b32 s8, s[2:3], 0x38
	s_load_b128 s[12:15], s[2:3], 0x10
	s_load_b128 s[4:7], s[2:3], 0x28
	s_getreg_b32 s11, hwreg(HW_REG_IB_STS2, 6, 4)
                                        ; implicit-def: $sgpr16_sgpr17
	s_wait_kmcnt 0x0
	s_bitcmp1_b32 s8, 8
	s_cselect_b32 s45, -1, 0
	s_bfe_u32 s9, ttmp6, 0x4000c
	s_and_b32 s10, ttmp6, 15
	s_add_co_i32 s9, s9, 1
	s_delay_alu instid0(SALU_CYCLE_1) | instskip(NEXT) | instid1(SALU_CYCLE_1)
	s_mul_i32 s9, ttmp9, s9
	s_add_co_i32 s10, s10, s9
	s_cmp_eq_u32 s11, 0
	s_cselect_b32 s18, ttmp9, s10
	s_bfe_u32 s8, s8, 0x10008
	s_ashr_i32 s19, s18, 31
	s_cmp_eq_u32 s8, 0
	s_cbranch_scc1 .LBB32_3
; %bb.2:
	s_load_b32 s8, s[2:3], 0x20
	s_mul_u64 s[4:5], s[4:5], s[18:19]
	s_delay_alu instid0(SALU_CYCLE_1) | instskip(NEXT) | instid1(SALU_CYCLE_1)
	s_lshl_b64 s[4:5], s[4:5], 2
	s_add_nc_u64 s[4:5], s[14:15], s[4:5]
	s_wait_kmcnt 0x0
	s_ashr_i32 s9, s8, 31
	s_delay_alu instid0(SALU_CYCLE_1) | instskip(NEXT) | instid1(SALU_CYCLE_1)
	s_lshl_b64 s[8:9], s[8:9], 2
	s_add_nc_u64 s[16:17], s[4:5], s[8:9]
.LBB32_3:
	s_clause 0x1
	s_load_b128 s[8:11], s[2:3], 0x0
	s_load_b32 s46, s[2:3], 0x38
	s_wait_xcnt 0x0
	s_mul_u64 s[2:3], s[12:13], s[18:19]
	s_movk_i32 s47, 0x150
	s_lshl_b64 s[2:3], s[2:3], 4
	s_movk_i32 s48, 0x160
	s_movk_i32 s49, 0x170
	;; [unrolled: 1-line block ×11, first 2 shown]
	s_mov_b32 s27, 16
	s_mov_b32 s22, 32
	;; [unrolled: 1-line block ×4, first 2 shown]
	s_wait_kmcnt 0x0
	v_add3_u32 v18, s11, s11, v1
	s_ashr_i32 s5, s10, 31
	s_mov_b32 s4, s10
	s_add_nc_u64 s[2:3], s[8:9], s[2:3]
	s_lshl_b64 s[4:5], s[4:5], 4
	v_dual_add_nc_u32 v20, s11, v18 :: v_dual_lshlrev_b32 v80, 4, v1
	s_add_nc_u64 s[4:5], s[2:3], s[4:5]
	s_ashr_i32 s3, s11, 31
	s_mov_b32 s2, s11
	s_delay_alu instid0(VALU_DEP_1)
	v_dual_mov_b32 v81, 0 :: v_dual_add_nc_u32 v22, s11, v20
	s_clause 0x1
	global_load_b128 v[2:5], v18, s[4:5] scale_offset
	global_load_b128 v[6:9], v20, s[4:5] scale_offset
	s_movk_i32 s36, 0x50
	s_movk_i32 s38, 0x60
	v_add_nc_u32_e32 v24, s11, v22
	v_add_nc_u64_e32 v[14:15], s[4:5], v[80:81]
	global_load_b128 v[10:13], v22, s[4:5] scale_offset
	s_movk_i32 s41, 0x70
	s_movk_i32 s34, 0x80
	v_add_nc_u32_e32 v26, s11, v24
	s_movk_i32 s35, 0x90
	s_movk_i32 s37, 0xa0
	v_lshl_add_u64 v[16:17], s[2:3], 4, v[14:15]
	s_movk_i32 s40, 0xb0
	v_add_nc_u32_e32 v28, s11, v26
	s_clause 0x1
	global_load_b128 v[72:75], v1, s[4:5] scale_offset
	global_load_b128 v[76:79], v[16:17], off
	s_movk_i32 s42, 0xc0
	s_movk_i32 s43, 0xd0
	v_add_nc_u32_e32 v30, s11, v28
	s_movk_i32 s44, 0xe0
	s_movk_i32 s39, 0xf0
	;; [unrolled: 1-line block ×4, first 2 shown]
	v_add_nc_u32_e32 v32, s11, v30
	s_clause 0x1
	global_load_b128 v[82:85], v24, s[4:5] scale_offset
	global_load_b128 v[86:89], v26, s[4:5] scale_offset
	s_movk_i32 s31, 0x120
	s_movk_i32 s28, 0x130
	;; [unrolled: 1-line block ×3, first 2 shown]
	v_add_nc_u32_e32 v34, s11, v32
	s_clause 0x2
	global_load_b128 v[90:93], v28, s[4:5] scale_offset
	global_load_b128 v[94:97], v30, s[4:5] scale_offset
	;; [unrolled: 1-line block ×3, first 2 shown]
	s_mov_b32 s23, s47
	s_mov_b32 s25, s48
	;; [unrolled: 1-line block ×3, first 2 shown]
	v_add_nc_u32_e32 v36, s11, v34
	s_mov_b32 s21, s50
	s_mov_b32 s12, s51
	;; [unrolled: 1-line block ×4, first 2 shown]
	v_add_nc_u32_e32 v38, s11, v36
	s_mov_b32 s10, s54
	s_mov_b32 s8, s55
	;; [unrolled: 1-line block ×4, first 2 shown]
	v_add_nc_u32_e32 v40, s11, v38
	s_bitcmp0_b32 s46, 0
	s_mov_b32 s3, -1
	s_delay_alu instid0(VALU_DEP_1) | instskip(SKIP_4) | instid1(VALU_DEP_1)
	v_add_nc_u32_e32 v42, s11, v40
	s_clause 0x1
	global_load_b128 v[102:105], v34, s[4:5] scale_offset
	global_load_b128 v[106:109], v36, s[4:5] scale_offset
	v_add_nc_u32_e32 v44, s11, v42
	v_add_nc_u32_e32 v46, s11, v44
	s_clause 0x3
	global_load_b128 v[110:113], v38, s[4:5] scale_offset
	global_load_b128 v[114:117], v40, s[4:5] scale_offset
	;; [unrolled: 1-line block ×4, first 2 shown]
	v_add_nc_u32_e32 v48, s11, v46
	s_delay_alu instid0(VALU_DEP_1) | instskip(NEXT) | instid1(VALU_DEP_1)
	v_add_nc_u32_e32 v50, s11, v48
	v_add_nc_u32_e32 v52, s11, v50
	s_delay_alu instid0(VALU_DEP_1) | instskip(NEXT) | instid1(VALU_DEP_1)
	v_add_nc_u32_e32 v54, s11, v52
	v_add_nc_u32_e32 v56, s11, v54
	s_delay_alu instid0(VALU_DEP_1)
	v_add_nc_u32_e32 v58, s11, v56
	s_clause 0x3
	global_load_b128 v[126:129], v46, s[4:5] scale_offset
	global_load_b128 v[130:133], v48, s[4:5] scale_offset
	;; [unrolled: 1-line block ×4, first 2 shown]
	s_wait_loadcnt 0x13
	scratch_store_b128 off, v[2:5], off offset:32
	s_wait_loadcnt 0x12
	scratch_store_b128 off, v[6:9], off offset:48
	v_add_nc_u32_e32 v60, s11, v58
	s_clause 0x1
	global_load_b128 v[2:5], v54, s[4:5] scale_offset
	global_load_b128 v[6:9], v56, s[4:5] scale_offset
	s_wait_loadcnt 0x13
	scratch_store_b128 off, v[10:13], off offset:64
	v_add_nc_u32_e32 v62, s11, v60
	s_wait_loadcnt 0x12
	scratch_store_b128 off, v[72:75], off
	s_wait_loadcnt 0x11
	scratch_store_b128 off, v[76:79], off offset:16
	v_add_nc_u32_e32 v64, s11, v62
	s_delay_alu instid0(VALU_DEP_1)
	v_add_nc_u32_e32 v66, s11, v64
	s_clause 0x1
	global_load_b128 v[10:13], v58, s[4:5] scale_offset
	global_load_b128 v[142:145], v60, s[4:5] scale_offset
	s_wait_loadcnt 0x12
	scratch_store_b128 off, v[82:85], off offset:80
	s_wait_loadcnt 0x11
	scratch_store_b128 off, v[86:89], off offset:96
	v_add_nc_u32_e32 v68, s11, v66
	s_delay_alu instid0(VALU_DEP_1)
	v_add_nc_u32_e32 v70, s11, v68
	s_clause 0x1
	global_load_b128 v[82:85], v62, s[4:5] scale_offset
	global_load_b128 v[86:89], v64, s[4:5] scale_offset
	s_wait_loadcnt 0x12
	scratch_store_b128 off, v[90:93], off offset:112
	s_wait_loadcnt 0x11
	scratch_store_b128 off, v[94:97], off offset:128
	;; [unrolled: 2-line block ×3, first 2 shown]
	s_clause 0x1
	global_load_b128 v[90:93], v66, s[4:5] scale_offset
	global_load_b128 v[94:97], v68, s[4:5] scale_offset
	v_add_nc_u32_e32 v72, s11, v70
	s_wait_loadcnt 0x11
	scratch_store_b128 off, v[102:105], off offset:160
	s_wait_loadcnt 0x10
	scratch_store_b128 off, v[106:109], off offset:176
	v_add_nc_u32_e32 v74, s11, v72
	s_delay_alu instid0(VALU_DEP_1) | instskip(NEXT) | instid1(VALU_DEP_1)
	v_add_nc_u32_e32 v76, s11, v74
	v_add_nc_u32_e32 v78, s11, v76
	s_clause 0x1
	global_load_b128 v[98:101], v70, s[4:5] scale_offset
	global_load_b128 v[102:105], v72, s[4:5] scale_offset
	s_wait_loadcnt 0x11
	scratch_store_b128 off, v[110:113], off offset:192
	s_wait_loadcnt 0x10
	scratch_store_b128 off, v[114:117], off offset:208
	s_clause 0x1
	global_load_b128 v[106:109], v74, s[4:5] scale_offset
	global_load_b128 v[110:113], v76, s[4:5] scale_offset
	s_mov_b32 s11, s57
	global_load_b128 v[114:117], v78, s[4:5] scale_offset
	s_wait_loadcnt 0x12
	scratch_store_b128 off, v[118:121], off offset:224
	s_wait_loadcnt 0x11
	scratch_store_b128 off, v[122:125], off offset:240
	;; [unrolled: 2-line block ×19, first 2 shown]
	s_cbranch_scc1 .LBB32_144
; %bb.4:
	v_cmp_eq_u32_e64 s2, 0, v1
	s_wait_xcnt 0x0
	s_and_saveexec_b32 s3, s2
; %bb.5:
	v_mov_b32_e32 v2, 0
	ds_store_b32 v2, v2 offset:1056
; %bb.6:
	s_or_b32 exec_lo, exec_lo, s3
	s_wait_storecnt_dscnt 0x0
	s_barrier_signal -1
	s_barrier_wait -1
	scratch_load_b128 v[2:5], v1, off scale_offset
	s_wait_loadcnt 0x0
	v_cmp_eq_f64_e32 vcc_lo, 0, v[2:3]
	v_cmp_eq_f64_e64 s3, 0, v[4:5]
	s_and_b32 s3, vcc_lo, s3
	s_delay_alu instid0(SALU_CYCLE_1)
	s_and_saveexec_b32 s46, s3
	s_cbranch_execz .LBB32_10
; %bb.7:
	v_mov_b32_e32 v2, 0
	s_mov_b32 s47, 0
	ds_load_b32 v3, v2 offset:1056
	s_wait_dscnt 0x0
	v_readfirstlane_b32 s3, v3
	v_add_nc_u32_e32 v3, 1, v1
	s_cmp_eq_u32 s3, 0
	s_delay_alu instid0(VALU_DEP_1) | instskip(SKIP_1) | instid1(SALU_CYCLE_1)
	v_cmp_gt_i32_e32 vcc_lo, s3, v3
	s_cselect_b32 s48, -1, 0
	s_or_b32 s48, s48, vcc_lo
	s_delay_alu instid0(SALU_CYCLE_1)
	s_and_b32 exec_lo, exec_lo, s48
	s_cbranch_execz .LBB32_10
; %bb.8:
	v_mov_b32_e32 v4, s3
.LBB32_9:                               ; =>This Inner Loop Header: Depth=1
	ds_cmpstore_rtn_b32 v4, v2, v3, v4 offset:1056
	s_wait_dscnt 0x0
	v_cmp_ne_u32_e32 vcc_lo, 0, v4
	v_cmp_le_i32_e64 s3, v4, v3
	s_and_b32 s3, vcc_lo, s3
	s_delay_alu instid0(SALU_CYCLE_1) | instskip(NEXT) | instid1(SALU_CYCLE_1)
	s_and_b32 s3, exec_lo, s3
	s_or_b32 s47, s3, s47
	s_delay_alu instid0(SALU_CYCLE_1)
	s_and_not1_b32 exec_lo, exec_lo, s47
	s_cbranch_execnz .LBB32_9
.LBB32_10:
	s_or_b32 exec_lo, exec_lo, s46
	v_mov_b32_e32 v2, 0
	s_barrier_signal -1
	s_barrier_wait -1
	ds_load_b32 v3, v2 offset:1056
	s_and_saveexec_b32 s3, s2
	s_cbranch_execz .LBB32_12
; %bb.11:
	s_lshl_b64 s[46:47], s[18:19], 2
	s_delay_alu instid0(SALU_CYCLE_1)
	s_add_nc_u64 s[46:47], s[6:7], s[46:47]
	s_wait_dscnt 0x0
	global_store_b32 v2, v3, s[46:47]
.LBB32_12:
	s_wait_xcnt 0x0
	s_or_b32 exec_lo, exec_lo, s3
	s_wait_dscnt 0x0
	v_cmp_ne_u32_e32 vcc_lo, 0, v3
	s_mov_b32 s3, 0
	s_cbranch_vccnz .LBB32_144
; %bb.13:
	v_lshl_add_u32 v19, v1, 4, 0
                                        ; implicit-def: $vgpr6_vgpr7
                                        ; implicit-def: $vgpr10_vgpr11
	scratch_load_b128 v[2:5], v19, off
	s_wait_loadcnt 0x0
	v_cmp_ngt_f64_e64 s3, |v[2:3]|, |v[4:5]|
	s_wait_xcnt 0x0
	s_and_saveexec_b32 s46, s3
	s_delay_alu instid0(SALU_CYCLE_1)
	s_xor_b32 s3, exec_lo, s46
	s_cbranch_execz .LBB32_15
; %bb.14:
	v_div_scale_f64 v[6:7], null, v[4:5], v[4:5], v[2:3]
	v_div_scale_f64 v[12:13], vcc_lo, v[2:3], v[4:5], v[2:3]
	s_delay_alu instid0(VALU_DEP_2) | instskip(SKIP_1) | instid1(TRANS32_DEP_1)
	v_rcp_f64_e32 v[8:9], v[6:7]
	v_nop
	v_fma_f64 v[10:11], -v[6:7], v[8:9], 1.0
	s_delay_alu instid0(VALU_DEP_1) | instskip(NEXT) | instid1(VALU_DEP_1)
	v_fmac_f64_e32 v[8:9], v[8:9], v[10:11]
	v_fma_f64 v[10:11], -v[6:7], v[8:9], 1.0
	s_delay_alu instid0(VALU_DEP_1) | instskip(NEXT) | instid1(VALU_DEP_1)
	v_fmac_f64_e32 v[8:9], v[8:9], v[10:11]
	v_mul_f64_e32 v[10:11], v[12:13], v[8:9]
	s_delay_alu instid0(VALU_DEP_1) | instskip(NEXT) | instid1(VALU_DEP_1)
	v_fma_f64 v[6:7], -v[6:7], v[10:11], v[12:13]
	v_div_fmas_f64 v[6:7], v[6:7], v[8:9], v[10:11]
	s_delay_alu instid0(VALU_DEP_1) | instskip(NEXT) | instid1(VALU_DEP_1)
	v_div_fixup_f64 v[6:7], v[6:7], v[4:5], v[2:3]
	v_fmac_f64_e32 v[4:5], v[2:3], v[6:7]
	s_delay_alu instid0(VALU_DEP_1) | instskip(SKIP_1) | instid1(VALU_DEP_2)
	v_div_scale_f64 v[2:3], null, v[4:5], v[4:5], 1.0
	v_div_scale_f64 v[12:13], vcc_lo, 1.0, v[4:5], 1.0
	v_rcp_f64_e32 v[8:9], v[2:3]
	v_nop
	s_delay_alu instid0(TRANS32_DEP_1) | instskip(NEXT) | instid1(VALU_DEP_1)
	v_fma_f64 v[10:11], -v[2:3], v[8:9], 1.0
	v_fmac_f64_e32 v[8:9], v[8:9], v[10:11]
	s_delay_alu instid0(VALU_DEP_1) | instskip(NEXT) | instid1(VALU_DEP_1)
	v_fma_f64 v[10:11], -v[2:3], v[8:9], 1.0
	v_fmac_f64_e32 v[8:9], v[8:9], v[10:11]
	s_delay_alu instid0(VALU_DEP_1) | instskip(NEXT) | instid1(VALU_DEP_1)
	v_mul_f64_e32 v[10:11], v[12:13], v[8:9]
	v_fma_f64 v[2:3], -v[2:3], v[10:11], v[12:13]
	s_delay_alu instid0(VALU_DEP_1) | instskip(NEXT) | instid1(VALU_DEP_1)
	v_div_fmas_f64 v[2:3], v[2:3], v[8:9], v[10:11]
	v_div_fixup_f64 v[8:9], v[2:3], v[4:5], 1.0
                                        ; implicit-def: $vgpr2_vgpr3
	s_delay_alu instid0(VALU_DEP_1) | instskip(SKIP_1) | instid1(VALU_DEP_2)
	v_mul_f64_e32 v[6:7], v[6:7], v[8:9]
	v_xor_b32_e32 v9, 0x80000000, v9
	v_xor_b32_e32 v11, 0x80000000, v7
	s_delay_alu instid0(VALU_DEP_3)
	v_mov_b32_e32 v10, v6
.LBB32_15:
	s_and_not1_saveexec_b32 s3, s3
	s_cbranch_execz .LBB32_17
; %bb.16:
	v_div_scale_f64 v[6:7], null, v[2:3], v[2:3], v[4:5]
	v_div_scale_f64 v[12:13], vcc_lo, v[4:5], v[2:3], v[4:5]
	s_delay_alu instid0(VALU_DEP_2) | instskip(SKIP_1) | instid1(TRANS32_DEP_1)
	v_rcp_f64_e32 v[8:9], v[6:7]
	v_nop
	v_fma_f64 v[10:11], -v[6:7], v[8:9], 1.0
	s_delay_alu instid0(VALU_DEP_1) | instskip(NEXT) | instid1(VALU_DEP_1)
	v_fmac_f64_e32 v[8:9], v[8:9], v[10:11]
	v_fma_f64 v[10:11], -v[6:7], v[8:9], 1.0
	s_delay_alu instid0(VALU_DEP_1) | instskip(NEXT) | instid1(VALU_DEP_1)
	v_fmac_f64_e32 v[8:9], v[8:9], v[10:11]
	v_mul_f64_e32 v[10:11], v[12:13], v[8:9]
	s_delay_alu instid0(VALU_DEP_1) | instskip(NEXT) | instid1(VALU_DEP_1)
	v_fma_f64 v[6:7], -v[6:7], v[10:11], v[12:13]
	v_div_fmas_f64 v[6:7], v[6:7], v[8:9], v[10:11]
	s_delay_alu instid0(VALU_DEP_1) | instskip(NEXT) | instid1(VALU_DEP_1)
	v_div_fixup_f64 v[8:9], v[6:7], v[2:3], v[4:5]
	v_fmac_f64_e32 v[2:3], v[4:5], v[8:9]
	s_delay_alu instid0(VALU_DEP_1) | instskip(NEXT) | instid1(VALU_DEP_1)
	v_div_scale_f64 v[4:5], null, v[2:3], v[2:3], 1.0
	v_rcp_f64_e32 v[6:7], v[4:5]
	v_nop
	s_delay_alu instid0(TRANS32_DEP_1) | instskip(NEXT) | instid1(VALU_DEP_1)
	v_fma_f64 v[10:11], -v[4:5], v[6:7], 1.0
	v_fmac_f64_e32 v[6:7], v[6:7], v[10:11]
	s_delay_alu instid0(VALU_DEP_1) | instskip(NEXT) | instid1(VALU_DEP_1)
	v_fma_f64 v[10:11], -v[4:5], v[6:7], 1.0
	v_fmac_f64_e32 v[6:7], v[6:7], v[10:11]
	v_div_scale_f64 v[10:11], vcc_lo, 1.0, v[2:3], 1.0
	s_delay_alu instid0(VALU_DEP_1) | instskip(NEXT) | instid1(VALU_DEP_1)
	v_mul_f64_e32 v[12:13], v[10:11], v[6:7]
	v_fma_f64 v[4:5], -v[4:5], v[12:13], v[10:11]
	s_delay_alu instid0(VALU_DEP_1) | instskip(NEXT) | instid1(VALU_DEP_1)
	v_div_fmas_f64 v[4:5], v[4:5], v[6:7], v[12:13]
	v_div_fixup_f64 v[6:7], v[4:5], v[2:3], 1.0
	s_delay_alu instid0(VALU_DEP_1)
	v_mul_f64_e64 v[8:9], v[8:9], -v[6:7]
	v_xor_b32_e32 v11, 0x80000000, v7
	v_mov_b32_e32 v10, v6
.LBB32_17:
	s_or_b32 exec_lo, exec_lo, s3
	s_clause 0x1
	scratch_store_b128 v19, v[6:9], off
	scratch_load_b128 v[2:5], off, s27
	v_xor_b32_e32 v13, 0x80000000, v9
	v_mov_b32_e32 v12, v8
	s_wait_xcnt 0x1
	v_add_nc_u32_e32 v6, 0x210, v80
	ds_store_b128 v80, v[10:13]
	s_wait_loadcnt 0x0
	ds_store_b128 v80, v[2:5] offset:528
	s_wait_storecnt_dscnt 0x0
	s_barrier_signal -1
	s_barrier_wait -1
	s_wait_xcnt 0x0
	s_and_saveexec_b32 s3, s2
	s_cbranch_execz .LBB32_19
; %bb.18:
	scratch_load_b128 v[2:5], v19, off
	ds_load_b128 v[8:11], v6
	v_mov_b32_e32 v7, 0
	ds_load_b128 v[82:85], v7 offset:16
	s_wait_loadcnt_dscnt 0x1
	v_mul_f64_e32 v[12:13], v[8:9], v[4:5]
	v_mul_f64_e32 v[4:5], v[10:11], v[4:5]
	s_delay_alu instid0(VALU_DEP_2) | instskip(NEXT) | instid1(VALU_DEP_2)
	v_fmac_f64_e32 v[12:13], v[10:11], v[2:3]
	v_fma_f64 v[2:3], v[8:9], v[2:3], -v[4:5]
	s_delay_alu instid0(VALU_DEP_2) | instskip(NEXT) | instid1(VALU_DEP_2)
	v_add_f64_e32 v[8:9], 0, v[12:13]
	v_add_f64_e32 v[2:3], 0, v[2:3]
	s_wait_dscnt 0x0
	s_delay_alu instid0(VALU_DEP_2) | instskip(NEXT) | instid1(VALU_DEP_2)
	v_mul_f64_e32 v[10:11], v[8:9], v[84:85]
	v_mul_f64_e32 v[4:5], v[2:3], v[84:85]
	s_delay_alu instid0(VALU_DEP_2) | instskip(NEXT) | instid1(VALU_DEP_2)
	v_fma_f64 v[2:3], v[2:3], v[82:83], -v[10:11]
	v_fmac_f64_e32 v[4:5], v[8:9], v[82:83]
	scratch_store_b128 off, v[2:5], off offset:16
.LBB32_19:
	s_wait_xcnt 0x0
	s_or_b32 exec_lo, exec_lo, s3
	s_wait_storecnt 0x0
	s_barrier_signal -1
	s_barrier_wait -1
	scratch_load_b128 v[2:5], off, s22
	s_mov_b32 s3, exec_lo
	s_wait_loadcnt 0x0
	ds_store_b128 v6, v[2:5]
	s_wait_dscnt 0x0
	s_barrier_signal -1
	s_barrier_wait -1
	v_cmpx_gt_u32_e32 2, v1
	s_cbranch_execz .LBB32_23
; %bb.20:
	scratch_load_b128 v[2:5], v19, off
	ds_load_b128 v[8:11], v6
	s_wait_loadcnt_dscnt 0x0
	v_mul_f64_e32 v[12:13], v[10:11], v[4:5]
	v_mul_f64_e32 v[82:83], v[8:9], v[4:5]
	s_delay_alu instid0(VALU_DEP_2) | instskip(NEXT) | instid1(VALU_DEP_2)
	v_fma_f64 v[4:5], v[8:9], v[2:3], -v[12:13]
	v_fmac_f64_e32 v[82:83], v[10:11], v[2:3]
	s_delay_alu instid0(VALU_DEP_2) | instskip(NEXT) | instid1(VALU_DEP_2)
	v_add_f64_e32 v[4:5], 0, v[4:5]
	v_add_f64_e32 v[2:3], 0, v[82:83]
	s_and_saveexec_b32 s46, s2
	s_cbranch_execz .LBB32_22
; %bb.21:
	scratch_load_b128 v[8:11], off, off offset:16
	v_mov_b32_e32 v7, 0
	ds_load_b128 v[82:85], v7 offset:544
	s_wait_loadcnt_dscnt 0x0
	v_mul_f64_e32 v[12:13], v[82:83], v[10:11]
	v_mul_f64_e32 v[10:11], v[84:85], v[10:11]
	s_delay_alu instid0(VALU_DEP_2) | instskip(NEXT) | instid1(VALU_DEP_2)
	v_fmac_f64_e32 v[12:13], v[84:85], v[8:9]
	v_fma_f64 v[8:9], v[82:83], v[8:9], -v[10:11]
	s_delay_alu instid0(VALU_DEP_2) | instskip(NEXT) | instid1(VALU_DEP_2)
	v_add_f64_e32 v[2:3], v[2:3], v[12:13]
	v_add_f64_e32 v[4:5], v[4:5], v[8:9]
.LBB32_22:
	s_or_b32 exec_lo, exec_lo, s46
	v_mov_b32_e32 v7, 0
	ds_load_b128 v[8:11], v7 offset:32
	s_wait_dscnt 0x0
	v_mul_f64_e32 v[82:83], v[2:3], v[10:11]
	v_mul_f64_e32 v[12:13], v[4:5], v[10:11]
	s_delay_alu instid0(VALU_DEP_2) | instskip(NEXT) | instid1(VALU_DEP_2)
	v_fma_f64 v[10:11], v[4:5], v[8:9], -v[82:83]
	v_fmac_f64_e32 v[12:13], v[2:3], v[8:9]
	scratch_store_b128 off, v[10:13], off offset:32
.LBB32_23:
	s_wait_xcnt 0x0
	s_or_b32 exec_lo, exec_lo, s3
	s_wait_storecnt 0x0
	s_barrier_signal -1
	s_barrier_wait -1
	scratch_load_b128 v[2:5], off, s24
	v_add_nc_u32_e32 v7, -1, v1
	s_mov_b32 s2, exec_lo
	s_wait_loadcnt 0x0
	ds_store_b128 v6, v[2:5]
	s_wait_dscnt 0x0
	s_barrier_signal -1
	s_barrier_wait -1
	v_cmpx_gt_u32_e32 3, v1
	s_cbranch_execz .LBB32_27
; %bb.24:
	v_dual_mov_b32 v10, v80 :: v_dual_add_nc_u32 v8, -1, v1
	v_mov_b64_e32 v[2:3], 0
	v_mov_b64_e32 v[4:5], 0
	v_add_nc_u32_e32 v9, 0x210, v80
	s_delay_alu instid0(VALU_DEP_4)
	v_or_b32_e32 v10, 8, v10
	s_mov_b32 s3, 0
.LBB32_25:                              ; =>This Inner Loop Header: Depth=1
	scratch_load_b128 v[82:85], v10, off offset:-8
	ds_load_b128 v[86:89], v9
	s_wait_xcnt 0x0
	v_dual_add_nc_u32 v9, 16, v9 :: v_dual_add_nc_u32 v10, 16, v10
	v_add_nc_u32_e32 v8, 1, v8
	s_delay_alu instid0(VALU_DEP_1) | instskip(SKIP_4) | instid1(VALU_DEP_2)
	v_cmp_lt_u32_e32 vcc_lo, 1, v8
	s_or_b32 s3, vcc_lo, s3
	s_wait_loadcnt_dscnt 0x0
	v_mul_f64_e32 v[12:13], v[88:89], v[84:85]
	v_mul_f64_e32 v[84:85], v[86:87], v[84:85]
	v_fma_f64 v[12:13], v[86:87], v[82:83], -v[12:13]
	s_delay_alu instid0(VALU_DEP_2) | instskip(NEXT) | instid1(VALU_DEP_2)
	v_fmac_f64_e32 v[84:85], v[88:89], v[82:83]
	v_add_f64_e32 v[4:5], v[4:5], v[12:13]
	s_delay_alu instid0(VALU_DEP_2)
	v_add_f64_e32 v[2:3], v[2:3], v[84:85]
	s_and_not1_b32 exec_lo, exec_lo, s3
	s_cbranch_execnz .LBB32_25
; %bb.26:
	s_or_b32 exec_lo, exec_lo, s3
	v_mov_b32_e32 v8, 0
	ds_load_b128 v[8:11], v8 offset:48
	s_wait_dscnt 0x0
	v_mul_f64_e32 v[82:83], v[2:3], v[10:11]
	v_mul_f64_e32 v[12:13], v[4:5], v[10:11]
	s_delay_alu instid0(VALU_DEP_2) | instskip(NEXT) | instid1(VALU_DEP_2)
	v_fma_f64 v[10:11], v[4:5], v[8:9], -v[82:83]
	v_fmac_f64_e32 v[12:13], v[2:3], v[8:9]
	scratch_store_b128 off, v[10:13], off offset:48
.LBB32_27:
	s_wait_xcnt 0x0
	s_or_b32 exec_lo, exec_lo, s2
	s_wait_storecnt 0x0
	s_barrier_signal -1
	s_barrier_wait -1
	scratch_load_b128 v[2:5], off, s26
	s_mov_b32 s2, exec_lo
	s_wait_loadcnt 0x0
	ds_store_b128 v6, v[2:5]
	s_wait_dscnt 0x0
	s_barrier_signal -1
	s_barrier_wait -1
	v_cmpx_gt_u32_e32 4, v1
	s_cbranch_execz .LBB32_31
; %bb.28:
	v_dual_mov_b32 v10, v80 :: v_dual_add_nc_u32 v8, -1, v1
	v_mov_b64_e32 v[2:3], 0
	v_mov_b64_e32 v[4:5], 0
	v_add_nc_u32_e32 v9, 0x210, v80
	s_delay_alu instid0(VALU_DEP_4)
	v_or_b32_e32 v10, 8, v10
	s_mov_b32 s3, 0
.LBB32_29:                              ; =>This Inner Loop Header: Depth=1
	scratch_load_b128 v[82:85], v10, off offset:-8
	ds_load_b128 v[86:89], v9
	s_wait_xcnt 0x0
	v_dual_add_nc_u32 v9, 16, v9 :: v_dual_add_nc_u32 v10, 16, v10
	v_add_nc_u32_e32 v8, 1, v8
	s_delay_alu instid0(VALU_DEP_1) | instskip(SKIP_4) | instid1(VALU_DEP_2)
	v_cmp_lt_u32_e32 vcc_lo, 2, v8
	s_or_b32 s3, vcc_lo, s3
	s_wait_loadcnt_dscnt 0x0
	v_mul_f64_e32 v[12:13], v[88:89], v[84:85]
	v_mul_f64_e32 v[84:85], v[86:87], v[84:85]
	v_fma_f64 v[12:13], v[86:87], v[82:83], -v[12:13]
	s_delay_alu instid0(VALU_DEP_2) | instskip(NEXT) | instid1(VALU_DEP_2)
	v_fmac_f64_e32 v[84:85], v[88:89], v[82:83]
	v_add_f64_e32 v[4:5], v[4:5], v[12:13]
	s_delay_alu instid0(VALU_DEP_2)
	v_add_f64_e32 v[2:3], v[2:3], v[84:85]
	s_and_not1_b32 exec_lo, exec_lo, s3
	s_cbranch_execnz .LBB32_29
; %bb.30:
	s_or_b32 exec_lo, exec_lo, s3
	v_mov_b32_e32 v8, 0
	ds_load_b128 v[8:11], v8 offset:64
	s_wait_dscnt 0x0
	v_mul_f64_e32 v[82:83], v[2:3], v[10:11]
	v_mul_f64_e32 v[12:13], v[4:5], v[10:11]
	s_delay_alu instid0(VALU_DEP_2) | instskip(NEXT) | instid1(VALU_DEP_2)
	v_fma_f64 v[10:11], v[4:5], v[8:9], -v[82:83]
	v_fmac_f64_e32 v[12:13], v[2:3], v[8:9]
	scratch_store_b128 off, v[10:13], off offset:64
.LBB32_31:
	s_wait_xcnt 0x0
	s_or_b32 exec_lo, exec_lo, s2
	s_wait_storecnt 0x0
	s_barrier_signal -1
	s_barrier_wait -1
	scratch_load_b128 v[2:5], off, s36
	;; [unrolled: 54-line block ×19, first 2 shown]
	s_mov_b32 s2, exec_lo
	s_wait_loadcnt 0x0
	ds_store_b128 v6, v[2:5]
	s_wait_dscnt 0x0
	s_barrier_signal -1
	s_barrier_wait -1
	v_cmpx_gt_u32_e32 22, v1
	s_cbranch_execz .LBB32_103
; %bb.100:
	v_dual_mov_b32 v10, v80 :: v_dual_add_nc_u32 v8, -1, v1
	v_mov_b64_e32 v[2:3], 0
	v_mov_b64_e32 v[4:5], 0
	v_add_nc_u32_e32 v9, 0x210, v80
	s_delay_alu instid0(VALU_DEP_4)
	v_or_b32_e32 v10, 8, v10
	s_mov_b32 s3, 0
.LBB32_101:                             ; =>This Inner Loop Header: Depth=1
	scratch_load_b128 v[82:85], v10, off offset:-8
	ds_load_b128 v[86:89], v9
	s_wait_xcnt 0x0
	v_dual_add_nc_u32 v9, 16, v9 :: v_dual_add_nc_u32 v10, 16, v10
	v_add_nc_u32_e32 v8, 1, v8
	s_delay_alu instid0(VALU_DEP_1) | instskip(SKIP_4) | instid1(VALU_DEP_2)
	v_cmp_lt_u32_e32 vcc_lo, 20, v8
	s_or_b32 s3, vcc_lo, s3
	s_wait_loadcnt_dscnt 0x0
	v_mul_f64_e32 v[12:13], v[88:89], v[84:85]
	v_mul_f64_e32 v[84:85], v[86:87], v[84:85]
	v_fma_f64 v[12:13], v[86:87], v[82:83], -v[12:13]
	s_delay_alu instid0(VALU_DEP_2) | instskip(NEXT) | instid1(VALU_DEP_2)
	v_fmac_f64_e32 v[84:85], v[88:89], v[82:83]
	v_add_f64_e32 v[4:5], v[4:5], v[12:13]
	s_delay_alu instid0(VALU_DEP_2)
	v_add_f64_e32 v[2:3], v[2:3], v[84:85]
	s_and_not1_b32 exec_lo, exec_lo, s3
	s_cbranch_execnz .LBB32_101
; %bb.102:
	s_or_b32 exec_lo, exec_lo, s3
	v_mov_b32_e32 v8, 0
	ds_load_b128 v[8:11], v8 offset:352
	s_wait_dscnt 0x0
	v_mul_f64_e32 v[82:83], v[2:3], v[10:11]
	v_mul_f64_e32 v[12:13], v[4:5], v[10:11]
	s_delay_alu instid0(VALU_DEP_2) | instskip(NEXT) | instid1(VALU_DEP_2)
	v_fma_f64 v[10:11], v[4:5], v[8:9], -v[82:83]
	v_fmac_f64_e32 v[12:13], v[2:3], v[8:9]
	scratch_store_b128 off, v[10:13], off offset:352
.LBB32_103:
	s_wait_xcnt 0x0
	s_or_b32 exec_lo, exec_lo, s2
	s_wait_storecnt 0x0
	s_barrier_signal -1
	s_barrier_wait -1
	scratch_load_b128 v[2:5], off, s20
	s_mov_b32 s2, exec_lo
	s_wait_loadcnt 0x0
	ds_store_b128 v6, v[2:5]
	s_wait_dscnt 0x0
	s_barrier_signal -1
	s_barrier_wait -1
	v_cmpx_gt_u32_e32 23, v1
	s_cbranch_execz .LBB32_107
; %bb.104:
	v_dual_mov_b32 v10, v80 :: v_dual_add_nc_u32 v8, -1, v1
	v_mov_b64_e32 v[2:3], 0
	v_mov_b64_e32 v[4:5], 0
	v_add_nc_u32_e32 v9, 0x210, v80
	s_delay_alu instid0(VALU_DEP_4)
	v_or_b32_e32 v10, 8, v10
	s_mov_b32 s3, 0
.LBB32_105:                             ; =>This Inner Loop Header: Depth=1
	scratch_load_b128 v[82:85], v10, off offset:-8
	ds_load_b128 v[86:89], v9
	s_wait_xcnt 0x0
	v_dual_add_nc_u32 v9, 16, v9 :: v_dual_add_nc_u32 v10, 16, v10
	v_add_nc_u32_e32 v8, 1, v8
	s_delay_alu instid0(VALU_DEP_1) | instskip(SKIP_4) | instid1(VALU_DEP_2)
	v_cmp_lt_u32_e32 vcc_lo, 21, v8
	s_or_b32 s3, vcc_lo, s3
	s_wait_loadcnt_dscnt 0x0
	v_mul_f64_e32 v[12:13], v[88:89], v[84:85]
	v_mul_f64_e32 v[84:85], v[86:87], v[84:85]
	v_fma_f64 v[12:13], v[86:87], v[82:83], -v[12:13]
	s_delay_alu instid0(VALU_DEP_2) | instskip(NEXT) | instid1(VALU_DEP_2)
	v_fmac_f64_e32 v[84:85], v[88:89], v[82:83]
	v_add_f64_e32 v[4:5], v[4:5], v[12:13]
	s_delay_alu instid0(VALU_DEP_2)
	v_add_f64_e32 v[2:3], v[2:3], v[84:85]
	s_and_not1_b32 exec_lo, exec_lo, s3
	s_cbranch_execnz .LBB32_105
; %bb.106:
	s_or_b32 exec_lo, exec_lo, s3
	v_mov_b32_e32 v8, 0
	ds_load_b128 v[8:11], v8 offset:368
	s_wait_dscnt 0x0
	v_mul_f64_e32 v[82:83], v[2:3], v[10:11]
	v_mul_f64_e32 v[12:13], v[4:5], v[10:11]
	s_delay_alu instid0(VALU_DEP_2) | instskip(NEXT) | instid1(VALU_DEP_2)
	v_fma_f64 v[10:11], v[4:5], v[8:9], -v[82:83]
	v_fmac_f64_e32 v[12:13], v[2:3], v[8:9]
	scratch_store_b128 off, v[10:13], off offset:368
.LBB32_107:
	s_wait_xcnt 0x0
	s_or_b32 exec_lo, exec_lo, s2
	s_wait_storecnt 0x0
	s_barrier_signal -1
	s_barrier_wait -1
	scratch_load_b128 v[2:5], off, s21
	;; [unrolled: 54-line block ×10, first 2 shown]
	s_mov_b32 s2, exec_lo
	s_wait_loadcnt 0x0
	ds_store_b128 v6, v[2:5]
	s_wait_dscnt 0x0
	s_barrier_signal -1
	s_barrier_wait -1
	v_cmpx_ne_u32_e32 32, v1
	s_cbranch_execz .LBB32_143
; %bb.140:
	v_mov_b32_e32 v8, v80
	v_mov_b64_e32 v[2:3], 0
	v_mov_b64_e32 v[4:5], 0
	s_mov_b32 s3, 0
	s_delay_alu instid0(VALU_DEP_3)
	v_or_b32_e32 v8, 8, v8
.LBB32_141:                             ; =>This Inner Loop Header: Depth=1
	scratch_load_b128 v[10:13], v8, off offset:-8
	ds_load_b128 v[80:83], v6
	v_dual_add_nc_u32 v7, 1, v7 :: v_dual_add_nc_u32 v6, 16, v6
	s_wait_xcnt 0x0
	v_add_nc_u32_e32 v8, 16, v8
	s_delay_alu instid0(VALU_DEP_2) | instskip(SKIP_4) | instid1(VALU_DEP_2)
	v_cmp_lt_u32_e32 vcc_lo, 30, v7
	s_or_b32 s3, vcc_lo, s3
	s_wait_loadcnt_dscnt 0x0
	v_mul_f64_e32 v[84:85], v[82:83], v[12:13]
	v_mul_f64_e32 v[12:13], v[80:81], v[12:13]
	v_fma_f64 v[80:81], v[80:81], v[10:11], -v[84:85]
	s_delay_alu instid0(VALU_DEP_2) | instskip(NEXT) | instid1(VALU_DEP_2)
	v_fmac_f64_e32 v[12:13], v[82:83], v[10:11]
	v_add_f64_e32 v[4:5], v[4:5], v[80:81]
	s_delay_alu instid0(VALU_DEP_2)
	v_add_f64_e32 v[2:3], v[2:3], v[12:13]
	s_and_not1_b32 exec_lo, exec_lo, s3
	s_cbranch_execnz .LBB32_141
; %bb.142:
	s_or_b32 exec_lo, exec_lo, s3
	v_mov_b32_e32 v6, 0
	ds_load_b128 v[6:9], v6 offset:512
	s_wait_dscnt 0x0
	v_mul_f64_e32 v[12:13], v[2:3], v[8:9]
	v_mul_f64_e32 v[10:11], v[4:5], v[8:9]
	s_delay_alu instid0(VALU_DEP_2) | instskip(NEXT) | instid1(VALU_DEP_2)
	v_fma_f64 v[8:9], v[4:5], v[6:7], -v[12:13]
	v_fmac_f64_e32 v[10:11], v[2:3], v[6:7]
	scratch_store_b128 off, v[8:11], off offset:512
.LBB32_143:
	s_wait_xcnt 0x0
	s_or_b32 exec_lo, exec_lo, s2
	s_mov_b32 s3, -1
	s_wait_storecnt 0x0
	s_barrier_signal -1
	s_barrier_wait -1
.LBB32_144:
	s_and_b32 vcc_lo, exec_lo, s3
	s_cbranch_vccz .LBB32_146
; %bb.145:
	s_wait_xcnt 0xc
	v_mov_b32_e32 v2, 0
	s_lshl_b64 s[2:3], s[18:19], 2
	s_delay_alu instid0(SALU_CYCLE_1)
	s_add_nc_u64 s[2:3], s[6:7], s[2:3]
	global_load_b32 v2, v2, s[2:3]
	s_wait_loadcnt 0x0
	v_cmp_ne_u32_e32 vcc_lo, 0, v2
	s_cbranch_vccz .LBB32_147
.LBB32_146:
	s_sendmsg sendmsg(MSG_DEALLOC_VGPRS)
	s_endpgm
.LBB32_147:
	s_wait_xcnt 0xc
	v_lshl_add_u32 v6, v1, 4, 0x210
	s_wait_xcnt 0x0
	s_mov_b32 s2, exec_lo
	v_cmpx_eq_u32_e32 32, v1
	s_cbranch_execz .LBB32_149
; %bb.148:
	scratch_load_b128 v[2:5], off, s11
	v_mov_b32_e32 v8, 0
	s_delay_alu instid0(VALU_DEP_1)
	v_dual_mov_b32 v9, v8 :: v_dual_mov_b32 v10, v8
	v_mov_b32_e32 v11, v8
	scratch_store_b128 off, v[8:11], off offset:496
	s_wait_loadcnt 0x0
	ds_store_b128 v6, v[2:5]
.LBB32_149:
	s_wait_xcnt 0x0
	s_or_b32 exec_lo, exec_lo, s2
	s_wait_storecnt_dscnt 0x0
	s_barrier_signal -1
	s_barrier_wait -1
	s_clause 0x1
	scratch_load_b128 v[8:11], off, off offset:512
	scratch_load_b128 v[80:83], off, off offset:496
	v_mov_b32_e32 v2, 0
	s_mov_b32 s2, exec_lo
	ds_load_b128 v[84:87], v2 offset:1040
	s_wait_loadcnt_dscnt 0x100
	v_mul_f64_e32 v[4:5], v[86:87], v[10:11]
	v_mul_f64_e32 v[10:11], v[84:85], v[10:11]
	s_delay_alu instid0(VALU_DEP_2) | instskip(NEXT) | instid1(VALU_DEP_2)
	v_fma_f64 v[4:5], v[84:85], v[8:9], -v[4:5]
	v_fmac_f64_e32 v[10:11], v[86:87], v[8:9]
	s_delay_alu instid0(VALU_DEP_2) | instskip(NEXT) | instid1(VALU_DEP_2)
	v_add_f64_e32 v[4:5], 0, v[4:5]
	v_add_f64_e32 v[10:11], 0, v[10:11]
	s_wait_loadcnt 0x0
	s_delay_alu instid0(VALU_DEP_2) | instskip(NEXT) | instid1(VALU_DEP_2)
	v_add_f64_e64 v[8:9], v[80:81], -v[4:5]
	v_add_f64_e64 v[10:11], v[82:83], -v[10:11]
	scratch_store_b128 off, v[8:11], off offset:496
	s_wait_xcnt 0x0
	v_cmpx_lt_u32_e32 30, v1
	s_cbranch_execz .LBB32_151
; %bb.150:
	scratch_load_b128 v[8:11], off, s15
	v_dual_mov_b32 v3, v2 :: v_dual_mov_b32 v4, v2
	v_mov_b32_e32 v5, v2
	scratch_store_b128 off, v[2:5], off offset:480
	s_wait_loadcnt 0x0
	ds_store_b128 v6, v[8:11]
.LBB32_151:
	s_wait_xcnt 0x0
	s_or_b32 exec_lo, exec_lo, s2
	s_wait_storecnt_dscnt 0x0
	s_barrier_signal -1
	s_barrier_wait -1
	s_clause 0x2
	scratch_load_b128 v[8:11], off, off offset:496
	scratch_load_b128 v[80:83], off, off offset:512
	;; [unrolled: 1-line block ×3, first 2 shown]
	ds_load_b128 v[88:91], v2 offset:1024
	ds_load_b128 v[2:5], v2 offset:1040
	s_mov_b32 s2, exec_lo
	s_wait_loadcnt_dscnt 0x201
	v_mul_f64_e32 v[12:13], v[90:91], v[10:11]
	v_mul_f64_e32 v[10:11], v[88:89], v[10:11]
	s_wait_loadcnt_dscnt 0x100
	v_mul_f64_e32 v[92:93], v[2:3], v[82:83]
	v_mul_f64_e32 v[82:83], v[4:5], v[82:83]
	s_delay_alu instid0(VALU_DEP_4) | instskip(NEXT) | instid1(VALU_DEP_4)
	v_fma_f64 v[12:13], v[88:89], v[8:9], -v[12:13]
	v_fmac_f64_e32 v[10:11], v[90:91], v[8:9]
	s_delay_alu instid0(VALU_DEP_4) | instskip(NEXT) | instid1(VALU_DEP_4)
	v_fmac_f64_e32 v[92:93], v[4:5], v[80:81]
	v_fma_f64 v[2:3], v[2:3], v[80:81], -v[82:83]
	s_delay_alu instid0(VALU_DEP_4) | instskip(NEXT) | instid1(VALU_DEP_4)
	v_add_f64_e32 v[4:5], 0, v[12:13]
	v_add_f64_e32 v[8:9], 0, v[10:11]
	s_delay_alu instid0(VALU_DEP_2) | instskip(NEXT) | instid1(VALU_DEP_2)
	v_add_f64_e32 v[2:3], v[4:5], v[2:3]
	v_add_f64_e32 v[4:5], v[8:9], v[92:93]
	s_wait_loadcnt 0x0
	s_delay_alu instid0(VALU_DEP_2) | instskip(NEXT) | instid1(VALU_DEP_2)
	v_add_f64_e64 v[2:3], v[84:85], -v[2:3]
	v_add_f64_e64 v[4:5], v[86:87], -v[4:5]
	scratch_store_b128 off, v[2:5], off offset:480
	s_wait_xcnt 0x0
	v_cmpx_lt_u32_e32 29, v1
	s_cbranch_execz .LBB32_153
; %bb.152:
	scratch_load_b128 v[2:5], off, s8
	v_mov_b32_e32 v8, 0
	s_delay_alu instid0(VALU_DEP_1)
	v_dual_mov_b32 v9, v8 :: v_dual_mov_b32 v10, v8
	v_mov_b32_e32 v11, v8
	scratch_store_b128 off, v[8:11], off offset:464
	s_wait_loadcnt 0x0
	ds_store_b128 v6, v[2:5]
.LBB32_153:
	s_wait_xcnt 0x0
	s_or_b32 exec_lo, exec_lo, s2
	s_wait_storecnt_dscnt 0x0
	s_barrier_signal -1
	s_barrier_wait -1
	s_clause 0x3
	scratch_load_b128 v[8:11], off, off offset:480
	scratch_load_b128 v[80:83], off, off offset:496
	;; [unrolled: 1-line block ×4, first 2 shown]
	v_mov_b32_e32 v2, 0
	ds_load_b128 v[92:95], v2 offset:1008
	ds_load_b128 v[96:99], v2 offset:1024
	s_mov_b32 s2, exec_lo
	s_wait_loadcnt_dscnt 0x301
	v_mul_f64_e32 v[4:5], v[94:95], v[10:11]
	v_mul_f64_e32 v[12:13], v[92:93], v[10:11]
	s_wait_loadcnt_dscnt 0x200
	v_mul_f64_e32 v[100:101], v[96:97], v[82:83]
	v_mul_f64_e32 v[82:83], v[98:99], v[82:83]
	s_delay_alu instid0(VALU_DEP_4) | instskip(NEXT) | instid1(VALU_DEP_4)
	v_fma_f64 v[4:5], v[92:93], v[8:9], -v[4:5]
	v_fmac_f64_e32 v[12:13], v[94:95], v[8:9]
	ds_load_b128 v[8:11], v2 offset:1040
	v_fmac_f64_e32 v[100:101], v[98:99], v[80:81]
	v_fma_f64 v[80:81], v[96:97], v[80:81], -v[82:83]
	s_wait_loadcnt_dscnt 0x100
	v_mul_f64_e32 v[92:93], v[8:9], v[86:87]
	v_mul_f64_e32 v[86:87], v[10:11], v[86:87]
	v_add_f64_e32 v[4:5], 0, v[4:5]
	v_add_f64_e32 v[12:13], 0, v[12:13]
	s_delay_alu instid0(VALU_DEP_4) | instskip(NEXT) | instid1(VALU_DEP_4)
	v_fmac_f64_e32 v[92:93], v[10:11], v[84:85]
	v_fma_f64 v[8:9], v[8:9], v[84:85], -v[86:87]
	s_delay_alu instid0(VALU_DEP_4) | instskip(NEXT) | instid1(VALU_DEP_4)
	v_add_f64_e32 v[4:5], v[4:5], v[80:81]
	v_add_f64_e32 v[10:11], v[12:13], v[100:101]
	s_delay_alu instid0(VALU_DEP_2) | instskip(NEXT) | instid1(VALU_DEP_2)
	v_add_f64_e32 v[4:5], v[4:5], v[8:9]
	v_add_f64_e32 v[10:11], v[10:11], v[92:93]
	s_wait_loadcnt 0x0
	s_delay_alu instid0(VALU_DEP_2) | instskip(NEXT) | instid1(VALU_DEP_2)
	v_add_f64_e64 v[8:9], v[88:89], -v[4:5]
	v_add_f64_e64 v[10:11], v[90:91], -v[10:11]
	scratch_store_b128 off, v[8:11], off offset:464
	s_wait_xcnt 0x0
	v_cmpx_lt_u32_e32 28, v1
	s_cbranch_execz .LBB32_155
; %bb.154:
	scratch_load_b128 v[8:11], off, s10
	v_dual_mov_b32 v3, v2 :: v_dual_mov_b32 v4, v2
	v_mov_b32_e32 v5, v2
	scratch_store_b128 off, v[2:5], off offset:448
	s_wait_loadcnt 0x0
	ds_store_b128 v6, v[8:11]
.LBB32_155:
	s_wait_xcnt 0x0
	s_or_b32 exec_lo, exec_lo, s2
	s_wait_storecnt_dscnt 0x0
	s_barrier_signal -1
	s_barrier_wait -1
	s_clause 0x4
	scratch_load_b128 v[8:11], off, off offset:464
	scratch_load_b128 v[80:83], off, off offset:480
	;; [unrolled: 1-line block ×5, first 2 shown]
	ds_load_b128 v[96:99], v2 offset:992
	ds_load_b128 v[100:103], v2 offset:1008
	s_mov_b32 s2, exec_lo
	s_wait_loadcnt_dscnt 0x401
	v_mul_f64_e32 v[4:5], v[98:99], v[10:11]
	v_mul_f64_e32 v[12:13], v[96:97], v[10:11]
	s_wait_loadcnt_dscnt 0x300
	v_mul_f64_e32 v[104:105], v[100:101], v[82:83]
	v_mul_f64_e32 v[82:83], v[102:103], v[82:83]
	s_delay_alu instid0(VALU_DEP_4) | instskip(NEXT) | instid1(VALU_DEP_4)
	v_fma_f64 v[96:97], v[96:97], v[8:9], -v[4:5]
	v_fmac_f64_e32 v[12:13], v[98:99], v[8:9]
	ds_load_b128 v[8:11], v2 offset:1024
	ds_load_b128 v[2:5], v2 offset:1040
	v_fmac_f64_e32 v[104:105], v[102:103], v[80:81]
	v_fma_f64 v[80:81], v[100:101], v[80:81], -v[82:83]
	s_wait_loadcnt_dscnt 0x201
	v_mul_f64_e32 v[98:99], v[8:9], v[86:87]
	v_mul_f64_e32 v[86:87], v[10:11], v[86:87]
	v_add_f64_e32 v[82:83], 0, v[96:97]
	v_add_f64_e32 v[12:13], 0, v[12:13]
	s_wait_loadcnt_dscnt 0x100
	v_mul_f64_e32 v[96:97], v[2:3], v[90:91]
	v_mul_f64_e32 v[90:91], v[4:5], v[90:91]
	v_fmac_f64_e32 v[98:99], v[10:11], v[84:85]
	v_fma_f64 v[8:9], v[8:9], v[84:85], -v[86:87]
	v_add_f64_e32 v[10:11], v[82:83], v[80:81]
	v_add_f64_e32 v[12:13], v[12:13], v[104:105]
	v_fmac_f64_e32 v[96:97], v[4:5], v[88:89]
	v_fma_f64 v[2:3], v[2:3], v[88:89], -v[90:91]
	s_delay_alu instid0(VALU_DEP_4) | instskip(NEXT) | instid1(VALU_DEP_4)
	v_add_f64_e32 v[4:5], v[10:11], v[8:9]
	v_add_f64_e32 v[8:9], v[12:13], v[98:99]
	s_delay_alu instid0(VALU_DEP_2) | instskip(NEXT) | instid1(VALU_DEP_2)
	v_add_f64_e32 v[2:3], v[4:5], v[2:3]
	v_add_f64_e32 v[4:5], v[8:9], v[96:97]
	s_wait_loadcnt 0x0
	s_delay_alu instid0(VALU_DEP_2) | instskip(NEXT) | instid1(VALU_DEP_2)
	v_add_f64_e64 v[2:3], v[92:93], -v[2:3]
	v_add_f64_e64 v[4:5], v[94:95], -v[4:5]
	scratch_store_b128 off, v[2:5], off offset:448
	s_wait_xcnt 0x0
	v_cmpx_lt_u32_e32 27, v1
	s_cbranch_execz .LBB32_157
; %bb.156:
	scratch_load_b128 v[2:5], off, s9
	v_mov_b32_e32 v8, 0
	s_delay_alu instid0(VALU_DEP_1)
	v_dual_mov_b32 v9, v8 :: v_dual_mov_b32 v10, v8
	v_mov_b32_e32 v11, v8
	scratch_store_b128 off, v[8:11], off offset:432
	s_wait_loadcnt 0x0
	ds_store_b128 v6, v[2:5]
.LBB32_157:
	s_wait_xcnt 0x0
	s_or_b32 exec_lo, exec_lo, s2
	s_wait_storecnt_dscnt 0x0
	s_barrier_signal -1
	s_barrier_wait -1
	s_clause 0x5
	scratch_load_b128 v[8:11], off, off offset:448
	scratch_load_b128 v[80:83], off, off offset:464
	;; [unrolled: 1-line block ×6, first 2 shown]
	v_mov_b32_e32 v2, 0
	ds_load_b128 v[100:103], v2 offset:976
	ds_load_b128 v[104:107], v2 offset:992
	s_mov_b32 s2, exec_lo
	s_wait_loadcnt_dscnt 0x501
	v_mul_f64_e32 v[4:5], v[102:103], v[10:11]
	v_mul_f64_e32 v[12:13], v[100:101], v[10:11]
	s_wait_loadcnt_dscnt 0x400
	v_mul_f64_e32 v[108:109], v[104:105], v[82:83]
	v_mul_f64_e32 v[82:83], v[106:107], v[82:83]
	s_delay_alu instid0(VALU_DEP_4) | instskip(NEXT) | instid1(VALU_DEP_4)
	v_fma_f64 v[4:5], v[100:101], v[8:9], -v[4:5]
	v_fmac_f64_e32 v[12:13], v[102:103], v[8:9]
	ds_load_b128 v[8:11], v2 offset:1008
	ds_load_b128 v[100:103], v2 offset:1024
	v_fmac_f64_e32 v[108:109], v[106:107], v[80:81]
	v_fma_f64 v[80:81], v[104:105], v[80:81], -v[82:83]
	s_wait_loadcnt_dscnt 0x301
	v_mul_f64_e32 v[110:111], v[8:9], v[86:87]
	v_mul_f64_e32 v[86:87], v[10:11], v[86:87]
	s_wait_loadcnt_dscnt 0x200
	v_mul_f64_e32 v[82:83], v[100:101], v[90:91]
	v_mul_f64_e32 v[90:91], v[102:103], v[90:91]
	v_add_f64_e32 v[4:5], 0, v[4:5]
	v_add_f64_e32 v[12:13], 0, v[12:13]
	v_fmac_f64_e32 v[110:111], v[10:11], v[84:85]
	v_fma_f64 v[84:85], v[8:9], v[84:85], -v[86:87]
	ds_load_b128 v[8:11], v2 offset:1040
	v_fmac_f64_e32 v[82:83], v[102:103], v[88:89]
	v_fma_f64 v[88:89], v[100:101], v[88:89], -v[90:91]
	v_add_f64_e32 v[4:5], v[4:5], v[80:81]
	v_add_f64_e32 v[12:13], v[12:13], v[108:109]
	s_wait_loadcnt_dscnt 0x100
	v_mul_f64_e32 v[80:81], v[8:9], v[94:95]
	v_mul_f64_e32 v[86:87], v[10:11], v[94:95]
	s_delay_alu instid0(VALU_DEP_4) | instskip(NEXT) | instid1(VALU_DEP_4)
	v_add_f64_e32 v[4:5], v[4:5], v[84:85]
	v_add_f64_e32 v[12:13], v[12:13], v[110:111]
	s_delay_alu instid0(VALU_DEP_4) | instskip(NEXT) | instid1(VALU_DEP_4)
	v_fmac_f64_e32 v[80:81], v[10:11], v[92:93]
	v_fma_f64 v[8:9], v[8:9], v[92:93], -v[86:87]
	s_delay_alu instid0(VALU_DEP_4) | instskip(NEXT) | instid1(VALU_DEP_4)
	v_add_f64_e32 v[4:5], v[4:5], v[88:89]
	v_add_f64_e32 v[10:11], v[12:13], v[82:83]
	s_delay_alu instid0(VALU_DEP_2) | instskip(NEXT) | instid1(VALU_DEP_2)
	v_add_f64_e32 v[4:5], v[4:5], v[8:9]
	v_add_f64_e32 v[10:11], v[10:11], v[80:81]
	s_wait_loadcnt 0x0
	s_delay_alu instid0(VALU_DEP_2) | instskip(NEXT) | instid1(VALU_DEP_2)
	v_add_f64_e64 v[8:9], v[96:97], -v[4:5]
	v_add_f64_e64 v[10:11], v[98:99], -v[10:11]
	scratch_store_b128 off, v[8:11], off offset:432
	s_wait_xcnt 0x0
	v_cmpx_lt_u32_e32 26, v1
	s_cbranch_execz .LBB32_159
; %bb.158:
	scratch_load_b128 v[8:11], off, s14
	v_dual_mov_b32 v3, v2 :: v_dual_mov_b32 v4, v2
	v_mov_b32_e32 v5, v2
	scratch_store_b128 off, v[2:5], off offset:416
	s_wait_loadcnt 0x0
	ds_store_b128 v6, v[8:11]
.LBB32_159:
	s_wait_xcnt 0x0
	s_or_b32 exec_lo, exec_lo, s2
	s_wait_storecnt_dscnt 0x0
	s_barrier_signal -1
	s_barrier_wait -1
	s_clause 0x6
	scratch_load_b128 v[8:11], off, off offset:432
	scratch_load_b128 v[80:83], off, off offset:448
	scratch_load_b128 v[84:87], off, off offset:464
	scratch_load_b128 v[88:91], off, off offset:480
	scratch_load_b128 v[92:95], off, off offset:496
	scratch_load_b128 v[96:99], off, off offset:512
	scratch_load_b128 v[100:103], off, off offset:416
	ds_load_b128 v[104:107], v2 offset:960
	ds_load_b128 v[108:111], v2 offset:976
	s_mov_b32 s2, exec_lo
	s_wait_loadcnt_dscnt 0x601
	v_mul_f64_e32 v[4:5], v[106:107], v[10:11]
	v_mul_f64_e32 v[12:13], v[104:105], v[10:11]
	s_wait_loadcnt_dscnt 0x500
	v_mul_f64_e32 v[112:113], v[108:109], v[82:83]
	v_mul_f64_e32 v[82:83], v[110:111], v[82:83]
	s_delay_alu instid0(VALU_DEP_4) | instskip(NEXT) | instid1(VALU_DEP_4)
	v_fma_f64 v[4:5], v[104:105], v[8:9], -v[4:5]
	v_fmac_f64_e32 v[12:13], v[106:107], v[8:9]
	ds_load_b128 v[8:11], v2 offset:992
	ds_load_b128 v[104:107], v2 offset:1008
	v_fmac_f64_e32 v[112:113], v[110:111], v[80:81]
	v_fma_f64 v[80:81], v[108:109], v[80:81], -v[82:83]
	s_wait_loadcnt_dscnt 0x401
	v_mul_f64_e32 v[114:115], v[8:9], v[86:87]
	v_mul_f64_e32 v[86:87], v[10:11], v[86:87]
	s_wait_loadcnt_dscnt 0x300
	v_mul_f64_e32 v[82:83], v[104:105], v[90:91]
	v_mul_f64_e32 v[90:91], v[106:107], v[90:91]
	v_add_f64_e32 v[4:5], 0, v[4:5]
	v_add_f64_e32 v[12:13], 0, v[12:13]
	v_fmac_f64_e32 v[114:115], v[10:11], v[84:85]
	v_fma_f64 v[84:85], v[8:9], v[84:85], -v[86:87]
	v_fmac_f64_e32 v[82:83], v[106:107], v[88:89]
	v_fma_f64 v[88:89], v[104:105], v[88:89], -v[90:91]
	v_add_f64_e32 v[80:81], v[4:5], v[80:81]
	v_add_f64_e32 v[12:13], v[12:13], v[112:113]
	ds_load_b128 v[8:11], v2 offset:1024
	ds_load_b128 v[2:5], v2 offset:1040
	s_wait_loadcnt_dscnt 0x201
	v_mul_f64_e32 v[86:87], v[8:9], v[94:95]
	v_mul_f64_e32 v[94:95], v[10:11], v[94:95]
	s_wait_loadcnt_dscnt 0x100
	v_mul_f64_e32 v[90:91], v[4:5], v[98:99]
	v_add_f64_e32 v[80:81], v[80:81], v[84:85]
	v_add_f64_e32 v[12:13], v[12:13], v[114:115]
	v_mul_f64_e32 v[84:85], v[2:3], v[98:99]
	v_fmac_f64_e32 v[86:87], v[10:11], v[92:93]
	v_fma_f64 v[8:9], v[8:9], v[92:93], -v[94:95]
	v_fma_f64 v[2:3], v[2:3], v[96:97], -v[90:91]
	v_add_f64_e32 v[10:11], v[80:81], v[88:89]
	v_add_f64_e32 v[12:13], v[12:13], v[82:83]
	v_fmac_f64_e32 v[84:85], v[4:5], v[96:97]
	s_delay_alu instid0(VALU_DEP_3) | instskip(NEXT) | instid1(VALU_DEP_3)
	v_add_f64_e32 v[4:5], v[10:11], v[8:9]
	v_add_f64_e32 v[8:9], v[12:13], v[86:87]
	s_delay_alu instid0(VALU_DEP_2) | instskip(NEXT) | instid1(VALU_DEP_2)
	v_add_f64_e32 v[2:3], v[4:5], v[2:3]
	v_add_f64_e32 v[4:5], v[8:9], v[84:85]
	s_wait_loadcnt 0x0
	s_delay_alu instid0(VALU_DEP_2) | instskip(NEXT) | instid1(VALU_DEP_2)
	v_add_f64_e64 v[2:3], v[100:101], -v[2:3]
	v_add_f64_e64 v[4:5], v[102:103], -v[4:5]
	scratch_store_b128 off, v[2:5], off offset:416
	s_wait_xcnt 0x0
	v_cmpx_lt_u32_e32 25, v1
	s_cbranch_execz .LBB32_161
; %bb.160:
	scratch_load_b128 v[2:5], off, s12
	v_mov_b32_e32 v8, 0
	s_delay_alu instid0(VALU_DEP_1)
	v_dual_mov_b32 v9, v8 :: v_dual_mov_b32 v10, v8
	v_mov_b32_e32 v11, v8
	scratch_store_b128 off, v[8:11], off offset:400
	s_wait_loadcnt 0x0
	ds_store_b128 v6, v[2:5]
.LBB32_161:
	s_wait_xcnt 0x0
	s_or_b32 exec_lo, exec_lo, s2
	s_wait_storecnt_dscnt 0x0
	s_barrier_signal -1
	s_barrier_wait -1
	s_clause 0x7
	scratch_load_b128 v[8:11], off, off offset:416
	scratch_load_b128 v[80:83], off, off offset:432
	;; [unrolled: 1-line block ×8, first 2 shown]
	v_mov_b32_e32 v2, 0
	ds_load_b128 v[108:111], v2 offset:944
	ds_load_b128 v[112:115], v2 offset:960
	s_mov_b32 s2, exec_lo
	s_wait_loadcnt_dscnt 0x701
	v_mul_f64_e32 v[4:5], v[110:111], v[10:11]
	v_mul_f64_e32 v[12:13], v[108:109], v[10:11]
	s_wait_loadcnt_dscnt 0x600
	v_mul_f64_e32 v[116:117], v[112:113], v[82:83]
	v_mul_f64_e32 v[82:83], v[114:115], v[82:83]
	s_delay_alu instid0(VALU_DEP_4) | instskip(NEXT) | instid1(VALU_DEP_4)
	v_fma_f64 v[4:5], v[108:109], v[8:9], -v[4:5]
	v_fmac_f64_e32 v[12:13], v[110:111], v[8:9]
	ds_load_b128 v[8:11], v2 offset:976
	ds_load_b128 v[108:111], v2 offset:992
	v_fmac_f64_e32 v[116:117], v[114:115], v[80:81]
	v_fma_f64 v[80:81], v[112:113], v[80:81], -v[82:83]
	s_wait_loadcnt_dscnt 0x501
	v_mul_f64_e32 v[118:119], v[8:9], v[86:87]
	v_mul_f64_e32 v[86:87], v[10:11], v[86:87]
	s_wait_loadcnt_dscnt 0x400
	v_mul_f64_e32 v[112:113], v[108:109], v[90:91]
	v_mul_f64_e32 v[90:91], v[110:111], v[90:91]
	v_add_f64_e32 v[4:5], 0, v[4:5]
	v_add_f64_e32 v[12:13], 0, v[12:13]
	v_fmac_f64_e32 v[118:119], v[10:11], v[84:85]
	v_fma_f64 v[84:85], v[8:9], v[84:85], -v[86:87]
	v_fmac_f64_e32 v[112:113], v[110:111], v[88:89]
	v_fma_f64 v[88:89], v[108:109], v[88:89], -v[90:91]
	v_add_f64_e32 v[4:5], v[4:5], v[80:81]
	v_add_f64_e32 v[12:13], v[12:13], v[116:117]
	ds_load_b128 v[8:11], v2 offset:1008
	ds_load_b128 v[80:83], v2 offset:1024
	s_wait_loadcnt_dscnt 0x301
	v_mul_f64_e32 v[86:87], v[8:9], v[94:95]
	v_mul_f64_e32 v[94:95], v[10:11], v[94:95]
	s_wait_loadcnt_dscnt 0x200
	v_mul_f64_e32 v[90:91], v[82:83], v[98:99]
	v_add_f64_e32 v[4:5], v[4:5], v[84:85]
	v_add_f64_e32 v[12:13], v[12:13], v[118:119]
	v_mul_f64_e32 v[84:85], v[80:81], v[98:99]
	v_fmac_f64_e32 v[86:87], v[10:11], v[92:93]
	v_fma_f64 v[92:93], v[8:9], v[92:93], -v[94:95]
	ds_load_b128 v[8:11], v2 offset:1040
	v_fma_f64 v[80:81], v[80:81], v[96:97], -v[90:91]
	v_add_f64_e32 v[4:5], v[4:5], v[88:89]
	v_add_f64_e32 v[12:13], v[12:13], v[112:113]
	v_fmac_f64_e32 v[84:85], v[82:83], v[96:97]
	s_wait_loadcnt_dscnt 0x100
	v_mul_f64_e32 v[88:89], v[8:9], v[102:103]
	v_mul_f64_e32 v[94:95], v[10:11], v[102:103]
	v_add_f64_e32 v[4:5], v[4:5], v[92:93]
	v_add_f64_e32 v[12:13], v[12:13], v[86:87]
	s_delay_alu instid0(VALU_DEP_4) | instskip(NEXT) | instid1(VALU_DEP_4)
	v_fmac_f64_e32 v[88:89], v[10:11], v[100:101]
	v_fma_f64 v[8:9], v[8:9], v[100:101], -v[94:95]
	s_delay_alu instid0(VALU_DEP_4) | instskip(NEXT) | instid1(VALU_DEP_4)
	v_add_f64_e32 v[4:5], v[4:5], v[80:81]
	v_add_f64_e32 v[10:11], v[12:13], v[84:85]
	s_delay_alu instid0(VALU_DEP_2) | instskip(NEXT) | instid1(VALU_DEP_2)
	v_add_f64_e32 v[4:5], v[4:5], v[8:9]
	v_add_f64_e32 v[10:11], v[10:11], v[88:89]
	s_wait_loadcnt 0x0
	s_delay_alu instid0(VALU_DEP_2) | instskip(NEXT) | instid1(VALU_DEP_2)
	v_add_f64_e64 v[8:9], v[104:105], -v[4:5]
	v_add_f64_e64 v[10:11], v[106:107], -v[10:11]
	scratch_store_b128 off, v[8:11], off offset:400
	s_wait_xcnt 0x0
	v_cmpx_lt_u32_e32 24, v1
	s_cbranch_execz .LBB32_163
; %bb.162:
	scratch_load_b128 v[8:11], off, s21
	v_dual_mov_b32 v3, v2 :: v_dual_mov_b32 v4, v2
	v_mov_b32_e32 v5, v2
	scratch_store_b128 off, v[2:5], off offset:384
	s_wait_loadcnt 0x0
	ds_store_b128 v6, v[8:11]
.LBB32_163:
	s_wait_xcnt 0x0
	s_or_b32 exec_lo, exec_lo, s2
	s_wait_storecnt_dscnt 0x0
	s_barrier_signal -1
	s_barrier_wait -1
	s_clause 0x7
	scratch_load_b128 v[8:11], off, off offset:400
	scratch_load_b128 v[80:83], off, off offset:416
	;; [unrolled: 1-line block ×8, first 2 shown]
	ds_load_b128 v[108:111], v2 offset:928
	ds_load_b128 v[112:115], v2 offset:944
	scratch_load_b128 v[116:119], off, off offset:384
	s_mov_b32 s2, exec_lo
	s_wait_loadcnt_dscnt 0x801
	v_mul_f64_e32 v[4:5], v[110:111], v[10:11]
	v_mul_f64_e32 v[12:13], v[108:109], v[10:11]
	s_wait_loadcnt_dscnt 0x700
	v_mul_f64_e32 v[120:121], v[112:113], v[82:83]
	v_mul_f64_e32 v[82:83], v[114:115], v[82:83]
	s_delay_alu instid0(VALU_DEP_4) | instskip(NEXT) | instid1(VALU_DEP_4)
	v_fma_f64 v[4:5], v[108:109], v[8:9], -v[4:5]
	v_fmac_f64_e32 v[12:13], v[110:111], v[8:9]
	ds_load_b128 v[8:11], v2 offset:960
	ds_load_b128 v[108:111], v2 offset:976
	v_fmac_f64_e32 v[120:121], v[114:115], v[80:81]
	v_fma_f64 v[80:81], v[112:113], v[80:81], -v[82:83]
	s_wait_loadcnt_dscnt 0x601
	v_mul_f64_e32 v[122:123], v[8:9], v[86:87]
	v_mul_f64_e32 v[86:87], v[10:11], v[86:87]
	s_wait_loadcnt_dscnt 0x500
	v_mul_f64_e32 v[112:113], v[108:109], v[90:91]
	v_mul_f64_e32 v[90:91], v[110:111], v[90:91]
	v_add_f64_e32 v[4:5], 0, v[4:5]
	v_add_f64_e32 v[12:13], 0, v[12:13]
	v_fmac_f64_e32 v[122:123], v[10:11], v[84:85]
	v_fma_f64 v[84:85], v[8:9], v[84:85], -v[86:87]
	v_fmac_f64_e32 v[112:113], v[110:111], v[88:89]
	v_fma_f64 v[88:89], v[108:109], v[88:89], -v[90:91]
	v_add_f64_e32 v[4:5], v[4:5], v[80:81]
	v_add_f64_e32 v[12:13], v[12:13], v[120:121]
	ds_load_b128 v[8:11], v2 offset:992
	ds_load_b128 v[80:83], v2 offset:1008
	s_wait_loadcnt_dscnt 0x401
	v_mul_f64_e32 v[86:87], v[8:9], v[94:95]
	v_mul_f64_e32 v[94:95], v[10:11], v[94:95]
	s_wait_loadcnt_dscnt 0x300
	v_mul_f64_e32 v[90:91], v[82:83], v[98:99]
	v_add_f64_e32 v[4:5], v[4:5], v[84:85]
	v_add_f64_e32 v[12:13], v[12:13], v[122:123]
	v_mul_f64_e32 v[84:85], v[80:81], v[98:99]
	v_fmac_f64_e32 v[86:87], v[10:11], v[92:93]
	v_fma_f64 v[92:93], v[8:9], v[92:93], -v[94:95]
	v_fma_f64 v[80:81], v[80:81], v[96:97], -v[90:91]
	v_add_f64_e32 v[88:89], v[4:5], v[88:89]
	v_add_f64_e32 v[12:13], v[12:13], v[112:113]
	ds_load_b128 v[8:11], v2 offset:1024
	ds_load_b128 v[2:5], v2 offset:1040
	v_fmac_f64_e32 v[84:85], v[82:83], v[96:97]
	s_wait_loadcnt_dscnt 0x201
	v_mul_f64_e32 v[94:95], v[8:9], v[102:103]
	v_mul_f64_e32 v[98:99], v[10:11], v[102:103]
	v_add_f64_e32 v[82:83], v[88:89], v[92:93]
	v_add_f64_e32 v[12:13], v[12:13], v[86:87]
	s_wait_loadcnt_dscnt 0x100
	v_mul_f64_e32 v[86:87], v[2:3], v[106:107]
	v_mul_f64_e32 v[88:89], v[4:5], v[106:107]
	v_fmac_f64_e32 v[94:95], v[10:11], v[100:101]
	v_fma_f64 v[8:9], v[8:9], v[100:101], -v[98:99]
	v_add_f64_e32 v[10:11], v[82:83], v[80:81]
	v_add_f64_e32 v[12:13], v[12:13], v[84:85]
	v_fmac_f64_e32 v[86:87], v[4:5], v[104:105]
	v_fma_f64 v[2:3], v[2:3], v[104:105], -v[88:89]
	s_delay_alu instid0(VALU_DEP_4) | instskip(NEXT) | instid1(VALU_DEP_4)
	v_add_f64_e32 v[4:5], v[10:11], v[8:9]
	v_add_f64_e32 v[8:9], v[12:13], v[94:95]
	s_delay_alu instid0(VALU_DEP_2) | instskip(NEXT) | instid1(VALU_DEP_2)
	v_add_f64_e32 v[2:3], v[4:5], v[2:3]
	v_add_f64_e32 v[4:5], v[8:9], v[86:87]
	s_wait_loadcnt 0x0
	s_delay_alu instid0(VALU_DEP_2) | instskip(NEXT) | instid1(VALU_DEP_2)
	v_add_f64_e64 v[2:3], v[116:117], -v[2:3]
	v_add_f64_e64 v[4:5], v[118:119], -v[4:5]
	scratch_store_b128 off, v[2:5], off offset:384
	s_wait_xcnt 0x0
	v_cmpx_lt_u32_e32 23, v1
	s_cbranch_execz .LBB32_165
; %bb.164:
	scratch_load_b128 v[2:5], off, s20
	v_mov_b32_e32 v8, 0
	s_delay_alu instid0(VALU_DEP_1)
	v_dual_mov_b32 v9, v8 :: v_dual_mov_b32 v10, v8
	v_mov_b32_e32 v11, v8
	scratch_store_b128 off, v[8:11], off offset:368
	s_wait_loadcnt 0x0
	ds_store_b128 v6, v[2:5]
.LBB32_165:
	s_wait_xcnt 0x0
	s_or_b32 exec_lo, exec_lo, s2
	s_wait_storecnt_dscnt 0x0
	s_barrier_signal -1
	s_barrier_wait -1
	s_clause 0x8
	scratch_load_b128 v[8:11], off, off offset:384
	scratch_load_b128 v[80:83], off, off offset:400
	;; [unrolled: 1-line block ×9, first 2 shown]
	v_mov_b32_e32 v2, 0
	scratch_load_b128 v[116:119], off, off offset:368
	s_mov_b32 s2, exec_lo
	ds_load_b128 v[112:115], v2 offset:912
	ds_load_b128 v[120:123], v2 offset:928
	s_wait_loadcnt_dscnt 0x901
	v_mul_f64_e32 v[4:5], v[114:115], v[10:11]
	v_mul_f64_e32 v[12:13], v[112:113], v[10:11]
	s_wait_loadcnt_dscnt 0x800
	v_mul_f64_e32 v[124:125], v[120:121], v[82:83]
	v_mul_f64_e32 v[82:83], v[122:123], v[82:83]
	s_delay_alu instid0(VALU_DEP_4) | instskip(NEXT) | instid1(VALU_DEP_4)
	v_fma_f64 v[4:5], v[112:113], v[8:9], -v[4:5]
	v_fmac_f64_e32 v[12:13], v[114:115], v[8:9]
	ds_load_b128 v[8:11], v2 offset:944
	ds_load_b128 v[112:115], v2 offset:960
	v_fmac_f64_e32 v[124:125], v[122:123], v[80:81]
	v_fma_f64 v[80:81], v[120:121], v[80:81], -v[82:83]
	s_wait_loadcnt_dscnt 0x701
	v_mul_f64_e32 v[126:127], v[8:9], v[86:87]
	v_mul_f64_e32 v[86:87], v[10:11], v[86:87]
	s_wait_loadcnt_dscnt 0x600
	v_mul_f64_e32 v[120:121], v[112:113], v[90:91]
	v_mul_f64_e32 v[90:91], v[114:115], v[90:91]
	v_add_f64_e32 v[4:5], 0, v[4:5]
	v_add_f64_e32 v[12:13], 0, v[12:13]
	v_fmac_f64_e32 v[126:127], v[10:11], v[84:85]
	v_fma_f64 v[84:85], v[8:9], v[84:85], -v[86:87]
	v_fmac_f64_e32 v[120:121], v[114:115], v[88:89]
	v_fma_f64 v[88:89], v[112:113], v[88:89], -v[90:91]
	v_add_f64_e32 v[4:5], v[4:5], v[80:81]
	v_add_f64_e32 v[12:13], v[12:13], v[124:125]
	ds_load_b128 v[8:11], v2 offset:976
	ds_load_b128 v[80:83], v2 offset:992
	s_wait_loadcnt_dscnt 0x501
	v_mul_f64_e32 v[122:123], v[8:9], v[94:95]
	v_mul_f64_e32 v[86:87], v[10:11], v[94:95]
	s_wait_loadcnt_dscnt 0x400
	v_mul_f64_e32 v[90:91], v[80:81], v[98:99]
	v_mul_f64_e32 v[94:95], v[82:83], v[98:99]
	v_add_f64_e32 v[4:5], v[4:5], v[84:85]
	v_add_f64_e32 v[12:13], v[12:13], v[126:127]
	v_fmac_f64_e32 v[122:123], v[10:11], v[92:93]
	v_fma_f64 v[92:93], v[8:9], v[92:93], -v[86:87]
	ds_load_b128 v[8:11], v2 offset:1008
	ds_load_b128 v[84:87], v2 offset:1024
	v_fmac_f64_e32 v[90:91], v[82:83], v[96:97]
	v_fma_f64 v[80:81], v[80:81], v[96:97], -v[94:95]
	v_add_f64_e32 v[4:5], v[4:5], v[88:89]
	v_add_f64_e32 v[12:13], v[12:13], v[120:121]
	s_wait_loadcnt_dscnt 0x301
	v_mul_f64_e32 v[88:89], v[8:9], v[102:103]
	v_mul_f64_e32 v[98:99], v[10:11], v[102:103]
	s_wait_loadcnt_dscnt 0x200
	v_mul_f64_e32 v[82:83], v[84:85], v[106:107]
	v_add_f64_e32 v[4:5], v[4:5], v[92:93]
	v_add_f64_e32 v[12:13], v[12:13], v[122:123]
	v_mul_f64_e32 v[92:93], v[86:87], v[106:107]
	v_fmac_f64_e32 v[88:89], v[10:11], v[100:101]
	v_fma_f64 v[94:95], v[8:9], v[100:101], -v[98:99]
	ds_load_b128 v[8:11], v2 offset:1040
	v_fmac_f64_e32 v[82:83], v[86:87], v[104:105]
	v_add_f64_e32 v[4:5], v[4:5], v[80:81]
	v_add_f64_e32 v[12:13], v[12:13], v[90:91]
	s_wait_loadcnt_dscnt 0x100
	v_mul_f64_e32 v[80:81], v[8:9], v[110:111]
	v_mul_f64_e32 v[90:91], v[10:11], v[110:111]
	v_fma_f64 v[84:85], v[84:85], v[104:105], -v[92:93]
	v_add_f64_e32 v[4:5], v[4:5], v[94:95]
	v_add_f64_e32 v[12:13], v[12:13], v[88:89]
	v_fmac_f64_e32 v[80:81], v[10:11], v[108:109]
	v_fma_f64 v[8:9], v[8:9], v[108:109], -v[90:91]
	s_delay_alu instid0(VALU_DEP_4) | instskip(NEXT) | instid1(VALU_DEP_4)
	v_add_f64_e32 v[4:5], v[4:5], v[84:85]
	v_add_f64_e32 v[10:11], v[12:13], v[82:83]
	s_delay_alu instid0(VALU_DEP_2) | instskip(NEXT) | instid1(VALU_DEP_2)
	v_add_f64_e32 v[4:5], v[4:5], v[8:9]
	v_add_f64_e32 v[10:11], v[10:11], v[80:81]
	s_wait_loadcnt 0x0
	s_delay_alu instid0(VALU_DEP_2) | instskip(NEXT) | instid1(VALU_DEP_2)
	v_add_f64_e64 v[8:9], v[116:117], -v[4:5]
	v_add_f64_e64 v[10:11], v[118:119], -v[10:11]
	scratch_store_b128 off, v[8:11], off offset:368
	s_wait_xcnt 0x0
	v_cmpx_lt_u32_e32 22, v1
	s_cbranch_execz .LBB32_167
; %bb.166:
	scratch_load_b128 v[8:11], off, s25
	v_dual_mov_b32 v3, v2 :: v_dual_mov_b32 v4, v2
	v_mov_b32_e32 v5, v2
	scratch_store_b128 off, v[2:5], off offset:352
	s_wait_loadcnt 0x0
	ds_store_b128 v6, v[8:11]
.LBB32_167:
	s_wait_xcnt 0x0
	s_or_b32 exec_lo, exec_lo, s2
	s_wait_storecnt_dscnt 0x0
	s_barrier_signal -1
	s_barrier_wait -1
	s_clause 0x9
	scratch_load_b128 v[8:11], off, off offset:368
	scratch_load_b128 v[80:83], off, off offset:384
	;; [unrolled: 1-line block ×10, first 2 shown]
	ds_load_b128 v[116:119], v2 offset:896
	ds_load_b128 v[120:123], v2 offset:912
	scratch_load_b128 v[124:127], off, off offset:352
	s_mov_b32 s2, exec_lo
	s_wait_loadcnt_dscnt 0xa01
	v_mul_f64_e32 v[4:5], v[118:119], v[10:11]
	v_mul_f64_e32 v[12:13], v[116:117], v[10:11]
	s_wait_loadcnt_dscnt 0x900
	v_mul_f64_e32 v[128:129], v[120:121], v[82:83]
	v_mul_f64_e32 v[82:83], v[122:123], v[82:83]
	s_delay_alu instid0(VALU_DEP_4) | instskip(NEXT) | instid1(VALU_DEP_4)
	v_fma_f64 v[4:5], v[116:117], v[8:9], -v[4:5]
	v_fmac_f64_e32 v[12:13], v[118:119], v[8:9]
	ds_load_b128 v[8:11], v2 offset:928
	ds_load_b128 v[116:119], v2 offset:944
	v_fmac_f64_e32 v[128:129], v[122:123], v[80:81]
	v_fma_f64 v[80:81], v[120:121], v[80:81], -v[82:83]
	s_wait_loadcnt_dscnt 0x801
	v_mul_f64_e32 v[130:131], v[8:9], v[86:87]
	v_mul_f64_e32 v[86:87], v[10:11], v[86:87]
	s_wait_loadcnt_dscnt 0x700
	v_mul_f64_e32 v[120:121], v[116:117], v[90:91]
	v_mul_f64_e32 v[90:91], v[118:119], v[90:91]
	v_add_f64_e32 v[4:5], 0, v[4:5]
	v_add_f64_e32 v[12:13], 0, v[12:13]
	v_fmac_f64_e32 v[130:131], v[10:11], v[84:85]
	v_fma_f64 v[84:85], v[8:9], v[84:85], -v[86:87]
	v_fmac_f64_e32 v[120:121], v[118:119], v[88:89]
	v_fma_f64 v[88:89], v[116:117], v[88:89], -v[90:91]
	v_add_f64_e32 v[4:5], v[4:5], v[80:81]
	v_add_f64_e32 v[12:13], v[12:13], v[128:129]
	ds_load_b128 v[8:11], v2 offset:960
	ds_load_b128 v[80:83], v2 offset:976
	s_wait_loadcnt_dscnt 0x601
	v_mul_f64_e32 v[122:123], v[8:9], v[94:95]
	v_mul_f64_e32 v[86:87], v[10:11], v[94:95]
	s_wait_loadcnt_dscnt 0x500
	v_mul_f64_e32 v[90:91], v[80:81], v[98:99]
	v_mul_f64_e32 v[94:95], v[82:83], v[98:99]
	v_add_f64_e32 v[4:5], v[4:5], v[84:85]
	v_add_f64_e32 v[12:13], v[12:13], v[130:131]
	v_fmac_f64_e32 v[122:123], v[10:11], v[92:93]
	v_fma_f64 v[92:93], v[8:9], v[92:93], -v[86:87]
	ds_load_b128 v[8:11], v2 offset:992
	ds_load_b128 v[84:87], v2 offset:1008
	v_fmac_f64_e32 v[90:91], v[82:83], v[96:97]
	v_fma_f64 v[80:81], v[80:81], v[96:97], -v[94:95]
	v_add_f64_e32 v[4:5], v[4:5], v[88:89]
	v_add_f64_e32 v[12:13], v[12:13], v[120:121]
	s_wait_loadcnt_dscnt 0x401
	v_mul_f64_e32 v[88:89], v[8:9], v[102:103]
	v_mul_f64_e32 v[98:99], v[10:11], v[102:103]
	s_wait_loadcnt_dscnt 0x300
	v_mul_f64_e32 v[82:83], v[84:85], v[106:107]
	v_add_f64_e32 v[4:5], v[4:5], v[92:93]
	v_add_f64_e32 v[12:13], v[12:13], v[122:123]
	v_mul_f64_e32 v[92:93], v[86:87], v[106:107]
	v_fmac_f64_e32 v[88:89], v[10:11], v[100:101]
	v_fma_f64 v[94:95], v[8:9], v[100:101], -v[98:99]
	v_fmac_f64_e32 v[82:83], v[86:87], v[104:105]
	v_add_f64_e32 v[80:81], v[4:5], v[80:81]
	v_add_f64_e32 v[12:13], v[12:13], v[90:91]
	ds_load_b128 v[8:11], v2 offset:1024
	ds_load_b128 v[2:5], v2 offset:1040
	v_fma_f64 v[84:85], v[84:85], v[104:105], -v[92:93]
	s_wait_loadcnt_dscnt 0x201
	v_mul_f64_e32 v[90:91], v[8:9], v[110:111]
	v_mul_f64_e32 v[96:97], v[10:11], v[110:111]
	s_wait_loadcnt_dscnt 0x100
	v_mul_f64_e32 v[86:87], v[2:3], v[114:115]
	v_add_f64_e32 v[80:81], v[80:81], v[94:95]
	v_add_f64_e32 v[12:13], v[12:13], v[88:89]
	v_mul_f64_e32 v[88:89], v[4:5], v[114:115]
	v_fmac_f64_e32 v[90:91], v[10:11], v[108:109]
	v_fma_f64 v[8:9], v[8:9], v[108:109], -v[96:97]
	v_fmac_f64_e32 v[86:87], v[4:5], v[112:113]
	v_add_f64_e32 v[10:11], v[80:81], v[84:85]
	v_add_f64_e32 v[12:13], v[12:13], v[82:83]
	v_fma_f64 v[2:3], v[2:3], v[112:113], -v[88:89]
	s_delay_alu instid0(VALU_DEP_3) | instskip(NEXT) | instid1(VALU_DEP_3)
	v_add_f64_e32 v[4:5], v[10:11], v[8:9]
	v_add_f64_e32 v[8:9], v[12:13], v[90:91]
	s_delay_alu instid0(VALU_DEP_2) | instskip(NEXT) | instid1(VALU_DEP_2)
	v_add_f64_e32 v[2:3], v[4:5], v[2:3]
	v_add_f64_e32 v[4:5], v[8:9], v[86:87]
	s_wait_loadcnt 0x0
	s_delay_alu instid0(VALU_DEP_2) | instskip(NEXT) | instid1(VALU_DEP_2)
	v_add_f64_e64 v[2:3], v[124:125], -v[2:3]
	v_add_f64_e64 v[4:5], v[126:127], -v[4:5]
	scratch_store_b128 off, v[2:5], off offset:352
	s_wait_xcnt 0x0
	v_cmpx_lt_u32_e32 21, v1
	s_cbranch_execz .LBB32_169
; %bb.168:
	scratch_load_b128 v[2:5], off, s23
	v_mov_b32_e32 v8, 0
	s_delay_alu instid0(VALU_DEP_1)
	v_dual_mov_b32 v9, v8 :: v_dual_mov_b32 v10, v8
	v_mov_b32_e32 v11, v8
	scratch_store_b128 off, v[8:11], off offset:336
	s_wait_loadcnt 0x0
	ds_store_b128 v6, v[2:5]
.LBB32_169:
	s_wait_xcnt 0x0
	s_or_b32 exec_lo, exec_lo, s2
	s_wait_storecnt_dscnt 0x0
	s_barrier_signal -1
	s_barrier_wait -1
	s_clause 0x9
	scratch_load_b128 v[8:11], off, off offset:352
	scratch_load_b128 v[80:83], off, off offset:368
	;; [unrolled: 1-line block ×10, first 2 shown]
	v_mov_b32_e32 v2, 0
	s_mov_b32 s2, exec_lo
	ds_load_b128 v[116:119], v2 offset:880
	s_clause 0x1
	scratch_load_b128 v[120:123], off, off offset:512
	scratch_load_b128 v[124:127], off, off offset:336
	s_wait_loadcnt_dscnt 0xb00
	v_mul_f64_e32 v[4:5], v[118:119], v[10:11]
	v_mul_f64_e32 v[12:13], v[116:117], v[10:11]
	ds_load_b128 v[128:131], v2 offset:896
	s_wait_loadcnt_dscnt 0xa00
	v_mul_f64_e32 v[132:133], v[128:129], v[82:83]
	v_mul_f64_e32 v[82:83], v[130:131], v[82:83]
	v_fma_f64 v[4:5], v[116:117], v[8:9], -v[4:5]
	v_fmac_f64_e32 v[12:13], v[118:119], v[8:9]
	ds_load_b128 v[8:11], v2 offset:912
	ds_load_b128 v[116:119], v2 offset:928
	s_wait_loadcnt_dscnt 0x901
	v_mul_f64_e32 v[134:135], v[8:9], v[86:87]
	v_mul_f64_e32 v[86:87], v[10:11], v[86:87]
	v_fmac_f64_e32 v[132:133], v[130:131], v[80:81]
	v_fma_f64 v[80:81], v[128:129], v[80:81], -v[82:83]
	s_wait_loadcnt_dscnt 0x800
	v_mul_f64_e32 v[128:129], v[116:117], v[90:91]
	v_mul_f64_e32 v[90:91], v[118:119], v[90:91]
	v_add_f64_e32 v[4:5], 0, v[4:5]
	v_add_f64_e32 v[12:13], 0, v[12:13]
	v_fmac_f64_e32 v[134:135], v[10:11], v[84:85]
	v_fma_f64 v[84:85], v[8:9], v[84:85], -v[86:87]
	v_fmac_f64_e32 v[128:129], v[118:119], v[88:89]
	v_fma_f64 v[88:89], v[116:117], v[88:89], -v[90:91]
	v_add_f64_e32 v[4:5], v[4:5], v[80:81]
	v_add_f64_e32 v[12:13], v[12:13], v[132:133]
	ds_load_b128 v[8:11], v2 offset:944
	ds_load_b128 v[80:83], v2 offset:960
	s_wait_loadcnt_dscnt 0x701
	v_mul_f64_e32 v[130:131], v[8:9], v[94:95]
	v_mul_f64_e32 v[86:87], v[10:11], v[94:95]
	s_wait_loadcnt_dscnt 0x600
	v_mul_f64_e32 v[90:91], v[80:81], v[98:99]
	v_mul_f64_e32 v[94:95], v[82:83], v[98:99]
	v_add_f64_e32 v[4:5], v[4:5], v[84:85]
	v_add_f64_e32 v[12:13], v[12:13], v[134:135]
	v_fmac_f64_e32 v[130:131], v[10:11], v[92:93]
	v_fma_f64 v[92:93], v[8:9], v[92:93], -v[86:87]
	ds_load_b128 v[8:11], v2 offset:976
	ds_load_b128 v[84:87], v2 offset:992
	v_fmac_f64_e32 v[90:91], v[82:83], v[96:97]
	v_fma_f64 v[80:81], v[80:81], v[96:97], -v[94:95]
	v_add_f64_e32 v[4:5], v[4:5], v[88:89]
	v_add_f64_e32 v[12:13], v[12:13], v[128:129]
	s_wait_loadcnt_dscnt 0x501
	v_mul_f64_e32 v[88:89], v[8:9], v[102:103]
	v_mul_f64_e32 v[98:99], v[10:11], v[102:103]
	s_wait_loadcnt_dscnt 0x400
	v_mul_f64_e32 v[94:95], v[86:87], v[106:107]
	v_add_f64_e32 v[4:5], v[4:5], v[92:93]
	v_add_f64_e32 v[12:13], v[12:13], v[130:131]
	v_mul_f64_e32 v[92:93], v[84:85], v[106:107]
	v_fmac_f64_e32 v[88:89], v[10:11], v[100:101]
	v_fma_f64 v[96:97], v[8:9], v[100:101], -v[98:99]
	v_fma_f64 v[84:85], v[84:85], v[104:105], -v[94:95]
	v_add_f64_e32 v[4:5], v[4:5], v[80:81]
	v_add_f64_e32 v[12:13], v[12:13], v[90:91]
	ds_load_b128 v[8:11], v2 offset:1008
	ds_load_b128 v[80:83], v2 offset:1024
	v_fmac_f64_e32 v[92:93], v[86:87], v[104:105]
	s_wait_loadcnt_dscnt 0x301
	v_mul_f64_e32 v[90:91], v[8:9], v[110:111]
	v_mul_f64_e32 v[98:99], v[10:11], v[110:111]
	s_wait_loadcnt_dscnt 0x200
	v_mul_f64_e32 v[86:87], v[80:81], v[114:115]
	v_add_f64_e32 v[4:5], v[4:5], v[96:97]
	v_add_f64_e32 v[12:13], v[12:13], v[88:89]
	v_mul_f64_e32 v[88:89], v[82:83], v[114:115]
	v_fmac_f64_e32 v[90:91], v[10:11], v[108:109]
	v_fma_f64 v[94:95], v[8:9], v[108:109], -v[98:99]
	ds_load_b128 v[8:11], v2 offset:1040
	v_fmac_f64_e32 v[86:87], v[82:83], v[112:113]
	v_add_f64_e32 v[4:5], v[4:5], v[84:85]
	v_add_f64_e32 v[12:13], v[12:13], v[92:93]
	v_fma_f64 v[80:81], v[80:81], v[112:113], -v[88:89]
	s_wait_loadcnt_dscnt 0x100
	v_mul_f64_e32 v[84:85], v[8:9], v[122:123]
	v_mul_f64_e32 v[92:93], v[10:11], v[122:123]
	v_add_f64_e32 v[4:5], v[4:5], v[94:95]
	v_add_f64_e32 v[12:13], v[12:13], v[90:91]
	s_delay_alu instid0(VALU_DEP_4) | instskip(NEXT) | instid1(VALU_DEP_4)
	v_fmac_f64_e32 v[84:85], v[10:11], v[120:121]
	v_fma_f64 v[8:9], v[8:9], v[120:121], -v[92:93]
	s_delay_alu instid0(VALU_DEP_4) | instskip(NEXT) | instid1(VALU_DEP_4)
	v_add_f64_e32 v[4:5], v[4:5], v[80:81]
	v_add_f64_e32 v[10:11], v[12:13], v[86:87]
	s_delay_alu instid0(VALU_DEP_2) | instskip(NEXT) | instid1(VALU_DEP_2)
	v_add_f64_e32 v[4:5], v[4:5], v[8:9]
	v_add_f64_e32 v[10:11], v[10:11], v[84:85]
	s_wait_loadcnt 0x0
	s_delay_alu instid0(VALU_DEP_2) | instskip(NEXT) | instid1(VALU_DEP_2)
	v_add_f64_e64 v[8:9], v[124:125], -v[4:5]
	v_add_f64_e64 v[10:11], v[126:127], -v[10:11]
	scratch_store_b128 off, v[8:11], off offset:336
	s_wait_xcnt 0x0
	v_cmpx_lt_u32_e32 20, v1
	s_cbranch_execz .LBB32_171
; %bb.170:
	scratch_load_b128 v[8:11], off, s29
	v_dual_mov_b32 v3, v2 :: v_dual_mov_b32 v4, v2
	v_mov_b32_e32 v5, v2
	scratch_store_b128 off, v[2:5], off offset:320
	s_wait_loadcnt 0x0
	ds_store_b128 v6, v[8:11]
.LBB32_171:
	s_wait_xcnt 0x0
	s_or_b32 exec_lo, exec_lo, s2
	s_wait_storecnt_dscnt 0x0
	s_barrier_signal -1
	s_barrier_wait -1
	s_clause 0x9
	scratch_load_b128 v[8:11], off, off offset:336
	scratch_load_b128 v[80:83], off, off offset:352
	;; [unrolled: 1-line block ×10, first 2 shown]
	ds_load_b128 v[116:119], v2 offset:864
	ds_load_b128 v[124:127], v2 offset:880
	s_clause 0x1
	scratch_load_b128 v[120:123], off, off offset:496
	scratch_load_b128 v[128:131], off, off offset:320
	s_mov_b32 s2, exec_lo
	s_wait_loadcnt_dscnt 0xb01
	v_mul_f64_e32 v[4:5], v[118:119], v[10:11]
	v_mul_f64_e32 v[136:137], v[116:117], v[10:11]
	scratch_load_b128 v[10:13], off, off offset:512
	s_wait_loadcnt_dscnt 0xb00
	v_mul_f64_e32 v[138:139], v[124:125], v[82:83]
	v_mul_f64_e32 v[82:83], v[126:127], v[82:83]
	v_fma_f64 v[4:5], v[116:117], v[8:9], -v[4:5]
	v_fmac_f64_e32 v[136:137], v[118:119], v[8:9]
	ds_load_b128 v[116:119], v2 offset:896
	ds_load_b128 v[132:135], v2 offset:912
	v_fmac_f64_e32 v[138:139], v[126:127], v[80:81]
	v_fma_f64 v[80:81], v[124:125], v[80:81], -v[82:83]
	s_wait_loadcnt_dscnt 0xa01
	v_mul_f64_e32 v[8:9], v[116:117], v[86:87]
	v_mul_f64_e32 v[86:87], v[118:119], v[86:87]
	s_wait_loadcnt_dscnt 0x900
	v_mul_f64_e32 v[124:125], v[132:133], v[90:91]
	v_mul_f64_e32 v[90:91], v[134:135], v[90:91]
	v_add_f64_e32 v[4:5], 0, v[4:5]
	v_add_f64_e32 v[82:83], 0, v[136:137]
	v_fmac_f64_e32 v[8:9], v[118:119], v[84:85]
	v_fma_f64 v[116:117], v[116:117], v[84:85], -v[86:87]
	v_fmac_f64_e32 v[124:125], v[134:135], v[88:89]
	v_fma_f64 v[88:89], v[132:133], v[88:89], -v[90:91]
	v_add_f64_e32 v[4:5], v[4:5], v[80:81]
	v_add_f64_e32 v[118:119], v[82:83], v[138:139]
	ds_load_b128 v[80:83], v2 offset:928
	ds_load_b128 v[84:87], v2 offset:944
	s_wait_loadcnt_dscnt 0x801
	v_mul_f64_e32 v[126:127], v[80:81], v[94:95]
	v_mul_f64_e32 v[94:95], v[82:83], v[94:95]
	v_add_f64_e32 v[4:5], v[4:5], v[116:117]
	v_add_f64_e32 v[8:9], v[118:119], v[8:9]
	s_wait_loadcnt_dscnt 0x700
	v_mul_f64_e32 v[116:117], v[84:85], v[98:99]
	v_mul_f64_e32 v[98:99], v[86:87], v[98:99]
	v_fmac_f64_e32 v[126:127], v[82:83], v[92:93]
	v_fma_f64 v[92:93], v[80:81], v[92:93], -v[94:95]
	v_add_f64_e32 v[4:5], v[4:5], v[88:89]
	v_add_f64_e32 v[8:9], v[8:9], v[124:125]
	ds_load_b128 v[80:83], v2 offset:960
	ds_load_b128 v[88:91], v2 offset:976
	v_fmac_f64_e32 v[116:117], v[86:87], v[96:97]
	v_fma_f64 v[84:85], v[84:85], v[96:97], -v[98:99]
	s_wait_loadcnt_dscnt 0x601
	v_mul_f64_e32 v[94:95], v[80:81], v[102:103]
	v_mul_f64_e32 v[102:103], v[82:83], v[102:103]
	s_wait_loadcnt_dscnt 0x500
	v_mul_f64_e32 v[96:97], v[90:91], v[106:107]
	v_add_f64_e32 v[4:5], v[4:5], v[92:93]
	v_add_f64_e32 v[8:9], v[8:9], v[126:127]
	v_mul_f64_e32 v[92:93], v[88:89], v[106:107]
	v_fmac_f64_e32 v[94:95], v[82:83], v[100:101]
	v_fma_f64 v[98:99], v[80:81], v[100:101], -v[102:103]
	v_fma_f64 v[88:89], v[88:89], v[104:105], -v[96:97]
	v_add_f64_e32 v[4:5], v[4:5], v[84:85]
	v_add_f64_e32 v[8:9], v[8:9], v[116:117]
	ds_load_b128 v[80:83], v2 offset:992
	ds_load_b128 v[84:87], v2 offset:1008
	v_fmac_f64_e32 v[92:93], v[90:91], v[104:105]
	s_wait_loadcnt_dscnt 0x401
	v_mul_f64_e32 v[100:101], v[80:81], v[110:111]
	v_mul_f64_e32 v[102:103], v[82:83], v[110:111]
	s_wait_loadcnt_dscnt 0x300
	v_mul_f64_e32 v[90:91], v[84:85], v[114:115]
	v_add_f64_e32 v[4:5], v[4:5], v[98:99]
	v_add_f64_e32 v[8:9], v[8:9], v[94:95]
	v_mul_f64_e32 v[94:95], v[86:87], v[114:115]
	v_fmac_f64_e32 v[100:101], v[82:83], v[108:109]
	v_fma_f64 v[96:97], v[80:81], v[108:109], -v[102:103]
	v_fmac_f64_e32 v[90:91], v[86:87], v[112:113]
	v_add_f64_e32 v[88:89], v[4:5], v[88:89]
	v_add_f64_e32 v[8:9], v[8:9], v[92:93]
	ds_load_b128 v[80:83], v2 offset:1024
	ds_load_b128 v[2:5], v2 offset:1040
	v_fma_f64 v[84:85], v[84:85], v[112:113], -v[94:95]
	s_wait_loadcnt_dscnt 0x201
	v_mul_f64_e32 v[92:93], v[80:81], v[122:123]
	v_mul_f64_e32 v[98:99], v[82:83], v[122:123]
	v_add_f64_e32 v[86:87], v[88:89], v[96:97]
	v_add_f64_e32 v[8:9], v[8:9], v[100:101]
	s_wait_loadcnt_dscnt 0x0
	v_mul_f64_e32 v[88:89], v[2:3], v[12:13]
	v_mul_f64_e32 v[12:13], v[4:5], v[12:13]
	v_fmac_f64_e32 v[92:93], v[82:83], v[120:121]
	v_fma_f64 v[80:81], v[80:81], v[120:121], -v[98:99]
	v_add_f64_e32 v[82:83], v[86:87], v[84:85]
	v_add_f64_e32 v[8:9], v[8:9], v[90:91]
	v_fmac_f64_e32 v[88:89], v[4:5], v[10:11]
	v_fma_f64 v[2:3], v[2:3], v[10:11], -v[12:13]
	s_delay_alu instid0(VALU_DEP_4) | instskip(NEXT) | instid1(VALU_DEP_4)
	v_add_f64_e32 v[4:5], v[82:83], v[80:81]
	v_add_f64_e32 v[8:9], v[8:9], v[92:93]
	s_delay_alu instid0(VALU_DEP_2) | instskip(NEXT) | instid1(VALU_DEP_2)
	v_add_f64_e32 v[2:3], v[4:5], v[2:3]
	v_add_f64_e32 v[4:5], v[8:9], v[88:89]
	s_delay_alu instid0(VALU_DEP_2) | instskip(NEXT) | instid1(VALU_DEP_2)
	v_add_f64_e64 v[2:3], v[128:129], -v[2:3]
	v_add_f64_e64 v[4:5], v[130:131], -v[4:5]
	scratch_store_b128 off, v[2:5], off offset:320
	s_wait_xcnt 0x0
	v_cmpx_lt_u32_e32 19, v1
	s_cbranch_execz .LBB32_173
; %bb.172:
	scratch_load_b128 v[2:5], off, s28
	v_mov_b32_e32 v8, 0
	s_delay_alu instid0(VALU_DEP_1)
	v_dual_mov_b32 v9, v8 :: v_dual_mov_b32 v10, v8
	v_mov_b32_e32 v11, v8
	scratch_store_b128 off, v[8:11], off offset:304
	s_wait_loadcnt 0x0
	ds_store_b128 v6, v[2:5]
.LBB32_173:
	s_wait_xcnt 0x0
	s_or_b32 exec_lo, exec_lo, s2
	s_wait_storecnt_dscnt 0x0
	s_barrier_signal -1
	s_barrier_wait -1
	s_clause 0x9
	scratch_load_b128 v[8:11], off, off offset:320
	scratch_load_b128 v[80:83], off, off offset:336
	;; [unrolled: 1-line block ×10, first 2 shown]
	v_mov_b32_e32 v2, 0
	s_mov_b32 s2, exec_lo
	ds_load_b128 v[116:119], v2 offset:848
	s_clause 0x2
	scratch_load_b128 v[120:123], off, off offset:480
	scratch_load_b128 v[124:127], off, off offset:304
	scratch_load_b128 v[132:135], off, off offset:512
	s_wait_loadcnt_dscnt 0xc00
	v_mul_f64_e32 v[4:5], v[118:119], v[10:11]
	v_mul_f64_e32 v[140:141], v[116:117], v[10:11]
	ds_load_b128 v[128:131], v2 offset:864
	scratch_load_b128 v[10:13], off, off offset:496
	ds_load_b128 v[136:139], v2 offset:896
	v_fma_f64 v[4:5], v[116:117], v[8:9], -v[4:5]
	v_fmac_f64_e32 v[140:141], v[118:119], v[8:9]
	ds_load_b128 v[116:119], v2 offset:880
	s_wait_loadcnt_dscnt 0xc02
	v_mul_f64_e32 v[142:143], v[128:129], v[82:83]
	v_mul_f64_e32 v[82:83], v[130:131], v[82:83]
	s_wait_loadcnt_dscnt 0xb00
	v_mul_f64_e32 v[8:9], v[116:117], v[86:87]
	v_mul_f64_e32 v[86:87], v[118:119], v[86:87]
	v_add_f64_e32 v[4:5], 0, v[4:5]
	v_fmac_f64_e32 v[142:143], v[130:131], v[80:81]
	v_fma_f64 v[80:81], v[128:129], v[80:81], -v[82:83]
	v_add_f64_e32 v[82:83], 0, v[140:141]
	s_wait_loadcnt 0xa
	v_mul_f64_e32 v[128:129], v[136:137], v[90:91]
	v_mul_f64_e32 v[90:91], v[138:139], v[90:91]
	v_fmac_f64_e32 v[8:9], v[118:119], v[84:85]
	v_fma_f64 v[116:117], v[116:117], v[84:85], -v[86:87]
	v_add_f64_e32 v[4:5], v[4:5], v[80:81]
	v_add_f64_e32 v[118:119], v[82:83], v[142:143]
	ds_load_b128 v[80:83], v2 offset:912
	ds_load_b128 v[84:87], v2 offset:928
	v_fmac_f64_e32 v[128:129], v[138:139], v[88:89]
	v_fma_f64 v[88:89], v[136:137], v[88:89], -v[90:91]
	s_wait_loadcnt_dscnt 0x901
	v_mul_f64_e32 v[130:131], v[80:81], v[94:95]
	v_mul_f64_e32 v[94:95], v[82:83], v[94:95]
	v_add_f64_e32 v[4:5], v[4:5], v[116:117]
	v_add_f64_e32 v[8:9], v[118:119], v[8:9]
	s_wait_loadcnt_dscnt 0x800
	v_mul_f64_e32 v[116:117], v[84:85], v[98:99]
	v_mul_f64_e32 v[98:99], v[86:87], v[98:99]
	v_fmac_f64_e32 v[130:131], v[82:83], v[92:93]
	v_fma_f64 v[92:93], v[80:81], v[92:93], -v[94:95]
	v_add_f64_e32 v[4:5], v[4:5], v[88:89]
	v_add_f64_e32 v[8:9], v[8:9], v[128:129]
	ds_load_b128 v[80:83], v2 offset:944
	ds_load_b128 v[88:91], v2 offset:960
	v_fmac_f64_e32 v[116:117], v[86:87], v[96:97]
	v_fma_f64 v[84:85], v[84:85], v[96:97], -v[98:99]
	s_wait_loadcnt_dscnt 0x701
	v_mul_f64_e32 v[94:95], v[80:81], v[102:103]
	v_mul_f64_e32 v[102:103], v[82:83], v[102:103]
	s_wait_loadcnt_dscnt 0x600
	v_mul_f64_e32 v[96:97], v[90:91], v[106:107]
	v_add_f64_e32 v[4:5], v[4:5], v[92:93]
	v_add_f64_e32 v[8:9], v[8:9], v[130:131]
	v_mul_f64_e32 v[92:93], v[88:89], v[106:107]
	v_fmac_f64_e32 v[94:95], v[82:83], v[100:101]
	v_fma_f64 v[98:99], v[80:81], v[100:101], -v[102:103]
	v_fma_f64 v[88:89], v[88:89], v[104:105], -v[96:97]
	v_add_f64_e32 v[4:5], v[4:5], v[84:85]
	v_add_f64_e32 v[8:9], v[8:9], v[116:117]
	ds_load_b128 v[80:83], v2 offset:976
	ds_load_b128 v[84:87], v2 offset:992
	v_fmac_f64_e32 v[92:93], v[90:91], v[104:105]
	s_wait_loadcnt_dscnt 0x501
	v_mul_f64_e32 v[100:101], v[80:81], v[110:111]
	v_mul_f64_e32 v[102:103], v[82:83], v[110:111]
	s_wait_loadcnt_dscnt 0x400
	v_mul_f64_e32 v[96:97], v[86:87], v[114:115]
	v_add_f64_e32 v[4:5], v[4:5], v[98:99]
	v_add_f64_e32 v[8:9], v[8:9], v[94:95]
	v_mul_f64_e32 v[94:95], v[84:85], v[114:115]
	v_fmac_f64_e32 v[100:101], v[82:83], v[108:109]
	v_fma_f64 v[98:99], v[80:81], v[108:109], -v[102:103]
	v_fma_f64 v[84:85], v[84:85], v[112:113], -v[96:97]
	v_add_f64_e32 v[4:5], v[4:5], v[88:89]
	v_add_f64_e32 v[8:9], v[8:9], v[92:93]
	ds_load_b128 v[80:83], v2 offset:1008
	ds_load_b128 v[88:91], v2 offset:1024
	v_fmac_f64_e32 v[94:95], v[86:87], v[112:113]
	s_wait_loadcnt_dscnt 0x301
	v_mul_f64_e32 v[92:93], v[80:81], v[122:123]
	v_mul_f64_e32 v[102:103], v[82:83], v[122:123]
	s_wait_loadcnt_dscnt 0x0
	v_mul_f64_e32 v[86:87], v[88:89], v[12:13]
	v_add_f64_e32 v[4:5], v[4:5], v[98:99]
	v_add_f64_e32 v[8:9], v[8:9], v[100:101]
	v_mul_f64_e32 v[12:13], v[90:91], v[12:13]
	v_fmac_f64_e32 v[92:93], v[82:83], v[120:121]
	v_fma_f64 v[96:97], v[80:81], v[120:121], -v[102:103]
	ds_load_b128 v[80:83], v2 offset:1040
	v_fmac_f64_e32 v[86:87], v[90:91], v[10:11]
	v_add_f64_e32 v[4:5], v[4:5], v[84:85]
	v_add_f64_e32 v[8:9], v[8:9], v[94:95]
	v_fma_f64 v[10:11], v[88:89], v[10:11], -v[12:13]
	s_wait_dscnt 0x0
	v_mul_f64_e32 v[84:85], v[80:81], v[134:135]
	v_mul_f64_e32 v[94:95], v[82:83], v[134:135]
	v_add_f64_e32 v[4:5], v[4:5], v[96:97]
	v_add_f64_e32 v[8:9], v[8:9], v[92:93]
	s_delay_alu instid0(VALU_DEP_4) | instskip(NEXT) | instid1(VALU_DEP_4)
	v_fmac_f64_e32 v[84:85], v[82:83], v[132:133]
	v_fma_f64 v[12:13], v[80:81], v[132:133], -v[94:95]
	s_delay_alu instid0(VALU_DEP_4) | instskip(NEXT) | instid1(VALU_DEP_4)
	v_add_f64_e32 v[4:5], v[4:5], v[10:11]
	v_add_f64_e32 v[8:9], v[8:9], v[86:87]
	s_delay_alu instid0(VALU_DEP_2) | instskip(NEXT) | instid1(VALU_DEP_2)
	v_add_f64_e32 v[4:5], v[4:5], v[12:13]
	v_add_f64_e32 v[10:11], v[8:9], v[84:85]
	s_delay_alu instid0(VALU_DEP_2) | instskip(NEXT) | instid1(VALU_DEP_2)
	v_add_f64_e64 v[8:9], v[124:125], -v[4:5]
	v_add_f64_e64 v[10:11], v[126:127], -v[10:11]
	scratch_store_b128 off, v[8:11], off offset:304
	s_wait_xcnt 0x0
	v_cmpx_lt_u32_e32 18, v1
	s_cbranch_execz .LBB32_175
; %bb.174:
	scratch_load_b128 v[8:11], off, s31
	v_dual_mov_b32 v3, v2 :: v_dual_mov_b32 v4, v2
	v_mov_b32_e32 v5, v2
	scratch_store_b128 off, v[2:5], off offset:288
	s_wait_loadcnt 0x0
	ds_store_b128 v6, v[8:11]
.LBB32_175:
	s_wait_xcnt 0x0
	s_or_b32 exec_lo, exec_lo, s2
	s_wait_storecnt_dscnt 0x0
	s_barrier_signal -1
	s_barrier_wait -1
	s_clause 0x9
	scratch_load_b128 v[8:11], off, off offset:304
	scratch_load_b128 v[80:83], off, off offset:320
	;; [unrolled: 1-line block ×10, first 2 shown]
	ds_load_b128 v[116:119], v2 offset:832
	ds_load_b128 v[124:127], v2 offset:848
	s_clause 0x1
	scratch_load_b128 v[120:123], off, off offset:464
	scratch_load_b128 v[128:131], off, off offset:288
	s_mov_b32 s2, exec_lo
	s_wait_loadcnt_dscnt 0xb01
	v_mul_f64_e32 v[4:5], v[118:119], v[10:11]
	v_mul_f64_e32 v[140:141], v[116:117], v[10:11]
	scratch_load_b128 v[10:13], off, off offset:480
	s_wait_loadcnt_dscnt 0xb00
	v_mul_f64_e32 v[142:143], v[124:125], v[82:83]
	v_mul_f64_e32 v[82:83], v[126:127], v[82:83]
	v_fma_f64 v[4:5], v[116:117], v[8:9], -v[4:5]
	v_fmac_f64_e32 v[140:141], v[118:119], v[8:9]
	ds_load_b128 v[116:119], v2 offset:864
	ds_load_b128 v[132:135], v2 offset:880
	scratch_load_b128 v[136:139], off, off offset:496
	v_fmac_f64_e32 v[142:143], v[126:127], v[80:81]
	v_fma_f64 v[124:125], v[124:125], v[80:81], -v[82:83]
	scratch_load_b128 v[80:83], off, off offset:512
	s_wait_loadcnt_dscnt 0xc01
	v_mul_f64_e32 v[8:9], v[116:117], v[86:87]
	v_mul_f64_e32 v[86:87], v[118:119], v[86:87]
	v_add_f64_e32 v[4:5], 0, v[4:5]
	v_add_f64_e32 v[126:127], 0, v[140:141]
	s_wait_loadcnt_dscnt 0xb00
	v_mul_f64_e32 v[140:141], v[132:133], v[90:91]
	v_mul_f64_e32 v[90:91], v[134:135], v[90:91]
	v_fmac_f64_e32 v[8:9], v[118:119], v[84:85]
	v_fma_f64 v[144:145], v[116:117], v[84:85], -v[86:87]
	ds_load_b128 v[84:87], v2 offset:896
	ds_load_b128 v[116:119], v2 offset:912
	v_add_f64_e32 v[4:5], v[4:5], v[124:125]
	v_add_f64_e32 v[124:125], v[126:127], v[142:143]
	v_fmac_f64_e32 v[140:141], v[134:135], v[88:89]
	v_fma_f64 v[88:89], v[132:133], v[88:89], -v[90:91]
	s_wait_loadcnt_dscnt 0xa01
	v_mul_f64_e32 v[126:127], v[84:85], v[94:95]
	v_mul_f64_e32 v[94:95], v[86:87], v[94:95]
	v_add_f64_e32 v[4:5], v[4:5], v[144:145]
	v_add_f64_e32 v[8:9], v[124:125], v[8:9]
	s_wait_loadcnt_dscnt 0x900
	v_mul_f64_e32 v[124:125], v[116:117], v[98:99]
	v_mul_f64_e32 v[98:99], v[118:119], v[98:99]
	v_fmac_f64_e32 v[126:127], v[86:87], v[92:93]
	v_fma_f64 v[92:93], v[84:85], v[92:93], -v[94:95]
	v_add_f64_e32 v[4:5], v[4:5], v[88:89]
	v_add_f64_e32 v[8:9], v[8:9], v[140:141]
	ds_load_b128 v[84:87], v2 offset:928
	ds_load_b128 v[88:91], v2 offset:944
	v_fmac_f64_e32 v[124:125], v[118:119], v[96:97]
	v_fma_f64 v[96:97], v[116:117], v[96:97], -v[98:99]
	s_wait_loadcnt_dscnt 0x801
	v_mul_f64_e32 v[132:133], v[84:85], v[102:103]
	v_mul_f64_e32 v[94:95], v[86:87], v[102:103]
	s_wait_loadcnt_dscnt 0x700
	v_mul_f64_e32 v[98:99], v[88:89], v[106:107]
	v_mul_f64_e32 v[102:103], v[90:91], v[106:107]
	v_add_f64_e32 v[4:5], v[4:5], v[92:93]
	v_add_f64_e32 v[8:9], v[8:9], v[126:127]
	v_fmac_f64_e32 v[132:133], v[86:87], v[100:101]
	v_fma_f64 v[100:101], v[84:85], v[100:101], -v[94:95]
	ds_load_b128 v[84:87], v2 offset:960
	ds_load_b128 v[92:95], v2 offset:976
	v_fmac_f64_e32 v[98:99], v[90:91], v[104:105]
	v_fma_f64 v[88:89], v[88:89], v[104:105], -v[102:103]
	v_add_f64_e32 v[4:5], v[4:5], v[96:97]
	v_add_f64_e32 v[8:9], v[8:9], v[124:125]
	s_wait_loadcnt_dscnt 0x601
	v_mul_f64_e32 v[96:97], v[84:85], v[110:111]
	v_mul_f64_e32 v[106:107], v[86:87], v[110:111]
	s_wait_loadcnt_dscnt 0x500
	v_mul_f64_e32 v[102:103], v[94:95], v[114:115]
	v_add_f64_e32 v[4:5], v[4:5], v[100:101]
	v_add_f64_e32 v[8:9], v[8:9], v[132:133]
	v_mul_f64_e32 v[100:101], v[92:93], v[114:115]
	v_fmac_f64_e32 v[96:97], v[86:87], v[108:109]
	v_fma_f64 v[104:105], v[84:85], v[108:109], -v[106:107]
	v_fma_f64 v[92:93], v[92:93], v[112:113], -v[102:103]
	v_add_f64_e32 v[4:5], v[4:5], v[88:89]
	v_add_f64_e32 v[8:9], v[8:9], v[98:99]
	ds_load_b128 v[84:87], v2 offset:992
	ds_load_b128 v[88:91], v2 offset:1008
	v_fmac_f64_e32 v[100:101], v[94:95], v[112:113]
	s_wait_loadcnt_dscnt 0x401
	v_mul_f64_e32 v[98:99], v[84:85], v[122:123]
	v_mul_f64_e32 v[106:107], v[86:87], v[122:123]
	v_add_f64_e32 v[4:5], v[4:5], v[104:105]
	v_add_f64_e32 v[8:9], v[8:9], v[96:97]
	s_wait_loadcnt_dscnt 0x200
	v_mul_f64_e32 v[94:95], v[88:89], v[12:13]
	v_mul_f64_e32 v[12:13], v[90:91], v[12:13]
	v_fmac_f64_e32 v[98:99], v[86:87], v[120:121]
	v_fma_f64 v[96:97], v[84:85], v[120:121], -v[106:107]
	v_add_f64_e32 v[92:93], v[4:5], v[92:93]
	v_add_f64_e32 v[8:9], v[8:9], v[100:101]
	ds_load_b128 v[84:87], v2 offset:1024
	ds_load_b128 v[2:5], v2 offset:1040
	v_fmac_f64_e32 v[94:95], v[90:91], v[10:11]
	v_fma_f64 v[10:11], v[88:89], v[10:11], -v[12:13]
	s_wait_loadcnt_dscnt 0x101
	v_mul_f64_e32 v[100:101], v[84:85], v[138:139]
	v_mul_f64_e32 v[102:103], v[86:87], v[138:139]
	s_wait_loadcnt_dscnt 0x0
	v_mul_f64_e32 v[88:89], v[2:3], v[82:83]
	v_mul_f64_e32 v[82:83], v[4:5], v[82:83]
	v_add_f64_e32 v[12:13], v[92:93], v[96:97]
	v_add_f64_e32 v[8:9], v[8:9], v[98:99]
	v_fmac_f64_e32 v[100:101], v[86:87], v[136:137]
	v_fma_f64 v[84:85], v[84:85], v[136:137], -v[102:103]
	v_fmac_f64_e32 v[88:89], v[4:5], v[80:81]
	v_fma_f64 v[2:3], v[2:3], v[80:81], -v[82:83]
	v_add_f64_e32 v[10:11], v[12:13], v[10:11]
	v_add_f64_e32 v[8:9], v[8:9], v[94:95]
	s_delay_alu instid0(VALU_DEP_2) | instskip(NEXT) | instid1(VALU_DEP_2)
	v_add_f64_e32 v[4:5], v[10:11], v[84:85]
	v_add_f64_e32 v[8:9], v[8:9], v[100:101]
	s_delay_alu instid0(VALU_DEP_2) | instskip(NEXT) | instid1(VALU_DEP_2)
	;; [unrolled: 3-line block ×3, first 2 shown]
	v_add_f64_e64 v[2:3], v[128:129], -v[2:3]
	v_add_f64_e64 v[4:5], v[130:131], -v[4:5]
	scratch_store_b128 off, v[2:5], off offset:288
	s_wait_xcnt 0x0
	v_cmpx_lt_u32_e32 17, v1
	s_cbranch_execz .LBB32_177
; %bb.176:
	scratch_load_b128 v[2:5], off, s30
	v_mov_b32_e32 v8, 0
	s_delay_alu instid0(VALU_DEP_1)
	v_dual_mov_b32 v9, v8 :: v_dual_mov_b32 v10, v8
	v_mov_b32_e32 v11, v8
	scratch_store_b128 off, v[8:11], off offset:272
	s_wait_loadcnt 0x0
	ds_store_b128 v6, v[2:5]
.LBB32_177:
	s_wait_xcnt 0x0
	s_or_b32 exec_lo, exec_lo, s2
	s_wait_storecnt_dscnt 0x0
	s_barrier_signal -1
	s_barrier_wait -1
	s_clause 0x9
	scratch_load_b128 v[8:11], off, off offset:288
	scratch_load_b128 v[80:83], off, off offset:304
	;; [unrolled: 1-line block ×10, first 2 shown]
	v_mov_b32_e32 v2, 0
	s_mov_b32 s2, exec_lo
	ds_load_b128 v[116:119], v2 offset:816
	s_clause 0x2
	scratch_load_b128 v[120:123], off, off offset:448
	scratch_load_b128 v[124:127], off, off offset:272
	;; [unrolled: 1-line block ×3, first 2 shown]
	s_wait_loadcnt_dscnt 0xc00
	v_mul_f64_e32 v[4:5], v[118:119], v[10:11]
	v_mul_f64_e32 v[140:141], v[116:117], v[10:11]
	ds_load_b128 v[128:131], v2 offset:832
	scratch_load_b128 v[10:13], off, off offset:464
	ds_load_b128 v[136:139], v2 offset:864
	v_fma_f64 v[4:5], v[116:117], v[8:9], -v[4:5]
	v_fmac_f64_e32 v[140:141], v[118:119], v[8:9]
	ds_load_b128 v[116:119], v2 offset:848
	s_wait_loadcnt_dscnt 0xc02
	v_mul_f64_e32 v[142:143], v[128:129], v[82:83]
	v_mul_f64_e32 v[82:83], v[130:131], v[82:83]
	s_wait_loadcnt_dscnt 0xb00
	v_mul_f64_e32 v[8:9], v[116:117], v[86:87]
	v_mul_f64_e32 v[86:87], v[118:119], v[86:87]
	v_add_f64_e32 v[4:5], 0, v[4:5]
	v_fmac_f64_e32 v[142:143], v[130:131], v[80:81]
	v_fma_f64 v[128:129], v[128:129], v[80:81], -v[82:83]
	v_add_f64_e32 v[130:131], 0, v[140:141]
	scratch_load_b128 v[80:83], off, off offset:496
	v_fmac_f64_e32 v[8:9], v[118:119], v[84:85]
	v_fma_f64 v[144:145], v[116:117], v[84:85], -v[86:87]
	ds_load_b128 v[84:87], v2 offset:880
	s_wait_loadcnt 0xb
	v_mul_f64_e32 v[140:141], v[136:137], v[90:91]
	v_mul_f64_e32 v[90:91], v[138:139], v[90:91]
	scratch_load_b128 v[116:119], off, off offset:512
	v_add_f64_e32 v[4:5], v[4:5], v[128:129]
	v_add_f64_e32 v[142:143], v[130:131], v[142:143]
	ds_load_b128 v[128:131], v2 offset:896
	s_wait_loadcnt_dscnt 0xb01
	v_mul_f64_e32 v[146:147], v[84:85], v[94:95]
	v_mul_f64_e32 v[94:95], v[86:87], v[94:95]
	v_fmac_f64_e32 v[140:141], v[138:139], v[88:89]
	v_fma_f64 v[88:89], v[136:137], v[88:89], -v[90:91]
	s_wait_loadcnt_dscnt 0xa00
	v_mul_f64_e32 v[136:137], v[128:129], v[98:99]
	v_mul_f64_e32 v[98:99], v[130:131], v[98:99]
	v_add_f64_e32 v[4:5], v[4:5], v[144:145]
	v_add_f64_e32 v[8:9], v[142:143], v[8:9]
	v_fmac_f64_e32 v[146:147], v[86:87], v[92:93]
	v_fma_f64 v[92:93], v[84:85], v[92:93], -v[94:95]
	v_fmac_f64_e32 v[136:137], v[130:131], v[96:97]
	v_fma_f64 v[96:97], v[128:129], v[96:97], -v[98:99]
	v_add_f64_e32 v[4:5], v[4:5], v[88:89]
	v_add_f64_e32 v[8:9], v[8:9], v[140:141]
	ds_load_b128 v[84:87], v2 offset:912
	ds_load_b128 v[88:91], v2 offset:928
	s_wait_loadcnt_dscnt 0x901
	v_mul_f64_e32 v[138:139], v[84:85], v[102:103]
	v_mul_f64_e32 v[94:95], v[86:87], v[102:103]
	s_wait_loadcnt_dscnt 0x800
	v_mul_f64_e32 v[98:99], v[88:89], v[106:107]
	v_mul_f64_e32 v[102:103], v[90:91], v[106:107]
	v_add_f64_e32 v[4:5], v[4:5], v[92:93]
	v_add_f64_e32 v[8:9], v[8:9], v[146:147]
	v_fmac_f64_e32 v[138:139], v[86:87], v[100:101]
	v_fma_f64 v[100:101], v[84:85], v[100:101], -v[94:95]
	ds_load_b128 v[84:87], v2 offset:944
	ds_load_b128 v[92:95], v2 offset:960
	v_fmac_f64_e32 v[98:99], v[90:91], v[104:105]
	v_fma_f64 v[88:89], v[88:89], v[104:105], -v[102:103]
	v_add_f64_e32 v[4:5], v[4:5], v[96:97]
	v_add_f64_e32 v[8:9], v[8:9], v[136:137]
	s_wait_loadcnt_dscnt 0x701
	v_mul_f64_e32 v[96:97], v[84:85], v[110:111]
	v_mul_f64_e32 v[106:107], v[86:87], v[110:111]
	s_wait_loadcnt_dscnt 0x600
	v_mul_f64_e32 v[102:103], v[94:95], v[114:115]
	v_add_f64_e32 v[4:5], v[4:5], v[100:101]
	v_add_f64_e32 v[8:9], v[8:9], v[138:139]
	v_mul_f64_e32 v[100:101], v[92:93], v[114:115]
	v_fmac_f64_e32 v[96:97], v[86:87], v[108:109]
	v_fma_f64 v[104:105], v[84:85], v[108:109], -v[106:107]
	v_fma_f64 v[92:93], v[92:93], v[112:113], -v[102:103]
	v_add_f64_e32 v[4:5], v[4:5], v[88:89]
	v_add_f64_e32 v[8:9], v[8:9], v[98:99]
	ds_load_b128 v[84:87], v2 offset:976
	ds_load_b128 v[88:91], v2 offset:992
	v_fmac_f64_e32 v[100:101], v[94:95], v[112:113]
	s_wait_loadcnt_dscnt 0x501
	v_mul_f64_e32 v[98:99], v[84:85], v[122:123]
	v_mul_f64_e32 v[106:107], v[86:87], v[122:123]
	v_add_f64_e32 v[4:5], v[4:5], v[104:105]
	v_add_f64_e32 v[8:9], v[8:9], v[96:97]
	s_wait_loadcnt_dscnt 0x200
	v_mul_f64_e32 v[96:97], v[88:89], v[12:13]
	v_mul_f64_e32 v[12:13], v[90:91], v[12:13]
	v_fmac_f64_e32 v[98:99], v[86:87], v[120:121]
	v_fma_f64 v[102:103], v[84:85], v[120:121], -v[106:107]
	v_add_f64_e32 v[4:5], v[4:5], v[92:93]
	v_add_f64_e32 v[8:9], v[8:9], v[100:101]
	ds_load_b128 v[84:87], v2 offset:1008
	ds_load_b128 v[92:95], v2 offset:1024
	v_fmac_f64_e32 v[96:97], v[90:91], v[10:11]
	v_fma_f64 v[10:11], v[88:89], v[10:11], -v[12:13]
	s_wait_dscnt 0x1
	v_mul_f64_e32 v[100:101], v[84:85], v[134:135]
	v_mul_f64_e32 v[104:105], v[86:87], v[134:135]
	v_add_f64_e32 v[4:5], v[4:5], v[102:103]
	v_add_f64_e32 v[8:9], v[8:9], v[98:99]
	s_wait_loadcnt_dscnt 0x100
	v_mul_f64_e32 v[12:13], v[92:93], v[82:83]
	v_mul_f64_e32 v[82:83], v[94:95], v[82:83]
	v_fmac_f64_e32 v[100:101], v[86:87], v[132:133]
	v_fma_f64 v[84:85], v[84:85], v[132:133], -v[104:105]
	v_add_f64_e32 v[4:5], v[4:5], v[10:11]
	v_add_f64_e32 v[86:87], v[8:9], v[96:97]
	ds_load_b128 v[8:11], v2 offset:1040
	v_fmac_f64_e32 v[12:13], v[94:95], v[80:81]
	v_fma_f64 v[80:81], v[92:93], v[80:81], -v[82:83]
	s_wait_loadcnt_dscnt 0x0
	v_mul_f64_e32 v[88:89], v[8:9], v[118:119]
	v_mul_f64_e32 v[90:91], v[10:11], v[118:119]
	v_add_f64_e32 v[4:5], v[4:5], v[84:85]
	v_add_f64_e32 v[82:83], v[86:87], v[100:101]
	s_delay_alu instid0(VALU_DEP_4) | instskip(NEXT) | instid1(VALU_DEP_4)
	v_fmac_f64_e32 v[88:89], v[10:11], v[116:117]
	v_fma_f64 v[8:9], v[8:9], v[116:117], -v[90:91]
	s_delay_alu instid0(VALU_DEP_4) | instskip(NEXT) | instid1(VALU_DEP_4)
	v_add_f64_e32 v[4:5], v[4:5], v[80:81]
	v_add_f64_e32 v[10:11], v[82:83], v[12:13]
	s_delay_alu instid0(VALU_DEP_2) | instskip(NEXT) | instid1(VALU_DEP_2)
	v_add_f64_e32 v[4:5], v[4:5], v[8:9]
	v_add_f64_e32 v[10:11], v[10:11], v[88:89]
	s_delay_alu instid0(VALU_DEP_2) | instskip(NEXT) | instid1(VALU_DEP_2)
	v_add_f64_e64 v[8:9], v[124:125], -v[4:5]
	v_add_f64_e64 v[10:11], v[126:127], -v[10:11]
	scratch_store_b128 off, v[8:11], off offset:272
	s_wait_xcnt 0x0
	v_cmpx_lt_u32_e32 16, v1
	s_cbranch_execz .LBB32_179
; %bb.178:
	scratch_load_b128 v[8:11], off, s33
	v_dual_mov_b32 v3, v2 :: v_dual_mov_b32 v4, v2
	v_mov_b32_e32 v5, v2
	scratch_store_b128 off, v[2:5], off offset:256
	s_wait_loadcnt 0x0
	ds_store_b128 v6, v[8:11]
.LBB32_179:
	s_wait_xcnt 0x0
	s_or_b32 exec_lo, exec_lo, s2
	s_wait_storecnt_dscnt 0x0
	s_barrier_signal -1
	s_barrier_wait -1
	s_clause 0x9
	scratch_load_b128 v[8:11], off, off offset:272
	scratch_load_b128 v[80:83], off, off offset:288
	;; [unrolled: 1-line block ×10, first 2 shown]
	ds_load_b128 v[116:119], v2 offset:800
	ds_load_b128 v[124:127], v2 offset:816
	s_clause 0x1
	scratch_load_b128 v[120:123], off, off offset:432
	scratch_load_b128 v[128:131], off, off offset:256
	s_mov_b32 s2, exec_lo
	s_wait_loadcnt_dscnt 0xb01
	v_mul_f64_e32 v[4:5], v[118:119], v[10:11]
	v_mul_f64_e32 v[140:141], v[116:117], v[10:11]
	scratch_load_b128 v[10:13], off, off offset:448
	s_wait_loadcnt_dscnt 0xb00
	v_mul_f64_e32 v[142:143], v[124:125], v[82:83]
	v_mul_f64_e32 v[82:83], v[126:127], v[82:83]
	v_fma_f64 v[4:5], v[116:117], v[8:9], -v[4:5]
	v_fmac_f64_e32 v[140:141], v[118:119], v[8:9]
	ds_load_b128 v[116:119], v2 offset:832
	ds_load_b128 v[132:135], v2 offset:848
	scratch_load_b128 v[136:139], off, off offset:464
	v_fmac_f64_e32 v[142:143], v[126:127], v[80:81]
	v_fma_f64 v[124:125], v[124:125], v[80:81], -v[82:83]
	scratch_load_b128 v[80:83], off, off offset:480
	s_wait_loadcnt_dscnt 0xc01
	v_mul_f64_e32 v[8:9], v[116:117], v[86:87]
	v_mul_f64_e32 v[86:87], v[118:119], v[86:87]
	v_add_f64_e32 v[4:5], 0, v[4:5]
	v_add_f64_e32 v[126:127], 0, v[140:141]
	s_wait_loadcnt_dscnt 0xb00
	v_mul_f64_e32 v[140:141], v[132:133], v[90:91]
	v_mul_f64_e32 v[90:91], v[134:135], v[90:91]
	v_fmac_f64_e32 v[8:9], v[118:119], v[84:85]
	v_fma_f64 v[144:145], v[116:117], v[84:85], -v[86:87]
	ds_load_b128 v[84:87], v2 offset:864
	ds_load_b128 v[116:119], v2 offset:880
	v_add_f64_e32 v[4:5], v[4:5], v[124:125]
	v_add_f64_e32 v[142:143], v[126:127], v[142:143]
	scratch_load_b128 v[124:127], off, off offset:496
	v_fmac_f64_e32 v[140:141], v[134:135], v[88:89]
	v_fma_f64 v[132:133], v[132:133], v[88:89], -v[90:91]
	scratch_load_b128 v[88:91], off, off offset:512
	s_wait_loadcnt_dscnt 0xc01
	v_mul_f64_e32 v[146:147], v[84:85], v[94:95]
	v_mul_f64_e32 v[94:95], v[86:87], v[94:95]
	s_wait_loadcnt_dscnt 0xb00
	v_mul_f64_e32 v[134:135], v[116:117], v[98:99]
	v_mul_f64_e32 v[98:99], v[118:119], v[98:99]
	v_add_f64_e32 v[4:5], v[4:5], v[144:145]
	v_add_f64_e32 v[8:9], v[142:143], v[8:9]
	v_fmac_f64_e32 v[146:147], v[86:87], v[92:93]
	v_fma_f64 v[142:143], v[84:85], v[92:93], -v[94:95]
	ds_load_b128 v[84:87], v2 offset:896
	ds_load_b128 v[92:95], v2 offset:912
	v_fmac_f64_e32 v[134:135], v[118:119], v[96:97]
	v_fma_f64 v[96:97], v[116:117], v[96:97], -v[98:99]
	s_wait_loadcnt_dscnt 0x900
	v_mul_f64_e32 v[116:117], v[92:93], v[106:107]
	v_add_f64_e32 v[4:5], v[4:5], v[132:133]
	v_add_f64_e32 v[8:9], v[8:9], v[140:141]
	v_mul_f64_e32 v[132:133], v[84:85], v[102:103]
	v_mul_f64_e32 v[102:103], v[86:87], v[102:103]
	;; [unrolled: 1-line block ×3, first 2 shown]
	v_fmac_f64_e32 v[116:117], v[94:95], v[104:105]
	v_add_f64_e32 v[4:5], v[4:5], v[142:143]
	v_add_f64_e32 v[8:9], v[8:9], v[146:147]
	v_fmac_f64_e32 v[132:133], v[86:87], v[100:101]
	v_fma_f64 v[100:101], v[84:85], v[100:101], -v[102:103]
	v_fma_f64 v[92:93], v[92:93], v[104:105], -v[106:107]
	v_add_f64_e32 v[4:5], v[4:5], v[96:97]
	v_add_f64_e32 v[8:9], v[8:9], v[134:135]
	ds_load_b128 v[84:87], v2 offset:928
	ds_load_b128 v[96:99], v2 offset:944
	s_wait_loadcnt_dscnt 0x801
	v_mul_f64_e32 v[102:103], v[84:85], v[110:111]
	v_mul_f64_e32 v[110:111], v[86:87], v[110:111]
	s_wait_loadcnt_dscnt 0x700
	v_mul_f64_e32 v[104:105], v[98:99], v[114:115]
	v_add_f64_e32 v[4:5], v[4:5], v[100:101]
	v_add_f64_e32 v[8:9], v[8:9], v[132:133]
	v_mul_f64_e32 v[100:101], v[96:97], v[114:115]
	v_fmac_f64_e32 v[102:103], v[86:87], v[108:109]
	v_fma_f64 v[106:107], v[84:85], v[108:109], -v[110:111]
	v_fma_f64 v[96:97], v[96:97], v[112:113], -v[104:105]
	v_add_f64_e32 v[4:5], v[4:5], v[92:93]
	v_add_f64_e32 v[8:9], v[8:9], v[116:117]
	ds_load_b128 v[84:87], v2 offset:960
	ds_load_b128 v[92:95], v2 offset:976
	v_fmac_f64_e32 v[100:101], v[98:99], v[112:113]
	s_wait_loadcnt_dscnt 0x601
	v_mul_f64_e32 v[108:109], v[84:85], v[122:123]
	v_mul_f64_e32 v[110:111], v[86:87], v[122:123]
	v_add_f64_e32 v[4:5], v[4:5], v[106:107]
	v_add_f64_e32 v[8:9], v[8:9], v[102:103]
	s_wait_loadcnt_dscnt 0x400
	v_mul_f64_e32 v[102:103], v[92:93], v[12:13]
	v_mul_f64_e32 v[12:13], v[94:95], v[12:13]
	v_fmac_f64_e32 v[108:109], v[86:87], v[120:121]
	v_fma_f64 v[104:105], v[84:85], v[120:121], -v[110:111]
	v_add_f64_e32 v[4:5], v[4:5], v[96:97]
	v_add_f64_e32 v[8:9], v[8:9], v[100:101]
	ds_load_b128 v[84:87], v2 offset:992
	ds_load_b128 v[96:99], v2 offset:1008
	v_fmac_f64_e32 v[102:103], v[94:95], v[10:11]
	v_fma_f64 v[10:11], v[92:93], v[10:11], -v[12:13]
	s_wait_loadcnt_dscnt 0x301
	v_mul_f64_e32 v[100:101], v[84:85], v[138:139]
	v_mul_f64_e32 v[106:107], v[86:87], v[138:139]
	s_wait_loadcnt_dscnt 0x200
	v_mul_f64_e32 v[12:13], v[96:97], v[82:83]
	v_mul_f64_e32 v[82:83], v[98:99], v[82:83]
	v_add_f64_e32 v[4:5], v[4:5], v[104:105]
	v_add_f64_e32 v[8:9], v[8:9], v[108:109]
	v_fmac_f64_e32 v[100:101], v[86:87], v[136:137]
	v_fma_f64 v[84:85], v[84:85], v[136:137], -v[106:107]
	v_fmac_f64_e32 v[12:13], v[98:99], v[80:81]
	v_fma_f64 v[80:81], v[96:97], v[80:81], -v[82:83]
	v_add_f64_e32 v[86:87], v[4:5], v[10:11]
	v_add_f64_e32 v[92:93], v[8:9], v[102:103]
	ds_load_b128 v[8:11], v2 offset:1024
	ds_load_b128 v[2:5], v2 offset:1040
	s_wait_loadcnt_dscnt 0x101
	v_mul_f64_e32 v[94:95], v[8:9], v[126:127]
	v_mul_f64_e32 v[102:103], v[10:11], v[126:127]
	v_add_f64_e32 v[82:83], v[86:87], v[84:85]
	v_add_f64_e32 v[84:85], v[92:93], v[100:101]
	s_wait_loadcnt_dscnt 0x0
	v_mul_f64_e32 v[86:87], v[2:3], v[90:91]
	v_mul_f64_e32 v[90:91], v[4:5], v[90:91]
	v_fmac_f64_e32 v[94:95], v[10:11], v[124:125]
	v_fma_f64 v[8:9], v[8:9], v[124:125], -v[102:103]
	v_add_f64_e32 v[10:11], v[82:83], v[80:81]
	v_add_f64_e32 v[12:13], v[84:85], v[12:13]
	v_fmac_f64_e32 v[86:87], v[4:5], v[88:89]
	v_fma_f64 v[2:3], v[2:3], v[88:89], -v[90:91]
	s_delay_alu instid0(VALU_DEP_4) | instskip(NEXT) | instid1(VALU_DEP_4)
	v_add_f64_e32 v[4:5], v[10:11], v[8:9]
	v_add_f64_e32 v[8:9], v[12:13], v[94:95]
	s_delay_alu instid0(VALU_DEP_2) | instskip(NEXT) | instid1(VALU_DEP_2)
	v_add_f64_e32 v[2:3], v[4:5], v[2:3]
	v_add_f64_e32 v[4:5], v[8:9], v[86:87]
	s_delay_alu instid0(VALU_DEP_2) | instskip(NEXT) | instid1(VALU_DEP_2)
	v_add_f64_e64 v[2:3], v[128:129], -v[2:3]
	v_add_f64_e64 v[4:5], v[130:131], -v[4:5]
	scratch_store_b128 off, v[2:5], off offset:256
	s_wait_xcnt 0x0
	v_cmpx_lt_u32_e32 15, v1
	s_cbranch_execz .LBB32_181
; %bb.180:
	scratch_load_b128 v[2:5], off, s39
	v_mov_b32_e32 v8, 0
	s_delay_alu instid0(VALU_DEP_1)
	v_dual_mov_b32 v9, v8 :: v_dual_mov_b32 v10, v8
	v_mov_b32_e32 v11, v8
	scratch_store_b128 off, v[8:11], off offset:240
	s_wait_loadcnt 0x0
	ds_store_b128 v6, v[2:5]
.LBB32_181:
	s_wait_xcnt 0x0
	s_or_b32 exec_lo, exec_lo, s2
	s_wait_storecnt_dscnt 0x0
	s_barrier_signal -1
	s_barrier_wait -1
	s_clause 0x9
	scratch_load_b128 v[8:11], off, off offset:256
	scratch_load_b128 v[80:83], off, off offset:272
	;; [unrolled: 1-line block ×10, first 2 shown]
	v_mov_b32_e32 v2, 0
	s_mov_b32 s2, exec_lo
	ds_load_b128 v[116:119], v2 offset:784
	s_clause 0x2
	scratch_load_b128 v[120:123], off, off offset:416
	scratch_load_b128 v[124:127], off, off offset:240
	;; [unrolled: 1-line block ×3, first 2 shown]
	s_wait_loadcnt_dscnt 0xc00
	v_mul_f64_e32 v[4:5], v[118:119], v[10:11]
	v_mul_f64_e32 v[140:141], v[116:117], v[10:11]
	ds_load_b128 v[128:131], v2 offset:800
	scratch_load_b128 v[10:13], off, off offset:432
	ds_load_b128 v[136:139], v2 offset:832
	v_fma_f64 v[4:5], v[116:117], v[8:9], -v[4:5]
	v_fmac_f64_e32 v[140:141], v[118:119], v[8:9]
	ds_load_b128 v[116:119], v2 offset:816
	s_wait_loadcnt_dscnt 0xc02
	v_mul_f64_e32 v[142:143], v[128:129], v[82:83]
	v_mul_f64_e32 v[82:83], v[130:131], v[82:83]
	s_wait_loadcnt_dscnt 0xb00
	v_mul_f64_e32 v[8:9], v[116:117], v[86:87]
	v_mul_f64_e32 v[86:87], v[118:119], v[86:87]
	v_add_f64_e32 v[4:5], 0, v[4:5]
	v_fmac_f64_e32 v[142:143], v[130:131], v[80:81]
	v_fma_f64 v[128:129], v[128:129], v[80:81], -v[82:83]
	v_add_f64_e32 v[130:131], 0, v[140:141]
	scratch_load_b128 v[80:83], off, off offset:464
	v_fmac_f64_e32 v[8:9], v[118:119], v[84:85]
	v_fma_f64 v[144:145], v[116:117], v[84:85], -v[86:87]
	ds_load_b128 v[84:87], v2 offset:848
	s_wait_loadcnt 0xb
	v_mul_f64_e32 v[140:141], v[136:137], v[90:91]
	v_mul_f64_e32 v[90:91], v[138:139], v[90:91]
	scratch_load_b128 v[116:119], off, off offset:480
	v_add_f64_e32 v[4:5], v[4:5], v[128:129]
	v_add_f64_e32 v[142:143], v[130:131], v[142:143]
	ds_load_b128 v[128:131], v2 offset:864
	s_wait_loadcnt_dscnt 0xb01
	v_mul_f64_e32 v[146:147], v[84:85], v[94:95]
	v_mul_f64_e32 v[94:95], v[86:87], v[94:95]
	v_fmac_f64_e32 v[140:141], v[138:139], v[88:89]
	v_fma_f64 v[136:137], v[136:137], v[88:89], -v[90:91]
	scratch_load_b128 v[88:91], off, off offset:496
	v_add_f64_e32 v[4:5], v[4:5], v[144:145]
	v_add_f64_e32 v[8:9], v[142:143], v[8:9]
	v_fmac_f64_e32 v[146:147], v[86:87], v[92:93]
	v_fma_f64 v[144:145], v[84:85], v[92:93], -v[94:95]
	ds_load_b128 v[84:87], v2 offset:880
	s_wait_loadcnt_dscnt 0xb01
	v_mul_f64_e32 v[142:143], v[128:129], v[98:99]
	v_mul_f64_e32 v[98:99], v[130:131], v[98:99]
	scratch_load_b128 v[92:95], off, off offset:512
	v_add_f64_e32 v[4:5], v[4:5], v[136:137]
	v_add_f64_e32 v[8:9], v[8:9], v[140:141]
	s_wait_loadcnt_dscnt 0xb00
	v_mul_f64_e32 v[140:141], v[84:85], v[102:103]
	v_mul_f64_e32 v[102:103], v[86:87], v[102:103]
	ds_load_b128 v[136:139], v2 offset:896
	v_fmac_f64_e32 v[142:143], v[130:131], v[96:97]
	v_fma_f64 v[96:97], v[128:129], v[96:97], -v[98:99]
	s_wait_loadcnt_dscnt 0xa00
	v_mul_f64_e32 v[128:129], v[136:137], v[106:107]
	v_mul_f64_e32 v[106:107], v[138:139], v[106:107]
	v_add_f64_e32 v[4:5], v[4:5], v[144:145]
	v_add_f64_e32 v[8:9], v[8:9], v[146:147]
	v_fmac_f64_e32 v[140:141], v[86:87], v[100:101]
	v_fma_f64 v[100:101], v[84:85], v[100:101], -v[102:103]
	v_fmac_f64_e32 v[128:129], v[138:139], v[104:105]
	v_fma_f64 v[104:105], v[136:137], v[104:105], -v[106:107]
	v_add_f64_e32 v[4:5], v[4:5], v[96:97]
	v_add_f64_e32 v[8:9], v[8:9], v[142:143]
	ds_load_b128 v[84:87], v2 offset:912
	ds_load_b128 v[96:99], v2 offset:928
	s_wait_loadcnt_dscnt 0x901
	v_mul_f64_e32 v[130:131], v[84:85], v[110:111]
	v_mul_f64_e32 v[102:103], v[86:87], v[110:111]
	s_wait_loadcnt_dscnt 0x800
	v_mul_f64_e32 v[106:107], v[96:97], v[114:115]
	v_mul_f64_e32 v[110:111], v[98:99], v[114:115]
	v_add_f64_e32 v[4:5], v[4:5], v[100:101]
	v_add_f64_e32 v[8:9], v[8:9], v[140:141]
	v_fmac_f64_e32 v[130:131], v[86:87], v[108:109]
	v_fma_f64 v[108:109], v[84:85], v[108:109], -v[102:103]
	ds_load_b128 v[84:87], v2 offset:944
	ds_load_b128 v[100:103], v2 offset:960
	v_fmac_f64_e32 v[106:107], v[98:99], v[112:113]
	v_fma_f64 v[96:97], v[96:97], v[112:113], -v[110:111]
	v_add_f64_e32 v[4:5], v[4:5], v[104:105]
	v_add_f64_e32 v[8:9], v[8:9], v[128:129]
	s_wait_loadcnt_dscnt 0x701
	v_mul_f64_e32 v[104:105], v[84:85], v[122:123]
	v_mul_f64_e32 v[114:115], v[86:87], v[122:123]
	s_delay_alu instid0(VALU_DEP_4) | instskip(NEXT) | instid1(VALU_DEP_4)
	v_add_f64_e32 v[4:5], v[4:5], v[108:109]
	v_add_f64_e32 v[8:9], v[8:9], v[130:131]
	s_wait_loadcnt_dscnt 0x400
	v_mul_f64_e32 v[108:109], v[100:101], v[12:13]
	v_mul_f64_e32 v[12:13], v[102:103], v[12:13]
	v_fmac_f64_e32 v[104:105], v[86:87], v[120:121]
	v_fma_f64 v[110:111], v[84:85], v[120:121], -v[114:115]
	v_add_f64_e32 v[4:5], v[4:5], v[96:97]
	v_add_f64_e32 v[8:9], v[8:9], v[106:107]
	ds_load_b128 v[84:87], v2 offset:976
	ds_load_b128 v[96:99], v2 offset:992
	v_fmac_f64_e32 v[108:109], v[102:103], v[10:11]
	v_fma_f64 v[10:11], v[100:101], v[10:11], -v[12:13]
	s_wait_dscnt 0x1
	v_mul_f64_e32 v[106:107], v[84:85], v[134:135]
	v_mul_f64_e32 v[112:113], v[86:87], v[134:135]
	v_add_f64_e32 v[4:5], v[4:5], v[110:111]
	v_add_f64_e32 v[8:9], v[8:9], v[104:105]
	s_wait_loadcnt_dscnt 0x300
	v_mul_f64_e32 v[12:13], v[96:97], v[82:83]
	v_mul_f64_e32 v[100:101], v[98:99], v[82:83]
	v_fmac_f64_e32 v[106:107], v[86:87], v[132:133]
	v_fma_f64 v[86:87], v[84:85], v[132:133], -v[112:113]
	v_add_f64_e32 v[4:5], v[4:5], v[10:11]
	v_add_f64_e32 v[102:103], v[8:9], v[108:109]
	ds_load_b128 v[8:11], v2 offset:1008
	ds_load_b128 v[82:85], v2 offset:1024
	v_fmac_f64_e32 v[12:13], v[98:99], v[80:81]
	v_fma_f64 v[80:81], v[96:97], v[80:81], -v[100:101]
	s_wait_loadcnt_dscnt 0x201
	v_mul_f64_e32 v[104:105], v[8:9], v[118:119]
	v_mul_f64_e32 v[108:109], v[10:11], v[118:119]
	s_wait_loadcnt_dscnt 0x100
	v_mul_f64_e32 v[96:97], v[82:83], v[90:91]
	v_mul_f64_e32 v[90:91], v[84:85], v[90:91]
	v_add_f64_e32 v[4:5], v[4:5], v[86:87]
	v_add_f64_e32 v[86:87], v[102:103], v[106:107]
	v_fmac_f64_e32 v[104:105], v[10:11], v[116:117]
	v_fma_f64 v[98:99], v[8:9], v[116:117], -v[108:109]
	ds_load_b128 v[8:11], v2 offset:1040
	v_fmac_f64_e32 v[96:97], v[84:85], v[88:89]
	v_fma_f64 v[82:83], v[82:83], v[88:89], -v[90:91]
	v_add_f64_e32 v[4:5], v[4:5], v[80:81]
	v_add_f64_e32 v[12:13], v[86:87], v[12:13]
	s_wait_loadcnt_dscnt 0x0
	v_mul_f64_e32 v[80:81], v[8:9], v[94:95]
	v_mul_f64_e32 v[86:87], v[10:11], v[94:95]
	s_delay_alu instid0(VALU_DEP_4) | instskip(NEXT) | instid1(VALU_DEP_4)
	v_add_f64_e32 v[4:5], v[4:5], v[98:99]
	v_add_f64_e32 v[12:13], v[12:13], v[104:105]
	s_delay_alu instid0(VALU_DEP_4) | instskip(NEXT) | instid1(VALU_DEP_4)
	v_fmac_f64_e32 v[80:81], v[10:11], v[92:93]
	v_fma_f64 v[8:9], v[8:9], v[92:93], -v[86:87]
	s_delay_alu instid0(VALU_DEP_4) | instskip(NEXT) | instid1(VALU_DEP_4)
	v_add_f64_e32 v[4:5], v[4:5], v[82:83]
	v_add_f64_e32 v[10:11], v[12:13], v[96:97]
	s_delay_alu instid0(VALU_DEP_2) | instskip(NEXT) | instid1(VALU_DEP_2)
	v_add_f64_e32 v[4:5], v[4:5], v[8:9]
	v_add_f64_e32 v[10:11], v[10:11], v[80:81]
	s_delay_alu instid0(VALU_DEP_2) | instskip(NEXT) | instid1(VALU_DEP_2)
	v_add_f64_e64 v[8:9], v[124:125], -v[4:5]
	v_add_f64_e64 v[10:11], v[126:127], -v[10:11]
	scratch_store_b128 off, v[8:11], off offset:240
	s_wait_xcnt 0x0
	v_cmpx_lt_u32_e32 14, v1
	s_cbranch_execz .LBB32_183
; %bb.182:
	scratch_load_b128 v[8:11], off, s44
	v_dual_mov_b32 v3, v2 :: v_dual_mov_b32 v4, v2
	v_mov_b32_e32 v5, v2
	scratch_store_b128 off, v[2:5], off offset:224
	s_wait_loadcnt 0x0
	ds_store_b128 v6, v[8:11]
.LBB32_183:
	s_wait_xcnt 0x0
	s_or_b32 exec_lo, exec_lo, s2
	s_wait_storecnt_dscnt 0x0
	s_barrier_signal -1
	s_barrier_wait -1
	s_clause 0x9
	scratch_load_b128 v[8:11], off, off offset:240
	scratch_load_b128 v[80:83], off, off offset:256
	;; [unrolled: 1-line block ×10, first 2 shown]
	ds_load_b128 v[116:119], v2 offset:768
	ds_load_b128 v[124:127], v2 offset:784
	s_clause 0x1
	scratch_load_b128 v[120:123], off, off offset:400
	scratch_load_b128 v[128:131], off, off offset:224
	s_mov_b32 s2, exec_lo
	s_wait_loadcnt_dscnt 0xb01
	v_mul_f64_e32 v[4:5], v[118:119], v[10:11]
	v_mul_f64_e32 v[140:141], v[116:117], v[10:11]
	scratch_load_b128 v[10:13], off, off offset:416
	s_wait_loadcnt_dscnt 0xb00
	v_mul_f64_e32 v[142:143], v[124:125], v[82:83]
	v_mul_f64_e32 v[82:83], v[126:127], v[82:83]
	v_fma_f64 v[4:5], v[116:117], v[8:9], -v[4:5]
	v_fmac_f64_e32 v[140:141], v[118:119], v[8:9]
	ds_load_b128 v[116:119], v2 offset:800
	ds_load_b128 v[132:135], v2 offset:816
	scratch_load_b128 v[136:139], off, off offset:432
	v_fmac_f64_e32 v[142:143], v[126:127], v[80:81]
	v_fma_f64 v[124:125], v[124:125], v[80:81], -v[82:83]
	scratch_load_b128 v[80:83], off, off offset:448
	s_wait_loadcnt_dscnt 0xc01
	v_mul_f64_e32 v[8:9], v[116:117], v[86:87]
	v_mul_f64_e32 v[86:87], v[118:119], v[86:87]
	v_add_f64_e32 v[4:5], 0, v[4:5]
	v_add_f64_e32 v[126:127], 0, v[140:141]
	s_wait_loadcnt_dscnt 0xb00
	v_mul_f64_e32 v[140:141], v[132:133], v[90:91]
	v_mul_f64_e32 v[90:91], v[134:135], v[90:91]
	v_fmac_f64_e32 v[8:9], v[118:119], v[84:85]
	v_fma_f64 v[144:145], v[116:117], v[84:85], -v[86:87]
	ds_load_b128 v[84:87], v2 offset:832
	ds_load_b128 v[116:119], v2 offset:848
	v_add_f64_e32 v[4:5], v[4:5], v[124:125]
	v_add_f64_e32 v[142:143], v[126:127], v[142:143]
	scratch_load_b128 v[124:127], off, off offset:464
	v_fmac_f64_e32 v[140:141], v[134:135], v[88:89]
	v_fma_f64 v[132:133], v[132:133], v[88:89], -v[90:91]
	scratch_load_b128 v[88:91], off, off offset:480
	s_wait_loadcnt_dscnt 0xc01
	v_mul_f64_e32 v[146:147], v[84:85], v[94:95]
	v_mul_f64_e32 v[94:95], v[86:87], v[94:95]
	v_add_f64_e32 v[4:5], v[4:5], v[144:145]
	v_add_f64_e32 v[8:9], v[142:143], v[8:9]
	s_wait_loadcnt_dscnt 0xb00
	v_mul_f64_e32 v[142:143], v[116:117], v[98:99]
	v_mul_f64_e32 v[98:99], v[118:119], v[98:99]
	v_fmac_f64_e32 v[146:147], v[86:87], v[92:93]
	v_fma_f64 v[144:145], v[84:85], v[92:93], -v[94:95]
	ds_load_b128 v[84:87], v2 offset:864
	ds_load_b128 v[92:95], v2 offset:880
	v_add_f64_e32 v[4:5], v[4:5], v[132:133]
	v_add_f64_e32 v[8:9], v[8:9], v[140:141]
	scratch_load_b128 v[132:135], off, off offset:496
	s_wait_loadcnt_dscnt 0xb01
	v_mul_f64_e32 v[140:141], v[84:85], v[102:103]
	v_mul_f64_e32 v[102:103], v[86:87], v[102:103]
	v_fmac_f64_e32 v[142:143], v[118:119], v[96:97]
	v_fma_f64 v[116:117], v[116:117], v[96:97], -v[98:99]
	scratch_load_b128 v[96:99], off, off offset:512
	s_wait_loadcnt_dscnt 0xb00
	v_mul_f64_e32 v[118:119], v[92:93], v[106:107]
	v_mul_f64_e32 v[106:107], v[94:95], v[106:107]
	v_add_f64_e32 v[4:5], v[4:5], v[144:145]
	v_add_f64_e32 v[8:9], v[8:9], v[146:147]
	v_fmac_f64_e32 v[140:141], v[86:87], v[100:101]
	v_fma_f64 v[144:145], v[84:85], v[100:101], -v[102:103]
	ds_load_b128 v[84:87], v2 offset:896
	ds_load_b128 v[100:103], v2 offset:912
	v_fmac_f64_e32 v[118:119], v[94:95], v[104:105]
	v_fma_f64 v[92:93], v[92:93], v[104:105], -v[106:107]
	s_wait_loadcnt_dscnt 0x900
	v_mul_f64_e32 v[104:105], v[100:101], v[114:115]
	v_mul_f64_e32 v[106:107], v[102:103], v[114:115]
	v_add_f64_e32 v[4:5], v[4:5], v[116:117]
	v_add_f64_e32 v[8:9], v[8:9], v[142:143]
	v_mul_f64_e32 v[116:117], v[84:85], v[110:111]
	v_mul_f64_e32 v[110:111], v[86:87], v[110:111]
	v_fmac_f64_e32 v[104:105], v[102:103], v[112:113]
	v_fma_f64 v[100:101], v[100:101], v[112:113], -v[106:107]
	v_add_f64_e32 v[4:5], v[4:5], v[144:145]
	v_add_f64_e32 v[8:9], v[8:9], v[140:141]
	v_fmac_f64_e32 v[116:117], v[86:87], v[108:109]
	v_fma_f64 v[108:109], v[84:85], v[108:109], -v[110:111]
	s_delay_alu instid0(VALU_DEP_4) | instskip(NEXT) | instid1(VALU_DEP_4)
	v_add_f64_e32 v[4:5], v[4:5], v[92:93]
	v_add_f64_e32 v[8:9], v[8:9], v[118:119]
	ds_load_b128 v[84:87], v2 offset:928
	ds_load_b128 v[92:95], v2 offset:944
	s_wait_loadcnt_dscnt 0x801
	v_mul_f64_e32 v[110:111], v[84:85], v[122:123]
	v_mul_f64_e32 v[114:115], v[86:87], v[122:123]
	v_add_f64_e32 v[4:5], v[4:5], v[108:109]
	v_add_f64_e32 v[8:9], v[8:9], v[116:117]
	s_wait_loadcnt_dscnt 0x600
	v_mul_f64_e32 v[106:107], v[92:93], v[12:13]
	v_mul_f64_e32 v[12:13], v[94:95], v[12:13]
	v_fmac_f64_e32 v[110:111], v[86:87], v[120:121]
	v_fma_f64 v[108:109], v[84:85], v[120:121], -v[114:115]
	v_add_f64_e32 v[4:5], v[4:5], v[100:101]
	v_add_f64_e32 v[8:9], v[8:9], v[104:105]
	ds_load_b128 v[84:87], v2 offset:960
	ds_load_b128 v[100:103], v2 offset:976
	v_fmac_f64_e32 v[106:107], v[94:95], v[10:11]
	v_fma_f64 v[10:11], v[92:93], v[10:11], -v[12:13]
	s_wait_loadcnt_dscnt 0x501
	v_mul_f64_e32 v[104:105], v[84:85], v[138:139]
	v_mul_f64_e32 v[112:113], v[86:87], v[138:139]
	s_wait_loadcnt_dscnt 0x400
	v_mul_f64_e32 v[12:13], v[100:101], v[82:83]
	v_mul_f64_e32 v[92:93], v[102:103], v[82:83]
	v_add_f64_e32 v[4:5], v[4:5], v[108:109]
	v_add_f64_e32 v[8:9], v[8:9], v[110:111]
	v_fmac_f64_e32 v[104:105], v[86:87], v[136:137]
	v_fma_f64 v[86:87], v[84:85], v[136:137], -v[112:113]
	v_fmac_f64_e32 v[12:13], v[102:103], v[80:81]
	v_fma_f64 v[80:81], v[100:101], v[80:81], -v[92:93]
	v_add_f64_e32 v[4:5], v[4:5], v[10:11]
	v_add_f64_e32 v[94:95], v[8:9], v[106:107]
	ds_load_b128 v[8:11], v2 offset:992
	ds_load_b128 v[82:85], v2 offset:1008
	s_wait_loadcnt_dscnt 0x301
	v_mul_f64_e32 v[106:107], v[8:9], v[126:127]
	v_mul_f64_e32 v[108:109], v[10:11], v[126:127]
	s_wait_loadcnt_dscnt 0x200
	v_mul_f64_e32 v[92:93], v[82:83], v[90:91]
	v_mul_f64_e32 v[90:91], v[84:85], v[90:91]
	v_add_f64_e32 v[4:5], v[4:5], v[86:87]
	v_add_f64_e32 v[86:87], v[94:95], v[104:105]
	v_fmac_f64_e32 v[106:107], v[10:11], v[124:125]
	v_fma_f64 v[94:95], v[8:9], v[124:125], -v[108:109]
	v_fmac_f64_e32 v[92:93], v[84:85], v[88:89]
	v_fma_f64 v[82:83], v[82:83], v[88:89], -v[90:91]
	v_add_f64_e32 v[80:81], v[4:5], v[80:81]
	v_add_f64_e32 v[12:13], v[86:87], v[12:13]
	ds_load_b128 v[8:11], v2 offset:1024
	ds_load_b128 v[2:5], v2 offset:1040
	s_wait_loadcnt_dscnt 0x101
	v_mul_f64_e32 v[86:87], v[8:9], v[134:135]
	v_mul_f64_e32 v[100:101], v[10:11], v[134:135]
	s_wait_loadcnt_dscnt 0x0
	v_mul_f64_e32 v[84:85], v[2:3], v[98:99]
	v_mul_f64_e32 v[88:89], v[4:5], v[98:99]
	v_add_f64_e32 v[80:81], v[80:81], v[94:95]
	v_add_f64_e32 v[12:13], v[12:13], v[106:107]
	v_fmac_f64_e32 v[86:87], v[10:11], v[132:133]
	v_fma_f64 v[8:9], v[8:9], v[132:133], -v[100:101]
	v_fmac_f64_e32 v[84:85], v[4:5], v[96:97]
	v_fma_f64 v[2:3], v[2:3], v[96:97], -v[88:89]
	v_add_f64_e32 v[10:11], v[80:81], v[82:83]
	v_add_f64_e32 v[12:13], v[12:13], v[92:93]
	s_delay_alu instid0(VALU_DEP_2) | instskip(NEXT) | instid1(VALU_DEP_2)
	v_add_f64_e32 v[4:5], v[10:11], v[8:9]
	v_add_f64_e32 v[8:9], v[12:13], v[86:87]
	s_delay_alu instid0(VALU_DEP_2) | instskip(NEXT) | instid1(VALU_DEP_2)
	;; [unrolled: 3-line block ×3, first 2 shown]
	v_add_f64_e64 v[2:3], v[128:129], -v[2:3]
	v_add_f64_e64 v[4:5], v[130:131], -v[4:5]
	scratch_store_b128 off, v[2:5], off offset:224
	s_wait_xcnt 0x0
	v_cmpx_lt_u32_e32 13, v1
	s_cbranch_execz .LBB32_185
; %bb.184:
	scratch_load_b128 v[2:5], off, s43
	v_mov_b32_e32 v8, 0
	s_delay_alu instid0(VALU_DEP_1)
	v_dual_mov_b32 v9, v8 :: v_dual_mov_b32 v10, v8
	v_mov_b32_e32 v11, v8
	scratch_store_b128 off, v[8:11], off offset:208
	s_wait_loadcnt 0x0
	ds_store_b128 v6, v[2:5]
.LBB32_185:
	s_wait_xcnt 0x0
	s_or_b32 exec_lo, exec_lo, s2
	s_wait_storecnt_dscnt 0x0
	s_barrier_signal -1
	s_barrier_wait -1
	s_clause 0x9
	scratch_load_b128 v[8:11], off, off offset:224
	scratch_load_b128 v[80:83], off, off offset:240
	;; [unrolled: 1-line block ×10, first 2 shown]
	v_mov_b32_e32 v2, 0
	s_mov_b32 s2, exec_lo
	ds_load_b128 v[116:119], v2 offset:752
	s_clause 0x2
	scratch_load_b128 v[120:123], off, off offset:384
	scratch_load_b128 v[124:127], off, off offset:208
	;; [unrolled: 1-line block ×3, first 2 shown]
	s_wait_loadcnt_dscnt 0xc00
	v_mul_f64_e32 v[4:5], v[118:119], v[10:11]
	v_mul_f64_e32 v[140:141], v[116:117], v[10:11]
	ds_load_b128 v[128:131], v2 offset:768
	scratch_load_b128 v[10:13], off, off offset:400
	ds_load_b128 v[136:139], v2 offset:800
	v_fma_f64 v[4:5], v[116:117], v[8:9], -v[4:5]
	v_fmac_f64_e32 v[140:141], v[118:119], v[8:9]
	ds_load_b128 v[116:119], v2 offset:784
	s_wait_loadcnt_dscnt 0xc02
	v_mul_f64_e32 v[142:143], v[128:129], v[82:83]
	v_mul_f64_e32 v[82:83], v[130:131], v[82:83]
	s_wait_loadcnt_dscnt 0xb00
	v_mul_f64_e32 v[8:9], v[116:117], v[86:87]
	v_mul_f64_e32 v[86:87], v[118:119], v[86:87]
	v_add_f64_e32 v[4:5], 0, v[4:5]
	v_fmac_f64_e32 v[142:143], v[130:131], v[80:81]
	v_fma_f64 v[128:129], v[128:129], v[80:81], -v[82:83]
	v_add_f64_e32 v[130:131], 0, v[140:141]
	scratch_load_b128 v[80:83], off, off offset:432
	v_fmac_f64_e32 v[8:9], v[118:119], v[84:85]
	v_fma_f64 v[144:145], v[116:117], v[84:85], -v[86:87]
	ds_load_b128 v[84:87], v2 offset:816
	s_wait_loadcnt 0xb
	v_mul_f64_e32 v[140:141], v[136:137], v[90:91]
	v_mul_f64_e32 v[90:91], v[138:139], v[90:91]
	scratch_load_b128 v[116:119], off, off offset:448
	v_add_f64_e32 v[4:5], v[4:5], v[128:129]
	v_add_f64_e32 v[142:143], v[130:131], v[142:143]
	ds_load_b128 v[128:131], v2 offset:832
	s_wait_loadcnt_dscnt 0xb01
	v_mul_f64_e32 v[146:147], v[84:85], v[94:95]
	v_mul_f64_e32 v[94:95], v[86:87], v[94:95]
	v_fmac_f64_e32 v[140:141], v[138:139], v[88:89]
	v_fma_f64 v[136:137], v[136:137], v[88:89], -v[90:91]
	scratch_load_b128 v[88:91], off, off offset:464
	v_add_f64_e32 v[4:5], v[4:5], v[144:145]
	v_add_f64_e32 v[8:9], v[142:143], v[8:9]
	v_fmac_f64_e32 v[146:147], v[86:87], v[92:93]
	v_fma_f64 v[144:145], v[84:85], v[92:93], -v[94:95]
	ds_load_b128 v[84:87], v2 offset:848
	s_wait_loadcnt_dscnt 0xb01
	v_mul_f64_e32 v[142:143], v[128:129], v[98:99]
	v_mul_f64_e32 v[98:99], v[130:131], v[98:99]
	scratch_load_b128 v[92:95], off, off offset:480
	v_add_f64_e32 v[4:5], v[4:5], v[136:137]
	v_add_f64_e32 v[8:9], v[8:9], v[140:141]
	s_wait_loadcnt_dscnt 0xb00
	v_mul_f64_e32 v[140:141], v[84:85], v[102:103]
	v_mul_f64_e32 v[102:103], v[86:87], v[102:103]
	ds_load_b128 v[136:139], v2 offset:864
	v_fmac_f64_e32 v[142:143], v[130:131], v[96:97]
	v_fma_f64 v[128:129], v[128:129], v[96:97], -v[98:99]
	scratch_load_b128 v[96:99], off, off offset:496
	v_add_f64_e32 v[4:5], v[4:5], v[144:145]
	v_add_f64_e32 v[8:9], v[8:9], v[146:147]
	v_fmac_f64_e32 v[140:141], v[86:87], v[100:101]
	v_fma_f64 v[146:147], v[84:85], v[100:101], -v[102:103]
	ds_load_b128 v[84:87], v2 offset:880
	s_wait_loadcnt_dscnt 0xb01
	v_mul_f64_e32 v[144:145], v[136:137], v[106:107]
	v_mul_f64_e32 v[106:107], v[138:139], v[106:107]
	scratch_load_b128 v[100:103], off, off offset:512
	v_add_f64_e32 v[4:5], v[4:5], v[128:129]
	v_add_f64_e32 v[8:9], v[8:9], v[142:143]
	s_wait_loadcnt_dscnt 0xb00
	v_mul_f64_e32 v[142:143], v[84:85], v[110:111]
	v_mul_f64_e32 v[110:111], v[86:87], v[110:111]
	ds_load_b128 v[128:131], v2 offset:896
	v_fmac_f64_e32 v[144:145], v[138:139], v[104:105]
	v_fma_f64 v[104:105], v[136:137], v[104:105], -v[106:107]
	s_wait_loadcnt_dscnt 0xa00
	v_mul_f64_e32 v[136:137], v[128:129], v[114:115]
	v_mul_f64_e32 v[114:115], v[130:131], v[114:115]
	v_add_f64_e32 v[4:5], v[4:5], v[146:147]
	v_add_f64_e32 v[8:9], v[8:9], v[140:141]
	v_fmac_f64_e32 v[142:143], v[86:87], v[108:109]
	v_fma_f64 v[108:109], v[84:85], v[108:109], -v[110:111]
	v_fmac_f64_e32 v[136:137], v[130:131], v[112:113]
	v_fma_f64 v[112:113], v[128:129], v[112:113], -v[114:115]
	v_add_f64_e32 v[4:5], v[4:5], v[104:105]
	v_add_f64_e32 v[8:9], v[8:9], v[144:145]
	ds_load_b128 v[84:87], v2 offset:912
	ds_load_b128 v[104:107], v2 offset:928
	s_wait_loadcnt_dscnt 0x901
	v_mul_f64_e32 v[138:139], v[84:85], v[122:123]
	v_mul_f64_e32 v[110:111], v[86:87], v[122:123]
	s_wait_loadcnt_dscnt 0x600
	v_mul_f64_e32 v[114:115], v[104:105], v[12:13]
	v_add_f64_e32 v[4:5], v[4:5], v[108:109]
	v_add_f64_e32 v[8:9], v[8:9], v[142:143]
	v_mul_f64_e32 v[12:13], v[106:107], v[12:13]
	v_fmac_f64_e32 v[138:139], v[86:87], v[120:121]
	v_fma_f64 v[120:121], v[84:85], v[120:121], -v[110:111]
	ds_load_b128 v[84:87], v2 offset:944
	ds_load_b128 v[108:111], v2 offset:960
	v_fmac_f64_e32 v[114:115], v[106:107], v[10:11]
	v_add_f64_e32 v[4:5], v[4:5], v[112:113]
	v_add_f64_e32 v[8:9], v[8:9], v[136:137]
	v_fma_f64 v[10:11], v[104:105], v[10:11], -v[12:13]
	s_wait_dscnt 0x1
	v_mul_f64_e32 v[112:113], v[84:85], v[134:135]
	v_mul_f64_e32 v[122:123], v[86:87], v[134:135]
	v_add_f64_e32 v[4:5], v[4:5], v[120:121]
	v_add_f64_e32 v[8:9], v[8:9], v[138:139]
	s_wait_loadcnt_dscnt 0x500
	v_mul_f64_e32 v[12:13], v[108:109], v[82:83]
	v_mul_f64_e32 v[104:105], v[110:111], v[82:83]
	v_fmac_f64_e32 v[112:113], v[86:87], v[132:133]
	v_fma_f64 v[86:87], v[84:85], v[132:133], -v[122:123]
	v_add_f64_e32 v[4:5], v[4:5], v[10:11]
	v_add_f64_e32 v[106:107], v[8:9], v[114:115]
	ds_load_b128 v[8:11], v2 offset:976
	ds_load_b128 v[82:85], v2 offset:992
	v_fmac_f64_e32 v[12:13], v[110:111], v[80:81]
	v_fma_f64 v[80:81], v[108:109], v[80:81], -v[104:105]
	s_wait_loadcnt_dscnt 0x401
	v_mul_f64_e32 v[114:115], v[8:9], v[118:119]
	v_mul_f64_e32 v[118:119], v[10:11], v[118:119]
	s_wait_loadcnt_dscnt 0x300
	v_mul_f64_e32 v[108:109], v[82:83], v[90:91]
	v_mul_f64_e32 v[90:91], v[84:85], v[90:91]
	v_add_f64_e32 v[4:5], v[4:5], v[86:87]
	v_add_f64_e32 v[86:87], v[106:107], v[112:113]
	v_fmac_f64_e32 v[114:115], v[10:11], v[116:117]
	v_fma_f64 v[110:111], v[8:9], v[116:117], -v[118:119]
	ds_load_b128 v[8:11], v2 offset:1008
	ds_load_b128 v[104:107], v2 offset:1024
	v_fmac_f64_e32 v[108:109], v[84:85], v[88:89]
	v_fma_f64 v[82:83], v[82:83], v[88:89], -v[90:91]
	v_add_f64_e32 v[4:5], v[4:5], v[80:81]
	v_add_f64_e32 v[12:13], v[86:87], v[12:13]
	s_wait_loadcnt_dscnt 0x201
	v_mul_f64_e32 v[80:81], v[8:9], v[94:95]
	v_mul_f64_e32 v[86:87], v[10:11], v[94:95]
	s_wait_loadcnt_dscnt 0x100
	v_mul_f64_e32 v[84:85], v[104:105], v[98:99]
	v_mul_f64_e32 v[88:89], v[106:107], v[98:99]
	v_add_f64_e32 v[4:5], v[4:5], v[110:111]
	v_add_f64_e32 v[12:13], v[12:13], v[114:115]
	v_fmac_f64_e32 v[80:81], v[10:11], v[92:93]
	v_fma_f64 v[86:87], v[8:9], v[92:93], -v[86:87]
	ds_load_b128 v[8:11], v2 offset:1040
	v_fmac_f64_e32 v[84:85], v[106:107], v[96:97]
	v_fma_f64 v[88:89], v[104:105], v[96:97], -v[88:89]
	s_wait_loadcnt_dscnt 0x0
	v_mul_f64_e32 v[90:91], v[10:11], v[102:103]
	v_add_f64_e32 v[4:5], v[4:5], v[82:83]
	v_add_f64_e32 v[12:13], v[12:13], v[108:109]
	v_mul_f64_e32 v[82:83], v[8:9], v[102:103]
	s_delay_alu instid0(VALU_DEP_4) | instskip(NEXT) | instid1(VALU_DEP_4)
	v_fma_f64 v[8:9], v[8:9], v[100:101], -v[90:91]
	v_add_f64_e32 v[4:5], v[4:5], v[86:87]
	s_delay_alu instid0(VALU_DEP_4) | instskip(NEXT) | instid1(VALU_DEP_4)
	v_add_f64_e32 v[12:13], v[12:13], v[80:81]
	v_fmac_f64_e32 v[82:83], v[10:11], v[100:101]
	s_delay_alu instid0(VALU_DEP_3) | instskip(NEXT) | instid1(VALU_DEP_3)
	v_add_f64_e32 v[4:5], v[4:5], v[88:89]
	v_add_f64_e32 v[10:11], v[12:13], v[84:85]
	s_delay_alu instid0(VALU_DEP_2) | instskip(NEXT) | instid1(VALU_DEP_2)
	v_add_f64_e32 v[4:5], v[4:5], v[8:9]
	v_add_f64_e32 v[10:11], v[10:11], v[82:83]
	s_delay_alu instid0(VALU_DEP_2) | instskip(NEXT) | instid1(VALU_DEP_2)
	v_add_f64_e64 v[8:9], v[124:125], -v[4:5]
	v_add_f64_e64 v[10:11], v[126:127], -v[10:11]
	scratch_store_b128 off, v[8:11], off offset:208
	s_wait_xcnt 0x0
	v_cmpx_lt_u32_e32 12, v1
	s_cbranch_execz .LBB32_187
; %bb.186:
	scratch_load_b128 v[8:11], off, s42
	v_dual_mov_b32 v3, v2 :: v_dual_mov_b32 v4, v2
	v_mov_b32_e32 v5, v2
	scratch_store_b128 off, v[2:5], off offset:192
	s_wait_loadcnt 0x0
	ds_store_b128 v6, v[8:11]
.LBB32_187:
	s_wait_xcnt 0x0
	s_or_b32 exec_lo, exec_lo, s2
	s_wait_storecnt_dscnt 0x0
	s_barrier_signal -1
	s_barrier_wait -1
	s_clause 0x9
	scratch_load_b128 v[8:11], off, off offset:208
	scratch_load_b128 v[80:83], off, off offset:224
	;; [unrolled: 1-line block ×10, first 2 shown]
	ds_load_b128 v[116:119], v2 offset:736
	ds_load_b128 v[124:127], v2 offset:752
	s_clause 0x1
	scratch_load_b128 v[120:123], off, off offset:368
	scratch_load_b128 v[128:131], off, off offset:192
	s_mov_b32 s2, exec_lo
	s_wait_loadcnt_dscnt 0xb01
	v_mul_f64_e32 v[4:5], v[118:119], v[10:11]
	v_mul_f64_e32 v[140:141], v[116:117], v[10:11]
	scratch_load_b128 v[10:13], off, off offset:384
	s_wait_loadcnt_dscnt 0xb00
	v_mul_f64_e32 v[142:143], v[124:125], v[82:83]
	v_mul_f64_e32 v[82:83], v[126:127], v[82:83]
	v_fma_f64 v[4:5], v[116:117], v[8:9], -v[4:5]
	v_fmac_f64_e32 v[140:141], v[118:119], v[8:9]
	ds_load_b128 v[116:119], v2 offset:768
	ds_load_b128 v[132:135], v2 offset:784
	scratch_load_b128 v[136:139], off, off offset:400
	v_fmac_f64_e32 v[142:143], v[126:127], v[80:81]
	v_fma_f64 v[124:125], v[124:125], v[80:81], -v[82:83]
	scratch_load_b128 v[80:83], off, off offset:416
	s_wait_loadcnt_dscnt 0xc01
	v_mul_f64_e32 v[8:9], v[116:117], v[86:87]
	v_mul_f64_e32 v[86:87], v[118:119], v[86:87]
	v_add_f64_e32 v[4:5], 0, v[4:5]
	v_add_f64_e32 v[126:127], 0, v[140:141]
	s_wait_loadcnt_dscnt 0xb00
	v_mul_f64_e32 v[140:141], v[132:133], v[90:91]
	v_mul_f64_e32 v[90:91], v[134:135], v[90:91]
	v_fmac_f64_e32 v[8:9], v[118:119], v[84:85]
	v_fma_f64 v[144:145], v[116:117], v[84:85], -v[86:87]
	ds_load_b128 v[84:87], v2 offset:800
	ds_load_b128 v[116:119], v2 offset:816
	v_add_f64_e32 v[4:5], v[4:5], v[124:125]
	v_add_f64_e32 v[142:143], v[126:127], v[142:143]
	scratch_load_b128 v[124:127], off, off offset:432
	v_fmac_f64_e32 v[140:141], v[134:135], v[88:89]
	v_fma_f64 v[132:133], v[132:133], v[88:89], -v[90:91]
	scratch_load_b128 v[88:91], off, off offset:448
	s_wait_loadcnt_dscnt 0xc01
	v_mul_f64_e32 v[146:147], v[84:85], v[94:95]
	v_mul_f64_e32 v[94:95], v[86:87], v[94:95]
	v_add_f64_e32 v[4:5], v[4:5], v[144:145]
	v_add_f64_e32 v[8:9], v[142:143], v[8:9]
	s_wait_loadcnt_dscnt 0xb00
	v_mul_f64_e32 v[142:143], v[116:117], v[98:99]
	v_mul_f64_e32 v[98:99], v[118:119], v[98:99]
	v_fmac_f64_e32 v[146:147], v[86:87], v[92:93]
	v_fma_f64 v[144:145], v[84:85], v[92:93], -v[94:95]
	ds_load_b128 v[84:87], v2 offset:832
	ds_load_b128 v[92:95], v2 offset:848
	v_add_f64_e32 v[4:5], v[4:5], v[132:133]
	v_add_f64_e32 v[8:9], v[8:9], v[140:141]
	scratch_load_b128 v[132:135], off, off offset:464
	s_wait_loadcnt_dscnt 0xb01
	v_mul_f64_e32 v[140:141], v[84:85], v[102:103]
	v_mul_f64_e32 v[102:103], v[86:87], v[102:103]
	v_fmac_f64_e32 v[142:143], v[118:119], v[96:97]
	v_fma_f64 v[116:117], v[116:117], v[96:97], -v[98:99]
	scratch_load_b128 v[96:99], off, off offset:480
	v_add_f64_e32 v[4:5], v[4:5], v[144:145]
	v_add_f64_e32 v[8:9], v[8:9], v[146:147]
	s_wait_loadcnt_dscnt 0xb00
	v_mul_f64_e32 v[144:145], v[92:93], v[106:107]
	v_mul_f64_e32 v[106:107], v[94:95], v[106:107]
	v_fmac_f64_e32 v[140:141], v[86:87], v[100:101]
	v_fma_f64 v[146:147], v[84:85], v[100:101], -v[102:103]
	ds_load_b128 v[84:87], v2 offset:864
	ds_load_b128 v[100:103], v2 offset:880
	v_add_f64_e32 v[4:5], v[4:5], v[116:117]
	v_add_f64_e32 v[8:9], v[8:9], v[142:143]
	scratch_load_b128 v[116:119], off, off offset:496
	s_wait_loadcnt_dscnt 0xb01
	v_mul_f64_e32 v[142:143], v[84:85], v[110:111]
	v_mul_f64_e32 v[110:111], v[86:87], v[110:111]
	v_fmac_f64_e32 v[144:145], v[94:95], v[104:105]
	v_fma_f64 v[104:105], v[92:93], v[104:105], -v[106:107]
	scratch_load_b128 v[92:95], off, off offset:512
	v_add_f64_e32 v[4:5], v[4:5], v[146:147]
	v_add_f64_e32 v[8:9], v[8:9], v[140:141]
	s_wait_loadcnt_dscnt 0xb00
	v_mul_f64_e32 v[140:141], v[100:101], v[114:115]
	v_mul_f64_e32 v[114:115], v[102:103], v[114:115]
	v_fmac_f64_e32 v[142:143], v[86:87], v[108:109]
	v_fma_f64 v[108:109], v[84:85], v[108:109], -v[110:111]
	v_add_f64_e32 v[4:5], v[4:5], v[104:105]
	v_add_f64_e32 v[8:9], v[8:9], v[144:145]
	ds_load_b128 v[84:87], v2 offset:896
	ds_load_b128 v[104:107], v2 offset:912
	v_fmac_f64_e32 v[140:141], v[102:103], v[112:113]
	v_fma_f64 v[100:101], v[100:101], v[112:113], -v[114:115]
	s_wait_loadcnt_dscnt 0xa01
	v_mul_f64_e32 v[110:111], v[84:85], v[122:123]
	v_mul_f64_e32 v[122:123], v[86:87], v[122:123]
	v_add_f64_e32 v[4:5], v[4:5], v[108:109]
	v_add_f64_e32 v[8:9], v[8:9], v[142:143]
	s_wait_loadcnt_dscnt 0x800
	v_mul_f64_e32 v[108:109], v[104:105], v[12:13]
	v_mul_f64_e32 v[12:13], v[106:107], v[12:13]
	v_fmac_f64_e32 v[110:111], v[86:87], v[120:121]
	v_fma_f64 v[112:113], v[84:85], v[120:121], -v[122:123]
	v_add_f64_e32 v[4:5], v[4:5], v[100:101]
	v_add_f64_e32 v[8:9], v[8:9], v[140:141]
	ds_load_b128 v[84:87], v2 offset:928
	ds_load_b128 v[100:103], v2 offset:944
	v_fmac_f64_e32 v[108:109], v[106:107], v[10:11]
	v_fma_f64 v[10:11], v[104:105], v[10:11], -v[12:13]
	s_wait_loadcnt_dscnt 0x701
	v_mul_f64_e32 v[114:115], v[84:85], v[138:139]
	v_mul_f64_e32 v[120:121], v[86:87], v[138:139]
	s_wait_loadcnt_dscnt 0x600
	v_mul_f64_e32 v[12:13], v[100:101], v[82:83]
	v_mul_f64_e32 v[104:105], v[102:103], v[82:83]
	v_add_f64_e32 v[4:5], v[4:5], v[112:113]
	v_add_f64_e32 v[8:9], v[8:9], v[110:111]
	v_fmac_f64_e32 v[114:115], v[86:87], v[136:137]
	v_fma_f64 v[86:87], v[84:85], v[136:137], -v[120:121]
	v_fmac_f64_e32 v[12:13], v[102:103], v[80:81]
	v_fma_f64 v[80:81], v[100:101], v[80:81], -v[104:105]
	v_add_f64_e32 v[4:5], v[4:5], v[10:11]
	v_add_f64_e32 v[106:107], v[8:9], v[108:109]
	ds_load_b128 v[8:11], v2 offset:960
	ds_load_b128 v[82:85], v2 offset:976
	s_wait_loadcnt_dscnt 0x501
	v_mul_f64_e32 v[108:109], v[8:9], v[126:127]
	v_mul_f64_e32 v[110:111], v[10:11], v[126:127]
	s_wait_loadcnt_dscnt 0x400
	v_mul_f64_e32 v[104:105], v[82:83], v[90:91]
	v_mul_f64_e32 v[90:91], v[84:85], v[90:91]
	v_add_f64_e32 v[4:5], v[4:5], v[86:87]
	v_add_f64_e32 v[86:87], v[106:107], v[114:115]
	v_fmac_f64_e32 v[108:109], v[10:11], v[124:125]
	v_fma_f64 v[106:107], v[8:9], v[124:125], -v[110:111]
	ds_load_b128 v[8:11], v2 offset:992
	ds_load_b128 v[100:103], v2 offset:1008
	v_fmac_f64_e32 v[104:105], v[84:85], v[88:89]
	v_fma_f64 v[82:83], v[82:83], v[88:89], -v[90:91]
	v_add_f64_e32 v[4:5], v[4:5], v[80:81]
	v_add_f64_e32 v[12:13], v[86:87], v[12:13]
	s_wait_loadcnt_dscnt 0x301
	v_mul_f64_e32 v[80:81], v[8:9], v[134:135]
	v_mul_f64_e32 v[86:87], v[10:11], v[134:135]
	s_wait_loadcnt_dscnt 0x200
	v_mul_f64_e32 v[84:85], v[100:101], v[98:99]
	v_mul_f64_e32 v[88:89], v[102:103], v[98:99]
	v_add_f64_e32 v[4:5], v[4:5], v[106:107]
	v_add_f64_e32 v[12:13], v[12:13], v[108:109]
	v_fmac_f64_e32 v[80:81], v[10:11], v[132:133]
	v_fma_f64 v[86:87], v[8:9], v[132:133], -v[86:87]
	v_fmac_f64_e32 v[84:85], v[102:103], v[96:97]
	v_fma_f64 v[88:89], v[100:101], v[96:97], -v[88:89]
	v_add_f64_e32 v[82:83], v[4:5], v[82:83]
	v_add_f64_e32 v[12:13], v[12:13], v[104:105]
	ds_load_b128 v[8:11], v2 offset:1024
	ds_load_b128 v[2:5], v2 offset:1040
	s_wait_loadcnt_dscnt 0x101
	v_mul_f64_e32 v[90:91], v[8:9], v[118:119]
	v_mul_f64_e32 v[98:99], v[10:11], v[118:119]
	v_add_f64_e32 v[82:83], v[82:83], v[86:87]
	v_add_f64_e32 v[12:13], v[12:13], v[80:81]
	s_wait_loadcnt_dscnt 0x0
	v_mul_f64_e32 v[80:81], v[2:3], v[94:95]
	v_mul_f64_e32 v[86:87], v[4:5], v[94:95]
	v_fmac_f64_e32 v[90:91], v[10:11], v[116:117]
	v_fma_f64 v[8:9], v[8:9], v[116:117], -v[98:99]
	v_add_f64_e32 v[10:11], v[82:83], v[88:89]
	v_add_f64_e32 v[12:13], v[12:13], v[84:85]
	v_fmac_f64_e32 v[80:81], v[4:5], v[92:93]
	v_fma_f64 v[2:3], v[2:3], v[92:93], -v[86:87]
	s_delay_alu instid0(VALU_DEP_4) | instskip(NEXT) | instid1(VALU_DEP_4)
	v_add_f64_e32 v[4:5], v[10:11], v[8:9]
	v_add_f64_e32 v[8:9], v[12:13], v[90:91]
	s_delay_alu instid0(VALU_DEP_2) | instskip(NEXT) | instid1(VALU_DEP_2)
	v_add_f64_e32 v[2:3], v[4:5], v[2:3]
	v_add_f64_e32 v[4:5], v[8:9], v[80:81]
	s_delay_alu instid0(VALU_DEP_2) | instskip(NEXT) | instid1(VALU_DEP_2)
	v_add_f64_e64 v[2:3], v[128:129], -v[2:3]
	v_add_f64_e64 v[4:5], v[130:131], -v[4:5]
	scratch_store_b128 off, v[2:5], off offset:192
	s_wait_xcnt 0x0
	v_cmpx_lt_u32_e32 11, v1
	s_cbranch_execz .LBB32_189
; %bb.188:
	scratch_load_b128 v[2:5], off, s40
	v_mov_b32_e32 v8, 0
	s_delay_alu instid0(VALU_DEP_1)
	v_dual_mov_b32 v9, v8 :: v_dual_mov_b32 v10, v8
	v_mov_b32_e32 v11, v8
	scratch_store_b128 off, v[8:11], off offset:176
	s_wait_loadcnt 0x0
	ds_store_b128 v6, v[2:5]
.LBB32_189:
	s_wait_xcnt 0x0
	s_or_b32 exec_lo, exec_lo, s2
	s_wait_storecnt_dscnt 0x0
	s_barrier_signal -1
	s_barrier_wait -1
	s_clause 0x9
	scratch_load_b128 v[8:11], off, off offset:192
	scratch_load_b128 v[80:83], off, off offset:208
	;; [unrolled: 1-line block ×10, first 2 shown]
	v_mov_b32_e32 v2, 0
	s_mov_b32 s2, exec_lo
	ds_load_b128 v[116:119], v2 offset:720
	s_clause 0x2
	scratch_load_b128 v[120:123], off, off offset:352
	scratch_load_b128 v[124:127], off, off offset:176
	;; [unrolled: 1-line block ×3, first 2 shown]
	s_wait_loadcnt_dscnt 0xc00
	v_mul_f64_e32 v[4:5], v[118:119], v[10:11]
	v_mul_f64_e32 v[140:141], v[116:117], v[10:11]
	ds_load_b128 v[128:131], v2 offset:736
	scratch_load_b128 v[10:13], off, off offset:368
	ds_load_b128 v[136:139], v2 offset:768
	v_fma_f64 v[4:5], v[116:117], v[8:9], -v[4:5]
	v_fmac_f64_e32 v[140:141], v[118:119], v[8:9]
	ds_load_b128 v[116:119], v2 offset:752
	s_wait_loadcnt_dscnt 0xc02
	v_mul_f64_e32 v[142:143], v[128:129], v[82:83]
	v_mul_f64_e32 v[82:83], v[130:131], v[82:83]
	s_wait_loadcnt_dscnt 0xb00
	v_mul_f64_e32 v[8:9], v[116:117], v[86:87]
	v_mul_f64_e32 v[86:87], v[118:119], v[86:87]
	v_add_f64_e32 v[4:5], 0, v[4:5]
	v_fmac_f64_e32 v[142:143], v[130:131], v[80:81]
	v_fma_f64 v[128:129], v[128:129], v[80:81], -v[82:83]
	v_add_f64_e32 v[130:131], 0, v[140:141]
	scratch_load_b128 v[80:83], off, off offset:400
	v_fmac_f64_e32 v[8:9], v[118:119], v[84:85]
	v_fma_f64 v[144:145], v[116:117], v[84:85], -v[86:87]
	ds_load_b128 v[84:87], v2 offset:784
	s_wait_loadcnt 0xb
	v_mul_f64_e32 v[140:141], v[136:137], v[90:91]
	v_mul_f64_e32 v[90:91], v[138:139], v[90:91]
	scratch_load_b128 v[116:119], off, off offset:416
	v_add_f64_e32 v[4:5], v[4:5], v[128:129]
	v_add_f64_e32 v[142:143], v[130:131], v[142:143]
	ds_load_b128 v[128:131], v2 offset:800
	s_wait_loadcnt_dscnt 0xb01
	v_mul_f64_e32 v[146:147], v[84:85], v[94:95]
	v_mul_f64_e32 v[94:95], v[86:87], v[94:95]
	v_fmac_f64_e32 v[140:141], v[138:139], v[88:89]
	v_fma_f64 v[136:137], v[136:137], v[88:89], -v[90:91]
	scratch_load_b128 v[88:91], off, off offset:432
	v_add_f64_e32 v[4:5], v[4:5], v[144:145]
	v_add_f64_e32 v[8:9], v[142:143], v[8:9]
	v_fmac_f64_e32 v[146:147], v[86:87], v[92:93]
	v_fma_f64 v[144:145], v[84:85], v[92:93], -v[94:95]
	ds_load_b128 v[84:87], v2 offset:816
	s_wait_loadcnt_dscnt 0xb01
	v_mul_f64_e32 v[142:143], v[128:129], v[98:99]
	v_mul_f64_e32 v[98:99], v[130:131], v[98:99]
	scratch_load_b128 v[92:95], off, off offset:448
	v_add_f64_e32 v[4:5], v[4:5], v[136:137]
	v_add_f64_e32 v[8:9], v[8:9], v[140:141]
	s_wait_loadcnt_dscnt 0xb00
	v_mul_f64_e32 v[140:141], v[84:85], v[102:103]
	v_mul_f64_e32 v[102:103], v[86:87], v[102:103]
	ds_load_b128 v[136:139], v2 offset:832
	v_fmac_f64_e32 v[142:143], v[130:131], v[96:97]
	v_fma_f64 v[128:129], v[128:129], v[96:97], -v[98:99]
	scratch_load_b128 v[96:99], off, off offset:464
	v_add_f64_e32 v[4:5], v[4:5], v[144:145]
	v_add_f64_e32 v[8:9], v[8:9], v[146:147]
	v_fmac_f64_e32 v[140:141], v[86:87], v[100:101]
	v_fma_f64 v[146:147], v[84:85], v[100:101], -v[102:103]
	ds_load_b128 v[84:87], v2 offset:848
	s_wait_loadcnt_dscnt 0xb01
	v_mul_f64_e32 v[144:145], v[136:137], v[106:107]
	v_mul_f64_e32 v[106:107], v[138:139], v[106:107]
	scratch_load_b128 v[100:103], off, off offset:480
	v_add_f64_e32 v[4:5], v[4:5], v[128:129]
	v_add_f64_e32 v[8:9], v[8:9], v[142:143]
	s_wait_loadcnt_dscnt 0xb00
	v_mul_f64_e32 v[142:143], v[84:85], v[110:111]
	v_mul_f64_e32 v[110:111], v[86:87], v[110:111]
	ds_load_b128 v[128:131], v2 offset:864
	;; [unrolled: 18-line block ×3, first 2 shown]
	v_fmac_f64_e32 v[140:141], v[130:131], v[112:113]
	v_fma_f64 v[112:113], v[128:129], v[112:113], -v[114:115]
	s_wait_loadcnt_dscnt 0x800
	v_mul_f64_e32 v[128:129], v[136:137], v[12:13]
	v_add_f64_e32 v[4:5], v[4:5], v[146:147]
	v_add_f64_e32 v[8:9], v[8:9], v[142:143]
	v_mul_f64_e32 v[12:13], v[138:139], v[12:13]
	v_fmac_f64_e32 v[144:145], v[86:87], v[120:121]
	v_fma_f64 v[120:121], v[84:85], v[120:121], -v[122:123]
	v_fmac_f64_e32 v[128:129], v[138:139], v[10:11]
	v_add_f64_e32 v[4:5], v[4:5], v[112:113]
	v_add_f64_e32 v[8:9], v[8:9], v[140:141]
	ds_load_b128 v[84:87], v2 offset:912
	ds_load_b128 v[112:115], v2 offset:928
	v_fma_f64 v[10:11], v[136:137], v[10:11], -v[12:13]
	s_wait_dscnt 0x1
	v_mul_f64_e32 v[122:123], v[84:85], v[134:135]
	v_mul_f64_e32 v[130:131], v[86:87], v[134:135]
	v_add_f64_e32 v[4:5], v[4:5], v[120:121]
	v_add_f64_e32 v[8:9], v[8:9], v[144:145]
	s_wait_loadcnt_dscnt 0x700
	v_mul_f64_e32 v[12:13], v[112:113], v[82:83]
	v_mul_f64_e32 v[120:121], v[114:115], v[82:83]
	v_fmac_f64_e32 v[122:123], v[86:87], v[132:133]
	v_fma_f64 v[86:87], v[84:85], v[132:133], -v[130:131]
	v_add_f64_e32 v[4:5], v[4:5], v[10:11]
	v_add_f64_e32 v[128:129], v[8:9], v[128:129]
	ds_load_b128 v[8:11], v2 offset:944
	ds_load_b128 v[82:85], v2 offset:960
	v_fmac_f64_e32 v[12:13], v[114:115], v[80:81]
	v_fma_f64 v[80:81], v[112:113], v[80:81], -v[120:121]
	s_wait_loadcnt_dscnt 0x601
	v_mul_f64_e32 v[130:131], v[8:9], v[118:119]
	v_mul_f64_e32 v[118:119], v[10:11], v[118:119]
	s_wait_loadcnt_dscnt 0x500
	v_mul_f64_e32 v[120:121], v[82:83], v[90:91]
	v_mul_f64_e32 v[90:91], v[84:85], v[90:91]
	v_add_f64_e32 v[4:5], v[4:5], v[86:87]
	v_add_f64_e32 v[86:87], v[128:129], v[122:123]
	v_fmac_f64_e32 v[130:131], v[10:11], v[116:117]
	v_fma_f64 v[116:117], v[8:9], v[116:117], -v[118:119]
	ds_load_b128 v[8:11], v2 offset:976
	ds_load_b128 v[112:115], v2 offset:992
	v_fmac_f64_e32 v[120:121], v[84:85], v[88:89]
	v_fma_f64 v[82:83], v[82:83], v[88:89], -v[90:91]
	v_add_f64_e32 v[4:5], v[4:5], v[80:81]
	v_add_f64_e32 v[12:13], v[86:87], v[12:13]
	s_wait_loadcnt_dscnt 0x401
	v_mul_f64_e32 v[86:87], v[8:9], v[94:95]
	v_mul_f64_e32 v[80:81], v[10:11], v[94:95]
	s_wait_loadcnt_dscnt 0x300
	v_mul_f64_e32 v[84:85], v[112:113], v[98:99]
	v_mul_f64_e32 v[88:89], v[114:115], v[98:99]
	v_add_f64_e32 v[4:5], v[4:5], v[116:117]
	v_add_f64_e32 v[12:13], v[12:13], v[130:131]
	v_fmac_f64_e32 v[86:87], v[10:11], v[92:93]
	v_fma_f64 v[90:91], v[8:9], v[92:93], -v[80:81]
	v_fmac_f64_e32 v[84:85], v[114:115], v[96:97]
	v_fma_f64 v[88:89], v[112:113], v[96:97], -v[88:89]
	v_add_f64_e32 v[4:5], v[4:5], v[82:83]
	v_add_f64_e32 v[12:13], v[12:13], v[120:121]
	ds_load_b128 v[8:11], v2 offset:1008
	ds_load_b128 v[80:83], v2 offset:1024
	s_wait_loadcnt_dscnt 0x201
	v_mul_f64_e32 v[92:93], v[8:9], v[102:103]
	v_mul_f64_e32 v[94:95], v[10:11], v[102:103]
	v_add_f64_e32 v[4:5], v[4:5], v[90:91]
	v_add_f64_e32 v[12:13], v[12:13], v[86:87]
	s_wait_loadcnt_dscnt 0x100
	v_mul_f64_e32 v[86:87], v[80:81], v[106:107]
	v_mul_f64_e32 v[90:91], v[82:83], v[106:107]
	v_fmac_f64_e32 v[92:93], v[10:11], v[100:101]
	v_fma_f64 v[94:95], v[8:9], v[100:101], -v[94:95]
	ds_load_b128 v[8:11], v2 offset:1040
	v_add_f64_e32 v[4:5], v[4:5], v[88:89]
	v_add_f64_e32 v[12:13], v[12:13], v[84:85]
	v_fmac_f64_e32 v[86:87], v[82:83], v[104:105]
	v_fma_f64 v[80:81], v[80:81], v[104:105], -v[90:91]
	s_wait_loadcnt_dscnt 0x0
	v_mul_f64_e32 v[84:85], v[8:9], v[110:111]
	v_mul_f64_e32 v[88:89], v[10:11], v[110:111]
	v_add_f64_e32 v[4:5], v[4:5], v[94:95]
	v_add_f64_e32 v[12:13], v[12:13], v[92:93]
	s_delay_alu instid0(VALU_DEP_4) | instskip(NEXT) | instid1(VALU_DEP_4)
	v_fmac_f64_e32 v[84:85], v[10:11], v[108:109]
	v_fma_f64 v[8:9], v[8:9], v[108:109], -v[88:89]
	s_delay_alu instid0(VALU_DEP_4) | instskip(NEXT) | instid1(VALU_DEP_4)
	v_add_f64_e32 v[4:5], v[4:5], v[80:81]
	v_add_f64_e32 v[10:11], v[12:13], v[86:87]
	s_delay_alu instid0(VALU_DEP_2) | instskip(NEXT) | instid1(VALU_DEP_2)
	v_add_f64_e32 v[4:5], v[4:5], v[8:9]
	v_add_f64_e32 v[10:11], v[10:11], v[84:85]
	s_delay_alu instid0(VALU_DEP_2) | instskip(NEXT) | instid1(VALU_DEP_2)
	v_add_f64_e64 v[8:9], v[124:125], -v[4:5]
	v_add_f64_e64 v[10:11], v[126:127], -v[10:11]
	scratch_store_b128 off, v[8:11], off offset:176
	s_wait_xcnt 0x0
	v_cmpx_lt_u32_e32 10, v1
	s_cbranch_execz .LBB32_191
; %bb.190:
	scratch_load_b128 v[8:11], off, s37
	v_dual_mov_b32 v3, v2 :: v_dual_mov_b32 v4, v2
	v_mov_b32_e32 v5, v2
	scratch_store_b128 off, v[2:5], off offset:160
	s_wait_loadcnt 0x0
	ds_store_b128 v6, v[8:11]
.LBB32_191:
	s_wait_xcnt 0x0
	s_or_b32 exec_lo, exec_lo, s2
	s_wait_storecnt_dscnt 0x0
	s_barrier_signal -1
	s_barrier_wait -1
	s_clause 0x9
	scratch_load_b128 v[8:11], off, off offset:176
	scratch_load_b128 v[80:83], off, off offset:192
	;; [unrolled: 1-line block ×10, first 2 shown]
	ds_load_b128 v[116:119], v2 offset:704
	ds_load_b128 v[124:127], v2 offset:720
	s_clause 0x1
	scratch_load_b128 v[120:123], off, off offset:336
	scratch_load_b128 v[128:131], off, off offset:160
	s_mov_b32 s2, exec_lo
	s_wait_loadcnt_dscnt 0xb01
	v_mul_f64_e32 v[4:5], v[118:119], v[10:11]
	v_mul_f64_e32 v[140:141], v[116:117], v[10:11]
	scratch_load_b128 v[10:13], off, off offset:352
	s_wait_loadcnt_dscnt 0xb00
	v_mul_f64_e32 v[142:143], v[124:125], v[82:83]
	v_mul_f64_e32 v[82:83], v[126:127], v[82:83]
	v_fma_f64 v[4:5], v[116:117], v[8:9], -v[4:5]
	v_fmac_f64_e32 v[140:141], v[118:119], v[8:9]
	ds_load_b128 v[116:119], v2 offset:736
	ds_load_b128 v[132:135], v2 offset:752
	scratch_load_b128 v[136:139], off, off offset:368
	v_fmac_f64_e32 v[142:143], v[126:127], v[80:81]
	v_fma_f64 v[124:125], v[124:125], v[80:81], -v[82:83]
	scratch_load_b128 v[80:83], off, off offset:384
	s_wait_loadcnt_dscnt 0xc01
	v_mul_f64_e32 v[8:9], v[116:117], v[86:87]
	v_mul_f64_e32 v[86:87], v[118:119], v[86:87]
	v_add_f64_e32 v[4:5], 0, v[4:5]
	v_add_f64_e32 v[126:127], 0, v[140:141]
	s_wait_loadcnt_dscnt 0xb00
	v_mul_f64_e32 v[140:141], v[132:133], v[90:91]
	v_mul_f64_e32 v[90:91], v[134:135], v[90:91]
	v_fmac_f64_e32 v[8:9], v[118:119], v[84:85]
	v_fma_f64 v[144:145], v[116:117], v[84:85], -v[86:87]
	ds_load_b128 v[84:87], v2 offset:768
	ds_load_b128 v[116:119], v2 offset:784
	v_add_f64_e32 v[4:5], v[4:5], v[124:125]
	v_add_f64_e32 v[142:143], v[126:127], v[142:143]
	scratch_load_b128 v[124:127], off, off offset:400
	v_fmac_f64_e32 v[140:141], v[134:135], v[88:89]
	v_fma_f64 v[132:133], v[132:133], v[88:89], -v[90:91]
	scratch_load_b128 v[88:91], off, off offset:416
	s_wait_loadcnt_dscnt 0xc01
	v_mul_f64_e32 v[146:147], v[84:85], v[94:95]
	v_mul_f64_e32 v[94:95], v[86:87], v[94:95]
	v_add_f64_e32 v[4:5], v[4:5], v[144:145]
	v_add_f64_e32 v[8:9], v[142:143], v[8:9]
	s_wait_loadcnt_dscnt 0xb00
	v_mul_f64_e32 v[142:143], v[116:117], v[98:99]
	v_mul_f64_e32 v[98:99], v[118:119], v[98:99]
	v_fmac_f64_e32 v[146:147], v[86:87], v[92:93]
	v_fma_f64 v[144:145], v[84:85], v[92:93], -v[94:95]
	ds_load_b128 v[84:87], v2 offset:800
	ds_load_b128 v[92:95], v2 offset:816
	v_add_f64_e32 v[4:5], v[4:5], v[132:133]
	v_add_f64_e32 v[8:9], v[8:9], v[140:141]
	scratch_load_b128 v[132:135], off, off offset:432
	s_wait_loadcnt_dscnt 0xb01
	v_mul_f64_e32 v[140:141], v[84:85], v[102:103]
	v_mul_f64_e32 v[102:103], v[86:87], v[102:103]
	v_fmac_f64_e32 v[142:143], v[118:119], v[96:97]
	v_fma_f64 v[116:117], v[116:117], v[96:97], -v[98:99]
	scratch_load_b128 v[96:99], off, off offset:448
	v_add_f64_e32 v[4:5], v[4:5], v[144:145]
	v_add_f64_e32 v[8:9], v[8:9], v[146:147]
	s_wait_loadcnt_dscnt 0xb00
	v_mul_f64_e32 v[144:145], v[92:93], v[106:107]
	v_mul_f64_e32 v[106:107], v[94:95], v[106:107]
	v_fmac_f64_e32 v[140:141], v[86:87], v[100:101]
	v_fma_f64 v[146:147], v[84:85], v[100:101], -v[102:103]
	ds_load_b128 v[84:87], v2 offset:832
	ds_load_b128 v[100:103], v2 offset:848
	v_add_f64_e32 v[4:5], v[4:5], v[116:117]
	v_add_f64_e32 v[8:9], v[8:9], v[142:143]
	scratch_load_b128 v[116:119], off, off offset:464
	s_wait_loadcnt_dscnt 0xb01
	v_mul_f64_e32 v[142:143], v[84:85], v[110:111]
	v_mul_f64_e32 v[110:111], v[86:87], v[110:111]
	v_fmac_f64_e32 v[144:145], v[94:95], v[104:105]
	v_fma_f64 v[104:105], v[92:93], v[104:105], -v[106:107]
	scratch_load_b128 v[92:95], off, off offset:480
	v_add_f64_e32 v[4:5], v[4:5], v[146:147]
	v_add_f64_e32 v[8:9], v[8:9], v[140:141]
	s_wait_loadcnt_dscnt 0xb00
	v_mul_f64_e32 v[140:141], v[100:101], v[114:115]
	v_mul_f64_e32 v[114:115], v[102:103], v[114:115]
	v_fmac_f64_e32 v[142:143], v[86:87], v[108:109]
	v_fma_f64 v[146:147], v[84:85], v[108:109], -v[110:111]
	v_add_f64_e32 v[4:5], v[4:5], v[104:105]
	v_add_f64_e32 v[8:9], v[8:9], v[144:145]
	ds_load_b128 v[84:87], v2 offset:864
	ds_load_b128 v[104:107], v2 offset:880
	scratch_load_b128 v[108:111], off, off offset:496
	v_fmac_f64_e32 v[140:141], v[102:103], v[112:113]
	v_fma_f64 v[112:113], v[100:101], v[112:113], -v[114:115]
	scratch_load_b128 v[100:103], off, off offset:512
	s_wait_loadcnt_dscnt 0xc01
	v_mul_f64_e32 v[144:145], v[84:85], v[122:123]
	v_mul_f64_e32 v[122:123], v[86:87], v[122:123]
	v_add_f64_e32 v[4:5], v[4:5], v[146:147]
	v_add_f64_e32 v[8:9], v[8:9], v[142:143]
	s_wait_loadcnt_dscnt 0xa00
	v_mul_f64_e32 v[142:143], v[104:105], v[12:13]
	v_mul_f64_e32 v[12:13], v[106:107], v[12:13]
	v_fmac_f64_e32 v[144:145], v[86:87], v[120:121]
	v_fma_f64 v[120:121], v[84:85], v[120:121], -v[122:123]
	v_add_f64_e32 v[4:5], v[4:5], v[112:113]
	v_add_f64_e32 v[8:9], v[8:9], v[140:141]
	ds_load_b128 v[84:87], v2 offset:896
	ds_load_b128 v[112:115], v2 offset:912
	v_fmac_f64_e32 v[142:143], v[106:107], v[10:11]
	v_fma_f64 v[10:11], v[104:105], v[10:11], -v[12:13]
	s_wait_loadcnt_dscnt 0x901
	v_mul_f64_e32 v[122:123], v[84:85], v[138:139]
	v_mul_f64_e32 v[138:139], v[86:87], v[138:139]
	s_wait_loadcnt_dscnt 0x800
	v_mul_f64_e32 v[12:13], v[112:113], v[82:83]
	v_mul_f64_e32 v[104:105], v[114:115], v[82:83]
	v_add_f64_e32 v[4:5], v[4:5], v[120:121]
	v_add_f64_e32 v[8:9], v[8:9], v[144:145]
	v_fmac_f64_e32 v[122:123], v[86:87], v[136:137]
	v_fma_f64 v[86:87], v[84:85], v[136:137], -v[138:139]
	v_fmac_f64_e32 v[12:13], v[114:115], v[80:81]
	v_fma_f64 v[80:81], v[112:113], v[80:81], -v[104:105]
	v_add_f64_e32 v[4:5], v[4:5], v[10:11]
	v_add_f64_e32 v[106:107], v[8:9], v[142:143]
	ds_load_b128 v[8:11], v2 offset:928
	ds_load_b128 v[82:85], v2 offset:944
	s_wait_loadcnt_dscnt 0x701
	v_mul_f64_e32 v[120:121], v[8:9], v[126:127]
	v_mul_f64_e32 v[126:127], v[10:11], v[126:127]
	s_wait_loadcnt_dscnt 0x600
	v_mul_f64_e32 v[112:113], v[82:83], v[90:91]
	v_mul_f64_e32 v[90:91], v[84:85], v[90:91]
	v_add_f64_e32 v[4:5], v[4:5], v[86:87]
	v_add_f64_e32 v[86:87], v[106:107], v[122:123]
	v_fmac_f64_e32 v[120:121], v[10:11], v[124:125]
	v_fma_f64 v[114:115], v[8:9], v[124:125], -v[126:127]
	ds_load_b128 v[8:11], v2 offset:960
	ds_load_b128 v[104:107], v2 offset:976
	v_fmac_f64_e32 v[112:113], v[84:85], v[88:89]
	v_fma_f64 v[82:83], v[82:83], v[88:89], -v[90:91]
	v_add_f64_e32 v[4:5], v[4:5], v[80:81]
	v_add_f64_e32 v[12:13], v[86:87], v[12:13]
	s_wait_loadcnt_dscnt 0x501
	v_mul_f64_e32 v[86:87], v[8:9], v[134:135]
	v_mul_f64_e32 v[80:81], v[10:11], v[134:135]
	s_wait_loadcnt_dscnt 0x400
	v_mul_f64_e32 v[84:85], v[104:105], v[98:99]
	v_mul_f64_e32 v[88:89], v[106:107], v[98:99]
	v_add_f64_e32 v[4:5], v[4:5], v[114:115]
	v_add_f64_e32 v[12:13], v[12:13], v[120:121]
	v_fmac_f64_e32 v[86:87], v[10:11], v[132:133]
	v_fma_f64 v[90:91], v[8:9], v[132:133], -v[80:81]
	v_fmac_f64_e32 v[84:85], v[106:107], v[96:97]
	v_fma_f64 v[88:89], v[104:105], v[96:97], -v[88:89]
	v_add_f64_e32 v[4:5], v[4:5], v[82:83]
	v_add_f64_e32 v[12:13], v[12:13], v[112:113]
	ds_load_b128 v[8:11], v2 offset:992
	ds_load_b128 v[80:83], v2 offset:1008
	s_wait_loadcnt_dscnt 0x301
	v_mul_f64_e32 v[98:99], v[8:9], v[118:119]
	v_mul_f64_e32 v[112:113], v[10:11], v[118:119]
	v_add_f64_e32 v[4:5], v[4:5], v[90:91]
	v_add_f64_e32 v[12:13], v[12:13], v[86:87]
	s_wait_loadcnt_dscnt 0x200
	v_mul_f64_e32 v[86:87], v[80:81], v[94:95]
	v_mul_f64_e32 v[90:91], v[82:83], v[94:95]
	v_fmac_f64_e32 v[98:99], v[10:11], v[116:117]
	v_fma_f64 v[94:95], v[8:9], v[116:117], -v[112:113]
	v_add_f64_e32 v[88:89], v[4:5], v[88:89]
	v_add_f64_e32 v[12:13], v[12:13], v[84:85]
	ds_load_b128 v[8:11], v2 offset:1024
	ds_load_b128 v[2:5], v2 offset:1040
	v_fmac_f64_e32 v[86:87], v[82:83], v[92:93]
	v_fma_f64 v[80:81], v[80:81], v[92:93], -v[90:91]
	s_wait_loadcnt_dscnt 0x101
	v_mul_f64_e32 v[84:85], v[8:9], v[110:111]
	v_mul_f64_e32 v[96:97], v[10:11], v[110:111]
	s_wait_loadcnt_dscnt 0x0
	v_mul_f64_e32 v[90:91], v[4:5], v[102:103]
	v_add_f64_e32 v[82:83], v[88:89], v[94:95]
	v_add_f64_e32 v[12:13], v[12:13], v[98:99]
	v_mul_f64_e32 v[88:89], v[2:3], v[102:103]
	v_fmac_f64_e32 v[84:85], v[10:11], v[108:109]
	v_fma_f64 v[8:9], v[8:9], v[108:109], -v[96:97]
	v_fma_f64 v[2:3], v[2:3], v[100:101], -v[90:91]
	v_add_f64_e32 v[10:11], v[82:83], v[80:81]
	v_add_f64_e32 v[12:13], v[12:13], v[86:87]
	v_fmac_f64_e32 v[88:89], v[4:5], v[100:101]
	s_delay_alu instid0(VALU_DEP_3) | instskip(NEXT) | instid1(VALU_DEP_3)
	v_add_f64_e32 v[4:5], v[10:11], v[8:9]
	v_add_f64_e32 v[8:9], v[12:13], v[84:85]
	s_delay_alu instid0(VALU_DEP_2) | instskip(NEXT) | instid1(VALU_DEP_2)
	v_add_f64_e32 v[2:3], v[4:5], v[2:3]
	v_add_f64_e32 v[4:5], v[8:9], v[88:89]
	s_delay_alu instid0(VALU_DEP_2) | instskip(NEXT) | instid1(VALU_DEP_2)
	v_add_f64_e64 v[2:3], v[128:129], -v[2:3]
	v_add_f64_e64 v[4:5], v[130:131], -v[4:5]
	scratch_store_b128 off, v[2:5], off offset:160
	s_wait_xcnt 0x0
	v_cmpx_lt_u32_e32 9, v1
	s_cbranch_execz .LBB32_193
; %bb.192:
	scratch_load_b128 v[2:5], off, s35
	v_mov_b32_e32 v8, 0
	s_delay_alu instid0(VALU_DEP_1)
	v_dual_mov_b32 v9, v8 :: v_dual_mov_b32 v10, v8
	v_mov_b32_e32 v11, v8
	scratch_store_b128 off, v[8:11], off offset:144
	s_wait_loadcnt 0x0
	ds_store_b128 v6, v[2:5]
.LBB32_193:
	s_wait_xcnt 0x0
	s_or_b32 exec_lo, exec_lo, s2
	s_wait_storecnt_dscnt 0x0
	s_barrier_signal -1
	s_barrier_wait -1
	s_clause 0x9
	scratch_load_b128 v[8:11], off, off offset:160
	scratch_load_b128 v[80:83], off, off offset:176
	;; [unrolled: 1-line block ×10, first 2 shown]
	v_mov_b32_e32 v2, 0
	s_mov_b32 s2, exec_lo
	ds_load_b128 v[116:119], v2 offset:688
	s_clause 0x2
	scratch_load_b128 v[120:123], off, off offset:320
	scratch_load_b128 v[124:127], off, off offset:144
	;; [unrolled: 1-line block ×3, first 2 shown]
	s_wait_loadcnt_dscnt 0xc00
	v_mul_f64_e32 v[4:5], v[118:119], v[10:11]
	v_mul_f64_e32 v[140:141], v[116:117], v[10:11]
	ds_load_b128 v[128:131], v2 offset:704
	scratch_load_b128 v[10:13], off, off offset:336
	ds_load_b128 v[136:139], v2 offset:736
	v_fma_f64 v[4:5], v[116:117], v[8:9], -v[4:5]
	v_fmac_f64_e32 v[140:141], v[118:119], v[8:9]
	ds_load_b128 v[116:119], v2 offset:720
	s_wait_loadcnt_dscnt 0xc02
	v_mul_f64_e32 v[142:143], v[128:129], v[82:83]
	v_mul_f64_e32 v[82:83], v[130:131], v[82:83]
	s_wait_loadcnt_dscnt 0xb00
	v_mul_f64_e32 v[8:9], v[116:117], v[86:87]
	v_mul_f64_e32 v[86:87], v[118:119], v[86:87]
	v_add_f64_e32 v[4:5], 0, v[4:5]
	v_fmac_f64_e32 v[142:143], v[130:131], v[80:81]
	v_fma_f64 v[128:129], v[128:129], v[80:81], -v[82:83]
	v_add_f64_e32 v[130:131], 0, v[140:141]
	scratch_load_b128 v[80:83], off, off offset:368
	v_fmac_f64_e32 v[8:9], v[118:119], v[84:85]
	v_fma_f64 v[144:145], v[116:117], v[84:85], -v[86:87]
	ds_load_b128 v[84:87], v2 offset:752
	s_wait_loadcnt 0xb
	v_mul_f64_e32 v[140:141], v[136:137], v[90:91]
	v_mul_f64_e32 v[90:91], v[138:139], v[90:91]
	scratch_load_b128 v[116:119], off, off offset:384
	v_add_f64_e32 v[4:5], v[4:5], v[128:129]
	v_add_f64_e32 v[142:143], v[130:131], v[142:143]
	ds_load_b128 v[128:131], v2 offset:768
	s_wait_loadcnt_dscnt 0xb01
	v_mul_f64_e32 v[146:147], v[84:85], v[94:95]
	v_mul_f64_e32 v[94:95], v[86:87], v[94:95]
	v_fmac_f64_e32 v[140:141], v[138:139], v[88:89]
	v_fma_f64 v[136:137], v[136:137], v[88:89], -v[90:91]
	scratch_load_b128 v[88:91], off, off offset:400
	v_add_f64_e32 v[4:5], v[4:5], v[144:145]
	v_add_f64_e32 v[8:9], v[142:143], v[8:9]
	v_fmac_f64_e32 v[146:147], v[86:87], v[92:93]
	v_fma_f64 v[144:145], v[84:85], v[92:93], -v[94:95]
	ds_load_b128 v[84:87], v2 offset:784
	s_wait_loadcnt_dscnt 0xb01
	v_mul_f64_e32 v[142:143], v[128:129], v[98:99]
	v_mul_f64_e32 v[98:99], v[130:131], v[98:99]
	scratch_load_b128 v[92:95], off, off offset:416
	v_add_f64_e32 v[4:5], v[4:5], v[136:137]
	v_add_f64_e32 v[8:9], v[8:9], v[140:141]
	s_wait_loadcnt_dscnt 0xb00
	v_mul_f64_e32 v[140:141], v[84:85], v[102:103]
	v_mul_f64_e32 v[102:103], v[86:87], v[102:103]
	ds_load_b128 v[136:139], v2 offset:800
	v_fmac_f64_e32 v[142:143], v[130:131], v[96:97]
	v_fma_f64 v[128:129], v[128:129], v[96:97], -v[98:99]
	scratch_load_b128 v[96:99], off, off offset:432
	v_add_f64_e32 v[4:5], v[4:5], v[144:145]
	v_add_f64_e32 v[8:9], v[8:9], v[146:147]
	v_fmac_f64_e32 v[140:141], v[86:87], v[100:101]
	v_fma_f64 v[146:147], v[84:85], v[100:101], -v[102:103]
	ds_load_b128 v[84:87], v2 offset:816
	s_wait_loadcnt_dscnt 0xb01
	v_mul_f64_e32 v[144:145], v[136:137], v[106:107]
	v_mul_f64_e32 v[106:107], v[138:139], v[106:107]
	scratch_load_b128 v[100:103], off, off offset:448
	v_add_f64_e32 v[4:5], v[4:5], v[128:129]
	v_add_f64_e32 v[8:9], v[8:9], v[142:143]
	s_wait_loadcnt_dscnt 0xb00
	v_mul_f64_e32 v[142:143], v[84:85], v[110:111]
	v_mul_f64_e32 v[110:111], v[86:87], v[110:111]
	ds_load_b128 v[128:131], v2 offset:832
	;; [unrolled: 18-line block ×3, first 2 shown]
	v_fmac_f64_e32 v[140:141], v[130:131], v[112:113]
	v_fma_f64 v[128:129], v[128:129], v[112:113], -v[114:115]
	scratch_load_b128 v[112:115], off, off offset:496
	v_add_f64_e32 v[4:5], v[4:5], v[146:147]
	v_add_f64_e32 v[8:9], v[8:9], v[142:143]
	v_fmac_f64_e32 v[144:145], v[86:87], v[120:121]
	v_fma_f64 v[146:147], v[84:85], v[120:121], -v[122:123]
	ds_load_b128 v[84:87], v2 offset:880
	s_wait_loadcnt_dscnt 0x901
	v_mul_f64_e32 v[142:143], v[136:137], v[12:13]
	v_mul_f64_e32 v[12:13], v[138:139], v[12:13]
	scratch_load_b128 v[120:123], off, off offset:512
	v_add_f64_e32 v[4:5], v[4:5], v[128:129]
	v_add_f64_e32 v[8:9], v[8:9], v[140:141]
	s_wait_dscnt 0x0
	v_mul_f64_e32 v[140:141], v[84:85], v[134:135]
	v_mul_f64_e32 v[134:135], v[86:87], v[134:135]
	ds_load_b128 v[128:131], v2 offset:896
	v_fmac_f64_e32 v[142:143], v[138:139], v[10:11]
	v_fma_f64 v[10:11], v[136:137], v[10:11], -v[12:13]
	v_add_f64_e32 v[4:5], v[4:5], v[146:147]
	v_add_f64_e32 v[8:9], v[8:9], v[144:145]
	s_wait_loadcnt_dscnt 0x900
	v_mul_f64_e32 v[12:13], v[128:129], v[82:83]
	v_mul_f64_e32 v[136:137], v[130:131], v[82:83]
	v_fmac_f64_e32 v[140:141], v[86:87], v[132:133]
	v_fma_f64 v[86:87], v[84:85], v[132:133], -v[134:135]
	v_add_f64_e32 v[4:5], v[4:5], v[10:11]
	v_add_f64_e32 v[132:133], v[8:9], v[142:143]
	ds_load_b128 v[8:11], v2 offset:912
	ds_load_b128 v[82:85], v2 offset:928
	v_fmac_f64_e32 v[12:13], v[130:131], v[80:81]
	v_fma_f64 v[80:81], v[128:129], v[80:81], -v[136:137]
	s_wait_loadcnt_dscnt 0x801
	v_mul_f64_e32 v[134:135], v[8:9], v[118:119]
	v_mul_f64_e32 v[118:119], v[10:11], v[118:119]
	s_wait_loadcnt_dscnt 0x700
	v_mul_f64_e32 v[128:129], v[82:83], v[90:91]
	v_mul_f64_e32 v[90:91], v[84:85], v[90:91]
	v_add_f64_e32 v[4:5], v[4:5], v[86:87]
	v_add_f64_e32 v[86:87], v[132:133], v[140:141]
	v_fmac_f64_e32 v[134:135], v[10:11], v[116:117]
	v_fma_f64 v[130:131], v[8:9], v[116:117], -v[118:119]
	ds_load_b128 v[8:11], v2 offset:944
	ds_load_b128 v[116:119], v2 offset:960
	v_fmac_f64_e32 v[128:129], v[84:85], v[88:89]
	v_fma_f64 v[82:83], v[82:83], v[88:89], -v[90:91]
	v_add_f64_e32 v[4:5], v[4:5], v[80:81]
	v_add_f64_e32 v[12:13], v[86:87], v[12:13]
	s_wait_loadcnt_dscnt 0x601
	v_mul_f64_e32 v[86:87], v[8:9], v[94:95]
	v_mul_f64_e32 v[80:81], v[10:11], v[94:95]
	s_wait_loadcnt_dscnt 0x500
	v_mul_f64_e32 v[84:85], v[116:117], v[98:99]
	v_mul_f64_e32 v[88:89], v[118:119], v[98:99]
	v_add_f64_e32 v[4:5], v[4:5], v[130:131]
	v_add_f64_e32 v[12:13], v[12:13], v[134:135]
	v_fmac_f64_e32 v[86:87], v[10:11], v[92:93]
	v_fma_f64 v[90:91], v[8:9], v[92:93], -v[80:81]
	v_fmac_f64_e32 v[84:85], v[118:119], v[96:97]
	v_fma_f64 v[88:89], v[116:117], v[96:97], -v[88:89]
	v_add_f64_e32 v[4:5], v[4:5], v[82:83]
	v_add_f64_e32 v[12:13], v[12:13], v[128:129]
	ds_load_b128 v[8:11], v2 offset:976
	ds_load_b128 v[80:83], v2 offset:992
	s_wait_loadcnt_dscnt 0x401
	v_mul_f64_e32 v[92:93], v[8:9], v[102:103]
	v_mul_f64_e32 v[94:95], v[10:11], v[102:103]
	s_wait_loadcnt_dscnt 0x300
	v_mul_f64_e32 v[96:97], v[82:83], v[106:107]
	v_add_f64_e32 v[4:5], v[4:5], v[90:91]
	v_add_f64_e32 v[12:13], v[12:13], v[86:87]
	v_mul_f64_e32 v[90:91], v[80:81], v[106:107]
	v_fmac_f64_e32 v[92:93], v[10:11], v[100:101]
	v_fma_f64 v[94:95], v[8:9], v[100:101], -v[94:95]
	v_fma_f64 v[80:81], v[80:81], v[104:105], -v[96:97]
	v_add_f64_e32 v[4:5], v[4:5], v[88:89]
	v_add_f64_e32 v[12:13], v[12:13], v[84:85]
	ds_load_b128 v[8:11], v2 offset:1008
	ds_load_b128 v[84:87], v2 offset:1024
	v_fmac_f64_e32 v[90:91], v[82:83], v[104:105]
	s_wait_loadcnt_dscnt 0x201
	v_mul_f64_e32 v[88:89], v[8:9], v[110:111]
	v_mul_f64_e32 v[98:99], v[10:11], v[110:111]
	s_wait_loadcnt_dscnt 0x100
	v_mul_f64_e32 v[82:83], v[84:85], v[114:115]
	v_add_f64_e32 v[4:5], v[4:5], v[94:95]
	v_add_f64_e32 v[12:13], v[12:13], v[92:93]
	v_mul_f64_e32 v[92:93], v[86:87], v[114:115]
	v_fmac_f64_e32 v[88:89], v[10:11], v[108:109]
	v_fma_f64 v[94:95], v[8:9], v[108:109], -v[98:99]
	ds_load_b128 v[8:11], v2 offset:1040
	v_fmac_f64_e32 v[82:83], v[86:87], v[112:113]
	v_add_f64_e32 v[4:5], v[4:5], v[80:81]
	v_add_f64_e32 v[12:13], v[12:13], v[90:91]
	v_fma_f64 v[84:85], v[84:85], v[112:113], -v[92:93]
	s_wait_loadcnt_dscnt 0x0
	v_mul_f64_e32 v[80:81], v[8:9], v[122:123]
	v_mul_f64_e32 v[90:91], v[10:11], v[122:123]
	v_add_f64_e32 v[4:5], v[4:5], v[94:95]
	v_add_f64_e32 v[12:13], v[12:13], v[88:89]
	s_delay_alu instid0(VALU_DEP_4) | instskip(NEXT) | instid1(VALU_DEP_4)
	v_fmac_f64_e32 v[80:81], v[10:11], v[120:121]
	v_fma_f64 v[8:9], v[8:9], v[120:121], -v[90:91]
	s_delay_alu instid0(VALU_DEP_4) | instskip(NEXT) | instid1(VALU_DEP_4)
	v_add_f64_e32 v[4:5], v[4:5], v[84:85]
	v_add_f64_e32 v[10:11], v[12:13], v[82:83]
	s_delay_alu instid0(VALU_DEP_2) | instskip(NEXT) | instid1(VALU_DEP_2)
	v_add_f64_e32 v[4:5], v[4:5], v[8:9]
	v_add_f64_e32 v[10:11], v[10:11], v[80:81]
	s_delay_alu instid0(VALU_DEP_2) | instskip(NEXT) | instid1(VALU_DEP_2)
	v_add_f64_e64 v[8:9], v[124:125], -v[4:5]
	v_add_f64_e64 v[10:11], v[126:127], -v[10:11]
	scratch_store_b128 off, v[8:11], off offset:144
	s_wait_xcnt 0x0
	v_cmpx_lt_u32_e32 8, v1
	s_cbranch_execz .LBB32_195
; %bb.194:
	scratch_load_b128 v[8:11], off, s34
	v_dual_mov_b32 v3, v2 :: v_dual_mov_b32 v4, v2
	v_mov_b32_e32 v5, v2
	scratch_store_b128 off, v[2:5], off offset:128
	s_wait_loadcnt 0x0
	ds_store_b128 v6, v[8:11]
.LBB32_195:
	s_wait_xcnt 0x0
	s_or_b32 exec_lo, exec_lo, s2
	s_wait_storecnt_dscnt 0x0
	s_barrier_signal -1
	s_barrier_wait -1
	s_clause 0x9
	scratch_load_b128 v[8:11], off, off offset:144
	scratch_load_b128 v[80:83], off, off offset:160
	;; [unrolled: 1-line block ×10, first 2 shown]
	ds_load_b128 v[116:119], v2 offset:672
	ds_load_b128 v[124:127], v2 offset:688
	s_clause 0x1
	scratch_load_b128 v[120:123], off, off offset:304
	scratch_load_b128 v[128:131], off, off offset:128
	s_mov_b32 s2, exec_lo
	s_wait_loadcnt_dscnt 0xb01
	v_mul_f64_e32 v[4:5], v[118:119], v[10:11]
	v_mul_f64_e32 v[140:141], v[116:117], v[10:11]
	scratch_load_b128 v[10:13], off, off offset:320
	s_wait_loadcnt_dscnt 0xb00
	v_mul_f64_e32 v[142:143], v[124:125], v[82:83]
	v_mul_f64_e32 v[82:83], v[126:127], v[82:83]
	v_fma_f64 v[4:5], v[116:117], v[8:9], -v[4:5]
	v_fmac_f64_e32 v[140:141], v[118:119], v[8:9]
	ds_load_b128 v[116:119], v2 offset:704
	ds_load_b128 v[132:135], v2 offset:720
	scratch_load_b128 v[136:139], off, off offset:336
	v_fmac_f64_e32 v[142:143], v[126:127], v[80:81]
	v_fma_f64 v[124:125], v[124:125], v[80:81], -v[82:83]
	scratch_load_b128 v[80:83], off, off offset:352
	s_wait_loadcnt_dscnt 0xc01
	v_mul_f64_e32 v[8:9], v[116:117], v[86:87]
	v_mul_f64_e32 v[86:87], v[118:119], v[86:87]
	v_add_f64_e32 v[4:5], 0, v[4:5]
	v_add_f64_e32 v[126:127], 0, v[140:141]
	s_wait_loadcnt_dscnt 0xb00
	v_mul_f64_e32 v[140:141], v[132:133], v[90:91]
	v_mul_f64_e32 v[90:91], v[134:135], v[90:91]
	v_fmac_f64_e32 v[8:9], v[118:119], v[84:85]
	v_fma_f64 v[144:145], v[116:117], v[84:85], -v[86:87]
	ds_load_b128 v[84:87], v2 offset:736
	ds_load_b128 v[116:119], v2 offset:752
	v_add_f64_e32 v[4:5], v[4:5], v[124:125]
	v_add_f64_e32 v[142:143], v[126:127], v[142:143]
	scratch_load_b128 v[124:127], off, off offset:368
	v_fmac_f64_e32 v[140:141], v[134:135], v[88:89]
	v_fma_f64 v[132:133], v[132:133], v[88:89], -v[90:91]
	scratch_load_b128 v[88:91], off, off offset:384
	s_wait_loadcnt_dscnt 0xc01
	v_mul_f64_e32 v[146:147], v[84:85], v[94:95]
	v_mul_f64_e32 v[94:95], v[86:87], v[94:95]
	v_add_f64_e32 v[4:5], v[4:5], v[144:145]
	v_add_f64_e32 v[8:9], v[142:143], v[8:9]
	s_wait_loadcnt_dscnt 0xb00
	v_mul_f64_e32 v[142:143], v[116:117], v[98:99]
	v_mul_f64_e32 v[98:99], v[118:119], v[98:99]
	v_fmac_f64_e32 v[146:147], v[86:87], v[92:93]
	v_fma_f64 v[144:145], v[84:85], v[92:93], -v[94:95]
	ds_load_b128 v[84:87], v2 offset:768
	ds_load_b128 v[92:95], v2 offset:784
	v_add_f64_e32 v[4:5], v[4:5], v[132:133]
	v_add_f64_e32 v[8:9], v[8:9], v[140:141]
	scratch_load_b128 v[132:135], off, off offset:400
	s_wait_loadcnt_dscnt 0xb01
	v_mul_f64_e32 v[140:141], v[84:85], v[102:103]
	v_mul_f64_e32 v[102:103], v[86:87], v[102:103]
	v_fmac_f64_e32 v[142:143], v[118:119], v[96:97]
	v_fma_f64 v[116:117], v[116:117], v[96:97], -v[98:99]
	scratch_load_b128 v[96:99], off, off offset:416
	v_add_f64_e32 v[4:5], v[4:5], v[144:145]
	v_add_f64_e32 v[8:9], v[8:9], v[146:147]
	s_wait_loadcnt_dscnt 0xb00
	v_mul_f64_e32 v[144:145], v[92:93], v[106:107]
	v_mul_f64_e32 v[106:107], v[94:95], v[106:107]
	v_fmac_f64_e32 v[140:141], v[86:87], v[100:101]
	v_fma_f64 v[146:147], v[84:85], v[100:101], -v[102:103]
	ds_load_b128 v[84:87], v2 offset:800
	ds_load_b128 v[100:103], v2 offset:816
	v_add_f64_e32 v[4:5], v[4:5], v[116:117]
	v_add_f64_e32 v[8:9], v[8:9], v[142:143]
	scratch_load_b128 v[116:119], off, off offset:432
	s_wait_loadcnt_dscnt 0xb01
	v_mul_f64_e32 v[142:143], v[84:85], v[110:111]
	v_mul_f64_e32 v[110:111], v[86:87], v[110:111]
	v_fmac_f64_e32 v[144:145], v[94:95], v[104:105]
	v_fma_f64 v[104:105], v[92:93], v[104:105], -v[106:107]
	scratch_load_b128 v[92:95], off, off offset:448
	v_add_f64_e32 v[4:5], v[4:5], v[146:147]
	v_add_f64_e32 v[8:9], v[8:9], v[140:141]
	s_wait_loadcnt_dscnt 0xb00
	v_mul_f64_e32 v[140:141], v[100:101], v[114:115]
	v_mul_f64_e32 v[114:115], v[102:103], v[114:115]
	v_fmac_f64_e32 v[142:143], v[86:87], v[108:109]
	v_fma_f64 v[146:147], v[84:85], v[108:109], -v[110:111]
	v_add_f64_e32 v[4:5], v[4:5], v[104:105]
	v_add_f64_e32 v[8:9], v[8:9], v[144:145]
	ds_load_b128 v[84:87], v2 offset:832
	ds_load_b128 v[104:107], v2 offset:848
	scratch_load_b128 v[108:111], off, off offset:464
	v_fmac_f64_e32 v[140:141], v[102:103], v[112:113]
	v_fma_f64 v[112:113], v[100:101], v[112:113], -v[114:115]
	scratch_load_b128 v[100:103], off, off offset:480
	s_wait_loadcnt_dscnt 0xc01
	v_mul_f64_e32 v[144:145], v[84:85], v[122:123]
	v_mul_f64_e32 v[122:123], v[86:87], v[122:123]
	v_add_f64_e32 v[4:5], v[4:5], v[146:147]
	v_add_f64_e32 v[8:9], v[8:9], v[142:143]
	s_wait_loadcnt_dscnt 0xa00
	v_mul_f64_e32 v[142:143], v[104:105], v[12:13]
	v_mul_f64_e32 v[12:13], v[106:107], v[12:13]
	v_fmac_f64_e32 v[144:145], v[86:87], v[120:121]
	v_fma_f64 v[146:147], v[84:85], v[120:121], -v[122:123]
	v_add_f64_e32 v[4:5], v[4:5], v[112:113]
	v_add_f64_e32 v[8:9], v[8:9], v[140:141]
	ds_load_b128 v[84:87], v2 offset:864
	ds_load_b128 v[112:115], v2 offset:880
	scratch_load_b128 v[120:123], off, off offset:496
	v_fmac_f64_e32 v[142:143], v[106:107], v[10:11]
	v_fma_f64 v[12:13], v[104:105], v[10:11], -v[12:13]
	s_wait_loadcnt_dscnt 0xa01
	v_mul_f64_e32 v[140:141], v[84:85], v[138:139]
	v_mul_f64_e32 v[138:139], v[86:87], v[138:139]
	v_add_f64_e32 v[4:5], v[4:5], v[146:147]
	v_add_f64_e32 v[104:105], v[8:9], v[144:145]
	scratch_load_b128 v[8:11], off, off offset:512
	s_wait_loadcnt_dscnt 0xa00
	v_mul_f64_e32 v[144:145], v[112:113], v[82:83]
	v_mul_f64_e32 v[146:147], v[114:115], v[82:83]
	v_fmac_f64_e32 v[140:141], v[86:87], v[136:137]
	v_fma_f64 v[86:87], v[84:85], v[136:137], -v[138:139]
	v_add_f64_e32 v[4:5], v[4:5], v[12:13]
	v_add_f64_e32 v[12:13], v[104:105], v[142:143]
	ds_load_b128 v[82:85], v2 offset:896
	ds_load_b128 v[104:107], v2 offset:912
	v_fmac_f64_e32 v[144:145], v[114:115], v[80:81]
	v_fma_f64 v[80:81], v[112:113], v[80:81], -v[146:147]
	s_wait_loadcnt_dscnt 0x901
	v_mul_f64_e32 v[136:137], v[82:83], v[126:127]
	v_mul_f64_e32 v[126:127], v[84:85], v[126:127]
	s_wait_loadcnt_dscnt 0x800
	v_mul_f64_e32 v[112:113], v[104:105], v[90:91]
	v_mul_f64_e32 v[90:91], v[106:107], v[90:91]
	v_add_f64_e32 v[4:5], v[4:5], v[86:87]
	v_add_f64_e32 v[12:13], v[12:13], v[140:141]
	v_fmac_f64_e32 v[136:137], v[84:85], v[124:125]
	v_fma_f64 v[114:115], v[82:83], v[124:125], -v[126:127]
	v_fmac_f64_e32 v[112:113], v[106:107], v[88:89]
	v_fma_f64 v[88:89], v[104:105], v[88:89], -v[90:91]
	v_add_f64_e32 v[4:5], v[4:5], v[80:81]
	v_add_f64_e32 v[12:13], v[12:13], v[144:145]
	ds_load_b128 v[80:83], v2 offset:928
	ds_load_b128 v[84:87], v2 offset:944
	s_wait_loadcnt_dscnt 0x701
	v_mul_f64_e32 v[124:125], v[80:81], v[134:135]
	v_mul_f64_e32 v[126:127], v[82:83], v[134:135]
	s_wait_loadcnt_dscnt 0x600
	v_mul_f64_e32 v[104:105], v[84:85], v[98:99]
	v_mul_f64_e32 v[98:99], v[86:87], v[98:99]
	v_add_f64_e32 v[4:5], v[4:5], v[114:115]
	v_add_f64_e32 v[12:13], v[12:13], v[136:137]
	v_fmac_f64_e32 v[124:125], v[82:83], v[132:133]
	v_fma_f64 v[106:107], v[80:81], v[132:133], -v[126:127]
	v_fmac_f64_e32 v[104:105], v[86:87], v[96:97]
	v_fma_f64 v[84:85], v[84:85], v[96:97], -v[98:99]
	v_add_f64_e32 v[4:5], v[4:5], v[88:89]
	v_add_f64_e32 v[12:13], v[12:13], v[112:113]
	ds_load_b128 v[80:83], v2 offset:960
	ds_load_b128 v[88:91], v2 offset:976
	;; [unrolled: 16-line block ×4, first 2 shown]
	s_wait_loadcnt_dscnt 0x101
	v_mul_f64_e32 v[96:97], v[80:81], v[122:123]
	v_mul_f64_e32 v[98:99], v[82:83], v[122:123]
	v_add_f64_e32 v[86:87], v[88:89], v[94:95]
	v_add_f64_e32 v[12:13], v[12:13], v[104:105]
	s_wait_loadcnt_dscnt 0x0
	v_mul_f64_e32 v[88:89], v[2:3], v[10:11]
	v_mul_f64_e32 v[10:11], v[4:5], v[10:11]
	v_fmac_f64_e32 v[96:97], v[82:83], v[120:121]
	v_fma_f64 v[80:81], v[80:81], v[120:121], -v[98:99]
	v_add_f64_e32 v[82:83], v[86:87], v[84:85]
	v_add_f64_e32 v[12:13], v[12:13], v[90:91]
	v_fmac_f64_e32 v[88:89], v[4:5], v[8:9]
	v_fma_f64 v[2:3], v[2:3], v[8:9], -v[10:11]
	s_delay_alu instid0(VALU_DEP_4) | instskip(NEXT) | instid1(VALU_DEP_4)
	v_add_f64_e32 v[4:5], v[82:83], v[80:81]
	v_add_f64_e32 v[8:9], v[12:13], v[96:97]
	s_delay_alu instid0(VALU_DEP_2) | instskip(NEXT) | instid1(VALU_DEP_2)
	v_add_f64_e32 v[2:3], v[4:5], v[2:3]
	v_add_f64_e32 v[4:5], v[8:9], v[88:89]
	s_delay_alu instid0(VALU_DEP_2) | instskip(NEXT) | instid1(VALU_DEP_2)
	v_add_f64_e64 v[2:3], v[128:129], -v[2:3]
	v_add_f64_e64 v[4:5], v[130:131], -v[4:5]
	scratch_store_b128 off, v[2:5], off offset:128
	s_wait_xcnt 0x0
	v_cmpx_lt_u32_e32 7, v1
	s_cbranch_execz .LBB32_197
; %bb.196:
	scratch_load_b128 v[2:5], off, s41
	v_mov_b32_e32 v8, 0
	s_delay_alu instid0(VALU_DEP_1)
	v_dual_mov_b32 v9, v8 :: v_dual_mov_b32 v10, v8
	v_mov_b32_e32 v11, v8
	scratch_store_b128 off, v[8:11], off offset:112
	s_wait_loadcnt 0x0
	ds_store_b128 v6, v[2:5]
.LBB32_197:
	s_wait_xcnt 0x0
	s_or_b32 exec_lo, exec_lo, s2
	s_wait_storecnt_dscnt 0x0
	s_barrier_signal -1
	s_barrier_wait -1
	s_clause 0x9
	scratch_load_b128 v[8:11], off, off offset:128
	scratch_load_b128 v[80:83], off, off offset:144
	;; [unrolled: 1-line block ×10, first 2 shown]
	v_mov_b32_e32 v2, 0
	s_mov_b32 s2, exec_lo
	ds_load_b128 v[116:119], v2 offset:656
	s_clause 0x2
	scratch_load_b128 v[120:123], off, off offset:288
	scratch_load_b128 v[124:127], off, off offset:112
	;; [unrolled: 1-line block ×3, first 2 shown]
	s_wait_loadcnt_dscnt 0xc00
	v_mul_f64_e32 v[4:5], v[118:119], v[10:11]
	v_mul_f64_e32 v[140:141], v[116:117], v[10:11]
	ds_load_b128 v[128:131], v2 offset:672
	scratch_load_b128 v[10:13], off, off offset:304
	ds_load_b128 v[136:139], v2 offset:704
	v_fma_f64 v[4:5], v[116:117], v[8:9], -v[4:5]
	v_fmac_f64_e32 v[140:141], v[118:119], v[8:9]
	ds_load_b128 v[116:119], v2 offset:688
	s_wait_loadcnt_dscnt 0xc02
	v_mul_f64_e32 v[142:143], v[128:129], v[82:83]
	v_mul_f64_e32 v[82:83], v[130:131], v[82:83]
	s_wait_loadcnt_dscnt 0xb00
	v_mul_f64_e32 v[8:9], v[116:117], v[86:87]
	v_mul_f64_e32 v[86:87], v[118:119], v[86:87]
	v_add_f64_e32 v[4:5], 0, v[4:5]
	v_fmac_f64_e32 v[142:143], v[130:131], v[80:81]
	v_fma_f64 v[128:129], v[128:129], v[80:81], -v[82:83]
	v_add_f64_e32 v[130:131], 0, v[140:141]
	scratch_load_b128 v[80:83], off, off offset:336
	v_fmac_f64_e32 v[8:9], v[118:119], v[84:85]
	v_fma_f64 v[144:145], v[116:117], v[84:85], -v[86:87]
	ds_load_b128 v[84:87], v2 offset:720
	s_wait_loadcnt 0xb
	v_mul_f64_e32 v[140:141], v[136:137], v[90:91]
	v_mul_f64_e32 v[90:91], v[138:139], v[90:91]
	scratch_load_b128 v[116:119], off, off offset:352
	v_add_f64_e32 v[4:5], v[4:5], v[128:129]
	v_add_f64_e32 v[142:143], v[130:131], v[142:143]
	ds_load_b128 v[128:131], v2 offset:736
	s_wait_loadcnt_dscnt 0xb01
	v_mul_f64_e32 v[146:147], v[84:85], v[94:95]
	v_mul_f64_e32 v[94:95], v[86:87], v[94:95]
	v_fmac_f64_e32 v[140:141], v[138:139], v[88:89]
	v_fma_f64 v[136:137], v[136:137], v[88:89], -v[90:91]
	scratch_load_b128 v[88:91], off, off offset:368
	v_add_f64_e32 v[4:5], v[4:5], v[144:145]
	v_add_f64_e32 v[8:9], v[142:143], v[8:9]
	v_fmac_f64_e32 v[146:147], v[86:87], v[92:93]
	v_fma_f64 v[144:145], v[84:85], v[92:93], -v[94:95]
	ds_load_b128 v[84:87], v2 offset:752
	s_wait_loadcnt_dscnt 0xb01
	v_mul_f64_e32 v[142:143], v[128:129], v[98:99]
	v_mul_f64_e32 v[98:99], v[130:131], v[98:99]
	scratch_load_b128 v[92:95], off, off offset:384
	v_add_f64_e32 v[4:5], v[4:5], v[136:137]
	v_add_f64_e32 v[8:9], v[8:9], v[140:141]
	s_wait_loadcnt_dscnt 0xb00
	v_mul_f64_e32 v[140:141], v[84:85], v[102:103]
	v_mul_f64_e32 v[102:103], v[86:87], v[102:103]
	ds_load_b128 v[136:139], v2 offset:768
	v_fmac_f64_e32 v[142:143], v[130:131], v[96:97]
	v_fma_f64 v[128:129], v[128:129], v[96:97], -v[98:99]
	scratch_load_b128 v[96:99], off, off offset:400
	v_add_f64_e32 v[4:5], v[4:5], v[144:145]
	v_add_f64_e32 v[8:9], v[8:9], v[146:147]
	v_fmac_f64_e32 v[140:141], v[86:87], v[100:101]
	v_fma_f64 v[146:147], v[84:85], v[100:101], -v[102:103]
	ds_load_b128 v[84:87], v2 offset:784
	s_wait_loadcnt_dscnt 0xb01
	v_mul_f64_e32 v[144:145], v[136:137], v[106:107]
	v_mul_f64_e32 v[106:107], v[138:139], v[106:107]
	scratch_load_b128 v[100:103], off, off offset:416
	v_add_f64_e32 v[4:5], v[4:5], v[128:129]
	v_add_f64_e32 v[8:9], v[8:9], v[142:143]
	s_wait_loadcnt_dscnt 0xb00
	v_mul_f64_e32 v[142:143], v[84:85], v[110:111]
	v_mul_f64_e32 v[110:111], v[86:87], v[110:111]
	ds_load_b128 v[128:131], v2 offset:800
	;; [unrolled: 18-line block ×3, first 2 shown]
	v_fmac_f64_e32 v[140:141], v[130:131], v[112:113]
	v_fma_f64 v[128:129], v[128:129], v[112:113], -v[114:115]
	scratch_load_b128 v[112:115], off, off offset:464
	v_add_f64_e32 v[4:5], v[4:5], v[146:147]
	v_add_f64_e32 v[8:9], v[8:9], v[142:143]
	v_fmac_f64_e32 v[144:145], v[86:87], v[120:121]
	v_fma_f64 v[146:147], v[84:85], v[120:121], -v[122:123]
	ds_load_b128 v[84:87], v2 offset:848
	s_wait_loadcnt_dscnt 0x901
	v_mul_f64_e32 v[142:143], v[136:137], v[12:13]
	v_mul_f64_e32 v[12:13], v[138:139], v[12:13]
	scratch_load_b128 v[120:123], off, off offset:480
	v_add_f64_e32 v[4:5], v[4:5], v[128:129]
	v_add_f64_e32 v[8:9], v[8:9], v[140:141]
	s_wait_dscnt 0x0
	v_mul_f64_e32 v[140:141], v[84:85], v[134:135]
	v_mul_f64_e32 v[134:135], v[86:87], v[134:135]
	ds_load_b128 v[128:131], v2 offset:864
	v_fmac_f64_e32 v[142:143], v[138:139], v[10:11]
	v_fma_f64 v[12:13], v[136:137], v[10:11], -v[12:13]
	v_add_f64_e32 v[4:5], v[4:5], v[146:147]
	v_add_f64_e32 v[136:137], v[8:9], v[144:145]
	scratch_load_b128 v[8:11], off, off offset:496
	v_fmac_f64_e32 v[140:141], v[86:87], v[132:133]
	v_fma_f64 v[86:87], v[84:85], v[132:133], -v[134:135]
	scratch_load_b128 v[132:135], off, off offset:512
	v_add_f64_e32 v[4:5], v[4:5], v[12:13]
	v_add_f64_e32 v[12:13], v[136:137], v[142:143]
	ds_load_b128 v[136:139], v2 offset:896
	s_wait_loadcnt_dscnt 0xb01
	v_mul_f64_e32 v[144:145], v[128:129], v[82:83]
	v_mul_f64_e32 v[146:147], v[130:131], v[82:83]
	ds_load_b128 v[82:85], v2 offset:880
	s_wait_loadcnt_dscnt 0xa00
	v_mul_f64_e32 v[142:143], v[82:83], v[118:119]
	v_mul_f64_e32 v[118:119], v[84:85], v[118:119]
	v_add_f64_e32 v[4:5], v[4:5], v[86:87]
	v_add_f64_e32 v[12:13], v[12:13], v[140:141]
	v_fmac_f64_e32 v[144:145], v[130:131], v[80:81]
	v_fma_f64 v[80:81], v[128:129], v[80:81], -v[146:147]
	s_wait_loadcnt 0x9
	v_mul_f64_e32 v[128:129], v[136:137], v[90:91]
	v_mul_f64_e32 v[90:91], v[138:139], v[90:91]
	v_fmac_f64_e32 v[142:143], v[84:85], v[116:117]
	v_fma_f64 v[116:117], v[82:83], v[116:117], -v[118:119]
	v_add_f64_e32 v[12:13], v[12:13], v[144:145]
	v_add_f64_e32 v[4:5], v[4:5], v[80:81]
	ds_load_b128 v[80:83], v2 offset:912
	ds_load_b128 v[84:87], v2 offset:928
	v_fmac_f64_e32 v[128:129], v[138:139], v[88:89]
	v_fma_f64 v[88:89], v[136:137], v[88:89], -v[90:91]
	s_wait_loadcnt_dscnt 0x801
	v_mul_f64_e32 v[118:119], v[80:81], v[94:95]
	v_mul_f64_e32 v[94:95], v[82:83], v[94:95]
	v_add_f64_e32 v[12:13], v[12:13], v[142:143]
	v_add_f64_e32 v[4:5], v[4:5], v[116:117]
	s_wait_loadcnt_dscnt 0x700
	v_mul_f64_e32 v[116:117], v[84:85], v[98:99]
	v_mul_f64_e32 v[98:99], v[86:87], v[98:99]
	v_fmac_f64_e32 v[118:119], v[82:83], v[92:93]
	v_fma_f64 v[92:93], v[80:81], v[92:93], -v[94:95]
	v_add_f64_e32 v[12:13], v[12:13], v[128:129]
	v_add_f64_e32 v[4:5], v[4:5], v[88:89]
	ds_load_b128 v[80:83], v2 offset:944
	ds_load_b128 v[88:91], v2 offset:960
	v_fmac_f64_e32 v[116:117], v[86:87], v[96:97]
	v_fma_f64 v[84:85], v[84:85], v[96:97], -v[98:99]
	s_wait_loadcnt_dscnt 0x601
	v_mul_f64_e32 v[94:95], v[80:81], v[102:103]
	v_mul_f64_e32 v[102:103], v[82:83], v[102:103]
	s_wait_loadcnt_dscnt 0x500
	v_mul_f64_e32 v[96:97], v[90:91], v[106:107]
	v_add_f64_e32 v[12:13], v[12:13], v[118:119]
	v_add_f64_e32 v[4:5], v[4:5], v[92:93]
	v_mul_f64_e32 v[92:93], v[88:89], v[106:107]
	v_fmac_f64_e32 v[94:95], v[82:83], v[100:101]
	v_fma_f64 v[98:99], v[80:81], v[100:101], -v[102:103]
	v_fma_f64 v[88:89], v[88:89], v[104:105], -v[96:97]
	v_add_f64_e32 v[12:13], v[12:13], v[116:117]
	v_add_f64_e32 v[4:5], v[4:5], v[84:85]
	ds_load_b128 v[80:83], v2 offset:976
	ds_load_b128 v[84:87], v2 offset:992
	v_fmac_f64_e32 v[92:93], v[90:91], v[104:105]
	s_wait_loadcnt_dscnt 0x401
	v_mul_f64_e32 v[100:101], v[80:81], v[110:111]
	v_mul_f64_e32 v[102:103], v[82:83], v[110:111]
	s_wait_loadcnt_dscnt 0x300
	v_mul_f64_e32 v[96:97], v[86:87], v[114:115]
	v_add_f64_e32 v[12:13], v[12:13], v[94:95]
	v_add_f64_e32 v[4:5], v[4:5], v[98:99]
	v_mul_f64_e32 v[94:95], v[84:85], v[114:115]
	v_fmac_f64_e32 v[100:101], v[82:83], v[108:109]
	v_fma_f64 v[98:99], v[80:81], v[108:109], -v[102:103]
	v_fma_f64 v[84:85], v[84:85], v[112:113], -v[96:97]
	v_add_f64_e32 v[12:13], v[12:13], v[92:93]
	v_add_f64_e32 v[4:5], v[4:5], v[88:89]
	ds_load_b128 v[80:83], v2 offset:1008
	ds_load_b128 v[88:91], v2 offset:1024
	v_fmac_f64_e32 v[94:95], v[86:87], v[112:113]
	s_wait_loadcnt_dscnt 0x201
	v_mul_f64_e32 v[92:93], v[80:81], v[122:123]
	v_mul_f64_e32 v[102:103], v[82:83], v[122:123]
	s_wait_loadcnt_dscnt 0x100
	v_mul_f64_e32 v[86:87], v[88:89], v[10:11]
	v_add_f64_e32 v[12:13], v[12:13], v[100:101]
	v_add_f64_e32 v[4:5], v[4:5], v[98:99]
	v_mul_f64_e32 v[96:97], v[90:91], v[10:11]
	v_fmac_f64_e32 v[92:93], v[82:83], v[120:121]
	v_fma_f64 v[80:81], v[80:81], v[120:121], -v[102:103]
	v_fmac_f64_e32 v[86:87], v[90:91], v[8:9]
	v_add_f64_e32 v[82:83], v[12:13], v[94:95]
	v_add_f64_e32 v[4:5], v[4:5], v[84:85]
	ds_load_b128 v[10:13], v2 offset:1040
	v_fma_f64 v[8:9], v[88:89], v[8:9], -v[96:97]
	s_wait_loadcnt_dscnt 0x0
	v_mul_f64_e32 v[84:85], v[10:11], v[134:135]
	v_mul_f64_e32 v[94:95], v[12:13], v[134:135]
	v_add_f64_e32 v[4:5], v[4:5], v[80:81]
	v_add_f64_e32 v[80:81], v[82:83], v[92:93]
	s_delay_alu instid0(VALU_DEP_4) | instskip(NEXT) | instid1(VALU_DEP_4)
	v_fmac_f64_e32 v[84:85], v[12:13], v[132:133]
	v_fma_f64 v[10:11], v[10:11], v[132:133], -v[94:95]
	s_delay_alu instid0(VALU_DEP_4) | instskip(NEXT) | instid1(VALU_DEP_4)
	v_add_f64_e32 v[4:5], v[4:5], v[8:9]
	v_add_f64_e32 v[8:9], v[80:81], v[86:87]
	s_delay_alu instid0(VALU_DEP_2) | instskip(NEXT) | instid1(VALU_DEP_2)
	v_add_f64_e32 v[4:5], v[4:5], v[10:11]
	v_add_f64_e32 v[10:11], v[8:9], v[84:85]
	s_delay_alu instid0(VALU_DEP_2) | instskip(NEXT) | instid1(VALU_DEP_2)
	v_add_f64_e64 v[8:9], v[124:125], -v[4:5]
	v_add_f64_e64 v[10:11], v[126:127], -v[10:11]
	scratch_store_b128 off, v[8:11], off offset:112
	s_wait_xcnt 0x0
	v_cmpx_lt_u32_e32 6, v1
	s_cbranch_execz .LBB32_199
; %bb.198:
	scratch_load_b128 v[8:11], off, s38
	v_dual_mov_b32 v3, v2 :: v_dual_mov_b32 v4, v2
	v_mov_b32_e32 v5, v2
	scratch_store_b128 off, v[2:5], off offset:96
	s_wait_loadcnt 0x0
	ds_store_b128 v6, v[8:11]
.LBB32_199:
	s_wait_xcnt 0x0
	s_or_b32 exec_lo, exec_lo, s2
	s_wait_storecnt_dscnt 0x0
	s_barrier_signal -1
	s_barrier_wait -1
	s_clause 0x9
	scratch_load_b128 v[8:11], off, off offset:112
	scratch_load_b128 v[80:83], off, off offset:128
	scratch_load_b128 v[84:87], off, off offset:144
	scratch_load_b128 v[88:91], off, off offset:160
	scratch_load_b128 v[92:95], off, off offset:176
	scratch_load_b128 v[96:99], off, off offset:192
	scratch_load_b128 v[100:103], off, off offset:208
	scratch_load_b128 v[104:107], off, off offset:224
	scratch_load_b128 v[108:111], off, off offset:240
	scratch_load_b128 v[112:115], off, off offset:256
	ds_load_b128 v[116:119], v2 offset:640
	ds_load_b128 v[124:127], v2 offset:656
	s_clause 0x1
	scratch_load_b128 v[120:123], off, off offset:272
	scratch_load_b128 v[128:131], off, off offset:96
	s_mov_b32 s2, exec_lo
	s_wait_loadcnt_dscnt 0xb01
	v_mul_f64_e32 v[4:5], v[118:119], v[10:11]
	v_mul_f64_e32 v[140:141], v[116:117], v[10:11]
	scratch_load_b128 v[10:13], off, off offset:288
	s_wait_loadcnt_dscnt 0xb00
	v_mul_f64_e32 v[142:143], v[124:125], v[82:83]
	v_mul_f64_e32 v[82:83], v[126:127], v[82:83]
	v_fma_f64 v[4:5], v[116:117], v[8:9], -v[4:5]
	v_fmac_f64_e32 v[140:141], v[118:119], v[8:9]
	ds_load_b128 v[116:119], v2 offset:672
	ds_load_b128 v[132:135], v2 offset:688
	scratch_load_b128 v[136:139], off, off offset:304
	v_fmac_f64_e32 v[142:143], v[126:127], v[80:81]
	v_fma_f64 v[124:125], v[124:125], v[80:81], -v[82:83]
	scratch_load_b128 v[80:83], off, off offset:320
	s_wait_loadcnt_dscnt 0xc01
	v_mul_f64_e32 v[8:9], v[116:117], v[86:87]
	v_mul_f64_e32 v[86:87], v[118:119], v[86:87]
	v_add_f64_e32 v[4:5], 0, v[4:5]
	v_add_f64_e32 v[126:127], 0, v[140:141]
	s_wait_loadcnt_dscnt 0xb00
	v_mul_f64_e32 v[140:141], v[132:133], v[90:91]
	v_mul_f64_e32 v[90:91], v[134:135], v[90:91]
	v_fmac_f64_e32 v[8:9], v[118:119], v[84:85]
	v_fma_f64 v[144:145], v[116:117], v[84:85], -v[86:87]
	ds_load_b128 v[84:87], v2 offset:704
	ds_load_b128 v[116:119], v2 offset:720
	v_add_f64_e32 v[4:5], v[4:5], v[124:125]
	v_add_f64_e32 v[142:143], v[126:127], v[142:143]
	scratch_load_b128 v[124:127], off, off offset:336
	v_fmac_f64_e32 v[140:141], v[134:135], v[88:89]
	v_fma_f64 v[132:133], v[132:133], v[88:89], -v[90:91]
	scratch_load_b128 v[88:91], off, off offset:352
	s_wait_loadcnt_dscnt 0xc01
	v_mul_f64_e32 v[146:147], v[84:85], v[94:95]
	v_mul_f64_e32 v[94:95], v[86:87], v[94:95]
	v_add_f64_e32 v[4:5], v[4:5], v[144:145]
	v_add_f64_e32 v[8:9], v[142:143], v[8:9]
	s_wait_loadcnt_dscnt 0xb00
	v_mul_f64_e32 v[142:143], v[116:117], v[98:99]
	v_mul_f64_e32 v[98:99], v[118:119], v[98:99]
	v_fmac_f64_e32 v[146:147], v[86:87], v[92:93]
	v_fma_f64 v[144:145], v[84:85], v[92:93], -v[94:95]
	ds_load_b128 v[84:87], v2 offset:736
	ds_load_b128 v[92:95], v2 offset:752
	v_add_f64_e32 v[4:5], v[4:5], v[132:133]
	v_add_f64_e32 v[8:9], v[8:9], v[140:141]
	scratch_load_b128 v[132:135], off, off offset:368
	s_wait_loadcnt_dscnt 0xb01
	v_mul_f64_e32 v[140:141], v[84:85], v[102:103]
	v_mul_f64_e32 v[102:103], v[86:87], v[102:103]
	v_fmac_f64_e32 v[142:143], v[118:119], v[96:97]
	v_fma_f64 v[116:117], v[116:117], v[96:97], -v[98:99]
	scratch_load_b128 v[96:99], off, off offset:384
	v_add_f64_e32 v[4:5], v[4:5], v[144:145]
	v_add_f64_e32 v[8:9], v[8:9], v[146:147]
	s_wait_loadcnt_dscnt 0xb00
	v_mul_f64_e32 v[144:145], v[92:93], v[106:107]
	v_mul_f64_e32 v[106:107], v[94:95], v[106:107]
	v_fmac_f64_e32 v[140:141], v[86:87], v[100:101]
	v_fma_f64 v[146:147], v[84:85], v[100:101], -v[102:103]
	ds_load_b128 v[84:87], v2 offset:768
	ds_load_b128 v[100:103], v2 offset:784
	v_add_f64_e32 v[4:5], v[4:5], v[116:117]
	v_add_f64_e32 v[8:9], v[8:9], v[142:143]
	scratch_load_b128 v[116:119], off, off offset:400
	s_wait_loadcnt_dscnt 0xb01
	v_mul_f64_e32 v[142:143], v[84:85], v[110:111]
	v_mul_f64_e32 v[110:111], v[86:87], v[110:111]
	v_fmac_f64_e32 v[144:145], v[94:95], v[104:105]
	v_fma_f64 v[104:105], v[92:93], v[104:105], -v[106:107]
	scratch_load_b128 v[92:95], off, off offset:416
	v_add_f64_e32 v[4:5], v[4:5], v[146:147]
	v_add_f64_e32 v[8:9], v[8:9], v[140:141]
	s_wait_loadcnt_dscnt 0xb00
	v_mul_f64_e32 v[140:141], v[100:101], v[114:115]
	v_mul_f64_e32 v[114:115], v[102:103], v[114:115]
	v_fmac_f64_e32 v[142:143], v[86:87], v[108:109]
	v_fma_f64 v[146:147], v[84:85], v[108:109], -v[110:111]
	v_add_f64_e32 v[4:5], v[4:5], v[104:105]
	v_add_f64_e32 v[8:9], v[8:9], v[144:145]
	ds_load_b128 v[84:87], v2 offset:800
	ds_load_b128 v[104:107], v2 offset:816
	scratch_load_b128 v[108:111], off, off offset:432
	v_fmac_f64_e32 v[140:141], v[102:103], v[112:113]
	v_fma_f64 v[112:113], v[100:101], v[112:113], -v[114:115]
	scratch_load_b128 v[100:103], off, off offset:448
	s_wait_loadcnt_dscnt 0xc01
	v_mul_f64_e32 v[144:145], v[84:85], v[122:123]
	v_mul_f64_e32 v[122:123], v[86:87], v[122:123]
	v_add_f64_e32 v[4:5], v[4:5], v[146:147]
	v_add_f64_e32 v[8:9], v[8:9], v[142:143]
	s_wait_loadcnt_dscnt 0xa00
	v_mul_f64_e32 v[142:143], v[104:105], v[12:13]
	v_mul_f64_e32 v[12:13], v[106:107], v[12:13]
	v_fmac_f64_e32 v[144:145], v[86:87], v[120:121]
	v_fma_f64 v[146:147], v[84:85], v[120:121], -v[122:123]
	v_add_f64_e32 v[4:5], v[4:5], v[112:113]
	v_add_f64_e32 v[8:9], v[8:9], v[140:141]
	ds_load_b128 v[84:87], v2 offset:832
	ds_load_b128 v[112:115], v2 offset:848
	scratch_load_b128 v[120:123], off, off offset:464
	v_fmac_f64_e32 v[142:143], v[106:107], v[10:11]
	v_fma_f64 v[12:13], v[104:105], v[10:11], -v[12:13]
	s_wait_loadcnt_dscnt 0xa01
	v_mul_f64_e32 v[140:141], v[84:85], v[138:139]
	v_mul_f64_e32 v[138:139], v[86:87], v[138:139]
	v_add_f64_e32 v[4:5], v[4:5], v[146:147]
	v_add_f64_e32 v[104:105], v[8:9], v[144:145]
	scratch_load_b128 v[8:11], off, off offset:480
	s_wait_loadcnt_dscnt 0xa00
	v_mul_f64_e32 v[144:145], v[112:113], v[82:83]
	v_mul_f64_e32 v[146:147], v[114:115], v[82:83]
	v_fmac_f64_e32 v[140:141], v[86:87], v[136:137]
	v_fma_f64 v[86:87], v[84:85], v[136:137], -v[138:139]
	v_add_f64_e32 v[4:5], v[4:5], v[12:13]
	v_add_f64_e32 v[12:13], v[104:105], v[142:143]
	ds_load_b128 v[82:85], v2 offset:864
	ds_load_b128 v[104:107], v2 offset:880
	scratch_load_b128 v[136:139], off, off offset:496
	v_fmac_f64_e32 v[144:145], v[114:115], v[80:81]
	v_fma_f64 v[80:81], v[112:113], v[80:81], -v[146:147]
	scratch_load_b128 v[112:115], off, off offset:512
	s_wait_loadcnt_dscnt 0xb01
	v_mul_f64_e32 v[142:143], v[82:83], v[126:127]
	v_mul_f64_e32 v[126:127], v[84:85], v[126:127]
	v_add_f64_e32 v[4:5], v[4:5], v[86:87]
	v_add_f64_e32 v[12:13], v[12:13], v[140:141]
	s_wait_loadcnt_dscnt 0xa00
	v_mul_f64_e32 v[140:141], v[104:105], v[90:91]
	v_mul_f64_e32 v[90:91], v[106:107], v[90:91]
	v_fmac_f64_e32 v[142:143], v[84:85], v[124:125]
	v_fma_f64 v[124:125], v[82:83], v[124:125], -v[126:127]
	v_add_f64_e32 v[4:5], v[4:5], v[80:81]
	v_add_f64_e32 v[12:13], v[12:13], v[144:145]
	ds_load_b128 v[80:83], v2 offset:896
	ds_load_b128 v[84:87], v2 offset:912
	v_fmac_f64_e32 v[140:141], v[106:107], v[88:89]
	v_fma_f64 v[88:89], v[104:105], v[88:89], -v[90:91]
	s_wait_loadcnt_dscnt 0x901
	v_mul_f64_e32 v[126:127], v[80:81], v[134:135]
	v_mul_f64_e32 v[134:135], v[82:83], v[134:135]
	s_wait_loadcnt_dscnt 0x800
	v_mul_f64_e32 v[104:105], v[84:85], v[98:99]
	v_mul_f64_e32 v[98:99], v[86:87], v[98:99]
	v_add_f64_e32 v[4:5], v[4:5], v[124:125]
	v_add_f64_e32 v[12:13], v[12:13], v[142:143]
	v_fmac_f64_e32 v[126:127], v[82:83], v[132:133]
	v_fma_f64 v[106:107], v[80:81], v[132:133], -v[134:135]
	v_fmac_f64_e32 v[104:105], v[86:87], v[96:97]
	v_fma_f64 v[84:85], v[84:85], v[96:97], -v[98:99]
	v_add_f64_e32 v[4:5], v[4:5], v[88:89]
	v_add_f64_e32 v[12:13], v[12:13], v[140:141]
	ds_load_b128 v[80:83], v2 offset:928
	ds_load_b128 v[88:91], v2 offset:944
	s_wait_loadcnt_dscnt 0x701
	v_mul_f64_e32 v[124:125], v[80:81], v[118:119]
	v_mul_f64_e32 v[118:119], v[82:83], v[118:119]
	s_wait_loadcnt_dscnt 0x600
	v_mul_f64_e32 v[96:97], v[88:89], v[94:95]
	v_mul_f64_e32 v[94:95], v[90:91], v[94:95]
	v_add_f64_e32 v[4:5], v[4:5], v[106:107]
	v_add_f64_e32 v[12:13], v[12:13], v[126:127]
	v_fmac_f64_e32 v[124:125], v[82:83], v[116:117]
	v_fma_f64 v[98:99], v[80:81], v[116:117], -v[118:119]
	v_fmac_f64_e32 v[96:97], v[90:91], v[92:93]
	v_fma_f64 v[88:89], v[88:89], v[92:93], -v[94:95]
	v_add_f64_e32 v[4:5], v[4:5], v[84:85]
	v_add_f64_e32 v[12:13], v[12:13], v[104:105]
	ds_load_b128 v[80:83], v2 offset:960
	ds_load_b128 v[84:87], v2 offset:976
	;; [unrolled: 16-line block ×3, first 2 shown]
	s_wait_loadcnt_dscnt 0x301
	v_mul_f64_e32 v[96:97], v[80:81], v[122:123]
	v_mul_f64_e32 v[102:103], v[82:83], v[122:123]
	v_add_f64_e32 v[4:5], v[4:5], v[98:99]
	v_add_f64_e32 v[12:13], v[12:13], v[104:105]
	s_wait_loadcnt_dscnt 0x200
	v_mul_f64_e32 v[86:87], v[88:89], v[10:11]
	v_mul_f64_e32 v[94:95], v[90:91], v[10:11]
	v_fmac_f64_e32 v[96:97], v[82:83], v[120:121]
	v_fma_f64 v[80:81], v[80:81], v[120:121], -v[102:103]
	v_add_f64_e32 v[82:83], v[4:5], v[84:85]
	v_add_f64_e32 v[84:85], v[12:13], v[92:93]
	ds_load_b128 v[10:13], v2 offset:1024
	ds_load_b128 v[2:5], v2 offset:1040
	v_fmac_f64_e32 v[86:87], v[90:91], v[8:9]
	v_fma_f64 v[8:9], v[88:89], v[8:9], -v[94:95]
	s_wait_loadcnt_dscnt 0x101
	v_mul_f64_e32 v[92:93], v[10:11], v[138:139]
	v_mul_f64_e32 v[98:99], v[12:13], v[138:139]
	s_wait_loadcnt_dscnt 0x0
	v_mul_f64_e32 v[88:89], v[4:5], v[114:115]
	v_add_f64_e32 v[80:81], v[82:83], v[80:81]
	v_add_f64_e32 v[82:83], v[84:85], v[96:97]
	v_mul_f64_e32 v[84:85], v[2:3], v[114:115]
	v_fmac_f64_e32 v[92:93], v[12:13], v[136:137]
	v_fma_f64 v[10:11], v[10:11], v[136:137], -v[98:99]
	v_fma_f64 v[2:3], v[2:3], v[112:113], -v[88:89]
	v_add_f64_e32 v[8:9], v[80:81], v[8:9]
	v_add_f64_e32 v[12:13], v[82:83], v[86:87]
	v_fmac_f64_e32 v[84:85], v[4:5], v[112:113]
	s_delay_alu instid0(VALU_DEP_3) | instskip(NEXT) | instid1(VALU_DEP_3)
	v_add_f64_e32 v[4:5], v[8:9], v[10:11]
	v_add_f64_e32 v[8:9], v[12:13], v[92:93]
	s_delay_alu instid0(VALU_DEP_2) | instskip(NEXT) | instid1(VALU_DEP_2)
	v_add_f64_e32 v[2:3], v[4:5], v[2:3]
	v_add_f64_e32 v[4:5], v[8:9], v[84:85]
	s_delay_alu instid0(VALU_DEP_2) | instskip(NEXT) | instid1(VALU_DEP_2)
	v_add_f64_e64 v[2:3], v[128:129], -v[2:3]
	v_add_f64_e64 v[4:5], v[130:131], -v[4:5]
	scratch_store_b128 off, v[2:5], off offset:96
	s_wait_xcnt 0x0
	v_cmpx_lt_u32_e32 5, v1
	s_cbranch_execz .LBB32_201
; %bb.200:
	scratch_load_b128 v[2:5], off, s36
	v_mov_b32_e32 v8, 0
	s_delay_alu instid0(VALU_DEP_1)
	v_dual_mov_b32 v9, v8 :: v_dual_mov_b32 v10, v8
	v_mov_b32_e32 v11, v8
	scratch_store_b128 off, v[8:11], off offset:80
	s_wait_loadcnt 0x0
	ds_store_b128 v6, v[2:5]
.LBB32_201:
	s_wait_xcnt 0x0
	s_or_b32 exec_lo, exec_lo, s2
	s_wait_storecnt_dscnt 0x0
	s_barrier_signal -1
	s_barrier_wait -1
	s_clause 0x9
	scratch_load_b128 v[8:11], off, off offset:96
	scratch_load_b128 v[80:83], off, off offset:112
	;; [unrolled: 1-line block ×10, first 2 shown]
	v_mov_b32_e32 v2, 0
	s_mov_b32 s2, exec_lo
	ds_load_b128 v[116:119], v2 offset:624
	s_clause 0x2
	scratch_load_b128 v[120:123], off, off offset:256
	scratch_load_b128 v[124:127], off, off offset:80
	;; [unrolled: 1-line block ×3, first 2 shown]
	s_wait_loadcnt_dscnt 0xc00
	v_mul_f64_e32 v[4:5], v[118:119], v[10:11]
	v_mul_f64_e32 v[140:141], v[116:117], v[10:11]
	ds_load_b128 v[128:131], v2 offset:640
	scratch_load_b128 v[10:13], off, off offset:272
	ds_load_b128 v[136:139], v2 offset:672
	v_fma_f64 v[4:5], v[116:117], v[8:9], -v[4:5]
	v_fmac_f64_e32 v[140:141], v[118:119], v[8:9]
	ds_load_b128 v[116:119], v2 offset:656
	s_wait_loadcnt_dscnt 0xc02
	v_mul_f64_e32 v[142:143], v[128:129], v[82:83]
	v_mul_f64_e32 v[82:83], v[130:131], v[82:83]
	s_wait_loadcnt_dscnt 0xb00
	v_mul_f64_e32 v[8:9], v[116:117], v[86:87]
	v_mul_f64_e32 v[86:87], v[118:119], v[86:87]
	v_add_f64_e32 v[4:5], 0, v[4:5]
	v_fmac_f64_e32 v[142:143], v[130:131], v[80:81]
	v_fma_f64 v[128:129], v[128:129], v[80:81], -v[82:83]
	v_add_f64_e32 v[130:131], 0, v[140:141]
	scratch_load_b128 v[80:83], off, off offset:304
	v_fmac_f64_e32 v[8:9], v[118:119], v[84:85]
	v_fma_f64 v[144:145], v[116:117], v[84:85], -v[86:87]
	ds_load_b128 v[84:87], v2 offset:688
	s_wait_loadcnt 0xb
	v_mul_f64_e32 v[140:141], v[136:137], v[90:91]
	v_mul_f64_e32 v[90:91], v[138:139], v[90:91]
	scratch_load_b128 v[116:119], off, off offset:320
	v_add_f64_e32 v[4:5], v[4:5], v[128:129]
	v_add_f64_e32 v[142:143], v[130:131], v[142:143]
	ds_load_b128 v[128:131], v2 offset:704
	s_wait_loadcnt_dscnt 0xb01
	v_mul_f64_e32 v[146:147], v[84:85], v[94:95]
	v_mul_f64_e32 v[94:95], v[86:87], v[94:95]
	v_fmac_f64_e32 v[140:141], v[138:139], v[88:89]
	v_fma_f64 v[136:137], v[136:137], v[88:89], -v[90:91]
	scratch_load_b128 v[88:91], off, off offset:336
	v_add_f64_e32 v[4:5], v[4:5], v[144:145]
	v_add_f64_e32 v[8:9], v[142:143], v[8:9]
	v_fmac_f64_e32 v[146:147], v[86:87], v[92:93]
	v_fma_f64 v[144:145], v[84:85], v[92:93], -v[94:95]
	ds_load_b128 v[84:87], v2 offset:720
	s_wait_loadcnt_dscnt 0xb01
	v_mul_f64_e32 v[142:143], v[128:129], v[98:99]
	v_mul_f64_e32 v[98:99], v[130:131], v[98:99]
	scratch_load_b128 v[92:95], off, off offset:352
	v_add_f64_e32 v[4:5], v[4:5], v[136:137]
	v_add_f64_e32 v[8:9], v[8:9], v[140:141]
	s_wait_loadcnt_dscnt 0xb00
	v_mul_f64_e32 v[140:141], v[84:85], v[102:103]
	v_mul_f64_e32 v[102:103], v[86:87], v[102:103]
	ds_load_b128 v[136:139], v2 offset:736
	v_fmac_f64_e32 v[142:143], v[130:131], v[96:97]
	v_fma_f64 v[128:129], v[128:129], v[96:97], -v[98:99]
	scratch_load_b128 v[96:99], off, off offset:368
	v_add_f64_e32 v[4:5], v[4:5], v[144:145]
	v_add_f64_e32 v[8:9], v[8:9], v[146:147]
	v_fmac_f64_e32 v[140:141], v[86:87], v[100:101]
	v_fma_f64 v[146:147], v[84:85], v[100:101], -v[102:103]
	ds_load_b128 v[84:87], v2 offset:752
	s_wait_loadcnt_dscnt 0xb01
	v_mul_f64_e32 v[144:145], v[136:137], v[106:107]
	v_mul_f64_e32 v[106:107], v[138:139], v[106:107]
	scratch_load_b128 v[100:103], off, off offset:384
	v_add_f64_e32 v[4:5], v[4:5], v[128:129]
	v_add_f64_e32 v[8:9], v[8:9], v[142:143]
	s_wait_loadcnt_dscnt 0xb00
	v_mul_f64_e32 v[142:143], v[84:85], v[110:111]
	v_mul_f64_e32 v[110:111], v[86:87], v[110:111]
	ds_load_b128 v[128:131], v2 offset:768
	;; [unrolled: 18-line block ×3, first 2 shown]
	v_fmac_f64_e32 v[140:141], v[130:131], v[112:113]
	v_fma_f64 v[128:129], v[128:129], v[112:113], -v[114:115]
	scratch_load_b128 v[112:115], off, off offset:432
	v_add_f64_e32 v[4:5], v[4:5], v[146:147]
	v_add_f64_e32 v[8:9], v[8:9], v[142:143]
	v_fmac_f64_e32 v[144:145], v[86:87], v[120:121]
	v_fma_f64 v[146:147], v[84:85], v[120:121], -v[122:123]
	ds_load_b128 v[84:87], v2 offset:816
	s_wait_loadcnt_dscnt 0x901
	v_mul_f64_e32 v[142:143], v[136:137], v[12:13]
	v_mul_f64_e32 v[12:13], v[138:139], v[12:13]
	scratch_load_b128 v[120:123], off, off offset:448
	v_add_f64_e32 v[4:5], v[4:5], v[128:129]
	v_add_f64_e32 v[8:9], v[8:9], v[140:141]
	s_wait_dscnt 0x0
	v_mul_f64_e32 v[140:141], v[84:85], v[134:135]
	v_mul_f64_e32 v[134:135], v[86:87], v[134:135]
	ds_load_b128 v[128:131], v2 offset:832
	v_fmac_f64_e32 v[142:143], v[138:139], v[10:11]
	v_fma_f64 v[12:13], v[136:137], v[10:11], -v[12:13]
	v_add_f64_e32 v[4:5], v[4:5], v[146:147]
	v_add_f64_e32 v[136:137], v[8:9], v[144:145]
	scratch_load_b128 v[8:11], off, off offset:464
	v_fmac_f64_e32 v[140:141], v[86:87], v[132:133]
	v_fma_f64 v[86:87], v[84:85], v[132:133], -v[134:135]
	scratch_load_b128 v[132:135], off, off offset:480
	v_add_f64_e32 v[4:5], v[4:5], v[12:13]
	v_add_f64_e32 v[12:13], v[136:137], v[142:143]
	ds_load_b128 v[136:139], v2 offset:864
	s_wait_loadcnt_dscnt 0xb01
	v_mul_f64_e32 v[144:145], v[128:129], v[82:83]
	v_mul_f64_e32 v[146:147], v[130:131], v[82:83]
	ds_load_b128 v[82:85], v2 offset:848
	s_wait_loadcnt_dscnt 0xa00
	v_mul_f64_e32 v[142:143], v[82:83], v[118:119]
	v_mul_f64_e32 v[118:119], v[84:85], v[118:119]
	v_add_f64_e32 v[4:5], v[4:5], v[86:87]
	v_add_f64_e32 v[12:13], v[12:13], v[140:141]
	s_wait_loadcnt 0x9
	v_mul_f64_e32 v[140:141], v[136:137], v[90:91]
	v_fmac_f64_e32 v[144:145], v[130:131], v[80:81]
	v_fma_f64 v[80:81], v[128:129], v[80:81], -v[146:147]
	scratch_load_b128 v[128:131], off, off offset:496
	v_mul_f64_e32 v[90:91], v[138:139], v[90:91]
	v_fmac_f64_e32 v[142:143], v[84:85], v[116:117]
	v_fma_f64 v[146:147], v[82:83], v[116:117], -v[118:119]
	scratch_load_b128 v[84:87], off, off offset:512
	ds_load_b128 v[116:119], v2 offset:896
	v_fmac_f64_e32 v[140:141], v[138:139], v[88:89]
	v_add_f64_e32 v[12:13], v[12:13], v[144:145]
	v_add_f64_e32 v[4:5], v[4:5], v[80:81]
	ds_load_b128 v[80:83], v2 offset:880
	v_fma_f64 v[88:89], v[136:137], v[88:89], -v[90:91]
	s_wait_loadcnt_dscnt 0x901
	v_mul_f64_e32 v[136:137], v[116:117], v[98:99]
	v_mul_f64_e32 v[98:99], v[118:119], v[98:99]
	s_wait_dscnt 0x0
	v_mul_f64_e32 v[144:145], v[80:81], v[94:95]
	v_mul_f64_e32 v[94:95], v[82:83], v[94:95]
	v_add_f64_e32 v[12:13], v[12:13], v[142:143]
	v_add_f64_e32 v[4:5], v[4:5], v[146:147]
	v_fmac_f64_e32 v[136:137], v[118:119], v[96:97]
	v_fma_f64 v[96:97], v[116:117], v[96:97], -v[98:99]
	v_fmac_f64_e32 v[144:145], v[82:83], v[92:93]
	v_fma_f64 v[92:93], v[80:81], v[92:93], -v[94:95]
	v_add_f64_e32 v[12:13], v[12:13], v[140:141]
	v_add_f64_e32 v[4:5], v[4:5], v[88:89]
	ds_load_b128 v[80:83], v2 offset:912
	ds_load_b128 v[88:91], v2 offset:928
	s_wait_loadcnt_dscnt 0x801
	v_mul_f64_e32 v[138:139], v[80:81], v[102:103]
	v_mul_f64_e32 v[94:95], v[82:83], v[102:103]
	s_wait_loadcnt_dscnt 0x700
	v_mul_f64_e32 v[98:99], v[88:89], v[106:107]
	v_mul_f64_e32 v[102:103], v[90:91], v[106:107]
	v_add_f64_e32 v[12:13], v[12:13], v[144:145]
	v_add_f64_e32 v[4:5], v[4:5], v[92:93]
	v_fmac_f64_e32 v[138:139], v[82:83], v[100:101]
	v_fma_f64 v[100:101], v[80:81], v[100:101], -v[94:95]
	ds_load_b128 v[80:83], v2 offset:944
	ds_load_b128 v[92:95], v2 offset:960
	v_fmac_f64_e32 v[98:99], v[90:91], v[104:105]
	v_fma_f64 v[88:89], v[88:89], v[104:105], -v[102:103]
	v_add_f64_e32 v[12:13], v[12:13], v[136:137]
	v_add_f64_e32 v[4:5], v[4:5], v[96:97]
	s_wait_loadcnt_dscnt 0x601
	v_mul_f64_e32 v[96:97], v[80:81], v[110:111]
	v_mul_f64_e32 v[106:107], v[82:83], v[110:111]
	s_wait_loadcnt_dscnt 0x500
	v_mul_f64_e32 v[102:103], v[94:95], v[114:115]
	v_add_f64_e32 v[12:13], v[12:13], v[138:139]
	v_add_f64_e32 v[4:5], v[4:5], v[100:101]
	v_mul_f64_e32 v[100:101], v[92:93], v[114:115]
	v_fmac_f64_e32 v[96:97], v[82:83], v[108:109]
	v_fma_f64 v[104:105], v[80:81], v[108:109], -v[106:107]
	v_fma_f64 v[92:93], v[92:93], v[112:113], -v[102:103]
	v_add_f64_e32 v[12:13], v[12:13], v[98:99]
	v_add_f64_e32 v[4:5], v[4:5], v[88:89]
	ds_load_b128 v[80:83], v2 offset:976
	ds_load_b128 v[88:91], v2 offset:992
	v_fmac_f64_e32 v[100:101], v[94:95], v[112:113]
	s_wait_loadcnt_dscnt 0x401
	v_mul_f64_e32 v[98:99], v[80:81], v[122:123]
	v_mul_f64_e32 v[106:107], v[82:83], v[122:123]
	s_wait_loadcnt_dscnt 0x300
	v_mul_f64_e32 v[94:95], v[88:89], v[10:11]
	v_add_f64_e32 v[12:13], v[12:13], v[96:97]
	v_add_f64_e32 v[4:5], v[4:5], v[104:105]
	v_mul_f64_e32 v[96:97], v[90:91], v[10:11]
	v_fmac_f64_e32 v[98:99], v[82:83], v[120:121]
	v_fma_f64 v[102:103], v[80:81], v[120:121], -v[106:107]
	v_fmac_f64_e32 v[94:95], v[90:91], v[8:9]
	v_add_f64_e32 v[4:5], v[4:5], v[92:93]
	v_add_f64_e32 v[92:93], v[12:13], v[100:101]
	ds_load_b128 v[10:13], v2 offset:1008
	ds_load_b128 v[80:83], v2 offset:1024
	v_fma_f64 v[8:9], v[88:89], v[8:9], -v[96:97]
	s_wait_loadcnt_dscnt 0x201
	v_mul_f64_e32 v[100:101], v[10:11], v[134:135]
	v_mul_f64_e32 v[104:105], v[12:13], v[134:135]
	v_add_f64_e32 v[4:5], v[4:5], v[102:103]
	v_add_f64_e32 v[88:89], v[92:93], v[98:99]
	s_wait_loadcnt_dscnt 0x100
	v_mul_f64_e32 v[90:91], v[80:81], v[130:131]
	v_mul_f64_e32 v[92:93], v[82:83], v[130:131]
	v_fmac_f64_e32 v[100:101], v[12:13], v[132:133]
	v_fma_f64 v[12:13], v[10:11], v[132:133], -v[104:105]
	v_add_f64_e32 v[4:5], v[4:5], v[8:9]
	v_add_f64_e32 v[88:89], v[88:89], v[94:95]
	ds_load_b128 v[8:11], v2 offset:1040
	v_fmac_f64_e32 v[90:91], v[82:83], v[128:129]
	v_fma_f64 v[80:81], v[80:81], v[128:129], -v[92:93]
	s_wait_loadcnt_dscnt 0x0
	v_mul_f64_e32 v[94:95], v[8:9], v[86:87]
	v_mul_f64_e32 v[86:87], v[10:11], v[86:87]
	v_add_f64_e32 v[4:5], v[4:5], v[12:13]
	v_add_f64_e32 v[12:13], v[88:89], v[100:101]
	s_delay_alu instid0(VALU_DEP_4) | instskip(NEXT) | instid1(VALU_DEP_4)
	v_fmac_f64_e32 v[94:95], v[10:11], v[84:85]
	v_fma_f64 v[8:9], v[8:9], v[84:85], -v[86:87]
	s_delay_alu instid0(VALU_DEP_4) | instskip(NEXT) | instid1(VALU_DEP_4)
	v_add_f64_e32 v[4:5], v[4:5], v[80:81]
	v_add_f64_e32 v[10:11], v[12:13], v[90:91]
	s_delay_alu instid0(VALU_DEP_2) | instskip(NEXT) | instid1(VALU_DEP_2)
	v_add_f64_e32 v[4:5], v[4:5], v[8:9]
	v_add_f64_e32 v[10:11], v[10:11], v[94:95]
	s_delay_alu instid0(VALU_DEP_2) | instskip(NEXT) | instid1(VALU_DEP_2)
	v_add_f64_e64 v[8:9], v[124:125], -v[4:5]
	v_add_f64_e64 v[10:11], v[126:127], -v[10:11]
	scratch_store_b128 off, v[8:11], off offset:80
	s_wait_xcnt 0x0
	v_cmpx_lt_u32_e32 4, v1
	s_cbranch_execz .LBB32_203
; %bb.202:
	scratch_load_b128 v[8:11], off, s26
	v_dual_mov_b32 v3, v2 :: v_dual_mov_b32 v4, v2
	v_mov_b32_e32 v5, v2
	scratch_store_b128 off, v[2:5], off offset:64
	s_wait_loadcnt 0x0
	ds_store_b128 v6, v[8:11]
.LBB32_203:
	s_wait_xcnt 0x0
	s_or_b32 exec_lo, exec_lo, s2
	s_wait_storecnt_dscnt 0x0
	s_barrier_signal -1
	s_barrier_wait -1
	s_clause 0x9
	scratch_load_b128 v[8:11], off, off offset:80
	scratch_load_b128 v[80:83], off, off offset:96
	;; [unrolled: 1-line block ×10, first 2 shown]
	ds_load_b128 v[116:119], v2 offset:608
	ds_load_b128 v[124:127], v2 offset:624
	s_clause 0x1
	scratch_load_b128 v[120:123], off, off offset:240
	scratch_load_b128 v[128:131], off, off offset:64
	s_mov_b32 s2, exec_lo
	s_wait_loadcnt_dscnt 0xb01
	v_mul_f64_e32 v[4:5], v[118:119], v[10:11]
	v_mul_f64_e32 v[140:141], v[116:117], v[10:11]
	scratch_load_b128 v[10:13], off, off offset:256
	s_wait_loadcnt_dscnt 0xb00
	v_mul_f64_e32 v[142:143], v[124:125], v[82:83]
	v_mul_f64_e32 v[82:83], v[126:127], v[82:83]
	v_fma_f64 v[4:5], v[116:117], v[8:9], -v[4:5]
	v_fmac_f64_e32 v[140:141], v[118:119], v[8:9]
	ds_load_b128 v[116:119], v2 offset:640
	ds_load_b128 v[132:135], v2 offset:656
	scratch_load_b128 v[136:139], off, off offset:272
	v_fmac_f64_e32 v[142:143], v[126:127], v[80:81]
	v_fma_f64 v[124:125], v[124:125], v[80:81], -v[82:83]
	scratch_load_b128 v[80:83], off, off offset:288
	s_wait_loadcnt_dscnt 0xc01
	v_mul_f64_e32 v[8:9], v[116:117], v[86:87]
	v_mul_f64_e32 v[86:87], v[118:119], v[86:87]
	v_add_f64_e32 v[4:5], 0, v[4:5]
	v_add_f64_e32 v[126:127], 0, v[140:141]
	s_wait_loadcnt_dscnt 0xb00
	v_mul_f64_e32 v[140:141], v[132:133], v[90:91]
	v_mul_f64_e32 v[90:91], v[134:135], v[90:91]
	v_fmac_f64_e32 v[8:9], v[118:119], v[84:85]
	v_fma_f64 v[144:145], v[116:117], v[84:85], -v[86:87]
	ds_load_b128 v[84:87], v2 offset:672
	ds_load_b128 v[116:119], v2 offset:688
	v_add_f64_e32 v[4:5], v[4:5], v[124:125]
	v_add_f64_e32 v[142:143], v[126:127], v[142:143]
	scratch_load_b128 v[124:127], off, off offset:304
	v_fmac_f64_e32 v[140:141], v[134:135], v[88:89]
	v_fma_f64 v[132:133], v[132:133], v[88:89], -v[90:91]
	scratch_load_b128 v[88:91], off, off offset:320
	s_wait_loadcnt_dscnt 0xc01
	v_mul_f64_e32 v[146:147], v[84:85], v[94:95]
	v_mul_f64_e32 v[94:95], v[86:87], v[94:95]
	v_add_f64_e32 v[4:5], v[4:5], v[144:145]
	v_add_f64_e32 v[8:9], v[142:143], v[8:9]
	s_wait_loadcnt_dscnt 0xb00
	v_mul_f64_e32 v[142:143], v[116:117], v[98:99]
	v_mul_f64_e32 v[98:99], v[118:119], v[98:99]
	v_fmac_f64_e32 v[146:147], v[86:87], v[92:93]
	v_fma_f64 v[144:145], v[84:85], v[92:93], -v[94:95]
	ds_load_b128 v[84:87], v2 offset:704
	ds_load_b128 v[92:95], v2 offset:720
	v_add_f64_e32 v[4:5], v[4:5], v[132:133]
	v_add_f64_e32 v[8:9], v[8:9], v[140:141]
	scratch_load_b128 v[132:135], off, off offset:336
	s_wait_loadcnt_dscnt 0xb01
	v_mul_f64_e32 v[140:141], v[84:85], v[102:103]
	v_mul_f64_e32 v[102:103], v[86:87], v[102:103]
	v_fmac_f64_e32 v[142:143], v[118:119], v[96:97]
	v_fma_f64 v[116:117], v[116:117], v[96:97], -v[98:99]
	scratch_load_b128 v[96:99], off, off offset:352
	v_add_f64_e32 v[4:5], v[4:5], v[144:145]
	v_add_f64_e32 v[8:9], v[8:9], v[146:147]
	s_wait_loadcnt_dscnt 0xb00
	v_mul_f64_e32 v[144:145], v[92:93], v[106:107]
	v_mul_f64_e32 v[106:107], v[94:95], v[106:107]
	v_fmac_f64_e32 v[140:141], v[86:87], v[100:101]
	v_fma_f64 v[146:147], v[84:85], v[100:101], -v[102:103]
	ds_load_b128 v[84:87], v2 offset:736
	ds_load_b128 v[100:103], v2 offset:752
	v_add_f64_e32 v[4:5], v[4:5], v[116:117]
	v_add_f64_e32 v[8:9], v[8:9], v[142:143]
	scratch_load_b128 v[116:119], off, off offset:368
	s_wait_loadcnt_dscnt 0xb01
	v_mul_f64_e32 v[142:143], v[84:85], v[110:111]
	v_mul_f64_e32 v[110:111], v[86:87], v[110:111]
	v_fmac_f64_e32 v[144:145], v[94:95], v[104:105]
	v_fma_f64 v[104:105], v[92:93], v[104:105], -v[106:107]
	scratch_load_b128 v[92:95], off, off offset:384
	v_add_f64_e32 v[4:5], v[4:5], v[146:147]
	v_add_f64_e32 v[8:9], v[8:9], v[140:141]
	s_wait_loadcnt_dscnt 0xb00
	v_mul_f64_e32 v[140:141], v[100:101], v[114:115]
	v_mul_f64_e32 v[114:115], v[102:103], v[114:115]
	v_fmac_f64_e32 v[142:143], v[86:87], v[108:109]
	v_fma_f64 v[146:147], v[84:85], v[108:109], -v[110:111]
	v_add_f64_e32 v[4:5], v[4:5], v[104:105]
	v_add_f64_e32 v[8:9], v[8:9], v[144:145]
	ds_load_b128 v[84:87], v2 offset:768
	ds_load_b128 v[104:107], v2 offset:784
	scratch_load_b128 v[108:111], off, off offset:400
	v_fmac_f64_e32 v[140:141], v[102:103], v[112:113]
	v_fma_f64 v[112:113], v[100:101], v[112:113], -v[114:115]
	scratch_load_b128 v[100:103], off, off offset:416
	s_wait_loadcnt_dscnt 0xc01
	v_mul_f64_e32 v[144:145], v[84:85], v[122:123]
	v_mul_f64_e32 v[122:123], v[86:87], v[122:123]
	v_add_f64_e32 v[4:5], v[4:5], v[146:147]
	v_add_f64_e32 v[8:9], v[8:9], v[142:143]
	s_wait_loadcnt_dscnt 0xa00
	v_mul_f64_e32 v[142:143], v[104:105], v[12:13]
	v_mul_f64_e32 v[12:13], v[106:107], v[12:13]
	v_fmac_f64_e32 v[144:145], v[86:87], v[120:121]
	v_fma_f64 v[146:147], v[84:85], v[120:121], -v[122:123]
	v_add_f64_e32 v[4:5], v[4:5], v[112:113]
	v_add_f64_e32 v[8:9], v[8:9], v[140:141]
	ds_load_b128 v[84:87], v2 offset:800
	ds_load_b128 v[112:115], v2 offset:816
	scratch_load_b128 v[120:123], off, off offset:432
	v_fmac_f64_e32 v[142:143], v[106:107], v[10:11]
	v_fma_f64 v[12:13], v[104:105], v[10:11], -v[12:13]
	s_wait_loadcnt_dscnt 0xa01
	v_mul_f64_e32 v[140:141], v[84:85], v[138:139]
	v_mul_f64_e32 v[138:139], v[86:87], v[138:139]
	v_add_f64_e32 v[4:5], v[4:5], v[146:147]
	v_add_f64_e32 v[104:105], v[8:9], v[144:145]
	scratch_load_b128 v[8:11], off, off offset:448
	s_wait_loadcnt_dscnt 0xa00
	v_mul_f64_e32 v[144:145], v[112:113], v[82:83]
	v_mul_f64_e32 v[146:147], v[114:115], v[82:83]
	v_fmac_f64_e32 v[140:141], v[86:87], v[136:137]
	v_fma_f64 v[86:87], v[84:85], v[136:137], -v[138:139]
	v_add_f64_e32 v[4:5], v[4:5], v[12:13]
	v_add_f64_e32 v[12:13], v[104:105], v[142:143]
	ds_load_b128 v[82:85], v2 offset:832
	ds_load_b128 v[104:107], v2 offset:848
	scratch_load_b128 v[136:139], off, off offset:464
	v_fmac_f64_e32 v[144:145], v[114:115], v[80:81]
	v_fma_f64 v[80:81], v[112:113], v[80:81], -v[146:147]
	scratch_load_b128 v[112:115], off, off offset:480
	s_wait_loadcnt_dscnt 0xb01
	v_mul_f64_e32 v[142:143], v[82:83], v[126:127]
	v_mul_f64_e32 v[126:127], v[84:85], v[126:127]
	v_add_f64_e32 v[4:5], v[4:5], v[86:87]
	v_add_f64_e32 v[12:13], v[12:13], v[140:141]
	s_wait_loadcnt_dscnt 0xa00
	v_mul_f64_e32 v[140:141], v[104:105], v[90:91]
	v_mul_f64_e32 v[90:91], v[106:107], v[90:91]
	v_fmac_f64_e32 v[142:143], v[84:85], v[124:125]
	v_fma_f64 v[146:147], v[82:83], v[124:125], -v[126:127]
	v_add_f64_e32 v[4:5], v[4:5], v[80:81]
	v_add_f64_e32 v[12:13], v[12:13], v[144:145]
	ds_load_b128 v[80:83], v2 offset:864
	ds_load_b128 v[84:87], v2 offset:880
	scratch_load_b128 v[124:127], off, off offset:496
	v_fmac_f64_e32 v[140:141], v[106:107], v[88:89]
	v_fma_f64 v[104:105], v[104:105], v[88:89], -v[90:91]
	scratch_load_b128 v[88:91], off, off offset:512
	s_wait_loadcnt_dscnt 0xb01
	v_mul_f64_e32 v[144:145], v[80:81], v[134:135]
	v_mul_f64_e32 v[134:135], v[82:83], v[134:135]
	v_add_f64_e32 v[4:5], v[4:5], v[146:147]
	v_add_f64_e32 v[12:13], v[12:13], v[142:143]
	s_wait_loadcnt_dscnt 0xa00
	v_mul_f64_e32 v[142:143], v[84:85], v[98:99]
	v_mul_f64_e32 v[98:99], v[86:87], v[98:99]
	v_fmac_f64_e32 v[144:145], v[82:83], v[132:133]
	v_fma_f64 v[132:133], v[80:81], v[132:133], -v[134:135]
	v_add_f64_e32 v[4:5], v[4:5], v[104:105]
	v_add_f64_e32 v[12:13], v[12:13], v[140:141]
	ds_load_b128 v[80:83], v2 offset:896
	ds_load_b128 v[104:107], v2 offset:912
	v_fmac_f64_e32 v[142:143], v[86:87], v[96:97]
	v_fma_f64 v[84:85], v[84:85], v[96:97], -v[98:99]
	s_wait_loadcnt_dscnt 0x901
	v_mul_f64_e32 v[134:135], v[80:81], v[118:119]
	v_mul_f64_e32 v[118:119], v[82:83], v[118:119]
	s_wait_loadcnt_dscnt 0x800
	v_mul_f64_e32 v[96:97], v[104:105], v[94:95]
	v_mul_f64_e32 v[94:95], v[106:107], v[94:95]
	v_add_f64_e32 v[4:5], v[4:5], v[132:133]
	v_add_f64_e32 v[12:13], v[12:13], v[144:145]
	v_fmac_f64_e32 v[134:135], v[82:83], v[116:117]
	v_fma_f64 v[98:99], v[80:81], v[116:117], -v[118:119]
	v_fmac_f64_e32 v[96:97], v[106:107], v[92:93]
	v_fma_f64 v[92:93], v[104:105], v[92:93], -v[94:95]
	v_add_f64_e32 v[4:5], v[4:5], v[84:85]
	v_add_f64_e32 v[12:13], v[12:13], v[142:143]
	ds_load_b128 v[80:83], v2 offset:928
	ds_load_b128 v[84:87], v2 offset:944
	s_wait_loadcnt_dscnt 0x701
	v_mul_f64_e32 v[116:117], v[80:81], v[110:111]
	v_mul_f64_e32 v[110:111], v[82:83], v[110:111]
	v_add_f64_e32 v[4:5], v[4:5], v[98:99]
	v_add_f64_e32 v[12:13], v[12:13], v[134:135]
	s_wait_loadcnt_dscnt 0x600
	v_mul_f64_e32 v[98:99], v[84:85], v[102:103]
	v_mul_f64_e32 v[102:103], v[86:87], v[102:103]
	v_fmac_f64_e32 v[116:117], v[82:83], v[108:109]
	v_fma_f64 v[104:105], v[80:81], v[108:109], -v[110:111]
	v_add_f64_e32 v[4:5], v[4:5], v[92:93]
	v_add_f64_e32 v[12:13], v[12:13], v[96:97]
	ds_load_b128 v[80:83], v2 offset:960
	ds_load_b128 v[92:95], v2 offset:976
	v_fmac_f64_e32 v[98:99], v[86:87], v[100:101]
	v_fma_f64 v[84:85], v[84:85], v[100:101], -v[102:103]
	s_wait_loadcnt_dscnt 0x501
	v_mul_f64_e32 v[96:97], v[80:81], v[122:123]
	v_mul_f64_e32 v[106:107], v[82:83], v[122:123]
	v_add_f64_e32 v[4:5], v[4:5], v[104:105]
	v_add_f64_e32 v[12:13], v[12:13], v[116:117]
	s_wait_loadcnt_dscnt 0x400
	v_mul_f64_e32 v[86:87], v[92:93], v[10:11]
	v_mul_f64_e32 v[100:101], v[94:95], v[10:11]
	v_fmac_f64_e32 v[96:97], v[82:83], v[120:121]
	v_fma_f64 v[102:103], v[80:81], v[120:121], -v[106:107]
	v_add_f64_e32 v[4:5], v[4:5], v[84:85]
	v_add_f64_e32 v[84:85], v[12:13], v[98:99]
	ds_load_b128 v[10:13], v2 offset:992
	ds_load_b128 v[80:83], v2 offset:1008
	v_fmac_f64_e32 v[86:87], v[94:95], v[8:9]
	v_fma_f64 v[8:9], v[92:93], v[8:9], -v[100:101]
	s_wait_loadcnt_dscnt 0x301
	v_mul_f64_e32 v[98:99], v[10:11], v[138:139]
	v_mul_f64_e32 v[104:105], v[12:13], v[138:139]
	s_wait_loadcnt_dscnt 0x200
	v_mul_f64_e32 v[92:93], v[80:81], v[114:115]
	v_mul_f64_e32 v[94:95], v[82:83], v[114:115]
	v_add_f64_e32 v[4:5], v[4:5], v[102:103]
	v_add_f64_e32 v[84:85], v[84:85], v[96:97]
	v_fmac_f64_e32 v[98:99], v[12:13], v[136:137]
	v_fma_f64 v[12:13], v[10:11], v[136:137], -v[104:105]
	v_fmac_f64_e32 v[92:93], v[82:83], v[112:113]
	v_fma_f64 v[80:81], v[80:81], v[112:113], -v[94:95]
	v_add_f64_e32 v[96:97], v[4:5], v[8:9]
	v_add_f64_e32 v[84:85], v[84:85], v[86:87]
	ds_load_b128 v[8:11], v2 offset:1024
	ds_load_b128 v[2:5], v2 offset:1040
	s_wait_loadcnt_dscnt 0x101
	v_mul_f64_e32 v[86:87], v[8:9], v[126:127]
	v_mul_f64_e32 v[100:101], v[10:11], v[126:127]
	v_add_f64_e32 v[12:13], v[96:97], v[12:13]
	v_add_f64_e32 v[82:83], v[84:85], v[98:99]
	s_wait_loadcnt_dscnt 0x0
	v_mul_f64_e32 v[84:85], v[2:3], v[90:91]
	v_mul_f64_e32 v[90:91], v[4:5], v[90:91]
	v_fmac_f64_e32 v[86:87], v[10:11], v[124:125]
	v_fma_f64 v[8:9], v[8:9], v[124:125], -v[100:101]
	v_add_f64_e32 v[10:11], v[12:13], v[80:81]
	v_add_f64_e32 v[12:13], v[82:83], v[92:93]
	v_fmac_f64_e32 v[84:85], v[4:5], v[88:89]
	v_fma_f64 v[2:3], v[2:3], v[88:89], -v[90:91]
	s_delay_alu instid0(VALU_DEP_4) | instskip(NEXT) | instid1(VALU_DEP_4)
	v_add_f64_e32 v[4:5], v[10:11], v[8:9]
	v_add_f64_e32 v[8:9], v[12:13], v[86:87]
	s_delay_alu instid0(VALU_DEP_2) | instskip(NEXT) | instid1(VALU_DEP_2)
	v_add_f64_e32 v[2:3], v[4:5], v[2:3]
	v_add_f64_e32 v[4:5], v[8:9], v[84:85]
	s_delay_alu instid0(VALU_DEP_2) | instskip(NEXT) | instid1(VALU_DEP_2)
	v_add_f64_e64 v[2:3], v[128:129], -v[2:3]
	v_add_f64_e64 v[4:5], v[130:131], -v[4:5]
	scratch_store_b128 off, v[2:5], off offset:64
	s_wait_xcnt 0x0
	v_cmpx_lt_u32_e32 3, v1
	s_cbranch_execz .LBB32_205
; %bb.204:
	scratch_load_b128 v[2:5], off, s24
	v_mov_b32_e32 v8, 0
	s_delay_alu instid0(VALU_DEP_1)
	v_dual_mov_b32 v9, v8 :: v_dual_mov_b32 v10, v8
	v_mov_b32_e32 v11, v8
	scratch_store_b128 off, v[8:11], off offset:48
	s_wait_loadcnt 0x0
	ds_store_b128 v6, v[2:5]
.LBB32_205:
	s_wait_xcnt 0x0
	s_or_b32 exec_lo, exec_lo, s2
	s_wait_storecnt_dscnt 0x0
	s_barrier_signal -1
	s_barrier_wait -1
	s_clause 0x9
	scratch_load_b128 v[8:11], off, off offset:64
	scratch_load_b128 v[80:83], off, off offset:80
	;; [unrolled: 1-line block ×10, first 2 shown]
	v_mov_b32_e32 v2, 0
	s_mov_b32 s2, exec_lo
	ds_load_b128 v[116:119], v2 offset:592
	s_clause 0x2
	scratch_load_b128 v[120:123], off, off offset:224
	scratch_load_b128 v[124:127], off, off offset:48
	;; [unrolled: 1-line block ×3, first 2 shown]
	s_wait_loadcnt_dscnt 0xc00
	v_mul_f64_e32 v[4:5], v[118:119], v[10:11]
	v_mul_f64_e32 v[140:141], v[116:117], v[10:11]
	ds_load_b128 v[128:131], v2 offset:608
	scratch_load_b128 v[10:13], off, off offset:240
	ds_load_b128 v[136:139], v2 offset:640
	v_fma_f64 v[4:5], v[116:117], v[8:9], -v[4:5]
	v_fmac_f64_e32 v[140:141], v[118:119], v[8:9]
	ds_load_b128 v[116:119], v2 offset:624
	s_wait_loadcnt_dscnt 0xc02
	v_mul_f64_e32 v[142:143], v[128:129], v[82:83]
	v_mul_f64_e32 v[82:83], v[130:131], v[82:83]
	s_wait_loadcnt_dscnt 0xb00
	v_mul_f64_e32 v[8:9], v[116:117], v[86:87]
	v_mul_f64_e32 v[86:87], v[118:119], v[86:87]
	v_add_f64_e32 v[4:5], 0, v[4:5]
	v_fmac_f64_e32 v[142:143], v[130:131], v[80:81]
	v_fma_f64 v[128:129], v[128:129], v[80:81], -v[82:83]
	v_add_f64_e32 v[130:131], 0, v[140:141]
	scratch_load_b128 v[80:83], off, off offset:272
	v_fmac_f64_e32 v[8:9], v[118:119], v[84:85]
	v_fma_f64 v[144:145], v[116:117], v[84:85], -v[86:87]
	ds_load_b128 v[84:87], v2 offset:656
	s_wait_loadcnt 0xb
	v_mul_f64_e32 v[140:141], v[136:137], v[90:91]
	v_mul_f64_e32 v[90:91], v[138:139], v[90:91]
	scratch_load_b128 v[116:119], off, off offset:288
	v_add_f64_e32 v[4:5], v[4:5], v[128:129]
	v_add_f64_e32 v[142:143], v[130:131], v[142:143]
	ds_load_b128 v[128:131], v2 offset:672
	s_wait_loadcnt_dscnt 0xb01
	v_mul_f64_e32 v[146:147], v[84:85], v[94:95]
	v_mul_f64_e32 v[94:95], v[86:87], v[94:95]
	v_fmac_f64_e32 v[140:141], v[138:139], v[88:89]
	v_fma_f64 v[136:137], v[136:137], v[88:89], -v[90:91]
	scratch_load_b128 v[88:91], off, off offset:304
	v_add_f64_e32 v[4:5], v[4:5], v[144:145]
	v_add_f64_e32 v[8:9], v[142:143], v[8:9]
	v_fmac_f64_e32 v[146:147], v[86:87], v[92:93]
	v_fma_f64 v[144:145], v[84:85], v[92:93], -v[94:95]
	ds_load_b128 v[84:87], v2 offset:688
	s_wait_loadcnt_dscnt 0xb01
	v_mul_f64_e32 v[142:143], v[128:129], v[98:99]
	v_mul_f64_e32 v[98:99], v[130:131], v[98:99]
	scratch_load_b128 v[92:95], off, off offset:320
	v_add_f64_e32 v[4:5], v[4:5], v[136:137]
	v_add_f64_e32 v[8:9], v[8:9], v[140:141]
	s_wait_loadcnt_dscnt 0xb00
	v_mul_f64_e32 v[140:141], v[84:85], v[102:103]
	v_mul_f64_e32 v[102:103], v[86:87], v[102:103]
	ds_load_b128 v[136:139], v2 offset:704
	v_fmac_f64_e32 v[142:143], v[130:131], v[96:97]
	v_fma_f64 v[128:129], v[128:129], v[96:97], -v[98:99]
	scratch_load_b128 v[96:99], off, off offset:336
	v_add_f64_e32 v[4:5], v[4:5], v[144:145]
	v_add_f64_e32 v[8:9], v[8:9], v[146:147]
	v_fmac_f64_e32 v[140:141], v[86:87], v[100:101]
	v_fma_f64 v[146:147], v[84:85], v[100:101], -v[102:103]
	ds_load_b128 v[84:87], v2 offset:720
	s_wait_loadcnt_dscnt 0xb01
	v_mul_f64_e32 v[144:145], v[136:137], v[106:107]
	v_mul_f64_e32 v[106:107], v[138:139], v[106:107]
	scratch_load_b128 v[100:103], off, off offset:352
	v_add_f64_e32 v[4:5], v[4:5], v[128:129]
	v_add_f64_e32 v[8:9], v[8:9], v[142:143]
	s_wait_loadcnt_dscnt 0xb00
	v_mul_f64_e32 v[142:143], v[84:85], v[110:111]
	v_mul_f64_e32 v[110:111], v[86:87], v[110:111]
	ds_load_b128 v[128:131], v2 offset:736
	;; [unrolled: 18-line block ×3, first 2 shown]
	v_fmac_f64_e32 v[140:141], v[130:131], v[112:113]
	v_fma_f64 v[128:129], v[128:129], v[112:113], -v[114:115]
	scratch_load_b128 v[112:115], off, off offset:400
	v_add_f64_e32 v[4:5], v[4:5], v[146:147]
	v_add_f64_e32 v[8:9], v[8:9], v[142:143]
	v_fmac_f64_e32 v[144:145], v[86:87], v[120:121]
	v_fma_f64 v[146:147], v[84:85], v[120:121], -v[122:123]
	ds_load_b128 v[84:87], v2 offset:784
	s_wait_loadcnt_dscnt 0x901
	v_mul_f64_e32 v[142:143], v[136:137], v[12:13]
	v_mul_f64_e32 v[12:13], v[138:139], v[12:13]
	scratch_load_b128 v[120:123], off, off offset:416
	v_add_f64_e32 v[4:5], v[4:5], v[128:129]
	v_add_f64_e32 v[8:9], v[8:9], v[140:141]
	s_wait_dscnt 0x0
	v_mul_f64_e32 v[140:141], v[84:85], v[134:135]
	v_mul_f64_e32 v[134:135], v[86:87], v[134:135]
	ds_load_b128 v[128:131], v2 offset:800
	v_fmac_f64_e32 v[142:143], v[138:139], v[10:11]
	v_fma_f64 v[12:13], v[136:137], v[10:11], -v[12:13]
	v_add_f64_e32 v[4:5], v[4:5], v[146:147]
	v_add_f64_e32 v[136:137], v[8:9], v[144:145]
	scratch_load_b128 v[8:11], off, off offset:432
	v_fmac_f64_e32 v[140:141], v[86:87], v[132:133]
	v_fma_f64 v[86:87], v[84:85], v[132:133], -v[134:135]
	scratch_load_b128 v[132:135], off, off offset:448
	v_add_f64_e32 v[4:5], v[4:5], v[12:13]
	v_add_f64_e32 v[12:13], v[136:137], v[142:143]
	ds_load_b128 v[136:139], v2 offset:832
	s_wait_loadcnt_dscnt 0xb01
	v_mul_f64_e32 v[144:145], v[128:129], v[82:83]
	v_mul_f64_e32 v[146:147], v[130:131], v[82:83]
	ds_load_b128 v[82:85], v2 offset:816
	s_wait_loadcnt_dscnt 0xa00
	v_mul_f64_e32 v[142:143], v[82:83], v[118:119]
	v_mul_f64_e32 v[118:119], v[84:85], v[118:119]
	v_add_f64_e32 v[4:5], v[4:5], v[86:87]
	v_add_f64_e32 v[12:13], v[12:13], v[140:141]
	s_wait_loadcnt 0x9
	v_mul_f64_e32 v[140:141], v[136:137], v[90:91]
	v_fmac_f64_e32 v[144:145], v[130:131], v[80:81]
	v_fma_f64 v[80:81], v[128:129], v[80:81], -v[146:147]
	scratch_load_b128 v[128:131], off, off offset:464
	v_mul_f64_e32 v[90:91], v[138:139], v[90:91]
	v_fmac_f64_e32 v[142:143], v[84:85], v[116:117]
	v_fma_f64 v[146:147], v[82:83], v[116:117], -v[118:119]
	scratch_load_b128 v[84:87], off, off offset:480
	ds_load_b128 v[116:119], v2 offset:864
	v_fmac_f64_e32 v[140:141], v[138:139], v[88:89]
	v_add_f64_e32 v[12:13], v[12:13], v[144:145]
	v_add_f64_e32 v[4:5], v[4:5], v[80:81]
	ds_load_b128 v[80:83], v2 offset:848
	v_fma_f64 v[136:137], v[136:137], v[88:89], -v[90:91]
	scratch_load_b128 v[88:91], off, off offset:496
	s_wait_loadcnt_dscnt 0xb00
	v_mul_f64_e32 v[144:145], v[80:81], v[94:95]
	v_mul_f64_e32 v[94:95], v[82:83], v[94:95]
	v_add_f64_e32 v[12:13], v[12:13], v[142:143]
	v_add_f64_e32 v[4:5], v[4:5], v[146:147]
	s_wait_loadcnt 0xa
	v_mul_f64_e32 v[142:143], v[116:117], v[98:99]
	v_mul_f64_e32 v[98:99], v[118:119], v[98:99]
	v_fmac_f64_e32 v[144:145], v[82:83], v[92:93]
	v_fma_f64 v[146:147], v[80:81], v[92:93], -v[94:95]
	ds_load_b128 v[80:83], v2 offset:880
	scratch_load_b128 v[92:95], off, off offset:512
	v_add_f64_e32 v[12:13], v[12:13], v[140:141]
	v_add_f64_e32 v[4:5], v[4:5], v[136:137]
	ds_load_b128 v[136:139], v2 offset:896
	v_fmac_f64_e32 v[142:143], v[118:119], v[96:97]
	v_fma_f64 v[96:97], v[116:117], v[96:97], -v[98:99]
	s_wait_loadcnt_dscnt 0xa01
	v_mul_f64_e32 v[140:141], v[80:81], v[102:103]
	v_mul_f64_e32 v[102:103], v[82:83], v[102:103]
	s_wait_loadcnt_dscnt 0x900
	v_mul_f64_e32 v[116:117], v[136:137], v[106:107]
	v_mul_f64_e32 v[106:107], v[138:139], v[106:107]
	v_add_f64_e32 v[12:13], v[12:13], v[144:145]
	v_add_f64_e32 v[4:5], v[4:5], v[146:147]
	v_fmac_f64_e32 v[140:141], v[82:83], v[100:101]
	v_fma_f64 v[100:101], v[80:81], v[100:101], -v[102:103]
	v_fmac_f64_e32 v[116:117], v[138:139], v[104:105]
	v_fma_f64 v[104:105], v[136:137], v[104:105], -v[106:107]
	v_add_f64_e32 v[12:13], v[12:13], v[142:143]
	v_add_f64_e32 v[4:5], v[4:5], v[96:97]
	ds_load_b128 v[80:83], v2 offset:912
	ds_load_b128 v[96:99], v2 offset:928
	s_wait_loadcnt_dscnt 0x801
	v_mul_f64_e32 v[118:119], v[80:81], v[110:111]
	v_mul_f64_e32 v[102:103], v[82:83], v[110:111]
	s_wait_loadcnt_dscnt 0x700
	v_mul_f64_e32 v[106:107], v[96:97], v[114:115]
	v_mul_f64_e32 v[110:111], v[98:99], v[114:115]
	v_add_f64_e32 v[12:13], v[12:13], v[140:141]
	v_add_f64_e32 v[4:5], v[4:5], v[100:101]
	v_fmac_f64_e32 v[118:119], v[82:83], v[108:109]
	v_fma_f64 v[108:109], v[80:81], v[108:109], -v[102:103]
	ds_load_b128 v[80:83], v2 offset:944
	ds_load_b128 v[100:103], v2 offset:960
	v_fmac_f64_e32 v[106:107], v[98:99], v[112:113]
	v_fma_f64 v[96:97], v[96:97], v[112:113], -v[110:111]
	v_add_f64_e32 v[12:13], v[12:13], v[116:117]
	v_add_f64_e32 v[4:5], v[4:5], v[104:105]
	s_wait_loadcnt_dscnt 0x601
	v_mul_f64_e32 v[104:105], v[80:81], v[122:123]
	v_mul_f64_e32 v[114:115], v[82:83], v[122:123]
	s_wait_loadcnt_dscnt 0x500
	v_mul_f64_e32 v[98:99], v[100:101], v[10:11]
	v_add_f64_e32 v[12:13], v[12:13], v[118:119]
	v_add_f64_e32 v[4:5], v[4:5], v[108:109]
	v_mul_f64_e32 v[108:109], v[102:103], v[10:11]
	v_fmac_f64_e32 v[104:105], v[82:83], v[120:121]
	v_fma_f64 v[110:111], v[80:81], v[120:121], -v[114:115]
	v_fmac_f64_e32 v[98:99], v[102:103], v[8:9]
	v_add_f64_e32 v[4:5], v[4:5], v[96:97]
	v_add_f64_e32 v[96:97], v[12:13], v[106:107]
	ds_load_b128 v[10:13], v2 offset:976
	ds_load_b128 v[80:83], v2 offset:992
	v_fma_f64 v[8:9], v[100:101], v[8:9], -v[108:109]
	s_wait_loadcnt_dscnt 0x401
	v_mul_f64_e32 v[106:107], v[10:11], v[134:135]
	v_mul_f64_e32 v[112:113], v[12:13], v[134:135]
	v_add_f64_e32 v[4:5], v[4:5], v[110:111]
	v_add_f64_e32 v[96:97], v[96:97], v[104:105]
	s_wait_loadcnt_dscnt 0x300
	v_mul_f64_e32 v[100:101], v[80:81], v[130:131]
	v_mul_f64_e32 v[102:103], v[82:83], v[130:131]
	v_fmac_f64_e32 v[106:107], v[12:13], v[132:133]
	v_fma_f64 v[12:13], v[10:11], v[132:133], -v[112:113]
	v_add_f64_e32 v[4:5], v[4:5], v[8:9]
	v_add_f64_e32 v[104:105], v[96:97], v[98:99]
	ds_load_b128 v[8:11], v2 offset:1008
	ds_load_b128 v[96:99], v2 offset:1024
	v_fmac_f64_e32 v[100:101], v[82:83], v[128:129]
	v_fma_f64 v[80:81], v[80:81], v[128:129], -v[102:103]
	s_wait_loadcnt_dscnt 0x201
	v_mul_f64_e32 v[108:109], v[8:9], v[86:87]
	v_mul_f64_e32 v[86:87], v[10:11], v[86:87]
	s_wait_loadcnt_dscnt 0x100
	v_mul_f64_e32 v[82:83], v[96:97], v[90:91]
	v_mul_f64_e32 v[90:91], v[98:99], v[90:91]
	v_add_f64_e32 v[4:5], v[4:5], v[12:13]
	v_add_f64_e32 v[12:13], v[104:105], v[106:107]
	v_fmac_f64_e32 v[108:109], v[10:11], v[84:85]
	v_fma_f64 v[84:85], v[8:9], v[84:85], -v[86:87]
	ds_load_b128 v[8:11], v2 offset:1040
	v_fmac_f64_e32 v[82:83], v[98:99], v[88:89]
	v_fma_f64 v[88:89], v[96:97], v[88:89], -v[90:91]
	v_add_f64_e32 v[4:5], v[4:5], v[80:81]
	v_add_f64_e32 v[12:13], v[12:13], v[100:101]
	s_wait_loadcnt_dscnt 0x0
	v_mul_f64_e32 v[80:81], v[8:9], v[94:95]
	v_mul_f64_e32 v[86:87], v[10:11], v[94:95]
	s_delay_alu instid0(VALU_DEP_4) | instskip(NEXT) | instid1(VALU_DEP_4)
	v_add_f64_e32 v[4:5], v[4:5], v[84:85]
	v_add_f64_e32 v[12:13], v[12:13], v[108:109]
	s_delay_alu instid0(VALU_DEP_4) | instskip(NEXT) | instid1(VALU_DEP_4)
	v_fmac_f64_e32 v[80:81], v[10:11], v[92:93]
	v_fma_f64 v[8:9], v[8:9], v[92:93], -v[86:87]
	s_delay_alu instid0(VALU_DEP_4) | instskip(NEXT) | instid1(VALU_DEP_4)
	v_add_f64_e32 v[4:5], v[4:5], v[88:89]
	v_add_f64_e32 v[10:11], v[12:13], v[82:83]
	s_delay_alu instid0(VALU_DEP_2) | instskip(NEXT) | instid1(VALU_DEP_2)
	v_add_f64_e32 v[4:5], v[4:5], v[8:9]
	v_add_f64_e32 v[10:11], v[10:11], v[80:81]
	s_delay_alu instid0(VALU_DEP_2) | instskip(NEXT) | instid1(VALU_DEP_2)
	v_add_f64_e64 v[8:9], v[124:125], -v[4:5]
	v_add_f64_e64 v[10:11], v[126:127], -v[10:11]
	scratch_store_b128 off, v[8:11], off offset:48
	s_wait_xcnt 0x0
	v_cmpx_lt_u32_e32 2, v1
	s_cbranch_execz .LBB32_207
; %bb.206:
	scratch_load_b128 v[8:11], off, s22
	v_dual_mov_b32 v3, v2 :: v_dual_mov_b32 v4, v2
	v_mov_b32_e32 v5, v2
	scratch_store_b128 off, v[2:5], off offset:32
	s_wait_loadcnt 0x0
	ds_store_b128 v6, v[8:11]
.LBB32_207:
	s_wait_xcnt 0x0
	s_or_b32 exec_lo, exec_lo, s2
	s_wait_storecnt_dscnt 0x0
	s_barrier_signal -1
	s_barrier_wait -1
	s_clause 0x9
	scratch_load_b128 v[8:11], off, off offset:48
	scratch_load_b128 v[80:83], off, off offset:64
	;; [unrolled: 1-line block ×10, first 2 shown]
	ds_load_b128 v[116:119], v2 offset:576
	ds_load_b128 v[124:127], v2 offset:592
	s_clause 0x1
	scratch_load_b128 v[120:123], off, off offset:208
	scratch_load_b128 v[128:131], off, off offset:32
	s_mov_b32 s2, exec_lo
	v_ashrrev_i32_e32 v21, 31, v20
	v_ashrrev_i32_e32 v25, 31, v24
	;; [unrolled: 1-line block ×3, first 2 shown]
	v_dual_ashrrev_i32 v33, 31, v32 :: v_dual_ashrrev_i32 v19, 31, v18
	v_dual_ashrrev_i32 v23, 31, v22 :: v_dual_ashrrev_i32 v37, 31, v36
	v_ashrrev_i32_e32 v41, 31, v40
	v_ashrrev_i32_e32 v45, 31, v44
	v_dual_ashrrev_i32 v49, 31, v48 :: v_dual_ashrrev_i32 v27, 31, v26
	v_ashrrev_i32_e32 v31, 31, v30
	v_ashrrev_i32_e32 v35, 31, v34
	v_ashrrev_i32_e32 v47, 31, v46
	v_ashrrev_i32_e32 v39, 31, v38
	v_dual_ashrrev_i32 v43, 31, v42 :: v_dual_ashrrev_i32 v53, 31, v52
	v_ashrrev_i32_e32 v57, 31, v56
	v_ashrrev_i32_e32 v61, 31, v60
	;; [unrolled: 5-line block ×3, first 2 shown]
	v_dual_ashrrev_i32 v63, 31, v62 :: v_dual_ashrrev_i32 v77, 31, v76
	v_ashrrev_i32_e32 v67, 31, v66
	v_ashrrev_i32_e32 v71, 31, v70
	;; [unrolled: 1-line block ×4, first 2 shown]
	s_wait_loadcnt_dscnt 0xb01
	v_mul_f64_e32 v[4:5], v[116:117], v[10:11]
	v_mul_f64_e32 v[132:133], v[118:119], v[10:11]
	scratch_load_b128 v[10:13], off, off offset:224
	s_wait_loadcnt_dscnt 0xb00
	v_mul_f64_e32 v[136:137], v[124:125], v[82:83]
	v_mul_f64_e32 v[82:83], v[126:127], v[82:83]
	v_fmac_f64_e32 v[4:5], v[118:119], v[8:9]
	v_fma_f64 v[8:9], v[116:117], v[8:9], -v[132:133]
	ds_load_b128 v[116:119], v2 offset:608
	ds_load_b128 v[132:135], v2 offset:624
	v_fmac_f64_e32 v[136:137], v[126:127], v[80:81]
	v_fma_f64 v[124:125], v[124:125], v[80:81], -v[82:83]
	scratch_load_b128 v[80:83], off, off offset:240
	s_wait_loadcnt_dscnt 0xb01
	v_mul_f64_e32 v[138:139], v[116:117], v[86:87]
	v_mul_f64_e32 v[86:87], v[118:119], v[86:87]
	s_wait_loadcnt_dscnt 0xa00
	v_mul_f64_e32 v[140:141], v[132:133], v[90:91]
	v_mul_f64_e32 v[90:91], v[134:135], v[90:91]
	v_add_f64_e32 v[4:5], 0, v[4:5]
	v_add_f64_e32 v[8:9], 0, v[8:9]
	v_fmac_f64_e32 v[138:139], v[118:119], v[84:85]
	v_fma_f64 v[142:143], v[116:117], v[84:85], -v[86:87]
	scratch_load_b128 v[84:87], off, off offset:256
	v_fmac_f64_e32 v[140:141], v[134:135], v[88:89]
	v_fma_f64 v[132:133], v[132:133], v[88:89], -v[90:91]
	v_add_f64_e32 v[4:5], v[4:5], v[136:137]
	v_add_f64_e32 v[8:9], v[8:9], v[124:125]
	ds_load_b128 v[116:119], v2 offset:640
	ds_load_b128 v[124:127], v2 offset:656
	scratch_load_b128 v[88:91], off, off offset:272
	s_wait_loadcnt_dscnt 0xb01
	v_mul_f64_e32 v[136:137], v[116:117], v[94:95]
	v_mul_f64_e32 v[94:95], v[118:119], v[94:95]
	v_add_f64_e32 v[4:5], v[4:5], v[138:139]
	v_add_f64_e32 v[8:9], v[8:9], v[142:143]
	s_wait_loadcnt_dscnt 0xa00
	v_mul_f64_e32 v[138:139], v[124:125], v[98:99]
	v_mul_f64_e32 v[98:99], v[126:127], v[98:99]
	v_fmac_f64_e32 v[136:137], v[118:119], v[92:93]
	v_fma_f64 v[142:143], v[116:117], v[92:93], -v[94:95]
	scratch_load_b128 v[92:95], off, off offset:288
	v_add_f64_e32 v[4:5], v[4:5], v[140:141]
	v_add_f64_e32 v[8:9], v[8:9], v[132:133]
	ds_load_b128 v[116:119], v2 offset:672
	ds_load_b128 v[132:135], v2 offset:688
	v_fmac_f64_e32 v[138:139], v[126:127], v[96:97]
	v_fma_f64 v[140:141], v[124:125], v[96:97], -v[98:99]
	s_clause 0x1
	scratch_load_b128 v[96:99], off, off offset:304
	scratch_load_b128 v[124:127], off, off offset:320
	s_wait_loadcnt_dscnt 0xc01
	v_mul_f64_e32 v[144:145], v[116:117], v[102:103]
	v_mul_f64_e32 v[102:103], v[118:119], v[102:103]
	v_add_f64_e32 v[4:5], v[4:5], v[136:137]
	v_add_f64_e32 v[8:9], v[8:9], v[142:143]
	s_wait_loadcnt_dscnt 0xb00
	v_mul_f64_e32 v[142:143], v[132:133], v[106:107]
	v_mul_f64_e32 v[106:107], v[134:135], v[106:107]
	v_fmac_f64_e32 v[144:145], v[118:119], v[100:101]
	v_fma_f64 v[136:137], v[116:117], v[100:101], -v[102:103]
	ds_load_b128 v[100:103], v2 offset:704
	ds_load_b128 v[116:119], v2 offset:720
	v_add_f64_e32 v[4:5], v[4:5], v[138:139]
	v_add_f64_e32 v[8:9], v[8:9], v[140:141]
	v_fmac_f64_e32 v[142:143], v[134:135], v[104:105]
	v_fma_f64 v[132:133], v[132:133], v[104:105], -v[106:107]
	scratch_load_b128 v[104:107], off, off offset:336
	s_wait_loadcnt_dscnt 0xb01
	v_mul_f64_e32 v[138:139], v[100:101], v[110:111]
	v_mul_f64_e32 v[110:111], v[102:103], v[110:111]
	v_add_f64_e32 v[4:5], v[4:5], v[144:145]
	v_add_f64_e32 v[8:9], v[8:9], v[136:137]
	s_wait_loadcnt_dscnt 0xa00
	v_mul_f64_e32 v[136:137], v[116:117], v[114:115]
	v_mul_f64_e32 v[114:115], v[118:119], v[114:115]
	v_fmac_f64_e32 v[138:139], v[102:103], v[108:109]
	v_fma_f64 v[140:141], v[100:101], v[108:109], -v[110:111]
	scratch_load_b128 v[100:103], off, off offset:352
	v_add_f64_e32 v[4:5], v[4:5], v[142:143]
	v_add_f64_e32 v[8:9], v[8:9], v[132:133]
	ds_load_b128 v[108:111], v2 offset:736
	ds_load_b128 v[132:135], v2 offset:752
	v_fmac_f64_e32 v[136:137], v[118:119], v[112:113]
	v_fma_f64 v[116:117], v[116:117], v[112:113], -v[114:115]
	scratch_load_b128 v[112:115], off, off offset:368
	s_wait_loadcnt_dscnt 0xb01
	v_mul_f64_e32 v[142:143], v[108:109], v[122:123]
	v_mul_f64_e32 v[118:119], v[110:111], v[122:123]
	v_add_f64_e32 v[4:5], v[4:5], v[138:139]
	v_add_f64_e32 v[8:9], v[8:9], v[140:141]
	s_wait_loadcnt_dscnt 0x900
	v_mul_f64_e32 v[138:139], v[132:133], v[12:13]
	v_mul_f64_e32 v[12:13], v[134:135], v[12:13]
	v_fmac_f64_e32 v[142:143], v[110:111], v[120:121]
	v_fma_f64 v[140:141], v[108:109], v[120:121], -v[118:119]
	scratch_load_b128 v[108:111], off, off offset:384
	v_add_f64_e32 v[4:5], v[4:5], v[136:137]
	v_add_f64_e32 v[144:145], v[8:9], v[116:117]
	ds_load_b128 v[116:119], v2 offset:768
	ds_load_b128 v[120:123], v2 offset:784
	v_fmac_f64_e32 v[138:139], v[134:135], v[10:11]
	v_fma_f64 v[12:13], v[132:133], v[10:11], -v[12:13]
	scratch_load_b128 v[8:11], off, off offset:400
	s_wait_loadcnt_dscnt 0xa01
	v_mul_f64_e32 v[136:137], v[116:117], v[82:83]
	v_mul_f64_e32 v[82:83], v[118:119], v[82:83]
	v_add_f64_e32 v[4:5], v[4:5], v[142:143]
	v_add_f64_e32 v[132:133], v[144:145], v[140:141]
	s_delay_alu instid0(VALU_DEP_4) | instskip(NEXT) | instid1(VALU_DEP_4)
	v_fmac_f64_e32 v[136:137], v[118:119], v[80:81]
	v_fma_f64 v[142:143], v[116:117], v[80:81], -v[82:83]
	s_wait_loadcnt_dscnt 0x900
	v_mul_f64_e32 v[140:141], v[120:121], v[86:87]
	v_mul_f64_e32 v[86:87], v[122:123], v[86:87]
	scratch_load_b128 v[80:83], off, off offset:416
	v_add_f64_e32 v[4:5], v[4:5], v[138:139]
	v_add_f64_e32 v[12:13], v[132:133], v[12:13]
	ds_load_b128 v[116:119], v2 offset:800
	ds_load_b128 v[132:135], v2 offset:816
	s_wait_loadcnt_dscnt 0x901
	v_mul_f64_e32 v[138:139], v[116:117], v[90:91]
	v_mul_f64_e32 v[90:91], v[118:119], v[90:91]
	v_fmac_f64_e32 v[140:141], v[122:123], v[84:85]
	v_fma_f64 v[120:121], v[120:121], v[84:85], -v[86:87]
	scratch_load_b128 v[84:87], off, off offset:432
	v_add_f64_e32 v[4:5], v[4:5], v[136:137]
	v_add_f64_e32 v[12:13], v[12:13], v[142:143]
	v_fmac_f64_e32 v[138:139], v[118:119], v[88:89]
	v_fma_f64 v[142:143], v[116:117], v[88:89], -v[90:91]
	s_wait_loadcnt_dscnt 0x900
	v_mul_f64_e32 v[136:137], v[132:133], v[94:95]
	v_mul_f64_e32 v[94:95], v[134:135], v[94:95]
	scratch_load_b128 v[88:91], off, off offset:448
	v_add_f64_e32 v[4:5], v[4:5], v[140:141]
	v_add_f64_e32 v[12:13], v[12:13], v[120:121]
	ds_load_b128 v[116:119], v2 offset:832
	ds_load_b128 v[120:123], v2 offset:848
	s_wait_loadcnt_dscnt 0x901
	v_mul_f64_e32 v[140:141], v[116:117], v[98:99]
	v_mul_f64_e32 v[98:99], v[118:119], v[98:99]
	v_fmac_f64_e32 v[136:137], v[134:135], v[92:93]
	v_fma_f64 v[132:133], v[132:133], v[92:93], -v[94:95]
	scratch_load_b128 v[92:95], off, off offset:464
	v_add_f64_e32 v[4:5], v[4:5], v[138:139]
	v_add_f64_e32 v[12:13], v[12:13], v[142:143]
	s_wait_loadcnt_dscnt 0x900
	v_mul_f64_e32 v[138:139], v[120:121], v[126:127]
	v_mul_f64_e32 v[126:127], v[122:123], v[126:127]
	v_fmac_f64_e32 v[140:141], v[118:119], v[96:97]
	v_fma_f64 v[142:143], v[116:117], v[96:97], -v[98:99]
	scratch_load_b128 v[96:99], off, off offset:480
	v_add_f64_e32 v[4:5], v[4:5], v[136:137]
	v_add_f64_e32 v[12:13], v[12:13], v[132:133]
	ds_load_b128 v[116:119], v2 offset:864
	ds_load_b128 v[132:135], v2 offset:880
	v_fmac_f64_e32 v[138:139], v[122:123], v[124:125]
	v_fma_f64 v[136:137], v[120:121], v[124:125], -v[126:127]
	s_clause 0x1
	scratch_load_b128 v[120:123], off, off offset:496
	scratch_load_b128 v[124:127], off, off offset:512
	s_wait_loadcnt_dscnt 0xb01
	v_mul_f64_e32 v[144:145], v[116:117], v[106:107]
	v_mul_f64_e32 v[106:107], v[118:119], v[106:107]
	v_add_f64_e32 v[4:5], v[4:5], v[140:141]
	v_add_f64_e32 v[12:13], v[12:13], v[142:143]
	s_wait_loadcnt_dscnt 0xa00
	v_mul_f64_e32 v[140:141], v[132:133], v[102:103]
	v_mul_f64_e32 v[142:143], v[134:135], v[102:103]
	v_fmac_f64_e32 v[144:145], v[118:119], v[104:105]
	v_fma_f64 v[106:107], v[116:117], v[104:105], -v[106:107]
	ds_load_b128 v[102:105], v2 offset:896
	ds_load_b128 v[116:119], v2 offset:912
	v_add_f64_e32 v[4:5], v[4:5], v[138:139]
	v_add_f64_e32 v[12:13], v[12:13], v[136:137]
	v_fmac_f64_e32 v[140:141], v[134:135], v[100:101]
	v_fma_f64 v[100:101], v[132:133], v[100:101], -v[142:143]
	s_wait_loadcnt_dscnt 0x901
	v_mul_f64_e32 v[132:133], v[102:103], v[114:115]
	v_mul_f64_e32 v[114:115], v[104:105], v[114:115]
	v_add_f64_e32 v[4:5], v[4:5], v[144:145]
	v_add_f64_e32 v[12:13], v[12:13], v[106:107]
	s_delay_alu instid0(VALU_DEP_4) | instskip(NEXT) | instid1(VALU_DEP_4)
	v_fmac_f64_e32 v[132:133], v[104:105], v[112:113]
	v_fma_f64 v[112:113], v[102:103], v[112:113], -v[114:115]
	s_wait_loadcnt_dscnt 0x800
	v_mul_f64_e32 v[134:135], v[116:117], v[110:111]
	v_mul_f64_e32 v[110:111], v[118:119], v[110:111]
	v_add_f64_e32 v[4:5], v[4:5], v[140:141]
	v_add_f64_e32 v[12:13], v[12:13], v[100:101]
	ds_load_b128 v[100:103], v2 offset:928
	ds_load_b128 v[104:107], v2 offset:944
	s_wait_loadcnt_dscnt 0x701
	v_mul_f64_e32 v[114:115], v[100:101], v[10:11]
	v_mul_f64_e32 v[10:11], v[102:103], v[10:11]
	v_fmac_f64_e32 v[134:135], v[118:119], v[108:109]
	v_fma_f64 v[108:109], v[116:117], v[108:109], -v[110:111]
	v_add_f64_e32 v[4:5], v[4:5], v[132:133]
	v_add_f64_e32 v[12:13], v[12:13], v[112:113]
	v_fmac_f64_e32 v[114:115], v[102:103], v[8:9]
	v_fma_f64 v[112:113], v[100:101], v[8:9], -v[10:11]
	ds_load_b128 v[8:11], v2 offset:960
	ds_load_b128 v[100:103], v2 offset:976
	s_wait_loadcnt_dscnt 0x602
	v_mul_f64_e32 v[110:111], v[104:105], v[82:83]
	v_mul_f64_e32 v[82:83], v[106:107], v[82:83]
	v_add_f64_e32 v[4:5], v[4:5], v[134:135]
	v_add_f64_e32 v[12:13], v[12:13], v[108:109]
	s_wait_loadcnt_dscnt 0x501
	v_mul_f64_e32 v[108:109], v[8:9], v[86:87]
	v_mul_f64_e32 v[86:87], v[10:11], v[86:87]
	v_fmac_f64_e32 v[110:111], v[106:107], v[80:81]
	v_fma_f64 v[80:81], v[104:105], v[80:81], -v[82:83]
	v_add_f64_e32 v[4:5], v[4:5], v[114:115]
	v_add_f64_e32 v[12:13], v[12:13], v[112:113]
	s_wait_loadcnt_dscnt 0x400
	v_mul_f64_e32 v[104:105], v[100:101], v[90:91]
	v_mul_f64_e32 v[90:91], v[102:103], v[90:91]
	v_fmac_f64_e32 v[108:109], v[10:11], v[84:85]
	v_fma_f64 v[84:85], v[8:9], v[84:85], -v[86:87]
	v_add_f64_e32 v[4:5], v[4:5], v[110:111]
	v_add_f64_e32 v[12:13], v[12:13], v[80:81]
	ds_load_b128 v[8:11], v2 offset:992
	ds_load_b128 v[80:83], v2 offset:1008
	s_wait_loadcnt_dscnt 0x301
	v_mul_f64_e32 v[86:87], v[8:9], v[94:95]
	v_mul_f64_e32 v[94:95], v[10:11], v[94:95]
	v_fmac_f64_e32 v[104:105], v[102:103], v[88:89]
	v_fma_f64 v[88:89], v[100:101], v[88:89], -v[90:91]
	v_add_f64_e32 v[4:5], v[4:5], v[108:109]
	v_add_f64_e32 v[12:13], v[12:13], v[84:85]
	s_wait_loadcnt_dscnt 0x200
	v_mul_f64_e32 v[84:85], v[80:81], v[98:99]
	v_mul_f64_e32 v[90:91], v[82:83], v[98:99]
	v_fmac_f64_e32 v[86:87], v[10:11], v[92:93]
	v_fma_f64 v[92:93], v[8:9], v[92:93], -v[94:95]
	v_add_f64_e32 v[12:13], v[12:13], v[88:89]
	v_add_f64_e32 v[88:89], v[4:5], v[104:105]
	ds_load_b128 v[8:11], v2 offset:1024
	ds_load_b128 v[2:5], v2 offset:1040
	s_wait_loadcnt_dscnt 0x101
	v_mul_f64_e32 v[94:95], v[8:9], v[122:123]
	v_mul_f64_e32 v[98:99], v[10:11], v[122:123]
	v_fmac_f64_e32 v[84:85], v[82:83], v[96:97]
	v_fma_f64 v[80:81], v[80:81], v[96:97], -v[90:91]
	v_add_f64_e32 v[12:13], v[12:13], v[92:93]
	v_add_f64_e32 v[82:83], v[88:89], v[86:87]
	s_wait_loadcnt_dscnt 0x0
	v_mul_f64_e32 v[86:87], v[2:3], v[126:127]
	v_mul_f64_e32 v[88:89], v[4:5], v[126:127]
	v_fmac_f64_e32 v[94:95], v[10:11], v[120:121]
	v_fma_f64 v[8:9], v[8:9], v[120:121], -v[98:99]
	v_add_f64_e32 v[10:11], v[12:13], v[80:81]
	v_add_f64_e32 v[12:13], v[82:83], v[84:85]
	v_fmac_f64_e32 v[86:87], v[4:5], v[124:125]
	v_fma_f64 v[2:3], v[2:3], v[124:125], -v[88:89]
	s_delay_alu instid0(VALU_DEP_4) | instskip(NEXT) | instid1(VALU_DEP_4)
	v_add_f64_e32 v[4:5], v[10:11], v[8:9]
	v_add_f64_e32 v[8:9], v[12:13], v[94:95]
	s_delay_alu instid0(VALU_DEP_2) | instskip(NEXT) | instid1(VALU_DEP_2)
	v_add_f64_e32 v[2:3], v[4:5], v[2:3]
	v_add_f64_e32 v[4:5], v[8:9], v[86:87]
	s_delay_alu instid0(VALU_DEP_2) | instskip(NEXT) | instid1(VALU_DEP_2)
	v_add_f64_e64 v[2:3], v[128:129], -v[2:3]
	v_add_f64_e64 v[4:5], v[130:131], -v[4:5]
	scratch_store_b128 off, v[2:5], off offset:32
	s_wait_xcnt 0x0
	v_cmpx_lt_u32_e32 1, v1
	s_cbranch_execz .LBB32_209
; %bb.208:
	scratch_load_b128 v[2:5], off, s27
	v_mov_b32_e32 v8, 0
	s_delay_alu instid0(VALU_DEP_1)
	v_dual_mov_b32 v9, v8 :: v_dual_mov_b32 v10, v8
	v_mov_b32_e32 v11, v8
	scratch_store_b128 off, v[8:11], off offset:16
	s_wait_loadcnt 0x0
	ds_store_b128 v6, v[2:5]
.LBB32_209:
	s_wait_xcnt 0x0
	s_or_b32 exec_lo, exec_lo, s2
	s_wait_storecnt_dscnt 0x0
	s_barrier_signal -1
	s_barrier_wait -1
	s_clause 0x9
	scratch_load_b128 v[8:11], off, off offset:32
	scratch_load_b128 v[80:83], off, off offset:48
	;; [unrolled: 1-line block ×10, first 2 shown]
	v_mov_b32_e32 v2, 0
	s_clause 0x2
	scratch_load_b128 v[120:123], off, off offset:192
	scratch_load_b128 v[124:127], off, off offset:208
	;; [unrolled: 1-line block ×3, first 2 shown]
	s_mov_b32 s2, exec_lo
	ds_load_b128 v[116:119], v2 offset:560
	s_wait_loadcnt_dscnt 0xc00
	v_mul_f64_e32 v[4:5], v[118:119], v[10:11]
	v_mul_f64_e32 v[132:133], v[116:117], v[10:11]
	ds_load_b128 v[10:13], v2 offset:576
	v_fma_f64 v[4:5], v[116:117], v[8:9], -v[4:5]
	v_fmac_f64_e32 v[132:133], v[118:119], v[8:9]
	ds_load_b128 v[116:119], v2 offset:592
	s_wait_loadcnt_dscnt 0xb01
	v_mul_f64_e32 v[134:135], v[10:11], v[82:83]
	v_mul_f64_e32 v[82:83], v[12:13], v[82:83]
	s_wait_loadcnt_dscnt 0xa00
	v_mul_f64_e32 v[136:137], v[116:117], v[86:87]
	v_mul_f64_e32 v[86:87], v[118:119], v[86:87]
	v_add_f64_e32 v[4:5], 0, v[4:5]
	v_add_f64_e32 v[132:133], 0, v[132:133]
	v_fmac_f64_e32 v[134:135], v[12:13], v[80:81]
	v_fma_f64 v[12:13], v[10:11], v[80:81], -v[82:83]
	ds_load_b128 v[8:11], v2 offset:608
	scratch_load_b128 v[80:83], off, off offset:240
	v_fmac_f64_e32 v[136:137], v[118:119], v[84:85]
	v_fma_f64 v[140:141], v[116:117], v[84:85], -v[86:87]
	ds_load_b128 v[84:87], v2 offset:624
	s_wait_loadcnt_dscnt 0xa01
	v_mul_f64_e32 v[138:139], v[8:9], v[90:91]
	v_mul_f64_e32 v[90:91], v[10:11], v[90:91]
	scratch_load_b128 v[116:119], off, off offset:256
	v_add_f64_e32 v[4:5], v[4:5], v[12:13]
	v_add_f64_e32 v[12:13], v[132:133], v[134:135]
	s_wait_loadcnt_dscnt 0xa00
	v_mul_f64_e32 v[132:133], v[84:85], v[94:95]
	v_mul_f64_e32 v[94:95], v[86:87], v[94:95]
	v_fmac_f64_e32 v[138:139], v[10:11], v[88:89]
	v_fma_f64 v[134:135], v[8:9], v[88:89], -v[90:91]
	ds_load_b128 v[8:11], v2 offset:640
	scratch_load_b128 v[88:91], off, off offset:272
	v_add_f64_e32 v[4:5], v[4:5], v[140:141]
	v_add_f64_e32 v[12:13], v[12:13], v[136:137]
	v_fmac_f64_e32 v[132:133], v[86:87], v[92:93]
	v_fma_f64 v[140:141], v[84:85], v[92:93], -v[94:95]
	ds_load_b128 v[84:87], v2 offset:656
	s_wait_loadcnt_dscnt 0xa01
	v_mul_f64_e32 v[136:137], v[8:9], v[98:99]
	v_mul_f64_e32 v[98:99], v[10:11], v[98:99]
	scratch_load_b128 v[92:95], off, off offset:288
	v_add_f64_e32 v[4:5], v[4:5], v[134:135]
	v_add_f64_e32 v[12:13], v[12:13], v[138:139]
	s_wait_loadcnt_dscnt 0xa00
	v_mul_f64_e32 v[134:135], v[84:85], v[102:103]
	v_mul_f64_e32 v[102:103], v[86:87], v[102:103]
	v_fmac_f64_e32 v[136:137], v[10:11], v[96:97]
	v_fma_f64 v[138:139], v[8:9], v[96:97], -v[98:99]
	ds_load_b128 v[8:11], v2 offset:672
	scratch_load_b128 v[96:99], off, off offset:304
	v_add_f64_e32 v[4:5], v[4:5], v[140:141]
	v_add_f64_e32 v[12:13], v[12:13], v[132:133]
	;; [unrolled: 18-line block ×3, first 2 shown]
	v_fmac_f64_e32 v[136:137], v[86:87], v[108:109]
	v_fma_f64 v[140:141], v[84:85], v[108:109], -v[110:111]
	ds_load_b128 v[84:87], v2 offset:720
	s_wait_loadcnt_dscnt 0xa01
	v_mul_f64_e32 v[134:135], v[8:9], v[114:115]
	v_mul_f64_e32 v[114:115], v[10:11], v[114:115]
	scratch_load_b128 v[108:111], off, off offset:352
	v_add_f64_e32 v[4:5], v[4:5], v[138:139]
	v_add_f64_e32 v[12:13], v[12:13], v[132:133]
	s_wait_loadcnt_dscnt 0xa00
	v_mul_f64_e32 v[132:133], v[84:85], v[122:123]
	v_mul_f64_e32 v[122:123], v[86:87], v[122:123]
	v_fmac_f64_e32 v[134:135], v[10:11], v[112:113]
	v_fma_f64 v[138:139], v[8:9], v[112:113], -v[114:115]
	scratch_load_b128 v[112:115], off, off offset:368
	ds_load_b128 v[8:11], v2 offset:736
	v_add_f64_e32 v[4:5], v[4:5], v[140:141]
	v_add_f64_e32 v[12:13], v[12:13], v[136:137]
	v_fmac_f64_e32 v[132:133], v[86:87], v[120:121]
	v_fma_f64 v[140:141], v[84:85], v[120:121], -v[122:123]
	ds_load_b128 v[84:87], v2 offset:752
	s_wait_loadcnt_dscnt 0xa01
	v_mul_f64_e32 v[136:137], v[8:9], v[126:127]
	v_mul_f64_e32 v[126:127], v[10:11], v[126:127]
	scratch_load_b128 v[120:123], off, off offset:384
	v_add_f64_e32 v[4:5], v[4:5], v[138:139]
	v_add_f64_e32 v[12:13], v[12:13], v[134:135]
	s_wait_loadcnt_dscnt 0xa00
	v_mul_f64_e32 v[134:135], v[84:85], v[130:131]
	v_mul_f64_e32 v[130:131], v[86:87], v[130:131]
	v_fmac_f64_e32 v[136:137], v[10:11], v[124:125]
	v_fma_f64 v[138:139], v[8:9], v[124:125], -v[126:127]
	ds_load_b128 v[8:11], v2 offset:768
	scratch_load_b128 v[124:127], off, off offset:400
	v_add_f64_e32 v[4:5], v[4:5], v[140:141]
	v_add_f64_e32 v[12:13], v[12:13], v[132:133]
	s_wait_loadcnt_dscnt 0xa00
	v_mul_f64_e32 v[140:141], v[8:9], v[82:83]
	v_mul_f64_e32 v[132:133], v[10:11], v[82:83]
	v_fmac_f64_e32 v[134:135], v[86:87], v[128:129]
	v_fma_f64 v[86:87], v[84:85], v[128:129], -v[130:131]
	ds_load_b128 v[82:85], v2 offset:784
	scratch_load_b128 v[128:131], off, off offset:416
	v_add_f64_e32 v[4:5], v[4:5], v[138:139]
	v_add_f64_e32 v[12:13], v[12:13], v[136:137]
	v_fmac_f64_e32 v[140:141], v[10:11], v[80:81]
	v_fma_f64 v[80:81], v[8:9], v[80:81], -v[132:133]
	ds_load_b128 v[8:11], v2 offset:800
	s_wait_loadcnt_dscnt 0xa01
	v_mul_f64_e32 v[136:137], v[82:83], v[118:119]
	v_mul_f64_e32 v[118:119], v[84:85], v[118:119]
	s_wait_loadcnt_dscnt 0x900
	v_mul_f64_e32 v[138:139], v[8:9], v[90:91]
	v_mul_f64_e32 v[90:91], v[10:11], v[90:91]
	v_add_f64_e32 v[4:5], v[4:5], v[86:87]
	v_add_f64_e32 v[12:13], v[12:13], v[134:135]
	scratch_load_b128 v[132:135], off, off offset:432
	v_fmac_f64_e32 v[136:137], v[84:85], v[116:117]
	v_fma_f64 v[116:117], v[82:83], v[116:117], -v[118:119]
	scratch_load_b128 v[84:87], off, off offset:448
	v_fmac_f64_e32 v[138:139], v[10:11], v[88:89]
	v_add_f64_e32 v[4:5], v[4:5], v[80:81]
	v_add_f64_e32 v[12:13], v[12:13], v[140:141]
	ds_load_b128 v[80:83], v2 offset:816
	v_fma_f64 v[140:141], v[8:9], v[88:89], -v[90:91]
	ds_load_b128 v[8:11], v2 offset:832
	scratch_load_b128 v[88:91], off, off offset:464
	s_wait_loadcnt_dscnt 0xb01
	v_mul_f64_e32 v[118:119], v[80:81], v[94:95]
	v_mul_f64_e32 v[94:95], v[82:83], v[94:95]
	v_add_f64_e32 v[4:5], v[4:5], v[116:117]
	v_add_f64_e32 v[12:13], v[12:13], v[136:137]
	s_wait_loadcnt_dscnt 0xa00
	v_mul_f64_e32 v[116:117], v[8:9], v[98:99]
	v_mul_f64_e32 v[98:99], v[10:11], v[98:99]
	v_fmac_f64_e32 v[118:119], v[82:83], v[92:93]
	v_fma_f64 v[136:137], v[80:81], v[92:93], -v[94:95]
	ds_load_b128 v[80:83], v2 offset:848
	scratch_load_b128 v[92:95], off, off offset:480
	v_add_f64_e32 v[4:5], v[4:5], v[140:141]
	v_add_f64_e32 v[12:13], v[12:13], v[138:139]
	v_fmac_f64_e32 v[116:117], v[10:11], v[96:97]
	v_fma_f64 v[140:141], v[8:9], v[96:97], -v[98:99]
	ds_load_b128 v[8:11], v2 offset:864
	scratch_load_b128 v[96:99], off, off offset:496
	s_wait_loadcnt_dscnt 0xb01
	v_mul_f64_e32 v[138:139], v[80:81], v[102:103]
	v_mul_f64_e32 v[102:103], v[82:83], v[102:103]
	v_add_f64_e32 v[4:5], v[4:5], v[136:137]
	v_add_f64_e32 v[12:13], v[12:13], v[118:119]
	s_wait_loadcnt_dscnt 0xa00
	v_mul_f64_e32 v[118:119], v[8:9], v[106:107]
	v_mul_f64_e32 v[106:107], v[10:11], v[106:107]
	v_fmac_f64_e32 v[138:139], v[82:83], v[100:101]
	v_fma_f64 v[136:137], v[80:81], v[100:101], -v[102:103]
	ds_load_b128 v[80:83], v2 offset:880
	scratch_load_b128 v[100:103], off, off offset:512
	v_add_f64_e32 v[4:5], v[4:5], v[140:141]
	v_add_f64_e32 v[12:13], v[12:13], v[116:117]
	v_fmac_f64_e32 v[118:119], v[10:11], v[104:105]
	v_fma_f64 v[104:105], v[8:9], v[104:105], -v[106:107]
	ds_load_b128 v[8:11], v2 offset:896
	s_wait_loadcnt_dscnt 0x900
	v_mul_f64_e32 v[106:107], v[10:11], v[114:115]
	v_add_f64_e32 v[4:5], v[4:5], v[136:137]
	v_mul_f64_e32 v[136:137], v[8:9], v[114:115]
	v_add_f64_e32 v[12:13], v[12:13], v[138:139]
	s_delay_alu instid0(VALU_DEP_3) | instskip(NEXT) | instid1(VALU_DEP_3)
	v_add_f64_e32 v[4:5], v[4:5], v[104:105]
	v_fmac_f64_e32 v[136:137], v[10:11], v[112:113]
	v_fma_f64 v[112:113], v[8:9], v[112:113], -v[106:107]
	scratch_load_b128 v[104:107], off, off offset:16
	v_mul_f64_e32 v[116:117], v[80:81], v[110:111]
	v_mul_f64_e32 v[110:111], v[82:83], v[110:111]
	v_add_f64_e32 v[12:13], v[12:13], v[118:119]
	ds_load_b128 v[8:11], v2 offset:928
	v_fmac_f64_e32 v[116:117], v[82:83], v[108:109]
	v_fma_f64 v[108:109], v[80:81], v[108:109], -v[110:111]
	ds_load_b128 v[80:83], v2 offset:912
	s_wait_loadcnt_dscnt 0x900
	v_mul_f64_e32 v[110:111], v[80:81], v[122:123]
	v_mul_f64_e32 v[114:115], v[82:83], v[122:123]
	v_add_f64_e32 v[12:13], v[12:13], v[116:117]
	v_add_f64_e32 v[4:5], v[4:5], v[108:109]
	s_wait_loadcnt 0x8
	v_mul_f64_e32 v[108:109], v[8:9], v[126:127]
	v_mul_f64_e32 v[116:117], v[10:11], v[126:127]
	v_fmac_f64_e32 v[110:111], v[82:83], v[120:121]
	v_fma_f64 v[114:115], v[80:81], v[120:121], -v[114:115]
	ds_load_b128 v[80:83], v2 offset:944
	v_add_f64_e32 v[12:13], v[12:13], v[136:137]
	v_add_f64_e32 v[4:5], v[4:5], v[112:113]
	v_fmac_f64_e32 v[108:109], v[10:11], v[124:125]
	v_fma_f64 v[116:117], v[8:9], v[124:125], -v[116:117]
	ds_load_b128 v[8:11], v2 offset:960
	s_wait_loadcnt_dscnt 0x701
	v_mul_f64_e32 v[112:113], v[80:81], v[130:131]
	v_mul_f64_e32 v[118:119], v[82:83], v[130:131]
	v_add_f64_e32 v[12:13], v[12:13], v[110:111]
	v_add_f64_e32 v[4:5], v[4:5], v[114:115]
	s_wait_loadcnt_dscnt 0x600
	v_mul_f64_e32 v[110:111], v[8:9], v[134:135]
	v_mul_f64_e32 v[114:115], v[10:11], v[134:135]
	v_fmac_f64_e32 v[112:113], v[82:83], v[128:129]
	v_fma_f64 v[118:119], v[80:81], v[128:129], -v[118:119]
	ds_load_b128 v[80:83], v2 offset:976
	v_add_f64_e32 v[12:13], v[12:13], v[108:109]
	v_add_f64_e32 v[4:5], v[4:5], v[116:117]
	v_fmac_f64_e32 v[110:111], v[10:11], v[132:133]
	v_fma_f64 v[114:115], v[8:9], v[132:133], -v[114:115]
	ds_load_b128 v[8:11], v2 offset:992
	s_wait_loadcnt_dscnt 0x501
	v_mul_f64_e32 v[108:109], v[80:81], v[86:87]
	v_mul_f64_e32 v[86:87], v[82:83], v[86:87]
	v_add_f64_e32 v[12:13], v[12:13], v[112:113]
	v_add_f64_e32 v[4:5], v[4:5], v[118:119]
	s_wait_loadcnt_dscnt 0x400
	v_mul_f64_e32 v[112:113], v[8:9], v[90:91]
	v_mul_f64_e32 v[90:91], v[10:11], v[90:91]
	v_fmac_f64_e32 v[108:109], v[82:83], v[84:85]
	v_fma_f64 v[84:85], v[80:81], v[84:85], -v[86:87]
	ds_load_b128 v[80:83], v2 offset:1008
	v_add_f64_e32 v[12:13], v[12:13], v[110:111]
	v_add_f64_e32 v[4:5], v[4:5], v[114:115]
	v_fmac_f64_e32 v[112:113], v[10:11], v[88:89]
	v_fma_f64 v[88:89], v[8:9], v[88:89], -v[90:91]
	ds_load_b128 v[8:11], v2 offset:1024
	s_wait_loadcnt_dscnt 0x301
	v_mul_f64_e32 v[86:87], v[80:81], v[94:95]
	v_mul_f64_e32 v[94:95], v[82:83], v[94:95]
	s_wait_loadcnt_dscnt 0x200
	v_mul_f64_e32 v[90:91], v[10:11], v[98:99]
	v_add_f64_e32 v[12:13], v[12:13], v[108:109]
	v_add_f64_e32 v[4:5], v[4:5], v[84:85]
	v_mul_f64_e32 v[84:85], v[8:9], v[98:99]
	v_fmac_f64_e32 v[86:87], v[82:83], v[92:93]
	v_fma_f64 v[92:93], v[80:81], v[92:93], -v[94:95]
	ds_load_b128 v[80:83], v2 offset:1040
	v_fma_f64 v[8:9], v[8:9], v[96:97], -v[90:91]
	s_wait_loadcnt_dscnt 0x100
	v_mul_f64_e32 v[94:95], v[82:83], v[102:103]
	v_add_f64_e32 v[12:13], v[12:13], v[112:113]
	v_add_f64_e32 v[4:5], v[4:5], v[88:89]
	v_mul_f64_e32 v[88:89], v[80:81], v[102:103]
	v_fmac_f64_e32 v[84:85], v[10:11], v[96:97]
	s_delay_alu instid0(VALU_DEP_4) | instskip(NEXT) | instid1(VALU_DEP_4)
	v_add_f64_e32 v[10:11], v[12:13], v[86:87]
	v_add_f64_e32 v[4:5], v[4:5], v[92:93]
	s_delay_alu instid0(VALU_DEP_4) | instskip(SKIP_1) | instid1(VALU_DEP_3)
	v_fmac_f64_e32 v[88:89], v[82:83], v[100:101]
	v_fma_f64 v[12:13], v[80:81], v[100:101], -v[94:95]
	v_add_f64_e32 v[4:5], v[4:5], v[8:9]
	v_add_f64_e32 v[8:9], v[10:11], v[84:85]
	s_delay_alu instid0(VALU_DEP_2) | instskip(NEXT) | instid1(VALU_DEP_2)
	v_add_f64_e32 v[4:5], v[4:5], v[12:13]
	v_add_f64_e32 v[10:11], v[8:9], v[88:89]
	s_wait_loadcnt 0x0
	s_delay_alu instid0(VALU_DEP_2) | instskip(NEXT) | instid1(VALU_DEP_2)
	v_add_f64_e64 v[8:9], v[104:105], -v[4:5]
	v_add_f64_e64 v[10:11], v[106:107], -v[10:11]
	scratch_store_b128 off, v[8:11], off offset:16
	s_wait_xcnt 0x0
	v_cmpx_ne_u32_e32 0, v1
	s_cbranch_execz .LBB32_211
; %bb.210:
	scratch_load_b128 v[8:11], off, off
	v_dual_mov_b32 v3, v2 :: v_dual_mov_b32 v4, v2
	v_mov_b32_e32 v5, v2
	scratch_store_b128 off, v[2:5], off
	s_wait_loadcnt 0x0
	ds_store_b128 v6, v[8:11]
.LBB32_211:
	s_wait_xcnt 0x0
	s_or_b32 exec_lo, exec_lo, s2
	s_wait_storecnt_dscnt 0x0
	s_barrier_signal -1
	s_barrier_wait -1
	s_clause 0x9
	scratch_load_b128 v[4:7], off, off offset:16
	scratch_load_b128 v[8:11], off, off offset:32
	;; [unrolled: 1-line block ×10, first 2 shown]
	ds_load_b128 v[112:115], v2 offset:544
	ds_load_b128 v[120:123], v2 offset:560
	s_clause 0x2
	scratch_load_b128 v[116:119], off, off offset:176
	scratch_load_b128 v[124:127], off, off
	scratch_load_b128 v[128:131], off, off offset:192
	s_and_b32 vcc_lo, exec_lo, s45
	s_wait_loadcnt_dscnt 0xc01
	v_mul_f64_e32 v[132:133], v[114:115], v[6:7]
	v_mul_f64_e32 v[134:135], v[112:113], v[6:7]
	s_wait_loadcnt_dscnt 0xb00
	v_mul_f64_e32 v[136:137], v[120:121], v[10:11]
	v_mul_f64_e32 v[138:139], v[122:123], v[10:11]
	ds_load_b128 v[10:13], v2 offset:576
	v_fma_f64 v[132:133], v[112:113], v[4:5], -v[132:133]
	v_fmac_f64_e32 v[134:135], v[114:115], v[4:5]
	ds_load_b128 v[4:7], v2 offset:592
	s_wait_loadcnt_dscnt 0xa01
	v_mul_f64_e32 v[140:141], v[10:11], v[82:83]
	v_mul_f64_e32 v[82:83], v[12:13], v[82:83]
	v_fmac_f64_e32 v[136:137], v[122:123], v[8:9]
	v_fma_f64 v[120:121], v[120:121], v[8:9], -v[138:139]
	scratch_load_b128 v[112:115], off, off offset:208
	v_add_f64_e32 v[122:123], 0, v[132:133]
	v_add_f64_e32 v[132:133], 0, v[134:135]
	s_wait_loadcnt_dscnt 0xa00
	v_mul_f64_e32 v[134:135], v[4:5], v[86:87]
	v_mul_f64_e32 v[86:87], v[6:7], v[86:87]
	v_fmac_f64_e32 v[140:141], v[12:13], v[80:81]
	v_fma_f64 v[12:13], v[10:11], v[80:81], -v[82:83]
	scratch_load_b128 v[8:11], off, off offset:224
	ds_load_b128 v[80:83], v2 offset:608
	v_add_f64_e32 v[138:139], v[122:123], v[120:121]
	v_add_f64_e32 v[132:133], v[132:133], v[136:137]
	ds_load_b128 v[120:123], v2 offset:624
	s_wait_loadcnt_dscnt 0xa01
	v_mul_f64_e32 v[136:137], v[80:81], v[90:91]
	v_fmac_f64_e32 v[134:135], v[6:7], v[84:85]
	v_fma_f64 v[142:143], v[4:5], v[84:85], -v[86:87]
	v_mul_f64_e32 v[84:85], v[82:83], v[90:91]
	scratch_load_b128 v[4:7], off, off offset:240
	v_add_f64_e32 v[12:13], v[138:139], v[12:13]
	v_add_f64_e32 v[90:91], v[132:133], v[140:141]
	s_wait_loadcnt_dscnt 0xa00
	v_mul_f64_e32 v[132:133], v[120:121], v[94:95]
	v_mul_f64_e32 v[94:95], v[122:123], v[94:95]
	v_fmac_f64_e32 v[136:137], v[82:83], v[88:89]
	v_fma_f64 v[138:139], v[80:81], v[88:89], -v[84:85]
	scratch_load_b128 v[80:83], off, off offset:256
	ds_load_b128 v[84:87], v2 offset:640
	v_add_f64_e32 v[12:13], v[12:13], v[142:143]
	v_add_f64_e32 v[134:135], v[90:91], v[134:135]
	ds_load_b128 v[88:91], v2 offset:656
	s_wait_loadcnt_dscnt 0xa01
	v_mul_f64_e32 v[140:141], v[84:85], v[98:99]
	v_fmac_f64_e32 v[132:133], v[122:123], v[92:93]
	v_fma_f64 v[120:121], v[120:121], v[92:93], -v[94:95]
	v_mul_f64_e32 v[98:99], v[86:87], v[98:99]
	scratch_load_b128 v[92:95], off, off offset:272
	v_add_f64_e32 v[12:13], v[12:13], v[138:139]
	v_add_f64_e32 v[122:123], v[134:135], v[136:137]
	s_wait_loadcnt_dscnt 0xa00
	v_mul_f64_e32 v[134:135], v[88:89], v[102:103]
	v_mul_f64_e32 v[102:103], v[90:91], v[102:103]
	v_fmac_f64_e32 v[140:141], v[86:87], v[96:97]
	v_fma_f64 v[136:137], v[84:85], v[96:97], -v[98:99]
	scratch_load_b128 v[84:87], off, off offset:288
	ds_load_b128 v[96:99], v2 offset:672
	v_add_f64_e32 v[12:13], v[12:13], v[120:121]
	v_add_f64_e32 v[132:133], v[122:123], v[132:133]
	scratch_load_b128 v[120:123], off, off offset:304
	v_fmac_f64_e32 v[134:135], v[90:91], v[100:101]
	v_fma_f64 v[138:139], v[88:89], v[100:101], -v[102:103]
	ds_load_b128 v[88:91], v2 offset:688
	s_wait_loadcnt_dscnt 0xb01
	v_mul_f64_e32 v[142:143], v[96:97], v[106:107]
	v_mul_f64_e32 v[106:107], v[98:99], v[106:107]
	scratch_load_b128 v[100:103], off, off offset:320
	v_add_f64_e32 v[12:13], v[12:13], v[136:137]
	v_add_f64_e32 v[132:133], v[132:133], v[140:141]
	s_wait_loadcnt_dscnt 0xb00
	v_mul_f64_e32 v[136:137], v[88:89], v[110:111]
	v_mul_f64_e32 v[110:111], v[90:91], v[110:111]
	v_fmac_f64_e32 v[142:143], v[98:99], v[104:105]
	v_fma_f64 v[140:141], v[96:97], v[104:105], -v[106:107]
	ds_load_b128 v[96:99], v2 offset:704
	ds_load_b128 v[104:107], v2 offset:720
	v_add_f64_e32 v[12:13], v[12:13], v[138:139]
	v_add_f64_e32 v[132:133], v[132:133], v[134:135]
	s_wait_loadcnt_dscnt 0xa01
	v_mul_f64_e32 v[134:135], v[96:97], v[118:119]
	v_fmac_f64_e32 v[136:137], v[90:91], v[108:109]
	v_fma_f64 v[108:109], v[88:89], v[108:109], -v[110:111]
	v_mul_f64_e32 v[110:111], v[98:99], v[118:119]
	scratch_load_b128 v[88:91], off, off offset:336
	v_add_f64_e32 v[12:13], v[12:13], v[140:141]
	v_add_f64_e32 v[118:119], v[132:133], v[142:143]
	s_wait_loadcnt_dscnt 0x900
	v_mul_f64_e32 v[132:133], v[104:105], v[130:131]
	v_mul_f64_e32 v[130:131], v[106:107], v[130:131]
	v_fmac_f64_e32 v[134:135], v[98:99], v[116:117]
	v_fma_f64 v[138:139], v[96:97], v[116:117], -v[110:111]
	scratch_load_b128 v[96:99], off, off offset:352
	v_add_f64_e32 v[12:13], v[12:13], v[108:109]
	v_add_f64_e32 v[136:137], v[118:119], v[136:137]
	ds_load_b128 v[108:111], v2 offset:736
	ds_load_b128 v[116:119], v2 offset:752
	v_fmac_f64_e32 v[132:133], v[106:107], v[128:129]
	v_fma_f64 v[128:129], v[104:105], v[128:129], -v[130:131]
	scratch_load_b128 v[104:107], off, off offset:368
	s_wait_loadcnt_dscnt 0xa01
	v_mul_f64_e32 v[140:141], v[108:109], v[114:115]
	v_mul_f64_e32 v[114:115], v[110:111], v[114:115]
	v_add_f64_e32 v[130:131], v[12:13], v[138:139]
	v_add_f64_e32 v[134:135], v[136:137], v[134:135]
	s_wait_loadcnt_dscnt 0x900
	v_mul_f64_e32 v[136:137], v[116:117], v[10:11]
	v_mul_f64_e32 v[138:139], v[118:119], v[10:11]
	scratch_load_b128 v[10:13], off, off offset:384
	v_fmac_f64_e32 v[140:141], v[110:111], v[112:113]
	v_fma_f64 v[142:143], v[108:109], v[112:113], -v[114:115]
	ds_load_b128 v[108:111], v2 offset:768
	ds_load_b128 v[112:115], v2 offset:784
	v_add_f64_e32 v[128:129], v[130:131], v[128:129]
	v_add_f64_e32 v[130:131], v[134:135], v[132:133]
	v_fmac_f64_e32 v[136:137], v[118:119], v[8:9]
	v_fma_f64 v[116:117], v[116:117], v[8:9], -v[138:139]
	s_wait_loadcnt_dscnt 0x901
	v_mul_f64_e32 v[132:133], v[108:109], v[6:7]
	v_mul_f64_e32 v[118:119], v[110:111], v[6:7]
	scratch_load_b128 v[6:9], off, off offset:400
	v_add_f64_e32 v[128:129], v[128:129], v[142:143]
	v_add_f64_e32 v[130:131], v[130:131], v[140:141]
	s_wait_loadcnt_dscnt 0x900
	v_mul_f64_e32 v[134:135], v[112:113], v[82:83]
	v_mul_f64_e32 v[82:83], v[114:115], v[82:83]
	v_fmac_f64_e32 v[132:133], v[110:111], v[4:5]
	v_fma_f64 v[4:5], v[108:109], v[4:5], -v[118:119]
	scratch_load_b128 v[108:111], off, off offset:416
	v_add_f64_e32 v[138:139], v[128:129], v[116:117]
	v_add_f64_e32 v[136:137], v[130:131], v[136:137]
	ds_load_b128 v[116:119], v2 offset:800
	ds_load_b128 v[128:131], v2 offset:816
	v_fmac_f64_e32 v[134:135], v[114:115], v[80:81]
	v_fma_f64 v[112:113], v[112:113], v[80:81], -v[82:83]
	scratch_load_b128 v[80:83], off, off offset:432
	s_wait_loadcnt_dscnt 0xa01
	v_mul_f64_e32 v[140:141], v[116:117], v[94:95]
	v_mul_f64_e32 v[94:95], v[118:119], v[94:95]
	v_add_f64_e32 v[4:5], v[138:139], v[4:5]
	v_add_f64_e32 v[114:115], v[136:137], v[132:133]
	s_wait_loadcnt_dscnt 0x900
	v_mul_f64_e32 v[132:133], v[128:129], v[86:87]
	v_mul_f64_e32 v[86:87], v[130:131], v[86:87]
	v_fmac_f64_e32 v[140:141], v[118:119], v[92:93]
	v_fma_f64 v[136:137], v[116:117], v[92:93], -v[94:95]
	scratch_load_b128 v[92:95], off, off offset:448
	v_add_f64_e32 v[4:5], v[4:5], v[112:113]
	v_add_f64_e32 v[134:135], v[114:115], v[134:135]
	ds_load_b128 v[112:115], v2 offset:832
	ds_load_b128 v[116:119], v2 offset:848
	v_fmac_f64_e32 v[132:133], v[130:131], v[84:85]
	v_fma_f64 v[128:129], v[128:129], v[84:85], -v[86:87]
	scratch_load_b128 v[84:87], off, off offset:464
	s_wait_loadcnt_dscnt 0xa01
	v_mul_f64_e32 v[138:139], v[112:113], v[122:123]
	v_mul_f64_e32 v[122:123], v[114:115], v[122:123]
	v_add_f64_e32 v[4:5], v[4:5], v[136:137]
	v_add_f64_e32 v[130:131], v[134:135], v[140:141]
	s_wait_loadcnt_dscnt 0x900
	v_mul_f64_e32 v[134:135], v[116:117], v[102:103]
	v_mul_f64_e32 v[102:103], v[118:119], v[102:103]
	v_fmac_f64_e32 v[138:139], v[114:115], v[120:121]
	v_fma_f64 v[136:137], v[112:113], v[120:121], -v[122:123]
	scratch_load_b128 v[112:115], off, off offset:480
	ds_load_b128 v[120:123], v2 offset:864
	v_add_f64_e32 v[4:5], v[4:5], v[128:129]
	v_add_f64_e32 v[132:133], v[130:131], v[132:133]
	scratch_load_b128 v[128:131], off, off offset:496
	v_fmac_f64_e32 v[134:135], v[118:119], v[100:101]
	v_fma_f64 v[140:141], v[116:117], v[100:101], -v[102:103]
	ds_load_b128 v[100:103], v2 offset:880
	scratch_load_b128 v[116:119], off, off offset:512
	s_wait_loadcnt_dscnt 0xb01
	v_mul_f64_e32 v[142:143], v[120:121], v[90:91]
	v_mul_f64_e32 v[90:91], v[122:123], v[90:91]
	v_add_f64_e32 v[4:5], v[4:5], v[136:137]
	v_add_f64_e32 v[132:133], v[132:133], v[138:139]
	s_wait_loadcnt_dscnt 0xa00
	v_mul_f64_e32 v[136:137], v[100:101], v[98:99]
	v_mul_f64_e32 v[98:99], v[102:103], v[98:99]
	v_fmac_f64_e32 v[142:143], v[122:123], v[88:89]
	v_fma_f64 v[138:139], v[120:121], v[88:89], -v[90:91]
	ds_load_b128 v[88:91], v2 offset:896
	ds_load_b128 v[120:123], v2 offset:912
	v_add_f64_e32 v[4:5], v[4:5], v[140:141]
	v_add_f64_e32 v[132:133], v[132:133], v[134:135]
	s_wait_loadcnt_dscnt 0x901
	v_mul_f64_e32 v[134:135], v[88:89], v[106:107]
	v_fmac_f64_e32 v[136:137], v[102:103], v[96:97]
	v_fma_f64 v[96:97], v[100:101], v[96:97], -v[98:99]
	v_mul_f64_e32 v[98:99], v[90:91], v[106:107]
	v_add_f64_e32 v[4:5], v[4:5], v[138:139]
	v_add_f64_e32 v[100:101], v[132:133], v[142:143]
	v_fmac_f64_e32 v[134:135], v[90:91], v[104:105]
	s_wait_loadcnt_dscnt 0x800
	v_mul_f64_e32 v[102:103], v[120:121], v[12:13]
	v_mul_f64_e32 v[12:13], v[122:123], v[12:13]
	v_fma_f64 v[104:105], v[88:89], v[104:105], -v[98:99]
	v_add_f64_e32 v[4:5], v[4:5], v[96:97]
	v_add_f64_e32 v[100:101], v[100:101], v[136:137]
	ds_load_b128 v[88:91], v2 offset:928
	ds_load_b128 v[96:99], v2 offset:944
	v_fmac_f64_e32 v[102:103], v[122:123], v[10:11]
	v_fma_f64 v[10:11], v[120:121], v[10:11], -v[12:13]
	s_wait_loadcnt_dscnt 0x701
	v_mul_f64_e32 v[106:107], v[88:89], v[8:9]
	v_mul_f64_e32 v[8:9], v[90:91], v[8:9]
	v_add_f64_e32 v[4:5], v[4:5], v[104:105]
	v_add_f64_e32 v[12:13], v[100:101], v[134:135]
	s_wait_loadcnt_dscnt 0x600
	v_mul_f64_e32 v[100:101], v[96:97], v[110:111]
	v_mul_f64_e32 v[104:105], v[98:99], v[110:111]
	v_fmac_f64_e32 v[106:107], v[90:91], v[6:7]
	v_fma_f64 v[88:89], v[88:89], v[6:7], -v[8:9]
	v_add_f64_e32 v[90:91], v[4:5], v[10:11]
	v_add_f64_e32 v[12:13], v[12:13], v[102:103]
	ds_load_b128 v[4:7], v2 offset:960
	ds_load_b128 v[8:11], v2 offset:976
	v_fmac_f64_e32 v[100:101], v[98:99], v[108:109]
	v_fma_f64 v[96:97], v[96:97], v[108:109], -v[104:105]
	s_wait_loadcnt_dscnt 0x501
	v_mul_f64_e32 v[102:103], v[4:5], v[82:83]
	v_mul_f64_e32 v[82:83], v[6:7], v[82:83]
	v_add_f64_e32 v[88:89], v[90:91], v[88:89]
	v_add_f64_e32 v[12:13], v[12:13], v[106:107]
	s_delay_alu instid0(VALU_DEP_4) | instskip(NEXT) | instid1(VALU_DEP_4)
	v_fmac_f64_e32 v[102:103], v[6:7], v[80:81]
	v_fma_f64 v[98:99], v[4:5], v[80:81], -v[82:83]
	s_wait_loadcnt_dscnt 0x400
	v_mul_f64_e32 v[90:91], v[8:9], v[94:95]
	v_mul_f64_e32 v[94:95], v[10:11], v[94:95]
	ds_load_b128 v[4:7], v2 offset:992
	ds_load_b128 v[80:83], v2 offset:1008
	v_add_f64_e32 v[88:89], v[88:89], v[96:97]
	v_add_f64_e32 v[12:13], v[12:13], v[100:101]
	s_wait_loadcnt_dscnt 0x301
	v_mul_f64_e32 v[96:97], v[4:5], v[86:87]
	v_mul_f64_e32 v[86:87], v[6:7], v[86:87]
	v_fmac_f64_e32 v[90:91], v[10:11], v[92:93]
	v_fma_f64 v[8:9], v[8:9], v[92:93], -v[94:95]
	v_lshl_add_u64 v[94:95], v[18:19], 4, s[4:5]
	v_lshl_add_u64 v[18:19], v[46:47], 4, s[4:5]
	;; [unrolled: 1-line block ×3, first 2 shown]
	v_add_f64_e32 v[10:11], v[88:89], v[98:99]
	v_add_f64_e32 v[12:13], v[12:13], v[102:103]
	v_fmac_f64_e32 v[96:97], v[6:7], v[84:85]
	v_fma_f64 v[84:85], v[4:5], v[84:85], -v[86:87]
	s_wait_loadcnt_dscnt 0x200
	v_mul_f64_e32 v[88:89], v[80:81], v[114:115]
	v_mul_f64_e32 v[92:93], v[82:83], v[114:115]
	v_add_f64_e32 v[86:87], v[10:11], v[8:9]
	v_add_f64_e32 v[12:13], v[12:13], v[90:91]
	ds_load_b128 v[4:7], v2 offset:1024
	ds_load_b128 v[8:11], v2 offset:1040
	s_wait_loadcnt_dscnt 0x101
	v_mul_f64_e32 v[2:3], v[4:5], v[130:131]
	v_mul_f64_e32 v[90:91], v[6:7], v[130:131]
	v_fmac_f64_e32 v[88:89], v[82:83], v[112:113]
	v_fma_f64 v[80:81], v[80:81], v[112:113], -v[92:93]
	v_lshl_add_u64 v[92:93], v[22:23], 4, s[4:5]
	v_lshl_add_u64 v[22:23], v[50:51], 4, s[4:5]
	;; [unrolled: 1-line block ×3, first 2 shown]
	v_add_f64_e32 v[82:83], v[86:87], v[84:85]
	v_add_f64_e32 v[12:13], v[12:13], v[96:97]
	s_wait_loadcnt_dscnt 0x0
	v_mul_f64_e32 v[84:85], v[8:9], v[118:119]
	v_mul_f64_e32 v[86:87], v[10:11], v[118:119]
	v_fmac_f64_e32 v[2:3], v[6:7], v[128:129]
	v_fma_f64 v[4:5], v[4:5], v[128:129], -v[90:91]
	v_lshl_add_u64 v[90:91], v[20:21], 4, s[4:5]
	v_lshl_add_u64 v[20:21], v[48:49], 4, s[4:5]
	;; [unrolled: 1-line block ×3, first 2 shown]
	v_add_f64_e32 v[6:7], v[82:83], v[80:81]
	v_add_f64_e32 v[12:13], v[12:13], v[88:89]
	v_fmac_f64_e32 v[84:85], v[10:11], v[116:117]
	v_fma_f64 v[8:9], v[8:9], v[116:117], -v[86:87]
	v_lshl_add_u64 v[88:89], v[24:25], 4, s[4:5]
	v_lshl_add_u64 v[86:87], v[26:27], 4, s[4:5]
	;; [unrolled: 1-line block ×10, first 2 shown]
	v_add_f64_e32 v[4:5], v[6:7], v[4:5]
	v_add_f64_e32 v[2:3], v[12:13], v[2:3]
	v_lshl_add_u64 v[6:7], v[38:39], 4, s[4:5]
	v_lshl_add_u64 v[12:13], v[44:45], 4, s[4:5]
	;; [unrolled: 1-line block ×4, first 2 shown]
	v_add_f64_e32 v[4:5], v[4:5], v[8:9]
	v_add_f64_e32 v[2:3], v[2:3], v[84:85]
	v_lshl_add_u64 v[84:85], v[30:31], 4, s[4:5]
	v_lshl_add_u64 v[8:9], v[40:41], 4, s[4:5]
	;; [unrolled: 1-line block ×4, first 2 shown]
	v_add_f64_e64 v[96:97], v[124:125], -v[4:5]
	v_add_f64_e64 v[98:99], v[126:127], -v[2:3]
	v_lshl_add_u64 v[2:3], v[34:35], 4, s[4:5]
	v_lshl_add_u64 v[4:5], v[36:37], 4, s[4:5]
	;; [unrolled: 1-line block ×4, first 2 shown]
	scratch_store_b128 off, v[96:99], off
	s_cbranch_vccz .LBB32_276
; %bb.212:
	v_mov_b32_e32 v52, 0
	s_load_b64 s[2:3], s[0:1], 0x4
	v_bfe_u32 v54, v0, 10, 10
	v_bfe_u32 v0, v0, 20, 10
	global_load_b32 v53, v52, s[16:17] offset:124
	s_wait_kmcnt 0x0
	s_lshr_b32 s0, s2, 16
	v_mul_u32_u24_e32 v54, s3, v54
	s_mul_i32 s0, s0, s3
	s_delay_alu instid0(SALU_CYCLE_1) | instskip(NEXT) | instid1(VALU_DEP_1)
	v_mul_u32_u24_e32 v1, s0, v1
	v_add3_u32 v0, v1, v54, v0
	s_delay_alu instid0(VALU_DEP_1)
	v_lshl_add_u32 v0, v0, 4, 0x428
	s_wait_loadcnt 0x0
	v_cmp_ne_u32_e32 vcc_lo, 32, v53
	s_cbranch_vccz .LBB32_214
; %bb.213:
	v_lshlrev_b32_e32 v1, 4, v53
	s_clause 0x1
	scratch_load_b128 v[54:57], off, s11
	scratch_load_b128 v[58:61], v1, off offset:-16
	s_wait_loadcnt 0x1
	ds_store_2addr_b64 v0, v[54:55], v[56:57] offset1:1
	s_wait_loadcnt 0x0
	s_clause 0x1
	scratch_store_b128 off, v[58:61], s11
	scratch_store_b128 v1, v[54:57], off offset:-16
.LBB32_214:
	global_load_b32 v1, v52, s[16:17] offset:120
	s_wait_loadcnt 0x0
	v_cmp_eq_u32_e32 vcc_lo, 31, v1
	s_cbranch_vccnz .LBB32_216
; %bb.215:
	v_lshlrev_b32_e32 v1, 4, v1
	s_clause 0x1
	scratch_load_b128 v[52:55], off, s15
	scratch_load_b128 v[56:59], v1, off offset:-16
	s_wait_loadcnt 0x1
	ds_store_2addr_b64 v0, v[52:53], v[54:55] offset1:1
	s_wait_loadcnt 0x0
	s_clause 0x1
	scratch_store_b128 off, v[56:59], s15
	scratch_store_b128 v1, v[52:55], off offset:-16
.LBB32_216:
	s_wait_xcnt 0x0
	v_mov_b32_e32 v1, 0
	global_load_b32 v52, v1, s[16:17] offset:116
	s_wait_loadcnt 0x0
	v_cmp_eq_u32_e32 vcc_lo, 30, v52
	s_cbranch_vccnz .LBB32_218
; %bb.217:
	v_lshlrev_b32_e32 v52, 4, v52
	s_delay_alu instid0(VALU_DEP_1)
	v_mov_b32_e32 v60, v52
	s_clause 0x1
	scratch_load_b128 v[52:55], off, s8
	scratch_load_b128 v[56:59], v60, off offset:-16
	s_wait_loadcnt 0x1
	ds_store_2addr_b64 v0, v[52:53], v[54:55] offset1:1
	s_wait_loadcnt 0x0
	s_clause 0x1
	scratch_store_b128 off, v[56:59], s8
	scratch_store_b128 v60, v[52:55], off offset:-16
.LBB32_218:
	global_load_b32 v1, v1, s[16:17] offset:112
	s_wait_loadcnt 0x0
	v_cmp_eq_u32_e32 vcc_lo, 29, v1
	s_cbranch_vccnz .LBB32_220
; %bb.219:
	s_wait_xcnt 0x0
	v_lshlrev_b32_e32 v1, 4, v1
	s_clause 0x1
	scratch_load_b128 v[52:55], off, s10
	scratch_load_b128 v[56:59], v1, off offset:-16
	s_wait_loadcnt 0x1
	ds_store_2addr_b64 v0, v[52:53], v[54:55] offset1:1
	s_wait_loadcnt 0x0
	s_clause 0x1
	scratch_store_b128 off, v[56:59], s10
	scratch_store_b128 v1, v[52:55], off offset:-16
.LBB32_220:
	s_wait_xcnt 0x0
	v_mov_b32_e32 v1, 0
	global_load_b32 v52, v1, s[16:17] offset:108
	s_wait_loadcnt 0x0
	v_cmp_eq_u32_e32 vcc_lo, 28, v52
	s_cbranch_vccnz .LBB32_222
; %bb.221:
	v_lshlrev_b32_e32 v52, 4, v52
	s_delay_alu instid0(VALU_DEP_1)
	v_mov_b32_e32 v60, v52
	s_clause 0x1
	scratch_load_b128 v[52:55], off, s9
	scratch_load_b128 v[56:59], v60, off offset:-16
	s_wait_loadcnt 0x1
	ds_store_2addr_b64 v0, v[52:53], v[54:55] offset1:1
	s_wait_loadcnt 0x0
	s_clause 0x1
	scratch_store_b128 off, v[56:59], s9
	scratch_store_b128 v60, v[52:55], off offset:-16
.LBB32_222:
	global_load_b32 v1, v1, s[16:17] offset:104
	s_wait_loadcnt 0x0
	v_cmp_eq_u32_e32 vcc_lo, 27, v1
	s_cbranch_vccnz .LBB32_224
; %bb.223:
	s_wait_xcnt 0x0
	v_lshlrev_b32_e32 v1, 4, v1
	s_clause 0x1
	scratch_load_b128 v[52:55], off, s14
	scratch_load_b128 v[56:59], v1, off offset:-16
	s_wait_loadcnt 0x1
	ds_store_2addr_b64 v0, v[52:53], v[54:55] offset1:1
	s_wait_loadcnt 0x0
	s_clause 0x1
	scratch_store_b128 off, v[56:59], s14
	scratch_store_b128 v1, v[52:55], off offset:-16
.LBB32_224:
	;; [unrolled: 37-line block ×14, first 2 shown]
	s_wait_xcnt 0x0
	v_mov_b32_e32 v1, 0
	global_load_b32 v52, v1, s[16:17] offset:4
	s_wait_loadcnt 0x0
	v_cmp_eq_u32_e32 vcc_lo, 2, v52
	s_cbranch_vccnz .LBB32_274
; %bb.273:
	v_lshlrev_b32_e32 v52, 4, v52
	s_delay_alu instid0(VALU_DEP_1)
	v_mov_b32_e32 v60, v52
	s_clause 0x1
	scratch_load_b128 v[52:55], off, s27
	scratch_load_b128 v[56:59], v60, off offset:-16
	s_wait_loadcnt 0x1
	ds_store_2addr_b64 v0, v[52:53], v[54:55] offset1:1
	s_wait_loadcnt 0x0
	s_clause 0x1
	scratch_store_b128 off, v[56:59], s27
	scratch_store_b128 v60, v[52:55], off offset:-16
.LBB32_274:
	global_load_b32 v1, v1, s[16:17]
	s_wait_loadcnt 0x0
	v_cmp_eq_u32_e32 vcc_lo, 1, v1
	s_cbranch_vccnz .LBB32_276
; %bb.275:
	s_wait_xcnt 0x0
	v_lshlrev_b32_e32 v1, 4, v1
	scratch_load_b128 v[52:55], off, off
	scratch_load_b128 v[56:59], v1, off offset:-16
	s_wait_loadcnt 0x1
	ds_store_2addr_b64 v0, v[52:53], v[54:55] offset1:1
	s_wait_loadcnt 0x0
	scratch_store_b128 off, v[56:59], off
	scratch_store_b128 v1, v[52:55], off offset:-16
.LBB32_276:
	scratch_load_b128 v[52:55], off, off
	s_clause 0xf
	scratch_load_b128 v[56:59], off, s27
	scratch_load_b128 v[60:63], off, s22
	;; [unrolled: 1-line block ×15, first 2 shown]
	; meta instruction
	; meta instruction
	;; [unrolled: 1-line block ×15, first 2 shown]
	scratch_load_b128 v[132:135], off, s33
	s_wait_loadcnt 0x10
	global_store_b128 v[14:15], v[52:55], off
	s_clause 0x1
	scratch_load_b128 v[52:55], off, s30
	scratch_load_b128 v[136:139], off, s31
	s_wait_loadcnt 0x11
	global_store_b128 v[16:17], v[56:59], off
	s_clause 0x1
	scratch_load_b128 v[14:17], off, s28
	scratch_load_b128 v[56:59], off, s29
	s_wait_loadcnt 0x12
	global_store_b128 v[94:95], v[60:63], off
	s_clause 0x1
	scratch_load_b128 v[60:63], off, s23
	scratch_load_b128 v[140:143], off, s25
	s_wait_loadcnt 0x13
	global_store_b128 v[90:91], v[64:67], off
	s_wait_loadcnt 0x12
	global_store_b128 v[92:93], v[68:71], off
	s_clause 0x1
	scratch_load_b128 v[64:67], off, s20
	scratch_load_b128 v[68:71], off, s21
	s_wait_loadcnt 0x13
	global_store_b128 v[88:89], v[72:75], off
	s_clause 0x1
	scratch_load_b128 v[72:75], off, s12
	scratch_load_b128 v[88:91], off, s14
	;; [unrolled: 5-line block ×3, first 2 shown]
	s_wait_loadcnt 0x15
	global_store_b128 v[82:83], v[96:99], off
	s_wait_loadcnt 0x14
	global_store_b128 v[84:85], v[100:103], off
	s_clause 0x1
	scratch_load_b128 v[82:85], off, s8
	scratch_load_b128 v[96:99], off, s15
	s_wait_loadcnt 0x15
	global_store_b128 v[80:81], v[104:107], off
	s_clause 0x1
	scratch_load_b128 v[100:103], off, s11
	scratch_load_b128 v[104:107], off, s13
	s_wait_loadcnt 0x16
	global_store_b128 v[2:3], v[108:111], off
	s_wait_loadcnt 0x15
	global_store_b128 v[4:5], v[112:115], off
	;; [unrolled: 2-line block ×23, first 2 shown]
	s_sendmsg sendmsg(MSG_DEALLOC_VGPRS)
	s_endpgm
	.section	.rodata,"a",@progbits
	.p2align	6, 0x0
	.amdhsa_kernel _ZN9rocsolver6v33100L18getri_kernel_smallILi33E19rocblas_complex_numIdEPS3_EEvT1_iilPiilS6_bb
		.amdhsa_group_segment_fixed_size 2088
		.amdhsa_private_segment_fixed_size 544
		.amdhsa_kernarg_size 60
		.amdhsa_user_sgpr_count 4
		.amdhsa_user_sgpr_dispatch_ptr 1
		.amdhsa_user_sgpr_queue_ptr 0
		.amdhsa_user_sgpr_kernarg_segment_ptr 1
		.amdhsa_user_sgpr_dispatch_id 0
		.amdhsa_user_sgpr_kernarg_preload_length 0
		.amdhsa_user_sgpr_kernarg_preload_offset 0
		.amdhsa_user_sgpr_private_segment_size 0
		.amdhsa_wavefront_size32 1
		.amdhsa_uses_dynamic_stack 0
		.amdhsa_enable_private_segment 1
		.amdhsa_system_sgpr_workgroup_id_x 1
		.amdhsa_system_sgpr_workgroup_id_y 0
		.amdhsa_system_sgpr_workgroup_id_z 0
		.amdhsa_system_sgpr_workgroup_info 0
		.amdhsa_system_vgpr_workitem_id 2
		.amdhsa_next_free_vgpr 148
		.amdhsa_next_free_sgpr 59
		.amdhsa_named_barrier_count 0
		.amdhsa_reserve_vcc 1
		.amdhsa_float_round_mode_32 0
		.amdhsa_float_round_mode_16_64 0
		.amdhsa_float_denorm_mode_32 3
		.amdhsa_float_denorm_mode_16_64 3
		.amdhsa_fp16_overflow 0
		.amdhsa_memory_ordered 1
		.amdhsa_forward_progress 1
		.amdhsa_inst_pref_size 255
		.amdhsa_round_robin_scheduling 0
		.amdhsa_exception_fp_ieee_invalid_op 0
		.amdhsa_exception_fp_denorm_src 0
		.amdhsa_exception_fp_ieee_div_zero 0
		.amdhsa_exception_fp_ieee_overflow 0
		.amdhsa_exception_fp_ieee_underflow 0
		.amdhsa_exception_fp_ieee_inexact 0
		.amdhsa_exception_int_div_zero 0
	.end_amdhsa_kernel
	.section	.text._ZN9rocsolver6v33100L18getri_kernel_smallILi33E19rocblas_complex_numIdEPS3_EEvT1_iilPiilS6_bb,"axG",@progbits,_ZN9rocsolver6v33100L18getri_kernel_smallILi33E19rocblas_complex_numIdEPS3_EEvT1_iilPiilS6_bb,comdat
.Lfunc_end32:
	.size	_ZN9rocsolver6v33100L18getri_kernel_smallILi33E19rocblas_complex_numIdEPS3_EEvT1_iilPiilS6_bb, .Lfunc_end32-_ZN9rocsolver6v33100L18getri_kernel_smallILi33E19rocblas_complex_numIdEPS3_EEvT1_iilPiilS6_bb
                                        ; -- End function
	.set _ZN9rocsolver6v33100L18getri_kernel_smallILi33E19rocblas_complex_numIdEPS3_EEvT1_iilPiilS6_bb.num_vgpr, 148
	.set _ZN9rocsolver6v33100L18getri_kernel_smallILi33E19rocblas_complex_numIdEPS3_EEvT1_iilPiilS6_bb.num_agpr, 0
	.set _ZN9rocsolver6v33100L18getri_kernel_smallILi33E19rocblas_complex_numIdEPS3_EEvT1_iilPiilS6_bb.numbered_sgpr, 59
	.set _ZN9rocsolver6v33100L18getri_kernel_smallILi33E19rocblas_complex_numIdEPS3_EEvT1_iilPiilS6_bb.num_named_barrier, 0
	.set _ZN9rocsolver6v33100L18getri_kernel_smallILi33E19rocblas_complex_numIdEPS3_EEvT1_iilPiilS6_bb.private_seg_size, 544
	.set _ZN9rocsolver6v33100L18getri_kernel_smallILi33E19rocblas_complex_numIdEPS3_EEvT1_iilPiilS6_bb.uses_vcc, 1
	.set _ZN9rocsolver6v33100L18getri_kernel_smallILi33E19rocblas_complex_numIdEPS3_EEvT1_iilPiilS6_bb.uses_flat_scratch, 1
	.set _ZN9rocsolver6v33100L18getri_kernel_smallILi33E19rocblas_complex_numIdEPS3_EEvT1_iilPiilS6_bb.has_dyn_sized_stack, 0
	.set _ZN9rocsolver6v33100L18getri_kernel_smallILi33E19rocblas_complex_numIdEPS3_EEvT1_iilPiilS6_bb.has_recursion, 0
	.set _ZN9rocsolver6v33100L18getri_kernel_smallILi33E19rocblas_complex_numIdEPS3_EEvT1_iilPiilS6_bb.has_indirect_call, 0
	.section	.AMDGPU.csdata,"",@progbits
; Kernel info:
; codeLenInByte = 48180
; TotalNumSgprs: 61
; NumVgprs: 148
; ScratchSize: 544
; MemoryBound: 0
; FloatMode: 240
; IeeeMode: 1
; LDSByteSize: 2088 bytes/workgroup (compile time only)
; SGPRBlocks: 0
; VGPRBlocks: 9
; NumSGPRsForWavesPerEU: 61
; NumVGPRsForWavesPerEU: 148
; NamedBarCnt: 0
; Occupancy: 6
; WaveLimiterHint : 1
; COMPUTE_PGM_RSRC2:SCRATCH_EN: 1
; COMPUTE_PGM_RSRC2:USER_SGPR: 4
; COMPUTE_PGM_RSRC2:TRAP_HANDLER: 0
; COMPUTE_PGM_RSRC2:TGID_X_EN: 1
; COMPUTE_PGM_RSRC2:TGID_Y_EN: 0
; COMPUTE_PGM_RSRC2:TGID_Z_EN: 0
; COMPUTE_PGM_RSRC2:TIDIG_COMP_CNT: 2
	.section	.text._ZN9rocsolver6v33100L18getri_kernel_smallILi34E19rocblas_complex_numIdEPS3_EEvT1_iilPiilS6_bb,"axG",@progbits,_ZN9rocsolver6v33100L18getri_kernel_smallILi34E19rocblas_complex_numIdEPS3_EEvT1_iilPiilS6_bb,comdat
	.globl	_ZN9rocsolver6v33100L18getri_kernel_smallILi34E19rocblas_complex_numIdEPS3_EEvT1_iilPiilS6_bb ; -- Begin function _ZN9rocsolver6v33100L18getri_kernel_smallILi34E19rocblas_complex_numIdEPS3_EEvT1_iilPiilS6_bb
	.p2align	8
	.type	_ZN9rocsolver6v33100L18getri_kernel_smallILi34E19rocblas_complex_numIdEPS3_EEvT1_iilPiilS6_bb,@function
_ZN9rocsolver6v33100L18getri_kernel_smallILi34E19rocblas_complex_numIdEPS3_EEvT1_iilPiilS6_bb: ; @_ZN9rocsolver6v33100L18getri_kernel_smallILi34E19rocblas_complex_numIdEPS3_EEvT1_iilPiilS6_bb
; %bb.0:
	v_and_b32_e32 v1, 0x3ff, v0
	s_mov_b32 s4, exec_lo
	s_delay_alu instid0(VALU_DEP_1)
	v_cmpx_gt_u32_e32 34, v1
	s_cbranch_execz .LBB33_150
; %bb.1:
	s_clause 0x2
	s_load_b32 s8, s[2:3], 0x38
	s_load_b128 s[12:15], s[2:3], 0x10
	s_load_b128 s[4:7], s[2:3], 0x28
	s_getreg_b32 s11, hwreg(HW_REG_IB_STS2, 6, 4)
                                        ; implicit-def: $sgpr16_sgpr17
	s_wait_kmcnt 0x0
	s_bitcmp1_b32 s8, 8
	s_cselect_b32 s46, -1, 0
	s_bfe_u32 s9, ttmp6, 0x4000c
	s_and_b32 s10, ttmp6, 15
	s_add_co_i32 s9, s9, 1
	s_delay_alu instid0(SALU_CYCLE_1) | instskip(NEXT) | instid1(SALU_CYCLE_1)
	s_mul_i32 s9, ttmp9, s9
	s_add_co_i32 s10, s10, s9
	s_cmp_eq_u32 s11, 0
	s_cselect_b32 s18, ttmp9, s10
	s_bfe_u32 s8, s8, 0x10008
	s_ashr_i32 s19, s18, 31
	s_cmp_eq_u32 s8, 0
	s_cbranch_scc1 .LBB33_3
; %bb.2:
	s_load_b32 s8, s[2:3], 0x20
	s_mul_u64 s[4:5], s[4:5], s[18:19]
	s_delay_alu instid0(SALU_CYCLE_1) | instskip(NEXT) | instid1(SALU_CYCLE_1)
	s_lshl_b64 s[4:5], s[4:5], 2
	s_add_nc_u64 s[4:5], s[14:15], s[4:5]
	s_wait_kmcnt 0x0
	s_ashr_i32 s9, s8, 31
	s_delay_alu instid0(SALU_CYCLE_1) | instskip(NEXT) | instid1(SALU_CYCLE_1)
	s_lshl_b64 s[8:9], s[8:9], 2
	s_add_nc_u64 s[16:17], s[4:5], s[8:9]
.LBB33_3:
	s_clause 0x1
	s_load_b128 s[8:11], s[2:3], 0x0
	s_load_b32 s47, s[2:3], 0x38
	s_wait_xcnt 0x0
	s_mul_u64 s[2:3], s[12:13], s[18:19]
	s_movk_i32 s24, 0x130
	s_lshl_b64 s[2:3], s[2:3], 4
	s_movk_i32 s26, 0x140
	s_movk_i32 s29, 0x150
	;; [unrolled: 1-line block ×14, first 2 shown]
	s_mov_b32 s34, 16
	s_wait_kmcnt 0x0
	v_add3_u32 v18, s11, s11, v1
	s_ashr_i32 s5, s10, 31
	s_mov_b32 s4, s10
	s_add_nc_u64 s[2:3], s[8:9], s[2:3]
	s_lshl_b64 s[4:5], s[4:5], 4
	v_dual_add_nc_u32 v20, s11, v18 :: v_dual_lshlrev_b32 v82, 4, v1
	s_add_nc_u64 s[4:5], s[2:3], s[4:5]
	s_ashr_i32 s3, s11, 31
	s_mov_b32 s2, s11
	s_delay_alu instid0(VALU_DEP_1)
	v_dual_mov_b32 v83, 0 :: v_dual_add_nc_u32 v22, s11, v20
	s_clause 0x1
	global_load_b128 v[2:5], v18, s[4:5] scale_offset
	global_load_b128 v[6:9], v20, s[4:5] scale_offset
	s_mov_b32 s30, 32
	s_mov_b32 s31, 48
	v_add_nc_u32_e32 v24, s11, v22
	v_add_nc_u64_e32 v[14:15], s[4:5], v[82:83]
	global_load_b128 v[10:13], v22, s[4:5] scale_offset
	s_mov_b32 s33, 64
	s_movk_i32 s37, 0x50
	v_add_nc_u32_e32 v26, s11, v24
	s_movk_i32 s39, 0x60
	s_movk_i32 s42, 0x70
	v_lshl_add_u64 v[16:17], s[2:3], 4, v[14:15]
	s_movk_i32 s35, 0x80
	v_add_nc_u32_e32 v28, s11, v26
	s_clause 0x1
	global_load_b128 v[72:75], v1, s[4:5] scale_offset
	global_load_b128 v[76:79], v[16:17], off
	s_movk_i32 s36, 0x90
	s_movk_i32 s38, 0xa0
	v_add_nc_u32_e32 v30, s11, v28
	s_movk_i32 s41, 0xb0
	s_movk_i32 s43, 0xc0
	;; [unrolled: 1-line block ×4, first 2 shown]
	v_add_nc_u32_e32 v32, s11, v30
	s_clause 0x1
	global_load_b128 v[84:87], v24, s[4:5] scale_offset
	global_load_b128 v[88:91], v26, s[4:5] scale_offset
	s_movk_i32 s40, 0xf0
	s_movk_i32 s28, 0x100
	;; [unrolled: 1-line block ×3, first 2 shown]
	v_add_nc_u32_e32 v34, s11, v32
	s_clause 0x2
	global_load_b128 v[92:95], v28, s[4:5] scale_offset
	global_load_b128 v[96:99], v30, s[4:5] scale_offset
	;; [unrolled: 1-line block ×3, first 2 shown]
	s_movk_i32 s27, 0x120
	s_mov_b32 s21, s24
	s_mov_b32 s23, s26
	v_add_nc_u32_e32 v36, s11, v34
	s_mov_b32 s13, s29
	s_mov_b32 s20, s48
	s_mov_b32 s10, s49
	s_mov_b32 s8, s51
	v_add_nc_u32_e32 v38, s11, v36
	s_mov_b32 s9, s52
	s_mov_b32 s24, s53
	s_mov_b32 s26, s54
	s_mov_b32 s15, s55
	v_add_nc_u32_e32 v40, s11, v38
	s_mov_b32 s22, s56
	s_mov_b32 s12, s57
	s_mov_b32 s14, s58
	s_mov_b32 s29, s59
	v_add_nc_u32_e32 v42, s11, v40
	s_clause 0x1
	global_load_b128 v[104:107], v34, s[4:5] scale_offset
	global_load_b128 v[108:111], v36, s[4:5] scale_offset
	s_bitcmp0_b32 s47, 0
	s_mov_b32 s3, -1
	v_add_nc_u32_e32 v44, s11, v42
	s_delay_alu instid0(VALU_DEP_1)
	v_add_nc_u32_e32 v46, s11, v44
	s_clause 0x4
	global_load_b128 v[112:115], v38, s[4:5] scale_offset
	global_load_b128 v[116:119], v40, s[4:5] scale_offset
	;; [unrolled: 1-line block ×5, first 2 shown]
	v_add_nc_u32_e32 v48, s11, v46
	s_delay_alu instid0(VALU_DEP_1) | instskip(NEXT) | instid1(VALU_DEP_1)
	v_add_nc_u32_e32 v50, s11, v48
	v_add_nc_u32_e32 v52, s11, v50
	s_delay_alu instid0(VALU_DEP_1) | instskip(NEXT) | instid1(VALU_DEP_1)
	v_add_nc_u32_e32 v54, s11, v52
	v_add_nc_u32_e32 v56, s11, v54
	s_delay_alu instid0(VALU_DEP_1)
	v_add_nc_u32_e32 v58, s11, v56
	s_clause 0x2
	global_load_b128 v[132:135], v48, s[4:5] scale_offset
	global_load_b128 v[136:139], v50, s[4:5] scale_offset
	;; [unrolled: 1-line block ×3, first 2 shown]
	s_wait_loadcnt 0x13
	scratch_store_b128 off, v[2:5], off offset:32
	s_wait_loadcnt 0x12
	scratch_store_b128 off, v[6:9], off offset:48
	v_add_nc_u32_e32 v60, s11, v58
	s_clause 0x1
	global_load_b128 v[2:5], v54, s[4:5] scale_offset
	global_load_b128 v[6:9], v56, s[4:5] scale_offset
	s_wait_loadcnt 0x13
	scratch_store_b128 off, v[10:13], off offset:64
	v_add_nc_u32_e32 v62, s11, v60
	s_wait_loadcnt 0x12
	scratch_store_b128 off, v[72:75], off
	s_wait_loadcnt 0x11
	scratch_store_b128 off, v[76:79], off offset:16
	v_add_nc_u32_e32 v64, s11, v62
	s_delay_alu instid0(VALU_DEP_1)
	v_add_nc_u32_e32 v66, s11, v64
	s_clause 0x1
	global_load_b128 v[10:13], v58, s[4:5] scale_offset
	global_load_b128 v[144:147], v60, s[4:5] scale_offset
	s_wait_loadcnt 0x12
	scratch_store_b128 off, v[84:87], off offset:80
	s_wait_loadcnt 0x11
	scratch_store_b128 off, v[88:91], off offset:96
	v_add_nc_u32_e32 v68, s11, v66
	s_delay_alu instid0(VALU_DEP_1)
	v_add_nc_u32_e32 v70, s11, v68
	s_clause 0x1
	global_load_b128 v[84:87], v62, s[4:5] scale_offset
	global_load_b128 v[88:91], v64, s[4:5] scale_offset
	s_wait_loadcnt 0x12
	scratch_store_b128 off, v[92:95], off offset:112
	s_wait_loadcnt 0x11
	scratch_store_b128 off, v[96:99], off offset:128
	s_wait_loadcnt 0x10
	scratch_store_b128 off, v[100:103], off offset:144
	s_clause 0x1
	global_load_b128 v[92:95], v66, s[4:5] scale_offset
	global_load_b128 v[96:99], v68, s[4:5] scale_offset
	v_add_nc_u32_e32 v72, s11, v70
	s_wait_loadcnt 0x11
	scratch_store_b128 off, v[104:107], off offset:160
	s_wait_loadcnt 0x10
	scratch_store_b128 off, v[108:111], off offset:176
	v_add_nc_u32_e32 v74, s11, v72
	s_delay_alu instid0(VALU_DEP_1) | instskip(NEXT) | instid1(VALU_DEP_1)
	v_add_nc_u32_e32 v76, s11, v74
	v_add_nc_u32_e32 v78, s11, v76
	s_clause 0x1
	global_load_b128 v[100:103], v70, s[4:5] scale_offset
	global_load_b128 v[104:107], v72, s[4:5] scale_offset
	s_wait_loadcnt 0x11
	scratch_store_b128 off, v[112:115], off offset:192
	s_wait_loadcnt 0x10
	scratch_store_b128 off, v[116:119], off offset:208
	v_add_nc_u32_e32 v80, s11, v78
	s_clause 0x1
	global_load_b128 v[108:111], v74, s[4:5] scale_offset
	global_load_b128 v[112:115], v76, s[4:5] scale_offset
	s_wait_loadcnt 0x11
	scratch_store_b128 off, v[120:123], off offset:224
	s_wait_loadcnt 0x10
	scratch_store_b128 off, v[124:127], off offset:240
	;; [unrolled: 2-line block ×3, first 2 shown]
	s_clause 0x1
	global_load_b128 v[116:119], v78, s[4:5] scale_offset
	global_load_b128 v[120:123], v80, s[4:5] scale_offset
	s_mov_b32 s11, s50
	s_wait_loadcnt 0x10
	scratch_store_b128 off, v[132:135], off offset:272
	s_wait_loadcnt 0xf
	scratch_store_b128 off, v[136:139], off offset:288
	;; [unrolled: 2-line block ×17, first 2 shown]
	s_cbranch_scc1 .LBB33_148
; %bb.4:
	v_cmp_eq_u32_e64 s2, 0, v1
	s_wait_xcnt 0x0
	s_and_saveexec_b32 s3, s2
; %bb.5:
	v_mov_b32_e32 v2, 0
	ds_store_b32 v2, v2 offset:1088
; %bb.6:
	s_or_b32 exec_lo, exec_lo, s3
	s_wait_storecnt_dscnt 0x0
	s_barrier_signal -1
	s_barrier_wait -1
	scratch_load_b128 v[2:5], v1, off scale_offset
	s_wait_loadcnt 0x0
	v_cmp_eq_f64_e32 vcc_lo, 0, v[2:3]
	v_cmp_eq_f64_e64 s3, 0, v[4:5]
	s_and_b32 s3, vcc_lo, s3
	s_delay_alu instid0(SALU_CYCLE_1)
	s_and_saveexec_b32 s47, s3
	s_cbranch_execz .LBB33_10
; %bb.7:
	v_mov_b32_e32 v2, 0
	s_mov_b32 s48, 0
	ds_load_b32 v3, v2 offset:1088
	s_wait_dscnt 0x0
	v_readfirstlane_b32 s3, v3
	v_add_nc_u32_e32 v3, 1, v1
	s_cmp_eq_u32 s3, 0
	s_delay_alu instid0(VALU_DEP_1) | instskip(SKIP_1) | instid1(SALU_CYCLE_1)
	v_cmp_gt_i32_e32 vcc_lo, s3, v3
	s_cselect_b32 s49, -1, 0
	s_or_b32 s49, s49, vcc_lo
	s_delay_alu instid0(SALU_CYCLE_1)
	s_and_b32 exec_lo, exec_lo, s49
	s_cbranch_execz .LBB33_10
; %bb.8:
	v_mov_b32_e32 v4, s3
.LBB33_9:                               ; =>This Inner Loop Header: Depth=1
	ds_cmpstore_rtn_b32 v4, v2, v3, v4 offset:1088
	s_wait_dscnt 0x0
	v_cmp_ne_u32_e32 vcc_lo, 0, v4
	v_cmp_le_i32_e64 s3, v4, v3
	s_and_b32 s3, vcc_lo, s3
	s_delay_alu instid0(SALU_CYCLE_1) | instskip(NEXT) | instid1(SALU_CYCLE_1)
	s_and_b32 s3, exec_lo, s3
	s_or_b32 s48, s3, s48
	s_delay_alu instid0(SALU_CYCLE_1)
	s_and_not1_b32 exec_lo, exec_lo, s48
	s_cbranch_execnz .LBB33_9
.LBB33_10:
	s_or_b32 exec_lo, exec_lo, s47
	v_mov_b32_e32 v2, 0
	s_barrier_signal -1
	s_barrier_wait -1
	ds_load_b32 v3, v2 offset:1088
	s_and_saveexec_b32 s3, s2
	s_cbranch_execz .LBB33_12
; %bb.11:
	s_lshl_b64 s[48:49], s[18:19], 2
	s_delay_alu instid0(SALU_CYCLE_1)
	s_add_nc_u64 s[48:49], s[6:7], s[48:49]
	s_wait_dscnt 0x0
	global_store_b32 v2, v3, s[48:49]
.LBB33_12:
	s_wait_xcnt 0x0
	s_or_b32 exec_lo, exec_lo, s3
	s_wait_dscnt 0x0
	v_cmp_ne_u32_e32 vcc_lo, 0, v3
	s_mov_b32 s3, 0
	s_cbranch_vccnz .LBB33_148
; %bb.13:
	v_lshl_add_u32 v19, v1, 4, 0
                                        ; implicit-def: $vgpr6_vgpr7
                                        ; implicit-def: $vgpr10_vgpr11
	scratch_load_b128 v[2:5], v19, off
	s_wait_loadcnt 0x0
	v_cmp_ngt_f64_e64 s3, |v[2:3]|, |v[4:5]|
	s_wait_xcnt 0x0
	s_and_saveexec_b32 s47, s3
	s_delay_alu instid0(SALU_CYCLE_1)
	s_xor_b32 s3, exec_lo, s47
	s_cbranch_execz .LBB33_15
; %bb.14:
	v_div_scale_f64 v[6:7], null, v[4:5], v[4:5], v[2:3]
	v_div_scale_f64 v[12:13], vcc_lo, v[2:3], v[4:5], v[2:3]
	s_delay_alu instid0(VALU_DEP_2) | instskip(SKIP_1) | instid1(TRANS32_DEP_1)
	v_rcp_f64_e32 v[8:9], v[6:7]
	v_nop
	v_fma_f64 v[10:11], -v[6:7], v[8:9], 1.0
	s_delay_alu instid0(VALU_DEP_1) | instskip(NEXT) | instid1(VALU_DEP_1)
	v_fmac_f64_e32 v[8:9], v[8:9], v[10:11]
	v_fma_f64 v[10:11], -v[6:7], v[8:9], 1.0
	s_delay_alu instid0(VALU_DEP_1) | instskip(NEXT) | instid1(VALU_DEP_1)
	v_fmac_f64_e32 v[8:9], v[8:9], v[10:11]
	v_mul_f64_e32 v[10:11], v[12:13], v[8:9]
	s_delay_alu instid0(VALU_DEP_1) | instskip(NEXT) | instid1(VALU_DEP_1)
	v_fma_f64 v[6:7], -v[6:7], v[10:11], v[12:13]
	v_div_fmas_f64 v[6:7], v[6:7], v[8:9], v[10:11]
	s_delay_alu instid0(VALU_DEP_1) | instskip(NEXT) | instid1(VALU_DEP_1)
	v_div_fixup_f64 v[6:7], v[6:7], v[4:5], v[2:3]
	v_fmac_f64_e32 v[4:5], v[2:3], v[6:7]
	s_delay_alu instid0(VALU_DEP_1) | instskip(SKIP_1) | instid1(VALU_DEP_2)
	v_div_scale_f64 v[2:3], null, v[4:5], v[4:5], 1.0
	v_div_scale_f64 v[12:13], vcc_lo, 1.0, v[4:5], 1.0
	v_rcp_f64_e32 v[8:9], v[2:3]
	v_nop
	s_delay_alu instid0(TRANS32_DEP_1) | instskip(NEXT) | instid1(VALU_DEP_1)
	v_fma_f64 v[10:11], -v[2:3], v[8:9], 1.0
	v_fmac_f64_e32 v[8:9], v[8:9], v[10:11]
	s_delay_alu instid0(VALU_DEP_1) | instskip(NEXT) | instid1(VALU_DEP_1)
	v_fma_f64 v[10:11], -v[2:3], v[8:9], 1.0
	v_fmac_f64_e32 v[8:9], v[8:9], v[10:11]
	s_delay_alu instid0(VALU_DEP_1) | instskip(NEXT) | instid1(VALU_DEP_1)
	v_mul_f64_e32 v[10:11], v[12:13], v[8:9]
	v_fma_f64 v[2:3], -v[2:3], v[10:11], v[12:13]
	s_delay_alu instid0(VALU_DEP_1) | instskip(NEXT) | instid1(VALU_DEP_1)
	v_div_fmas_f64 v[2:3], v[2:3], v[8:9], v[10:11]
	v_div_fixup_f64 v[8:9], v[2:3], v[4:5], 1.0
                                        ; implicit-def: $vgpr2_vgpr3
	s_delay_alu instid0(VALU_DEP_1) | instskip(SKIP_1) | instid1(VALU_DEP_2)
	v_mul_f64_e32 v[6:7], v[6:7], v[8:9]
	v_xor_b32_e32 v9, 0x80000000, v9
	v_xor_b32_e32 v11, 0x80000000, v7
	s_delay_alu instid0(VALU_DEP_3)
	v_mov_b32_e32 v10, v6
.LBB33_15:
	s_and_not1_saveexec_b32 s3, s3
	s_cbranch_execz .LBB33_17
; %bb.16:
	v_div_scale_f64 v[6:7], null, v[2:3], v[2:3], v[4:5]
	v_div_scale_f64 v[12:13], vcc_lo, v[4:5], v[2:3], v[4:5]
	s_delay_alu instid0(VALU_DEP_2) | instskip(SKIP_1) | instid1(TRANS32_DEP_1)
	v_rcp_f64_e32 v[8:9], v[6:7]
	v_nop
	v_fma_f64 v[10:11], -v[6:7], v[8:9], 1.0
	s_delay_alu instid0(VALU_DEP_1) | instskip(NEXT) | instid1(VALU_DEP_1)
	v_fmac_f64_e32 v[8:9], v[8:9], v[10:11]
	v_fma_f64 v[10:11], -v[6:7], v[8:9], 1.0
	s_delay_alu instid0(VALU_DEP_1) | instskip(NEXT) | instid1(VALU_DEP_1)
	v_fmac_f64_e32 v[8:9], v[8:9], v[10:11]
	v_mul_f64_e32 v[10:11], v[12:13], v[8:9]
	s_delay_alu instid0(VALU_DEP_1) | instskip(NEXT) | instid1(VALU_DEP_1)
	v_fma_f64 v[6:7], -v[6:7], v[10:11], v[12:13]
	v_div_fmas_f64 v[6:7], v[6:7], v[8:9], v[10:11]
	s_delay_alu instid0(VALU_DEP_1) | instskip(NEXT) | instid1(VALU_DEP_1)
	v_div_fixup_f64 v[8:9], v[6:7], v[2:3], v[4:5]
	v_fmac_f64_e32 v[2:3], v[4:5], v[8:9]
	s_delay_alu instid0(VALU_DEP_1) | instskip(NEXT) | instid1(VALU_DEP_1)
	v_div_scale_f64 v[4:5], null, v[2:3], v[2:3], 1.0
	v_rcp_f64_e32 v[6:7], v[4:5]
	v_nop
	s_delay_alu instid0(TRANS32_DEP_1) | instskip(NEXT) | instid1(VALU_DEP_1)
	v_fma_f64 v[10:11], -v[4:5], v[6:7], 1.0
	v_fmac_f64_e32 v[6:7], v[6:7], v[10:11]
	s_delay_alu instid0(VALU_DEP_1) | instskip(NEXT) | instid1(VALU_DEP_1)
	v_fma_f64 v[10:11], -v[4:5], v[6:7], 1.0
	v_fmac_f64_e32 v[6:7], v[6:7], v[10:11]
	v_div_scale_f64 v[10:11], vcc_lo, 1.0, v[2:3], 1.0
	s_delay_alu instid0(VALU_DEP_1) | instskip(NEXT) | instid1(VALU_DEP_1)
	v_mul_f64_e32 v[12:13], v[10:11], v[6:7]
	v_fma_f64 v[4:5], -v[4:5], v[12:13], v[10:11]
	s_delay_alu instid0(VALU_DEP_1) | instskip(NEXT) | instid1(VALU_DEP_1)
	v_div_fmas_f64 v[4:5], v[4:5], v[6:7], v[12:13]
	v_div_fixup_f64 v[6:7], v[4:5], v[2:3], 1.0
	s_delay_alu instid0(VALU_DEP_1)
	v_mul_f64_e64 v[8:9], v[8:9], -v[6:7]
	v_xor_b32_e32 v11, 0x80000000, v7
	v_mov_b32_e32 v10, v6
.LBB33_17:
	s_or_b32 exec_lo, exec_lo, s3
	s_clause 0x1
	scratch_store_b128 v19, v[6:9], off
	scratch_load_b128 v[2:5], off, s34
	v_xor_b32_e32 v13, 0x80000000, v9
	v_mov_b32_e32 v12, v8
	s_wait_xcnt 0x1
	v_add_nc_u32_e32 v6, 0x220, v82
	ds_store_b128 v82, v[10:13]
	s_wait_loadcnt 0x0
	ds_store_b128 v82, v[2:5] offset:544
	s_wait_storecnt_dscnt 0x0
	s_barrier_signal -1
	s_barrier_wait -1
	s_wait_xcnt 0x0
	s_and_saveexec_b32 s3, s2
	s_cbranch_execz .LBB33_19
; %bb.18:
	scratch_load_b128 v[2:5], v19, off
	ds_load_b128 v[8:11], v6
	v_mov_b32_e32 v7, 0
	ds_load_b128 v[84:87], v7 offset:16
	s_wait_loadcnt_dscnt 0x1
	v_mul_f64_e32 v[12:13], v[8:9], v[4:5]
	v_mul_f64_e32 v[4:5], v[10:11], v[4:5]
	s_delay_alu instid0(VALU_DEP_2) | instskip(NEXT) | instid1(VALU_DEP_2)
	v_fmac_f64_e32 v[12:13], v[10:11], v[2:3]
	v_fma_f64 v[2:3], v[8:9], v[2:3], -v[4:5]
	s_delay_alu instid0(VALU_DEP_2) | instskip(NEXT) | instid1(VALU_DEP_2)
	v_add_f64_e32 v[8:9], 0, v[12:13]
	v_add_f64_e32 v[2:3], 0, v[2:3]
	s_wait_dscnt 0x0
	s_delay_alu instid0(VALU_DEP_2) | instskip(NEXT) | instid1(VALU_DEP_2)
	v_mul_f64_e32 v[10:11], v[8:9], v[86:87]
	v_mul_f64_e32 v[4:5], v[2:3], v[86:87]
	s_delay_alu instid0(VALU_DEP_2) | instskip(NEXT) | instid1(VALU_DEP_2)
	v_fma_f64 v[2:3], v[2:3], v[84:85], -v[10:11]
	v_fmac_f64_e32 v[4:5], v[8:9], v[84:85]
	scratch_store_b128 off, v[2:5], off offset:16
.LBB33_19:
	s_wait_xcnt 0x0
	s_or_b32 exec_lo, exec_lo, s3
	s_wait_storecnt 0x0
	s_barrier_signal -1
	s_barrier_wait -1
	scratch_load_b128 v[2:5], off, s30
	s_mov_b32 s3, exec_lo
	s_wait_loadcnt 0x0
	ds_store_b128 v6, v[2:5]
	s_wait_dscnt 0x0
	s_barrier_signal -1
	s_barrier_wait -1
	v_cmpx_gt_u32_e32 2, v1
	s_cbranch_execz .LBB33_23
; %bb.20:
	scratch_load_b128 v[2:5], v19, off
	ds_load_b128 v[8:11], v6
	s_wait_loadcnt_dscnt 0x0
	v_mul_f64_e32 v[12:13], v[10:11], v[4:5]
	v_mul_f64_e32 v[84:85], v[8:9], v[4:5]
	s_delay_alu instid0(VALU_DEP_2) | instskip(NEXT) | instid1(VALU_DEP_2)
	v_fma_f64 v[4:5], v[8:9], v[2:3], -v[12:13]
	v_fmac_f64_e32 v[84:85], v[10:11], v[2:3]
	s_delay_alu instid0(VALU_DEP_2) | instskip(NEXT) | instid1(VALU_DEP_2)
	v_add_f64_e32 v[4:5], 0, v[4:5]
	v_add_f64_e32 v[2:3], 0, v[84:85]
	s_and_saveexec_b32 s47, s2
	s_cbranch_execz .LBB33_22
; %bb.21:
	scratch_load_b128 v[8:11], off, off offset:16
	v_mov_b32_e32 v7, 0
	ds_load_b128 v[84:87], v7 offset:560
	s_wait_loadcnt_dscnt 0x0
	v_mul_f64_e32 v[12:13], v[84:85], v[10:11]
	v_mul_f64_e32 v[10:11], v[86:87], v[10:11]
	s_delay_alu instid0(VALU_DEP_2) | instskip(NEXT) | instid1(VALU_DEP_2)
	v_fmac_f64_e32 v[12:13], v[86:87], v[8:9]
	v_fma_f64 v[8:9], v[84:85], v[8:9], -v[10:11]
	s_delay_alu instid0(VALU_DEP_2) | instskip(NEXT) | instid1(VALU_DEP_2)
	v_add_f64_e32 v[2:3], v[2:3], v[12:13]
	v_add_f64_e32 v[4:5], v[4:5], v[8:9]
.LBB33_22:
	s_or_b32 exec_lo, exec_lo, s47
	v_mov_b32_e32 v7, 0
	ds_load_b128 v[8:11], v7 offset:32
	s_wait_dscnt 0x0
	v_mul_f64_e32 v[84:85], v[2:3], v[10:11]
	v_mul_f64_e32 v[12:13], v[4:5], v[10:11]
	s_delay_alu instid0(VALU_DEP_2) | instskip(NEXT) | instid1(VALU_DEP_2)
	v_fma_f64 v[10:11], v[4:5], v[8:9], -v[84:85]
	v_fmac_f64_e32 v[12:13], v[2:3], v[8:9]
	scratch_store_b128 off, v[10:13], off offset:32
.LBB33_23:
	s_wait_xcnt 0x0
	s_or_b32 exec_lo, exec_lo, s3
	s_wait_storecnt 0x0
	s_barrier_signal -1
	s_barrier_wait -1
	scratch_load_b128 v[2:5], off, s31
	v_add_nc_u32_e32 v7, -1, v1
	s_mov_b32 s2, exec_lo
	s_wait_loadcnt 0x0
	ds_store_b128 v6, v[2:5]
	s_wait_dscnt 0x0
	s_barrier_signal -1
	s_barrier_wait -1
	v_cmpx_gt_u32_e32 3, v1
	s_cbranch_execz .LBB33_27
; %bb.24:
	v_dual_mov_b32 v10, v82 :: v_dual_add_nc_u32 v8, -1, v1
	v_mov_b64_e32 v[2:3], 0
	v_mov_b64_e32 v[4:5], 0
	v_add_nc_u32_e32 v9, 0x220, v82
	s_delay_alu instid0(VALU_DEP_4)
	v_or_b32_e32 v10, 8, v10
	s_mov_b32 s3, 0
.LBB33_25:                              ; =>This Inner Loop Header: Depth=1
	scratch_load_b128 v[84:87], v10, off offset:-8
	ds_load_b128 v[88:91], v9
	v_dual_add_nc_u32 v8, 1, v8 :: v_dual_add_nc_u32 v9, 16, v9
	s_wait_xcnt 0x0
	v_add_nc_u32_e32 v10, 16, v10
	s_delay_alu instid0(VALU_DEP_2) | instskip(SKIP_4) | instid1(VALU_DEP_2)
	v_cmp_lt_u32_e32 vcc_lo, 1, v8
	s_or_b32 s3, vcc_lo, s3
	s_wait_loadcnt_dscnt 0x0
	v_mul_f64_e32 v[12:13], v[90:91], v[86:87]
	v_mul_f64_e32 v[86:87], v[88:89], v[86:87]
	v_fma_f64 v[12:13], v[88:89], v[84:85], -v[12:13]
	s_delay_alu instid0(VALU_DEP_2) | instskip(NEXT) | instid1(VALU_DEP_2)
	v_fmac_f64_e32 v[86:87], v[90:91], v[84:85]
	v_add_f64_e32 v[4:5], v[4:5], v[12:13]
	s_delay_alu instid0(VALU_DEP_2)
	v_add_f64_e32 v[2:3], v[2:3], v[86:87]
	s_and_not1_b32 exec_lo, exec_lo, s3
	s_cbranch_execnz .LBB33_25
; %bb.26:
	s_or_b32 exec_lo, exec_lo, s3
	v_mov_b32_e32 v8, 0
	ds_load_b128 v[8:11], v8 offset:48
	s_wait_dscnt 0x0
	v_mul_f64_e32 v[84:85], v[2:3], v[10:11]
	v_mul_f64_e32 v[12:13], v[4:5], v[10:11]
	s_delay_alu instid0(VALU_DEP_2) | instskip(NEXT) | instid1(VALU_DEP_2)
	v_fma_f64 v[10:11], v[4:5], v[8:9], -v[84:85]
	v_fmac_f64_e32 v[12:13], v[2:3], v[8:9]
	scratch_store_b128 off, v[10:13], off offset:48
.LBB33_27:
	s_wait_xcnt 0x0
	s_or_b32 exec_lo, exec_lo, s2
	s_wait_storecnt 0x0
	s_barrier_signal -1
	s_barrier_wait -1
	scratch_load_b128 v[2:5], off, s33
	s_mov_b32 s2, exec_lo
	s_wait_loadcnt 0x0
	ds_store_b128 v6, v[2:5]
	s_wait_dscnt 0x0
	s_barrier_signal -1
	s_barrier_wait -1
	v_cmpx_gt_u32_e32 4, v1
	s_cbranch_execz .LBB33_31
; %bb.28:
	v_dual_mov_b32 v10, v82 :: v_dual_add_nc_u32 v8, -1, v1
	v_mov_b64_e32 v[2:3], 0
	v_mov_b64_e32 v[4:5], 0
	v_add_nc_u32_e32 v9, 0x220, v82
	s_delay_alu instid0(VALU_DEP_4)
	v_or_b32_e32 v10, 8, v10
	s_mov_b32 s3, 0
.LBB33_29:                              ; =>This Inner Loop Header: Depth=1
	scratch_load_b128 v[84:87], v10, off offset:-8
	ds_load_b128 v[88:91], v9
	v_dual_add_nc_u32 v8, 1, v8 :: v_dual_add_nc_u32 v9, 16, v9
	s_wait_xcnt 0x0
	v_add_nc_u32_e32 v10, 16, v10
	s_delay_alu instid0(VALU_DEP_2) | instskip(SKIP_4) | instid1(VALU_DEP_2)
	v_cmp_lt_u32_e32 vcc_lo, 2, v8
	s_or_b32 s3, vcc_lo, s3
	s_wait_loadcnt_dscnt 0x0
	v_mul_f64_e32 v[12:13], v[90:91], v[86:87]
	v_mul_f64_e32 v[86:87], v[88:89], v[86:87]
	v_fma_f64 v[12:13], v[88:89], v[84:85], -v[12:13]
	s_delay_alu instid0(VALU_DEP_2) | instskip(NEXT) | instid1(VALU_DEP_2)
	v_fmac_f64_e32 v[86:87], v[90:91], v[84:85]
	v_add_f64_e32 v[4:5], v[4:5], v[12:13]
	s_delay_alu instid0(VALU_DEP_2)
	v_add_f64_e32 v[2:3], v[2:3], v[86:87]
	s_and_not1_b32 exec_lo, exec_lo, s3
	s_cbranch_execnz .LBB33_29
; %bb.30:
	s_or_b32 exec_lo, exec_lo, s3
	v_mov_b32_e32 v8, 0
	ds_load_b128 v[8:11], v8 offset:64
	s_wait_dscnt 0x0
	v_mul_f64_e32 v[84:85], v[2:3], v[10:11]
	v_mul_f64_e32 v[12:13], v[4:5], v[10:11]
	s_delay_alu instid0(VALU_DEP_2) | instskip(NEXT) | instid1(VALU_DEP_2)
	v_fma_f64 v[10:11], v[4:5], v[8:9], -v[84:85]
	v_fmac_f64_e32 v[12:13], v[2:3], v[8:9]
	scratch_store_b128 off, v[10:13], off offset:64
.LBB33_31:
	s_wait_xcnt 0x0
	s_or_b32 exec_lo, exec_lo, s2
	s_wait_storecnt 0x0
	s_barrier_signal -1
	s_barrier_wait -1
	scratch_load_b128 v[2:5], off, s37
	;; [unrolled: 54-line block ×19, first 2 shown]
	s_mov_b32 s2, exec_lo
	s_wait_loadcnt 0x0
	ds_store_b128 v6, v[2:5]
	s_wait_dscnt 0x0
	s_barrier_signal -1
	s_barrier_wait -1
	v_cmpx_gt_u32_e32 22, v1
	s_cbranch_execz .LBB33_103
; %bb.100:
	v_dual_mov_b32 v10, v82 :: v_dual_add_nc_u32 v8, -1, v1
	v_mov_b64_e32 v[2:3], 0
	v_mov_b64_e32 v[4:5], 0
	v_add_nc_u32_e32 v9, 0x220, v82
	s_delay_alu instid0(VALU_DEP_4)
	v_or_b32_e32 v10, 8, v10
	s_mov_b32 s3, 0
.LBB33_101:                             ; =>This Inner Loop Header: Depth=1
	scratch_load_b128 v[84:87], v10, off offset:-8
	ds_load_b128 v[88:91], v9
	v_dual_add_nc_u32 v8, 1, v8 :: v_dual_add_nc_u32 v9, 16, v9
	s_wait_xcnt 0x0
	v_add_nc_u32_e32 v10, 16, v10
	s_delay_alu instid0(VALU_DEP_2) | instskip(SKIP_4) | instid1(VALU_DEP_2)
	v_cmp_lt_u32_e32 vcc_lo, 20, v8
	s_or_b32 s3, vcc_lo, s3
	s_wait_loadcnt_dscnt 0x0
	v_mul_f64_e32 v[12:13], v[90:91], v[86:87]
	v_mul_f64_e32 v[86:87], v[88:89], v[86:87]
	v_fma_f64 v[12:13], v[88:89], v[84:85], -v[12:13]
	s_delay_alu instid0(VALU_DEP_2) | instskip(NEXT) | instid1(VALU_DEP_2)
	v_fmac_f64_e32 v[86:87], v[90:91], v[84:85]
	v_add_f64_e32 v[4:5], v[4:5], v[12:13]
	s_delay_alu instid0(VALU_DEP_2)
	v_add_f64_e32 v[2:3], v[2:3], v[86:87]
	s_and_not1_b32 exec_lo, exec_lo, s3
	s_cbranch_execnz .LBB33_101
; %bb.102:
	s_or_b32 exec_lo, exec_lo, s3
	v_mov_b32_e32 v8, 0
	ds_load_b128 v[8:11], v8 offset:352
	s_wait_dscnt 0x0
	v_mul_f64_e32 v[84:85], v[2:3], v[10:11]
	v_mul_f64_e32 v[12:13], v[4:5], v[10:11]
	s_delay_alu instid0(VALU_DEP_2) | instskip(NEXT) | instid1(VALU_DEP_2)
	v_fma_f64 v[10:11], v[4:5], v[8:9], -v[84:85]
	v_fmac_f64_e32 v[12:13], v[2:3], v[8:9]
	scratch_store_b128 off, v[10:13], off offset:352
.LBB33_103:
	s_wait_xcnt 0x0
	s_or_b32 exec_lo, exec_lo, s2
	s_wait_storecnt 0x0
	s_barrier_signal -1
	s_barrier_wait -1
	scratch_load_b128 v[2:5], off, s10
	s_mov_b32 s2, exec_lo
	s_wait_loadcnt 0x0
	ds_store_b128 v6, v[2:5]
	s_wait_dscnt 0x0
	s_barrier_signal -1
	s_barrier_wait -1
	v_cmpx_gt_u32_e32 23, v1
	s_cbranch_execz .LBB33_107
; %bb.104:
	v_dual_mov_b32 v10, v82 :: v_dual_add_nc_u32 v8, -1, v1
	v_mov_b64_e32 v[2:3], 0
	v_mov_b64_e32 v[4:5], 0
	v_add_nc_u32_e32 v9, 0x220, v82
	s_delay_alu instid0(VALU_DEP_4)
	v_or_b32_e32 v10, 8, v10
	s_mov_b32 s3, 0
.LBB33_105:                             ; =>This Inner Loop Header: Depth=1
	scratch_load_b128 v[84:87], v10, off offset:-8
	ds_load_b128 v[88:91], v9
	v_dual_add_nc_u32 v8, 1, v8 :: v_dual_add_nc_u32 v9, 16, v9
	s_wait_xcnt 0x0
	v_add_nc_u32_e32 v10, 16, v10
	s_delay_alu instid0(VALU_DEP_2) | instskip(SKIP_4) | instid1(VALU_DEP_2)
	v_cmp_lt_u32_e32 vcc_lo, 21, v8
	s_or_b32 s3, vcc_lo, s3
	s_wait_loadcnt_dscnt 0x0
	v_mul_f64_e32 v[12:13], v[90:91], v[86:87]
	v_mul_f64_e32 v[86:87], v[88:89], v[86:87]
	v_fma_f64 v[12:13], v[88:89], v[84:85], -v[12:13]
	s_delay_alu instid0(VALU_DEP_2) | instskip(NEXT) | instid1(VALU_DEP_2)
	v_fmac_f64_e32 v[86:87], v[90:91], v[84:85]
	v_add_f64_e32 v[4:5], v[4:5], v[12:13]
	s_delay_alu instid0(VALU_DEP_2)
	v_add_f64_e32 v[2:3], v[2:3], v[86:87]
	s_and_not1_b32 exec_lo, exec_lo, s3
	s_cbranch_execnz .LBB33_105
; %bb.106:
	s_or_b32 exec_lo, exec_lo, s3
	v_mov_b32_e32 v8, 0
	ds_load_b128 v[8:11], v8 offset:368
	s_wait_dscnt 0x0
	v_mul_f64_e32 v[84:85], v[2:3], v[10:11]
	v_mul_f64_e32 v[12:13], v[4:5], v[10:11]
	s_delay_alu instid0(VALU_DEP_2) | instskip(NEXT) | instid1(VALU_DEP_2)
	v_fma_f64 v[10:11], v[4:5], v[8:9], -v[84:85]
	v_fmac_f64_e32 v[12:13], v[2:3], v[8:9]
	scratch_store_b128 off, v[10:13], off offset:368
.LBB33_107:
	s_wait_xcnt 0x0
	s_or_b32 exec_lo, exec_lo, s2
	s_wait_storecnt 0x0
	s_barrier_signal -1
	s_barrier_wait -1
	scratch_load_b128 v[2:5], off, s11
	;; [unrolled: 54-line block ×11, first 2 shown]
	s_mov_b32 s2, exec_lo
	s_wait_loadcnt 0x0
	ds_store_b128 v6, v[2:5]
	s_wait_dscnt 0x0
	s_barrier_signal -1
	s_barrier_wait -1
	v_cmpx_ne_u32_e32 33, v1
	s_cbranch_execz .LBB33_147
; %bb.144:
	v_mov_b32_e32 v8, v82
	v_mov_b64_e32 v[2:3], 0
	v_mov_b64_e32 v[4:5], 0
	s_mov_b32 s3, 0
	s_delay_alu instid0(VALU_DEP_3)
	v_or_b32_e32 v8, 8, v8
.LBB33_145:                             ; =>This Inner Loop Header: Depth=1
	scratch_load_b128 v[10:13], v8, off offset:-8
	ds_load_b128 v[82:85], v6
	v_dual_add_nc_u32 v7, 1, v7 :: v_dual_add_nc_u32 v6, 16, v6
	s_wait_xcnt 0x0
	v_add_nc_u32_e32 v8, 16, v8
	s_delay_alu instid0(VALU_DEP_2) | instskip(SKIP_4) | instid1(VALU_DEP_2)
	v_cmp_lt_u32_e32 vcc_lo, 31, v7
	s_or_b32 s3, vcc_lo, s3
	s_wait_loadcnt_dscnt 0x0
	v_mul_f64_e32 v[86:87], v[84:85], v[12:13]
	v_mul_f64_e32 v[12:13], v[82:83], v[12:13]
	v_fma_f64 v[82:83], v[82:83], v[10:11], -v[86:87]
	s_delay_alu instid0(VALU_DEP_2) | instskip(NEXT) | instid1(VALU_DEP_2)
	v_fmac_f64_e32 v[12:13], v[84:85], v[10:11]
	v_add_f64_e32 v[4:5], v[4:5], v[82:83]
	s_delay_alu instid0(VALU_DEP_2)
	v_add_f64_e32 v[2:3], v[2:3], v[12:13]
	s_and_not1_b32 exec_lo, exec_lo, s3
	s_cbranch_execnz .LBB33_145
; %bb.146:
	s_or_b32 exec_lo, exec_lo, s3
	v_mov_b32_e32 v6, 0
	ds_load_b128 v[6:9], v6 offset:528
	s_wait_dscnt 0x0
	v_mul_f64_e32 v[12:13], v[2:3], v[8:9]
	v_mul_f64_e32 v[10:11], v[4:5], v[8:9]
	s_delay_alu instid0(VALU_DEP_2) | instskip(NEXT) | instid1(VALU_DEP_2)
	v_fma_f64 v[8:9], v[4:5], v[6:7], -v[12:13]
	v_fmac_f64_e32 v[10:11], v[2:3], v[6:7]
	scratch_store_b128 off, v[8:11], off offset:528
.LBB33_147:
	s_wait_xcnt 0x0
	s_or_b32 exec_lo, exec_lo, s2
	s_mov_b32 s3, -1
	s_wait_storecnt 0x0
	s_barrier_signal -1
	s_barrier_wait -1
.LBB33_148:
	s_and_b32 vcc_lo, exec_lo, s3
	s_cbranch_vccz .LBB33_150
; %bb.149:
	s_wait_xcnt 0xd
	v_mov_b32_e32 v2, 0
	s_lshl_b64 s[2:3], s[18:19], 2
	s_delay_alu instid0(SALU_CYCLE_1)
	s_add_nc_u64 s[2:3], s[6:7], s[2:3]
	global_load_b32 v2, v2, s[2:3]
	s_wait_loadcnt 0x0
	v_cmp_ne_u32_e32 vcc_lo, 0, v2
	s_cbranch_vccz .LBB33_151
.LBB33_150:
	s_sendmsg sendmsg(MSG_DEALLOC_VGPRS)
	s_endpgm
.LBB33_151:
	s_wait_xcnt 0xd
	v_lshl_add_u32 v6, v1, 4, 0x220
	s_wait_xcnt 0x0
	s_mov_b32 s2, exec_lo
	v_cmpx_eq_u32_e32 33, v1
	s_cbranch_execz .LBB33_153
; %bb.152:
	scratch_load_b128 v[2:5], off, s14
	v_mov_b32_e32 v8, 0
	s_delay_alu instid0(VALU_DEP_1)
	v_dual_mov_b32 v9, v8 :: v_dual_mov_b32 v10, v8
	v_mov_b32_e32 v11, v8
	scratch_store_b128 off, v[8:11], off offset:512
	s_wait_loadcnt 0x0
	ds_store_b128 v6, v[2:5]
.LBB33_153:
	s_wait_xcnt 0x0
	s_or_b32 exec_lo, exec_lo, s2
	s_wait_storecnt_dscnt 0x0
	s_barrier_signal -1
	s_barrier_wait -1
	s_clause 0x1
	scratch_load_b128 v[8:11], off, off offset:528
	scratch_load_b128 v[82:85], off, off offset:512
	v_mov_b32_e32 v2, 0
	s_mov_b32 s2, exec_lo
	ds_load_b128 v[86:89], v2 offset:1072
	s_wait_loadcnt_dscnt 0x100
	v_mul_f64_e32 v[4:5], v[88:89], v[10:11]
	v_mul_f64_e32 v[10:11], v[86:87], v[10:11]
	s_delay_alu instid0(VALU_DEP_2) | instskip(NEXT) | instid1(VALU_DEP_2)
	v_fma_f64 v[4:5], v[86:87], v[8:9], -v[4:5]
	v_fmac_f64_e32 v[10:11], v[88:89], v[8:9]
	s_delay_alu instid0(VALU_DEP_2) | instskip(NEXT) | instid1(VALU_DEP_2)
	v_add_f64_e32 v[4:5], 0, v[4:5]
	v_add_f64_e32 v[10:11], 0, v[10:11]
	s_wait_loadcnt 0x0
	s_delay_alu instid0(VALU_DEP_2) | instskip(NEXT) | instid1(VALU_DEP_2)
	v_add_f64_e64 v[8:9], v[82:83], -v[4:5]
	v_add_f64_e64 v[10:11], v[84:85], -v[10:11]
	scratch_store_b128 off, v[8:11], off offset:512
	s_wait_xcnt 0x0
	v_cmpx_lt_u32_e32 31, v1
	s_cbranch_execz .LBB33_155
; %bb.154:
	scratch_load_b128 v[8:11], off, s12
	v_dual_mov_b32 v3, v2 :: v_dual_mov_b32 v4, v2
	v_mov_b32_e32 v5, v2
	scratch_store_b128 off, v[2:5], off offset:496
	s_wait_loadcnt 0x0
	ds_store_b128 v6, v[8:11]
.LBB33_155:
	s_wait_xcnt 0x0
	s_or_b32 exec_lo, exec_lo, s2
	s_wait_storecnt_dscnt 0x0
	s_barrier_signal -1
	s_barrier_wait -1
	s_clause 0x2
	scratch_load_b128 v[8:11], off, off offset:512
	scratch_load_b128 v[82:85], off, off offset:528
	;; [unrolled: 1-line block ×3, first 2 shown]
	ds_load_b128 v[90:93], v2 offset:1056
	ds_load_b128 v[2:5], v2 offset:1072
	s_mov_b32 s2, exec_lo
	s_wait_loadcnt_dscnt 0x201
	v_mul_f64_e32 v[12:13], v[92:93], v[10:11]
	v_mul_f64_e32 v[10:11], v[90:91], v[10:11]
	s_wait_loadcnt_dscnt 0x100
	v_mul_f64_e32 v[94:95], v[2:3], v[84:85]
	v_mul_f64_e32 v[84:85], v[4:5], v[84:85]
	s_delay_alu instid0(VALU_DEP_4) | instskip(NEXT) | instid1(VALU_DEP_4)
	v_fma_f64 v[12:13], v[90:91], v[8:9], -v[12:13]
	v_fmac_f64_e32 v[10:11], v[92:93], v[8:9]
	s_delay_alu instid0(VALU_DEP_4) | instskip(NEXT) | instid1(VALU_DEP_4)
	v_fmac_f64_e32 v[94:95], v[4:5], v[82:83]
	v_fma_f64 v[2:3], v[2:3], v[82:83], -v[84:85]
	s_delay_alu instid0(VALU_DEP_4) | instskip(NEXT) | instid1(VALU_DEP_4)
	v_add_f64_e32 v[4:5], 0, v[12:13]
	v_add_f64_e32 v[8:9], 0, v[10:11]
	s_delay_alu instid0(VALU_DEP_2) | instskip(NEXT) | instid1(VALU_DEP_2)
	v_add_f64_e32 v[2:3], v[4:5], v[2:3]
	v_add_f64_e32 v[4:5], v[8:9], v[94:95]
	s_wait_loadcnt 0x0
	s_delay_alu instid0(VALU_DEP_2) | instskip(NEXT) | instid1(VALU_DEP_2)
	v_add_f64_e64 v[2:3], v[86:87], -v[2:3]
	v_add_f64_e64 v[4:5], v[88:89], -v[4:5]
	scratch_store_b128 off, v[2:5], off offset:496
	s_wait_xcnt 0x0
	v_cmpx_lt_u32_e32 30, v1
	s_cbranch_execz .LBB33_157
; %bb.156:
	scratch_load_b128 v[2:5], off, s22
	v_mov_b32_e32 v8, 0
	s_delay_alu instid0(VALU_DEP_1)
	v_dual_mov_b32 v9, v8 :: v_dual_mov_b32 v10, v8
	v_mov_b32_e32 v11, v8
	scratch_store_b128 off, v[8:11], off offset:480
	s_wait_loadcnt 0x0
	ds_store_b128 v6, v[2:5]
.LBB33_157:
	s_wait_xcnt 0x0
	s_or_b32 exec_lo, exec_lo, s2
	s_wait_storecnt_dscnt 0x0
	s_barrier_signal -1
	s_barrier_wait -1
	s_clause 0x3
	scratch_load_b128 v[8:11], off, off offset:496
	scratch_load_b128 v[82:85], off, off offset:512
	;; [unrolled: 1-line block ×4, first 2 shown]
	v_mov_b32_e32 v2, 0
	ds_load_b128 v[94:97], v2 offset:1040
	ds_load_b128 v[98:101], v2 offset:1056
	s_mov_b32 s2, exec_lo
	s_wait_loadcnt_dscnt 0x301
	v_mul_f64_e32 v[4:5], v[96:97], v[10:11]
	v_mul_f64_e32 v[12:13], v[94:95], v[10:11]
	s_wait_loadcnt_dscnt 0x200
	v_mul_f64_e32 v[102:103], v[98:99], v[84:85]
	v_mul_f64_e32 v[84:85], v[100:101], v[84:85]
	s_delay_alu instid0(VALU_DEP_4) | instskip(NEXT) | instid1(VALU_DEP_4)
	v_fma_f64 v[4:5], v[94:95], v[8:9], -v[4:5]
	v_fmac_f64_e32 v[12:13], v[96:97], v[8:9]
	ds_load_b128 v[8:11], v2 offset:1072
	v_fmac_f64_e32 v[102:103], v[100:101], v[82:83]
	v_fma_f64 v[82:83], v[98:99], v[82:83], -v[84:85]
	s_wait_loadcnt_dscnt 0x100
	v_mul_f64_e32 v[94:95], v[8:9], v[88:89]
	v_mul_f64_e32 v[88:89], v[10:11], v[88:89]
	v_add_f64_e32 v[4:5], 0, v[4:5]
	v_add_f64_e32 v[12:13], 0, v[12:13]
	s_delay_alu instid0(VALU_DEP_4) | instskip(NEXT) | instid1(VALU_DEP_4)
	v_fmac_f64_e32 v[94:95], v[10:11], v[86:87]
	v_fma_f64 v[8:9], v[8:9], v[86:87], -v[88:89]
	s_delay_alu instid0(VALU_DEP_4) | instskip(NEXT) | instid1(VALU_DEP_4)
	v_add_f64_e32 v[4:5], v[4:5], v[82:83]
	v_add_f64_e32 v[10:11], v[12:13], v[102:103]
	s_delay_alu instid0(VALU_DEP_2) | instskip(NEXT) | instid1(VALU_DEP_2)
	v_add_f64_e32 v[4:5], v[4:5], v[8:9]
	v_add_f64_e32 v[10:11], v[10:11], v[94:95]
	s_wait_loadcnt 0x0
	s_delay_alu instid0(VALU_DEP_2) | instskip(NEXT) | instid1(VALU_DEP_2)
	v_add_f64_e64 v[8:9], v[90:91], -v[4:5]
	v_add_f64_e64 v[10:11], v[92:93], -v[10:11]
	scratch_store_b128 off, v[8:11], off offset:480
	s_wait_xcnt 0x0
	v_cmpx_lt_u32_e32 29, v1
	s_cbranch_execz .LBB33_159
; %bb.158:
	scratch_load_b128 v[8:11], off, s15
	v_dual_mov_b32 v3, v2 :: v_dual_mov_b32 v4, v2
	v_mov_b32_e32 v5, v2
	scratch_store_b128 off, v[2:5], off offset:464
	s_wait_loadcnt 0x0
	ds_store_b128 v6, v[8:11]
.LBB33_159:
	s_wait_xcnt 0x0
	s_or_b32 exec_lo, exec_lo, s2
	s_wait_storecnt_dscnt 0x0
	s_barrier_signal -1
	s_barrier_wait -1
	s_clause 0x4
	scratch_load_b128 v[8:11], off, off offset:480
	scratch_load_b128 v[82:85], off, off offset:496
	;; [unrolled: 1-line block ×5, first 2 shown]
	ds_load_b128 v[98:101], v2 offset:1024
	ds_load_b128 v[102:105], v2 offset:1040
	s_mov_b32 s2, exec_lo
	s_wait_loadcnt_dscnt 0x401
	v_mul_f64_e32 v[4:5], v[100:101], v[10:11]
	v_mul_f64_e32 v[12:13], v[98:99], v[10:11]
	s_wait_loadcnt_dscnt 0x300
	v_mul_f64_e32 v[106:107], v[102:103], v[84:85]
	v_mul_f64_e32 v[84:85], v[104:105], v[84:85]
	s_delay_alu instid0(VALU_DEP_4) | instskip(NEXT) | instid1(VALU_DEP_4)
	v_fma_f64 v[98:99], v[98:99], v[8:9], -v[4:5]
	v_fmac_f64_e32 v[12:13], v[100:101], v[8:9]
	ds_load_b128 v[8:11], v2 offset:1056
	ds_load_b128 v[2:5], v2 offset:1072
	v_fmac_f64_e32 v[106:107], v[104:105], v[82:83]
	v_fma_f64 v[82:83], v[102:103], v[82:83], -v[84:85]
	s_wait_loadcnt_dscnt 0x201
	v_mul_f64_e32 v[100:101], v[8:9], v[88:89]
	v_mul_f64_e32 v[88:89], v[10:11], v[88:89]
	v_add_f64_e32 v[84:85], 0, v[98:99]
	v_add_f64_e32 v[12:13], 0, v[12:13]
	s_wait_loadcnt_dscnt 0x100
	v_mul_f64_e32 v[98:99], v[2:3], v[92:93]
	v_mul_f64_e32 v[92:93], v[4:5], v[92:93]
	v_fmac_f64_e32 v[100:101], v[10:11], v[86:87]
	v_fma_f64 v[8:9], v[8:9], v[86:87], -v[88:89]
	v_add_f64_e32 v[10:11], v[84:85], v[82:83]
	v_add_f64_e32 v[12:13], v[12:13], v[106:107]
	v_fmac_f64_e32 v[98:99], v[4:5], v[90:91]
	v_fma_f64 v[2:3], v[2:3], v[90:91], -v[92:93]
	s_delay_alu instid0(VALU_DEP_4) | instskip(NEXT) | instid1(VALU_DEP_4)
	v_add_f64_e32 v[4:5], v[10:11], v[8:9]
	v_add_f64_e32 v[8:9], v[12:13], v[100:101]
	s_delay_alu instid0(VALU_DEP_2) | instskip(NEXT) | instid1(VALU_DEP_2)
	v_add_f64_e32 v[2:3], v[4:5], v[2:3]
	v_add_f64_e32 v[4:5], v[8:9], v[98:99]
	s_wait_loadcnt 0x0
	s_delay_alu instid0(VALU_DEP_2) | instskip(NEXT) | instid1(VALU_DEP_2)
	v_add_f64_e64 v[2:3], v[94:95], -v[2:3]
	v_add_f64_e64 v[4:5], v[96:97], -v[4:5]
	scratch_store_b128 off, v[2:5], off offset:464
	s_wait_xcnt 0x0
	v_cmpx_lt_u32_e32 28, v1
	s_cbranch_execz .LBB33_161
; %bb.160:
	scratch_load_b128 v[2:5], off, s26
	v_mov_b32_e32 v8, 0
	s_delay_alu instid0(VALU_DEP_1)
	v_dual_mov_b32 v9, v8 :: v_dual_mov_b32 v10, v8
	v_mov_b32_e32 v11, v8
	scratch_store_b128 off, v[8:11], off offset:448
	s_wait_loadcnt 0x0
	ds_store_b128 v6, v[2:5]
.LBB33_161:
	s_wait_xcnt 0x0
	s_or_b32 exec_lo, exec_lo, s2
	s_wait_storecnt_dscnt 0x0
	s_barrier_signal -1
	s_barrier_wait -1
	s_clause 0x5
	scratch_load_b128 v[8:11], off, off offset:464
	scratch_load_b128 v[82:85], off, off offset:480
	;; [unrolled: 1-line block ×6, first 2 shown]
	v_mov_b32_e32 v2, 0
	ds_load_b128 v[102:105], v2 offset:1008
	ds_load_b128 v[106:109], v2 offset:1024
	s_mov_b32 s2, exec_lo
	s_wait_loadcnt_dscnt 0x501
	v_mul_f64_e32 v[4:5], v[104:105], v[10:11]
	v_mul_f64_e32 v[12:13], v[102:103], v[10:11]
	s_wait_loadcnt_dscnt 0x400
	v_mul_f64_e32 v[110:111], v[106:107], v[84:85]
	v_mul_f64_e32 v[84:85], v[108:109], v[84:85]
	s_delay_alu instid0(VALU_DEP_4) | instskip(NEXT) | instid1(VALU_DEP_4)
	v_fma_f64 v[4:5], v[102:103], v[8:9], -v[4:5]
	v_fmac_f64_e32 v[12:13], v[104:105], v[8:9]
	ds_load_b128 v[8:11], v2 offset:1040
	ds_load_b128 v[102:105], v2 offset:1056
	v_fmac_f64_e32 v[110:111], v[108:109], v[82:83]
	v_fma_f64 v[82:83], v[106:107], v[82:83], -v[84:85]
	s_wait_loadcnt_dscnt 0x301
	v_mul_f64_e32 v[112:113], v[8:9], v[88:89]
	v_mul_f64_e32 v[88:89], v[10:11], v[88:89]
	s_wait_loadcnt_dscnt 0x200
	v_mul_f64_e32 v[84:85], v[102:103], v[92:93]
	v_mul_f64_e32 v[92:93], v[104:105], v[92:93]
	v_add_f64_e32 v[4:5], 0, v[4:5]
	v_add_f64_e32 v[12:13], 0, v[12:13]
	v_fmac_f64_e32 v[112:113], v[10:11], v[86:87]
	v_fma_f64 v[86:87], v[8:9], v[86:87], -v[88:89]
	ds_load_b128 v[8:11], v2 offset:1072
	v_fmac_f64_e32 v[84:85], v[104:105], v[90:91]
	v_fma_f64 v[90:91], v[102:103], v[90:91], -v[92:93]
	v_add_f64_e32 v[4:5], v[4:5], v[82:83]
	v_add_f64_e32 v[12:13], v[12:13], v[110:111]
	s_wait_loadcnt_dscnt 0x100
	v_mul_f64_e32 v[82:83], v[8:9], v[96:97]
	v_mul_f64_e32 v[88:89], v[10:11], v[96:97]
	s_delay_alu instid0(VALU_DEP_4) | instskip(NEXT) | instid1(VALU_DEP_4)
	v_add_f64_e32 v[4:5], v[4:5], v[86:87]
	v_add_f64_e32 v[12:13], v[12:13], v[112:113]
	s_delay_alu instid0(VALU_DEP_4) | instskip(NEXT) | instid1(VALU_DEP_4)
	v_fmac_f64_e32 v[82:83], v[10:11], v[94:95]
	v_fma_f64 v[8:9], v[8:9], v[94:95], -v[88:89]
	s_delay_alu instid0(VALU_DEP_4) | instskip(NEXT) | instid1(VALU_DEP_4)
	v_add_f64_e32 v[4:5], v[4:5], v[90:91]
	v_add_f64_e32 v[10:11], v[12:13], v[84:85]
	s_delay_alu instid0(VALU_DEP_2) | instskip(NEXT) | instid1(VALU_DEP_2)
	v_add_f64_e32 v[4:5], v[4:5], v[8:9]
	v_add_f64_e32 v[10:11], v[10:11], v[82:83]
	s_wait_loadcnt 0x0
	s_delay_alu instid0(VALU_DEP_2) | instskip(NEXT) | instid1(VALU_DEP_2)
	v_add_f64_e64 v[8:9], v[98:99], -v[4:5]
	v_add_f64_e64 v[10:11], v[100:101], -v[10:11]
	scratch_store_b128 off, v[8:11], off offset:448
	s_wait_xcnt 0x0
	v_cmpx_lt_u32_e32 27, v1
	s_cbranch_execz .LBB33_163
; %bb.162:
	scratch_load_b128 v[8:11], off, s24
	v_dual_mov_b32 v3, v2 :: v_dual_mov_b32 v4, v2
	v_mov_b32_e32 v5, v2
	scratch_store_b128 off, v[2:5], off offset:432
	s_wait_loadcnt 0x0
	ds_store_b128 v6, v[8:11]
.LBB33_163:
	s_wait_xcnt 0x0
	s_or_b32 exec_lo, exec_lo, s2
	s_wait_storecnt_dscnt 0x0
	s_barrier_signal -1
	s_barrier_wait -1
	s_clause 0x6
	scratch_load_b128 v[8:11], off, off offset:448
	scratch_load_b128 v[82:85], off, off offset:464
	;; [unrolled: 1-line block ×7, first 2 shown]
	ds_load_b128 v[106:109], v2 offset:992
	ds_load_b128 v[110:113], v2 offset:1008
	s_mov_b32 s2, exec_lo
	s_wait_loadcnt_dscnt 0x601
	v_mul_f64_e32 v[4:5], v[108:109], v[10:11]
	v_mul_f64_e32 v[12:13], v[106:107], v[10:11]
	s_wait_loadcnt_dscnt 0x500
	v_mul_f64_e32 v[114:115], v[110:111], v[84:85]
	v_mul_f64_e32 v[84:85], v[112:113], v[84:85]
	s_delay_alu instid0(VALU_DEP_4) | instskip(NEXT) | instid1(VALU_DEP_4)
	v_fma_f64 v[4:5], v[106:107], v[8:9], -v[4:5]
	v_fmac_f64_e32 v[12:13], v[108:109], v[8:9]
	ds_load_b128 v[8:11], v2 offset:1024
	ds_load_b128 v[106:109], v2 offset:1040
	v_fmac_f64_e32 v[114:115], v[112:113], v[82:83]
	v_fma_f64 v[82:83], v[110:111], v[82:83], -v[84:85]
	s_wait_loadcnt_dscnt 0x401
	v_mul_f64_e32 v[116:117], v[8:9], v[88:89]
	v_mul_f64_e32 v[88:89], v[10:11], v[88:89]
	s_wait_loadcnt_dscnt 0x300
	v_mul_f64_e32 v[84:85], v[106:107], v[92:93]
	v_mul_f64_e32 v[92:93], v[108:109], v[92:93]
	v_add_f64_e32 v[4:5], 0, v[4:5]
	v_add_f64_e32 v[12:13], 0, v[12:13]
	v_fmac_f64_e32 v[116:117], v[10:11], v[86:87]
	v_fma_f64 v[86:87], v[8:9], v[86:87], -v[88:89]
	v_fmac_f64_e32 v[84:85], v[108:109], v[90:91]
	v_fma_f64 v[90:91], v[106:107], v[90:91], -v[92:93]
	v_add_f64_e32 v[82:83], v[4:5], v[82:83]
	v_add_f64_e32 v[12:13], v[12:13], v[114:115]
	ds_load_b128 v[8:11], v2 offset:1056
	ds_load_b128 v[2:5], v2 offset:1072
	s_wait_loadcnt_dscnt 0x201
	v_mul_f64_e32 v[88:89], v[8:9], v[96:97]
	v_mul_f64_e32 v[96:97], v[10:11], v[96:97]
	s_wait_loadcnt_dscnt 0x100
	v_mul_f64_e32 v[92:93], v[4:5], v[100:101]
	v_add_f64_e32 v[82:83], v[82:83], v[86:87]
	v_add_f64_e32 v[12:13], v[12:13], v[116:117]
	v_mul_f64_e32 v[86:87], v[2:3], v[100:101]
	v_fmac_f64_e32 v[88:89], v[10:11], v[94:95]
	v_fma_f64 v[8:9], v[8:9], v[94:95], -v[96:97]
	v_fma_f64 v[2:3], v[2:3], v[98:99], -v[92:93]
	v_add_f64_e32 v[10:11], v[82:83], v[90:91]
	v_add_f64_e32 v[12:13], v[12:13], v[84:85]
	v_fmac_f64_e32 v[86:87], v[4:5], v[98:99]
	s_delay_alu instid0(VALU_DEP_3) | instskip(NEXT) | instid1(VALU_DEP_3)
	v_add_f64_e32 v[4:5], v[10:11], v[8:9]
	v_add_f64_e32 v[8:9], v[12:13], v[88:89]
	s_delay_alu instid0(VALU_DEP_2) | instskip(NEXT) | instid1(VALU_DEP_2)
	v_add_f64_e32 v[2:3], v[4:5], v[2:3]
	v_add_f64_e32 v[4:5], v[8:9], v[86:87]
	s_wait_loadcnt 0x0
	s_delay_alu instid0(VALU_DEP_2) | instskip(NEXT) | instid1(VALU_DEP_2)
	v_add_f64_e64 v[2:3], v[102:103], -v[2:3]
	v_add_f64_e64 v[4:5], v[104:105], -v[4:5]
	scratch_store_b128 off, v[2:5], off offset:432
	s_wait_xcnt 0x0
	v_cmpx_lt_u32_e32 26, v1
	s_cbranch_execz .LBB33_165
; %bb.164:
	scratch_load_b128 v[2:5], off, s9
	v_mov_b32_e32 v8, 0
	s_delay_alu instid0(VALU_DEP_1)
	v_dual_mov_b32 v9, v8 :: v_dual_mov_b32 v10, v8
	v_mov_b32_e32 v11, v8
	scratch_store_b128 off, v[8:11], off offset:416
	s_wait_loadcnt 0x0
	ds_store_b128 v6, v[2:5]
.LBB33_165:
	s_wait_xcnt 0x0
	s_or_b32 exec_lo, exec_lo, s2
	s_wait_storecnt_dscnt 0x0
	s_barrier_signal -1
	s_barrier_wait -1
	s_clause 0x7
	scratch_load_b128 v[8:11], off, off offset:432
	scratch_load_b128 v[82:85], off, off offset:448
	;; [unrolled: 1-line block ×8, first 2 shown]
	v_mov_b32_e32 v2, 0
	ds_load_b128 v[110:113], v2 offset:976
	ds_load_b128 v[114:117], v2 offset:992
	s_mov_b32 s2, exec_lo
	s_wait_loadcnt_dscnt 0x701
	v_mul_f64_e32 v[4:5], v[112:113], v[10:11]
	v_mul_f64_e32 v[12:13], v[110:111], v[10:11]
	s_wait_loadcnt_dscnt 0x600
	v_mul_f64_e32 v[118:119], v[114:115], v[84:85]
	v_mul_f64_e32 v[84:85], v[116:117], v[84:85]
	s_delay_alu instid0(VALU_DEP_4) | instskip(NEXT) | instid1(VALU_DEP_4)
	v_fma_f64 v[4:5], v[110:111], v[8:9], -v[4:5]
	v_fmac_f64_e32 v[12:13], v[112:113], v[8:9]
	ds_load_b128 v[8:11], v2 offset:1008
	ds_load_b128 v[110:113], v2 offset:1024
	v_fmac_f64_e32 v[118:119], v[116:117], v[82:83]
	v_fma_f64 v[82:83], v[114:115], v[82:83], -v[84:85]
	s_wait_loadcnt_dscnt 0x501
	v_mul_f64_e32 v[120:121], v[8:9], v[88:89]
	v_mul_f64_e32 v[88:89], v[10:11], v[88:89]
	s_wait_loadcnt_dscnt 0x400
	v_mul_f64_e32 v[114:115], v[110:111], v[92:93]
	v_mul_f64_e32 v[92:93], v[112:113], v[92:93]
	v_add_f64_e32 v[4:5], 0, v[4:5]
	v_add_f64_e32 v[12:13], 0, v[12:13]
	v_fmac_f64_e32 v[120:121], v[10:11], v[86:87]
	v_fma_f64 v[86:87], v[8:9], v[86:87], -v[88:89]
	v_fmac_f64_e32 v[114:115], v[112:113], v[90:91]
	v_fma_f64 v[90:91], v[110:111], v[90:91], -v[92:93]
	v_add_f64_e32 v[4:5], v[4:5], v[82:83]
	v_add_f64_e32 v[12:13], v[12:13], v[118:119]
	ds_load_b128 v[8:11], v2 offset:1040
	ds_load_b128 v[82:85], v2 offset:1056
	s_wait_loadcnt_dscnt 0x301
	v_mul_f64_e32 v[88:89], v[8:9], v[96:97]
	v_mul_f64_e32 v[96:97], v[10:11], v[96:97]
	s_wait_loadcnt_dscnt 0x200
	v_mul_f64_e32 v[92:93], v[84:85], v[100:101]
	v_add_f64_e32 v[4:5], v[4:5], v[86:87]
	v_add_f64_e32 v[12:13], v[12:13], v[120:121]
	v_mul_f64_e32 v[86:87], v[82:83], v[100:101]
	v_fmac_f64_e32 v[88:89], v[10:11], v[94:95]
	v_fma_f64 v[94:95], v[8:9], v[94:95], -v[96:97]
	ds_load_b128 v[8:11], v2 offset:1072
	v_fma_f64 v[82:83], v[82:83], v[98:99], -v[92:93]
	v_add_f64_e32 v[4:5], v[4:5], v[90:91]
	v_add_f64_e32 v[12:13], v[12:13], v[114:115]
	v_fmac_f64_e32 v[86:87], v[84:85], v[98:99]
	s_wait_loadcnt_dscnt 0x100
	v_mul_f64_e32 v[90:91], v[8:9], v[104:105]
	v_mul_f64_e32 v[96:97], v[10:11], v[104:105]
	v_add_f64_e32 v[4:5], v[4:5], v[94:95]
	v_add_f64_e32 v[12:13], v[12:13], v[88:89]
	s_delay_alu instid0(VALU_DEP_4) | instskip(NEXT) | instid1(VALU_DEP_4)
	v_fmac_f64_e32 v[90:91], v[10:11], v[102:103]
	v_fma_f64 v[8:9], v[8:9], v[102:103], -v[96:97]
	s_delay_alu instid0(VALU_DEP_4) | instskip(NEXT) | instid1(VALU_DEP_4)
	v_add_f64_e32 v[4:5], v[4:5], v[82:83]
	v_add_f64_e32 v[10:11], v[12:13], v[86:87]
	s_delay_alu instid0(VALU_DEP_2) | instskip(NEXT) | instid1(VALU_DEP_2)
	v_add_f64_e32 v[4:5], v[4:5], v[8:9]
	v_add_f64_e32 v[10:11], v[10:11], v[90:91]
	s_wait_loadcnt 0x0
	s_delay_alu instid0(VALU_DEP_2) | instskip(NEXT) | instid1(VALU_DEP_2)
	v_add_f64_e64 v[8:9], v[106:107], -v[4:5]
	v_add_f64_e64 v[10:11], v[108:109], -v[10:11]
	scratch_store_b128 off, v[8:11], off offset:416
	s_wait_xcnt 0x0
	v_cmpx_lt_u32_e32 25, v1
	s_cbranch_execz .LBB33_167
; %bb.166:
	scratch_load_b128 v[8:11], off, s8
	v_dual_mov_b32 v3, v2 :: v_dual_mov_b32 v4, v2
	v_mov_b32_e32 v5, v2
	scratch_store_b128 off, v[2:5], off offset:400
	s_wait_loadcnt 0x0
	ds_store_b128 v6, v[8:11]
.LBB33_167:
	s_wait_xcnt 0x0
	s_or_b32 exec_lo, exec_lo, s2
	s_wait_storecnt_dscnt 0x0
	s_barrier_signal -1
	s_barrier_wait -1
	s_clause 0x7
	scratch_load_b128 v[8:11], off, off offset:416
	scratch_load_b128 v[82:85], off, off offset:432
	;; [unrolled: 1-line block ×8, first 2 shown]
	ds_load_b128 v[110:113], v2 offset:960
	ds_load_b128 v[114:117], v2 offset:976
	scratch_load_b128 v[118:121], off, off offset:400
	s_mov_b32 s2, exec_lo
	s_wait_loadcnt_dscnt 0x801
	v_mul_f64_e32 v[4:5], v[112:113], v[10:11]
	v_mul_f64_e32 v[12:13], v[110:111], v[10:11]
	s_wait_loadcnt_dscnt 0x700
	v_mul_f64_e32 v[122:123], v[114:115], v[84:85]
	v_mul_f64_e32 v[84:85], v[116:117], v[84:85]
	s_delay_alu instid0(VALU_DEP_4) | instskip(NEXT) | instid1(VALU_DEP_4)
	v_fma_f64 v[4:5], v[110:111], v[8:9], -v[4:5]
	v_fmac_f64_e32 v[12:13], v[112:113], v[8:9]
	ds_load_b128 v[8:11], v2 offset:992
	ds_load_b128 v[110:113], v2 offset:1008
	v_fmac_f64_e32 v[122:123], v[116:117], v[82:83]
	v_fma_f64 v[82:83], v[114:115], v[82:83], -v[84:85]
	s_wait_loadcnt_dscnt 0x601
	v_mul_f64_e32 v[124:125], v[8:9], v[88:89]
	v_mul_f64_e32 v[88:89], v[10:11], v[88:89]
	s_wait_loadcnt_dscnt 0x500
	v_mul_f64_e32 v[114:115], v[110:111], v[92:93]
	v_mul_f64_e32 v[92:93], v[112:113], v[92:93]
	v_add_f64_e32 v[4:5], 0, v[4:5]
	v_add_f64_e32 v[12:13], 0, v[12:13]
	v_fmac_f64_e32 v[124:125], v[10:11], v[86:87]
	v_fma_f64 v[86:87], v[8:9], v[86:87], -v[88:89]
	v_fmac_f64_e32 v[114:115], v[112:113], v[90:91]
	v_fma_f64 v[90:91], v[110:111], v[90:91], -v[92:93]
	v_add_f64_e32 v[4:5], v[4:5], v[82:83]
	v_add_f64_e32 v[12:13], v[12:13], v[122:123]
	ds_load_b128 v[8:11], v2 offset:1024
	ds_load_b128 v[82:85], v2 offset:1040
	s_wait_loadcnt_dscnt 0x401
	v_mul_f64_e32 v[88:89], v[8:9], v[96:97]
	v_mul_f64_e32 v[96:97], v[10:11], v[96:97]
	s_wait_loadcnt_dscnt 0x300
	v_mul_f64_e32 v[92:93], v[84:85], v[100:101]
	v_add_f64_e32 v[4:5], v[4:5], v[86:87]
	v_add_f64_e32 v[12:13], v[12:13], v[124:125]
	v_mul_f64_e32 v[86:87], v[82:83], v[100:101]
	v_fmac_f64_e32 v[88:89], v[10:11], v[94:95]
	v_fma_f64 v[94:95], v[8:9], v[94:95], -v[96:97]
	v_fma_f64 v[82:83], v[82:83], v[98:99], -v[92:93]
	v_add_f64_e32 v[90:91], v[4:5], v[90:91]
	v_add_f64_e32 v[12:13], v[12:13], v[114:115]
	ds_load_b128 v[8:11], v2 offset:1056
	ds_load_b128 v[2:5], v2 offset:1072
	v_fmac_f64_e32 v[86:87], v[84:85], v[98:99]
	s_wait_loadcnt_dscnt 0x201
	v_mul_f64_e32 v[96:97], v[8:9], v[104:105]
	v_mul_f64_e32 v[100:101], v[10:11], v[104:105]
	v_add_f64_e32 v[84:85], v[90:91], v[94:95]
	v_add_f64_e32 v[12:13], v[12:13], v[88:89]
	s_wait_loadcnt_dscnt 0x100
	v_mul_f64_e32 v[88:89], v[2:3], v[108:109]
	v_mul_f64_e32 v[90:91], v[4:5], v[108:109]
	v_fmac_f64_e32 v[96:97], v[10:11], v[102:103]
	v_fma_f64 v[8:9], v[8:9], v[102:103], -v[100:101]
	v_add_f64_e32 v[10:11], v[84:85], v[82:83]
	v_add_f64_e32 v[12:13], v[12:13], v[86:87]
	v_fmac_f64_e32 v[88:89], v[4:5], v[106:107]
	v_fma_f64 v[2:3], v[2:3], v[106:107], -v[90:91]
	s_delay_alu instid0(VALU_DEP_4) | instskip(NEXT) | instid1(VALU_DEP_4)
	v_add_f64_e32 v[4:5], v[10:11], v[8:9]
	v_add_f64_e32 v[8:9], v[12:13], v[96:97]
	s_delay_alu instid0(VALU_DEP_2) | instskip(NEXT) | instid1(VALU_DEP_2)
	v_add_f64_e32 v[2:3], v[4:5], v[2:3]
	v_add_f64_e32 v[4:5], v[8:9], v[88:89]
	s_wait_loadcnt 0x0
	s_delay_alu instid0(VALU_DEP_2) | instskip(NEXT) | instid1(VALU_DEP_2)
	v_add_f64_e64 v[2:3], v[118:119], -v[2:3]
	v_add_f64_e64 v[4:5], v[120:121], -v[4:5]
	scratch_store_b128 off, v[2:5], off offset:400
	s_wait_xcnt 0x0
	v_cmpx_lt_u32_e32 24, v1
	s_cbranch_execz .LBB33_169
; %bb.168:
	scratch_load_b128 v[2:5], off, s11
	v_mov_b32_e32 v8, 0
	s_delay_alu instid0(VALU_DEP_1)
	v_dual_mov_b32 v9, v8 :: v_dual_mov_b32 v10, v8
	v_mov_b32_e32 v11, v8
	scratch_store_b128 off, v[8:11], off offset:384
	s_wait_loadcnt 0x0
	ds_store_b128 v6, v[2:5]
.LBB33_169:
	s_wait_xcnt 0x0
	s_or_b32 exec_lo, exec_lo, s2
	s_wait_storecnt_dscnt 0x0
	s_barrier_signal -1
	s_barrier_wait -1
	s_clause 0x8
	scratch_load_b128 v[8:11], off, off offset:400
	scratch_load_b128 v[82:85], off, off offset:416
	;; [unrolled: 1-line block ×9, first 2 shown]
	v_mov_b32_e32 v2, 0
	scratch_load_b128 v[118:121], off, off offset:384
	s_mov_b32 s2, exec_lo
	ds_load_b128 v[114:117], v2 offset:944
	ds_load_b128 v[122:125], v2 offset:960
	s_wait_loadcnt_dscnt 0x901
	v_mul_f64_e32 v[4:5], v[116:117], v[10:11]
	v_mul_f64_e32 v[12:13], v[114:115], v[10:11]
	s_wait_loadcnt_dscnt 0x800
	v_mul_f64_e32 v[126:127], v[122:123], v[84:85]
	v_mul_f64_e32 v[84:85], v[124:125], v[84:85]
	s_delay_alu instid0(VALU_DEP_4) | instskip(NEXT) | instid1(VALU_DEP_4)
	v_fma_f64 v[4:5], v[114:115], v[8:9], -v[4:5]
	v_fmac_f64_e32 v[12:13], v[116:117], v[8:9]
	ds_load_b128 v[8:11], v2 offset:976
	ds_load_b128 v[114:117], v2 offset:992
	v_fmac_f64_e32 v[126:127], v[124:125], v[82:83]
	v_fma_f64 v[82:83], v[122:123], v[82:83], -v[84:85]
	s_wait_loadcnt_dscnt 0x701
	v_mul_f64_e32 v[128:129], v[8:9], v[88:89]
	v_mul_f64_e32 v[88:89], v[10:11], v[88:89]
	s_wait_loadcnt_dscnt 0x600
	v_mul_f64_e32 v[122:123], v[114:115], v[92:93]
	v_mul_f64_e32 v[92:93], v[116:117], v[92:93]
	v_add_f64_e32 v[4:5], 0, v[4:5]
	v_add_f64_e32 v[12:13], 0, v[12:13]
	v_fmac_f64_e32 v[128:129], v[10:11], v[86:87]
	v_fma_f64 v[86:87], v[8:9], v[86:87], -v[88:89]
	v_fmac_f64_e32 v[122:123], v[116:117], v[90:91]
	v_fma_f64 v[90:91], v[114:115], v[90:91], -v[92:93]
	v_add_f64_e32 v[4:5], v[4:5], v[82:83]
	v_add_f64_e32 v[12:13], v[12:13], v[126:127]
	ds_load_b128 v[8:11], v2 offset:1008
	ds_load_b128 v[82:85], v2 offset:1024
	s_wait_loadcnt_dscnt 0x501
	v_mul_f64_e32 v[124:125], v[8:9], v[96:97]
	v_mul_f64_e32 v[88:89], v[10:11], v[96:97]
	s_wait_loadcnt_dscnt 0x400
	v_mul_f64_e32 v[92:93], v[82:83], v[100:101]
	v_mul_f64_e32 v[96:97], v[84:85], v[100:101]
	v_add_f64_e32 v[4:5], v[4:5], v[86:87]
	v_add_f64_e32 v[12:13], v[12:13], v[128:129]
	v_fmac_f64_e32 v[124:125], v[10:11], v[94:95]
	v_fma_f64 v[94:95], v[8:9], v[94:95], -v[88:89]
	ds_load_b128 v[8:11], v2 offset:1040
	ds_load_b128 v[86:89], v2 offset:1056
	v_fmac_f64_e32 v[92:93], v[84:85], v[98:99]
	v_fma_f64 v[82:83], v[82:83], v[98:99], -v[96:97]
	v_add_f64_e32 v[4:5], v[4:5], v[90:91]
	v_add_f64_e32 v[12:13], v[12:13], v[122:123]
	s_wait_loadcnt_dscnt 0x301
	v_mul_f64_e32 v[90:91], v[8:9], v[104:105]
	v_mul_f64_e32 v[100:101], v[10:11], v[104:105]
	s_wait_loadcnt_dscnt 0x200
	v_mul_f64_e32 v[84:85], v[86:87], v[108:109]
	v_add_f64_e32 v[4:5], v[4:5], v[94:95]
	v_add_f64_e32 v[12:13], v[12:13], v[124:125]
	v_mul_f64_e32 v[94:95], v[88:89], v[108:109]
	v_fmac_f64_e32 v[90:91], v[10:11], v[102:103]
	v_fma_f64 v[96:97], v[8:9], v[102:103], -v[100:101]
	ds_load_b128 v[8:11], v2 offset:1072
	v_fmac_f64_e32 v[84:85], v[88:89], v[106:107]
	v_add_f64_e32 v[4:5], v[4:5], v[82:83]
	v_add_f64_e32 v[12:13], v[12:13], v[92:93]
	s_wait_loadcnt_dscnt 0x100
	v_mul_f64_e32 v[82:83], v[8:9], v[112:113]
	v_mul_f64_e32 v[92:93], v[10:11], v[112:113]
	v_fma_f64 v[86:87], v[86:87], v[106:107], -v[94:95]
	v_add_f64_e32 v[4:5], v[4:5], v[96:97]
	v_add_f64_e32 v[12:13], v[12:13], v[90:91]
	v_fmac_f64_e32 v[82:83], v[10:11], v[110:111]
	v_fma_f64 v[8:9], v[8:9], v[110:111], -v[92:93]
	s_delay_alu instid0(VALU_DEP_4) | instskip(NEXT) | instid1(VALU_DEP_4)
	v_add_f64_e32 v[4:5], v[4:5], v[86:87]
	v_add_f64_e32 v[10:11], v[12:13], v[84:85]
	s_delay_alu instid0(VALU_DEP_2) | instskip(NEXT) | instid1(VALU_DEP_2)
	v_add_f64_e32 v[4:5], v[4:5], v[8:9]
	v_add_f64_e32 v[10:11], v[10:11], v[82:83]
	s_wait_loadcnt 0x0
	s_delay_alu instid0(VALU_DEP_2) | instskip(NEXT) | instid1(VALU_DEP_2)
	v_add_f64_e64 v[8:9], v[118:119], -v[4:5]
	v_add_f64_e64 v[10:11], v[120:121], -v[10:11]
	scratch_store_b128 off, v[8:11], off offset:384
	s_wait_xcnt 0x0
	v_cmpx_lt_u32_e32 23, v1
	s_cbranch_execz .LBB33_171
; %bb.170:
	scratch_load_b128 v[8:11], off, s10
	v_dual_mov_b32 v3, v2 :: v_dual_mov_b32 v4, v2
	v_mov_b32_e32 v5, v2
	scratch_store_b128 off, v[2:5], off offset:368
	s_wait_loadcnt 0x0
	ds_store_b128 v6, v[8:11]
.LBB33_171:
	s_wait_xcnt 0x0
	s_or_b32 exec_lo, exec_lo, s2
	s_wait_storecnt_dscnt 0x0
	s_barrier_signal -1
	s_barrier_wait -1
	s_clause 0x9
	scratch_load_b128 v[8:11], off, off offset:384
	scratch_load_b128 v[82:85], off, off offset:400
	;; [unrolled: 1-line block ×10, first 2 shown]
	ds_load_b128 v[118:121], v2 offset:928
	ds_load_b128 v[122:125], v2 offset:944
	scratch_load_b128 v[126:129], off, off offset:368
	s_mov_b32 s2, exec_lo
	s_wait_loadcnt_dscnt 0xa01
	v_mul_f64_e32 v[4:5], v[120:121], v[10:11]
	v_mul_f64_e32 v[12:13], v[118:119], v[10:11]
	s_wait_loadcnt_dscnt 0x900
	v_mul_f64_e32 v[130:131], v[122:123], v[84:85]
	v_mul_f64_e32 v[84:85], v[124:125], v[84:85]
	s_delay_alu instid0(VALU_DEP_4) | instskip(NEXT) | instid1(VALU_DEP_4)
	v_fma_f64 v[4:5], v[118:119], v[8:9], -v[4:5]
	v_fmac_f64_e32 v[12:13], v[120:121], v[8:9]
	ds_load_b128 v[8:11], v2 offset:960
	ds_load_b128 v[118:121], v2 offset:976
	v_fmac_f64_e32 v[130:131], v[124:125], v[82:83]
	v_fma_f64 v[82:83], v[122:123], v[82:83], -v[84:85]
	s_wait_loadcnt_dscnt 0x801
	v_mul_f64_e32 v[132:133], v[8:9], v[88:89]
	v_mul_f64_e32 v[88:89], v[10:11], v[88:89]
	s_wait_loadcnt_dscnt 0x700
	v_mul_f64_e32 v[122:123], v[118:119], v[92:93]
	v_mul_f64_e32 v[92:93], v[120:121], v[92:93]
	v_add_f64_e32 v[4:5], 0, v[4:5]
	v_add_f64_e32 v[12:13], 0, v[12:13]
	v_fmac_f64_e32 v[132:133], v[10:11], v[86:87]
	v_fma_f64 v[86:87], v[8:9], v[86:87], -v[88:89]
	v_fmac_f64_e32 v[122:123], v[120:121], v[90:91]
	v_fma_f64 v[90:91], v[118:119], v[90:91], -v[92:93]
	v_add_f64_e32 v[4:5], v[4:5], v[82:83]
	v_add_f64_e32 v[12:13], v[12:13], v[130:131]
	ds_load_b128 v[8:11], v2 offset:992
	ds_load_b128 v[82:85], v2 offset:1008
	s_wait_loadcnt_dscnt 0x601
	v_mul_f64_e32 v[124:125], v[8:9], v[96:97]
	v_mul_f64_e32 v[88:89], v[10:11], v[96:97]
	s_wait_loadcnt_dscnt 0x500
	v_mul_f64_e32 v[92:93], v[82:83], v[100:101]
	v_mul_f64_e32 v[96:97], v[84:85], v[100:101]
	v_add_f64_e32 v[4:5], v[4:5], v[86:87]
	v_add_f64_e32 v[12:13], v[12:13], v[132:133]
	v_fmac_f64_e32 v[124:125], v[10:11], v[94:95]
	v_fma_f64 v[94:95], v[8:9], v[94:95], -v[88:89]
	ds_load_b128 v[8:11], v2 offset:1024
	ds_load_b128 v[86:89], v2 offset:1040
	v_fmac_f64_e32 v[92:93], v[84:85], v[98:99]
	v_fma_f64 v[82:83], v[82:83], v[98:99], -v[96:97]
	v_add_f64_e32 v[4:5], v[4:5], v[90:91]
	v_add_f64_e32 v[12:13], v[12:13], v[122:123]
	s_wait_loadcnt_dscnt 0x401
	v_mul_f64_e32 v[90:91], v[8:9], v[104:105]
	v_mul_f64_e32 v[100:101], v[10:11], v[104:105]
	s_wait_loadcnt_dscnt 0x300
	v_mul_f64_e32 v[84:85], v[86:87], v[108:109]
	v_add_f64_e32 v[4:5], v[4:5], v[94:95]
	v_add_f64_e32 v[12:13], v[12:13], v[124:125]
	v_mul_f64_e32 v[94:95], v[88:89], v[108:109]
	v_fmac_f64_e32 v[90:91], v[10:11], v[102:103]
	v_fma_f64 v[96:97], v[8:9], v[102:103], -v[100:101]
	v_fmac_f64_e32 v[84:85], v[88:89], v[106:107]
	v_add_f64_e32 v[82:83], v[4:5], v[82:83]
	v_add_f64_e32 v[12:13], v[12:13], v[92:93]
	ds_load_b128 v[8:11], v2 offset:1056
	ds_load_b128 v[2:5], v2 offset:1072
	v_fma_f64 v[86:87], v[86:87], v[106:107], -v[94:95]
	s_wait_loadcnt_dscnt 0x201
	v_mul_f64_e32 v[92:93], v[8:9], v[112:113]
	v_mul_f64_e32 v[98:99], v[10:11], v[112:113]
	s_wait_loadcnt_dscnt 0x100
	v_mul_f64_e32 v[88:89], v[2:3], v[116:117]
	v_add_f64_e32 v[82:83], v[82:83], v[96:97]
	v_add_f64_e32 v[12:13], v[12:13], v[90:91]
	v_mul_f64_e32 v[90:91], v[4:5], v[116:117]
	v_fmac_f64_e32 v[92:93], v[10:11], v[110:111]
	v_fma_f64 v[8:9], v[8:9], v[110:111], -v[98:99]
	v_fmac_f64_e32 v[88:89], v[4:5], v[114:115]
	v_add_f64_e32 v[10:11], v[82:83], v[86:87]
	v_add_f64_e32 v[12:13], v[12:13], v[84:85]
	v_fma_f64 v[2:3], v[2:3], v[114:115], -v[90:91]
	s_delay_alu instid0(VALU_DEP_3) | instskip(NEXT) | instid1(VALU_DEP_3)
	v_add_f64_e32 v[4:5], v[10:11], v[8:9]
	v_add_f64_e32 v[8:9], v[12:13], v[92:93]
	s_delay_alu instid0(VALU_DEP_2) | instskip(NEXT) | instid1(VALU_DEP_2)
	v_add_f64_e32 v[2:3], v[4:5], v[2:3]
	v_add_f64_e32 v[4:5], v[8:9], v[88:89]
	s_wait_loadcnt 0x0
	s_delay_alu instid0(VALU_DEP_2) | instskip(NEXT) | instid1(VALU_DEP_2)
	v_add_f64_e64 v[2:3], v[126:127], -v[2:3]
	v_add_f64_e64 v[4:5], v[128:129], -v[4:5]
	scratch_store_b128 off, v[2:5], off offset:368
	s_wait_xcnt 0x0
	v_cmpx_lt_u32_e32 22, v1
	s_cbranch_execz .LBB33_173
; %bb.172:
	scratch_load_b128 v[2:5], off, s20
	v_mov_b32_e32 v8, 0
	s_delay_alu instid0(VALU_DEP_1)
	v_dual_mov_b32 v9, v8 :: v_dual_mov_b32 v10, v8
	v_mov_b32_e32 v11, v8
	scratch_store_b128 off, v[8:11], off offset:352
	s_wait_loadcnt 0x0
	ds_store_b128 v6, v[2:5]
.LBB33_173:
	s_wait_xcnt 0x0
	s_or_b32 exec_lo, exec_lo, s2
	s_wait_storecnt_dscnt 0x0
	s_barrier_signal -1
	s_barrier_wait -1
	s_clause 0x9
	scratch_load_b128 v[8:11], off, off offset:368
	scratch_load_b128 v[82:85], off, off offset:384
	;; [unrolled: 1-line block ×10, first 2 shown]
	v_mov_b32_e32 v2, 0
	s_mov_b32 s2, exec_lo
	ds_load_b128 v[118:121], v2 offset:912
	s_clause 0x1
	scratch_load_b128 v[122:125], off, off offset:528
	scratch_load_b128 v[126:129], off, off offset:352
	s_wait_loadcnt_dscnt 0xb00
	v_mul_f64_e32 v[4:5], v[120:121], v[10:11]
	v_mul_f64_e32 v[12:13], v[118:119], v[10:11]
	ds_load_b128 v[130:133], v2 offset:928
	s_wait_loadcnt_dscnt 0xa00
	v_mul_f64_e32 v[134:135], v[130:131], v[84:85]
	v_mul_f64_e32 v[84:85], v[132:133], v[84:85]
	v_fma_f64 v[4:5], v[118:119], v[8:9], -v[4:5]
	v_fmac_f64_e32 v[12:13], v[120:121], v[8:9]
	ds_load_b128 v[8:11], v2 offset:944
	ds_load_b128 v[118:121], v2 offset:960
	s_wait_loadcnt_dscnt 0x901
	v_mul_f64_e32 v[136:137], v[8:9], v[88:89]
	v_mul_f64_e32 v[88:89], v[10:11], v[88:89]
	v_fmac_f64_e32 v[134:135], v[132:133], v[82:83]
	v_fma_f64 v[82:83], v[130:131], v[82:83], -v[84:85]
	s_wait_loadcnt_dscnt 0x800
	v_mul_f64_e32 v[130:131], v[118:119], v[92:93]
	v_mul_f64_e32 v[92:93], v[120:121], v[92:93]
	v_add_f64_e32 v[4:5], 0, v[4:5]
	v_add_f64_e32 v[12:13], 0, v[12:13]
	v_fmac_f64_e32 v[136:137], v[10:11], v[86:87]
	v_fma_f64 v[86:87], v[8:9], v[86:87], -v[88:89]
	v_fmac_f64_e32 v[130:131], v[120:121], v[90:91]
	v_fma_f64 v[90:91], v[118:119], v[90:91], -v[92:93]
	v_add_f64_e32 v[4:5], v[4:5], v[82:83]
	v_add_f64_e32 v[12:13], v[12:13], v[134:135]
	ds_load_b128 v[8:11], v2 offset:976
	ds_load_b128 v[82:85], v2 offset:992
	s_wait_loadcnt_dscnt 0x701
	v_mul_f64_e32 v[132:133], v[8:9], v[96:97]
	v_mul_f64_e32 v[88:89], v[10:11], v[96:97]
	s_wait_loadcnt_dscnt 0x600
	v_mul_f64_e32 v[92:93], v[82:83], v[100:101]
	v_mul_f64_e32 v[96:97], v[84:85], v[100:101]
	v_add_f64_e32 v[4:5], v[4:5], v[86:87]
	v_add_f64_e32 v[12:13], v[12:13], v[136:137]
	v_fmac_f64_e32 v[132:133], v[10:11], v[94:95]
	v_fma_f64 v[94:95], v[8:9], v[94:95], -v[88:89]
	ds_load_b128 v[8:11], v2 offset:1008
	ds_load_b128 v[86:89], v2 offset:1024
	v_fmac_f64_e32 v[92:93], v[84:85], v[98:99]
	v_fma_f64 v[82:83], v[82:83], v[98:99], -v[96:97]
	v_add_f64_e32 v[4:5], v[4:5], v[90:91]
	v_add_f64_e32 v[12:13], v[12:13], v[130:131]
	s_wait_loadcnt_dscnt 0x501
	v_mul_f64_e32 v[90:91], v[8:9], v[104:105]
	v_mul_f64_e32 v[100:101], v[10:11], v[104:105]
	s_wait_loadcnt_dscnt 0x400
	v_mul_f64_e32 v[96:97], v[88:89], v[108:109]
	v_add_f64_e32 v[4:5], v[4:5], v[94:95]
	v_add_f64_e32 v[12:13], v[12:13], v[132:133]
	v_mul_f64_e32 v[94:95], v[86:87], v[108:109]
	v_fmac_f64_e32 v[90:91], v[10:11], v[102:103]
	v_fma_f64 v[98:99], v[8:9], v[102:103], -v[100:101]
	v_fma_f64 v[86:87], v[86:87], v[106:107], -v[96:97]
	v_add_f64_e32 v[4:5], v[4:5], v[82:83]
	v_add_f64_e32 v[12:13], v[12:13], v[92:93]
	ds_load_b128 v[8:11], v2 offset:1040
	ds_load_b128 v[82:85], v2 offset:1056
	v_fmac_f64_e32 v[94:95], v[88:89], v[106:107]
	s_wait_loadcnt_dscnt 0x301
	v_mul_f64_e32 v[92:93], v[8:9], v[112:113]
	v_mul_f64_e32 v[100:101], v[10:11], v[112:113]
	s_wait_loadcnt_dscnt 0x200
	v_mul_f64_e32 v[88:89], v[82:83], v[116:117]
	v_add_f64_e32 v[4:5], v[4:5], v[98:99]
	v_add_f64_e32 v[12:13], v[12:13], v[90:91]
	v_mul_f64_e32 v[90:91], v[84:85], v[116:117]
	v_fmac_f64_e32 v[92:93], v[10:11], v[110:111]
	v_fma_f64 v[96:97], v[8:9], v[110:111], -v[100:101]
	ds_load_b128 v[8:11], v2 offset:1072
	v_fmac_f64_e32 v[88:89], v[84:85], v[114:115]
	v_add_f64_e32 v[4:5], v[4:5], v[86:87]
	v_add_f64_e32 v[12:13], v[12:13], v[94:95]
	v_fma_f64 v[82:83], v[82:83], v[114:115], -v[90:91]
	s_wait_loadcnt_dscnt 0x100
	v_mul_f64_e32 v[86:87], v[8:9], v[124:125]
	v_mul_f64_e32 v[94:95], v[10:11], v[124:125]
	v_add_f64_e32 v[4:5], v[4:5], v[96:97]
	v_add_f64_e32 v[12:13], v[12:13], v[92:93]
	s_delay_alu instid0(VALU_DEP_4) | instskip(NEXT) | instid1(VALU_DEP_4)
	v_fmac_f64_e32 v[86:87], v[10:11], v[122:123]
	v_fma_f64 v[8:9], v[8:9], v[122:123], -v[94:95]
	s_delay_alu instid0(VALU_DEP_4) | instskip(NEXT) | instid1(VALU_DEP_4)
	v_add_f64_e32 v[4:5], v[4:5], v[82:83]
	v_add_f64_e32 v[10:11], v[12:13], v[88:89]
	s_delay_alu instid0(VALU_DEP_2) | instskip(NEXT) | instid1(VALU_DEP_2)
	v_add_f64_e32 v[4:5], v[4:5], v[8:9]
	v_add_f64_e32 v[10:11], v[10:11], v[86:87]
	s_wait_loadcnt 0x0
	s_delay_alu instid0(VALU_DEP_2) | instskip(NEXT) | instid1(VALU_DEP_2)
	v_add_f64_e64 v[8:9], v[126:127], -v[4:5]
	v_add_f64_e64 v[10:11], v[128:129], -v[10:11]
	scratch_store_b128 off, v[8:11], off offset:352
	s_wait_xcnt 0x0
	v_cmpx_lt_u32_e32 21, v1
	s_cbranch_execz .LBB33_175
; %bb.174:
	scratch_load_b128 v[8:11], off, s13
	v_dual_mov_b32 v3, v2 :: v_dual_mov_b32 v4, v2
	v_mov_b32_e32 v5, v2
	scratch_store_b128 off, v[2:5], off offset:336
	s_wait_loadcnt 0x0
	ds_store_b128 v6, v[8:11]
.LBB33_175:
	s_wait_xcnt 0x0
	s_or_b32 exec_lo, exec_lo, s2
	s_wait_storecnt_dscnt 0x0
	s_barrier_signal -1
	s_barrier_wait -1
	s_clause 0x9
	scratch_load_b128 v[8:11], off, off offset:352
	scratch_load_b128 v[82:85], off, off offset:368
	;; [unrolled: 1-line block ×10, first 2 shown]
	ds_load_b128 v[118:121], v2 offset:896
	ds_load_b128 v[126:129], v2 offset:912
	s_clause 0x1
	scratch_load_b128 v[122:125], off, off offset:512
	scratch_load_b128 v[130:133], off, off offset:336
	s_mov_b32 s2, exec_lo
	s_wait_loadcnt_dscnt 0xb01
	v_mul_f64_e32 v[4:5], v[120:121], v[10:11]
	v_mul_f64_e32 v[138:139], v[118:119], v[10:11]
	scratch_load_b128 v[10:13], off, off offset:528
	s_wait_loadcnt_dscnt 0xb00
	v_mul_f64_e32 v[140:141], v[126:127], v[84:85]
	v_mul_f64_e32 v[84:85], v[128:129], v[84:85]
	v_fma_f64 v[4:5], v[118:119], v[8:9], -v[4:5]
	v_fmac_f64_e32 v[138:139], v[120:121], v[8:9]
	ds_load_b128 v[118:121], v2 offset:928
	ds_load_b128 v[134:137], v2 offset:944
	v_fmac_f64_e32 v[140:141], v[128:129], v[82:83]
	v_fma_f64 v[82:83], v[126:127], v[82:83], -v[84:85]
	s_wait_loadcnt_dscnt 0xa01
	v_mul_f64_e32 v[8:9], v[118:119], v[88:89]
	v_mul_f64_e32 v[88:89], v[120:121], v[88:89]
	s_wait_loadcnt_dscnt 0x900
	v_mul_f64_e32 v[126:127], v[134:135], v[92:93]
	v_mul_f64_e32 v[92:93], v[136:137], v[92:93]
	v_add_f64_e32 v[4:5], 0, v[4:5]
	v_add_f64_e32 v[84:85], 0, v[138:139]
	v_fmac_f64_e32 v[8:9], v[120:121], v[86:87]
	v_fma_f64 v[118:119], v[118:119], v[86:87], -v[88:89]
	v_fmac_f64_e32 v[126:127], v[136:137], v[90:91]
	v_fma_f64 v[90:91], v[134:135], v[90:91], -v[92:93]
	v_add_f64_e32 v[4:5], v[4:5], v[82:83]
	v_add_f64_e32 v[120:121], v[84:85], v[140:141]
	ds_load_b128 v[82:85], v2 offset:960
	ds_load_b128 v[86:89], v2 offset:976
	s_wait_loadcnt_dscnt 0x801
	v_mul_f64_e32 v[128:129], v[82:83], v[96:97]
	v_mul_f64_e32 v[96:97], v[84:85], v[96:97]
	v_add_f64_e32 v[4:5], v[4:5], v[118:119]
	v_add_f64_e32 v[8:9], v[120:121], v[8:9]
	s_wait_loadcnt_dscnt 0x700
	v_mul_f64_e32 v[118:119], v[86:87], v[100:101]
	v_mul_f64_e32 v[100:101], v[88:89], v[100:101]
	v_fmac_f64_e32 v[128:129], v[84:85], v[94:95]
	v_fma_f64 v[94:95], v[82:83], v[94:95], -v[96:97]
	v_add_f64_e32 v[4:5], v[4:5], v[90:91]
	v_add_f64_e32 v[8:9], v[8:9], v[126:127]
	ds_load_b128 v[82:85], v2 offset:992
	ds_load_b128 v[90:93], v2 offset:1008
	v_fmac_f64_e32 v[118:119], v[88:89], v[98:99]
	v_fma_f64 v[86:87], v[86:87], v[98:99], -v[100:101]
	s_wait_loadcnt_dscnt 0x601
	v_mul_f64_e32 v[96:97], v[82:83], v[104:105]
	v_mul_f64_e32 v[104:105], v[84:85], v[104:105]
	s_wait_loadcnt_dscnt 0x500
	v_mul_f64_e32 v[98:99], v[92:93], v[108:109]
	v_add_f64_e32 v[4:5], v[4:5], v[94:95]
	v_add_f64_e32 v[8:9], v[8:9], v[128:129]
	v_mul_f64_e32 v[94:95], v[90:91], v[108:109]
	v_fmac_f64_e32 v[96:97], v[84:85], v[102:103]
	v_fma_f64 v[100:101], v[82:83], v[102:103], -v[104:105]
	v_fma_f64 v[90:91], v[90:91], v[106:107], -v[98:99]
	v_add_f64_e32 v[4:5], v[4:5], v[86:87]
	v_add_f64_e32 v[8:9], v[8:9], v[118:119]
	ds_load_b128 v[82:85], v2 offset:1024
	ds_load_b128 v[86:89], v2 offset:1040
	v_fmac_f64_e32 v[94:95], v[92:93], v[106:107]
	s_wait_loadcnt_dscnt 0x401
	v_mul_f64_e32 v[102:103], v[82:83], v[112:113]
	v_mul_f64_e32 v[104:105], v[84:85], v[112:113]
	s_wait_loadcnt_dscnt 0x300
	v_mul_f64_e32 v[92:93], v[86:87], v[116:117]
	v_add_f64_e32 v[4:5], v[4:5], v[100:101]
	v_add_f64_e32 v[8:9], v[8:9], v[96:97]
	v_mul_f64_e32 v[96:97], v[88:89], v[116:117]
	v_fmac_f64_e32 v[102:103], v[84:85], v[110:111]
	v_fma_f64 v[98:99], v[82:83], v[110:111], -v[104:105]
	v_fmac_f64_e32 v[92:93], v[88:89], v[114:115]
	v_add_f64_e32 v[90:91], v[4:5], v[90:91]
	v_add_f64_e32 v[8:9], v[8:9], v[94:95]
	ds_load_b128 v[82:85], v2 offset:1056
	ds_load_b128 v[2:5], v2 offset:1072
	v_fma_f64 v[86:87], v[86:87], v[114:115], -v[96:97]
	s_wait_loadcnt_dscnt 0x201
	v_mul_f64_e32 v[94:95], v[82:83], v[124:125]
	v_mul_f64_e32 v[100:101], v[84:85], v[124:125]
	v_add_f64_e32 v[88:89], v[90:91], v[98:99]
	v_add_f64_e32 v[8:9], v[8:9], v[102:103]
	s_wait_loadcnt_dscnt 0x0
	v_mul_f64_e32 v[90:91], v[2:3], v[12:13]
	v_mul_f64_e32 v[12:13], v[4:5], v[12:13]
	v_fmac_f64_e32 v[94:95], v[84:85], v[122:123]
	v_fma_f64 v[82:83], v[82:83], v[122:123], -v[100:101]
	v_add_f64_e32 v[84:85], v[88:89], v[86:87]
	v_add_f64_e32 v[8:9], v[8:9], v[92:93]
	v_fmac_f64_e32 v[90:91], v[4:5], v[10:11]
	v_fma_f64 v[2:3], v[2:3], v[10:11], -v[12:13]
	s_delay_alu instid0(VALU_DEP_4) | instskip(NEXT) | instid1(VALU_DEP_4)
	v_add_f64_e32 v[4:5], v[84:85], v[82:83]
	v_add_f64_e32 v[8:9], v[8:9], v[94:95]
	s_delay_alu instid0(VALU_DEP_2) | instskip(NEXT) | instid1(VALU_DEP_2)
	v_add_f64_e32 v[2:3], v[4:5], v[2:3]
	v_add_f64_e32 v[4:5], v[8:9], v[90:91]
	s_delay_alu instid0(VALU_DEP_2) | instskip(NEXT) | instid1(VALU_DEP_2)
	v_add_f64_e64 v[2:3], v[130:131], -v[2:3]
	v_add_f64_e64 v[4:5], v[132:133], -v[4:5]
	scratch_store_b128 off, v[2:5], off offset:336
	s_wait_xcnt 0x0
	v_cmpx_lt_u32_e32 20, v1
	s_cbranch_execz .LBB33_177
; %bb.176:
	scratch_load_b128 v[2:5], off, s23
	v_mov_b32_e32 v8, 0
	s_delay_alu instid0(VALU_DEP_1)
	v_dual_mov_b32 v9, v8 :: v_dual_mov_b32 v10, v8
	v_mov_b32_e32 v11, v8
	scratch_store_b128 off, v[8:11], off offset:320
	s_wait_loadcnt 0x0
	ds_store_b128 v6, v[2:5]
.LBB33_177:
	s_wait_xcnt 0x0
	s_or_b32 exec_lo, exec_lo, s2
	s_wait_storecnt_dscnt 0x0
	s_barrier_signal -1
	s_barrier_wait -1
	s_clause 0x9
	scratch_load_b128 v[8:11], off, off offset:336
	scratch_load_b128 v[82:85], off, off offset:352
	;; [unrolled: 1-line block ×10, first 2 shown]
	v_mov_b32_e32 v2, 0
	s_mov_b32 s2, exec_lo
	ds_load_b128 v[118:121], v2 offset:880
	s_clause 0x2
	scratch_load_b128 v[122:125], off, off offset:496
	scratch_load_b128 v[126:129], off, off offset:320
	;; [unrolled: 1-line block ×3, first 2 shown]
	s_wait_loadcnt_dscnt 0xc00
	v_mul_f64_e32 v[4:5], v[120:121], v[10:11]
	v_mul_f64_e32 v[142:143], v[118:119], v[10:11]
	ds_load_b128 v[130:133], v2 offset:896
	scratch_load_b128 v[10:13], off, off offset:512
	ds_load_b128 v[138:141], v2 offset:928
	v_fma_f64 v[4:5], v[118:119], v[8:9], -v[4:5]
	v_fmac_f64_e32 v[142:143], v[120:121], v[8:9]
	ds_load_b128 v[118:121], v2 offset:912
	s_wait_loadcnt_dscnt 0xc02
	v_mul_f64_e32 v[144:145], v[130:131], v[84:85]
	v_mul_f64_e32 v[84:85], v[132:133], v[84:85]
	s_wait_loadcnt_dscnt 0xb00
	v_mul_f64_e32 v[8:9], v[118:119], v[88:89]
	v_mul_f64_e32 v[88:89], v[120:121], v[88:89]
	v_add_f64_e32 v[4:5], 0, v[4:5]
	v_fmac_f64_e32 v[144:145], v[132:133], v[82:83]
	v_fma_f64 v[82:83], v[130:131], v[82:83], -v[84:85]
	v_add_f64_e32 v[84:85], 0, v[142:143]
	s_wait_loadcnt 0xa
	v_mul_f64_e32 v[130:131], v[138:139], v[92:93]
	v_mul_f64_e32 v[92:93], v[140:141], v[92:93]
	v_fmac_f64_e32 v[8:9], v[120:121], v[86:87]
	v_fma_f64 v[118:119], v[118:119], v[86:87], -v[88:89]
	v_add_f64_e32 v[4:5], v[4:5], v[82:83]
	v_add_f64_e32 v[120:121], v[84:85], v[144:145]
	ds_load_b128 v[82:85], v2 offset:944
	ds_load_b128 v[86:89], v2 offset:960
	v_fmac_f64_e32 v[130:131], v[140:141], v[90:91]
	v_fma_f64 v[90:91], v[138:139], v[90:91], -v[92:93]
	s_wait_loadcnt_dscnt 0x901
	v_mul_f64_e32 v[132:133], v[82:83], v[96:97]
	v_mul_f64_e32 v[96:97], v[84:85], v[96:97]
	v_add_f64_e32 v[4:5], v[4:5], v[118:119]
	v_add_f64_e32 v[8:9], v[120:121], v[8:9]
	s_wait_loadcnt_dscnt 0x800
	v_mul_f64_e32 v[118:119], v[86:87], v[100:101]
	v_mul_f64_e32 v[100:101], v[88:89], v[100:101]
	v_fmac_f64_e32 v[132:133], v[84:85], v[94:95]
	v_fma_f64 v[94:95], v[82:83], v[94:95], -v[96:97]
	v_add_f64_e32 v[4:5], v[4:5], v[90:91]
	v_add_f64_e32 v[8:9], v[8:9], v[130:131]
	ds_load_b128 v[82:85], v2 offset:976
	ds_load_b128 v[90:93], v2 offset:992
	v_fmac_f64_e32 v[118:119], v[88:89], v[98:99]
	v_fma_f64 v[86:87], v[86:87], v[98:99], -v[100:101]
	s_wait_loadcnt_dscnt 0x701
	v_mul_f64_e32 v[96:97], v[82:83], v[104:105]
	v_mul_f64_e32 v[104:105], v[84:85], v[104:105]
	s_wait_loadcnt_dscnt 0x600
	v_mul_f64_e32 v[98:99], v[92:93], v[108:109]
	v_add_f64_e32 v[4:5], v[4:5], v[94:95]
	v_add_f64_e32 v[8:9], v[8:9], v[132:133]
	v_mul_f64_e32 v[94:95], v[90:91], v[108:109]
	v_fmac_f64_e32 v[96:97], v[84:85], v[102:103]
	v_fma_f64 v[100:101], v[82:83], v[102:103], -v[104:105]
	v_fma_f64 v[90:91], v[90:91], v[106:107], -v[98:99]
	v_add_f64_e32 v[4:5], v[4:5], v[86:87]
	v_add_f64_e32 v[8:9], v[8:9], v[118:119]
	ds_load_b128 v[82:85], v2 offset:1008
	ds_load_b128 v[86:89], v2 offset:1024
	v_fmac_f64_e32 v[94:95], v[92:93], v[106:107]
	s_wait_loadcnt_dscnt 0x501
	v_mul_f64_e32 v[102:103], v[82:83], v[112:113]
	v_mul_f64_e32 v[104:105], v[84:85], v[112:113]
	s_wait_loadcnt_dscnt 0x400
	v_mul_f64_e32 v[98:99], v[88:89], v[116:117]
	v_add_f64_e32 v[4:5], v[4:5], v[100:101]
	v_add_f64_e32 v[8:9], v[8:9], v[96:97]
	v_mul_f64_e32 v[96:97], v[86:87], v[116:117]
	v_fmac_f64_e32 v[102:103], v[84:85], v[110:111]
	v_fma_f64 v[100:101], v[82:83], v[110:111], -v[104:105]
	v_fma_f64 v[86:87], v[86:87], v[114:115], -v[98:99]
	v_add_f64_e32 v[4:5], v[4:5], v[90:91]
	v_add_f64_e32 v[8:9], v[8:9], v[94:95]
	ds_load_b128 v[82:85], v2 offset:1040
	ds_load_b128 v[90:93], v2 offset:1056
	v_fmac_f64_e32 v[96:97], v[88:89], v[114:115]
	s_wait_loadcnt_dscnt 0x301
	v_mul_f64_e32 v[94:95], v[82:83], v[124:125]
	v_mul_f64_e32 v[104:105], v[84:85], v[124:125]
	s_wait_loadcnt_dscnt 0x0
	v_mul_f64_e32 v[88:89], v[90:91], v[12:13]
	v_add_f64_e32 v[4:5], v[4:5], v[100:101]
	v_add_f64_e32 v[8:9], v[8:9], v[102:103]
	v_mul_f64_e32 v[12:13], v[92:93], v[12:13]
	v_fmac_f64_e32 v[94:95], v[84:85], v[122:123]
	v_fma_f64 v[98:99], v[82:83], v[122:123], -v[104:105]
	ds_load_b128 v[82:85], v2 offset:1072
	v_fmac_f64_e32 v[88:89], v[92:93], v[10:11]
	v_add_f64_e32 v[4:5], v[4:5], v[86:87]
	v_add_f64_e32 v[8:9], v[8:9], v[96:97]
	v_fma_f64 v[10:11], v[90:91], v[10:11], -v[12:13]
	s_wait_dscnt 0x0
	v_mul_f64_e32 v[86:87], v[82:83], v[136:137]
	v_mul_f64_e32 v[96:97], v[84:85], v[136:137]
	v_add_f64_e32 v[4:5], v[4:5], v[98:99]
	v_add_f64_e32 v[8:9], v[8:9], v[94:95]
	s_delay_alu instid0(VALU_DEP_4) | instskip(NEXT) | instid1(VALU_DEP_4)
	v_fmac_f64_e32 v[86:87], v[84:85], v[134:135]
	v_fma_f64 v[12:13], v[82:83], v[134:135], -v[96:97]
	s_delay_alu instid0(VALU_DEP_4) | instskip(NEXT) | instid1(VALU_DEP_4)
	v_add_f64_e32 v[4:5], v[4:5], v[10:11]
	v_add_f64_e32 v[8:9], v[8:9], v[88:89]
	s_delay_alu instid0(VALU_DEP_2) | instskip(NEXT) | instid1(VALU_DEP_2)
	v_add_f64_e32 v[4:5], v[4:5], v[12:13]
	v_add_f64_e32 v[10:11], v[8:9], v[86:87]
	s_delay_alu instid0(VALU_DEP_2) | instskip(NEXT) | instid1(VALU_DEP_2)
	v_add_f64_e64 v[8:9], v[126:127], -v[4:5]
	v_add_f64_e64 v[10:11], v[128:129], -v[10:11]
	scratch_store_b128 off, v[8:11], off offset:320
	s_wait_xcnt 0x0
	v_cmpx_lt_u32_e32 19, v1
	s_cbranch_execz .LBB33_179
; %bb.178:
	scratch_load_b128 v[8:11], off, s21
	v_dual_mov_b32 v3, v2 :: v_dual_mov_b32 v4, v2
	v_mov_b32_e32 v5, v2
	scratch_store_b128 off, v[2:5], off offset:304
	s_wait_loadcnt 0x0
	ds_store_b128 v6, v[8:11]
.LBB33_179:
	s_wait_xcnt 0x0
	s_or_b32 exec_lo, exec_lo, s2
	s_wait_storecnt_dscnt 0x0
	s_barrier_signal -1
	s_barrier_wait -1
	s_clause 0x9
	scratch_load_b128 v[8:11], off, off offset:320
	scratch_load_b128 v[82:85], off, off offset:336
	;; [unrolled: 1-line block ×10, first 2 shown]
	ds_load_b128 v[118:121], v2 offset:864
	ds_load_b128 v[126:129], v2 offset:880
	s_clause 0x1
	scratch_load_b128 v[122:125], off, off offset:480
	scratch_load_b128 v[130:133], off, off offset:304
	s_mov_b32 s2, exec_lo
	s_wait_loadcnt_dscnt 0xb01
	v_mul_f64_e32 v[4:5], v[120:121], v[10:11]
	v_mul_f64_e32 v[142:143], v[118:119], v[10:11]
	scratch_load_b128 v[10:13], off, off offset:496
	s_wait_loadcnt_dscnt 0xb00
	v_mul_f64_e32 v[144:145], v[126:127], v[84:85]
	v_mul_f64_e32 v[84:85], v[128:129], v[84:85]
	v_fma_f64 v[4:5], v[118:119], v[8:9], -v[4:5]
	v_fmac_f64_e32 v[142:143], v[120:121], v[8:9]
	ds_load_b128 v[118:121], v2 offset:896
	ds_load_b128 v[134:137], v2 offset:912
	scratch_load_b128 v[138:141], off, off offset:512
	v_fmac_f64_e32 v[144:145], v[128:129], v[82:83]
	v_fma_f64 v[126:127], v[126:127], v[82:83], -v[84:85]
	scratch_load_b128 v[82:85], off, off offset:528
	s_wait_loadcnt_dscnt 0xc01
	v_mul_f64_e32 v[8:9], v[118:119], v[88:89]
	v_mul_f64_e32 v[88:89], v[120:121], v[88:89]
	v_add_f64_e32 v[4:5], 0, v[4:5]
	v_add_f64_e32 v[128:129], 0, v[142:143]
	s_wait_loadcnt_dscnt 0xb00
	v_mul_f64_e32 v[142:143], v[134:135], v[92:93]
	v_mul_f64_e32 v[92:93], v[136:137], v[92:93]
	v_fmac_f64_e32 v[8:9], v[120:121], v[86:87]
	v_fma_f64 v[146:147], v[118:119], v[86:87], -v[88:89]
	ds_load_b128 v[86:89], v2 offset:928
	ds_load_b128 v[118:121], v2 offset:944
	v_add_f64_e32 v[4:5], v[4:5], v[126:127]
	v_add_f64_e32 v[126:127], v[128:129], v[144:145]
	v_fmac_f64_e32 v[142:143], v[136:137], v[90:91]
	v_fma_f64 v[90:91], v[134:135], v[90:91], -v[92:93]
	s_wait_loadcnt_dscnt 0xa01
	v_mul_f64_e32 v[128:129], v[86:87], v[96:97]
	v_mul_f64_e32 v[96:97], v[88:89], v[96:97]
	v_add_f64_e32 v[4:5], v[4:5], v[146:147]
	v_add_f64_e32 v[8:9], v[126:127], v[8:9]
	s_wait_loadcnt_dscnt 0x900
	v_mul_f64_e32 v[126:127], v[118:119], v[100:101]
	v_mul_f64_e32 v[100:101], v[120:121], v[100:101]
	v_fmac_f64_e32 v[128:129], v[88:89], v[94:95]
	v_fma_f64 v[94:95], v[86:87], v[94:95], -v[96:97]
	v_add_f64_e32 v[4:5], v[4:5], v[90:91]
	v_add_f64_e32 v[8:9], v[8:9], v[142:143]
	ds_load_b128 v[86:89], v2 offset:960
	ds_load_b128 v[90:93], v2 offset:976
	v_fmac_f64_e32 v[126:127], v[120:121], v[98:99]
	v_fma_f64 v[98:99], v[118:119], v[98:99], -v[100:101]
	s_wait_loadcnt_dscnt 0x801
	v_mul_f64_e32 v[134:135], v[86:87], v[104:105]
	v_mul_f64_e32 v[96:97], v[88:89], v[104:105]
	s_wait_loadcnt_dscnt 0x700
	v_mul_f64_e32 v[100:101], v[90:91], v[108:109]
	v_mul_f64_e32 v[104:105], v[92:93], v[108:109]
	v_add_f64_e32 v[4:5], v[4:5], v[94:95]
	v_add_f64_e32 v[8:9], v[8:9], v[128:129]
	v_fmac_f64_e32 v[134:135], v[88:89], v[102:103]
	v_fma_f64 v[102:103], v[86:87], v[102:103], -v[96:97]
	ds_load_b128 v[86:89], v2 offset:992
	ds_load_b128 v[94:97], v2 offset:1008
	v_fmac_f64_e32 v[100:101], v[92:93], v[106:107]
	v_fma_f64 v[90:91], v[90:91], v[106:107], -v[104:105]
	v_add_f64_e32 v[4:5], v[4:5], v[98:99]
	v_add_f64_e32 v[8:9], v[8:9], v[126:127]
	s_wait_loadcnt_dscnt 0x601
	v_mul_f64_e32 v[98:99], v[86:87], v[112:113]
	v_mul_f64_e32 v[108:109], v[88:89], v[112:113]
	s_wait_loadcnt_dscnt 0x500
	v_mul_f64_e32 v[104:105], v[96:97], v[116:117]
	v_add_f64_e32 v[4:5], v[4:5], v[102:103]
	v_add_f64_e32 v[8:9], v[8:9], v[134:135]
	v_mul_f64_e32 v[102:103], v[94:95], v[116:117]
	v_fmac_f64_e32 v[98:99], v[88:89], v[110:111]
	v_fma_f64 v[106:107], v[86:87], v[110:111], -v[108:109]
	v_fma_f64 v[94:95], v[94:95], v[114:115], -v[104:105]
	v_add_f64_e32 v[4:5], v[4:5], v[90:91]
	v_add_f64_e32 v[8:9], v[8:9], v[100:101]
	ds_load_b128 v[86:89], v2 offset:1024
	ds_load_b128 v[90:93], v2 offset:1040
	v_fmac_f64_e32 v[102:103], v[96:97], v[114:115]
	s_wait_loadcnt_dscnt 0x401
	v_mul_f64_e32 v[100:101], v[86:87], v[124:125]
	v_mul_f64_e32 v[108:109], v[88:89], v[124:125]
	v_add_f64_e32 v[4:5], v[4:5], v[106:107]
	v_add_f64_e32 v[8:9], v[8:9], v[98:99]
	s_wait_loadcnt_dscnt 0x200
	v_mul_f64_e32 v[96:97], v[90:91], v[12:13]
	v_mul_f64_e32 v[12:13], v[92:93], v[12:13]
	v_fmac_f64_e32 v[100:101], v[88:89], v[122:123]
	v_fma_f64 v[98:99], v[86:87], v[122:123], -v[108:109]
	v_add_f64_e32 v[94:95], v[4:5], v[94:95]
	v_add_f64_e32 v[8:9], v[8:9], v[102:103]
	ds_load_b128 v[86:89], v2 offset:1056
	ds_load_b128 v[2:5], v2 offset:1072
	v_fmac_f64_e32 v[96:97], v[92:93], v[10:11]
	v_fma_f64 v[10:11], v[90:91], v[10:11], -v[12:13]
	s_wait_loadcnt_dscnt 0x101
	v_mul_f64_e32 v[102:103], v[86:87], v[140:141]
	v_mul_f64_e32 v[104:105], v[88:89], v[140:141]
	s_wait_loadcnt_dscnt 0x0
	v_mul_f64_e32 v[90:91], v[2:3], v[84:85]
	v_mul_f64_e32 v[84:85], v[4:5], v[84:85]
	v_add_f64_e32 v[12:13], v[94:95], v[98:99]
	v_add_f64_e32 v[8:9], v[8:9], v[100:101]
	v_fmac_f64_e32 v[102:103], v[88:89], v[138:139]
	v_fma_f64 v[86:87], v[86:87], v[138:139], -v[104:105]
	v_fmac_f64_e32 v[90:91], v[4:5], v[82:83]
	v_fma_f64 v[2:3], v[2:3], v[82:83], -v[84:85]
	v_add_f64_e32 v[10:11], v[12:13], v[10:11]
	v_add_f64_e32 v[8:9], v[8:9], v[96:97]
	s_delay_alu instid0(VALU_DEP_2) | instskip(NEXT) | instid1(VALU_DEP_2)
	v_add_f64_e32 v[4:5], v[10:11], v[86:87]
	v_add_f64_e32 v[8:9], v[8:9], v[102:103]
	s_delay_alu instid0(VALU_DEP_2) | instskip(NEXT) | instid1(VALU_DEP_2)
	;; [unrolled: 3-line block ×3, first 2 shown]
	v_add_f64_e64 v[2:3], v[130:131], -v[2:3]
	v_add_f64_e64 v[4:5], v[132:133], -v[4:5]
	scratch_store_b128 off, v[2:5], off offset:304
	s_wait_xcnt 0x0
	v_cmpx_lt_u32_e32 18, v1
	s_cbranch_execz .LBB33_181
; %bb.180:
	scratch_load_b128 v[2:5], off, s27
	v_mov_b32_e32 v8, 0
	s_delay_alu instid0(VALU_DEP_1)
	v_dual_mov_b32 v9, v8 :: v_dual_mov_b32 v10, v8
	v_mov_b32_e32 v11, v8
	scratch_store_b128 off, v[8:11], off offset:288
	s_wait_loadcnt 0x0
	ds_store_b128 v6, v[2:5]
.LBB33_181:
	s_wait_xcnt 0x0
	s_or_b32 exec_lo, exec_lo, s2
	s_wait_storecnt_dscnt 0x0
	s_barrier_signal -1
	s_barrier_wait -1
	s_clause 0x9
	scratch_load_b128 v[8:11], off, off offset:304
	scratch_load_b128 v[82:85], off, off offset:320
	;; [unrolled: 1-line block ×10, first 2 shown]
	v_mov_b32_e32 v2, 0
	s_mov_b32 s2, exec_lo
	ds_load_b128 v[118:121], v2 offset:848
	s_clause 0x2
	scratch_load_b128 v[122:125], off, off offset:464
	scratch_load_b128 v[126:129], off, off offset:288
	;; [unrolled: 1-line block ×3, first 2 shown]
	s_wait_loadcnt_dscnt 0xc00
	v_mul_f64_e32 v[4:5], v[120:121], v[10:11]
	v_mul_f64_e32 v[142:143], v[118:119], v[10:11]
	ds_load_b128 v[130:133], v2 offset:864
	scratch_load_b128 v[10:13], off, off offset:480
	ds_load_b128 v[138:141], v2 offset:896
	v_fma_f64 v[4:5], v[118:119], v[8:9], -v[4:5]
	v_fmac_f64_e32 v[142:143], v[120:121], v[8:9]
	ds_load_b128 v[118:121], v2 offset:880
	s_wait_loadcnt_dscnt 0xc02
	v_mul_f64_e32 v[144:145], v[130:131], v[84:85]
	v_mul_f64_e32 v[84:85], v[132:133], v[84:85]
	s_wait_loadcnt_dscnt 0xb00
	v_mul_f64_e32 v[8:9], v[118:119], v[88:89]
	v_mul_f64_e32 v[88:89], v[120:121], v[88:89]
	v_add_f64_e32 v[4:5], 0, v[4:5]
	v_fmac_f64_e32 v[144:145], v[132:133], v[82:83]
	v_fma_f64 v[130:131], v[130:131], v[82:83], -v[84:85]
	v_add_f64_e32 v[132:133], 0, v[142:143]
	scratch_load_b128 v[82:85], off, off offset:512
	v_fmac_f64_e32 v[8:9], v[120:121], v[86:87]
	v_fma_f64 v[146:147], v[118:119], v[86:87], -v[88:89]
	ds_load_b128 v[86:89], v2 offset:912
	s_wait_loadcnt 0xb
	v_mul_f64_e32 v[142:143], v[138:139], v[92:93]
	v_mul_f64_e32 v[92:93], v[140:141], v[92:93]
	scratch_load_b128 v[118:121], off, off offset:528
	v_add_f64_e32 v[4:5], v[4:5], v[130:131]
	v_add_f64_e32 v[144:145], v[132:133], v[144:145]
	ds_load_b128 v[130:133], v2 offset:928
	s_wait_loadcnt_dscnt 0xb01
	v_mul_f64_e32 v[148:149], v[86:87], v[96:97]
	v_mul_f64_e32 v[96:97], v[88:89], v[96:97]
	v_fmac_f64_e32 v[142:143], v[140:141], v[90:91]
	v_fma_f64 v[90:91], v[138:139], v[90:91], -v[92:93]
	s_wait_loadcnt_dscnt 0xa00
	v_mul_f64_e32 v[138:139], v[130:131], v[100:101]
	v_mul_f64_e32 v[100:101], v[132:133], v[100:101]
	v_add_f64_e32 v[4:5], v[4:5], v[146:147]
	v_add_f64_e32 v[8:9], v[144:145], v[8:9]
	v_fmac_f64_e32 v[148:149], v[88:89], v[94:95]
	v_fma_f64 v[94:95], v[86:87], v[94:95], -v[96:97]
	v_fmac_f64_e32 v[138:139], v[132:133], v[98:99]
	v_fma_f64 v[98:99], v[130:131], v[98:99], -v[100:101]
	v_add_f64_e32 v[4:5], v[4:5], v[90:91]
	v_add_f64_e32 v[8:9], v[8:9], v[142:143]
	ds_load_b128 v[86:89], v2 offset:944
	ds_load_b128 v[90:93], v2 offset:960
	s_wait_loadcnt_dscnt 0x901
	v_mul_f64_e32 v[140:141], v[86:87], v[104:105]
	v_mul_f64_e32 v[96:97], v[88:89], v[104:105]
	s_wait_loadcnt_dscnt 0x800
	v_mul_f64_e32 v[100:101], v[90:91], v[108:109]
	v_mul_f64_e32 v[104:105], v[92:93], v[108:109]
	v_add_f64_e32 v[4:5], v[4:5], v[94:95]
	v_add_f64_e32 v[8:9], v[8:9], v[148:149]
	v_fmac_f64_e32 v[140:141], v[88:89], v[102:103]
	v_fma_f64 v[102:103], v[86:87], v[102:103], -v[96:97]
	ds_load_b128 v[86:89], v2 offset:976
	ds_load_b128 v[94:97], v2 offset:992
	v_fmac_f64_e32 v[100:101], v[92:93], v[106:107]
	v_fma_f64 v[90:91], v[90:91], v[106:107], -v[104:105]
	v_add_f64_e32 v[4:5], v[4:5], v[98:99]
	v_add_f64_e32 v[8:9], v[8:9], v[138:139]
	s_wait_loadcnt_dscnt 0x701
	v_mul_f64_e32 v[98:99], v[86:87], v[112:113]
	v_mul_f64_e32 v[108:109], v[88:89], v[112:113]
	s_wait_loadcnt_dscnt 0x600
	v_mul_f64_e32 v[104:105], v[96:97], v[116:117]
	v_add_f64_e32 v[4:5], v[4:5], v[102:103]
	v_add_f64_e32 v[8:9], v[8:9], v[140:141]
	v_mul_f64_e32 v[102:103], v[94:95], v[116:117]
	v_fmac_f64_e32 v[98:99], v[88:89], v[110:111]
	v_fma_f64 v[106:107], v[86:87], v[110:111], -v[108:109]
	v_fma_f64 v[94:95], v[94:95], v[114:115], -v[104:105]
	v_add_f64_e32 v[4:5], v[4:5], v[90:91]
	v_add_f64_e32 v[8:9], v[8:9], v[100:101]
	ds_load_b128 v[86:89], v2 offset:1008
	ds_load_b128 v[90:93], v2 offset:1024
	v_fmac_f64_e32 v[102:103], v[96:97], v[114:115]
	s_wait_loadcnt_dscnt 0x501
	v_mul_f64_e32 v[100:101], v[86:87], v[124:125]
	v_mul_f64_e32 v[108:109], v[88:89], v[124:125]
	v_add_f64_e32 v[4:5], v[4:5], v[106:107]
	v_add_f64_e32 v[8:9], v[8:9], v[98:99]
	s_wait_loadcnt_dscnt 0x200
	v_mul_f64_e32 v[98:99], v[90:91], v[12:13]
	v_mul_f64_e32 v[12:13], v[92:93], v[12:13]
	v_fmac_f64_e32 v[100:101], v[88:89], v[122:123]
	v_fma_f64 v[104:105], v[86:87], v[122:123], -v[108:109]
	v_add_f64_e32 v[4:5], v[4:5], v[94:95]
	v_add_f64_e32 v[8:9], v[8:9], v[102:103]
	ds_load_b128 v[86:89], v2 offset:1040
	ds_load_b128 v[94:97], v2 offset:1056
	v_fmac_f64_e32 v[98:99], v[92:93], v[10:11]
	v_fma_f64 v[10:11], v[90:91], v[10:11], -v[12:13]
	s_wait_dscnt 0x1
	v_mul_f64_e32 v[102:103], v[86:87], v[136:137]
	v_mul_f64_e32 v[106:107], v[88:89], v[136:137]
	v_add_f64_e32 v[4:5], v[4:5], v[104:105]
	v_add_f64_e32 v[8:9], v[8:9], v[100:101]
	s_wait_loadcnt_dscnt 0x100
	v_mul_f64_e32 v[12:13], v[94:95], v[84:85]
	v_mul_f64_e32 v[84:85], v[96:97], v[84:85]
	v_fmac_f64_e32 v[102:103], v[88:89], v[134:135]
	v_fma_f64 v[86:87], v[86:87], v[134:135], -v[106:107]
	v_add_f64_e32 v[4:5], v[4:5], v[10:11]
	v_add_f64_e32 v[88:89], v[8:9], v[98:99]
	ds_load_b128 v[8:11], v2 offset:1072
	v_fmac_f64_e32 v[12:13], v[96:97], v[82:83]
	v_fma_f64 v[82:83], v[94:95], v[82:83], -v[84:85]
	s_wait_loadcnt_dscnt 0x0
	v_mul_f64_e32 v[90:91], v[8:9], v[120:121]
	v_mul_f64_e32 v[92:93], v[10:11], v[120:121]
	v_add_f64_e32 v[4:5], v[4:5], v[86:87]
	v_add_f64_e32 v[84:85], v[88:89], v[102:103]
	s_delay_alu instid0(VALU_DEP_4) | instskip(NEXT) | instid1(VALU_DEP_4)
	v_fmac_f64_e32 v[90:91], v[10:11], v[118:119]
	v_fma_f64 v[8:9], v[8:9], v[118:119], -v[92:93]
	s_delay_alu instid0(VALU_DEP_4) | instskip(NEXT) | instid1(VALU_DEP_4)
	v_add_f64_e32 v[4:5], v[4:5], v[82:83]
	v_add_f64_e32 v[10:11], v[84:85], v[12:13]
	s_delay_alu instid0(VALU_DEP_2) | instskip(NEXT) | instid1(VALU_DEP_2)
	v_add_f64_e32 v[4:5], v[4:5], v[8:9]
	v_add_f64_e32 v[10:11], v[10:11], v[90:91]
	s_delay_alu instid0(VALU_DEP_2) | instskip(NEXT) | instid1(VALU_DEP_2)
	v_add_f64_e64 v[8:9], v[126:127], -v[4:5]
	v_add_f64_e64 v[10:11], v[128:129], -v[10:11]
	scratch_store_b128 off, v[8:11], off offset:288
	s_wait_xcnt 0x0
	v_cmpx_lt_u32_e32 17, v1
	s_cbranch_execz .LBB33_183
; %bb.182:
	scratch_load_b128 v[8:11], off, s25
	v_dual_mov_b32 v3, v2 :: v_dual_mov_b32 v4, v2
	v_mov_b32_e32 v5, v2
	scratch_store_b128 off, v[2:5], off offset:272
	s_wait_loadcnt 0x0
	ds_store_b128 v6, v[8:11]
.LBB33_183:
	s_wait_xcnt 0x0
	s_or_b32 exec_lo, exec_lo, s2
	s_wait_storecnt_dscnt 0x0
	s_barrier_signal -1
	s_barrier_wait -1
	s_clause 0x9
	scratch_load_b128 v[8:11], off, off offset:288
	scratch_load_b128 v[82:85], off, off offset:304
	;; [unrolled: 1-line block ×10, first 2 shown]
	ds_load_b128 v[118:121], v2 offset:832
	ds_load_b128 v[126:129], v2 offset:848
	s_clause 0x1
	scratch_load_b128 v[122:125], off, off offset:448
	scratch_load_b128 v[130:133], off, off offset:272
	s_mov_b32 s2, exec_lo
	s_wait_loadcnt_dscnt 0xb01
	v_mul_f64_e32 v[4:5], v[120:121], v[10:11]
	v_mul_f64_e32 v[142:143], v[118:119], v[10:11]
	scratch_load_b128 v[10:13], off, off offset:464
	s_wait_loadcnt_dscnt 0xb00
	v_mul_f64_e32 v[144:145], v[126:127], v[84:85]
	v_mul_f64_e32 v[84:85], v[128:129], v[84:85]
	v_fma_f64 v[4:5], v[118:119], v[8:9], -v[4:5]
	v_fmac_f64_e32 v[142:143], v[120:121], v[8:9]
	ds_load_b128 v[118:121], v2 offset:864
	ds_load_b128 v[134:137], v2 offset:880
	scratch_load_b128 v[138:141], off, off offset:480
	v_fmac_f64_e32 v[144:145], v[128:129], v[82:83]
	v_fma_f64 v[126:127], v[126:127], v[82:83], -v[84:85]
	scratch_load_b128 v[82:85], off, off offset:496
	s_wait_loadcnt_dscnt 0xc01
	v_mul_f64_e32 v[8:9], v[118:119], v[88:89]
	v_mul_f64_e32 v[88:89], v[120:121], v[88:89]
	v_add_f64_e32 v[4:5], 0, v[4:5]
	v_add_f64_e32 v[128:129], 0, v[142:143]
	s_wait_loadcnt_dscnt 0xb00
	v_mul_f64_e32 v[142:143], v[134:135], v[92:93]
	v_mul_f64_e32 v[92:93], v[136:137], v[92:93]
	v_fmac_f64_e32 v[8:9], v[120:121], v[86:87]
	v_fma_f64 v[146:147], v[118:119], v[86:87], -v[88:89]
	ds_load_b128 v[86:89], v2 offset:896
	ds_load_b128 v[118:121], v2 offset:912
	v_add_f64_e32 v[4:5], v[4:5], v[126:127]
	v_add_f64_e32 v[144:145], v[128:129], v[144:145]
	scratch_load_b128 v[126:129], off, off offset:512
	v_fmac_f64_e32 v[142:143], v[136:137], v[90:91]
	v_fma_f64 v[134:135], v[134:135], v[90:91], -v[92:93]
	scratch_load_b128 v[90:93], off, off offset:528
	s_wait_loadcnt_dscnt 0xc01
	v_mul_f64_e32 v[148:149], v[86:87], v[96:97]
	v_mul_f64_e32 v[96:97], v[88:89], v[96:97]
	s_wait_loadcnt_dscnt 0xb00
	v_mul_f64_e32 v[136:137], v[118:119], v[100:101]
	v_mul_f64_e32 v[100:101], v[120:121], v[100:101]
	v_add_f64_e32 v[4:5], v[4:5], v[146:147]
	v_add_f64_e32 v[8:9], v[144:145], v[8:9]
	v_fmac_f64_e32 v[148:149], v[88:89], v[94:95]
	v_fma_f64 v[144:145], v[86:87], v[94:95], -v[96:97]
	ds_load_b128 v[86:89], v2 offset:928
	ds_load_b128 v[94:97], v2 offset:944
	v_fmac_f64_e32 v[136:137], v[120:121], v[98:99]
	v_fma_f64 v[98:99], v[118:119], v[98:99], -v[100:101]
	s_wait_loadcnt_dscnt 0x900
	v_mul_f64_e32 v[118:119], v[94:95], v[108:109]
	v_add_f64_e32 v[4:5], v[4:5], v[134:135]
	v_add_f64_e32 v[8:9], v[8:9], v[142:143]
	v_mul_f64_e32 v[134:135], v[86:87], v[104:105]
	v_mul_f64_e32 v[104:105], v[88:89], v[104:105]
	;; [unrolled: 1-line block ×3, first 2 shown]
	v_fmac_f64_e32 v[118:119], v[96:97], v[106:107]
	v_add_f64_e32 v[4:5], v[4:5], v[144:145]
	v_add_f64_e32 v[8:9], v[8:9], v[148:149]
	v_fmac_f64_e32 v[134:135], v[88:89], v[102:103]
	v_fma_f64 v[102:103], v[86:87], v[102:103], -v[104:105]
	v_fma_f64 v[94:95], v[94:95], v[106:107], -v[108:109]
	v_add_f64_e32 v[4:5], v[4:5], v[98:99]
	v_add_f64_e32 v[8:9], v[8:9], v[136:137]
	ds_load_b128 v[86:89], v2 offset:960
	ds_load_b128 v[98:101], v2 offset:976
	s_wait_loadcnt_dscnt 0x801
	v_mul_f64_e32 v[104:105], v[86:87], v[112:113]
	v_mul_f64_e32 v[112:113], v[88:89], v[112:113]
	s_wait_loadcnt_dscnt 0x700
	v_mul_f64_e32 v[106:107], v[100:101], v[116:117]
	v_add_f64_e32 v[4:5], v[4:5], v[102:103]
	v_add_f64_e32 v[8:9], v[8:9], v[134:135]
	v_mul_f64_e32 v[102:103], v[98:99], v[116:117]
	v_fmac_f64_e32 v[104:105], v[88:89], v[110:111]
	v_fma_f64 v[108:109], v[86:87], v[110:111], -v[112:113]
	v_fma_f64 v[98:99], v[98:99], v[114:115], -v[106:107]
	v_add_f64_e32 v[4:5], v[4:5], v[94:95]
	v_add_f64_e32 v[8:9], v[8:9], v[118:119]
	ds_load_b128 v[86:89], v2 offset:992
	ds_load_b128 v[94:97], v2 offset:1008
	v_fmac_f64_e32 v[102:103], v[100:101], v[114:115]
	s_wait_loadcnt_dscnt 0x601
	v_mul_f64_e32 v[110:111], v[86:87], v[124:125]
	v_mul_f64_e32 v[112:113], v[88:89], v[124:125]
	v_add_f64_e32 v[4:5], v[4:5], v[108:109]
	v_add_f64_e32 v[8:9], v[8:9], v[104:105]
	s_wait_loadcnt_dscnt 0x400
	v_mul_f64_e32 v[104:105], v[94:95], v[12:13]
	v_mul_f64_e32 v[12:13], v[96:97], v[12:13]
	v_fmac_f64_e32 v[110:111], v[88:89], v[122:123]
	v_fma_f64 v[106:107], v[86:87], v[122:123], -v[112:113]
	v_add_f64_e32 v[4:5], v[4:5], v[98:99]
	v_add_f64_e32 v[8:9], v[8:9], v[102:103]
	ds_load_b128 v[86:89], v2 offset:1024
	ds_load_b128 v[98:101], v2 offset:1040
	v_fmac_f64_e32 v[104:105], v[96:97], v[10:11]
	v_fma_f64 v[10:11], v[94:95], v[10:11], -v[12:13]
	s_wait_loadcnt_dscnt 0x301
	v_mul_f64_e32 v[102:103], v[86:87], v[140:141]
	v_mul_f64_e32 v[108:109], v[88:89], v[140:141]
	s_wait_loadcnt_dscnt 0x200
	v_mul_f64_e32 v[12:13], v[98:99], v[84:85]
	v_mul_f64_e32 v[84:85], v[100:101], v[84:85]
	v_add_f64_e32 v[4:5], v[4:5], v[106:107]
	v_add_f64_e32 v[8:9], v[8:9], v[110:111]
	v_fmac_f64_e32 v[102:103], v[88:89], v[138:139]
	v_fma_f64 v[86:87], v[86:87], v[138:139], -v[108:109]
	v_fmac_f64_e32 v[12:13], v[100:101], v[82:83]
	v_fma_f64 v[82:83], v[98:99], v[82:83], -v[84:85]
	v_add_f64_e32 v[88:89], v[4:5], v[10:11]
	v_add_f64_e32 v[94:95], v[8:9], v[104:105]
	ds_load_b128 v[8:11], v2 offset:1056
	ds_load_b128 v[2:5], v2 offset:1072
	s_wait_loadcnt_dscnt 0x101
	v_mul_f64_e32 v[96:97], v[8:9], v[128:129]
	v_mul_f64_e32 v[104:105], v[10:11], v[128:129]
	v_add_f64_e32 v[84:85], v[88:89], v[86:87]
	v_add_f64_e32 v[86:87], v[94:95], v[102:103]
	s_wait_loadcnt_dscnt 0x0
	v_mul_f64_e32 v[88:89], v[2:3], v[92:93]
	v_mul_f64_e32 v[92:93], v[4:5], v[92:93]
	v_fmac_f64_e32 v[96:97], v[10:11], v[126:127]
	v_fma_f64 v[8:9], v[8:9], v[126:127], -v[104:105]
	v_add_f64_e32 v[10:11], v[84:85], v[82:83]
	v_add_f64_e32 v[12:13], v[86:87], v[12:13]
	v_fmac_f64_e32 v[88:89], v[4:5], v[90:91]
	v_fma_f64 v[2:3], v[2:3], v[90:91], -v[92:93]
	s_delay_alu instid0(VALU_DEP_4) | instskip(NEXT) | instid1(VALU_DEP_4)
	v_add_f64_e32 v[4:5], v[10:11], v[8:9]
	v_add_f64_e32 v[8:9], v[12:13], v[96:97]
	s_delay_alu instid0(VALU_DEP_2) | instskip(NEXT) | instid1(VALU_DEP_2)
	v_add_f64_e32 v[2:3], v[4:5], v[2:3]
	v_add_f64_e32 v[4:5], v[8:9], v[88:89]
	s_delay_alu instid0(VALU_DEP_2) | instskip(NEXT) | instid1(VALU_DEP_2)
	v_add_f64_e64 v[2:3], v[130:131], -v[2:3]
	v_add_f64_e64 v[4:5], v[132:133], -v[4:5]
	scratch_store_b128 off, v[2:5], off offset:272
	s_wait_xcnt 0x0
	v_cmpx_lt_u32_e32 16, v1
	s_cbranch_execz .LBB33_185
; %bb.184:
	scratch_load_b128 v[2:5], off, s28
	v_mov_b32_e32 v8, 0
	s_delay_alu instid0(VALU_DEP_1)
	v_dual_mov_b32 v9, v8 :: v_dual_mov_b32 v10, v8
	v_mov_b32_e32 v11, v8
	scratch_store_b128 off, v[8:11], off offset:256
	s_wait_loadcnt 0x0
	ds_store_b128 v6, v[2:5]
.LBB33_185:
	s_wait_xcnt 0x0
	s_or_b32 exec_lo, exec_lo, s2
	s_wait_storecnt_dscnt 0x0
	s_barrier_signal -1
	s_barrier_wait -1
	s_clause 0x9
	scratch_load_b128 v[8:11], off, off offset:272
	scratch_load_b128 v[82:85], off, off offset:288
	scratch_load_b128 v[86:89], off, off offset:304
	scratch_load_b128 v[90:93], off, off offset:320
	scratch_load_b128 v[94:97], off, off offset:336
	scratch_load_b128 v[98:101], off, off offset:352
	scratch_load_b128 v[102:105], off, off offset:368
	scratch_load_b128 v[106:109], off, off offset:384
	scratch_load_b128 v[110:113], off, off offset:400
	scratch_load_b128 v[114:117], off, off offset:416
	v_mov_b32_e32 v2, 0
	s_mov_b32 s2, exec_lo
	ds_load_b128 v[118:121], v2 offset:816
	s_clause 0x2
	scratch_load_b128 v[122:125], off, off offset:432
	scratch_load_b128 v[126:129], off, off offset:256
	;; [unrolled: 1-line block ×3, first 2 shown]
	s_wait_loadcnt_dscnt 0xc00
	v_mul_f64_e32 v[4:5], v[120:121], v[10:11]
	v_mul_f64_e32 v[142:143], v[118:119], v[10:11]
	ds_load_b128 v[130:133], v2 offset:832
	scratch_load_b128 v[10:13], off, off offset:448
	ds_load_b128 v[138:141], v2 offset:864
	v_fma_f64 v[4:5], v[118:119], v[8:9], -v[4:5]
	v_fmac_f64_e32 v[142:143], v[120:121], v[8:9]
	ds_load_b128 v[118:121], v2 offset:848
	s_wait_loadcnt_dscnt 0xc02
	v_mul_f64_e32 v[144:145], v[130:131], v[84:85]
	v_mul_f64_e32 v[84:85], v[132:133], v[84:85]
	s_wait_loadcnt_dscnt 0xb00
	v_mul_f64_e32 v[8:9], v[118:119], v[88:89]
	v_mul_f64_e32 v[88:89], v[120:121], v[88:89]
	v_add_f64_e32 v[4:5], 0, v[4:5]
	v_fmac_f64_e32 v[144:145], v[132:133], v[82:83]
	v_fma_f64 v[130:131], v[130:131], v[82:83], -v[84:85]
	v_add_f64_e32 v[132:133], 0, v[142:143]
	scratch_load_b128 v[82:85], off, off offset:480
	v_fmac_f64_e32 v[8:9], v[120:121], v[86:87]
	v_fma_f64 v[146:147], v[118:119], v[86:87], -v[88:89]
	ds_load_b128 v[86:89], v2 offset:880
	s_wait_loadcnt 0xb
	v_mul_f64_e32 v[142:143], v[138:139], v[92:93]
	v_mul_f64_e32 v[92:93], v[140:141], v[92:93]
	scratch_load_b128 v[118:121], off, off offset:496
	v_add_f64_e32 v[4:5], v[4:5], v[130:131]
	v_add_f64_e32 v[144:145], v[132:133], v[144:145]
	ds_load_b128 v[130:133], v2 offset:896
	s_wait_loadcnt_dscnt 0xb01
	v_mul_f64_e32 v[148:149], v[86:87], v[96:97]
	v_mul_f64_e32 v[96:97], v[88:89], v[96:97]
	v_fmac_f64_e32 v[142:143], v[140:141], v[90:91]
	v_fma_f64 v[138:139], v[138:139], v[90:91], -v[92:93]
	scratch_load_b128 v[90:93], off, off offset:512
	v_add_f64_e32 v[4:5], v[4:5], v[146:147]
	v_add_f64_e32 v[8:9], v[144:145], v[8:9]
	v_fmac_f64_e32 v[148:149], v[88:89], v[94:95]
	v_fma_f64 v[146:147], v[86:87], v[94:95], -v[96:97]
	ds_load_b128 v[86:89], v2 offset:912
	s_wait_loadcnt_dscnt 0xb01
	v_mul_f64_e32 v[144:145], v[130:131], v[100:101]
	v_mul_f64_e32 v[100:101], v[132:133], v[100:101]
	scratch_load_b128 v[94:97], off, off offset:528
	v_add_f64_e32 v[4:5], v[4:5], v[138:139]
	v_add_f64_e32 v[8:9], v[8:9], v[142:143]
	s_wait_loadcnt_dscnt 0xb00
	v_mul_f64_e32 v[142:143], v[86:87], v[104:105]
	v_mul_f64_e32 v[104:105], v[88:89], v[104:105]
	ds_load_b128 v[138:141], v2 offset:928
	v_fmac_f64_e32 v[144:145], v[132:133], v[98:99]
	v_fma_f64 v[98:99], v[130:131], v[98:99], -v[100:101]
	s_wait_loadcnt_dscnt 0xa00
	v_mul_f64_e32 v[130:131], v[138:139], v[108:109]
	v_mul_f64_e32 v[108:109], v[140:141], v[108:109]
	v_add_f64_e32 v[4:5], v[4:5], v[146:147]
	v_add_f64_e32 v[8:9], v[8:9], v[148:149]
	v_fmac_f64_e32 v[142:143], v[88:89], v[102:103]
	v_fma_f64 v[102:103], v[86:87], v[102:103], -v[104:105]
	v_fmac_f64_e32 v[130:131], v[140:141], v[106:107]
	v_fma_f64 v[106:107], v[138:139], v[106:107], -v[108:109]
	v_add_f64_e32 v[4:5], v[4:5], v[98:99]
	v_add_f64_e32 v[8:9], v[8:9], v[144:145]
	ds_load_b128 v[86:89], v2 offset:944
	ds_load_b128 v[98:101], v2 offset:960
	s_wait_loadcnt_dscnt 0x901
	v_mul_f64_e32 v[132:133], v[86:87], v[112:113]
	v_mul_f64_e32 v[104:105], v[88:89], v[112:113]
	s_wait_loadcnt_dscnt 0x800
	v_mul_f64_e32 v[108:109], v[98:99], v[116:117]
	v_mul_f64_e32 v[112:113], v[100:101], v[116:117]
	v_add_f64_e32 v[4:5], v[4:5], v[102:103]
	v_add_f64_e32 v[8:9], v[8:9], v[142:143]
	v_fmac_f64_e32 v[132:133], v[88:89], v[110:111]
	v_fma_f64 v[110:111], v[86:87], v[110:111], -v[104:105]
	ds_load_b128 v[86:89], v2 offset:976
	ds_load_b128 v[102:105], v2 offset:992
	v_fmac_f64_e32 v[108:109], v[100:101], v[114:115]
	v_fma_f64 v[98:99], v[98:99], v[114:115], -v[112:113]
	v_add_f64_e32 v[4:5], v[4:5], v[106:107]
	v_add_f64_e32 v[8:9], v[8:9], v[130:131]
	s_wait_loadcnt_dscnt 0x701
	v_mul_f64_e32 v[106:107], v[86:87], v[124:125]
	v_mul_f64_e32 v[116:117], v[88:89], v[124:125]
	s_delay_alu instid0(VALU_DEP_4) | instskip(NEXT) | instid1(VALU_DEP_4)
	v_add_f64_e32 v[4:5], v[4:5], v[110:111]
	v_add_f64_e32 v[8:9], v[8:9], v[132:133]
	s_wait_loadcnt_dscnt 0x400
	v_mul_f64_e32 v[110:111], v[102:103], v[12:13]
	v_mul_f64_e32 v[12:13], v[104:105], v[12:13]
	v_fmac_f64_e32 v[106:107], v[88:89], v[122:123]
	v_fma_f64 v[112:113], v[86:87], v[122:123], -v[116:117]
	v_add_f64_e32 v[4:5], v[4:5], v[98:99]
	v_add_f64_e32 v[8:9], v[8:9], v[108:109]
	ds_load_b128 v[86:89], v2 offset:1008
	ds_load_b128 v[98:101], v2 offset:1024
	v_fmac_f64_e32 v[110:111], v[104:105], v[10:11]
	v_fma_f64 v[10:11], v[102:103], v[10:11], -v[12:13]
	s_wait_dscnt 0x1
	v_mul_f64_e32 v[108:109], v[86:87], v[136:137]
	v_mul_f64_e32 v[114:115], v[88:89], v[136:137]
	v_add_f64_e32 v[4:5], v[4:5], v[112:113]
	v_add_f64_e32 v[8:9], v[8:9], v[106:107]
	s_wait_loadcnt_dscnt 0x300
	v_mul_f64_e32 v[12:13], v[98:99], v[84:85]
	v_mul_f64_e32 v[102:103], v[100:101], v[84:85]
	v_fmac_f64_e32 v[108:109], v[88:89], v[134:135]
	v_fma_f64 v[88:89], v[86:87], v[134:135], -v[114:115]
	v_add_f64_e32 v[4:5], v[4:5], v[10:11]
	v_add_f64_e32 v[104:105], v[8:9], v[110:111]
	ds_load_b128 v[8:11], v2 offset:1040
	ds_load_b128 v[84:87], v2 offset:1056
	v_fmac_f64_e32 v[12:13], v[100:101], v[82:83]
	v_fma_f64 v[82:83], v[98:99], v[82:83], -v[102:103]
	s_wait_loadcnt_dscnt 0x201
	v_mul_f64_e32 v[106:107], v[8:9], v[120:121]
	v_mul_f64_e32 v[110:111], v[10:11], v[120:121]
	s_wait_loadcnt_dscnt 0x100
	v_mul_f64_e32 v[98:99], v[84:85], v[92:93]
	v_mul_f64_e32 v[92:93], v[86:87], v[92:93]
	v_add_f64_e32 v[4:5], v[4:5], v[88:89]
	v_add_f64_e32 v[88:89], v[104:105], v[108:109]
	v_fmac_f64_e32 v[106:107], v[10:11], v[118:119]
	v_fma_f64 v[100:101], v[8:9], v[118:119], -v[110:111]
	ds_load_b128 v[8:11], v2 offset:1072
	v_fmac_f64_e32 v[98:99], v[86:87], v[90:91]
	v_fma_f64 v[84:85], v[84:85], v[90:91], -v[92:93]
	v_add_f64_e32 v[4:5], v[4:5], v[82:83]
	v_add_f64_e32 v[12:13], v[88:89], v[12:13]
	s_wait_loadcnt_dscnt 0x0
	v_mul_f64_e32 v[82:83], v[8:9], v[96:97]
	v_mul_f64_e32 v[88:89], v[10:11], v[96:97]
	s_delay_alu instid0(VALU_DEP_4) | instskip(NEXT) | instid1(VALU_DEP_4)
	v_add_f64_e32 v[4:5], v[4:5], v[100:101]
	v_add_f64_e32 v[12:13], v[12:13], v[106:107]
	s_delay_alu instid0(VALU_DEP_4) | instskip(NEXT) | instid1(VALU_DEP_4)
	v_fmac_f64_e32 v[82:83], v[10:11], v[94:95]
	v_fma_f64 v[8:9], v[8:9], v[94:95], -v[88:89]
	s_delay_alu instid0(VALU_DEP_4) | instskip(NEXT) | instid1(VALU_DEP_4)
	v_add_f64_e32 v[4:5], v[4:5], v[84:85]
	v_add_f64_e32 v[10:11], v[12:13], v[98:99]
	s_delay_alu instid0(VALU_DEP_2) | instskip(NEXT) | instid1(VALU_DEP_2)
	v_add_f64_e32 v[4:5], v[4:5], v[8:9]
	v_add_f64_e32 v[10:11], v[10:11], v[82:83]
	s_delay_alu instid0(VALU_DEP_2) | instskip(NEXT) | instid1(VALU_DEP_2)
	v_add_f64_e64 v[8:9], v[126:127], -v[4:5]
	v_add_f64_e64 v[10:11], v[128:129], -v[10:11]
	scratch_store_b128 off, v[8:11], off offset:256
	s_wait_xcnt 0x0
	v_cmpx_lt_u32_e32 15, v1
	s_cbranch_execz .LBB33_187
; %bb.186:
	scratch_load_b128 v[8:11], off, s40
	v_dual_mov_b32 v3, v2 :: v_dual_mov_b32 v4, v2
	v_mov_b32_e32 v5, v2
	scratch_store_b128 off, v[2:5], off offset:240
	s_wait_loadcnt 0x0
	ds_store_b128 v6, v[8:11]
.LBB33_187:
	s_wait_xcnt 0x0
	s_or_b32 exec_lo, exec_lo, s2
	s_wait_storecnt_dscnt 0x0
	s_barrier_signal -1
	s_barrier_wait -1
	s_clause 0x9
	scratch_load_b128 v[8:11], off, off offset:256
	scratch_load_b128 v[82:85], off, off offset:272
	;; [unrolled: 1-line block ×10, first 2 shown]
	ds_load_b128 v[118:121], v2 offset:800
	ds_load_b128 v[126:129], v2 offset:816
	s_clause 0x1
	scratch_load_b128 v[122:125], off, off offset:416
	scratch_load_b128 v[130:133], off, off offset:240
	s_mov_b32 s2, exec_lo
	s_wait_loadcnt_dscnt 0xb01
	v_mul_f64_e32 v[4:5], v[120:121], v[10:11]
	v_mul_f64_e32 v[142:143], v[118:119], v[10:11]
	scratch_load_b128 v[10:13], off, off offset:432
	s_wait_loadcnt_dscnt 0xb00
	v_mul_f64_e32 v[144:145], v[126:127], v[84:85]
	v_mul_f64_e32 v[84:85], v[128:129], v[84:85]
	v_fma_f64 v[4:5], v[118:119], v[8:9], -v[4:5]
	v_fmac_f64_e32 v[142:143], v[120:121], v[8:9]
	ds_load_b128 v[118:121], v2 offset:832
	ds_load_b128 v[134:137], v2 offset:848
	scratch_load_b128 v[138:141], off, off offset:448
	v_fmac_f64_e32 v[144:145], v[128:129], v[82:83]
	v_fma_f64 v[126:127], v[126:127], v[82:83], -v[84:85]
	scratch_load_b128 v[82:85], off, off offset:464
	s_wait_loadcnt_dscnt 0xc01
	v_mul_f64_e32 v[8:9], v[118:119], v[88:89]
	v_mul_f64_e32 v[88:89], v[120:121], v[88:89]
	v_add_f64_e32 v[4:5], 0, v[4:5]
	v_add_f64_e32 v[128:129], 0, v[142:143]
	s_wait_loadcnt_dscnt 0xb00
	v_mul_f64_e32 v[142:143], v[134:135], v[92:93]
	v_mul_f64_e32 v[92:93], v[136:137], v[92:93]
	v_fmac_f64_e32 v[8:9], v[120:121], v[86:87]
	v_fma_f64 v[146:147], v[118:119], v[86:87], -v[88:89]
	ds_load_b128 v[86:89], v2 offset:864
	ds_load_b128 v[118:121], v2 offset:880
	v_add_f64_e32 v[4:5], v[4:5], v[126:127]
	v_add_f64_e32 v[144:145], v[128:129], v[144:145]
	scratch_load_b128 v[126:129], off, off offset:480
	v_fmac_f64_e32 v[142:143], v[136:137], v[90:91]
	v_fma_f64 v[134:135], v[134:135], v[90:91], -v[92:93]
	scratch_load_b128 v[90:93], off, off offset:496
	s_wait_loadcnt_dscnt 0xc01
	v_mul_f64_e32 v[148:149], v[86:87], v[96:97]
	v_mul_f64_e32 v[96:97], v[88:89], v[96:97]
	v_add_f64_e32 v[4:5], v[4:5], v[146:147]
	v_add_f64_e32 v[8:9], v[144:145], v[8:9]
	s_wait_loadcnt_dscnt 0xb00
	v_mul_f64_e32 v[144:145], v[118:119], v[100:101]
	v_mul_f64_e32 v[100:101], v[120:121], v[100:101]
	v_fmac_f64_e32 v[148:149], v[88:89], v[94:95]
	v_fma_f64 v[146:147], v[86:87], v[94:95], -v[96:97]
	ds_load_b128 v[86:89], v2 offset:896
	ds_load_b128 v[94:97], v2 offset:912
	v_add_f64_e32 v[4:5], v[4:5], v[134:135]
	v_add_f64_e32 v[8:9], v[8:9], v[142:143]
	scratch_load_b128 v[134:137], off, off offset:512
	s_wait_loadcnt_dscnt 0xb01
	v_mul_f64_e32 v[142:143], v[86:87], v[104:105]
	v_mul_f64_e32 v[104:105], v[88:89], v[104:105]
	v_fmac_f64_e32 v[144:145], v[120:121], v[98:99]
	v_fma_f64 v[118:119], v[118:119], v[98:99], -v[100:101]
	scratch_load_b128 v[98:101], off, off offset:528
	s_wait_loadcnt_dscnt 0xb00
	v_mul_f64_e32 v[120:121], v[94:95], v[108:109]
	v_mul_f64_e32 v[108:109], v[96:97], v[108:109]
	v_add_f64_e32 v[4:5], v[4:5], v[146:147]
	v_add_f64_e32 v[8:9], v[8:9], v[148:149]
	v_fmac_f64_e32 v[142:143], v[88:89], v[102:103]
	v_fma_f64 v[146:147], v[86:87], v[102:103], -v[104:105]
	ds_load_b128 v[86:89], v2 offset:928
	ds_load_b128 v[102:105], v2 offset:944
	v_fmac_f64_e32 v[120:121], v[96:97], v[106:107]
	v_fma_f64 v[94:95], v[94:95], v[106:107], -v[108:109]
	s_wait_loadcnt_dscnt 0x900
	v_mul_f64_e32 v[106:107], v[102:103], v[116:117]
	v_mul_f64_e32 v[108:109], v[104:105], v[116:117]
	v_add_f64_e32 v[4:5], v[4:5], v[118:119]
	v_add_f64_e32 v[8:9], v[8:9], v[144:145]
	v_mul_f64_e32 v[118:119], v[86:87], v[112:113]
	v_mul_f64_e32 v[112:113], v[88:89], v[112:113]
	v_fmac_f64_e32 v[106:107], v[104:105], v[114:115]
	v_fma_f64 v[102:103], v[102:103], v[114:115], -v[108:109]
	v_add_f64_e32 v[4:5], v[4:5], v[146:147]
	v_add_f64_e32 v[8:9], v[8:9], v[142:143]
	v_fmac_f64_e32 v[118:119], v[88:89], v[110:111]
	v_fma_f64 v[110:111], v[86:87], v[110:111], -v[112:113]
	s_delay_alu instid0(VALU_DEP_4) | instskip(NEXT) | instid1(VALU_DEP_4)
	v_add_f64_e32 v[4:5], v[4:5], v[94:95]
	v_add_f64_e32 v[8:9], v[8:9], v[120:121]
	ds_load_b128 v[86:89], v2 offset:960
	ds_load_b128 v[94:97], v2 offset:976
	s_wait_loadcnt_dscnt 0x801
	v_mul_f64_e32 v[112:113], v[86:87], v[124:125]
	v_mul_f64_e32 v[116:117], v[88:89], v[124:125]
	v_add_f64_e32 v[4:5], v[4:5], v[110:111]
	v_add_f64_e32 v[8:9], v[8:9], v[118:119]
	s_wait_loadcnt_dscnt 0x600
	v_mul_f64_e32 v[108:109], v[94:95], v[12:13]
	v_mul_f64_e32 v[12:13], v[96:97], v[12:13]
	v_fmac_f64_e32 v[112:113], v[88:89], v[122:123]
	v_fma_f64 v[110:111], v[86:87], v[122:123], -v[116:117]
	v_add_f64_e32 v[4:5], v[4:5], v[102:103]
	v_add_f64_e32 v[8:9], v[8:9], v[106:107]
	ds_load_b128 v[86:89], v2 offset:992
	ds_load_b128 v[102:105], v2 offset:1008
	v_fmac_f64_e32 v[108:109], v[96:97], v[10:11]
	v_fma_f64 v[10:11], v[94:95], v[10:11], -v[12:13]
	s_wait_loadcnt_dscnt 0x501
	v_mul_f64_e32 v[106:107], v[86:87], v[140:141]
	v_mul_f64_e32 v[114:115], v[88:89], v[140:141]
	s_wait_loadcnt_dscnt 0x400
	v_mul_f64_e32 v[12:13], v[102:103], v[84:85]
	v_mul_f64_e32 v[94:95], v[104:105], v[84:85]
	v_add_f64_e32 v[4:5], v[4:5], v[110:111]
	v_add_f64_e32 v[8:9], v[8:9], v[112:113]
	v_fmac_f64_e32 v[106:107], v[88:89], v[138:139]
	v_fma_f64 v[88:89], v[86:87], v[138:139], -v[114:115]
	v_fmac_f64_e32 v[12:13], v[104:105], v[82:83]
	v_fma_f64 v[82:83], v[102:103], v[82:83], -v[94:95]
	v_add_f64_e32 v[4:5], v[4:5], v[10:11]
	v_add_f64_e32 v[96:97], v[8:9], v[108:109]
	ds_load_b128 v[8:11], v2 offset:1024
	ds_load_b128 v[84:87], v2 offset:1040
	s_wait_loadcnt_dscnt 0x301
	v_mul_f64_e32 v[108:109], v[8:9], v[128:129]
	v_mul_f64_e32 v[110:111], v[10:11], v[128:129]
	s_wait_loadcnt_dscnt 0x200
	v_mul_f64_e32 v[94:95], v[84:85], v[92:93]
	v_mul_f64_e32 v[92:93], v[86:87], v[92:93]
	v_add_f64_e32 v[4:5], v[4:5], v[88:89]
	v_add_f64_e32 v[88:89], v[96:97], v[106:107]
	v_fmac_f64_e32 v[108:109], v[10:11], v[126:127]
	v_fma_f64 v[96:97], v[8:9], v[126:127], -v[110:111]
	v_fmac_f64_e32 v[94:95], v[86:87], v[90:91]
	v_fma_f64 v[84:85], v[84:85], v[90:91], -v[92:93]
	v_add_f64_e32 v[82:83], v[4:5], v[82:83]
	v_add_f64_e32 v[12:13], v[88:89], v[12:13]
	ds_load_b128 v[8:11], v2 offset:1056
	ds_load_b128 v[2:5], v2 offset:1072
	s_wait_loadcnt_dscnt 0x101
	v_mul_f64_e32 v[88:89], v[8:9], v[136:137]
	v_mul_f64_e32 v[102:103], v[10:11], v[136:137]
	s_wait_loadcnt_dscnt 0x0
	v_mul_f64_e32 v[86:87], v[2:3], v[100:101]
	v_mul_f64_e32 v[90:91], v[4:5], v[100:101]
	v_add_f64_e32 v[82:83], v[82:83], v[96:97]
	v_add_f64_e32 v[12:13], v[12:13], v[108:109]
	v_fmac_f64_e32 v[88:89], v[10:11], v[134:135]
	v_fma_f64 v[8:9], v[8:9], v[134:135], -v[102:103]
	v_fmac_f64_e32 v[86:87], v[4:5], v[98:99]
	v_fma_f64 v[2:3], v[2:3], v[98:99], -v[90:91]
	v_add_f64_e32 v[10:11], v[82:83], v[84:85]
	v_add_f64_e32 v[12:13], v[12:13], v[94:95]
	s_delay_alu instid0(VALU_DEP_2) | instskip(NEXT) | instid1(VALU_DEP_2)
	v_add_f64_e32 v[4:5], v[10:11], v[8:9]
	v_add_f64_e32 v[8:9], v[12:13], v[88:89]
	s_delay_alu instid0(VALU_DEP_2) | instskip(NEXT) | instid1(VALU_DEP_2)
	;; [unrolled: 3-line block ×3, first 2 shown]
	v_add_f64_e64 v[2:3], v[130:131], -v[2:3]
	v_add_f64_e64 v[4:5], v[132:133], -v[4:5]
	scratch_store_b128 off, v[2:5], off offset:240
	s_wait_xcnt 0x0
	v_cmpx_lt_u32_e32 14, v1
	s_cbranch_execz .LBB33_189
; %bb.188:
	scratch_load_b128 v[2:5], off, s45
	v_mov_b32_e32 v8, 0
	s_delay_alu instid0(VALU_DEP_1)
	v_dual_mov_b32 v9, v8 :: v_dual_mov_b32 v10, v8
	v_mov_b32_e32 v11, v8
	scratch_store_b128 off, v[8:11], off offset:224
	s_wait_loadcnt 0x0
	ds_store_b128 v6, v[2:5]
.LBB33_189:
	s_wait_xcnt 0x0
	s_or_b32 exec_lo, exec_lo, s2
	s_wait_storecnt_dscnt 0x0
	s_barrier_signal -1
	s_barrier_wait -1
	s_clause 0x9
	scratch_load_b128 v[8:11], off, off offset:240
	scratch_load_b128 v[82:85], off, off offset:256
	;; [unrolled: 1-line block ×10, first 2 shown]
	v_mov_b32_e32 v2, 0
	s_mov_b32 s2, exec_lo
	ds_load_b128 v[118:121], v2 offset:784
	s_clause 0x2
	scratch_load_b128 v[122:125], off, off offset:400
	scratch_load_b128 v[126:129], off, off offset:224
	;; [unrolled: 1-line block ×3, first 2 shown]
	s_wait_loadcnt_dscnt 0xc00
	v_mul_f64_e32 v[4:5], v[120:121], v[10:11]
	v_mul_f64_e32 v[142:143], v[118:119], v[10:11]
	ds_load_b128 v[130:133], v2 offset:800
	scratch_load_b128 v[10:13], off, off offset:416
	ds_load_b128 v[138:141], v2 offset:832
	v_fma_f64 v[4:5], v[118:119], v[8:9], -v[4:5]
	v_fmac_f64_e32 v[142:143], v[120:121], v[8:9]
	ds_load_b128 v[118:121], v2 offset:816
	s_wait_loadcnt_dscnt 0xc02
	v_mul_f64_e32 v[144:145], v[130:131], v[84:85]
	v_mul_f64_e32 v[84:85], v[132:133], v[84:85]
	s_wait_loadcnt_dscnt 0xb00
	v_mul_f64_e32 v[8:9], v[118:119], v[88:89]
	v_mul_f64_e32 v[88:89], v[120:121], v[88:89]
	v_add_f64_e32 v[4:5], 0, v[4:5]
	v_fmac_f64_e32 v[144:145], v[132:133], v[82:83]
	v_fma_f64 v[130:131], v[130:131], v[82:83], -v[84:85]
	v_add_f64_e32 v[132:133], 0, v[142:143]
	scratch_load_b128 v[82:85], off, off offset:448
	v_fmac_f64_e32 v[8:9], v[120:121], v[86:87]
	v_fma_f64 v[146:147], v[118:119], v[86:87], -v[88:89]
	ds_load_b128 v[86:89], v2 offset:848
	s_wait_loadcnt 0xb
	v_mul_f64_e32 v[142:143], v[138:139], v[92:93]
	v_mul_f64_e32 v[92:93], v[140:141], v[92:93]
	scratch_load_b128 v[118:121], off, off offset:464
	v_add_f64_e32 v[4:5], v[4:5], v[130:131]
	v_add_f64_e32 v[144:145], v[132:133], v[144:145]
	ds_load_b128 v[130:133], v2 offset:864
	s_wait_loadcnt_dscnt 0xb01
	v_mul_f64_e32 v[148:149], v[86:87], v[96:97]
	v_mul_f64_e32 v[96:97], v[88:89], v[96:97]
	v_fmac_f64_e32 v[142:143], v[140:141], v[90:91]
	v_fma_f64 v[138:139], v[138:139], v[90:91], -v[92:93]
	scratch_load_b128 v[90:93], off, off offset:480
	v_add_f64_e32 v[4:5], v[4:5], v[146:147]
	v_add_f64_e32 v[8:9], v[144:145], v[8:9]
	v_fmac_f64_e32 v[148:149], v[88:89], v[94:95]
	v_fma_f64 v[146:147], v[86:87], v[94:95], -v[96:97]
	ds_load_b128 v[86:89], v2 offset:880
	s_wait_loadcnt_dscnt 0xb01
	v_mul_f64_e32 v[144:145], v[130:131], v[100:101]
	v_mul_f64_e32 v[100:101], v[132:133], v[100:101]
	scratch_load_b128 v[94:97], off, off offset:496
	v_add_f64_e32 v[4:5], v[4:5], v[138:139]
	v_add_f64_e32 v[8:9], v[8:9], v[142:143]
	s_wait_loadcnt_dscnt 0xb00
	v_mul_f64_e32 v[142:143], v[86:87], v[104:105]
	v_mul_f64_e32 v[104:105], v[88:89], v[104:105]
	ds_load_b128 v[138:141], v2 offset:896
	v_fmac_f64_e32 v[144:145], v[132:133], v[98:99]
	v_fma_f64 v[130:131], v[130:131], v[98:99], -v[100:101]
	scratch_load_b128 v[98:101], off, off offset:512
	v_add_f64_e32 v[4:5], v[4:5], v[146:147]
	v_add_f64_e32 v[8:9], v[8:9], v[148:149]
	v_fmac_f64_e32 v[142:143], v[88:89], v[102:103]
	v_fma_f64 v[148:149], v[86:87], v[102:103], -v[104:105]
	ds_load_b128 v[86:89], v2 offset:912
	s_wait_loadcnt_dscnt 0xb01
	v_mul_f64_e32 v[146:147], v[138:139], v[108:109]
	v_mul_f64_e32 v[108:109], v[140:141], v[108:109]
	scratch_load_b128 v[102:105], off, off offset:528
	v_add_f64_e32 v[4:5], v[4:5], v[130:131]
	v_add_f64_e32 v[8:9], v[8:9], v[144:145]
	s_wait_loadcnt_dscnt 0xb00
	v_mul_f64_e32 v[144:145], v[86:87], v[112:113]
	v_mul_f64_e32 v[112:113], v[88:89], v[112:113]
	ds_load_b128 v[130:133], v2 offset:928
	v_fmac_f64_e32 v[146:147], v[140:141], v[106:107]
	v_fma_f64 v[106:107], v[138:139], v[106:107], -v[108:109]
	s_wait_loadcnt_dscnt 0xa00
	v_mul_f64_e32 v[138:139], v[130:131], v[116:117]
	v_mul_f64_e32 v[116:117], v[132:133], v[116:117]
	v_add_f64_e32 v[4:5], v[4:5], v[148:149]
	v_add_f64_e32 v[8:9], v[8:9], v[142:143]
	v_fmac_f64_e32 v[144:145], v[88:89], v[110:111]
	v_fma_f64 v[110:111], v[86:87], v[110:111], -v[112:113]
	v_fmac_f64_e32 v[138:139], v[132:133], v[114:115]
	v_fma_f64 v[114:115], v[130:131], v[114:115], -v[116:117]
	v_add_f64_e32 v[4:5], v[4:5], v[106:107]
	v_add_f64_e32 v[8:9], v[8:9], v[146:147]
	ds_load_b128 v[86:89], v2 offset:944
	ds_load_b128 v[106:109], v2 offset:960
	s_wait_loadcnt_dscnt 0x901
	v_mul_f64_e32 v[140:141], v[86:87], v[124:125]
	v_mul_f64_e32 v[112:113], v[88:89], v[124:125]
	s_wait_loadcnt_dscnt 0x600
	v_mul_f64_e32 v[116:117], v[106:107], v[12:13]
	v_add_f64_e32 v[4:5], v[4:5], v[110:111]
	v_add_f64_e32 v[8:9], v[8:9], v[144:145]
	v_mul_f64_e32 v[12:13], v[108:109], v[12:13]
	v_fmac_f64_e32 v[140:141], v[88:89], v[122:123]
	v_fma_f64 v[122:123], v[86:87], v[122:123], -v[112:113]
	ds_load_b128 v[86:89], v2 offset:976
	ds_load_b128 v[110:113], v2 offset:992
	v_fmac_f64_e32 v[116:117], v[108:109], v[10:11]
	v_add_f64_e32 v[4:5], v[4:5], v[114:115]
	v_add_f64_e32 v[8:9], v[8:9], v[138:139]
	v_fma_f64 v[10:11], v[106:107], v[10:11], -v[12:13]
	s_wait_dscnt 0x1
	v_mul_f64_e32 v[114:115], v[86:87], v[136:137]
	v_mul_f64_e32 v[124:125], v[88:89], v[136:137]
	v_add_f64_e32 v[4:5], v[4:5], v[122:123]
	v_add_f64_e32 v[8:9], v[8:9], v[140:141]
	s_wait_loadcnt_dscnt 0x500
	v_mul_f64_e32 v[12:13], v[110:111], v[84:85]
	v_mul_f64_e32 v[106:107], v[112:113], v[84:85]
	v_fmac_f64_e32 v[114:115], v[88:89], v[134:135]
	v_fma_f64 v[88:89], v[86:87], v[134:135], -v[124:125]
	v_add_f64_e32 v[4:5], v[4:5], v[10:11]
	v_add_f64_e32 v[108:109], v[8:9], v[116:117]
	ds_load_b128 v[8:11], v2 offset:1008
	ds_load_b128 v[84:87], v2 offset:1024
	v_fmac_f64_e32 v[12:13], v[112:113], v[82:83]
	v_fma_f64 v[82:83], v[110:111], v[82:83], -v[106:107]
	s_wait_loadcnt_dscnt 0x401
	v_mul_f64_e32 v[116:117], v[8:9], v[120:121]
	v_mul_f64_e32 v[120:121], v[10:11], v[120:121]
	s_wait_loadcnt_dscnt 0x300
	v_mul_f64_e32 v[110:111], v[84:85], v[92:93]
	v_mul_f64_e32 v[92:93], v[86:87], v[92:93]
	v_add_f64_e32 v[4:5], v[4:5], v[88:89]
	v_add_f64_e32 v[88:89], v[108:109], v[114:115]
	v_fmac_f64_e32 v[116:117], v[10:11], v[118:119]
	v_fma_f64 v[112:113], v[8:9], v[118:119], -v[120:121]
	ds_load_b128 v[8:11], v2 offset:1040
	ds_load_b128 v[106:109], v2 offset:1056
	v_fmac_f64_e32 v[110:111], v[86:87], v[90:91]
	v_fma_f64 v[84:85], v[84:85], v[90:91], -v[92:93]
	v_add_f64_e32 v[4:5], v[4:5], v[82:83]
	v_add_f64_e32 v[12:13], v[88:89], v[12:13]
	s_wait_loadcnt_dscnt 0x201
	v_mul_f64_e32 v[82:83], v[8:9], v[96:97]
	v_mul_f64_e32 v[88:89], v[10:11], v[96:97]
	s_wait_loadcnt_dscnt 0x100
	v_mul_f64_e32 v[86:87], v[106:107], v[100:101]
	v_mul_f64_e32 v[90:91], v[108:109], v[100:101]
	v_add_f64_e32 v[4:5], v[4:5], v[112:113]
	v_add_f64_e32 v[12:13], v[12:13], v[116:117]
	v_fmac_f64_e32 v[82:83], v[10:11], v[94:95]
	v_fma_f64 v[88:89], v[8:9], v[94:95], -v[88:89]
	ds_load_b128 v[8:11], v2 offset:1072
	v_fmac_f64_e32 v[86:87], v[108:109], v[98:99]
	v_fma_f64 v[90:91], v[106:107], v[98:99], -v[90:91]
	s_wait_loadcnt_dscnt 0x0
	v_mul_f64_e32 v[92:93], v[10:11], v[104:105]
	v_add_f64_e32 v[4:5], v[4:5], v[84:85]
	v_add_f64_e32 v[12:13], v[12:13], v[110:111]
	v_mul_f64_e32 v[84:85], v[8:9], v[104:105]
	s_delay_alu instid0(VALU_DEP_4) | instskip(NEXT) | instid1(VALU_DEP_4)
	v_fma_f64 v[8:9], v[8:9], v[102:103], -v[92:93]
	v_add_f64_e32 v[4:5], v[4:5], v[88:89]
	s_delay_alu instid0(VALU_DEP_4) | instskip(NEXT) | instid1(VALU_DEP_4)
	v_add_f64_e32 v[12:13], v[12:13], v[82:83]
	v_fmac_f64_e32 v[84:85], v[10:11], v[102:103]
	s_delay_alu instid0(VALU_DEP_3) | instskip(NEXT) | instid1(VALU_DEP_3)
	v_add_f64_e32 v[4:5], v[4:5], v[90:91]
	v_add_f64_e32 v[10:11], v[12:13], v[86:87]
	s_delay_alu instid0(VALU_DEP_2) | instskip(NEXT) | instid1(VALU_DEP_2)
	v_add_f64_e32 v[4:5], v[4:5], v[8:9]
	v_add_f64_e32 v[10:11], v[10:11], v[84:85]
	s_delay_alu instid0(VALU_DEP_2) | instskip(NEXT) | instid1(VALU_DEP_2)
	v_add_f64_e64 v[8:9], v[126:127], -v[4:5]
	v_add_f64_e64 v[10:11], v[128:129], -v[10:11]
	scratch_store_b128 off, v[8:11], off offset:224
	s_wait_xcnt 0x0
	v_cmpx_lt_u32_e32 13, v1
	s_cbranch_execz .LBB33_191
; %bb.190:
	scratch_load_b128 v[8:11], off, s44
	v_dual_mov_b32 v3, v2 :: v_dual_mov_b32 v4, v2
	v_mov_b32_e32 v5, v2
	scratch_store_b128 off, v[2:5], off offset:208
	s_wait_loadcnt 0x0
	ds_store_b128 v6, v[8:11]
.LBB33_191:
	s_wait_xcnt 0x0
	s_or_b32 exec_lo, exec_lo, s2
	s_wait_storecnt_dscnt 0x0
	s_barrier_signal -1
	s_barrier_wait -1
	s_clause 0x9
	scratch_load_b128 v[8:11], off, off offset:224
	scratch_load_b128 v[82:85], off, off offset:240
	;; [unrolled: 1-line block ×10, first 2 shown]
	ds_load_b128 v[118:121], v2 offset:768
	ds_load_b128 v[126:129], v2 offset:784
	s_clause 0x1
	scratch_load_b128 v[122:125], off, off offset:384
	scratch_load_b128 v[130:133], off, off offset:208
	s_mov_b32 s2, exec_lo
	s_wait_loadcnt_dscnt 0xb01
	v_mul_f64_e32 v[4:5], v[120:121], v[10:11]
	v_mul_f64_e32 v[142:143], v[118:119], v[10:11]
	scratch_load_b128 v[10:13], off, off offset:400
	s_wait_loadcnt_dscnt 0xb00
	v_mul_f64_e32 v[144:145], v[126:127], v[84:85]
	v_mul_f64_e32 v[84:85], v[128:129], v[84:85]
	v_fma_f64 v[4:5], v[118:119], v[8:9], -v[4:5]
	v_fmac_f64_e32 v[142:143], v[120:121], v[8:9]
	ds_load_b128 v[118:121], v2 offset:800
	ds_load_b128 v[134:137], v2 offset:816
	scratch_load_b128 v[138:141], off, off offset:416
	v_fmac_f64_e32 v[144:145], v[128:129], v[82:83]
	v_fma_f64 v[126:127], v[126:127], v[82:83], -v[84:85]
	scratch_load_b128 v[82:85], off, off offset:432
	s_wait_loadcnt_dscnt 0xc01
	v_mul_f64_e32 v[8:9], v[118:119], v[88:89]
	v_mul_f64_e32 v[88:89], v[120:121], v[88:89]
	v_add_f64_e32 v[4:5], 0, v[4:5]
	v_add_f64_e32 v[128:129], 0, v[142:143]
	s_wait_loadcnt_dscnt 0xb00
	v_mul_f64_e32 v[142:143], v[134:135], v[92:93]
	v_mul_f64_e32 v[92:93], v[136:137], v[92:93]
	v_fmac_f64_e32 v[8:9], v[120:121], v[86:87]
	v_fma_f64 v[146:147], v[118:119], v[86:87], -v[88:89]
	ds_load_b128 v[86:89], v2 offset:832
	ds_load_b128 v[118:121], v2 offset:848
	v_add_f64_e32 v[4:5], v[4:5], v[126:127]
	v_add_f64_e32 v[144:145], v[128:129], v[144:145]
	scratch_load_b128 v[126:129], off, off offset:448
	v_fmac_f64_e32 v[142:143], v[136:137], v[90:91]
	v_fma_f64 v[134:135], v[134:135], v[90:91], -v[92:93]
	scratch_load_b128 v[90:93], off, off offset:464
	s_wait_loadcnt_dscnt 0xc01
	v_mul_f64_e32 v[148:149], v[86:87], v[96:97]
	v_mul_f64_e32 v[96:97], v[88:89], v[96:97]
	v_add_f64_e32 v[4:5], v[4:5], v[146:147]
	v_add_f64_e32 v[8:9], v[144:145], v[8:9]
	s_wait_loadcnt_dscnt 0xb00
	v_mul_f64_e32 v[144:145], v[118:119], v[100:101]
	v_mul_f64_e32 v[100:101], v[120:121], v[100:101]
	v_fmac_f64_e32 v[148:149], v[88:89], v[94:95]
	v_fma_f64 v[146:147], v[86:87], v[94:95], -v[96:97]
	ds_load_b128 v[86:89], v2 offset:864
	ds_load_b128 v[94:97], v2 offset:880
	v_add_f64_e32 v[4:5], v[4:5], v[134:135]
	v_add_f64_e32 v[8:9], v[8:9], v[142:143]
	scratch_load_b128 v[134:137], off, off offset:480
	s_wait_loadcnt_dscnt 0xb01
	v_mul_f64_e32 v[142:143], v[86:87], v[104:105]
	v_mul_f64_e32 v[104:105], v[88:89], v[104:105]
	v_fmac_f64_e32 v[144:145], v[120:121], v[98:99]
	v_fma_f64 v[118:119], v[118:119], v[98:99], -v[100:101]
	scratch_load_b128 v[98:101], off, off offset:496
	v_add_f64_e32 v[4:5], v[4:5], v[146:147]
	v_add_f64_e32 v[8:9], v[8:9], v[148:149]
	s_wait_loadcnt_dscnt 0xb00
	v_mul_f64_e32 v[146:147], v[94:95], v[108:109]
	v_mul_f64_e32 v[108:109], v[96:97], v[108:109]
	v_fmac_f64_e32 v[142:143], v[88:89], v[102:103]
	v_fma_f64 v[148:149], v[86:87], v[102:103], -v[104:105]
	ds_load_b128 v[86:89], v2 offset:896
	ds_load_b128 v[102:105], v2 offset:912
	v_add_f64_e32 v[4:5], v[4:5], v[118:119]
	v_add_f64_e32 v[8:9], v[8:9], v[144:145]
	scratch_load_b128 v[118:121], off, off offset:512
	s_wait_loadcnt_dscnt 0xb01
	v_mul_f64_e32 v[144:145], v[86:87], v[112:113]
	v_mul_f64_e32 v[112:113], v[88:89], v[112:113]
	v_fmac_f64_e32 v[146:147], v[96:97], v[106:107]
	v_fma_f64 v[106:107], v[94:95], v[106:107], -v[108:109]
	scratch_load_b128 v[94:97], off, off offset:528
	v_add_f64_e32 v[4:5], v[4:5], v[148:149]
	v_add_f64_e32 v[8:9], v[8:9], v[142:143]
	s_wait_loadcnt_dscnt 0xb00
	v_mul_f64_e32 v[142:143], v[102:103], v[116:117]
	v_mul_f64_e32 v[116:117], v[104:105], v[116:117]
	v_fmac_f64_e32 v[144:145], v[88:89], v[110:111]
	v_fma_f64 v[110:111], v[86:87], v[110:111], -v[112:113]
	v_add_f64_e32 v[4:5], v[4:5], v[106:107]
	v_add_f64_e32 v[8:9], v[8:9], v[146:147]
	ds_load_b128 v[86:89], v2 offset:928
	ds_load_b128 v[106:109], v2 offset:944
	v_fmac_f64_e32 v[142:143], v[104:105], v[114:115]
	v_fma_f64 v[102:103], v[102:103], v[114:115], -v[116:117]
	s_wait_loadcnt_dscnt 0xa01
	v_mul_f64_e32 v[112:113], v[86:87], v[124:125]
	v_mul_f64_e32 v[124:125], v[88:89], v[124:125]
	v_add_f64_e32 v[4:5], v[4:5], v[110:111]
	v_add_f64_e32 v[8:9], v[8:9], v[144:145]
	s_wait_loadcnt_dscnt 0x800
	v_mul_f64_e32 v[110:111], v[106:107], v[12:13]
	v_mul_f64_e32 v[12:13], v[108:109], v[12:13]
	v_fmac_f64_e32 v[112:113], v[88:89], v[122:123]
	v_fma_f64 v[114:115], v[86:87], v[122:123], -v[124:125]
	v_add_f64_e32 v[4:5], v[4:5], v[102:103]
	v_add_f64_e32 v[8:9], v[8:9], v[142:143]
	ds_load_b128 v[86:89], v2 offset:960
	ds_load_b128 v[102:105], v2 offset:976
	v_fmac_f64_e32 v[110:111], v[108:109], v[10:11]
	v_fma_f64 v[10:11], v[106:107], v[10:11], -v[12:13]
	s_wait_loadcnt_dscnt 0x701
	v_mul_f64_e32 v[116:117], v[86:87], v[140:141]
	v_mul_f64_e32 v[122:123], v[88:89], v[140:141]
	s_wait_loadcnt_dscnt 0x600
	v_mul_f64_e32 v[12:13], v[102:103], v[84:85]
	v_mul_f64_e32 v[106:107], v[104:105], v[84:85]
	v_add_f64_e32 v[4:5], v[4:5], v[114:115]
	v_add_f64_e32 v[8:9], v[8:9], v[112:113]
	v_fmac_f64_e32 v[116:117], v[88:89], v[138:139]
	v_fma_f64 v[88:89], v[86:87], v[138:139], -v[122:123]
	v_fmac_f64_e32 v[12:13], v[104:105], v[82:83]
	v_fma_f64 v[82:83], v[102:103], v[82:83], -v[106:107]
	v_add_f64_e32 v[4:5], v[4:5], v[10:11]
	v_add_f64_e32 v[108:109], v[8:9], v[110:111]
	ds_load_b128 v[8:11], v2 offset:992
	ds_load_b128 v[84:87], v2 offset:1008
	s_wait_loadcnt_dscnt 0x501
	v_mul_f64_e32 v[110:111], v[8:9], v[128:129]
	v_mul_f64_e32 v[112:113], v[10:11], v[128:129]
	s_wait_loadcnt_dscnt 0x400
	v_mul_f64_e32 v[106:107], v[84:85], v[92:93]
	v_mul_f64_e32 v[92:93], v[86:87], v[92:93]
	v_add_f64_e32 v[4:5], v[4:5], v[88:89]
	v_add_f64_e32 v[88:89], v[108:109], v[116:117]
	v_fmac_f64_e32 v[110:111], v[10:11], v[126:127]
	v_fma_f64 v[108:109], v[8:9], v[126:127], -v[112:113]
	ds_load_b128 v[8:11], v2 offset:1024
	ds_load_b128 v[102:105], v2 offset:1040
	v_fmac_f64_e32 v[106:107], v[86:87], v[90:91]
	v_fma_f64 v[84:85], v[84:85], v[90:91], -v[92:93]
	v_add_f64_e32 v[4:5], v[4:5], v[82:83]
	v_add_f64_e32 v[12:13], v[88:89], v[12:13]
	s_wait_loadcnt_dscnt 0x301
	v_mul_f64_e32 v[82:83], v[8:9], v[136:137]
	v_mul_f64_e32 v[88:89], v[10:11], v[136:137]
	s_wait_loadcnt_dscnt 0x200
	v_mul_f64_e32 v[86:87], v[102:103], v[100:101]
	v_mul_f64_e32 v[90:91], v[104:105], v[100:101]
	v_add_f64_e32 v[4:5], v[4:5], v[108:109]
	v_add_f64_e32 v[12:13], v[12:13], v[110:111]
	v_fmac_f64_e32 v[82:83], v[10:11], v[134:135]
	v_fma_f64 v[88:89], v[8:9], v[134:135], -v[88:89]
	v_fmac_f64_e32 v[86:87], v[104:105], v[98:99]
	v_fma_f64 v[90:91], v[102:103], v[98:99], -v[90:91]
	v_add_f64_e32 v[84:85], v[4:5], v[84:85]
	v_add_f64_e32 v[12:13], v[12:13], v[106:107]
	ds_load_b128 v[8:11], v2 offset:1056
	ds_load_b128 v[2:5], v2 offset:1072
	s_wait_loadcnt_dscnt 0x101
	v_mul_f64_e32 v[92:93], v[8:9], v[120:121]
	v_mul_f64_e32 v[100:101], v[10:11], v[120:121]
	v_add_f64_e32 v[84:85], v[84:85], v[88:89]
	v_add_f64_e32 v[12:13], v[12:13], v[82:83]
	s_wait_loadcnt_dscnt 0x0
	v_mul_f64_e32 v[82:83], v[2:3], v[96:97]
	v_mul_f64_e32 v[88:89], v[4:5], v[96:97]
	v_fmac_f64_e32 v[92:93], v[10:11], v[118:119]
	v_fma_f64 v[8:9], v[8:9], v[118:119], -v[100:101]
	v_add_f64_e32 v[10:11], v[84:85], v[90:91]
	v_add_f64_e32 v[12:13], v[12:13], v[86:87]
	v_fmac_f64_e32 v[82:83], v[4:5], v[94:95]
	v_fma_f64 v[2:3], v[2:3], v[94:95], -v[88:89]
	s_delay_alu instid0(VALU_DEP_4) | instskip(NEXT) | instid1(VALU_DEP_4)
	v_add_f64_e32 v[4:5], v[10:11], v[8:9]
	v_add_f64_e32 v[8:9], v[12:13], v[92:93]
	s_delay_alu instid0(VALU_DEP_2) | instskip(NEXT) | instid1(VALU_DEP_2)
	v_add_f64_e32 v[2:3], v[4:5], v[2:3]
	v_add_f64_e32 v[4:5], v[8:9], v[82:83]
	s_delay_alu instid0(VALU_DEP_2) | instskip(NEXT) | instid1(VALU_DEP_2)
	v_add_f64_e64 v[2:3], v[130:131], -v[2:3]
	v_add_f64_e64 v[4:5], v[132:133], -v[4:5]
	scratch_store_b128 off, v[2:5], off offset:208
	s_wait_xcnt 0x0
	v_cmpx_lt_u32_e32 12, v1
	s_cbranch_execz .LBB33_193
; %bb.192:
	scratch_load_b128 v[2:5], off, s43
	v_mov_b32_e32 v8, 0
	s_delay_alu instid0(VALU_DEP_1)
	v_dual_mov_b32 v9, v8 :: v_dual_mov_b32 v10, v8
	v_mov_b32_e32 v11, v8
	scratch_store_b128 off, v[8:11], off offset:192
	s_wait_loadcnt 0x0
	ds_store_b128 v6, v[2:5]
.LBB33_193:
	s_wait_xcnt 0x0
	s_or_b32 exec_lo, exec_lo, s2
	s_wait_storecnt_dscnt 0x0
	s_barrier_signal -1
	s_barrier_wait -1
	s_clause 0x9
	scratch_load_b128 v[8:11], off, off offset:208
	scratch_load_b128 v[82:85], off, off offset:224
	;; [unrolled: 1-line block ×10, first 2 shown]
	v_mov_b32_e32 v2, 0
	s_mov_b32 s2, exec_lo
	ds_load_b128 v[118:121], v2 offset:752
	s_clause 0x2
	scratch_load_b128 v[122:125], off, off offset:368
	scratch_load_b128 v[126:129], off, off offset:192
	;; [unrolled: 1-line block ×3, first 2 shown]
	s_wait_loadcnt_dscnt 0xc00
	v_mul_f64_e32 v[4:5], v[120:121], v[10:11]
	v_mul_f64_e32 v[142:143], v[118:119], v[10:11]
	ds_load_b128 v[130:133], v2 offset:768
	scratch_load_b128 v[10:13], off, off offset:384
	ds_load_b128 v[138:141], v2 offset:800
	v_fma_f64 v[4:5], v[118:119], v[8:9], -v[4:5]
	v_fmac_f64_e32 v[142:143], v[120:121], v[8:9]
	ds_load_b128 v[118:121], v2 offset:784
	s_wait_loadcnt_dscnt 0xc02
	v_mul_f64_e32 v[144:145], v[130:131], v[84:85]
	v_mul_f64_e32 v[84:85], v[132:133], v[84:85]
	s_wait_loadcnt_dscnt 0xb00
	v_mul_f64_e32 v[8:9], v[118:119], v[88:89]
	v_mul_f64_e32 v[88:89], v[120:121], v[88:89]
	v_add_f64_e32 v[4:5], 0, v[4:5]
	v_fmac_f64_e32 v[144:145], v[132:133], v[82:83]
	v_fma_f64 v[130:131], v[130:131], v[82:83], -v[84:85]
	v_add_f64_e32 v[132:133], 0, v[142:143]
	scratch_load_b128 v[82:85], off, off offset:416
	v_fmac_f64_e32 v[8:9], v[120:121], v[86:87]
	v_fma_f64 v[146:147], v[118:119], v[86:87], -v[88:89]
	ds_load_b128 v[86:89], v2 offset:816
	s_wait_loadcnt 0xb
	v_mul_f64_e32 v[142:143], v[138:139], v[92:93]
	v_mul_f64_e32 v[92:93], v[140:141], v[92:93]
	scratch_load_b128 v[118:121], off, off offset:432
	v_add_f64_e32 v[4:5], v[4:5], v[130:131]
	v_add_f64_e32 v[144:145], v[132:133], v[144:145]
	ds_load_b128 v[130:133], v2 offset:832
	s_wait_loadcnt_dscnt 0xb01
	v_mul_f64_e32 v[148:149], v[86:87], v[96:97]
	v_mul_f64_e32 v[96:97], v[88:89], v[96:97]
	v_fmac_f64_e32 v[142:143], v[140:141], v[90:91]
	v_fma_f64 v[138:139], v[138:139], v[90:91], -v[92:93]
	scratch_load_b128 v[90:93], off, off offset:448
	v_add_f64_e32 v[4:5], v[4:5], v[146:147]
	v_add_f64_e32 v[8:9], v[144:145], v[8:9]
	v_fmac_f64_e32 v[148:149], v[88:89], v[94:95]
	v_fma_f64 v[146:147], v[86:87], v[94:95], -v[96:97]
	ds_load_b128 v[86:89], v2 offset:848
	s_wait_loadcnt_dscnt 0xb01
	v_mul_f64_e32 v[144:145], v[130:131], v[100:101]
	v_mul_f64_e32 v[100:101], v[132:133], v[100:101]
	scratch_load_b128 v[94:97], off, off offset:464
	v_add_f64_e32 v[4:5], v[4:5], v[138:139]
	v_add_f64_e32 v[8:9], v[8:9], v[142:143]
	s_wait_loadcnt_dscnt 0xb00
	v_mul_f64_e32 v[142:143], v[86:87], v[104:105]
	v_mul_f64_e32 v[104:105], v[88:89], v[104:105]
	ds_load_b128 v[138:141], v2 offset:864
	v_fmac_f64_e32 v[144:145], v[132:133], v[98:99]
	v_fma_f64 v[130:131], v[130:131], v[98:99], -v[100:101]
	scratch_load_b128 v[98:101], off, off offset:480
	v_add_f64_e32 v[4:5], v[4:5], v[146:147]
	v_add_f64_e32 v[8:9], v[8:9], v[148:149]
	v_fmac_f64_e32 v[142:143], v[88:89], v[102:103]
	v_fma_f64 v[148:149], v[86:87], v[102:103], -v[104:105]
	ds_load_b128 v[86:89], v2 offset:880
	s_wait_loadcnt_dscnt 0xb01
	v_mul_f64_e32 v[146:147], v[138:139], v[108:109]
	v_mul_f64_e32 v[108:109], v[140:141], v[108:109]
	scratch_load_b128 v[102:105], off, off offset:496
	v_add_f64_e32 v[4:5], v[4:5], v[130:131]
	v_add_f64_e32 v[8:9], v[8:9], v[144:145]
	s_wait_loadcnt_dscnt 0xb00
	v_mul_f64_e32 v[144:145], v[86:87], v[112:113]
	v_mul_f64_e32 v[112:113], v[88:89], v[112:113]
	ds_load_b128 v[130:133], v2 offset:896
	;; [unrolled: 18-line block ×3, first 2 shown]
	v_fmac_f64_e32 v[142:143], v[132:133], v[114:115]
	v_fma_f64 v[114:115], v[130:131], v[114:115], -v[116:117]
	s_wait_loadcnt_dscnt 0x800
	v_mul_f64_e32 v[130:131], v[138:139], v[12:13]
	v_add_f64_e32 v[4:5], v[4:5], v[148:149]
	v_add_f64_e32 v[8:9], v[8:9], v[144:145]
	v_mul_f64_e32 v[12:13], v[140:141], v[12:13]
	v_fmac_f64_e32 v[146:147], v[88:89], v[122:123]
	v_fma_f64 v[122:123], v[86:87], v[122:123], -v[124:125]
	v_fmac_f64_e32 v[130:131], v[140:141], v[10:11]
	v_add_f64_e32 v[4:5], v[4:5], v[114:115]
	v_add_f64_e32 v[8:9], v[8:9], v[142:143]
	ds_load_b128 v[86:89], v2 offset:944
	ds_load_b128 v[114:117], v2 offset:960
	v_fma_f64 v[10:11], v[138:139], v[10:11], -v[12:13]
	s_wait_dscnt 0x1
	v_mul_f64_e32 v[124:125], v[86:87], v[136:137]
	v_mul_f64_e32 v[132:133], v[88:89], v[136:137]
	v_add_f64_e32 v[4:5], v[4:5], v[122:123]
	v_add_f64_e32 v[8:9], v[8:9], v[146:147]
	s_wait_loadcnt_dscnt 0x700
	v_mul_f64_e32 v[12:13], v[114:115], v[84:85]
	v_mul_f64_e32 v[122:123], v[116:117], v[84:85]
	v_fmac_f64_e32 v[124:125], v[88:89], v[134:135]
	v_fma_f64 v[88:89], v[86:87], v[134:135], -v[132:133]
	v_add_f64_e32 v[4:5], v[4:5], v[10:11]
	v_add_f64_e32 v[130:131], v[8:9], v[130:131]
	ds_load_b128 v[8:11], v2 offset:976
	ds_load_b128 v[84:87], v2 offset:992
	v_fmac_f64_e32 v[12:13], v[116:117], v[82:83]
	v_fma_f64 v[82:83], v[114:115], v[82:83], -v[122:123]
	s_wait_loadcnt_dscnt 0x601
	v_mul_f64_e32 v[132:133], v[8:9], v[120:121]
	v_mul_f64_e32 v[120:121], v[10:11], v[120:121]
	s_wait_loadcnt_dscnt 0x500
	v_mul_f64_e32 v[122:123], v[84:85], v[92:93]
	v_mul_f64_e32 v[92:93], v[86:87], v[92:93]
	v_add_f64_e32 v[4:5], v[4:5], v[88:89]
	v_add_f64_e32 v[88:89], v[130:131], v[124:125]
	v_fmac_f64_e32 v[132:133], v[10:11], v[118:119]
	v_fma_f64 v[118:119], v[8:9], v[118:119], -v[120:121]
	ds_load_b128 v[8:11], v2 offset:1008
	ds_load_b128 v[114:117], v2 offset:1024
	v_fmac_f64_e32 v[122:123], v[86:87], v[90:91]
	v_fma_f64 v[84:85], v[84:85], v[90:91], -v[92:93]
	v_add_f64_e32 v[4:5], v[4:5], v[82:83]
	v_add_f64_e32 v[12:13], v[88:89], v[12:13]
	s_wait_loadcnt_dscnt 0x401
	v_mul_f64_e32 v[88:89], v[8:9], v[96:97]
	v_mul_f64_e32 v[82:83], v[10:11], v[96:97]
	s_wait_loadcnt_dscnt 0x300
	v_mul_f64_e32 v[86:87], v[114:115], v[100:101]
	v_mul_f64_e32 v[90:91], v[116:117], v[100:101]
	v_add_f64_e32 v[4:5], v[4:5], v[118:119]
	v_add_f64_e32 v[12:13], v[12:13], v[132:133]
	v_fmac_f64_e32 v[88:89], v[10:11], v[94:95]
	v_fma_f64 v[92:93], v[8:9], v[94:95], -v[82:83]
	v_fmac_f64_e32 v[86:87], v[116:117], v[98:99]
	v_fma_f64 v[90:91], v[114:115], v[98:99], -v[90:91]
	v_add_f64_e32 v[4:5], v[4:5], v[84:85]
	v_add_f64_e32 v[12:13], v[12:13], v[122:123]
	ds_load_b128 v[8:11], v2 offset:1040
	ds_load_b128 v[82:85], v2 offset:1056
	s_wait_loadcnt_dscnt 0x201
	v_mul_f64_e32 v[94:95], v[8:9], v[104:105]
	v_mul_f64_e32 v[96:97], v[10:11], v[104:105]
	v_add_f64_e32 v[4:5], v[4:5], v[92:93]
	v_add_f64_e32 v[12:13], v[12:13], v[88:89]
	s_wait_loadcnt_dscnt 0x100
	v_mul_f64_e32 v[88:89], v[82:83], v[108:109]
	v_mul_f64_e32 v[92:93], v[84:85], v[108:109]
	v_fmac_f64_e32 v[94:95], v[10:11], v[102:103]
	v_fma_f64 v[96:97], v[8:9], v[102:103], -v[96:97]
	ds_load_b128 v[8:11], v2 offset:1072
	v_add_f64_e32 v[4:5], v[4:5], v[90:91]
	v_add_f64_e32 v[12:13], v[12:13], v[86:87]
	v_fmac_f64_e32 v[88:89], v[84:85], v[106:107]
	v_fma_f64 v[82:83], v[82:83], v[106:107], -v[92:93]
	s_wait_loadcnt_dscnt 0x0
	v_mul_f64_e32 v[86:87], v[8:9], v[112:113]
	v_mul_f64_e32 v[90:91], v[10:11], v[112:113]
	v_add_f64_e32 v[4:5], v[4:5], v[96:97]
	v_add_f64_e32 v[12:13], v[12:13], v[94:95]
	s_delay_alu instid0(VALU_DEP_4) | instskip(NEXT) | instid1(VALU_DEP_4)
	v_fmac_f64_e32 v[86:87], v[10:11], v[110:111]
	v_fma_f64 v[8:9], v[8:9], v[110:111], -v[90:91]
	s_delay_alu instid0(VALU_DEP_4) | instskip(NEXT) | instid1(VALU_DEP_4)
	v_add_f64_e32 v[4:5], v[4:5], v[82:83]
	v_add_f64_e32 v[10:11], v[12:13], v[88:89]
	s_delay_alu instid0(VALU_DEP_2) | instskip(NEXT) | instid1(VALU_DEP_2)
	v_add_f64_e32 v[4:5], v[4:5], v[8:9]
	v_add_f64_e32 v[10:11], v[10:11], v[86:87]
	s_delay_alu instid0(VALU_DEP_2) | instskip(NEXT) | instid1(VALU_DEP_2)
	v_add_f64_e64 v[8:9], v[126:127], -v[4:5]
	v_add_f64_e64 v[10:11], v[128:129], -v[10:11]
	scratch_store_b128 off, v[8:11], off offset:192
	s_wait_xcnt 0x0
	v_cmpx_lt_u32_e32 11, v1
	s_cbranch_execz .LBB33_195
; %bb.194:
	scratch_load_b128 v[8:11], off, s41
	v_dual_mov_b32 v3, v2 :: v_dual_mov_b32 v4, v2
	v_mov_b32_e32 v5, v2
	scratch_store_b128 off, v[2:5], off offset:176
	s_wait_loadcnt 0x0
	ds_store_b128 v6, v[8:11]
.LBB33_195:
	s_wait_xcnt 0x0
	s_or_b32 exec_lo, exec_lo, s2
	s_wait_storecnt_dscnt 0x0
	s_barrier_signal -1
	s_barrier_wait -1
	s_clause 0x9
	scratch_load_b128 v[8:11], off, off offset:192
	scratch_load_b128 v[82:85], off, off offset:208
	;; [unrolled: 1-line block ×10, first 2 shown]
	ds_load_b128 v[118:121], v2 offset:736
	ds_load_b128 v[126:129], v2 offset:752
	s_clause 0x1
	scratch_load_b128 v[122:125], off, off offset:352
	scratch_load_b128 v[130:133], off, off offset:176
	s_mov_b32 s2, exec_lo
	s_wait_loadcnt_dscnt 0xb01
	v_mul_f64_e32 v[4:5], v[120:121], v[10:11]
	v_mul_f64_e32 v[142:143], v[118:119], v[10:11]
	scratch_load_b128 v[10:13], off, off offset:368
	s_wait_loadcnt_dscnt 0xb00
	v_mul_f64_e32 v[144:145], v[126:127], v[84:85]
	v_mul_f64_e32 v[84:85], v[128:129], v[84:85]
	v_fma_f64 v[4:5], v[118:119], v[8:9], -v[4:5]
	v_fmac_f64_e32 v[142:143], v[120:121], v[8:9]
	ds_load_b128 v[118:121], v2 offset:768
	ds_load_b128 v[134:137], v2 offset:784
	scratch_load_b128 v[138:141], off, off offset:384
	v_fmac_f64_e32 v[144:145], v[128:129], v[82:83]
	v_fma_f64 v[126:127], v[126:127], v[82:83], -v[84:85]
	scratch_load_b128 v[82:85], off, off offset:400
	s_wait_loadcnt_dscnt 0xc01
	v_mul_f64_e32 v[8:9], v[118:119], v[88:89]
	v_mul_f64_e32 v[88:89], v[120:121], v[88:89]
	v_add_f64_e32 v[4:5], 0, v[4:5]
	v_add_f64_e32 v[128:129], 0, v[142:143]
	s_wait_loadcnt_dscnt 0xb00
	v_mul_f64_e32 v[142:143], v[134:135], v[92:93]
	v_mul_f64_e32 v[92:93], v[136:137], v[92:93]
	v_fmac_f64_e32 v[8:9], v[120:121], v[86:87]
	v_fma_f64 v[146:147], v[118:119], v[86:87], -v[88:89]
	ds_load_b128 v[86:89], v2 offset:800
	ds_load_b128 v[118:121], v2 offset:816
	v_add_f64_e32 v[4:5], v[4:5], v[126:127]
	v_add_f64_e32 v[144:145], v[128:129], v[144:145]
	scratch_load_b128 v[126:129], off, off offset:416
	v_fmac_f64_e32 v[142:143], v[136:137], v[90:91]
	v_fma_f64 v[134:135], v[134:135], v[90:91], -v[92:93]
	scratch_load_b128 v[90:93], off, off offset:432
	s_wait_loadcnt_dscnt 0xc01
	v_mul_f64_e32 v[148:149], v[86:87], v[96:97]
	v_mul_f64_e32 v[96:97], v[88:89], v[96:97]
	v_add_f64_e32 v[4:5], v[4:5], v[146:147]
	v_add_f64_e32 v[8:9], v[144:145], v[8:9]
	s_wait_loadcnt_dscnt 0xb00
	v_mul_f64_e32 v[144:145], v[118:119], v[100:101]
	v_mul_f64_e32 v[100:101], v[120:121], v[100:101]
	v_fmac_f64_e32 v[148:149], v[88:89], v[94:95]
	v_fma_f64 v[146:147], v[86:87], v[94:95], -v[96:97]
	ds_load_b128 v[86:89], v2 offset:832
	ds_load_b128 v[94:97], v2 offset:848
	v_add_f64_e32 v[4:5], v[4:5], v[134:135]
	v_add_f64_e32 v[8:9], v[8:9], v[142:143]
	scratch_load_b128 v[134:137], off, off offset:448
	s_wait_loadcnt_dscnt 0xb01
	v_mul_f64_e32 v[142:143], v[86:87], v[104:105]
	v_mul_f64_e32 v[104:105], v[88:89], v[104:105]
	v_fmac_f64_e32 v[144:145], v[120:121], v[98:99]
	v_fma_f64 v[118:119], v[118:119], v[98:99], -v[100:101]
	scratch_load_b128 v[98:101], off, off offset:464
	v_add_f64_e32 v[4:5], v[4:5], v[146:147]
	v_add_f64_e32 v[8:9], v[8:9], v[148:149]
	s_wait_loadcnt_dscnt 0xb00
	v_mul_f64_e32 v[146:147], v[94:95], v[108:109]
	v_mul_f64_e32 v[108:109], v[96:97], v[108:109]
	v_fmac_f64_e32 v[142:143], v[88:89], v[102:103]
	v_fma_f64 v[148:149], v[86:87], v[102:103], -v[104:105]
	ds_load_b128 v[86:89], v2 offset:864
	ds_load_b128 v[102:105], v2 offset:880
	v_add_f64_e32 v[4:5], v[4:5], v[118:119]
	v_add_f64_e32 v[8:9], v[8:9], v[144:145]
	scratch_load_b128 v[118:121], off, off offset:480
	s_wait_loadcnt_dscnt 0xb01
	v_mul_f64_e32 v[144:145], v[86:87], v[112:113]
	v_mul_f64_e32 v[112:113], v[88:89], v[112:113]
	v_fmac_f64_e32 v[146:147], v[96:97], v[106:107]
	v_fma_f64 v[106:107], v[94:95], v[106:107], -v[108:109]
	scratch_load_b128 v[94:97], off, off offset:496
	v_add_f64_e32 v[4:5], v[4:5], v[148:149]
	v_add_f64_e32 v[8:9], v[8:9], v[142:143]
	s_wait_loadcnt_dscnt 0xb00
	v_mul_f64_e32 v[142:143], v[102:103], v[116:117]
	v_mul_f64_e32 v[116:117], v[104:105], v[116:117]
	v_fmac_f64_e32 v[144:145], v[88:89], v[110:111]
	v_fma_f64 v[148:149], v[86:87], v[110:111], -v[112:113]
	v_add_f64_e32 v[4:5], v[4:5], v[106:107]
	v_add_f64_e32 v[8:9], v[8:9], v[146:147]
	ds_load_b128 v[86:89], v2 offset:896
	ds_load_b128 v[106:109], v2 offset:912
	scratch_load_b128 v[110:113], off, off offset:512
	v_fmac_f64_e32 v[142:143], v[104:105], v[114:115]
	v_fma_f64 v[114:115], v[102:103], v[114:115], -v[116:117]
	scratch_load_b128 v[102:105], off, off offset:528
	s_wait_loadcnt_dscnt 0xc01
	v_mul_f64_e32 v[146:147], v[86:87], v[124:125]
	v_mul_f64_e32 v[124:125], v[88:89], v[124:125]
	v_add_f64_e32 v[4:5], v[4:5], v[148:149]
	v_add_f64_e32 v[8:9], v[8:9], v[144:145]
	s_wait_loadcnt_dscnt 0xa00
	v_mul_f64_e32 v[144:145], v[106:107], v[12:13]
	v_mul_f64_e32 v[12:13], v[108:109], v[12:13]
	v_fmac_f64_e32 v[146:147], v[88:89], v[122:123]
	v_fma_f64 v[122:123], v[86:87], v[122:123], -v[124:125]
	v_add_f64_e32 v[4:5], v[4:5], v[114:115]
	v_add_f64_e32 v[8:9], v[8:9], v[142:143]
	ds_load_b128 v[86:89], v2 offset:928
	ds_load_b128 v[114:117], v2 offset:944
	v_fmac_f64_e32 v[144:145], v[108:109], v[10:11]
	v_fma_f64 v[10:11], v[106:107], v[10:11], -v[12:13]
	s_wait_loadcnt_dscnt 0x901
	v_mul_f64_e32 v[124:125], v[86:87], v[140:141]
	v_mul_f64_e32 v[140:141], v[88:89], v[140:141]
	s_wait_loadcnt_dscnt 0x800
	v_mul_f64_e32 v[12:13], v[114:115], v[84:85]
	v_mul_f64_e32 v[106:107], v[116:117], v[84:85]
	v_add_f64_e32 v[4:5], v[4:5], v[122:123]
	v_add_f64_e32 v[8:9], v[8:9], v[146:147]
	v_fmac_f64_e32 v[124:125], v[88:89], v[138:139]
	v_fma_f64 v[88:89], v[86:87], v[138:139], -v[140:141]
	v_fmac_f64_e32 v[12:13], v[116:117], v[82:83]
	v_fma_f64 v[82:83], v[114:115], v[82:83], -v[106:107]
	v_add_f64_e32 v[4:5], v[4:5], v[10:11]
	v_add_f64_e32 v[108:109], v[8:9], v[144:145]
	ds_load_b128 v[8:11], v2 offset:960
	ds_load_b128 v[84:87], v2 offset:976
	s_wait_loadcnt_dscnt 0x701
	v_mul_f64_e32 v[122:123], v[8:9], v[128:129]
	v_mul_f64_e32 v[128:129], v[10:11], v[128:129]
	s_wait_loadcnt_dscnt 0x600
	v_mul_f64_e32 v[114:115], v[84:85], v[92:93]
	v_mul_f64_e32 v[92:93], v[86:87], v[92:93]
	v_add_f64_e32 v[4:5], v[4:5], v[88:89]
	v_add_f64_e32 v[88:89], v[108:109], v[124:125]
	v_fmac_f64_e32 v[122:123], v[10:11], v[126:127]
	v_fma_f64 v[116:117], v[8:9], v[126:127], -v[128:129]
	ds_load_b128 v[8:11], v2 offset:992
	ds_load_b128 v[106:109], v2 offset:1008
	v_fmac_f64_e32 v[114:115], v[86:87], v[90:91]
	v_fma_f64 v[84:85], v[84:85], v[90:91], -v[92:93]
	v_add_f64_e32 v[4:5], v[4:5], v[82:83]
	v_add_f64_e32 v[12:13], v[88:89], v[12:13]
	s_wait_loadcnt_dscnt 0x501
	v_mul_f64_e32 v[88:89], v[8:9], v[136:137]
	v_mul_f64_e32 v[82:83], v[10:11], v[136:137]
	s_wait_loadcnt_dscnt 0x400
	v_mul_f64_e32 v[86:87], v[106:107], v[100:101]
	v_mul_f64_e32 v[90:91], v[108:109], v[100:101]
	v_add_f64_e32 v[4:5], v[4:5], v[116:117]
	v_add_f64_e32 v[12:13], v[12:13], v[122:123]
	v_fmac_f64_e32 v[88:89], v[10:11], v[134:135]
	v_fma_f64 v[92:93], v[8:9], v[134:135], -v[82:83]
	v_fmac_f64_e32 v[86:87], v[108:109], v[98:99]
	v_fma_f64 v[90:91], v[106:107], v[98:99], -v[90:91]
	v_add_f64_e32 v[4:5], v[4:5], v[84:85]
	v_add_f64_e32 v[12:13], v[12:13], v[114:115]
	ds_load_b128 v[8:11], v2 offset:1024
	ds_load_b128 v[82:85], v2 offset:1040
	s_wait_loadcnt_dscnt 0x301
	v_mul_f64_e32 v[100:101], v[8:9], v[120:121]
	v_mul_f64_e32 v[114:115], v[10:11], v[120:121]
	v_add_f64_e32 v[4:5], v[4:5], v[92:93]
	v_add_f64_e32 v[12:13], v[12:13], v[88:89]
	s_wait_loadcnt_dscnt 0x200
	v_mul_f64_e32 v[88:89], v[82:83], v[96:97]
	v_mul_f64_e32 v[92:93], v[84:85], v[96:97]
	v_fmac_f64_e32 v[100:101], v[10:11], v[118:119]
	v_fma_f64 v[96:97], v[8:9], v[118:119], -v[114:115]
	v_add_f64_e32 v[90:91], v[4:5], v[90:91]
	v_add_f64_e32 v[12:13], v[12:13], v[86:87]
	ds_load_b128 v[8:11], v2 offset:1056
	ds_load_b128 v[2:5], v2 offset:1072
	v_fmac_f64_e32 v[88:89], v[84:85], v[94:95]
	v_fma_f64 v[82:83], v[82:83], v[94:95], -v[92:93]
	s_wait_loadcnt_dscnt 0x101
	v_mul_f64_e32 v[86:87], v[8:9], v[112:113]
	v_mul_f64_e32 v[98:99], v[10:11], v[112:113]
	s_wait_loadcnt_dscnt 0x0
	v_mul_f64_e32 v[92:93], v[4:5], v[104:105]
	v_add_f64_e32 v[84:85], v[90:91], v[96:97]
	v_add_f64_e32 v[12:13], v[12:13], v[100:101]
	v_mul_f64_e32 v[90:91], v[2:3], v[104:105]
	v_fmac_f64_e32 v[86:87], v[10:11], v[110:111]
	v_fma_f64 v[8:9], v[8:9], v[110:111], -v[98:99]
	v_fma_f64 v[2:3], v[2:3], v[102:103], -v[92:93]
	v_add_f64_e32 v[10:11], v[84:85], v[82:83]
	v_add_f64_e32 v[12:13], v[12:13], v[88:89]
	v_fmac_f64_e32 v[90:91], v[4:5], v[102:103]
	s_delay_alu instid0(VALU_DEP_3) | instskip(NEXT) | instid1(VALU_DEP_3)
	v_add_f64_e32 v[4:5], v[10:11], v[8:9]
	v_add_f64_e32 v[8:9], v[12:13], v[86:87]
	s_delay_alu instid0(VALU_DEP_2) | instskip(NEXT) | instid1(VALU_DEP_2)
	v_add_f64_e32 v[2:3], v[4:5], v[2:3]
	v_add_f64_e32 v[4:5], v[8:9], v[90:91]
	s_delay_alu instid0(VALU_DEP_2) | instskip(NEXT) | instid1(VALU_DEP_2)
	v_add_f64_e64 v[2:3], v[130:131], -v[2:3]
	v_add_f64_e64 v[4:5], v[132:133], -v[4:5]
	scratch_store_b128 off, v[2:5], off offset:176
	s_wait_xcnt 0x0
	v_cmpx_lt_u32_e32 10, v1
	s_cbranch_execz .LBB33_197
; %bb.196:
	scratch_load_b128 v[2:5], off, s38
	v_mov_b32_e32 v8, 0
	s_delay_alu instid0(VALU_DEP_1)
	v_dual_mov_b32 v9, v8 :: v_dual_mov_b32 v10, v8
	v_mov_b32_e32 v11, v8
	scratch_store_b128 off, v[8:11], off offset:160
	s_wait_loadcnt 0x0
	ds_store_b128 v6, v[2:5]
.LBB33_197:
	s_wait_xcnt 0x0
	s_or_b32 exec_lo, exec_lo, s2
	s_wait_storecnt_dscnt 0x0
	s_barrier_signal -1
	s_barrier_wait -1
	s_clause 0x9
	scratch_load_b128 v[8:11], off, off offset:176
	scratch_load_b128 v[82:85], off, off offset:192
	;; [unrolled: 1-line block ×10, first 2 shown]
	v_mov_b32_e32 v2, 0
	s_mov_b32 s2, exec_lo
	ds_load_b128 v[118:121], v2 offset:720
	s_clause 0x2
	scratch_load_b128 v[122:125], off, off offset:336
	scratch_load_b128 v[126:129], off, off offset:160
	;; [unrolled: 1-line block ×3, first 2 shown]
	s_wait_loadcnt_dscnt 0xc00
	v_mul_f64_e32 v[4:5], v[120:121], v[10:11]
	v_mul_f64_e32 v[142:143], v[118:119], v[10:11]
	ds_load_b128 v[130:133], v2 offset:736
	scratch_load_b128 v[10:13], off, off offset:352
	ds_load_b128 v[138:141], v2 offset:768
	v_fma_f64 v[4:5], v[118:119], v[8:9], -v[4:5]
	v_fmac_f64_e32 v[142:143], v[120:121], v[8:9]
	ds_load_b128 v[118:121], v2 offset:752
	s_wait_loadcnt_dscnt 0xc02
	v_mul_f64_e32 v[144:145], v[130:131], v[84:85]
	v_mul_f64_e32 v[84:85], v[132:133], v[84:85]
	s_wait_loadcnt_dscnt 0xb00
	v_mul_f64_e32 v[8:9], v[118:119], v[88:89]
	v_mul_f64_e32 v[88:89], v[120:121], v[88:89]
	v_add_f64_e32 v[4:5], 0, v[4:5]
	v_fmac_f64_e32 v[144:145], v[132:133], v[82:83]
	v_fma_f64 v[130:131], v[130:131], v[82:83], -v[84:85]
	v_add_f64_e32 v[132:133], 0, v[142:143]
	scratch_load_b128 v[82:85], off, off offset:384
	v_fmac_f64_e32 v[8:9], v[120:121], v[86:87]
	v_fma_f64 v[146:147], v[118:119], v[86:87], -v[88:89]
	ds_load_b128 v[86:89], v2 offset:784
	s_wait_loadcnt 0xb
	v_mul_f64_e32 v[142:143], v[138:139], v[92:93]
	v_mul_f64_e32 v[92:93], v[140:141], v[92:93]
	scratch_load_b128 v[118:121], off, off offset:400
	v_add_f64_e32 v[4:5], v[4:5], v[130:131]
	v_add_f64_e32 v[144:145], v[132:133], v[144:145]
	ds_load_b128 v[130:133], v2 offset:800
	s_wait_loadcnt_dscnt 0xb01
	v_mul_f64_e32 v[148:149], v[86:87], v[96:97]
	v_mul_f64_e32 v[96:97], v[88:89], v[96:97]
	v_fmac_f64_e32 v[142:143], v[140:141], v[90:91]
	v_fma_f64 v[138:139], v[138:139], v[90:91], -v[92:93]
	scratch_load_b128 v[90:93], off, off offset:416
	v_add_f64_e32 v[4:5], v[4:5], v[146:147]
	v_add_f64_e32 v[8:9], v[144:145], v[8:9]
	v_fmac_f64_e32 v[148:149], v[88:89], v[94:95]
	v_fma_f64 v[146:147], v[86:87], v[94:95], -v[96:97]
	ds_load_b128 v[86:89], v2 offset:816
	s_wait_loadcnt_dscnt 0xb01
	v_mul_f64_e32 v[144:145], v[130:131], v[100:101]
	v_mul_f64_e32 v[100:101], v[132:133], v[100:101]
	scratch_load_b128 v[94:97], off, off offset:432
	v_add_f64_e32 v[4:5], v[4:5], v[138:139]
	v_add_f64_e32 v[8:9], v[8:9], v[142:143]
	s_wait_loadcnt_dscnt 0xb00
	v_mul_f64_e32 v[142:143], v[86:87], v[104:105]
	v_mul_f64_e32 v[104:105], v[88:89], v[104:105]
	ds_load_b128 v[138:141], v2 offset:832
	v_fmac_f64_e32 v[144:145], v[132:133], v[98:99]
	v_fma_f64 v[130:131], v[130:131], v[98:99], -v[100:101]
	scratch_load_b128 v[98:101], off, off offset:448
	v_add_f64_e32 v[4:5], v[4:5], v[146:147]
	v_add_f64_e32 v[8:9], v[8:9], v[148:149]
	v_fmac_f64_e32 v[142:143], v[88:89], v[102:103]
	v_fma_f64 v[148:149], v[86:87], v[102:103], -v[104:105]
	ds_load_b128 v[86:89], v2 offset:848
	s_wait_loadcnt_dscnt 0xb01
	v_mul_f64_e32 v[146:147], v[138:139], v[108:109]
	v_mul_f64_e32 v[108:109], v[140:141], v[108:109]
	scratch_load_b128 v[102:105], off, off offset:464
	v_add_f64_e32 v[4:5], v[4:5], v[130:131]
	v_add_f64_e32 v[8:9], v[8:9], v[144:145]
	s_wait_loadcnt_dscnt 0xb00
	v_mul_f64_e32 v[144:145], v[86:87], v[112:113]
	v_mul_f64_e32 v[112:113], v[88:89], v[112:113]
	ds_load_b128 v[130:133], v2 offset:864
	;; [unrolled: 18-line block ×3, first 2 shown]
	v_fmac_f64_e32 v[142:143], v[132:133], v[114:115]
	v_fma_f64 v[130:131], v[130:131], v[114:115], -v[116:117]
	scratch_load_b128 v[114:117], off, off offset:512
	v_add_f64_e32 v[4:5], v[4:5], v[148:149]
	v_add_f64_e32 v[8:9], v[8:9], v[144:145]
	v_fmac_f64_e32 v[146:147], v[88:89], v[122:123]
	v_fma_f64 v[148:149], v[86:87], v[122:123], -v[124:125]
	ds_load_b128 v[86:89], v2 offset:912
	s_wait_loadcnt_dscnt 0x901
	v_mul_f64_e32 v[144:145], v[138:139], v[12:13]
	v_mul_f64_e32 v[12:13], v[140:141], v[12:13]
	scratch_load_b128 v[122:125], off, off offset:528
	v_add_f64_e32 v[4:5], v[4:5], v[130:131]
	v_add_f64_e32 v[8:9], v[8:9], v[142:143]
	s_wait_dscnt 0x0
	v_mul_f64_e32 v[142:143], v[86:87], v[136:137]
	v_mul_f64_e32 v[136:137], v[88:89], v[136:137]
	ds_load_b128 v[130:133], v2 offset:928
	v_fmac_f64_e32 v[144:145], v[140:141], v[10:11]
	v_fma_f64 v[10:11], v[138:139], v[10:11], -v[12:13]
	v_add_f64_e32 v[4:5], v[4:5], v[148:149]
	v_add_f64_e32 v[8:9], v[8:9], v[146:147]
	s_wait_loadcnt_dscnt 0x900
	v_mul_f64_e32 v[12:13], v[130:131], v[84:85]
	v_mul_f64_e32 v[138:139], v[132:133], v[84:85]
	v_fmac_f64_e32 v[142:143], v[88:89], v[134:135]
	v_fma_f64 v[88:89], v[86:87], v[134:135], -v[136:137]
	v_add_f64_e32 v[4:5], v[4:5], v[10:11]
	v_add_f64_e32 v[134:135], v[8:9], v[144:145]
	ds_load_b128 v[8:11], v2 offset:944
	ds_load_b128 v[84:87], v2 offset:960
	v_fmac_f64_e32 v[12:13], v[132:133], v[82:83]
	v_fma_f64 v[82:83], v[130:131], v[82:83], -v[138:139]
	s_wait_loadcnt_dscnt 0x801
	v_mul_f64_e32 v[136:137], v[8:9], v[120:121]
	v_mul_f64_e32 v[120:121], v[10:11], v[120:121]
	s_wait_loadcnt_dscnt 0x700
	v_mul_f64_e32 v[130:131], v[84:85], v[92:93]
	v_mul_f64_e32 v[92:93], v[86:87], v[92:93]
	v_add_f64_e32 v[4:5], v[4:5], v[88:89]
	v_add_f64_e32 v[88:89], v[134:135], v[142:143]
	v_fmac_f64_e32 v[136:137], v[10:11], v[118:119]
	v_fma_f64 v[132:133], v[8:9], v[118:119], -v[120:121]
	ds_load_b128 v[8:11], v2 offset:976
	ds_load_b128 v[118:121], v2 offset:992
	v_fmac_f64_e32 v[130:131], v[86:87], v[90:91]
	v_fma_f64 v[84:85], v[84:85], v[90:91], -v[92:93]
	v_add_f64_e32 v[4:5], v[4:5], v[82:83]
	v_add_f64_e32 v[12:13], v[88:89], v[12:13]
	s_wait_loadcnt_dscnt 0x601
	v_mul_f64_e32 v[88:89], v[8:9], v[96:97]
	v_mul_f64_e32 v[82:83], v[10:11], v[96:97]
	s_wait_loadcnt_dscnt 0x500
	v_mul_f64_e32 v[86:87], v[118:119], v[100:101]
	v_mul_f64_e32 v[90:91], v[120:121], v[100:101]
	v_add_f64_e32 v[4:5], v[4:5], v[132:133]
	v_add_f64_e32 v[12:13], v[12:13], v[136:137]
	v_fmac_f64_e32 v[88:89], v[10:11], v[94:95]
	v_fma_f64 v[92:93], v[8:9], v[94:95], -v[82:83]
	v_fmac_f64_e32 v[86:87], v[120:121], v[98:99]
	v_fma_f64 v[90:91], v[118:119], v[98:99], -v[90:91]
	v_add_f64_e32 v[4:5], v[4:5], v[84:85]
	v_add_f64_e32 v[12:13], v[12:13], v[130:131]
	ds_load_b128 v[8:11], v2 offset:1008
	ds_load_b128 v[82:85], v2 offset:1024
	s_wait_loadcnt_dscnt 0x401
	v_mul_f64_e32 v[94:95], v[8:9], v[104:105]
	v_mul_f64_e32 v[96:97], v[10:11], v[104:105]
	s_wait_loadcnt_dscnt 0x300
	v_mul_f64_e32 v[98:99], v[84:85], v[108:109]
	v_add_f64_e32 v[4:5], v[4:5], v[92:93]
	v_add_f64_e32 v[12:13], v[12:13], v[88:89]
	v_mul_f64_e32 v[92:93], v[82:83], v[108:109]
	v_fmac_f64_e32 v[94:95], v[10:11], v[102:103]
	v_fma_f64 v[96:97], v[8:9], v[102:103], -v[96:97]
	v_fma_f64 v[82:83], v[82:83], v[106:107], -v[98:99]
	v_add_f64_e32 v[4:5], v[4:5], v[90:91]
	v_add_f64_e32 v[12:13], v[12:13], v[86:87]
	ds_load_b128 v[8:11], v2 offset:1040
	ds_load_b128 v[86:89], v2 offset:1056
	v_fmac_f64_e32 v[92:93], v[84:85], v[106:107]
	s_wait_loadcnt_dscnt 0x201
	v_mul_f64_e32 v[90:91], v[8:9], v[112:113]
	v_mul_f64_e32 v[100:101], v[10:11], v[112:113]
	s_wait_loadcnt_dscnt 0x100
	v_mul_f64_e32 v[84:85], v[86:87], v[116:117]
	v_add_f64_e32 v[4:5], v[4:5], v[96:97]
	v_add_f64_e32 v[12:13], v[12:13], v[94:95]
	v_mul_f64_e32 v[94:95], v[88:89], v[116:117]
	v_fmac_f64_e32 v[90:91], v[10:11], v[110:111]
	v_fma_f64 v[96:97], v[8:9], v[110:111], -v[100:101]
	ds_load_b128 v[8:11], v2 offset:1072
	v_fmac_f64_e32 v[84:85], v[88:89], v[114:115]
	v_add_f64_e32 v[4:5], v[4:5], v[82:83]
	v_add_f64_e32 v[12:13], v[12:13], v[92:93]
	v_fma_f64 v[86:87], v[86:87], v[114:115], -v[94:95]
	s_wait_loadcnt_dscnt 0x0
	v_mul_f64_e32 v[82:83], v[8:9], v[124:125]
	v_mul_f64_e32 v[92:93], v[10:11], v[124:125]
	v_add_f64_e32 v[4:5], v[4:5], v[96:97]
	v_add_f64_e32 v[12:13], v[12:13], v[90:91]
	s_delay_alu instid0(VALU_DEP_4) | instskip(NEXT) | instid1(VALU_DEP_4)
	v_fmac_f64_e32 v[82:83], v[10:11], v[122:123]
	v_fma_f64 v[8:9], v[8:9], v[122:123], -v[92:93]
	s_delay_alu instid0(VALU_DEP_4) | instskip(NEXT) | instid1(VALU_DEP_4)
	v_add_f64_e32 v[4:5], v[4:5], v[86:87]
	v_add_f64_e32 v[10:11], v[12:13], v[84:85]
	s_delay_alu instid0(VALU_DEP_2) | instskip(NEXT) | instid1(VALU_DEP_2)
	v_add_f64_e32 v[4:5], v[4:5], v[8:9]
	v_add_f64_e32 v[10:11], v[10:11], v[82:83]
	s_delay_alu instid0(VALU_DEP_2) | instskip(NEXT) | instid1(VALU_DEP_2)
	v_add_f64_e64 v[8:9], v[126:127], -v[4:5]
	v_add_f64_e64 v[10:11], v[128:129], -v[10:11]
	scratch_store_b128 off, v[8:11], off offset:160
	s_wait_xcnt 0x0
	v_cmpx_lt_u32_e32 9, v1
	s_cbranch_execz .LBB33_199
; %bb.198:
	scratch_load_b128 v[8:11], off, s36
	v_dual_mov_b32 v3, v2 :: v_dual_mov_b32 v4, v2
	v_mov_b32_e32 v5, v2
	scratch_store_b128 off, v[2:5], off offset:144
	s_wait_loadcnt 0x0
	ds_store_b128 v6, v[8:11]
.LBB33_199:
	s_wait_xcnt 0x0
	s_or_b32 exec_lo, exec_lo, s2
	s_wait_storecnt_dscnt 0x0
	s_barrier_signal -1
	s_barrier_wait -1
	s_clause 0x9
	scratch_load_b128 v[8:11], off, off offset:160
	scratch_load_b128 v[82:85], off, off offset:176
	;; [unrolled: 1-line block ×10, first 2 shown]
	ds_load_b128 v[118:121], v2 offset:704
	ds_load_b128 v[126:129], v2 offset:720
	s_clause 0x1
	scratch_load_b128 v[122:125], off, off offset:320
	scratch_load_b128 v[130:133], off, off offset:144
	s_mov_b32 s2, exec_lo
	s_wait_loadcnt_dscnt 0xb01
	v_mul_f64_e32 v[4:5], v[120:121], v[10:11]
	v_mul_f64_e32 v[142:143], v[118:119], v[10:11]
	scratch_load_b128 v[10:13], off, off offset:336
	s_wait_loadcnt_dscnt 0xb00
	v_mul_f64_e32 v[144:145], v[126:127], v[84:85]
	v_mul_f64_e32 v[84:85], v[128:129], v[84:85]
	v_fma_f64 v[4:5], v[118:119], v[8:9], -v[4:5]
	v_fmac_f64_e32 v[142:143], v[120:121], v[8:9]
	ds_load_b128 v[118:121], v2 offset:736
	ds_load_b128 v[134:137], v2 offset:752
	scratch_load_b128 v[138:141], off, off offset:352
	v_fmac_f64_e32 v[144:145], v[128:129], v[82:83]
	v_fma_f64 v[126:127], v[126:127], v[82:83], -v[84:85]
	scratch_load_b128 v[82:85], off, off offset:368
	s_wait_loadcnt_dscnt 0xc01
	v_mul_f64_e32 v[8:9], v[118:119], v[88:89]
	v_mul_f64_e32 v[88:89], v[120:121], v[88:89]
	v_add_f64_e32 v[4:5], 0, v[4:5]
	v_add_f64_e32 v[128:129], 0, v[142:143]
	s_wait_loadcnt_dscnt 0xb00
	v_mul_f64_e32 v[142:143], v[134:135], v[92:93]
	v_mul_f64_e32 v[92:93], v[136:137], v[92:93]
	v_fmac_f64_e32 v[8:9], v[120:121], v[86:87]
	v_fma_f64 v[146:147], v[118:119], v[86:87], -v[88:89]
	ds_load_b128 v[86:89], v2 offset:768
	ds_load_b128 v[118:121], v2 offset:784
	v_add_f64_e32 v[4:5], v[4:5], v[126:127]
	v_add_f64_e32 v[144:145], v[128:129], v[144:145]
	scratch_load_b128 v[126:129], off, off offset:384
	v_fmac_f64_e32 v[142:143], v[136:137], v[90:91]
	v_fma_f64 v[134:135], v[134:135], v[90:91], -v[92:93]
	scratch_load_b128 v[90:93], off, off offset:400
	s_wait_loadcnt_dscnt 0xc01
	v_mul_f64_e32 v[148:149], v[86:87], v[96:97]
	v_mul_f64_e32 v[96:97], v[88:89], v[96:97]
	v_add_f64_e32 v[4:5], v[4:5], v[146:147]
	v_add_f64_e32 v[8:9], v[144:145], v[8:9]
	s_wait_loadcnt_dscnt 0xb00
	v_mul_f64_e32 v[144:145], v[118:119], v[100:101]
	v_mul_f64_e32 v[100:101], v[120:121], v[100:101]
	v_fmac_f64_e32 v[148:149], v[88:89], v[94:95]
	v_fma_f64 v[146:147], v[86:87], v[94:95], -v[96:97]
	ds_load_b128 v[86:89], v2 offset:800
	ds_load_b128 v[94:97], v2 offset:816
	v_add_f64_e32 v[4:5], v[4:5], v[134:135]
	v_add_f64_e32 v[8:9], v[8:9], v[142:143]
	scratch_load_b128 v[134:137], off, off offset:416
	s_wait_loadcnt_dscnt 0xb01
	v_mul_f64_e32 v[142:143], v[86:87], v[104:105]
	v_mul_f64_e32 v[104:105], v[88:89], v[104:105]
	v_fmac_f64_e32 v[144:145], v[120:121], v[98:99]
	v_fma_f64 v[118:119], v[118:119], v[98:99], -v[100:101]
	scratch_load_b128 v[98:101], off, off offset:432
	v_add_f64_e32 v[4:5], v[4:5], v[146:147]
	v_add_f64_e32 v[8:9], v[8:9], v[148:149]
	s_wait_loadcnt_dscnt 0xb00
	v_mul_f64_e32 v[146:147], v[94:95], v[108:109]
	v_mul_f64_e32 v[108:109], v[96:97], v[108:109]
	v_fmac_f64_e32 v[142:143], v[88:89], v[102:103]
	v_fma_f64 v[148:149], v[86:87], v[102:103], -v[104:105]
	ds_load_b128 v[86:89], v2 offset:832
	ds_load_b128 v[102:105], v2 offset:848
	v_add_f64_e32 v[4:5], v[4:5], v[118:119]
	v_add_f64_e32 v[8:9], v[8:9], v[144:145]
	scratch_load_b128 v[118:121], off, off offset:448
	s_wait_loadcnt_dscnt 0xb01
	v_mul_f64_e32 v[144:145], v[86:87], v[112:113]
	v_mul_f64_e32 v[112:113], v[88:89], v[112:113]
	v_fmac_f64_e32 v[146:147], v[96:97], v[106:107]
	v_fma_f64 v[106:107], v[94:95], v[106:107], -v[108:109]
	scratch_load_b128 v[94:97], off, off offset:464
	v_add_f64_e32 v[4:5], v[4:5], v[148:149]
	v_add_f64_e32 v[8:9], v[8:9], v[142:143]
	s_wait_loadcnt_dscnt 0xb00
	v_mul_f64_e32 v[142:143], v[102:103], v[116:117]
	v_mul_f64_e32 v[116:117], v[104:105], v[116:117]
	v_fmac_f64_e32 v[144:145], v[88:89], v[110:111]
	v_fma_f64 v[148:149], v[86:87], v[110:111], -v[112:113]
	v_add_f64_e32 v[4:5], v[4:5], v[106:107]
	v_add_f64_e32 v[8:9], v[8:9], v[146:147]
	ds_load_b128 v[86:89], v2 offset:864
	ds_load_b128 v[106:109], v2 offset:880
	scratch_load_b128 v[110:113], off, off offset:480
	v_fmac_f64_e32 v[142:143], v[104:105], v[114:115]
	v_fma_f64 v[114:115], v[102:103], v[114:115], -v[116:117]
	scratch_load_b128 v[102:105], off, off offset:496
	s_wait_loadcnt_dscnt 0xc01
	v_mul_f64_e32 v[146:147], v[86:87], v[124:125]
	v_mul_f64_e32 v[124:125], v[88:89], v[124:125]
	v_add_f64_e32 v[4:5], v[4:5], v[148:149]
	v_add_f64_e32 v[8:9], v[8:9], v[144:145]
	s_wait_loadcnt_dscnt 0xa00
	v_mul_f64_e32 v[144:145], v[106:107], v[12:13]
	v_mul_f64_e32 v[12:13], v[108:109], v[12:13]
	v_fmac_f64_e32 v[146:147], v[88:89], v[122:123]
	v_fma_f64 v[148:149], v[86:87], v[122:123], -v[124:125]
	v_add_f64_e32 v[4:5], v[4:5], v[114:115]
	v_add_f64_e32 v[8:9], v[8:9], v[142:143]
	ds_load_b128 v[86:89], v2 offset:896
	ds_load_b128 v[114:117], v2 offset:912
	scratch_load_b128 v[122:125], off, off offset:512
	v_fmac_f64_e32 v[144:145], v[108:109], v[10:11]
	v_fma_f64 v[12:13], v[106:107], v[10:11], -v[12:13]
	s_wait_loadcnt_dscnt 0xa01
	v_mul_f64_e32 v[142:143], v[86:87], v[140:141]
	v_mul_f64_e32 v[140:141], v[88:89], v[140:141]
	v_add_f64_e32 v[4:5], v[4:5], v[148:149]
	v_add_f64_e32 v[106:107], v[8:9], v[146:147]
	scratch_load_b128 v[8:11], off, off offset:528
	s_wait_loadcnt_dscnt 0xa00
	v_mul_f64_e32 v[146:147], v[114:115], v[84:85]
	v_mul_f64_e32 v[148:149], v[116:117], v[84:85]
	v_fmac_f64_e32 v[142:143], v[88:89], v[138:139]
	v_fma_f64 v[88:89], v[86:87], v[138:139], -v[140:141]
	v_add_f64_e32 v[4:5], v[4:5], v[12:13]
	v_add_f64_e32 v[12:13], v[106:107], v[144:145]
	ds_load_b128 v[84:87], v2 offset:928
	ds_load_b128 v[106:109], v2 offset:944
	v_fmac_f64_e32 v[146:147], v[116:117], v[82:83]
	v_fma_f64 v[82:83], v[114:115], v[82:83], -v[148:149]
	s_wait_loadcnt_dscnt 0x901
	v_mul_f64_e32 v[138:139], v[84:85], v[128:129]
	v_mul_f64_e32 v[128:129], v[86:87], v[128:129]
	s_wait_loadcnt_dscnt 0x800
	v_mul_f64_e32 v[114:115], v[106:107], v[92:93]
	v_mul_f64_e32 v[92:93], v[108:109], v[92:93]
	v_add_f64_e32 v[4:5], v[4:5], v[88:89]
	v_add_f64_e32 v[12:13], v[12:13], v[142:143]
	v_fmac_f64_e32 v[138:139], v[86:87], v[126:127]
	v_fma_f64 v[116:117], v[84:85], v[126:127], -v[128:129]
	v_fmac_f64_e32 v[114:115], v[108:109], v[90:91]
	v_fma_f64 v[90:91], v[106:107], v[90:91], -v[92:93]
	v_add_f64_e32 v[4:5], v[4:5], v[82:83]
	v_add_f64_e32 v[12:13], v[12:13], v[146:147]
	ds_load_b128 v[82:85], v2 offset:960
	ds_load_b128 v[86:89], v2 offset:976
	s_wait_loadcnt_dscnt 0x701
	v_mul_f64_e32 v[126:127], v[82:83], v[136:137]
	v_mul_f64_e32 v[128:129], v[84:85], v[136:137]
	s_wait_loadcnt_dscnt 0x600
	v_mul_f64_e32 v[106:107], v[86:87], v[100:101]
	v_mul_f64_e32 v[100:101], v[88:89], v[100:101]
	v_add_f64_e32 v[4:5], v[4:5], v[116:117]
	v_add_f64_e32 v[12:13], v[12:13], v[138:139]
	v_fmac_f64_e32 v[126:127], v[84:85], v[134:135]
	v_fma_f64 v[108:109], v[82:83], v[134:135], -v[128:129]
	v_fmac_f64_e32 v[106:107], v[88:89], v[98:99]
	v_fma_f64 v[86:87], v[86:87], v[98:99], -v[100:101]
	v_add_f64_e32 v[4:5], v[4:5], v[90:91]
	v_add_f64_e32 v[12:13], v[12:13], v[114:115]
	ds_load_b128 v[82:85], v2 offset:992
	ds_load_b128 v[90:93], v2 offset:1008
	;; [unrolled: 16-line block ×4, first 2 shown]
	s_wait_loadcnt_dscnt 0x101
	v_mul_f64_e32 v[98:99], v[82:83], v[124:125]
	v_mul_f64_e32 v[100:101], v[84:85], v[124:125]
	v_add_f64_e32 v[88:89], v[90:91], v[96:97]
	v_add_f64_e32 v[12:13], v[12:13], v[106:107]
	s_wait_loadcnt_dscnt 0x0
	v_mul_f64_e32 v[90:91], v[2:3], v[10:11]
	v_mul_f64_e32 v[10:11], v[4:5], v[10:11]
	v_fmac_f64_e32 v[98:99], v[84:85], v[122:123]
	v_fma_f64 v[82:83], v[82:83], v[122:123], -v[100:101]
	v_add_f64_e32 v[84:85], v[88:89], v[86:87]
	v_add_f64_e32 v[12:13], v[12:13], v[92:93]
	v_fmac_f64_e32 v[90:91], v[4:5], v[8:9]
	v_fma_f64 v[2:3], v[2:3], v[8:9], -v[10:11]
	s_delay_alu instid0(VALU_DEP_4) | instskip(NEXT) | instid1(VALU_DEP_4)
	v_add_f64_e32 v[4:5], v[84:85], v[82:83]
	v_add_f64_e32 v[8:9], v[12:13], v[98:99]
	s_delay_alu instid0(VALU_DEP_2) | instskip(NEXT) | instid1(VALU_DEP_2)
	v_add_f64_e32 v[2:3], v[4:5], v[2:3]
	v_add_f64_e32 v[4:5], v[8:9], v[90:91]
	s_delay_alu instid0(VALU_DEP_2) | instskip(NEXT) | instid1(VALU_DEP_2)
	v_add_f64_e64 v[2:3], v[130:131], -v[2:3]
	v_add_f64_e64 v[4:5], v[132:133], -v[4:5]
	scratch_store_b128 off, v[2:5], off offset:144
	s_wait_xcnt 0x0
	v_cmpx_lt_u32_e32 8, v1
	s_cbranch_execz .LBB33_201
; %bb.200:
	scratch_load_b128 v[2:5], off, s35
	v_mov_b32_e32 v8, 0
	s_delay_alu instid0(VALU_DEP_1)
	v_dual_mov_b32 v9, v8 :: v_dual_mov_b32 v10, v8
	v_mov_b32_e32 v11, v8
	scratch_store_b128 off, v[8:11], off offset:128
	s_wait_loadcnt 0x0
	ds_store_b128 v6, v[2:5]
.LBB33_201:
	s_wait_xcnt 0x0
	s_or_b32 exec_lo, exec_lo, s2
	s_wait_storecnt_dscnt 0x0
	s_barrier_signal -1
	s_barrier_wait -1
	s_clause 0x9
	scratch_load_b128 v[8:11], off, off offset:144
	scratch_load_b128 v[82:85], off, off offset:160
	;; [unrolled: 1-line block ×10, first 2 shown]
	v_mov_b32_e32 v2, 0
	s_mov_b32 s2, exec_lo
	ds_load_b128 v[118:121], v2 offset:688
	s_clause 0x2
	scratch_load_b128 v[122:125], off, off offset:304
	scratch_load_b128 v[126:129], off, off offset:128
	;; [unrolled: 1-line block ×3, first 2 shown]
	s_wait_loadcnt_dscnt 0xc00
	v_mul_f64_e32 v[4:5], v[120:121], v[10:11]
	v_mul_f64_e32 v[142:143], v[118:119], v[10:11]
	ds_load_b128 v[130:133], v2 offset:704
	scratch_load_b128 v[10:13], off, off offset:320
	ds_load_b128 v[138:141], v2 offset:736
	v_fma_f64 v[4:5], v[118:119], v[8:9], -v[4:5]
	v_fmac_f64_e32 v[142:143], v[120:121], v[8:9]
	ds_load_b128 v[118:121], v2 offset:720
	s_wait_loadcnt_dscnt 0xc02
	v_mul_f64_e32 v[144:145], v[130:131], v[84:85]
	v_mul_f64_e32 v[84:85], v[132:133], v[84:85]
	s_wait_loadcnt_dscnt 0xb00
	v_mul_f64_e32 v[8:9], v[118:119], v[88:89]
	v_mul_f64_e32 v[88:89], v[120:121], v[88:89]
	v_add_f64_e32 v[4:5], 0, v[4:5]
	v_fmac_f64_e32 v[144:145], v[132:133], v[82:83]
	v_fma_f64 v[130:131], v[130:131], v[82:83], -v[84:85]
	v_add_f64_e32 v[132:133], 0, v[142:143]
	scratch_load_b128 v[82:85], off, off offset:352
	v_fmac_f64_e32 v[8:9], v[120:121], v[86:87]
	v_fma_f64 v[146:147], v[118:119], v[86:87], -v[88:89]
	ds_load_b128 v[86:89], v2 offset:752
	s_wait_loadcnt 0xb
	v_mul_f64_e32 v[142:143], v[138:139], v[92:93]
	v_mul_f64_e32 v[92:93], v[140:141], v[92:93]
	scratch_load_b128 v[118:121], off, off offset:368
	v_add_f64_e32 v[4:5], v[4:5], v[130:131]
	v_add_f64_e32 v[144:145], v[132:133], v[144:145]
	ds_load_b128 v[130:133], v2 offset:768
	s_wait_loadcnt_dscnt 0xb01
	v_mul_f64_e32 v[148:149], v[86:87], v[96:97]
	v_mul_f64_e32 v[96:97], v[88:89], v[96:97]
	v_fmac_f64_e32 v[142:143], v[140:141], v[90:91]
	v_fma_f64 v[138:139], v[138:139], v[90:91], -v[92:93]
	scratch_load_b128 v[90:93], off, off offset:384
	v_add_f64_e32 v[4:5], v[4:5], v[146:147]
	v_add_f64_e32 v[8:9], v[144:145], v[8:9]
	v_fmac_f64_e32 v[148:149], v[88:89], v[94:95]
	v_fma_f64 v[146:147], v[86:87], v[94:95], -v[96:97]
	ds_load_b128 v[86:89], v2 offset:784
	s_wait_loadcnt_dscnt 0xb01
	v_mul_f64_e32 v[144:145], v[130:131], v[100:101]
	v_mul_f64_e32 v[100:101], v[132:133], v[100:101]
	scratch_load_b128 v[94:97], off, off offset:400
	v_add_f64_e32 v[4:5], v[4:5], v[138:139]
	v_add_f64_e32 v[8:9], v[8:9], v[142:143]
	s_wait_loadcnt_dscnt 0xb00
	v_mul_f64_e32 v[142:143], v[86:87], v[104:105]
	v_mul_f64_e32 v[104:105], v[88:89], v[104:105]
	ds_load_b128 v[138:141], v2 offset:800
	v_fmac_f64_e32 v[144:145], v[132:133], v[98:99]
	v_fma_f64 v[130:131], v[130:131], v[98:99], -v[100:101]
	scratch_load_b128 v[98:101], off, off offset:416
	v_add_f64_e32 v[4:5], v[4:5], v[146:147]
	v_add_f64_e32 v[8:9], v[8:9], v[148:149]
	v_fmac_f64_e32 v[142:143], v[88:89], v[102:103]
	v_fma_f64 v[148:149], v[86:87], v[102:103], -v[104:105]
	ds_load_b128 v[86:89], v2 offset:816
	s_wait_loadcnt_dscnt 0xb01
	v_mul_f64_e32 v[146:147], v[138:139], v[108:109]
	v_mul_f64_e32 v[108:109], v[140:141], v[108:109]
	scratch_load_b128 v[102:105], off, off offset:432
	v_add_f64_e32 v[4:5], v[4:5], v[130:131]
	v_add_f64_e32 v[8:9], v[8:9], v[144:145]
	s_wait_loadcnt_dscnt 0xb00
	v_mul_f64_e32 v[144:145], v[86:87], v[112:113]
	v_mul_f64_e32 v[112:113], v[88:89], v[112:113]
	ds_load_b128 v[130:133], v2 offset:832
	;; [unrolled: 18-line block ×3, first 2 shown]
	v_fmac_f64_e32 v[142:143], v[132:133], v[114:115]
	v_fma_f64 v[130:131], v[130:131], v[114:115], -v[116:117]
	scratch_load_b128 v[114:117], off, off offset:480
	v_add_f64_e32 v[4:5], v[4:5], v[148:149]
	v_add_f64_e32 v[8:9], v[8:9], v[144:145]
	v_fmac_f64_e32 v[146:147], v[88:89], v[122:123]
	v_fma_f64 v[148:149], v[86:87], v[122:123], -v[124:125]
	ds_load_b128 v[86:89], v2 offset:880
	s_wait_loadcnt_dscnt 0x901
	v_mul_f64_e32 v[144:145], v[138:139], v[12:13]
	v_mul_f64_e32 v[12:13], v[140:141], v[12:13]
	scratch_load_b128 v[122:125], off, off offset:496
	v_add_f64_e32 v[4:5], v[4:5], v[130:131]
	v_add_f64_e32 v[8:9], v[8:9], v[142:143]
	s_wait_dscnt 0x0
	v_mul_f64_e32 v[142:143], v[86:87], v[136:137]
	v_mul_f64_e32 v[136:137], v[88:89], v[136:137]
	ds_load_b128 v[130:133], v2 offset:896
	v_fmac_f64_e32 v[144:145], v[140:141], v[10:11]
	v_fma_f64 v[12:13], v[138:139], v[10:11], -v[12:13]
	v_add_f64_e32 v[4:5], v[4:5], v[148:149]
	v_add_f64_e32 v[138:139], v[8:9], v[146:147]
	scratch_load_b128 v[8:11], off, off offset:512
	v_fmac_f64_e32 v[142:143], v[88:89], v[134:135]
	v_fma_f64 v[88:89], v[86:87], v[134:135], -v[136:137]
	scratch_load_b128 v[134:137], off, off offset:528
	v_add_f64_e32 v[4:5], v[4:5], v[12:13]
	v_add_f64_e32 v[12:13], v[138:139], v[144:145]
	ds_load_b128 v[138:141], v2 offset:928
	s_wait_loadcnt_dscnt 0xb01
	v_mul_f64_e32 v[146:147], v[130:131], v[84:85]
	v_mul_f64_e32 v[148:149], v[132:133], v[84:85]
	ds_load_b128 v[84:87], v2 offset:912
	s_wait_loadcnt_dscnt 0xa00
	v_mul_f64_e32 v[144:145], v[84:85], v[120:121]
	v_mul_f64_e32 v[120:121], v[86:87], v[120:121]
	v_add_f64_e32 v[4:5], v[4:5], v[88:89]
	v_add_f64_e32 v[12:13], v[12:13], v[142:143]
	v_fmac_f64_e32 v[146:147], v[132:133], v[82:83]
	v_fma_f64 v[82:83], v[130:131], v[82:83], -v[148:149]
	s_wait_loadcnt 0x9
	v_mul_f64_e32 v[130:131], v[138:139], v[92:93]
	v_mul_f64_e32 v[92:93], v[140:141], v[92:93]
	v_fmac_f64_e32 v[144:145], v[86:87], v[118:119]
	v_fma_f64 v[118:119], v[84:85], v[118:119], -v[120:121]
	v_add_f64_e32 v[12:13], v[12:13], v[146:147]
	v_add_f64_e32 v[4:5], v[4:5], v[82:83]
	ds_load_b128 v[82:85], v2 offset:944
	ds_load_b128 v[86:89], v2 offset:960
	v_fmac_f64_e32 v[130:131], v[140:141], v[90:91]
	v_fma_f64 v[90:91], v[138:139], v[90:91], -v[92:93]
	s_wait_loadcnt_dscnt 0x801
	v_mul_f64_e32 v[120:121], v[82:83], v[96:97]
	v_mul_f64_e32 v[96:97], v[84:85], v[96:97]
	v_add_f64_e32 v[12:13], v[12:13], v[144:145]
	v_add_f64_e32 v[4:5], v[4:5], v[118:119]
	s_wait_loadcnt_dscnt 0x700
	v_mul_f64_e32 v[118:119], v[86:87], v[100:101]
	v_mul_f64_e32 v[100:101], v[88:89], v[100:101]
	v_fmac_f64_e32 v[120:121], v[84:85], v[94:95]
	v_fma_f64 v[94:95], v[82:83], v[94:95], -v[96:97]
	v_add_f64_e32 v[12:13], v[12:13], v[130:131]
	v_add_f64_e32 v[4:5], v[4:5], v[90:91]
	ds_load_b128 v[82:85], v2 offset:976
	ds_load_b128 v[90:93], v2 offset:992
	v_fmac_f64_e32 v[118:119], v[88:89], v[98:99]
	v_fma_f64 v[86:87], v[86:87], v[98:99], -v[100:101]
	s_wait_loadcnt_dscnt 0x601
	v_mul_f64_e32 v[96:97], v[82:83], v[104:105]
	v_mul_f64_e32 v[104:105], v[84:85], v[104:105]
	s_wait_loadcnt_dscnt 0x500
	v_mul_f64_e32 v[98:99], v[92:93], v[108:109]
	v_add_f64_e32 v[12:13], v[12:13], v[120:121]
	v_add_f64_e32 v[4:5], v[4:5], v[94:95]
	v_mul_f64_e32 v[94:95], v[90:91], v[108:109]
	v_fmac_f64_e32 v[96:97], v[84:85], v[102:103]
	v_fma_f64 v[100:101], v[82:83], v[102:103], -v[104:105]
	v_fma_f64 v[90:91], v[90:91], v[106:107], -v[98:99]
	v_add_f64_e32 v[12:13], v[12:13], v[118:119]
	v_add_f64_e32 v[4:5], v[4:5], v[86:87]
	ds_load_b128 v[82:85], v2 offset:1008
	ds_load_b128 v[86:89], v2 offset:1024
	v_fmac_f64_e32 v[94:95], v[92:93], v[106:107]
	s_wait_loadcnt_dscnt 0x401
	v_mul_f64_e32 v[102:103], v[82:83], v[112:113]
	v_mul_f64_e32 v[104:105], v[84:85], v[112:113]
	s_wait_loadcnt_dscnt 0x300
	v_mul_f64_e32 v[98:99], v[88:89], v[116:117]
	v_add_f64_e32 v[12:13], v[12:13], v[96:97]
	v_add_f64_e32 v[4:5], v[4:5], v[100:101]
	v_mul_f64_e32 v[96:97], v[86:87], v[116:117]
	v_fmac_f64_e32 v[102:103], v[84:85], v[110:111]
	v_fma_f64 v[100:101], v[82:83], v[110:111], -v[104:105]
	v_fma_f64 v[86:87], v[86:87], v[114:115], -v[98:99]
	v_add_f64_e32 v[12:13], v[12:13], v[94:95]
	v_add_f64_e32 v[4:5], v[4:5], v[90:91]
	ds_load_b128 v[82:85], v2 offset:1040
	ds_load_b128 v[90:93], v2 offset:1056
	v_fmac_f64_e32 v[96:97], v[88:89], v[114:115]
	s_wait_loadcnt_dscnt 0x201
	v_mul_f64_e32 v[94:95], v[82:83], v[124:125]
	v_mul_f64_e32 v[104:105], v[84:85], v[124:125]
	s_wait_loadcnt_dscnt 0x100
	v_mul_f64_e32 v[88:89], v[90:91], v[10:11]
	v_add_f64_e32 v[12:13], v[12:13], v[102:103]
	v_add_f64_e32 v[4:5], v[4:5], v[100:101]
	v_mul_f64_e32 v[98:99], v[92:93], v[10:11]
	v_fmac_f64_e32 v[94:95], v[84:85], v[122:123]
	v_fma_f64 v[82:83], v[82:83], v[122:123], -v[104:105]
	v_fmac_f64_e32 v[88:89], v[92:93], v[8:9]
	v_add_f64_e32 v[84:85], v[12:13], v[96:97]
	v_add_f64_e32 v[4:5], v[4:5], v[86:87]
	ds_load_b128 v[10:13], v2 offset:1072
	v_fma_f64 v[8:9], v[90:91], v[8:9], -v[98:99]
	s_wait_loadcnt_dscnt 0x0
	v_mul_f64_e32 v[86:87], v[10:11], v[136:137]
	v_mul_f64_e32 v[96:97], v[12:13], v[136:137]
	v_add_f64_e32 v[4:5], v[4:5], v[82:83]
	v_add_f64_e32 v[82:83], v[84:85], v[94:95]
	s_delay_alu instid0(VALU_DEP_4) | instskip(NEXT) | instid1(VALU_DEP_4)
	v_fmac_f64_e32 v[86:87], v[12:13], v[134:135]
	v_fma_f64 v[10:11], v[10:11], v[134:135], -v[96:97]
	s_delay_alu instid0(VALU_DEP_4) | instskip(NEXT) | instid1(VALU_DEP_4)
	v_add_f64_e32 v[4:5], v[4:5], v[8:9]
	v_add_f64_e32 v[8:9], v[82:83], v[88:89]
	s_delay_alu instid0(VALU_DEP_2) | instskip(NEXT) | instid1(VALU_DEP_2)
	v_add_f64_e32 v[4:5], v[4:5], v[10:11]
	v_add_f64_e32 v[10:11], v[8:9], v[86:87]
	s_delay_alu instid0(VALU_DEP_2) | instskip(NEXT) | instid1(VALU_DEP_2)
	v_add_f64_e64 v[8:9], v[126:127], -v[4:5]
	v_add_f64_e64 v[10:11], v[128:129], -v[10:11]
	scratch_store_b128 off, v[8:11], off offset:128
	s_wait_xcnt 0x0
	v_cmpx_lt_u32_e32 7, v1
	s_cbranch_execz .LBB33_203
; %bb.202:
	scratch_load_b128 v[8:11], off, s42
	v_dual_mov_b32 v3, v2 :: v_dual_mov_b32 v4, v2
	v_mov_b32_e32 v5, v2
	scratch_store_b128 off, v[2:5], off offset:112
	s_wait_loadcnt 0x0
	ds_store_b128 v6, v[8:11]
.LBB33_203:
	s_wait_xcnt 0x0
	s_or_b32 exec_lo, exec_lo, s2
	s_wait_storecnt_dscnt 0x0
	s_barrier_signal -1
	s_barrier_wait -1
	s_clause 0x9
	scratch_load_b128 v[8:11], off, off offset:128
	scratch_load_b128 v[82:85], off, off offset:144
	;; [unrolled: 1-line block ×10, first 2 shown]
	ds_load_b128 v[118:121], v2 offset:672
	ds_load_b128 v[126:129], v2 offset:688
	s_clause 0x1
	scratch_load_b128 v[122:125], off, off offset:288
	scratch_load_b128 v[130:133], off, off offset:112
	s_mov_b32 s2, exec_lo
	s_wait_loadcnt_dscnt 0xb01
	v_mul_f64_e32 v[4:5], v[120:121], v[10:11]
	v_mul_f64_e32 v[142:143], v[118:119], v[10:11]
	scratch_load_b128 v[10:13], off, off offset:304
	s_wait_loadcnt_dscnt 0xb00
	v_mul_f64_e32 v[144:145], v[126:127], v[84:85]
	v_mul_f64_e32 v[84:85], v[128:129], v[84:85]
	v_fma_f64 v[4:5], v[118:119], v[8:9], -v[4:5]
	v_fmac_f64_e32 v[142:143], v[120:121], v[8:9]
	ds_load_b128 v[118:121], v2 offset:704
	ds_load_b128 v[134:137], v2 offset:720
	scratch_load_b128 v[138:141], off, off offset:320
	v_fmac_f64_e32 v[144:145], v[128:129], v[82:83]
	v_fma_f64 v[126:127], v[126:127], v[82:83], -v[84:85]
	scratch_load_b128 v[82:85], off, off offset:336
	s_wait_loadcnt_dscnt 0xc01
	v_mul_f64_e32 v[8:9], v[118:119], v[88:89]
	v_mul_f64_e32 v[88:89], v[120:121], v[88:89]
	v_add_f64_e32 v[4:5], 0, v[4:5]
	v_add_f64_e32 v[128:129], 0, v[142:143]
	s_wait_loadcnt_dscnt 0xb00
	v_mul_f64_e32 v[142:143], v[134:135], v[92:93]
	v_mul_f64_e32 v[92:93], v[136:137], v[92:93]
	v_fmac_f64_e32 v[8:9], v[120:121], v[86:87]
	v_fma_f64 v[146:147], v[118:119], v[86:87], -v[88:89]
	ds_load_b128 v[86:89], v2 offset:736
	ds_load_b128 v[118:121], v2 offset:752
	v_add_f64_e32 v[4:5], v[4:5], v[126:127]
	v_add_f64_e32 v[144:145], v[128:129], v[144:145]
	scratch_load_b128 v[126:129], off, off offset:352
	v_fmac_f64_e32 v[142:143], v[136:137], v[90:91]
	v_fma_f64 v[134:135], v[134:135], v[90:91], -v[92:93]
	scratch_load_b128 v[90:93], off, off offset:368
	s_wait_loadcnt_dscnt 0xc01
	v_mul_f64_e32 v[148:149], v[86:87], v[96:97]
	v_mul_f64_e32 v[96:97], v[88:89], v[96:97]
	v_add_f64_e32 v[4:5], v[4:5], v[146:147]
	v_add_f64_e32 v[8:9], v[144:145], v[8:9]
	s_wait_loadcnt_dscnt 0xb00
	v_mul_f64_e32 v[144:145], v[118:119], v[100:101]
	v_mul_f64_e32 v[100:101], v[120:121], v[100:101]
	v_fmac_f64_e32 v[148:149], v[88:89], v[94:95]
	v_fma_f64 v[146:147], v[86:87], v[94:95], -v[96:97]
	ds_load_b128 v[86:89], v2 offset:768
	ds_load_b128 v[94:97], v2 offset:784
	v_add_f64_e32 v[4:5], v[4:5], v[134:135]
	v_add_f64_e32 v[8:9], v[8:9], v[142:143]
	scratch_load_b128 v[134:137], off, off offset:384
	s_wait_loadcnt_dscnt 0xb01
	v_mul_f64_e32 v[142:143], v[86:87], v[104:105]
	v_mul_f64_e32 v[104:105], v[88:89], v[104:105]
	v_fmac_f64_e32 v[144:145], v[120:121], v[98:99]
	v_fma_f64 v[118:119], v[118:119], v[98:99], -v[100:101]
	scratch_load_b128 v[98:101], off, off offset:400
	v_add_f64_e32 v[4:5], v[4:5], v[146:147]
	v_add_f64_e32 v[8:9], v[8:9], v[148:149]
	s_wait_loadcnt_dscnt 0xb00
	v_mul_f64_e32 v[146:147], v[94:95], v[108:109]
	v_mul_f64_e32 v[108:109], v[96:97], v[108:109]
	v_fmac_f64_e32 v[142:143], v[88:89], v[102:103]
	v_fma_f64 v[148:149], v[86:87], v[102:103], -v[104:105]
	ds_load_b128 v[86:89], v2 offset:800
	ds_load_b128 v[102:105], v2 offset:816
	v_add_f64_e32 v[4:5], v[4:5], v[118:119]
	v_add_f64_e32 v[8:9], v[8:9], v[144:145]
	scratch_load_b128 v[118:121], off, off offset:416
	s_wait_loadcnt_dscnt 0xb01
	v_mul_f64_e32 v[144:145], v[86:87], v[112:113]
	v_mul_f64_e32 v[112:113], v[88:89], v[112:113]
	v_fmac_f64_e32 v[146:147], v[96:97], v[106:107]
	v_fma_f64 v[106:107], v[94:95], v[106:107], -v[108:109]
	scratch_load_b128 v[94:97], off, off offset:432
	v_add_f64_e32 v[4:5], v[4:5], v[148:149]
	v_add_f64_e32 v[8:9], v[8:9], v[142:143]
	s_wait_loadcnt_dscnt 0xb00
	v_mul_f64_e32 v[142:143], v[102:103], v[116:117]
	v_mul_f64_e32 v[116:117], v[104:105], v[116:117]
	v_fmac_f64_e32 v[144:145], v[88:89], v[110:111]
	v_fma_f64 v[148:149], v[86:87], v[110:111], -v[112:113]
	v_add_f64_e32 v[4:5], v[4:5], v[106:107]
	v_add_f64_e32 v[8:9], v[8:9], v[146:147]
	ds_load_b128 v[86:89], v2 offset:832
	ds_load_b128 v[106:109], v2 offset:848
	scratch_load_b128 v[110:113], off, off offset:448
	v_fmac_f64_e32 v[142:143], v[104:105], v[114:115]
	v_fma_f64 v[114:115], v[102:103], v[114:115], -v[116:117]
	scratch_load_b128 v[102:105], off, off offset:464
	s_wait_loadcnt_dscnt 0xc01
	v_mul_f64_e32 v[146:147], v[86:87], v[124:125]
	v_mul_f64_e32 v[124:125], v[88:89], v[124:125]
	v_add_f64_e32 v[4:5], v[4:5], v[148:149]
	v_add_f64_e32 v[8:9], v[8:9], v[144:145]
	s_wait_loadcnt_dscnt 0xa00
	v_mul_f64_e32 v[144:145], v[106:107], v[12:13]
	v_mul_f64_e32 v[12:13], v[108:109], v[12:13]
	v_fmac_f64_e32 v[146:147], v[88:89], v[122:123]
	v_fma_f64 v[148:149], v[86:87], v[122:123], -v[124:125]
	v_add_f64_e32 v[4:5], v[4:5], v[114:115]
	v_add_f64_e32 v[8:9], v[8:9], v[142:143]
	ds_load_b128 v[86:89], v2 offset:864
	ds_load_b128 v[114:117], v2 offset:880
	scratch_load_b128 v[122:125], off, off offset:480
	v_fmac_f64_e32 v[144:145], v[108:109], v[10:11]
	v_fma_f64 v[12:13], v[106:107], v[10:11], -v[12:13]
	s_wait_loadcnt_dscnt 0xa01
	v_mul_f64_e32 v[142:143], v[86:87], v[140:141]
	v_mul_f64_e32 v[140:141], v[88:89], v[140:141]
	v_add_f64_e32 v[4:5], v[4:5], v[148:149]
	v_add_f64_e32 v[106:107], v[8:9], v[146:147]
	scratch_load_b128 v[8:11], off, off offset:496
	s_wait_loadcnt_dscnt 0xa00
	v_mul_f64_e32 v[146:147], v[114:115], v[84:85]
	v_mul_f64_e32 v[148:149], v[116:117], v[84:85]
	v_fmac_f64_e32 v[142:143], v[88:89], v[138:139]
	v_fma_f64 v[88:89], v[86:87], v[138:139], -v[140:141]
	v_add_f64_e32 v[4:5], v[4:5], v[12:13]
	v_add_f64_e32 v[12:13], v[106:107], v[144:145]
	ds_load_b128 v[84:87], v2 offset:896
	ds_load_b128 v[106:109], v2 offset:912
	scratch_load_b128 v[138:141], off, off offset:512
	v_fmac_f64_e32 v[146:147], v[116:117], v[82:83]
	v_fma_f64 v[82:83], v[114:115], v[82:83], -v[148:149]
	scratch_load_b128 v[114:117], off, off offset:528
	s_wait_loadcnt_dscnt 0xb01
	v_mul_f64_e32 v[144:145], v[84:85], v[128:129]
	v_mul_f64_e32 v[128:129], v[86:87], v[128:129]
	v_add_f64_e32 v[4:5], v[4:5], v[88:89]
	v_add_f64_e32 v[12:13], v[12:13], v[142:143]
	s_wait_loadcnt_dscnt 0xa00
	v_mul_f64_e32 v[142:143], v[106:107], v[92:93]
	v_mul_f64_e32 v[92:93], v[108:109], v[92:93]
	v_fmac_f64_e32 v[144:145], v[86:87], v[126:127]
	v_fma_f64 v[126:127], v[84:85], v[126:127], -v[128:129]
	v_add_f64_e32 v[4:5], v[4:5], v[82:83]
	v_add_f64_e32 v[12:13], v[12:13], v[146:147]
	ds_load_b128 v[82:85], v2 offset:928
	ds_load_b128 v[86:89], v2 offset:944
	v_fmac_f64_e32 v[142:143], v[108:109], v[90:91]
	v_fma_f64 v[90:91], v[106:107], v[90:91], -v[92:93]
	s_wait_loadcnt_dscnt 0x901
	v_mul_f64_e32 v[128:129], v[82:83], v[136:137]
	v_mul_f64_e32 v[136:137], v[84:85], v[136:137]
	s_wait_loadcnt_dscnt 0x800
	v_mul_f64_e32 v[106:107], v[86:87], v[100:101]
	v_mul_f64_e32 v[100:101], v[88:89], v[100:101]
	v_add_f64_e32 v[4:5], v[4:5], v[126:127]
	v_add_f64_e32 v[12:13], v[12:13], v[144:145]
	v_fmac_f64_e32 v[128:129], v[84:85], v[134:135]
	v_fma_f64 v[108:109], v[82:83], v[134:135], -v[136:137]
	v_fmac_f64_e32 v[106:107], v[88:89], v[98:99]
	v_fma_f64 v[86:87], v[86:87], v[98:99], -v[100:101]
	v_add_f64_e32 v[4:5], v[4:5], v[90:91]
	v_add_f64_e32 v[12:13], v[12:13], v[142:143]
	ds_load_b128 v[82:85], v2 offset:960
	ds_load_b128 v[90:93], v2 offset:976
	s_wait_loadcnt_dscnt 0x701
	v_mul_f64_e32 v[126:127], v[82:83], v[120:121]
	v_mul_f64_e32 v[120:121], v[84:85], v[120:121]
	s_wait_loadcnt_dscnt 0x600
	v_mul_f64_e32 v[98:99], v[90:91], v[96:97]
	v_mul_f64_e32 v[96:97], v[92:93], v[96:97]
	v_add_f64_e32 v[4:5], v[4:5], v[108:109]
	v_add_f64_e32 v[12:13], v[12:13], v[128:129]
	v_fmac_f64_e32 v[126:127], v[84:85], v[118:119]
	v_fma_f64 v[100:101], v[82:83], v[118:119], -v[120:121]
	v_fmac_f64_e32 v[98:99], v[92:93], v[94:95]
	v_fma_f64 v[90:91], v[90:91], v[94:95], -v[96:97]
	v_add_f64_e32 v[4:5], v[4:5], v[86:87]
	v_add_f64_e32 v[12:13], v[12:13], v[106:107]
	ds_load_b128 v[82:85], v2 offset:992
	ds_load_b128 v[86:89], v2 offset:1008
	;; [unrolled: 16-line block ×3, first 2 shown]
	s_wait_loadcnt_dscnt 0x301
	v_mul_f64_e32 v[98:99], v[82:83], v[124:125]
	v_mul_f64_e32 v[104:105], v[84:85], v[124:125]
	v_add_f64_e32 v[4:5], v[4:5], v[100:101]
	v_add_f64_e32 v[12:13], v[12:13], v[106:107]
	s_wait_loadcnt_dscnt 0x200
	v_mul_f64_e32 v[88:89], v[90:91], v[10:11]
	v_mul_f64_e32 v[96:97], v[92:93], v[10:11]
	v_fmac_f64_e32 v[98:99], v[84:85], v[122:123]
	v_fma_f64 v[82:83], v[82:83], v[122:123], -v[104:105]
	v_add_f64_e32 v[84:85], v[4:5], v[86:87]
	v_add_f64_e32 v[86:87], v[12:13], v[94:95]
	ds_load_b128 v[10:13], v2 offset:1056
	ds_load_b128 v[2:5], v2 offset:1072
	v_fmac_f64_e32 v[88:89], v[92:93], v[8:9]
	v_fma_f64 v[8:9], v[90:91], v[8:9], -v[96:97]
	s_wait_loadcnt_dscnt 0x101
	v_mul_f64_e32 v[94:95], v[10:11], v[140:141]
	v_mul_f64_e32 v[100:101], v[12:13], v[140:141]
	s_wait_loadcnt_dscnt 0x0
	v_mul_f64_e32 v[90:91], v[4:5], v[116:117]
	v_add_f64_e32 v[82:83], v[84:85], v[82:83]
	v_add_f64_e32 v[84:85], v[86:87], v[98:99]
	v_mul_f64_e32 v[86:87], v[2:3], v[116:117]
	v_fmac_f64_e32 v[94:95], v[12:13], v[138:139]
	v_fma_f64 v[10:11], v[10:11], v[138:139], -v[100:101]
	v_fma_f64 v[2:3], v[2:3], v[114:115], -v[90:91]
	v_add_f64_e32 v[8:9], v[82:83], v[8:9]
	v_add_f64_e32 v[12:13], v[84:85], v[88:89]
	v_fmac_f64_e32 v[86:87], v[4:5], v[114:115]
	s_delay_alu instid0(VALU_DEP_3) | instskip(NEXT) | instid1(VALU_DEP_3)
	v_add_f64_e32 v[4:5], v[8:9], v[10:11]
	v_add_f64_e32 v[8:9], v[12:13], v[94:95]
	s_delay_alu instid0(VALU_DEP_2) | instskip(NEXT) | instid1(VALU_DEP_2)
	v_add_f64_e32 v[2:3], v[4:5], v[2:3]
	v_add_f64_e32 v[4:5], v[8:9], v[86:87]
	s_delay_alu instid0(VALU_DEP_2) | instskip(NEXT) | instid1(VALU_DEP_2)
	v_add_f64_e64 v[2:3], v[130:131], -v[2:3]
	v_add_f64_e64 v[4:5], v[132:133], -v[4:5]
	scratch_store_b128 off, v[2:5], off offset:112
	s_wait_xcnt 0x0
	v_cmpx_lt_u32_e32 6, v1
	s_cbranch_execz .LBB33_205
; %bb.204:
	scratch_load_b128 v[2:5], off, s39
	v_mov_b32_e32 v8, 0
	s_delay_alu instid0(VALU_DEP_1)
	v_dual_mov_b32 v9, v8 :: v_dual_mov_b32 v10, v8
	v_mov_b32_e32 v11, v8
	scratch_store_b128 off, v[8:11], off offset:96
	s_wait_loadcnt 0x0
	ds_store_b128 v6, v[2:5]
.LBB33_205:
	s_wait_xcnt 0x0
	s_or_b32 exec_lo, exec_lo, s2
	s_wait_storecnt_dscnt 0x0
	s_barrier_signal -1
	s_barrier_wait -1
	s_clause 0x9
	scratch_load_b128 v[8:11], off, off offset:112
	scratch_load_b128 v[82:85], off, off offset:128
	;; [unrolled: 1-line block ×10, first 2 shown]
	v_mov_b32_e32 v2, 0
	s_mov_b32 s2, exec_lo
	ds_load_b128 v[118:121], v2 offset:656
	s_clause 0x2
	scratch_load_b128 v[122:125], off, off offset:272
	scratch_load_b128 v[126:129], off, off offset:96
	;; [unrolled: 1-line block ×3, first 2 shown]
	s_wait_loadcnt_dscnt 0xc00
	v_mul_f64_e32 v[4:5], v[120:121], v[10:11]
	v_mul_f64_e32 v[142:143], v[118:119], v[10:11]
	ds_load_b128 v[130:133], v2 offset:672
	scratch_load_b128 v[10:13], off, off offset:288
	ds_load_b128 v[138:141], v2 offset:704
	v_fma_f64 v[4:5], v[118:119], v[8:9], -v[4:5]
	v_fmac_f64_e32 v[142:143], v[120:121], v[8:9]
	ds_load_b128 v[118:121], v2 offset:688
	s_wait_loadcnt_dscnt 0xc02
	v_mul_f64_e32 v[144:145], v[130:131], v[84:85]
	v_mul_f64_e32 v[84:85], v[132:133], v[84:85]
	s_wait_loadcnt_dscnt 0xb00
	v_mul_f64_e32 v[8:9], v[118:119], v[88:89]
	v_mul_f64_e32 v[88:89], v[120:121], v[88:89]
	v_add_f64_e32 v[4:5], 0, v[4:5]
	v_fmac_f64_e32 v[144:145], v[132:133], v[82:83]
	v_fma_f64 v[130:131], v[130:131], v[82:83], -v[84:85]
	v_add_f64_e32 v[132:133], 0, v[142:143]
	scratch_load_b128 v[82:85], off, off offset:320
	v_fmac_f64_e32 v[8:9], v[120:121], v[86:87]
	v_fma_f64 v[146:147], v[118:119], v[86:87], -v[88:89]
	ds_load_b128 v[86:89], v2 offset:720
	s_wait_loadcnt 0xb
	v_mul_f64_e32 v[142:143], v[138:139], v[92:93]
	v_mul_f64_e32 v[92:93], v[140:141], v[92:93]
	scratch_load_b128 v[118:121], off, off offset:336
	v_add_f64_e32 v[4:5], v[4:5], v[130:131]
	v_add_f64_e32 v[144:145], v[132:133], v[144:145]
	ds_load_b128 v[130:133], v2 offset:736
	s_wait_loadcnt_dscnt 0xb01
	v_mul_f64_e32 v[148:149], v[86:87], v[96:97]
	v_mul_f64_e32 v[96:97], v[88:89], v[96:97]
	v_fmac_f64_e32 v[142:143], v[140:141], v[90:91]
	v_fma_f64 v[138:139], v[138:139], v[90:91], -v[92:93]
	scratch_load_b128 v[90:93], off, off offset:352
	v_add_f64_e32 v[4:5], v[4:5], v[146:147]
	v_add_f64_e32 v[8:9], v[144:145], v[8:9]
	v_fmac_f64_e32 v[148:149], v[88:89], v[94:95]
	v_fma_f64 v[146:147], v[86:87], v[94:95], -v[96:97]
	ds_load_b128 v[86:89], v2 offset:752
	s_wait_loadcnt_dscnt 0xb01
	v_mul_f64_e32 v[144:145], v[130:131], v[100:101]
	v_mul_f64_e32 v[100:101], v[132:133], v[100:101]
	scratch_load_b128 v[94:97], off, off offset:368
	v_add_f64_e32 v[4:5], v[4:5], v[138:139]
	v_add_f64_e32 v[8:9], v[8:9], v[142:143]
	s_wait_loadcnt_dscnt 0xb00
	v_mul_f64_e32 v[142:143], v[86:87], v[104:105]
	v_mul_f64_e32 v[104:105], v[88:89], v[104:105]
	ds_load_b128 v[138:141], v2 offset:768
	v_fmac_f64_e32 v[144:145], v[132:133], v[98:99]
	v_fma_f64 v[130:131], v[130:131], v[98:99], -v[100:101]
	scratch_load_b128 v[98:101], off, off offset:384
	v_add_f64_e32 v[4:5], v[4:5], v[146:147]
	v_add_f64_e32 v[8:9], v[8:9], v[148:149]
	v_fmac_f64_e32 v[142:143], v[88:89], v[102:103]
	v_fma_f64 v[148:149], v[86:87], v[102:103], -v[104:105]
	ds_load_b128 v[86:89], v2 offset:784
	s_wait_loadcnt_dscnt 0xb01
	v_mul_f64_e32 v[146:147], v[138:139], v[108:109]
	v_mul_f64_e32 v[108:109], v[140:141], v[108:109]
	scratch_load_b128 v[102:105], off, off offset:400
	v_add_f64_e32 v[4:5], v[4:5], v[130:131]
	v_add_f64_e32 v[8:9], v[8:9], v[144:145]
	s_wait_loadcnt_dscnt 0xb00
	v_mul_f64_e32 v[144:145], v[86:87], v[112:113]
	v_mul_f64_e32 v[112:113], v[88:89], v[112:113]
	ds_load_b128 v[130:133], v2 offset:800
	;; [unrolled: 18-line block ×3, first 2 shown]
	v_fmac_f64_e32 v[142:143], v[132:133], v[114:115]
	v_fma_f64 v[130:131], v[130:131], v[114:115], -v[116:117]
	scratch_load_b128 v[114:117], off, off offset:448
	v_add_f64_e32 v[4:5], v[4:5], v[148:149]
	v_add_f64_e32 v[8:9], v[8:9], v[144:145]
	v_fmac_f64_e32 v[146:147], v[88:89], v[122:123]
	v_fma_f64 v[148:149], v[86:87], v[122:123], -v[124:125]
	ds_load_b128 v[86:89], v2 offset:848
	s_wait_loadcnt_dscnt 0x901
	v_mul_f64_e32 v[144:145], v[138:139], v[12:13]
	v_mul_f64_e32 v[12:13], v[140:141], v[12:13]
	scratch_load_b128 v[122:125], off, off offset:464
	v_add_f64_e32 v[4:5], v[4:5], v[130:131]
	v_add_f64_e32 v[8:9], v[8:9], v[142:143]
	s_wait_dscnt 0x0
	v_mul_f64_e32 v[142:143], v[86:87], v[136:137]
	v_mul_f64_e32 v[136:137], v[88:89], v[136:137]
	ds_load_b128 v[130:133], v2 offset:864
	v_fmac_f64_e32 v[144:145], v[140:141], v[10:11]
	v_fma_f64 v[12:13], v[138:139], v[10:11], -v[12:13]
	v_add_f64_e32 v[4:5], v[4:5], v[148:149]
	v_add_f64_e32 v[138:139], v[8:9], v[146:147]
	scratch_load_b128 v[8:11], off, off offset:480
	v_fmac_f64_e32 v[142:143], v[88:89], v[134:135]
	v_fma_f64 v[88:89], v[86:87], v[134:135], -v[136:137]
	scratch_load_b128 v[134:137], off, off offset:496
	v_add_f64_e32 v[4:5], v[4:5], v[12:13]
	v_add_f64_e32 v[12:13], v[138:139], v[144:145]
	ds_load_b128 v[138:141], v2 offset:896
	s_wait_loadcnt_dscnt 0xb01
	v_mul_f64_e32 v[146:147], v[130:131], v[84:85]
	v_mul_f64_e32 v[148:149], v[132:133], v[84:85]
	ds_load_b128 v[84:87], v2 offset:880
	s_wait_loadcnt_dscnt 0xa00
	v_mul_f64_e32 v[144:145], v[84:85], v[120:121]
	v_mul_f64_e32 v[120:121], v[86:87], v[120:121]
	v_add_f64_e32 v[4:5], v[4:5], v[88:89]
	v_add_f64_e32 v[12:13], v[12:13], v[142:143]
	s_wait_loadcnt 0x9
	v_mul_f64_e32 v[142:143], v[138:139], v[92:93]
	v_fmac_f64_e32 v[146:147], v[132:133], v[82:83]
	v_fma_f64 v[82:83], v[130:131], v[82:83], -v[148:149]
	scratch_load_b128 v[130:133], off, off offset:512
	v_mul_f64_e32 v[92:93], v[140:141], v[92:93]
	v_fmac_f64_e32 v[144:145], v[86:87], v[118:119]
	v_fma_f64 v[148:149], v[84:85], v[118:119], -v[120:121]
	scratch_load_b128 v[86:89], off, off offset:528
	ds_load_b128 v[118:121], v2 offset:928
	v_fmac_f64_e32 v[142:143], v[140:141], v[90:91]
	v_add_f64_e32 v[12:13], v[12:13], v[146:147]
	v_add_f64_e32 v[4:5], v[4:5], v[82:83]
	ds_load_b128 v[82:85], v2 offset:912
	v_fma_f64 v[90:91], v[138:139], v[90:91], -v[92:93]
	s_wait_loadcnt_dscnt 0x901
	v_mul_f64_e32 v[138:139], v[118:119], v[100:101]
	v_mul_f64_e32 v[100:101], v[120:121], v[100:101]
	s_wait_dscnt 0x0
	v_mul_f64_e32 v[146:147], v[82:83], v[96:97]
	v_mul_f64_e32 v[96:97], v[84:85], v[96:97]
	v_add_f64_e32 v[12:13], v[12:13], v[144:145]
	v_add_f64_e32 v[4:5], v[4:5], v[148:149]
	v_fmac_f64_e32 v[138:139], v[120:121], v[98:99]
	v_fma_f64 v[98:99], v[118:119], v[98:99], -v[100:101]
	v_fmac_f64_e32 v[146:147], v[84:85], v[94:95]
	v_fma_f64 v[94:95], v[82:83], v[94:95], -v[96:97]
	v_add_f64_e32 v[12:13], v[12:13], v[142:143]
	v_add_f64_e32 v[4:5], v[4:5], v[90:91]
	ds_load_b128 v[82:85], v2 offset:944
	ds_load_b128 v[90:93], v2 offset:960
	s_wait_loadcnt_dscnt 0x801
	v_mul_f64_e32 v[140:141], v[82:83], v[104:105]
	v_mul_f64_e32 v[96:97], v[84:85], v[104:105]
	s_wait_loadcnt_dscnt 0x700
	v_mul_f64_e32 v[100:101], v[90:91], v[108:109]
	v_mul_f64_e32 v[104:105], v[92:93], v[108:109]
	v_add_f64_e32 v[12:13], v[12:13], v[146:147]
	v_add_f64_e32 v[4:5], v[4:5], v[94:95]
	v_fmac_f64_e32 v[140:141], v[84:85], v[102:103]
	v_fma_f64 v[102:103], v[82:83], v[102:103], -v[96:97]
	ds_load_b128 v[82:85], v2 offset:976
	ds_load_b128 v[94:97], v2 offset:992
	v_fmac_f64_e32 v[100:101], v[92:93], v[106:107]
	v_fma_f64 v[90:91], v[90:91], v[106:107], -v[104:105]
	v_add_f64_e32 v[12:13], v[12:13], v[138:139]
	v_add_f64_e32 v[4:5], v[4:5], v[98:99]
	s_wait_loadcnt_dscnt 0x601
	v_mul_f64_e32 v[98:99], v[82:83], v[112:113]
	v_mul_f64_e32 v[108:109], v[84:85], v[112:113]
	s_wait_loadcnt_dscnt 0x500
	v_mul_f64_e32 v[104:105], v[96:97], v[116:117]
	v_add_f64_e32 v[12:13], v[12:13], v[140:141]
	v_add_f64_e32 v[4:5], v[4:5], v[102:103]
	v_mul_f64_e32 v[102:103], v[94:95], v[116:117]
	v_fmac_f64_e32 v[98:99], v[84:85], v[110:111]
	v_fma_f64 v[106:107], v[82:83], v[110:111], -v[108:109]
	v_fma_f64 v[94:95], v[94:95], v[114:115], -v[104:105]
	v_add_f64_e32 v[12:13], v[12:13], v[100:101]
	v_add_f64_e32 v[4:5], v[4:5], v[90:91]
	ds_load_b128 v[82:85], v2 offset:1008
	ds_load_b128 v[90:93], v2 offset:1024
	v_fmac_f64_e32 v[102:103], v[96:97], v[114:115]
	s_wait_loadcnt_dscnt 0x401
	v_mul_f64_e32 v[100:101], v[82:83], v[124:125]
	v_mul_f64_e32 v[108:109], v[84:85], v[124:125]
	s_wait_loadcnt_dscnt 0x300
	v_mul_f64_e32 v[96:97], v[90:91], v[10:11]
	v_add_f64_e32 v[12:13], v[12:13], v[98:99]
	v_add_f64_e32 v[4:5], v[4:5], v[106:107]
	v_mul_f64_e32 v[98:99], v[92:93], v[10:11]
	v_fmac_f64_e32 v[100:101], v[84:85], v[122:123]
	v_fma_f64 v[104:105], v[82:83], v[122:123], -v[108:109]
	v_fmac_f64_e32 v[96:97], v[92:93], v[8:9]
	v_add_f64_e32 v[4:5], v[4:5], v[94:95]
	v_add_f64_e32 v[94:95], v[12:13], v[102:103]
	ds_load_b128 v[10:13], v2 offset:1040
	ds_load_b128 v[82:85], v2 offset:1056
	v_fma_f64 v[8:9], v[90:91], v[8:9], -v[98:99]
	s_wait_loadcnt_dscnt 0x201
	v_mul_f64_e32 v[102:103], v[10:11], v[136:137]
	v_mul_f64_e32 v[106:107], v[12:13], v[136:137]
	v_add_f64_e32 v[4:5], v[4:5], v[104:105]
	v_add_f64_e32 v[90:91], v[94:95], v[100:101]
	s_wait_loadcnt_dscnt 0x100
	v_mul_f64_e32 v[92:93], v[82:83], v[132:133]
	v_mul_f64_e32 v[94:95], v[84:85], v[132:133]
	v_fmac_f64_e32 v[102:103], v[12:13], v[134:135]
	v_fma_f64 v[12:13], v[10:11], v[134:135], -v[106:107]
	v_add_f64_e32 v[4:5], v[4:5], v[8:9]
	v_add_f64_e32 v[90:91], v[90:91], v[96:97]
	ds_load_b128 v[8:11], v2 offset:1072
	v_fmac_f64_e32 v[92:93], v[84:85], v[130:131]
	v_fma_f64 v[82:83], v[82:83], v[130:131], -v[94:95]
	s_wait_loadcnt_dscnt 0x0
	v_mul_f64_e32 v[96:97], v[8:9], v[88:89]
	v_mul_f64_e32 v[88:89], v[10:11], v[88:89]
	v_add_f64_e32 v[4:5], v[4:5], v[12:13]
	v_add_f64_e32 v[12:13], v[90:91], v[102:103]
	s_delay_alu instid0(VALU_DEP_4) | instskip(NEXT) | instid1(VALU_DEP_4)
	v_fmac_f64_e32 v[96:97], v[10:11], v[86:87]
	v_fma_f64 v[8:9], v[8:9], v[86:87], -v[88:89]
	s_delay_alu instid0(VALU_DEP_4) | instskip(NEXT) | instid1(VALU_DEP_4)
	v_add_f64_e32 v[4:5], v[4:5], v[82:83]
	v_add_f64_e32 v[10:11], v[12:13], v[92:93]
	s_delay_alu instid0(VALU_DEP_2) | instskip(NEXT) | instid1(VALU_DEP_2)
	v_add_f64_e32 v[4:5], v[4:5], v[8:9]
	v_add_f64_e32 v[10:11], v[10:11], v[96:97]
	s_delay_alu instid0(VALU_DEP_2) | instskip(NEXT) | instid1(VALU_DEP_2)
	v_add_f64_e64 v[8:9], v[126:127], -v[4:5]
	v_add_f64_e64 v[10:11], v[128:129], -v[10:11]
	scratch_store_b128 off, v[8:11], off offset:96
	s_wait_xcnt 0x0
	v_cmpx_lt_u32_e32 5, v1
	s_cbranch_execz .LBB33_207
; %bb.206:
	scratch_load_b128 v[8:11], off, s37
	v_dual_mov_b32 v3, v2 :: v_dual_mov_b32 v4, v2
	v_mov_b32_e32 v5, v2
	scratch_store_b128 off, v[2:5], off offset:80
	s_wait_loadcnt 0x0
	ds_store_b128 v6, v[8:11]
.LBB33_207:
	s_wait_xcnt 0x0
	s_or_b32 exec_lo, exec_lo, s2
	s_wait_storecnt_dscnt 0x0
	s_barrier_signal -1
	s_barrier_wait -1
	s_clause 0x9
	scratch_load_b128 v[8:11], off, off offset:96
	scratch_load_b128 v[82:85], off, off offset:112
	;; [unrolled: 1-line block ×10, first 2 shown]
	ds_load_b128 v[118:121], v2 offset:640
	ds_load_b128 v[126:129], v2 offset:656
	s_clause 0x1
	scratch_load_b128 v[122:125], off, off offset:256
	scratch_load_b128 v[130:133], off, off offset:80
	s_mov_b32 s2, exec_lo
	s_wait_loadcnt_dscnt 0xb01
	v_mul_f64_e32 v[4:5], v[120:121], v[10:11]
	v_mul_f64_e32 v[142:143], v[118:119], v[10:11]
	scratch_load_b128 v[10:13], off, off offset:272
	s_wait_loadcnt_dscnt 0xb00
	v_mul_f64_e32 v[144:145], v[126:127], v[84:85]
	v_mul_f64_e32 v[84:85], v[128:129], v[84:85]
	v_fma_f64 v[4:5], v[118:119], v[8:9], -v[4:5]
	v_fmac_f64_e32 v[142:143], v[120:121], v[8:9]
	ds_load_b128 v[118:121], v2 offset:672
	ds_load_b128 v[134:137], v2 offset:688
	scratch_load_b128 v[138:141], off, off offset:288
	v_fmac_f64_e32 v[144:145], v[128:129], v[82:83]
	v_fma_f64 v[126:127], v[126:127], v[82:83], -v[84:85]
	scratch_load_b128 v[82:85], off, off offset:304
	s_wait_loadcnt_dscnt 0xc01
	v_mul_f64_e32 v[8:9], v[118:119], v[88:89]
	v_mul_f64_e32 v[88:89], v[120:121], v[88:89]
	v_add_f64_e32 v[4:5], 0, v[4:5]
	v_add_f64_e32 v[128:129], 0, v[142:143]
	s_wait_loadcnt_dscnt 0xb00
	v_mul_f64_e32 v[142:143], v[134:135], v[92:93]
	v_mul_f64_e32 v[92:93], v[136:137], v[92:93]
	v_fmac_f64_e32 v[8:9], v[120:121], v[86:87]
	v_fma_f64 v[146:147], v[118:119], v[86:87], -v[88:89]
	ds_load_b128 v[86:89], v2 offset:704
	ds_load_b128 v[118:121], v2 offset:720
	v_add_f64_e32 v[4:5], v[4:5], v[126:127]
	v_add_f64_e32 v[144:145], v[128:129], v[144:145]
	scratch_load_b128 v[126:129], off, off offset:320
	v_fmac_f64_e32 v[142:143], v[136:137], v[90:91]
	v_fma_f64 v[134:135], v[134:135], v[90:91], -v[92:93]
	scratch_load_b128 v[90:93], off, off offset:336
	s_wait_loadcnt_dscnt 0xc01
	v_mul_f64_e32 v[148:149], v[86:87], v[96:97]
	v_mul_f64_e32 v[96:97], v[88:89], v[96:97]
	v_add_f64_e32 v[4:5], v[4:5], v[146:147]
	v_add_f64_e32 v[8:9], v[144:145], v[8:9]
	s_wait_loadcnt_dscnt 0xb00
	v_mul_f64_e32 v[144:145], v[118:119], v[100:101]
	v_mul_f64_e32 v[100:101], v[120:121], v[100:101]
	v_fmac_f64_e32 v[148:149], v[88:89], v[94:95]
	v_fma_f64 v[146:147], v[86:87], v[94:95], -v[96:97]
	ds_load_b128 v[86:89], v2 offset:736
	ds_load_b128 v[94:97], v2 offset:752
	v_add_f64_e32 v[4:5], v[4:5], v[134:135]
	v_add_f64_e32 v[8:9], v[8:9], v[142:143]
	scratch_load_b128 v[134:137], off, off offset:352
	s_wait_loadcnt_dscnt 0xb01
	v_mul_f64_e32 v[142:143], v[86:87], v[104:105]
	v_mul_f64_e32 v[104:105], v[88:89], v[104:105]
	v_fmac_f64_e32 v[144:145], v[120:121], v[98:99]
	v_fma_f64 v[118:119], v[118:119], v[98:99], -v[100:101]
	scratch_load_b128 v[98:101], off, off offset:368
	v_add_f64_e32 v[4:5], v[4:5], v[146:147]
	v_add_f64_e32 v[8:9], v[8:9], v[148:149]
	s_wait_loadcnt_dscnt 0xb00
	v_mul_f64_e32 v[146:147], v[94:95], v[108:109]
	v_mul_f64_e32 v[108:109], v[96:97], v[108:109]
	v_fmac_f64_e32 v[142:143], v[88:89], v[102:103]
	v_fma_f64 v[148:149], v[86:87], v[102:103], -v[104:105]
	ds_load_b128 v[86:89], v2 offset:768
	ds_load_b128 v[102:105], v2 offset:784
	v_add_f64_e32 v[4:5], v[4:5], v[118:119]
	v_add_f64_e32 v[8:9], v[8:9], v[144:145]
	scratch_load_b128 v[118:121], off, off offset:384
	s_wait_loadcnt_dscnt 0xb01
	v_mul_f64_e32 v[144:145], v[86:87], v[112:113]
	v_mul_f64_e32 v[112:113], v[88:89], v[112:113]
	v_fmac_f64_e32 v[146:147], v[96:97], v[106:107]
	v_fma_f64 v[106:107], v[94:95], v[106:107], -v[108:109]
	scratch_load_b128 v[94:97], off, off offset:400
	v_add_f64_e32 v[4:5], v[4:5], v[148:149]
	v_add_f64_e32 v[8:9], v[8:9], v[142:143]
	s_wait_loadcnt_dscnt 0xb00
	v_mul_f64_e32 v[142:143], v[102:103], v[116:117]
	v_mul_f64_e32 v[116:117], v[104:105], v[116:117]
	v_fmac_f64_e32 v[144:145], v[88:89], v[110:111]
	v_fma_f64 v[148:149], v[86:87], v[110:111], -v[112:113]
	v_add_f64_e32 v[4:5], v[4:5], v[106:107]
	v_add_f64_e32 v[8:9], v[8:9], v[146:147]
	ds_load_b128 v[86:89], v2 offset:800
	ds_load_b128 v[106:109], v2 offset:816
	scratch_load_b128 v[110:113], off, off offset:416
	v_fmac_f64_e32 v[142:143], v[104:105], v[114:115]
	v_fma_f64 v[114:115], v[102:103], v[114:115], -v[116:117]
	scratch_load_b128 v[102:105], off, off offset:432
	s_wait_loadcnt_dscnt 0xc01
	v_mul_f64_e32 v[146:147], v[86:87], v[124:125]
	v_mul_f64_e32 v[124:125], v[88:89], v[124:125]
	v_add_f64_e32 v[4:5], v[4:5], v[148:149]
	v_add_f64_e32 v[8:9], v[8:9], v[144:145]
	s_wait_loadcnt_dscnt 0xa00
	v_mul_f64_e32 v[144:145], v[106:107], v[12:13]
	v_mul_f64_e32 v[12:13], v[108:109], v[12:13]
	v_fmac_f64_e32 v[146:147], v[88:89], v[122:123]
	v_fma_f64 v[148:149], v[86:87], v[122:123], -v[124:125]
	v_add_f64_e32 v[4:5], v[4:5], v[114:115]
	v_add_f64_e32 v[8:9], v[8:9], v[142:143]
	ds_load_b128 v[86:89], v2 offset:832
	ds_load_b128 v[114:117], v2 offset:848
	scratch_load_b128 v[122:125], off, off offset:448
	v_fmac_f64_e32 v[144:145], v[108:109], v[10:11]
	v_fma_f64 v[12:13], v[106:107], v[10:11], -v[12:13]
	s_wait_loadcnt_dscnt 0xa01
	v_mul_f64_e32 v[142:143], v[86:87], v[140:141]
	v_mul_f64_e32 v[140:141], v[88:89], v[140:141]
	v_add_f64_e32 v[4:5], v[4:5], v[148:149]
	v_add_f64_e32 v[106:107], v[8:9], v[146:147]
	scratch_load_b128 v[8:11], off, off offset:464
	s_wait_loadcnt_dscnt 0xa00
	v_mul_f64_e32 v[146:147], v[114:115], v[84:85]
	v_mul_f64_e32 v[148:149], v[116:117], v[84:85]
	v_fmac_f64_e32 v[142:143], v[88:89], v[138:139]
	v_fma_f64 v[88:89], v[86:87], v[138:139], -v[140:141]
	v_add_f64_e32 v[4:5], v[4:5], v[12:13]
	v_add_f64_e32 v[12:13], v[106:107], v[144:145]
	ds_load_b128 v[84:87], v2 offset:864
	ds_load_b128 v[106:109], v2 offset:880
	scratch_load_b128 v[138:141], off, off offset:480
	v_fmac_f64_e32 v[146:147], v[116:117], v[82:83]
	v_fma_f64 v[82:83], v[114:115], v[82:83], -v[148:149]
	scratch_load_b128 v[114:117], off, off offset:496
	s_wait_loadcnt_dscnt 0xb01
	v_mul_f64_e32 v[144:145], v[84:85], v[128:129]
	v_mul_f64_e32 v[128:129], v[86:87], v[128:129]
	v_add_f64_e32 v[4:5], v[4:5], v[88:89]
	v_add_f64_e32 v[12:13], v[12:13], v[142:143]
	s_wait_loadcnt_dscnt 0xa00
	v_mul_f64_e32 v[142:143], v[106:107], v[92:93]
	v_mul_f64_e32 v[92:93], v[108:109], v[92:93]
	v_fmac_f64_e32 v[144:145], v[86:87], v[126:127]
	v_fma_f64 v[148:149], v[84:85], v[126:127], -v[128:129]
	v_add_f64_e32 v[4:5], v[4:5], v[82:83]
	v_add_f64_e32 v[12:13], v[12:13], v[146:147]
	ds_load_b128 v[82:85], v2 offset:896
	ds_load_b128 v[86:89], v2 offset:912
	scratch_load_b128 v[126:129], off, off offset:512
	v_fmac_f64_e32 v[142:143], v[108:109], v[90:91]
	v_fma_f64 v[106:107], v[106:107], v[90:91], -v[92:93]
	scratch_load_b128 v[90:93], off, off offset:528
	s_wait_loadcnt_dscnt 0xb01
	v_mul_f64_e32 v[146:147], v[82:83], v[136:137]
	v_mul_f64_e32 v[136:137], v[84:85], v[136:137]
	v_add_f64_e32 v[4:5], v[4:5], v[148:149]
	v_add_f64_e32 v[12:13], v[12:13], v[144:145]
	s_wait_loadcnt_dscnt 0xa00
	v_mul_f64_e32 v[144:145], v[86:87], v[100:101]
	v_mul_f64_e32 v[100:101], v[88:89], v[100:101]
	v_fmac_f64_e32 v[146:147], v[84:85], v[134:135]
	v_fma_f64 v[134:135], v[82:83], v[134:135], -v[136:137]
	v_add_f64_e32 v[4:5], v[4:5], v[106:107]
	v_add_f64_e32 v[12:13], v[12:13], v[142:143]
	ds_load_b128 v[82:85], v2 offset:928
	ds_load_b128 v[106:109], v2 offset:944
	v_fmac_f64_e32 v[144:145], v[88:89], v[98:99]
	v_fma_f64 v[86:87], v[86:87], v[98:99], -v[100:101]
	s_wait_loadcnt_dscnt 0x901
	v_mul_f64_e32 v[136:137], v[82:83], v[120:121]
	v_mul_f64_e32 v[120:121], v[84:85], v[120:121]
	s_wait_loadcnt_dscnt 0x800
	v_mul_f64_e32 v[98:99], v[106:107], v[96:97]
	v_mul_f64_e32 v[96:97], v[108:109], v[96:97]
	v_add_f64_e32 v[4:5], v[4:5], v[134:135]
	v_add_f64_e32 v[12:13], v[12:13], v[146:147]
	v_fmac_f64_e32 v[136:137], v[84:85], v[118:119]
	v_fma_f64 v[100:101], v[82:83], v[118:119], -v[120:121]
	v_fmac_f64_e32 v[98:99], v[108:109], v[94:95]
	v_fma_f64 v[94:95], v[106:107], v[94:95], -v[96:97]
	v_add_f64_e32 v[4:5], v[4:5], v[86:87]
	v_add_f64_e32 v[12:13], v[12:13], v[144:145]
	ds_load_b128 v[82:85], v2 offset:960
	ds_load_b128 v[86:89], v2 offset:976
	s_wait_loadcnt_dscnt 0x701
	v_mul_f64_e32 v[118:119], v[82:83], v[112:113]
	v_mul_f64_e32 v[112:113], v[84:85], v[112:113]
	v_add_f64_e32 v[4:5], v[4:5], v[100:101]
	v_add_f64_e32 v[12:13], v[12:13], v[136:137]
	s_wait_loadcnt_dscnt 0x600
	v_mul_f64_e32 v[100:101], v[86:87], v[104:105]
	v_mul_f64_e32 v[104:105], v[88:89], v[104:105]
	v_fmac_f64_e32 v[118:119], v[84:85], v[110:111]
	v_fma_f64 v[106:107], v[82:83], v[110:111], -v[112:113]
	v_add_f64_e32 v[4:5], v[4:5], v[94:95]
	v_add_f64_e32 v[12:13], v[12:13], v[98:99]
	ds_load_b128 v[82:85], v2 offset:992
	ds_load_b128 v[94:97], v2 offset:1008
	v_fmac_f64_e32 v[100:101], v[88:89], v[102:103]
	v_fma_f64 v[86:87], v[86:87], v[102:103], -v[104:105]
	s_wait_loadcnt_dscnt 0x501
	v_mul_f64_e32 v[98:99], v[82:83], v[124:125]
	v_mul_f64_e32 v[108:109], v[84:85], v[124:125]
	v_add_f64_e32 v[4:5], v[4:5], v[106:107]
	v_add_f64_e32 v[12:13], v[12:13], v[118:119]
	s_wait_loadcnt_dscnt 0x400
	v_mul_f64_e32 v[88:89], v[94:95], v[10:11]
	v_mul_f64_e32 v[102:103], v[96:97], v[10:11]
	v_fmac_f64_e32 v[98:99], v[84:85], v[122:123]
	v_fma_f64 v[104:105], v[82:83], v[122:123], -v[108:109]
	v_add_f64_e32 v[4:5], v[4:5], v[86:87]
	v_add_f64_e32 v[86:87], v[12:13], v[100:101]
	ds_load_b128 v[10:13], v2 offset:1024
	ds_load_b128 v[82:85], v2 offset:1040
	v_fmac_f64_e32 v[88:89], v[96:97], v[8:9]
	v_fma_f64 v[8:9], v[94:95], v[8:9], -v[102:103]
	s_wait_loadcnt_dscnt 0x301
	v_mul_f64_e32 v[100:101], v[10:11], v[140:141]
	v_mul_f64_e32 v[106:107], v[12:13], v[140:141]
	s_wait_loadcnt_dscnt 0x200
	v_mul_f64_e32 v[94:95], v[82:83], v[116:117]
	v_mul_f64_e32 v[96:97], v[84:85], v[116:117]
	v_add_f64_e32 v[4:5], v[4:5], v[104:105]
	v_add_f64_e32 v[86:87], v[86:87], v[98:99]
	v_fmac_f64_e32 v[100:101], v[12:13], v[138:139]
	v_fma_f64 v[12:13], v[10:11], v[138:139], -v[106:107]
	v_fmac_f64_e32 v[94:95], v[84:85], v[114:115]
	v_fma_f64 v[82:83], v[82:83], v[114:115], -v[96:97]
	v_add_f64_e32 v[98:99], v[4:5], v[8:9]
	v_add_f64_e32 v[86:87], v[86:87], v[88:89]
	ds_load_b128 v[8:11], v2 offset:1056
	ds_load_b128 v[2:5], v2 offset:1072
	s_wait_loadcnt_dscnt 0x101
	v_mul_f64_e32 v[88:89], v[8:9], v[128:129]
	v_mul_f64_e32 v[102:103], v[10:11], v[128:129]
	v_add_f64_e32 v[12:13], v[98:99], v[12:13]
	v_add_f64_e32 v[84:85], v[86:87], v[100:101]
	s_wait_loadcnt_dscnt 0x0
	v_mul_f64_e32 v[86:87], v[2:3], v[92:93]
	v_mul_f64_e32 v[92:93], v[4:5], v[92:93]
	v_fmac_f64_e32 v[88:89], v[10:11], v[126:127]
	v_fma_f64 v[8:9], v[8:9], v[126:127], -v[102:103]
	v_add_f64_e32 v[10:11], v[12:13], v[82:83]
	v_add_f64_e32 v[12:13], v[84:85], v[94:95]
	v_fmac_f64_e32 v[86:87], v[4:5], v[90:91]
	v_fma_f64 v[2:3], v[2:3], v[90:91], -v[92:93]
	s_delay_alu instid0(VALU_DEP_4) | instskip(NEXT) | instid1(VALU_DEP_4)
	v_add_f64_e32 v[4:5], v[10:11], v[8:9]
	v_add_f64_e32 v[8:9], v[12:13], v[88:89]
	s_delay_alu instid0(VALU_DEP_2) | instskip(NEXT) | instid1(VALU_DEP_2)
	v_add_f64_e32 v[2:3], v[4:5], v[2:3]
	v_add_f64_e32 v[4:5], v[8:9], v[86:87]
	s_delay_alu instid0(VALU_DEP_2) | instskip(NEXT) | instid1(VALU_DEP_2)
	v_add_f64_e64 v[2:3], v[130:131], -v[2:3]
	v_add_f64_e64 v[4:5], v[132:133], -v[4:5]
	scratch_store_b128 off, v[2:5], off offset:80
	s_wait_xcnt 0x0
	v_cmpx_lt_u32_e32 4, v1
	s_cbranch_execz .LBB33_209
; %bb.208:
	scratch_load_b128 v[2:5], off, s33
	v_mov_b32_e32 v8, 0
	s_delay_alu instid0(VALU_DEP_1)
	v_dual_mov_b32 v9, v8 :: v_dual_mov_b32 v10, v8
	v_mov_b32_e32 v11, v8
	scratch_store_b128 off, v[8:11], off offset:64
	s_wait_loadcnt 0x0
	ds_store_b128 v6, v[2:5]
.LBB33_209:
	s_wait_xcnt 0x0
	s_or_b32 exec_lo, exec_lo, s2
	s_wait_storecnt_dscnt 0x0
	s_barrier_signal -1
	s_barrier_wait -1
	s_clause 0x9
	scratch_load_b128 v[8:11], off, off offset:80
	scratch_load_b128 v[82:85], off, off offset:96
	;; [unrolled: 1-line block ×10, first 2 shown]
	v_mov_b32_e32 v2, 0
	s_mov_b32 s2, exec_lo
	ds_load_b128 v[118:121], v2 offset:624
	s_clause 0x2
	scratch_load_b128 v[122:125], off, off offset:240
	scratch_load_b128 v[126:129], off, off offset:64
	;; [unrolled: 1-line block ×3, first 2 shown]
	s_wait_loadcnt_dscnt 0xc00
	v_mul_f64_e32 v[4:5], v[120:121], v[10:11]
	v_mul_f64_e32 v[142:143], v[118:119], v[10:11]
	ds_load_b128 v[130:133], v2 offset:640
	scratch_load_b128 v[10:13], off, off offset:256
	ds_load_b128 v[138:141], v2 offset:672
	v_fma_f64 v[4:5], v[118:119], v[8:9], -v[4:5]
	v_fmac_f64_e32 v[142:143], v[120:121], v[8:9]
	ds_load_b128 v[118:121], v2 offset:656
	s_wait_loadcnt_dscnt 0xc02
	v_mul_f64_e32 v[144:145], v[130:131], v[84:85]
	v_mul_f64_e32 v[84:85], v[132:133], v[84:85]
	s_wait_loadcnt_dscnt 0xb00
	v_mul_f64_e32 v[8:9], v[118:119], v[88:89]
	v_mul_f64_e32 v[88:89], v[120:121], v[88:89]
	v_add_f64_e32 v[4:5], 0, v[4:5]
	v_fmac_f64_e32 v[144:145], v[132:133], v[82:83]
	v_fma_f64 v[130:131], v[130:131], v[82:83], -v[84:85]
	v_add_f64_e32 v[132:133], 0, v[142:143]
	scratch_load_b128 v[82:85], off, off offset:288
	v_fmac_f64_e32 v[8:9], v[120:121], v[86:87]
	v_fma_f64 v[146:147], v[118:119], v[86:87], -v[88:89]
	ds_load_b128 v[86:89], v2 offset:688
	s_wait_loadcnt 0xb
	v_mul_f64_e32 v[142:143], v[138:139], v[92:93]
	v_mul_f64_e32 v[92:93], v[140:141], v[92:93]
	scratch_load_b128 v[118:121], off, off offset:304
	v_add_f64_e32 v[4:5], v[4:5], v[130:131]
	v_add_f64_e32 v[144:145], v[132:133], v[144:145]
	ds_load_b128 v[130:133], v2 offset:704
	s_wait_loadcnt_dscnt 0xb01
	v_mul_f64_e32 v[148:149], v[86:87], v[96:97]
	v_mul_f64_e32 v[96:97], v[88:89], v[96:97]
	v_fmac_f64_e32 v[142:143], v[140:141], v[90:91]
	v_fma_f64 v[138:139], v[138:139], v[90:91], -v[92:93]
	scratch_load_b128 v[90:93], off, off offset:320
	v_add_f64_e32 v[4:5], v[4:5], v[146:147]
	v_add_f64_e32 v[8:9], v[144:145], v[8:9]
	v_fmac_f64_e32 v[148:149], v[88:89], v[94:95]
	v_fma_f64 v[146:147], v[86:87], v[94:95], -v[96:97]
	ds_load_b128 v[86:89], v2 offset:720
	s_wait_loadcnt_dscnt 0xb01
	v_mul_f64_e32 v[144:145], v[130:131], v[100:101]
	v_mul_f64_e32 v[100:101], v[132:133], v[100:101]
	scratch_load_b128 v[94:97], off, off offset:336
	v_add_f64_e32 v[4:5], v[4:5], v[138:139]
	v_add_f64_e32 v[8:9], v[8:9], v[142:143]
	s_wait_loadcnt_dscnt 0xb00
	v_mul_f64_e32 v[142:143], v[86:87], v[104:105]
	v_mul_f64_e32 v[104:105], v[88:89], v[104:105]
	ds_load_b128 v[138:141], v2 offset:736
	v_fmac_f64_e32 v[144:145], v[132:133], v[98:99]
	v_fma_f64 v[130:131], v[130:131], v[98:99], -v[100:101]
	scratch_load_b128 v[98:101], off, off offset:352
	v_add_f64_e32 v[4:5], v[4:5], v[146:147]
	v_add_f64_e32 v[8:9], v[8:9], v[148:149]
	v_fmac_f64_e32 v[142:143], v[88:89], v[102:103]
	v_fma_f64 v[148:149], v[86:87], v[102:103], -v[104:105]
	ds_load_b128 v[86:89], v2 offset:752
	s_wait_loadcnt_dscnt 0xb01
	v_mul_f64_e32 v[146:147], v[138:139], v[108:109]
	v_mul_f64_e32 v[108:109], v[140:141], v[108:109]
	scratch_load_b128 v[102:105], off, off offset:368
	v_add_f64_e32 v[4:5], v[4:5], v[130:131]
	v_add_f64_e32 v[8:9], v[8:9], v[144:145]
	s_wait_loadcnt_dscnt 0xb00
	v_mul_f64_e32 v[144:145], v[86:87], v[112:113]
	v_mul_f64_e32 v[112:113], v[88:89], v[112:113]
	ds_load_b128 v[130:133], v2 offset:768
	;; [unrolled: 18-line block ×3, first 2 shown]
	v_fmac_f64_e32 v[142:143], v[132:133], v[114:115]
	v_fma_f64 v[130:131], v[130:131], v[114:115], -v[116:117]
	scratch_load_b128 v[114:117], off, off offset:416
	v_add_f64_e32 v[4:5], v[4:5], v[148:149]
	v_add_f64_e32 v[8:9], v[8:9], v[144:145]
	v_fmac_f64_e32 v[146:147], v[88:89], v[122:123]
	v_fma_f64 v[148:149], v[86:87], v[122:123], -v[124:125]
	ds_load_b128 v[86:89], v2 offset:816
	s_wait_loadcnt_dscnt 0x901
	v_mul_f64_e32 v[144:145], v[138:139], v[12:13]
	v_mul_f64_e32 v[12:13], v[140:141], v[12:13]
	scratch_load_b128 v[122:125], off, off offset:432
	v_add_f64_e32 v[4:5], v[4:5], v[130:131]
	v_add_f64_e32 v[8:9], v[8:9], v[142:143]
	s_wait_dscnt 0x0
	v_mul_f64_e32 v[142:143], v[86:87], v[136:137]
	v_mul_f64_e32 v[136:137], v[88:89], v[136:137]
	ds_load_b128 v[130:133], v2 offset:832
	v_fmac_f64_e32 v[144:145], v[140:141], v[10:11]
	v_fma_f64 v[12:13], v[138:139], v[10:11], -v[12:13]
	v_add_f64_e32 v[4:5], v[4:5], v[148:149]
	v_add_f64_e32 v[138:139], v[8:9], v[146:147]
	scratch_load_b128 v[8:11], off, off offset:448
	v_fmac_f64_e32 v[142:143], v[88:89], v[134:135]
	v_fma_f64 v[88:89], v[86:87], v[134:135], -v[136:137]
	scratch_load_b128 v[134:137], off, off offset:464
	v_add_f64_e32 v[4:5], v[4:5], v[12:13]
	v_add_f64_e32 v[12:13], v[138:139], v[144:145]
	ds_load_b128 v[138:141], v2 offset:864
	s_wait_loadcnt_dscnt 0xb01
	v_mul_f64_e32 v[146:147], v[130:131], v[84:85]
	v_mul_f64_e32 v[148:149], v[132:133], v[84:85]
	ds_load_b128 v[84:87], v2 offset:848
	s_wait_loadcnt_dscnt 0xa00
	v_mul_f64_e32 v[144:145], v[84:85], v[120:121]
	v_mul_f64_e32 v[120:121], v[86:87], v[120:121]
	v_add_f64_e32 v[4:5], v[4:5], v[88:89]
	v_add_f64_e32 v[12:13], v[12:13], v[142:143]
	s_wait_loadcnt 0x9
	v_mul_f64_e32 v[142:143], v[138:139], v[92:93]
	v_fmac_f64_e32 v[146:147], v[132:133], v[82:83]
	v_fma_f64 v[82:83], v[130:131], v[82:83], -v[148:149]
	scratch_load_b128 v[130:133], off, off offset:480
	v_mul_f64_e32 v[92:93], v[140:141], v[92:93]
	v_fmac_f64_e32 v[144:145], v[86:87], v[118:119]
	v_fma_f64 v[148:149], v[84:85], v[118:119], -v[120:121]
	scratch_load_b128 v[86:89], off, off offset:496
	ds_load_b128 v[118:121], v2 offset:896
	v_fmac_f64_e32 v[142:143], v[140:141], v[90:91]
	v_add_f64_e32 v[12:13], v[12:13], v[146:147]
	v_add_f64_e32 v[4:5], v[4:5], v[82:83]
	ds_load_b128 v[82:85], v2 offset:880
	v_fma_f64 v[138:139], v[138:139], v[90:91], -v[92:93]
	scratch_load_b128 v[90:93], off, off offset:512
	s_wait_loadcnt_dscnt 0xb00
	v_mul_f64_e32 v[146:147], v[82:83], v[96:97]
	v_mul_f64_e32 v[96:97], v[84:85], v[96:97]
	v_add_f64_e32 v[12:13], v[12:13], v[144:145]
	v_add_f64_e32 v[4:5], v[4:5], v[148:149]
	s_wait_loadcnt 0xa
	v_mul_f64_e32 v[144:145], v[118:119], v[100:101]
	v_mul_f64_e32 v[100:101], v[120:121], v[100:101]
	v_fmac_f64_e32 v[146:147], v[84:85], v[94:95]
	v_fma_f64 v[148:149], v[82:83], v[94:95], -v[96:97]
	ds_load_b128 v[82:85], v2 offset:912
	scratch_load_b128 v[94:97], off, off offset:528
	v_add_f64_e32 v[12:13], v[12:13], v[142:143]
	v_add_f64_e32 v[4:5], v[4:5], v[138:139]
	ds_load_b128 v[138:141], v2 offset:928
	v_fmac_f64_e32 v[144:145], v[120:121], v[98:99]
	v_fma_f64 v[98:99], v[118:119], v[98:99], -v[100:101]
	s_wait_loadcnt_dscnt 0xa01
	v_mul_f64_e32 v[142:143], v[82:83], v[104:105]
	v_mul_f64_e32 v[104:105], v[84:85], v[104:105]
	s_wait_loadcnt_dscnt 0x900
	v_mul_f64_e32 v[118:119], v[138:139], v[108:109]
	v_mul_f64_e32 v[108:109], v[140:141], v[108:109]
	v_add_f64_e32 v[12:13], v[12:13], v[146:147]
	v_add_f64_e32 v[4:5], v[4:5], v[148:149]
	v_fmac_f64_e32 v[142:143], v[84:85], v[102:103]
	v_fma_f64 v[102:103], v[82:83], v[102:103], -v[104:105]
	v_fmac_f64_e32 v[118:119], v[140:141], v[106:107]
	v_fma_f64 v[106:107], v[138:139], v[106:107], -v[108:109]
	v_add_f64_e32 v[12:13], v[12:13], v[144:145]
	v_add_f64_e32 v[4:5], v[4:5], v[98:99]
	ds_load_b128 v[82:85], v2 offset:944
	ds_load_b128 v[98:101], v2 offset:960
	s_wait_loadcnt_dscnt 0x801
	v_mul_f64_e32 v[120:121], v[82:83], v[112:113]
	v_mul_f64_e32 v[104:105], v[84:85], v[112:113]
	s_wait_loadcnt_dscnt 0x700
	v_mul_f64_e32 v[108:109], v[98:99], v[116:117]
	v_mul_f64_e32 v[112:113], v[100:101], v[116:117]
	v_add_f64_e32 v[12:13], v[12:13], v[142:143]
	v_add_f64_e32 v[4:5], v[4:5], v[102:103]
	v_fmac_f64_e32 v[120:121], v[84:85], v[110:111]
	v_fma_f64 v[110:111], v[82:83], v[110:111], -v[104:105]
	ds_load_b128 v[82:85], v2 offset:976
	ds_load_b128 v[102:105], v2 offset:992
	v_fmac_f64_e32 v[108:109], v[100:101], v[114:115]
	v_fma_f64 v[98:99], v[98:99], v[114:115], -v[112:113]
	v_add_f64_e32 v[12:13], v[12:13], v[118:119]
	v_add_f64_e32 v[4:5], v[4:5], v[106:107]
	s_wait_loadcnt_dscnt 0x601
	v_mul_f64_e32 v[106:107], v[82:83], v[124:125]
	v_mul_f64_e32 v[116:117], v[84:85], v[124:125]
	s_wait_loadcnt_dscnt 0x500
	v_mul_f64_e32 v[100:101], v[102:103], v[10:11]
	v_add_f64_e32 v[12:13], v[12:13], v[120:121]
	v_add_f64_e32 v[4:5], v[4:5], v[110:111]
	v_mul_f64_e32 v[110:111], v[104:105], v[10:11]
	v_fmac_f64_e32 v[106:107], v[84:85], v[122:123]
	v_fma_f64 v[112:113], v[82:83], v[122:123], -v[116:117]
	v_fmac_f64_e32 v[100:101], v[104:105], v[8:9]
	v_add_f64_e32 v[4:5], v[4:5], v[98:99]
	v_add_f64_e32 v[98:99], v[12:13], v[108:109]
	ds_load_b128 v[10:13], v2 offset:1008
	ds_load_b128 v[82:85], v2 offset:1024
	v_fma_f64 v[8:9], v[102:103], v[8:9], -v[110:111]
	s_wait_loadcnt_dscnt 0x401
	v_mul_f64_e32 v[108:109], v[10:11], v[136:137]
	v_mul_f64_e32 v[114:115], v[12:13], v[136:137]
	v_add_f64_e32 v[4:5], v[4:5], v[112:113]
	v_add_f64_e32 v[98:99], v[98:99], v[106:107]
	s_wait_loadcnt_dscnt 0x300
	v_mul_f64_e32 v[102:103], v[82:83], v[132:133]
	v_mul_f64_e32 v[104:105], v[84:85], v[132:133]
	v_fmac_f64_e32 v[108:109], v[12:13], v[134:135]
	v_fma_f64 v[12:13], v[10:11], v[134:135], -v[114:115]
	v_add_f64_e32 v[4:5], v[4:5], v[8:9]
	v_add_f64_e32 v[106:107], v[98:99], v[100:101]
	ds_load_b128 v[8:11], v2 offset:1040
	ds_load_b128 v[98:101], v2 offset:1056
	v_fmac_f64_e32 v[102:103], v[84:85], v[130:131]
	v_fma_f64 v[82:83], v[82:83], v[130:131], -v[104:105]
	s_wait_loadcnt_dscnt 0x201
	v_mul_f64_e32 v[110:111], v[8:9], v[88:89]
	v_mul_f64_e32 v[88:89], v[10:11], v[88:89]
	s_wait_loadcnt_dscnt 0x100
	v_mul_f64_e32 v[84:85], v[98:99], v[92:93]
	v_mul_f64_e32 v[92:93], v[100:101], v[92:93]
	v_add_f64_e32 v[4:5], v[4:5], v[12:13]
	v_add_f64_e32 v[12:13], v[106:107], v[108:109]
	v_fmac_f64_e32 v[110:111], v[10:11], v[86:87]
	v_fma_f64 v[86:87], v[8:9], v[86:87], -v[88:89]
	ds_load_b128 v[8:11], v2 offset:1072
	v_fmac_f64_e32 v[84:85], v[100:101], v[90:91]
	v_fma_f64 v[90:91], v[98:99], v[90:91], -v[92:93]
	v_add_f64_e32 v[4:5], v[4:5], v[82:83]
	v_add_f64_e32 v[12:13], v[12:13], v[102:103]
	s_wait_loadcnt_dscnt 0x0
	v_mul_f64_e32 v[82:83], v[8:9], v[96:97]
	v_mul_f64_e32 v[88:89], v[10:11], v[96:97]
	s_delay_alu instid0(VALU_DEP_4) | instskip(NEXT) | instid1(VALU_DEP_4)
	v_add_f64_e32 v[4:5], v[4:5], v[86:87]
	v_add_f64_e32 v[12:13], v[12:13], v[110:111]
	s_delay_alu instid0(VALU_DEP_4) | instskip(NEXT) | instid1(VALU_DEP_4)
	v_fmac_f64_e32 v[82:83], v[10:11], v[94:95]
	v_fma_f64 v[8:9], v[8:9], v[94:95], -v[88:89]
	s_delay_alu instid0(VALU_DEP_4) | instskip(NEXT) | instid1(VALU_DEP_4)
	v_add_f64_e32 v[4:5], v[4:5], v[90:91]
	v_add_f64_e32 v[10:11], v[12:13], v[84:85]
	s_delay_alu instid0(VALU_DEP_2) | instskip(NEXT) | instid1(VALU_DEP_2)
	v_add_f64_e32 v[4:5], v[4:5], v[8:9]
	v_add_f64_e32 v[10:11], v[10:11], v[82:83]
	s_delay_alu instid0(VALU_DEP_2) | instskip(NEXT) | instid1(VALU_DEP_2)
	v_add_f64_e64 v[8:9], v[126:127], -v[4:5]
	v_add_f64_e64 v[10:11], v[128:129], -v[10:11]
	scratch_store_b128 off, v[8:11], off offset:64
	s_wait_xcnt 0x0
	v_cmpx_lt_u32_e32 3, v1
	s_cbranch_execz .LBB33_211
; %bb.210:
	scratch_load_b128 v[8:11], off, s31
	v_dual_mov_b32 v3, v2 :: v_dual_mov_b32 v4, v2
	v_mov_b32_e32 v5, v2
	scratch_store_b128 off, v[2:5], off offset:48
	s_wait_loadcnt 0x0
	ds_store_b128 v6, v[8:11]
.LBB33_211:
	s_wait_xcnt 0x0
	s_or_b32 exec_lo, exec_lo, s2
	s_wait_storecnt_dscnt 0x0
	s_barrier_signal -1
	s_barrier_wait -1
	s_clause 0x9
	scratch_load_b128 v[8:11], off, off offset:64
	scratch_load_b128 v[82:85], off, off offset:80
	;; [unrolled: 1-line block ×10, first 2 shown]
	ds_load_b128 v[118:121], v2 offset:608
	ds_load_b128 v[126:129], v2 offset:624
	s_clause 0x1
	scratch_load_b128 v[122:125], off, off offset:224
	scratch_load_b128 v[130:133], off, off offset:48
	s_mov_b32 s2, exec_lo
	s_wait_loadcnt_dscnt 0xb01
	v_mul_f64_e32 v[4:5], v[120:121], v[10:11]
	v_mul_f64_e32 v[142:143], v[118:119], v[10:11]
	scratch_load_b128 v[10:13], off, off offset:240
	s_wait_loadcnt_dscnt 0xb00
	v_mul_f64_e32 v[144:145], v[126:127], v[84:85]
	v_mul_f64_e32 v[84:85], v[128:129], v[84:85]
	v_fma_f64 v[4:5], v[118:119], v[8:9], -v[4:5]
	v_fmac_f64_e32 v[142:143], v[120:121], v[8:9]
	ds_load_b128 v[118:121], v2 offset:640
	ds_load_b128 v[134:137], v2 offset:656
	scratch_load_b128 v[138:141], off, off offset:256
	v_fmac_f64_e32 v[144:145], v[128:129], v[82:83]
	v_fma_f64 v[126:127], v[126:127], v[82:83], -v[84:85]
	scratch_load_b128 v[82:85], off, off offset:272
	s_wait_loadcnt_dscnt 0xc01
	v_mul_f64_e32 v[8:9], v[118:119], v[88:89]
	v_mul_f64_e32 v[88:89], v[120:121], v[88:89]
	v_add_f64_e32 v[4:5], 0, v[4:5]
	v_add_f64_e32 v[128:129], 0, v[142:143]
	s_wait_loadcnt_dscnt 0xb00
	v_mul_f64_e32 v[142:143], v[134:135], v[92:93]
	v_mul_f64_e32 v[92:93], v[136:137], v[92:93]
	v_fmac_f64_e32 v[8:9], v[120:121], v[86:87]
	v_fma_f64 v[146:147], v[118:119], v[86:87], -v[88:89]
	ds_load_b128 v[86:89], v2 offset:672
	ds_load_b128 v[118:121], v2 offset:688
	v_add_f64_e32 v[4:5], v[4:5], v[126:127]
	v_add_f64_e32 v[144:145], v[128:129], v[144:145]
	scratch_load_b128 v[126:129], off, off offset:288
	v_fmac_f64_e32 v[142:143], v[136:137], v[90:91]
	v_fma_f64 v[134:135], v[134:135], v[90:91], -v[92:93]
	scratch_load_b128 v[90:93], off, off offset:304
	s_wait_loadcnt_dscnt 0xc01
	v_mul_f64_e32 v[148:149], v[86:87], v[96:97]
	v_mul_f64_e32 v[96:97], v[88:89], v[96:97]
	v_add_f64_e32 v[4:5], v[4:5], v[146:147]
	v_add_f64_e32 v[8:9], v[144:145], v[8:9]
	s_wait_loadcnt_dscnt 0xb00
	v_mul_f64_e32 v[144:145], v[118:119], v[100:101]
	v_mul_f64_e32 v[100:101], v[120:121], v[100:101]
	v_fmac_f64_e32 v[148:149], v[88:89], v[94:95]
	v_fma_f64 v[146:147], v[86:87], v[94:95], -v[96:97]
	ds_load_b128 v[86:89], v2 offset:704
	ds_load_b128 v[94:97], v2 offset:720
	v_add_f64_e32 v[4:5], v[4:5], v[134:135]
	v_add_f64_e32 v[8:9], v[8:9], v[142:143]
	scratch_load_b128 v[134:137], off, off offset:320
	s_wait_loadcnt_dscnt 0xb01
	v_mul_f64_e32 v[142:143], v[86:87], v[104:105]
	v_mul_f64_e32 v[104:105], v[88:89], v[104:105]
	v_fmac_f64_e32 v[144:145], v[120:121], v[98:99]
	v_fma_f64 v[118:119], v[118:119], v[98:99], -v[100:101]
	scratch_load_b128 v[98:101], off, off offset:336
	v_add_f64_e32 v[4:5], v[4:5], v[146:147]
	v_add_f64_e32 v[8:9], v[8:9], v[148:149]
	s_wait_loadcnt_dscnt 0xb00
	v_mul_f64_e32 v[146:147], v[94:95], v[108:109]
	v_mul_f64_e32 v[108:109], v[96:97], v[108:109]
	v_fmac_f64_e32 v[142:143], v[88:89], v[102:103]
	v_fma_f64 v[148:149], v[86:87], v[102:103], -v[104:105]
	ds_load_b128 v[86:89], v2 offset:736
	ds_load_b128 v[102:105], v2 offset:752
	v_add_f64_e32 v[4:5], v[4:5], v[118:119]
	v_add_f64_e32 v[8:9], v[8:9], v[144:145]
	scratch_load_b128 v[118:121], off, off offset:352
	s_wait_loadcnt_dscnt 0xb01
	v_mul_f64_e32 v[144:145], v[86:87], v[112:113]
	v_mul_f64_e32 v[112:113], v[88:89], v[112:113]
	v_fmac_f64_e32 v[146:147], v[96:97], v[106:107]
	v_fma_f64 v[106:107], v[94:95], v[106:107], -v[108:109]
	scratch_load_b128 v[94:97], off, off offset:368
	v_add_f64_e32 v[4:5], v[4:5], v[148:149]
	v_add_f64_e32 v[8:9], v[8:9], v[142:143]
	s_wait_loadcnt_dscnt 0xb00
	v_mul_f64_e32 v[142:143], v[102:103], v[116:117]
	v_mul_f64_e32 v[116:117], v[104:105], v[116:117]
	v_fmac_f64_e32 v[144:145], v[88:89], v[110:111]
	v_fma_f64 v[148:149], v[86:87], v[110:111], -v[112:113]
	v_add_f64_e32 v[4:5], v[4:5], v[106:107]
	v_add_f64_e32 v[8:9], v[8:9], v[146:147]
	ds_load_b128 v[86:89], v2 offset:768
	ds_load_b128 v[106:109], v2 offset:784
	scratch_load_b128 v[110:113], off, off offset:384
	v_fmac_f64_e32 v[142:143], v[104:105], v[114:115]
	v_fma_f64 v[114:115], v[102:103], v[114:115], -v[116:117]
	scratch_load_b128 v[102:105], off, off offset:400
	s_wait_loadcnt_dscnt 0xc01
	v_mul_f64_e32 v[146:147], v[86:87], v[124:125]
	v_mul_f64_e32 v[124:125], v[88:89], v[124:125]
	v_add_f64_e32 v[4:5], v[4:5], v[148:149]
	v_add_f64_e32 v[8:9], v[8:9], v[144:145]
	s_wait_loadcnt_dscnt 0xa00
	v_mul_f64_e32 v[144:145], v[106:107], v[12:13]
	v_mul_f64_e32 v[12:13], v[108:109], v[12:13]
	v_fmac_f64_e32 v[146:147], v[88:89], v[122:123]
	v_fma_f64 v[148:149], v[86:87], v[122:123], -v[124:125]
	v_add_f64_e32 v[4:5], v[4:5], v[114:115]
	v_add_f64_e32 v[8:9], v[8:9], v[142:143]
	ds_load_b128 v[86:89], v2 offset:800
	ds_load_b128 v[114:117], v2 offset:816
	scratch_load_b128 v[122:125], off, off offset:416
	v_fmac_f64_e32 v[144:145], v[108:109], v[10:11]
	v_fma_f64 v[12:13], v[106:107], v[10:11], -v[12:13]
	s_wait_loadcnt_dscnt 0xa01
	v_mul_f64_e32 v[142:143], v[86:87], v[140:141]
	v_mul_f64_e32 v[140:141], v[88:89], v[140:141]
	v_add_f64_e32 v[4:5], v[4:5], v[148:149]
	v_add_f64_e32 v[106:107], v[8:9], v[146:147]
	scratch_load_b128 v[8:11], off, off offset:432
	s_wait_loadcnt_dscnt 0xa00
	v_mul_f64_e32 v[146:147], v[114:115], v[84:85]
	v_mul_f64_e32 v[148:149], v[116:117], v[84:85]
	v_fmac_f64_e32 v[142:143], v[88:89], v[138:139]
	v_fma_f64 v[88:89], v[86:87], v[138:139], -v[140:141]
	v_add_f64_e32 v[4:5], v[4:5], v[12:13]
	v_add_f64_e32 v[12:13], v[106:107], v[144:145]
	ds_load_b128 v[84:87], v2 offset:832
	ds_load_b128 v[106:109], v2 offset:848
	scratch_load_b128 v[138:141], off, off offset:448
	v_fmac_f64_e32 v[146:147], v[116:117], v[82:83]
	v_fma_f64 v[82:83], v[114:115], v[82:83], -v[148:149]
	scratch_load_b128 v[114:117], off, off offset:464
	s_wait_loadcnt_dscnt 0xb01
	v_mul_f64_e32 v[144:145], v[84:85], v[128:129]
	v_mul_f64_e32 v[128:129], v[86:87], v[128:129]
	v_add_f64_e32 v[4:5], v[4:5], v[88:89]
	v_add_f64_e32 v[12:13], v[12:13], v[142:143]
	s_wait_loadcnt_dscnt 0xa00
	v_mul_f64_e32 v[142:143], v[106:107], v[92:93]
	v_mul_f64_e32 v[92:93], v[108:109], v[92:93]
	v_fmac_f64_e32 v[144:145], v[86:87], v[126:127]
	v_fma_f64 v[148:149], v[84:85], v[126:127], -v[128:129]
	v_add_f64_e32 v[4:5], v[4:5], v[82:83]
	v_add_f64_e32 v[12:13], v[12:13], v[146:147]
	ds_load_b128 v[82:85], v2 offset:864
	ds_load_b128 v[86:89], v2 offset:880
	scratch_load_b128 v[126:129], off, off offset:480
	v_fmac_f64_e32 v[142:143], v[108:109], v[90:91]
	v_fma_f64 v[106:107], v[106:107], v[90:91], -v[92:93]
	scratch_load_b128 v[90:93], off, off offset:496
	s_wait_loadcnt_dscnt 0xb01
	v_mul_f64_e32 v[146:147], v[82:83], v[136:137]
	v_mul_f64_e32 v[136:137], v[84:85], v[136:137]
	v_add_f64_e32 v[4:5], v[4:5], v[148:149]
	v_add_f64_e32 v[12:13], v[12:13], v[144:145]
	s_wait_loadcnt_dscnt 0xa00
	v_mul_f64_e32 v[144:145], v[86:87], v[100:101]
	v_mul_f64_e32 v[100:101], v[88:89], v[100:101]
	v_fmac_f64_e32 v[146:147], v[84:85], v[134:135]
	v_fma_f64 v[148:149], v[82:83], v[134:135], -v[136:137]
	v_add_f64_e32 v[4:5], v[4:5], v[106:107]
	v_add_f64_e32 v[12:13], v[12:13], v[142:143]
	ds_load_b128 v[82:85], v2 offset:896
	ds_load_b128 v[106:109], v2 offset:912
	scratch_load_b128 v[134:137], off, off offset:512
	v_fmac_f64_e32 v[144:145], v[88:89], v[98:99]
	v_fma_f64 v[98:99], v[86:87], v[98:99], -v[100:101]
	scratch_load_b128 v[86:89], off, off offset:528
	s_wait_loadcnt_dscnt 0xb01
	v_mul_f64_e32 v[142:143], v[82:83], v[120:121]
	v_mul_f64_e32 v[120:121], v[84:85], v[120:121]
	s_wait_loadcnt_dscnt 0xa00
	v_mul_f64_e32 v[100:101], v[106:107], v[96:97]
	v_add_f64_e32 v[4:5], v[4:5], v[148:149]
	v_add_f64_e32 v[12:13], v[12:13], v[146:147]
	v_mul_f64_e32 v[146:147], v[108:109], v[96:97]
	v_fmac_f64_e32 v[142:143], v[84:85], v[118:119]
	v_fma_f64 v[118:119], v[82:83], v[118:119], -v[120:121]
	v_fmac_f64_e32 v[100:101], v[108:109], v[94:95]
	v_add_f64_e32 v[4:5], v[4:5], v[98:99]
	v_add_f64_e32 v[12:13], v[12:13], v[144:145]
	ds_load_b128 v[82:85], v2 offset:928
	ds_load_b128 v[96:99], v2 offset:944
	v_fma_f64 v[94:95], v[106:107], v[94:95], -v[146:147]
	s_wait_loadcnt_dscnt 0x901
	v_mul_f64_e32 v[120:121], v[82:83], v[112:113]
	v_mul_f64_e32 v[112:113], v[84:85], v[112:113]
	s_wait_loadcnt_dscnt 0x800
	v_mul_f64_e32 v[108:109], v[96:97], v[104:105]
	v_add_f64_e32 v[4:5], v[4:5], v[118:119]
	v_add_f64_e32 v[12:13], v[12:13], v[142:143]
	v_mul_f64_e32 v[118:119], v[98:99], v[104:105]
	v_fmac_f64_e32 v[120:121], v[84:85], v[110:111]
	v_fma_f64 v[110:111], v[82:83], v[110:111], -v[112:113]
	ds_load_b128 v[82:85], v2 offset:960
	ds_load_b128 v[104:107], v2 offset:976
	v_fmac_f64_e32 v[108:109], v[98:99], v[102:103]
	v_add_f64_e32 v[4:5], v[4:5], v[94:95]
	v_add_f64_e32 v[12:13], v[12:13], v[100:101]
	v_fma_f64 v[96:97], v[96:97], v[102:103], -v[118:119]
	s_wait_loadcnt_dscnt 0x701
	v_mul_f64_e32 v[94:95], v[82:83], v[124:125]
	v_mul_f64_e32 v[100:101], v[84:85], v[124:125]
	v_add_f64_e32 v[4:5], v[4:5], v[110:111]
	v_add_f64_e32 v[12:13], v[12:13], v[120:121]
	s_wait_loadcnt_dscnt 0x600
	v_mul_f64_e32 v[98:99], v[104:105], v[10:11]
	v_mul_f64_e32 v[102:103], v[106:107], v[10:11]
	v_fmac_f64_e32 v[94:95], v[84:85], v[122:123]
	v_fma_f64 v[100:101], v[82:83], v[122:123], -v[100:101]
	v_add_f64_e32 v[4:5], v[4:5], v[96:97]
	v_add_f64_e32 v[96:97], v[12:13], v[108:109]
	ds_load_b128 v[10:13], v2 offset:992
	ds_load_b128 v[82:85], v2 offset:1008
	v_fmac_f64_e32 v[98:99], v[106:107], v[8:9]
	v_fma_f64 v[8:9], v[104:105], v[8:9], -v[102:103]
	s_wait_loadcnt_dscnt 0x501
	v_mul_f64_e32 v[108:109], v[10:11], v[140:141]
	v_mul_f64_e32 v[110:111], v[12:13], v[140:141]
	s_wait_loadcnt_dscnt 0x400
	v_mul_f64_e32 v[102:103], v[84:85], v[116:117]
	v_add_f64_e32 v[4:5], v[4:5], v[100:101]
	v_add_f64_e32 v[94:95], v[96:97], v[94:95]
	v_mul_f64_e32 v[100:101], v[82:83], v[116:117]
	v_fmac_f64_e32 v[108:109], v[12:13], v[138:139]
	v_fma_f64 v[12:13], v[10:11], v[138:139], -v[110:111]
	v_fma_f64 v[82:83], v[82:83], v[114:115], -v[102:103]
	v_add_f64_e32 v[4:5], v[4:5], v[8:9]
	v_add_f64_e32 v[98:99], v[94:95], v[98:99]
	ds_load_b128 v[8:11], v2 offset:1024
	ds_load_b128 v[94:97], v2 offset:1040
	v_fmac_f64_e32 v[100:101], v[84:85], v[114:115]
	s_wait_loadcnt_dscnt 0x301
	v_mul_f64_e32 v[104:105], v[8:9], v[128:129]
	v_mul_f64_e32 v[106:107], v[10:11], v[128:129]
	s_wait_loadcnt_dscnt 0x200
	v_mul_f64_e32 v[84:85], v[94:95], v[92:93]
	v_mul_f64_e32 v[92:93], v[96:97], v[92:93]
	v_add_f64_e32 v[4:5], v[4:5], v[12:13]
	v_add_f64_e32 v[12:13], v[98:99], v[108:109]
	v_fmac_f64_e32 v[104:105], v[10:11], v[126:127]
	v_fma_f64 v[98:99], v[8:9], v[126:127], -v[106:107]
	v_fmac_f64_e32 v[84:85], v[96:97], v[90:91]
	v_fma_f64 v[90:91], v[94:95], v[90:91], -v[92:93]
	v_add_f64_e32 v[82:83], v[4:5], v[82:83]
	v_add_f64_e32 v[12:13], v[12:13], v[100:101]
	ds_load_b128 v[8:11], v2 offset:1056
	ds_load_b128 v[2:5], v2 offset:1072
	s_wait_loadcnt_dscnt 0x101
	v_mul_f64_e32 v[100:101], v[8:9], v[136:137]
	v_mul_f64_e32 v[102:103], v[10:11], v[136:137]
	s_wait_loadcnt_dscnt 0x0
	v_mul_f64_e32 v[92:93], v[2:3], v[88:89]
	v_mul_f64_e32 v[88:89], v[4:5], v[88:89]
	v_add_f64_e32 v[82:83], v[82:83], v[98:99]
	v_add_f64_e32 v[12:13], v[12:13], v[104:105]
	v_fmac_f64_e32 v[100:101], v[10:11], v[134:135]
	v_fma_f64 v[8:9], v[8:9], v[134:135], -v[102:103]
	v_fmac_f64_e32 v[92:93], v[4:5], v[86:87]
	v_fma_f64 v[2:3], v[2:3], v[86:87], -v[88:89]
	v_add_f64_e32 v[10:11], v[82:83], v[90:91]
	v_add_f64_e32 v[12:13], v[12:13], v[84:85]
	s_delay_alu instid0(VALU_DEP_2) | instskip(NEXT) | instid1(VALU_DEP_2)
	v_add_f64_e32 v[4:5], v[10:11], v[8:9]
	v_add_f64_e32 v[8:9], v[12:13], v[100:101]
	s_delay_alu instid0(VALU_DEP_2) | instskip(NEXT) | instid1(VALU_DEP_2)
	;; [unrolled: 3-line block ×3, first 2 shown]
	v_add_f64_e64 v[2:3], v[130:131], -v[2:3]
	v_add_f64_e64 v[4:5], v[132:133], -v[4:5]
	scratch_store_b128 off, v[2:5], off offset:48
	s_wait_xcnt 0x0
	v_cmpx_lt_u32_e32 2, v1
	s_cbranch_execz .LBB33_213
; %bb.212:
	scratch_load_b128 v[2:5], off, s30
	v_mov_b32_e32 v8, 0
	s_delay_alu instid0(VALU_DEP_1)
	v_dual_mov_b32 v9, v8 :: v_dual_mov_b32 v10, v8
	v_mov_b32_e32 v11, v8
	scratch_store_b128 off, v[8:11], off offset:32
	s_wait_loadcnt 0x0
	ds_store_b128 v6, v[2:5]
.LBB33_213:
	s_wait_xcnt 0x0
	s_or_b32 exec_lo, exec_lo, s2
	s_wait_storecnt_dscnt 0x0
	s_barrier_signal -1
	s_barrier_wait -1
	s_clause 0x9
	scratch_load_b128 v[8:11], off, off offset:48
	scratch_load_b128 v[82:85], off, off offset:64
	;; [unrolled: 1-line block ×10, first 2 shown]
	v_mov_b32_e32 v2, 0
	ds_load_b128 v[118:121], v2 offset:592
	ds_load_b128 v[122:125], v2 offset:608
	scratch_load_b128 v[126:129], off, off offset:32
	s_mov_b32 s2, exec_lo
	v_dual_ashrrev_i32 v21, 31, v20 :: v_dual_ashrrev_i32 v19, 31, v18
	v_ashrrev_i32_e32 v23, 31, v22
	v_ashrrev_i32_e32 v27, 31, v26
	;; [unrolled: 1-line block ×3, first 2 shown]
	v_dual_ashrrev_i32 v35, 31, v34 :: v_dual_ashrrev_i32 v25, 31, v24
	v_ashrrev_i32_e32 v43, 31, v42
	v_ashrrev_i32_e32 v47, 31, v46
	;; [unrolled: 1-line block ×3, first 2 shown]
	v_dual_ashrrev_i32 v51, 31, v50 :: v_dual_ashrrev_i32 v29, 31, v28
	v_dual_ashrrev_i32 v37, 31, v36 :: v_dual_ashrrev_i32 v55, 31, v54
	;; [unrolled: 1-line block ×6, first 2 shown]
	v_ashrrev_i32_e32 v53, 31, v52
	v_ashrrev_i32_e32 v61, 31, v60
	v_dual_ashrrev_i32 v57, 31, v56 :: v_dual_ashrrev_i32 v75, 31, v74
	v_dual_ashrrev_i32 v79, 31, v78 :: v_dual_ashrrev_i32 v65, 31, v64
	v_ashrrev_i32_e32 v69, 31, v68
	v_ashrrev_i32_e32 v73, 31, v72
	;; [unrolled: 1-line block ×3, first 2 shown]
	s_wait_loadcnt_dscnt 0xa01
	v_dual_mul_f64 v[4:5], v[118:119], v[10:11] :: v_dual_ashrrev_i32 v81, 31, v80
	v_mul_f64_e32 v[134:135], v[120:121], v[10:11]
	scratch_load_b128 v[10:13], off, off offset:208
	s_wait_loadcnt_dscnt 0xa00
	v_mul_f64_e32 v[138:139], v[122:123], v[84:85]
	v_mul_f64_e32 v[84:85], v[124:125], v[84:85]
	ds_load_b128 v[130:133], v2 offset:624
	v_fmac_f64_e32 v[4:5], v[120:121], v[8:9]
	v_fma_f64 v[8:9], v[118:119], v[8:9], -v[134:135]
	scratch_load_b128 v[118:121], off, off offset:224
	ds_load_b128 v[134:137], v2 offset:640
	s_wait_loadcnt_dscnt 0xa01
	v_mul_f64_e32 v[140:141], v[130:131], v[88:89]
	v_fmac_f64_e32 v[138:139], v[124:125], v[82:83]
	v_fma_f64 v[122:123], v[122:123], v[82:83], -v[84:85]
	v_mul_f64_e32 v[88:89], v[132:133], v[88:89]
	scratch_load_b128 v[82:85], off, off offset:240
	s_wait_loadcnt_dscnt 0xa00
	v_mul_f64_e32 v[142:143], v[134:135], v[92:93]
	v_mul_f64_e32 v[92:93], v[136:137], v[92:93]
	v_add_f64_e32 v[4:5], 0, v[4:5]
	v_add_f64_e32 v[8:9], 0, v[8:9]
	v_fmac_f64_e32 v[140:141], v[132:133], v[86:87]
	v_fma_f64 v[130:131], v[130:131], v[86:87], -v[88:89]
	ds_load_b128 v[86:89], v2 offset:656
	v_fmac_f64_e32 v[142:143], v[136:137], v[90:91]
	v_fma_f64 v[134:135], v[134:135], v[90:91], -v[92:93]
	ds_load_b128 v[90:93], v2 offset:672
	s_wait_loadcnt_dscnt 0x901
	v_mul_f64_e32 v[136:137], v[86:87], v[96:97]
	v_mul_f64_e32 v[96:97], v[88:89], v[96:97]
	v_add_f64_e32 v[4:5], v[4:5], v[138:139]
	v_add_f64_e32 v[8:9], v[8:9], v[122:123]
	scratch_load_b128 v[122:125], off, off offset:256
	s_wait_loadcnt_dscnt 0x900
	v_mul_f64_e32 v[144:145], v[90:91], v[100:101]
	v_mul_f64_e32 v[100:101], v[92:93], v[100:101]
	v_fmac_f64_e32 v[136:137], v[88:89], v[94:95]
	v_fma_f64 v[138:139], v[86:87], v[94:95], -v[96:97]
	scratch_load_b128 v[94:97], off, off offset:288
	ds_load_b128 v[86:89], v2 offset:688
	v_add_f64_e32 v[4:5], v[4:5], v[140:141]
	v_add_f64_e32 v[8:9], v[8:9], v[130:131]
	scratch_load_b128 v[130:133], off, off offset:272
	v_fmac_f64_e32 v[144:145], v[92:93], v[98:99]
	v_add_f64_e32 v[4:5], v[4:5], v[142:143]
	v_add_f64_e32 v[8:9], v[8:9], v[134:135]
	v_fma_f64 v[134:135], v[90:91], v[98:99], -v[100:101]
	ds_load_b128 v[90:93], v2 offset:704
	s_wait_loadcnt_dscnt 0xa01
	v_mul_f64_e32 v[140:141], v[86:87], v[104:105]
	v_mul_f64_e32 v[104:105], v[88:89], v[104:105]
	scratch_load_b128 v[98:101], off, off offset:304
	s_wait_loadcnt_dscnt 0xa00
	v_mul_f64_e32 v[142:143], v[90:91], v[108:109]
	v_mul_f64_e32 v[108:109], v[92:93], v[108:109]
	v_add_f64_e32 v[4:5], v[4:5], v[136:137]
	v_add_f64_e32 v[8:9], v[8:9], v[138:139]
	v_fmac_f64_e32 v[140:141], v[88:89], v[102:103]
	v_fma_f64 v[138:139], v[86:87], v[102:103], -v[104:105]
	scratch_load_b128 v[102:105], off, off offset:320
	ds_load_b128 v[86:89], v2 offset:720
	v_fmac_f64_e32 v[142:143], v[92:93], v[106:107]
	v_add_f64_e32 v[4:5], v[4:5], v[144:145]
	v_add_f64_e32 v[8:9], v[8:9], v[134:135]
	v_fma_f64 v[134:135], v[90:91], v[106:107], -v[108:109]
	ds_load_b128 v[90:93], v2 offset:736
	s_wait_loadcnt_dscnt 0xa01
	v_mul_f64_e32 v[136:137], v[86:87], v[112:113]
	v_mul_f64_e32 v[112:113], v[88:89], v[112:113]
	scratch_load_b128 v[106:109], off, off offset:336
	v_add_f64_e32 v[4:5], v[4:5], v[140:141]
	v_add_f64_e32 v[8:9], v[8:9], v[138:139]
	s_wait_loadcnt_dscnt 0xa00
	v_mul_f64_e32 v[138:139], v[90:91], v[116:117]
	v_mul_f64_e32 v[116:117], v[92:93], v[116:117]
	v_fmac_f64_e32 v[136:137], v[88:89], v[110:111]
	v_fma_f64 v[140:141], v[86:87], v[110:111], -v[112:113]
	scratch_load_b128 v[110:113], off, off offset:352
	ds_load_b128 v[86:89], v2 offset:752
	v_add_f64_e32 v[4:5], v[4:5], v[142:143]
	v_add_f64_e32 v[8:9], v[8:9], v[134:135]
	v_fmac_f64_e32 v[138:139], v[92:93], v[114:115]
	v_fma_f64 v[134:135], v[90:91], v[114:115], -v[116:117]
	ds_load_b128 v[90:93], v2 offset:768
	scratch_load_b128 v[114:117], off, off offset:368
	v_add_f64_e32 v[4:5], v[4:5], v[136:137]
	v_add_f64_e32 v[140:141], v[8:9], v[140:141]
	s_wait_loadcnt_dscnt 0xa01
	v_mul_f64_e32 v[142:143], v[86:87], v[12:13]
	v_mul_f64_e32 v[12:13], v[88:89], v[12:13]
	s_delay_alu instid0(VALU_DEP_4) | instskip(NEXT) | instid1(VALU_DEP_4)
	v_add_f64_e32 v[4:5], v[4:5], v[138:139]
	v_add_f64_e32 v[134:135], v[140:141], v[134:135]
	s_wait_loadcnt_dscnt 0x900
	v_mul_f64_e32 v[136:137], v[90:91], v[120:121]
	v_fmac_f64_e32 v[142:143], v[88:89], v[10:11]
	v_fma_f64 v[12:13], v[86:87], v[10:11], -v[12:13]
	v_mul_f64_e32 v[120:121], v[92:93], v[120:121]
	scratch_load_b128 v[86:89], off, off offset:384
	ds_load_b128 v[8:11], v2 offset:784
	v_fmac_f64_e32 v[136:137], v[92:93], v[118:119]
	v_add_f64_e32 v[4:5], v[4:5], v[142:143]
	v_add_f64_e32 v[12:13], v[134:135], v[12:13]
	v_fma_f64 v[138:139], v[90:91], v[118:119], -v[120:121]
	ds_load_b128 v[90:93], v2 offset:800
	s_wait_loadcnt_dscnt 0x901
	v_mul_f64_e32 v[140:141], v[8:9], v[84:85]
	v_mul_f64_e32 v[84:85], v[10:11], v[84:85]
	scratch_load_b128 v[118:121], off, off offset:400
	s_wait_loadcnt_dscnt 0x900
	v_mul_f64_e32 v[134:135], v[90:91], v[124:125]
	v_mul_f64_e32 v[124:125], v[92:93], v[124:125]
	v_add_f64_e32 v[4:5], v[4:5], v[136:137]
	v_add_f64_e32 v[12:13], v[12:13], v[138:139]
	v_fmac_f64_e32 v[140:141], v[10:11], v[82:83]
	v_fma_f64 v[142:143], v[8:9], v[82:83], -v[84:85]
	scratch_load_b128 v[82:85], off, off offset:416
	ds_load_b128 v[8:11], v2 offset:816
	v_fmac_f64_e32 v[134:135], v[92:93], v[122:123]
	v_fma_f64 v[136:137], v[90:91], v[122:123], -v[124:125]
	ds_load_b128 v[90:93], v2 offset:832
	s_wait_loadcnt_dscnt 0x801
	v_mul_f64_e32 v[138:139], v[8:9], v[132:133]
	v_mul_f64_e32 v[132:133], v[10:11], v[132:133]
	scratch_load_b128 v[122:125], off, off offset:432
	v_add_f64_e32 v[12:13], v[12:13], v[142:143]
	v_add_f64_e32 v[4:5], v[4:5], v[140:141]
	s_wait_dscnt 0x0
	v_mul_f64_e32 v[140:141], v[90:91], v[96:97]
	v_mul_f64_e32 v[96:97], v[92:93], v[96:97]
	v_fmac_f64_e32 v[138:139], v[10:11], v[130:131]
	v_fma_f64 v[142:143], v[8:9], v[130:131], -v[132:133]
	scratch_load_b128 v[8:11], off, off offset:448
	v_add_f64_e32 v[12:13], v[12:13], v[136:137]
	v_add_f64_e32 v[4:5], v[4:5], v[134:135]
	ds_load_b128 v[130:133], v2 offset:848
	v_fmac_f64_e32 v[140:141], v[92:93], v[94:95]
	v_fma_f64 v[134:135], v[90:91], v[94:95], -v[96:97]
	ds_load_b128 v[90:93], v2 offset:864
	scratch_load_b128 v[94:97], off, off offset:464
	s_wait_loadcnt_dscnt 0xa01
	v_mul_f64_e32 v[136:137], v[130:131], v[100:101]
	v_mul_f64_e32 v[100:101], v[132:133], v[100:101]
	v_add_f64_e32 v[12:13], v[12:13], v[142:143]
	v_add_f64_e32 v[4:5], v[4:5], v[138:139]
	s_wait_loadcnt_dscnt 0x900
	v_mul_f64_e32 v[138:139], v[90:91], v[104:105]
	v_mul_f64_e32 v[104:105], v[92:93], v[104:105]
	v_fmac_f64_e32 v[136:137], v[132:133], v[98:99]
	v_fma_f64 v[142:143], v[130:131], v[98:99], -v[100:101]
	scratch_load_b128 v[98:101], off, off offset:480
	ds_load_b128 v[130:133], v2 offset:880
	v_add_f64_e32 v[12:13], v[12:13], v[134:135]
	v_add_f64_e32 v[4:5], v[4:5], v[140:141]
	v_fmac_f64_e32 v[138:139], v[92:93], v[102:103]
	v_fma_f64 v[134:135], v[90:91], v[102:103], -v[104:105]
	ds_load_b128 v[90:93], v2 offset:896
	scratch_load_b128 v[102:105], off, off offset:496
	s_wait_loadcnt_dscnt 0xa01
	v_mul_f64_e32 v[140:141], v[130:131], v[108:109]
	v_mul_f64_e32 v[108:109], v[132:133], v[108:109]
	v_add_f64_e32 v[12:13], v[12:13], v[142:143]
	v_add_f64_e32 v[4:5], v[4:5], v[136:137]
	s_wait_loadcnt_dscnt 0x900
	v_mul_f64_e32 v[136:137], v[90:91], v[112:113]
	v_mul_f64_e32 v[112:113], v[92:93], v[112:113]
	v_fmac_f64_e32 v[140:141], v[132:133], v[106:107]
	v_fma_f64 v[142:143], v[130:131], v[106:107], -v[108:109]
	scratch_load_b128 v[106:109], off, off offset:512
	ds_load_b128 v[130:133], v2 offset:912
	v_add_f64_e32 v[12:13], v[12:13], v[134:135]
	v_add_f64_e32 v[4:5], v[4:5], v[138:139]
	v_fmac_f64_e32 v[136:137], v[92:93], v[110:111]
	v_fma_f64 v[134:135], v[90:91], v[110:111], -v[112:113]
	scratch_load_b128 v[90:93], off, off offset:528
	ds_load_b128 v[110:113], v2 offset:928
	s_wait_loadcnt_dscnt 0xa01
	v_mul_f64_e32 v[138:139], v[130:131], v[116:117]
	v_mul_f64_e32 v[116:117], v[132:133], v[116:117]
	v_add_f64_e32 v[12:13], v[12:13], v[142:143]
	v_add_f64_e32 v[4:5], v[4:5], v[140:141]
	s_delay_alu instid0(VALU_DEP_4) | instskip(NEXT) | instid1(VALU_DEP_4)
	v_fmac_f64_e32 v[138:139], v[132:133], v[114:115]
	v_fma_f64 v[142:143], v[130:131], v[114:115], -v[116:117]
	ds_load_b128 v[114:117], v2 offset:944
	ds_load_b128 v[130:133], v2 offset:960
	s_wait_loadcnt_dscnt 0x902
	v_mul_f64_e32 v[140:141], v[110:111], v[88:89]
	v_mul_f64_e32 v[88:89], v[112:113], v[88:89]
	v_add_f64_e32 v[12:13], v[12:13], v[134:135]
	v_add_f64_e32 v[4:5], v[4:5], v[136:137]
	s_delay_alu instid0(VALU_DEP_4) | instskip(NEXT) | instid1(VALU_DEP_4)
	v_fmac_f64_e32 v[140:141], v[112:113], v[86:87]
	v_fma_f64 v[86:87], v[110:111], v[86:87], -v[88:89]
	s_delay_alu instid0(VALU_DEP_4) | instskip(SKIP_4) | instid1(VALU_DEP_4)
	v_add_f64_e32 v[12:13], v[12:13], v[142:143]
	s_wait_loadcnt_dscnt 0x801
	v_mul_f64_e32 v[134:135], v[114:115], v[120:121]
	v_mul_f64_e32 v[88:89], v[116:117], v[120:121]
	v_add_f64_e32 v[4:5], v[4:5], v[138:139]
	v_add_f64_e32 v[12:13], v[12:13], v[86:87]
	s_wait_loadcnt_dscnt 0x700
	v_mul_f64_e32 v[120:121], v[130:131], v[84:85]
	v_mul_f64_e32 v[136:137], v[132:133], v[84:85]
	v_fmac_f64_e32 v[134:135], v[116:117], v[118:119]
	v_fma_f64 v[88:89], v[114:115], v[118:119], -v[88:89]
	v_add_f64_e32 v[4:5], v[4:5], v[140:141]
	ds_load_b128 v[84:87], v2 offset:976
	ds_load_b128 v[110:113], v2 offset:992
	s_wait_loadcnt_dscnt 0x601
	v_mul_f64_e32 v[114:115], v[84:85], v[124:125]
	v_mul_f64_e32 v[116:117], v[86:87], v[124:125]
	v_fmac_f64_e32 v[120:121], v[132:133], v[82:83]
	v_fma_f64 v[82:83], v[130:131], v[82:83], -v[136:137]
	v_add_f64_e32 v[12:13], v[12:13], v[88:89]
	v_add_f64_e32 v[4:5], v[4:5], v[134:135]
	s_wait_loadcnt_dscnt 0x500
	v_mul_f64_e32 v[88:89], v[110:111], v[10:11]
	v_mul_f64_e32 v[118:119], v[112:113], v[10:11]
	v_fmac_f64_e32 v[114:115], v[86:87], v[122:123]
	v_fma_f64 v[86:87], v[84:85], v[122:123], -v[116:117]
	v_add_f64_e32 v[116:117], v[12:13], v[82:83]
	v_add_f64_e32 v[4:5], v[4:5], v[120:121]
	ds_load_b128 v[10:13], v2 offset:1008
	ds_load_b128 v[82:85], v2 offset:1024
	s_wait_loadcnt_dscnt 0x401
	v_mul_f64_e32 v[120:121], v[10:11], v[96:97]
	v_mul_f64_e32 v[96:97], v[12:13], v[96:97]
	v_fmac_f64_e32 v[88:89], v[112:113], v[8:9]
	v_fma_f64 v[8:9], v[110:111], v[8:9], -v[118:119]
	v_add_f64_e32 v[86:87], v[116:117], v[86:87]
	v_add_f64_e32 v[4:5], v[4:5], v[114:115]
	s_wait_loadcnt_dscnt 0x300
	v_mul_f64_e32 v[110:111], v[82:83], v[100:101]
	v_mul_f64_e32 v[100:101], v[84:85], v[100:101]
	v_fmac_f64_e32 v[120:121], v[12:13], v[94:95]
	v_fma_f64 v[12:13], v[10:11], v[94:95], -v[96:97]
	v_add_f64_e32 v[94:95], v[86:87], v[8:9]
	v_add_f64_e32 v[4:5], v[4:5], v[88:89]
	ds_load_b128 v[8:11], v2 offset:1040
	ds_load_b128 v[86:89], v2 offset:1056
	v_fmac_f64_e32 v[110:111], v[84:85], v[98:99]
	s_wait_loadcnt_dscnt 0x201
	v_mul_f64_e32 v[96:97], v[8:9], v[104:105]
	v_mul_f64_e32 v[104:105], v[10:11], v[104:105]
	v_fma_f64 v[82:83], v[82:83], v[98:99], -v[100:101]
	v_add_f64_e32 v[12:13], v[94:95], v[12:13]
	v_add_f64_e32 v[4:5], v[4:5], v[120:121]
	s_wait_loadcnt_dscnt 0x100
	v_mul_f64_e32 v[84:85], v[86:87], v[108:109]
	v_mul_f64_e32 v[94:95], v[88:89], v[108:109]
	v_fmac_f64_e32 v[96:97], v[10:11], v[102:103]
	v_fma_f64 v[98:99], v[8:9], v[102:103], -v[104:105]
	ds_load_b128 v[8:11], v2 offset:1072
	v_add_f64_e32 v[12:13], v[12:13], v[82:83]
	v_add_f64_e32 v[4:5], v[4:5], v[110:111]
	s_wait_loadcnt_dscnt 0x0
	v_mul_f64_e32 v[82:83], v[8:9], v[92:93]
	v_mul_f64_e32 v[92:93], v[10:11], v[92:93]
	v_fmac_f64_e32 v[84:85], v[88:89], v[106:107]
	v_fma_f64 v[86:87], v[86:87], v[106:107], -v[94:95]
	v_add_f64_e32 v[12:13], v[12:13], v[98:99]
	v_add_f64_e32 v[4:5], v[4:5], v[96:97]
	v_fmac_f64_e32 v[82:83], v[10:11], v[90:91]
	v_fma_f64 v[8:9], v[8:9], v[90:91], -v[92:93]
	s_delay_alu instid0(VALU_DEP_4) | instskip(NEXT) | instid1(VALU_DEP_4)
	v_add_f64_e32 v[10:11], v[12:13], v[86:87]
	v_add_f64_e32 v[4:5], v[4:5], v[84:85]
	s_delay_alu instid0(VALU_DEP_2) | instskip(NEXT) | instid1(VALU_DEP_2)
	v_add_f64_e32 v[8:9], v[10:11], v[8:9]
	v_add_f64_e32 v[4:5], v[4:5], v[82:83]
	s_delay_alu instid0(VALU_DEP_2) | instskip(NEXT) | instid1(VALU_DEP_2)
	v_add_f64_e64 v[8:9], v[126:127], -v[8:9]
	v_add_f64_e64 v[10:11], v[128:129], -v[4:5]
	scratch_store_b128 off, v[8:11], off offset:32
	s_wait_xcnt 0x0
	v_cmpx_lt_u32_e32 1, v1
	s_cbranch_execz .LBB33_215
; %bb.214:
	scratch_load_b128 v[8:11], off, s34
	v_dual_mov_b32 v3, v2 :: v_dual_mov_b32 v4, v2
	v_mov_b32_e32 v5, v2
	scratch_store_b128 off, v[2:5], off offset:16
	s_wait_loadcnt 0x0
	ds_store_b128 v6, v[8:11]
.LBB33_215:
	s_wait_xcnt 0x0
	s_or_b32 exec_lo, exec_lo, s2
	s_wait_storecnt_dscnt 0x0
	s_barrier_signal -1
	s_barrier_wait -1
	s_clause 0x9
	scratch_load_b128 v[8:11], off, off offset:32
	scratch_load_b128 v[82:85], off, off offset:48
	;; [unrolled: 1-line block ×10, first 2 shown]
	ds_load_b128 v[118:121], v2 offset:576
	s_clause 0x2
	scratch_load_b128 v[122:125], off, off offset:192
	scratch_load_b128 v[126:129], off, off offset:208
	;; [unrolled: 1-line block ×3, first 2 shown]
	s_mov_b32 s2, exec_lo
	s_wait_loadcnt_dscnt 0xc00
	v_mul_f64_e32 v[4:5], v[120:121], v[10:11]
	v_mul_f64_e32 v[134:135], v[118:119], v[10:11]
	ds_load_b128 v[10:13], v2 offset:592
	v_fma_f64 v[4:5], v[118:119], v[8:9], -v[4:5]
	v_fmac_f64_e32 v[134:135], v[120:121], v[8:9]
	ds_load_b128 v[118:121], v2 offset:608
	s_wait_loadcnt_dscnt 0xb01
	v_mul_f64_e32 v[136:137], v[10:11], v[84:85]
	v_mul_f64_e32 v[84:85], v[12:13], v[84:85]
	s_wait_loadcnt_dscnt 0xa00
	v_mul_f64_e32 v[138:139], v[118:119], v[88:89]
	v_mul_f64_e32 v[88:89], v[120:121], v[88:89]
	v_add_f64_e32 v[4:5], 0, v[4:5]
	v_add_f64_e32 v[134:135], 0, v[134:135]
	v_fmac_f64_e32 v[136:137], v[12:13], v[82:83]
	v_fma_f64 v[12:13], v[10:11], v[82:83], -v[84:85]
	ds_load_b128 v[8:11], v2 offset:624
	scratch_load_b128 v[82:85], off, off offset:240
	v_fmac_f64_e32 v[138:139], v[120:121], v[86:87]
	v_fma_f64 v[142:143], v[118:119], v[86:87], -v[88:89]
	ds_load_b128 v[86:89], v2 offset:640
	s_wait_loadcnt_dscnt 0xa01
	v_mul_f64_e32 v[140:141], v[8:9], v[92:93]
	v_mul_f64_e32 v[92:93], v[10:11], v[92:93]
	scratch_load_b128 v[118:121], off, off offset:256
	v_add_f64_e32 v[4:5], v[4:5], v[12:13]
	v_add_f64_e32 v[12:13], v[134:135], v[136:137]
	s_wait_loadcnt_dscnt 0xa00
	v_mul_f64_e32 v[134:135], v[86:87], v[96:97]
	v_mul_f64_e32 v[96:97], v[88:89], v[96:97]
	v_fmac_f64_e32 v[140:141], v[10:11], v[90:91]
	v_fma_f64 v[136:137], v[8:9], v[90:91], -v[92:93]
	ds_load_b128 v[8:11], v2 offset:656
	scratch_load_b128 v[90:93], off, off offset:272
	v_add_f64_e32 v[4:5], v[4:5], v[142:143]
	v_add_f64_e32 v[12:13], v[12:13], v[138:139]
	v_fmac_f64_e32 v[134:135], v[88:89], v[94:95]
	v_fma_f64 v[142:143], v[86:87], v[94:95], -v[96:97]
	ds_load_b128 v[86:89], v2 offset:672
	s_wait_loadcnt_dscnt 0xa01
	v_mul_f64_e32 v[138:139], v[8:9], v[100:101]
	v_mul_f64_e32 v[100:101], v[10:11], v[100:101]
	scratch_load_b128 v[94:97], off, off offset:288
	v_add_f64_e32 v[4:5], v[4:5], v[136:137]
	v_add_f64_e32 v[12:13], v[12:13], v[140:141]
	s_wait_loadcnt_dscnt 0xa00
	v_mul_f64_e32 v[136:137], v[86:87], v[104:105]
	v_mul_f64_e32 v[104:105], v[88:89], v[104:105]
	v_fmac_f64_e32 v[138:139], v[10:11], v[98:99]
	v_fma_f64 v[140:141], v[8:9], v[98:99], -v[100:101]
	ds_load_b128 v[8:11], v2 offset:688
	scratch_load_b128 v[98:101], off, off offset:304
	v_add_f64_e32 v[4:5], v[4:5], v[142:143]
	v_add_f64_e32 v[12:13], v[12:13], v[134:135]
	;; [unrolled: 18-line block ×5, first 2 shown]
	s_wait_loadcnt_dscnt 0xa00
	v_mul_f64_e32 v[142:143], v[8:9], v[84:85]
	v_mul_f64_e32 v[134:135], v[10:11], v[84:85]
	v_fmac_f64_e32 v[136:137], v[88:89], v[130:131]
	v_fma_f64 v[88:89], v[86:87], v[130:131], -v[132:133]
	ds_load_b128 v[84:87], v2 offset:800
	scratch_load_b128 v[130:133], off, off offset:416
	v_add_f64_e32 v[4:5], v[4:5], v[140:141]
	v_add_f64_e32 v[12:13], v[12:13], v[138:139]
	v_fmac_f64_e32 v[142:143], v[10:11], v[82:83]
	v_fma_f64 v[82:83], v[8:9], v[82:83], -v[134:135]
	ds_load_b128 v[8:11], v2 offset:816
	s_wait_loadcnt_dscnt 0xa01
	v_mul_f64_e32 v[138:139], v[84:85], v[120:121]
	v_mul_f64_e32 v[120:121], v[86:87], v[120:121]
	s_wait_loadcnt_dscnt 0x900
	v_mul_f64_e32 v[140:141], v[8:9], v[92:93]
	v_mul_f64_e32 v[92:93], v[10:11], v[92:93]
	v_add_f64_e32 v[4:5], v[4:5], v[88:89]
	v_add_f64_e32 v[12:13], v[12:13], v[136:137]
	scratch_load_b128 v[134:137], off, off offset:432
	v_fmac_f64_e32 v[138:139], v[86:87], v[118:119]
	v_fma_f64 v[118:119], v[84:85], v[118:119], -v[120:121]
	scratch_load_b128 v[86:89], off, off offset:448
	v_fmac_f64_e32 v[140:141], v[10:11], v[90:91]
	v_add_f64_e32 v[4:5], v[4:5], v[82:83]
	v_add_f64_e32 v[12:13], v[12:13], v[142:143]
	ds_load_b128 v[82:85], v2 offset:832
	v_fma_f64 v[142:143], v[8:9], v[90:91], -v[92:93]
	ds_load_b128 v[8:11], v2 offset:848
	scratch_load_b128 v[90:93], off, off offset:464
	s_wait_loadcnt_dscnt 0xb01
	v_mul_f64_e32 v[120:121], v[82:83], v[96:97]
	v_mul_f64_e32 v[96:97], v[84:85], v[96:97]
	v_add_f64_e32 v[4:5], v[4:5], v[118:119]
	v_add_f64_e32 v[12:13], v[12:13], v[138:139]
	s_wait_loadcnt_dscnt 0xa00
	v_mul_f64_e32 v[118:119], v[8:9], v[100:101]
	v_mul_f64_e32 v[100:101], v[10:11], v[100:101]
	v_fmac_f64_e32 v[120:121], v[84:85], v[94:95]
	v_fma_f64 v[138:139], v[82:83], v[94:95], -v[96:97]
	ds_load_b128 v[82:85], v2 offset:864
	scratch_load_b128 v[94:97], off, off offset:480
	v_add_f64_e32 v[4:5], v[4:5], v[142:143]
	v_add_f64_e32 v[12:13], v[12:13], v[140:141]
	v_fmac_f64_e32 v[118:119], v[10:11], v[98:99]
	v_fma_f64 v[142:143], v[8:9], v[98:99], -v[100:101]
	ds_load_b128 v[8:11], v2 offset:880
	scratch_load_b128 v[98:101], off, off offset:496
	s_wait_loadcnt_dscnt 0xb01
	v_mul_f64_e32 v[140:141], v[82:83], v[104:105]
	v_mul_f64_e32 v[104:105], v[84:85], v[104:105]
	v_add_f64_e32 v[4:5], v[4:5], v[138:139]
	v_add_f64_e32 v[12:13], v[12:13], v[120:121]
	s_wait_loadcnt_dscnt 0xa00
	v_mul_f64_e32 v[120:121], v[8:9], v[108:109]
	v_mul_f64_e32 v[108:109], v[10:11], v[108:109]
	v_fmac_f64_e32 v[140:141], v[84:85], v[102:103]
	v_fma_f64 v[138:139], v[82:83], v[102:103], -v[104:105]
	ds_load_b128 v[82:85], v2 offset:896
	scratch_load_b128 v[102:105], off, off offset:512
	v_add_f64_e32 v[4:5], v[4:5], v[142:143]
	v_add_f64_e32 v[12:13], v[12:13], v[118:119]
	v_fmac_f64_e32 v[120:121], v[10:11], v[106:107]
	v_fma_f64 v[142:143], v[8:9], v[106:107], -v[108:109]
	ds_load_b128 v[8:11], v2 offset:912
	s_wait_loadcnt_dscnt 0xa01
	v_mul_f64_e32 v[118:119], v[82:83], v[112:113]
	v_mul_f64_e32 v[112:113], v[84:85], v[112:113]
	scratch_load_b128 v[106:109], off, off offset:528
	v_add_f64_e32 v[4:5], v[4:5], v[138:139]
	v_add_f64_e32 v[12:13], v[12:13], v[140:141]
	v_fmac_f64_e32 v[118:119], v[84:85], v[110:111]
	v_fma_f64 v[110:111], v[82:83], v[110:111], -v[112:113]
	ds_load_b128 v[82:85], v2 offset:928
	s_wait_loadcnt_dscnt 0x900
	v_mul_f64_e32 v[112:113], v[84:85], v[124:125]
	v_add_f64_e32 v[4:5], v[4:5], v[142:143]
	v_add_f64_e32 v[12:13], v[12:13], v[120:121]
	v_mul_f64_e32 v[120:121], v[82:83], v[124:125]
	s_delay_alu instid0(VALU_DEP_3) | instskip(NEXT) | instid1(VALU_DEP_3)
	v_add_f64_e32 v[4:5], v[4:5], v[110:111]
	v_add_f64_e32 v[12:13], v[12:13], v[118:119]
	s_delay_alu instid0(VALU_DEP_3)
	v_fmac_f64_e32 v[120:121], v[84:85], v[122:123]
	v_fma_f64 v[122:123], v[82:83], v[122:123], -v[112:113]
	scratch_load_b128 v[110:113], off, off offset:16
	v_mul_f64_e32 v[138:139], v[8:9], v[116:117]
	v_mul_f64_e32 v[116:117], v[10:11], v[116:117]
	ds_load_b128 v[82:85], v2 offset:960
	s_wait_loadcnt_dscnt 0x800
	v_mul_f64_e32 v[124:125], v[84:85], v[132:133]
	v_fmac_f64_e32 v[138:139], v[10:11], v[114:115]
	v_fma_f64 v[114:115], v[8:9], v[114:115], -v[116:117]
	ds_load_b128 v[8:11], v2 offset:944
	s_wait_dscnt 0x0
	v_mul_f64_e32 v[116:117], v[8:9], v[128:129]
	v_mul_f64_e32 v[118:119], v[10:11], v[128:129]
	v_fma_f64 v[124:125], v[82:83], v[130:131], -v[124:125]
	v_add_f64_e32 v[12:13], v[12:13], v[138:139]
	v_add_f64_e32 v[4:5], v[4:5], v[114:115]
	v_mul_f64_e32 v[114:115], v[82:83], v[132:133]
	v_fmac_f64_e32 v[116:117], v[10:11], v[126:127]
	v_fma_f64 v[118:119], v[8:9], v[126:127], -v[118:119]
	ds_load_b128 v[8:11], v2 offset:976
	v_add_f64_e32 v[12:13], v[12:13], v[120:121]
	v_add_f64_e32 v[4:5], v[4:5], v[122:123]
	v_fmac_f64_e32 v[114:115], v[84:85], v[130:131]
	ds_load_b128 v[82:85], v2 offset:992
	s_wait_loadcnt_dscnt 0x701
	v_mul_f64_e32 v[120:121], v[8:9], v[136:137]
	v_mul_f64_e32 v[122:123], v[10:11], v[136:137]
	v_add_f64_e32 v[12:13], v[12:13], v[116:117]
	v_add_f64_e32 v[4:5], v[4:5], v[118:119]
	s_wait_loadcnt_dscnt 0x600
	v_mul_f64_e32 v[116:117], v[82:83], v[88:89]
	v_mul_f64_e32 v[88:89], v[84:85], v[88:89]
	v_fmac_f64_e32 v[120:121], v[10:11], v[134:135]
	v_fma_f64 v[118:119], v[8:9], v[134:135], -v[122:123]
	ds_load_b128 v[8:11], v2 offset:1008
	v_add_f64_e32 v[12:13], v[12:13], v[114:115]
	v_add_f64_e32 v[4:5], v[4:5], v[124:125]
	v_fmac_f64_e32 v[116:117], v[84:85], v[86:87]
	v_fma_f64 v[86:87], v[82:83], v[86:87], -v[88:89]
	ds_load_b128 v[82:85], v2 offset:1024
	s_wait_loadcnt_dscnt 0x501
	v_mul_f64_e32 v[114:115], v[8:9], v[92:93]
	v_mul_f64_e32 v[92:93], v[10:11], v[92:93]
	s_wait_loadcnt_dscnt 0x400
	v_mul_f64_e32 v[88:89], v[82:83], v[96:97]
	v_mul_f64_e32 v[96:97], v[84:85], v[96:97]
	v_add_f64_e32 v[12:13], v[12:13], v[120:121]
	v_add_f64_e32 v[4:5], v[4:5], v[118:119]
	v_fmac_f64_e32 v[114:115], v[10:11], v[90:91]
	v_fma_f64 v[90:91], v[8:9], v[90:91], -v[92:93]
	ds_load_b128 v[8:11], v2 offset:1040
	v_fmac_f64_e32 v[88:89], v[84:85], v[94:95]
	v_fma_f64 v[94:95], v[82:83], v[94:95], -v[96:97]
	ds_load_b128 v[82:85], v2 offset:1056
	s_wait_loadcnt_dscnt 0x301
	v_mul_f64_e32 v[92:93], v[10:11], v[100:101]
	v_add_f64_e32 v[12:13], v[12:13], v[116:117]
	v_add_f64_e32 v[4:5], v[4:5], v[86:87]
	v_mul_f64_e32 v[86:87], v[8:9], v[100:101]
	s_wait_loadcnt_dscnt 0x200
	v_mul_f64_e32 v[96:97], v[84:85], v[104:105]
	v_fma_f64 v[8:9], v[8:9], v[98:99], -v[92:93]
	v_add_f64_e32 v[12:13], v[12:13], v[114:115]
	v_add_f64_e32 v[4:5], v[4:5], v[90:91]
	v_mul_f64_e32 v[90:91], v[82:83], v[104:105]
	v_fmac_f64_e32 v[86:87], v[10:11], v[98:99]
	v_fma_f64 v[82:83], v[82:83], v[102:103], -v[96:97]
	v_add_f64_e32 v[12:13], v[12:13], v[88:89]
	v_add_f64_e32 v[10:11], v[4:5], v[94:95]
	ds_load_b128 v[2:5], v2 offset:1072
	v_fmac_f64_e32 v[90:91], v[84:85], v[102:103]
	s_wait_loadcnt_dscnt 0x100
	v_mul_f64_e32 v[88:89], v[2:3], v[108:109]
	v_mul_f64_e32 v[92:93], v[4:5], v[108:109]
	v_add_f64_e32 v[8:9], v[10:11], v[8:9]
	v_add_f64_e32 v[10:11], v[12:13], v[86:87]
	s_delay_alu instid0(VALU_DEP_4) | instskip(NEXT) | instid1(VALU_DEP_4)
	v_fmac_f64_e32 v[88:89], v[4:5], v[106:107]
	v_fma_f64 v[2:3], v[2:3], v[106:107], -v[92:93]
	s_delay_alu instid0(VALU_DEP_4) | instskip(NEXT) | instid1(VALU_DEP_4)
	v_add_f64_e32 v[4:5], v[8:9], v[82:83]
	v_add_f64_e32 v[8:9], v[10:11], v[90:91]
	s_delay_alu instid0(VALU_DEP_2) | instskip(NEXT) | instid1(VALU_DEP_2)
	v_add_f64_e32 v[2:3], v[4:5], v[2:3]
	v_add_f64_e32 v[4:5], v[8:9], v[88:89]
	s_wait_loadcnt 0x0
	s_delay_alu instid0(VALU_DEP_2) | instskip(NEXT) | instid1(VALU_DEP_2)
	v_add_f64_e64 v[2:3], v[110:111], -v[2:3]
	v_add_f64_e64 v[4:5], v[112:113], -v[4:5]
	scratch_store_b128 off, v[2:5], off offset:16
	s_wait_xcnt 0x0
	v_cmpx_ne_u32_e32 0, v1
	s_cbranch_execz .LBB33_217
; %bb.216:
	scratch_load_b128 v[2:5], off, off
	v_mov_b32_e32 v8, 0
	s_delay_alu instid0(VALU_DEP_1)
	v_dual_mov_b32 v9, v8 :: v_dual_mov_b32 v10, v8
	v_mov_b32_e32 v11, v8
	scratch_store_b128 off, v[8:11], off
	s_wait_loadcnt 0x0
	ds_store_b128 v6, v[2:5]
.LBB33_217:
	s_wait_xcnt 0x0
	s_or_b32 exec_lo, exec_lo, s2
	s_wait_storecnt_dscnt 0x0
	s_barrier_signal -1
	s_barrier_wait -1
	s_clause 0x9
	scratch_load_b128 v[2:5], off, off offset:16
	scratch_load_b128 v[6:9], off, off offset:32
	;; [unrolled: 1-line block ×10, first 2 shown]
	v_mov_b32_e32 v100, 0
	s_and_b32 vcc_lo, exec_lo, s46
	ds_load_b128 v[114:117], v100 offset:560
	s_clause 0x2
	scratch_load_b128 v[118:121], off, off offset:176
	scratch_load_b128 v[122:125], off, off
	scratch_load_b128 v[130:133], off, off offset:192
	s_wait_loadcnt_dscnt 0xc00
	v_mul_f64_e32 v[98:99], v[116:117], v[4:5]
	v_mul_f64_e32 v[138:139], v[114:115], v[4:5]
	ds_load_b128 v[126:129], v100 offset:576
	ds_load_b128 v[134:137], v100 offset:592
	s_wait_loadcnt_dscnt 0xb01
	v_mul_f64_e32 v[140:141], v[126:127], v[8:9]
	v_mul_f64_e32 v[8:9], v[128:129], v[8:9]
	s_wait_loadcnt_dscnt 0xa00
	v_mul_f64_e32 v[142:143], v[134:135], v[12:13]
	v_mul_f64_e32 v[12:13], v[136:137], v[12:13]
	v_fma_f64 v[98:99], v[114:115], v[2:3], -v[98:99]
	v_fmac_f64_e32 v[138:139], v[116:117], v[2:3]
	ds_load_b128 v[2:5], v100 offset:608
	ds_load_b128 v[114:117], v100 offset:624
	v_fmac_f64_e32 v[140:141], v[128:129], v[6:7]
	v_fma_f64 v[126:127], v[126:127], v[6:7], -v[8:9]
	scratch_load_b128 v[6:9], off, off offset:208
	v_fmac_f64_e32 v[142:143], v[136:137], v[10:11]
	v_fma_f64 v[134:135], v[134:135], v[10:11], -v[12:13]
	scratch_load_b128 v[10:13], off, off offset:224
	v_add_f64_e32 v[98:99], 0, v[98:99]
	v_add_f64_e32 v[128:129], 0, v[138:139]
	s_wait_loadcnt_dscnt 0xb01
	v_mul_f64_e32 v[138:139], v[2:3], v[84:85]
	v_mul_f64_e32 v[84:85], v[4:5], v[84:85]
	s_delay_alu instid0(VALU_DEP_4) | instskip(NEXT) | instid1(VALU_DEP_4)
	v_add_f64_e32 v[98:99], v[98:99], v[126:127]
	v_add_f64_e32 v[136:137], v[128:129], v[140:141]
	s_wait_loadcnt_dscnt 0xa00
	v_mul_f64_e32 v[140:141], v[114:115], v[88:89]
	v_fmac_f64_e32 v[138:139], v[4:5], v[82:83]
	v_fma_f64 v[144:145], v[2:3], v[82:83], -v[84:85]
	v_mul_f64_e32 v[82:83], v[116:117], v[88:89]
	scratch_load_b128 v[2:5], off, off offset:240
	ds_load_b128 v[126:129], v100 offset:640
	v_add_f64_e32 v[98:99], v[98:99], v[134:135]
	v_add_f64_e32 v[134:135], v[136:137], v[142:143]
	v_fmac_f64_e32 v[140:141], v[116:117], v[86:87]
	v_fma_f64 v[142:143], v[114:115], v[86:87], -v[82:83]
	scratch_load_b128 v[82:85], off, off offset:256
	ds_load_b128 v[86:89], v100 offset:656
	s_wait_loadcnt_dscnt 0xb01
	v_mul_f64_e32 v[136:137], v[126:127], v[92:93]
	v_mul_f64_e32 v[92:93], v[128:129], v[92:93]
	ds_load_b128 v[114:117], v100 offset:672
	v_add_f64_e32 v[98:99], v[98:99], v[144:145]
	v_add_f64_e32 v[134:135], v[134:135], v[138:139]
	s_wait_loadcnt_dscnt 0xa01
	v_mul_f64_e32 v[138:139], v[86:87], v[96:97]
	v_mul_f64_e32 v[96:97], v[88:89], v[96:97]
	v_fmac_f64_e32 v[136:137], v[128:129], v[90:91]
	v_fma_f64 v[126:127], v[126:127], v[90:91], -v[92:93]
	scratch_load_b128 v[90:93], off, off offset:272
	v_add_f64_e32 v[98:99], v[98:99], v[142:143]
	v_add_f64_e32 v[128:129], v[134:135], v[140:141]
	v_fmac_f64_e32 v[138:139], v[88:89], v[94:95]
	v_fma_f64 v[140:141], v[86:87], v[94:95], -v[96:97]
	scratch_load_b128 v[86:89], off, off offset:288
	ds_load_b128 v[94:97], v100 offset:688
	s_wait_loadcnt_dscnt 0xb01
	v_mul_f64_e32 v[134:135], v[114:115], v[104:105]
	v_mul_f64_e32 v[104:105], v[116:117], v[104:105]
	s_wait_loadcnt_dscnt 0xa00
	v_mul_f64_e32 v[142:143], v[94:95], v[108:109]
	v_mul_f64_e32 v[108:109], v[96:97], v[108:109]
	v_add_f64_e32 v[98:99], v[98:99], v[126:127]
	v_add_f64_e32 v[136:137], v[128:129], v[136:137]
	ds_load_b128 v[126:129], v100 offset:704
	v_fmac_f64_e32 v[134:135], v[116:117], v[102:103]
	v_fma_f64 v[114:115], v[114:115], v[102:103], -v[104:105]
	scratch_load_b128 v[102:105], off, off offset:304
	v_fmac_f64_e32 v[142:143], v[96:97], v[106:107]
	v_add_f64_e32 v[98:99], v[98:99], v[140:141]
	v_add_f64_e32 v[116:117], v[136:137], v[138:139]
	v_fma_f64 v[140:141], v[94:95], v[106:107], -v[108:109]
	scratch_load_b128 v[94:97], off, off offset:320
	ds_load_b128 v[106:109], v100 offset:720
	s_wait_loadcnt_dscnt 0xb01
	v_mul_f64_e32 v[138:139], v[126:127], v[112:113]
	v_mul_f64_e32 v[136:137], v[128:129], v[112:113]
	s_wait_loadcnt_dscnt 0xa00
	v_mul_f64_e32 v[144:145], v[106:107], v[120:121]
	v_mul_f64_e32 v[120:121], v[108:109], v[120:121]
	v_add_f64_e32 v[98:99], v[98:99], v[114:115]
	v_add_f64_e32 v[116:117], v[116:117], v[134:135]
	scratch_load_b128 v[112:115], off, off offset:336
	v_fmac_f64_e32 v[138:139], v[128:129], v[110:111]
	v_fma_f64 v[110:111], v[126:127], v[110:111], -v[136:137]
	ds_load_b128 v[126:129], v100 offset:736
	scratch_load_b128 v[134:137], off, off offset:352
	v_fmac_f64_e32 v[144:145], v[108:109], v[118:119]
	v_fma_f64 v[120:121], v[106:107], v[118:119], -v[120:121]
	v_add_f64_e32 v[98:99], v[98:99], v[140:141]
	v_add_f64_e32 v[116:117], v[116:117], v[142:143]
	s_wait_loadcnt_dscnt 0xa00
	v_mul_f64_e32 v[140:141], v[126:127], v[132:133]
	v_mul_f64_e32 v[132:133], v[128:129], v[132:133]
	s_delay_alu instid0(VALU_DEP_4) | instskip(NEXT) | instid1(VALU_DEP_4)
	v_add_f64_e32 v[98:99], v[98:99], v[110:111]
	v_add_f64_e32 v[110:111], v[116:117], v[138:139]
	ds_load_b128 v[106:109], v100 offset:752
	ds_load_b128 v[116:119], v100 offset:768
	v_fmac_f64_e32 v[140:141], v[128:129], v[130:131]
	v_fma_f64 v[130:131], v[126:127], v[130:131], -v[132:133]
	scratch_load_b128 v[126:129], off, off offset:368
	s_wait_loadcnt_dscnt 0xa01
	v_mul_f64_e32 v[138:139], v[106:107], v[8:9]
	v_mul_f64_e32 v[8:9], v[108:109], v[8:9]
	v_add_f64_e32 v[98:99], v[98:99], v[120:121]
	v_add_f64_e32 v[110:111], v[110:111], v[144:145]
	s_wait_loadcnt_dscnt 0x900
	v_mul_f64_e32 v[120:121], v[116:117], v[12:13]
	v_mul_f64_e32 v[12:13], v[118:119], v[12:13]
	v_fmac_f64_e32 v[138:139], v[108:109], v[6:7]
	v_fma_f64 v[142:143], v[106:107], v[6:7], -v[8:9]
	scratch_load_b128 v[6:9], off, off offset:384
	v_add_f64_e32 v[98:99], v[98:99], v[130:131]
	v_add_f64_e32 v[110:111], v[110:111], v[140:141]
	ds_load_b128 v[106:109], v100 offset:784
	ds_load_b128 v[130:133], v100 offset:800
	v_fmac_f64_e32 v[120:121], v[118:119], v[10:11]
	v_fma_f64 v[116:117], v[116:117], v[10:11], -v[12:13]
	scratch_load_b128 v[10:13], off, off offset:400
	s_wait_loadcnt_dscnt 0xa01
	v_mul_f64_e32 v[140:141], v[106:107], v[4:5]
	v_mul_f64_e32 v[4:5], v[108:109], v[4:5]
	v_add_f64_e32 v[98:99], v[98:99], v[142:143]
	v_add_f64_e32 v[110:111], v[110:111], v[138:139]
	s_wait_loadcnt_dscnt 0x900
	v_mul_f64_e32 v[138:139], v[130:131], v[84:85]
	v_mul_f64_e32 v[84:85], v[132:133], v[84:85]
	v_fmac_f64_e32 v[140:141], v[108:109], v[2:3]
	v_fma_f64 v[142:143], v[106:107], v[2:3], -v[4:5]
	scratch_load_b128 v[2:5], off, off offset:416
	;; [unrolled: 18-line block ×3, first 2 shown]
	v_add_f64_e32 v[98:99], v[98:99], v[130:131]
	v_add_f64_e32 v[110:111], v[110:111], v[138:139]
	ds_load_b128 v[106:109], v100 offset:848
	ds_load_b128 v[130:133], v100 offset:864
	v_fmac_f64_e32 v[140:141], v[118:119], v[86:87]
	v_fma_f64 v[86:87], v[116:117], v[86:87], -v[142:143]
	scratch_load_b128 v[116:119], off, off offset:464
	s_wait_loadcnt_dscnt 0xa01
	v_mul_f64_e32 v[138:139], v[106:107], v[104:105]
	v_mul_f64_e32 v[104:105], v[108:109], v[104:105]
	v_add_f64_e32 v[92:93], v[98:99], v[92:93]
	v_add_f64_e32 v[110:111], v[110:111], v[120:121]
	s_wait_loadcnt_dscnt 0x900
	v_mul_f64_e32 v[120:121], v[130:131], v[96:97]
	v_mul_f64_e32 v[142:143], v[132:133], v[96:97]
	scratch_load_b128 v[96:99], off, off offset:480
	v_fmac_f64_e32 v[138:139], v[108:109], v[102:103]
	v_fma_f64 v[144:145], v[106:107], v[102:103], -v[104:105]
	ds_load_b128 v[102:105], v100 offset:880
	ds_load_b128 v[106:109], v100 offset:896
	v_add_f64_e32 v[86:87], v[92:93], v[86:87]
	v_add_f64_e32 v[110:111], v[110:111], v[140:141]
	v_fmac_f64_e32 v[120:121], v[132:133], v[94:95]
	v_fma_f64 v[142:143], v[130:131], v[94:95], -v[142:143]
	s_clause 0x1
	scratch_load_b128 v[92:95], off, off offset:496
	scratch_load_b128 v[130:133], off, off offset:512
	s_wait_loadcnt_dscnt 0xb01
	v_mul_f64_e32 v[140:141], v[102:103], v[114:115]
	v_mul_f64_e32 v[114:115], v[104:105], v[114:115]
	v_add_f64_e32 v[86:87], v[86:87], v[144:145]
	v_add_f64_e32 v[110:111], v[110:111], v[138:139]
	s_wait_loadcnt_dscnt 0xa00
	v_mul_f64_e32 v[138:139], v[106:107], v[136:137]
	v_mul_f64_e32 v[136:137], v[108:109], v[136:137]
	v_fmac_f64_e32 v[140:141], v[104:105], v[112:113]
	v_fma_f64 v[114:115], v[102:103], v[112:113], -v[114:115]
	ds_load_b128 v[102:105], v100 offset:912
	v_add_f64_e32 v[86:87], v[86:87], v[142:143]
	v_add_f64_e32 v[120:121], v[110:111], v[120:121]
	scratch_load_b128 v[110:113], off, off offset:528
	v_fmac_f64_e32 v[138:139], v[108:109], v[134:135]
	v_fma_f64 v[134:135], v[106:107], v[134:135], -v[136:137]
	ds_load_b128 v[106:109], v100 offset:928
	s_wait_loadcnt_dscnt 0xa01
	v_mul_f64_e32 v[136:137], v[102:103], v[128:129]
	v_mul_f64_e32 v[128:129], v[104:105], v[128:129]
	v_add_f64_e32 v[86:87], v[86:87], v[114:115]
	v_add_f64_e32 v[114:115], v[120:121], v[140:141]
	s_delay_alu instid0(VALU_DEP_4) | instskip(NEXT) | instid1(VALU_DEP_4)
	v_fmac_f64_e32 v[136:137], v[104:105], v[126:127]
	v_fma_f64 v[140:141], v[102:103], v[126:127], -v[128:129]
	ds_load_b128 v[102:105], v100 offset:944
	ds_load_b128 v[126:129], v100 offset:960
	s_wait_loadcnt_dscnt 0x902
	v_mul_f64_e32 v[120:121], v[106:107], v[8:9]
	v_mul_f64_e32 v[8:9], v[108:109], v[8:9]
	v_add_f64_e32 v[86:87], v[86:87], v[134:135]
	v_add_f64_e32 v[114:115], v[114:115], v[138:139]
	s_wait_loadcnt_dscnt 0x801
	v_mul_f64_e32 v[134:135], v[102:103], v[12:13]
	v_mul_f64_e32 v[12:13], v[104:105], v[12:13]
	v_fmac_f64_e32 v[120:121], v[108:109], v[6:7]
	v_fma_f64 v[6:7], v[106:107], v[6:7], -v[8:9]
	v_add_f64_e32 v[8:9], v[86:87], v[140:141]
	v_add_f64_e32 v[86:87], v[114:115], v[136:137]
	v_fmac_f64_e32 v[134:135], v[104:105], v[10:11]
	v_fma_f64 v[12:13], v[102:103], v[10:11], -v[12:13]
	s_wait_loadcnt_dscnt 0x700
	v_mul_f64_e32 v[106:107], v[126:127], v[4:5]
	v_mul_f64_e32 v[108:109], v[128:129], v[4:5]
	v_add_f64_e32 v[102:103], v[8:9], v[6:7]
	v_add_f64_e32 v[86:87], v[86:87], v[120:121]
	ds_load_b128 v[4:7], v100 offset:976
	ds_load_b128 v[8:11], v100 offset:992
	s_wait_loadcnt_dscnt 0x601
	v_mul_f64_e32 v[104:105], v[4:5], v[84:85]
	v_mul_f64_e32 v[84:85], v[6:7], v[84:85]
	v_fmac_f64_e32 v[106:107], v[128:129], v[2:3]
	v_fma_f64 v[2:3], v[126:127], v[2:3], -v[108:109]
	v_add_f64_e32 v[12:13], v[102:103], v[12:13]
	v_add_f64_e32 v[86:87], v[86:87], v[134:135]
	v_fmac_f64_e32 v[104:105], v[6:7], v[82:83]
	v_fma_f64 v[6:7], v[4:5], v[82:83], -v[84:85]
	s_wait_loadcnt_dscnt 0x500
	v_mul_f64_e32 v[102:103], v[8:9], v[90:91]
	v_mul_f64_e32 v[90:91], v[10:11], v[90:91]
	v_add_f64_e32 v[12:13], v[12:13], v[2:3]
	v_add_f64_e32 v[86:87], v[86:87], v[106:107]
	ds_load_b128 v[2:5], v100 offset:1008
	ds_load_b128 v[82:85], v100 offset:1024
	s_wait_loadcnt_dscnt 0x401
	v_mul_f64_e32 v[106:107], v[2:3], v[118:119]
	v_mul_f64_e32 v[108:109], v[4:5], v[118:119]
	v_fmac_f64_e32 v[102:103], v[10:11], v[88:89]
	v_fma_f64 v[8:9], v[8:9], v[88:89], -v[90:91]
	v_add_f64_e32 v[6:7], v[12:13], v[6:7]
	v_add_f64_e32 v[10:11], v[86:87], v[104:105]
	s_wait_loadcnt_dscnt 0x300
	v_mul_f64_e32 v[12:13], v[82:83], v[98:99]
	v_mul_f64_e32 v[86:87], v[84:85], v[98:99]
	v_fmac_f64_e32 v[106:107], v[4:5], v[116:117]
	v_fma_f64 v[88:89], v[2:3], v[116:117], -v[108:109]
	v_add_f64_e32 v[90:91], v[6:7], v[8:9]
	v_add_f64_e32 v[10:11], v[10:11], v[102:103]
	ds_load_b128 v[2:5], v100 offset:1040
	ds_load_b128 v[6:9], v100 offset:1056
	v_fmac_f64_e32 v[12:13], v[84:85], v[96:97]
	v_fma_f64 v[82:83], v[82:83], v[96:97], -v[86:87]
	v_lshl_add_u64 v[96:97], v[24:25], 4, s[4:5]
	v_lshl_add_u64 v[24:25], v[54:55], 4, s[4:5]
	s_wait_loadcnt_dscnt 0x201
	v_mul_f64_e32 v[98:99], v[2:3], v[94:95]
	v_mul_f64_e32 v[94:95], v[4:5], v[94:95]
	s_wait_loadcnt_dscnt 0x100
	v_mul_f64_e32 v[86:87], v[6:7], v[132:133]
	v_add_f64_e32 v[84:85], v[90:91], v[88:89]
	v_add_f64_e32 v[10:11], v[10:11], v[106:107]
	v_mul_f64_e32 v[88:89], v[8:9], v[132:133]
	v_fmac_f64_e32 v[98:99], v[4:5], v[92:93]
	v_fma_f64 v[90:91], v[2:3], v[92:93], -v[94:95]
	ds_load_b128 v[2:5], v100 offset:1072
	v_fmac_f64_e32 v[86:87], v[8:9], v[130:131]
	v_lshl_add_u64 v[92:93], v[20:21], 4, s[4:5]
	v_lshl_add_u64 v[94:95], v[22:23], 4, s[4:5]
	;; [unrolled: 1-line block ×5, first 2 shown]
	v_add_f64_e32 v[82:83], v[84:85], v[82:83]
	v_add_f64_e32 v[10:11], v[10:11], v[12:13]
	v_fma_f64 v[6:7], v[6:7], v[130:131], -v[88:89]
	v_lshl_add_u64 v[88:89], v[28:29], 4, s[4:5]
	v_lshl_add_u64 v[28:29], v[58:59], 4, s[4:5]
	s_wait_loadcnt_dscnt 0x0
	v_mul_f64_e32 v[12:13], v[2:3], v[112:113]
	v_mul_f64_e32 v[84:85], v[4:5], v[112:113]
	v_add_f64_e32 v[8:9], v[82:83], v[90:91]
	v_add_f64_e32 v[10:11], v[10:11], v[98:99]
	v_lshl_add_u64 v[98:99], v[18:19], 4, s[4:5]
	v_lshl_add_u64 v[90:91], v[26:27], 4, s[4:5]
	;; [unrolled: 1-line block ×7, first 2 shown]
	v_fmac_f64_e32 v[12:13], v[4:5], v[110:111]
	v_fma_f64 v[2:3], v[2:3], v[110:111], -v[84:85]
	v_lshl_add_u64 v[84:85], v[30:31], 4, s[4:5]
	v_lshl_add_u64 v[30:31], v[60:61], 4, s[4:5]
	v_add_f64_e32 v[4:5], v[8:9], v[6:7]
	v_add_f64_e32 v[6:7], v[10:11], v[86:87]
	v_lshl_add_u64 v[86:87], v[32:33], 4, s[4:5]
	v_lshl_add_u64 v[8:9], v[42:43], 4, s[4:5]
	;; [unrolled: 1-line block ×6, first 2 shown]
	v_add_f64_e32 v[2:3], v[4:5], v[2:3]
	v_add_f64_e32 v[4:5], v[6:7], v[12:13]
	v_lshl_add_u64 v[6:7], v[40:41], 4, s[4:5]
	v_lshl_add_u64 v[12:13], v[46:47], 4, s[4:5]
	;; [unrolled: 1-line block ×4, first 2 shown]
	v_add_f64_e64 v[102:103], v[122:123], -v[2:3]
	v_add_f64_e64 v[104:105], v[124:125], -v[4:5]
	v_lshl_add_u64 v[2:3], v[36:37], 4, s[4:5]
	v_lshl_add_u64 v[4:5], v[38:39], 4, s[4:5]
	;; [unrolled: 1-line block ×4, first 2 shown]
	scratch_store_b128 off, v[102:105], off
	s_cbranch_vccz .LBB33_284
; %bb.218:
	global_load_b32 v52, v100, s[16:17] offset:128
	s_load_b64 s[2:3], s[0:1], 0x4
	v_bfe_u32 v53, v0, 10, 10
	v_bfe_u32 v0, v0, 20, 10
	s_wait_kmcnt 0x0
	s_lshr_b32 s0, s2, 16
	s_delay_alu instid0(VALU_DEP_2) | instskip(SKIP_1) | instid1(SALU_CYCLE_1)
	v_mul_u32_u24_e32 v53, s3, v53
	s_mul_i32 s0, s0, s3
	v_mul_u32_u24_e32 v1, s0, v1
	s_delay_alu instid0(VALU_DEP_1) | instskip(NEXT) | instid1(VALU_DEP_1)
	v_add3_u32 v0, v1, v53, v0
	v_lshl_add_u32 v0, v0, 4, 0x448
	s_wait_loadcnt 0x0
	v_cmp_ne_u32_e32 vcc_lo, 33, v52
	s_cbranch_vccz .LBB33_220
; %bb.219:
	v_lshlrev_b32_e32 v1, 4, v52
	s_clause 0x1
	scratch_load_b128 v[52:55], off, s14
	scratch_load_b128 v[56:59], v1, off offset:-16
	s_wait_loadcnt 0x1
	ds_store_2addr_b64 v0, v[52:53], v[54:55] offset1:1
	s_wait_loadcnt 0x0
	s_clause 0x1
	scratch_store_b128 off, v[56:59], s14
	scratch_store_b128 v1, v[52:55], off offset:-16
.LBB33_220:
	s_wait_xcnt 0x0
	v_mov_b32_e32 v1, 0
	global_load_b32 v52, v1, s[16:17] offset:124
	s_wait_loadcnt 0x0
	v_cmp_eq_u32_e32 vcc_lo, 32, v52
	s_cbranch_vccnz .LBB33_222
; %bb.221:
	v_lshlrev_b32_e32 v52, 4, v52
	s_delay_alu instid0(VALU_DEP_1)
	v_mov_b32_e32 v60, v52
	s_clause 0x1
	scratch_load_b128 v[52:55], off, s12
	scratch_load_b128 v[56:59], v60, off offset:-16
	s_wait_loadcnt 0x1
	ds_store_2addr_b64 v0, v[52:53], v[54:55] offset1:1
	s_wait_loadcnt 0x0
	s_clause 0x1
	scratch_store_b128 off, v[56:59], s12
	scratch_store_b128 v60, v[52:55], off offset:-16
.LBB33_222:
	global_load_b32 v1, v1, s[16:17] offset:120
	s_wait_loadcnt 0x0
	v_cmp_eq_u32_e32 vcc_lo, 31, v1
	s_cbranch_vccnz .LBB33_224
; %bb.223:
	s_wait_xcnt 0x0
	v_lshlrev_b32_e32 v1, 4, v1
	s_clause 0x1
	scratch_load_b128 v[52:55], off, s22
	scratch_load_b128 v[56:59], v1, off offset:-16
	s_wait_loadcnt 0x1
	ds_store_2addr_b64 v0, v[52:53], v[54:55] offset1:1
	s_wait_loadcnt 0x0
	s_clause 0x1
	scratch_store_b128 off, v[56:59], s22
	scratch_store_b128 v1, v[52:55], off offset:-16
.LBB33_224:
	s_wait_xcnt 0x0
	v_mov_b32_e32 v1, 0
	global_load_b32 v52, v1, s[16:17] offset:116
	s_wait_loadcnt 0x0
	v_cmp_eq_u32_e32 vcc_lo, 30, v52
	s_cbranch_vccnz .LBB33_226
; %bb.225:
	v_lshlrev_b32_e32 v52, 4, v52
	s_delay_alu instid0(VALU_DEP_1)
	v_mov_b32_e32 v60, v52
	s_clause 0x1
	scratch_load_b128 v[52:55], off, s15
	scratch_load_b128 v[56:59], v60, off offset:-16
	s_wait_loadcnt 0x1
	ds_store_2addr_b64 v0, v[52:53], v[54:55] offset1:1
	s_wait_loadcnt 0x0
	s_clause 0x1
	scratch_store_b128 off, v[56:59], s15
	scratch_store_b128 v60, v[52:55], off offset:-16
.LBB33_226:
	global_load_b32 v1, v1, s[16:17] offset:112
	s_wait_loadcnt 0x0
	v_cmp_eq_u32_e32 vcc_lo, 29, v1
	s_cbranch_vccnz .LBB33_228
; %bb.227:
	s_wait_xcnt 0x0
	v_lshlrev_b32_e32 v1, 4, v1
	s_clause 0x1
	scratch_load_b128 v[52:55], off, s26
	scratch_load_b128 v[56:59], v1, off offset:-16
	s_wait_loadcnt 0x1
	ds_store_2addr_b64 v0, v[52:53], v[54:55] offset1:1
	s_wait_loadcnt 0x0
	s_clause 0x1
	scratch_store_b128 off, v[56:59], s26
	scratch_store_b128 v1, v[52:55], off offset:-16
.LBB33_228:
	;; [unrolled: 37-line block ×15, first 2 shown]
	s_wait_xcnt 0x0
	v_mov_b32_e32 v1, 0
	global_load_b32 v52, v1, s[16:17] offset:4
	s_wait_loadcnt 0x0
	v_cmp_eq_u32_e32 vcc_lo, 2, v52
	s_cbranch_vccnz .LBB33_282
; %bb.281:
	v_lshlrev_b32_e32 v52, 4, v52
	s_delay_alu instid0(VALU_DEP_1)
	v_mov_b32_e32 v60, v52
	s_clause 0x1
	scratch_load_b128 v[52:55], off, s34
	scratch_load_b128 v[56:59], v60, off offset:-16
	s_wait_loadcnt 0x1
	ds_store_2addr_b64 v0, v[52:53], v[54:55] offset1:1
	s_wait_loadcnt 0x0
	s_clause 0x1
	scratch_store_b128 off, v[56:59], s34
	scratch_store_b128 v60, v[52:55], off offset:-16
.LBB33_282:
	global_load_b32 v1, v1, s[16:17]
	s_wait_loadcnt 0x0
	v_cmp_eq_u32_e32 vcc_lo, 1, v1
	s_cbranch_vccnz .LBB33_284
; %bb.283:
	s_wait_xcnt 0x0
	v_lshlrev_b32_e32 v1, 4, v1
	scratch_load_b128 v[52:55], off, off
	scratch_load_b128 v[56:59], v1, off offset:-16
	s_wait_loadcnt 0x1
	ds_store_2addr_b64 v0, v[52:53], v[54:55] offset1:1
	s_wait_loadcnt 0x0
	scratch_store_b128 off, v[56:59], off
	scratch_store_b128 v1, v[52:55], off offset:-16
.LBB33_284:
	scratch_load_b128 v[52:55], off, off
	s_clause 0x10
	scratch_load_b128 v[56:59], off, s34
	scratch_load_b128 v[60:63], off, s30
	;; [unrolled: 1-line block ×15, first 2 shown]
	; meta instruction
	; meta instruction
	;; [unrolled: 1-line block ×15, first 2 shown]
	scratch_load_b128 v[136:139], off, s28
	scratch_load_b128 v[140:143], off, s29
	s_wait_loadcnt 0x11
	global_store_b128 v[14:15], v[52:55], off
	s_wait_loadcnt 0x10
	global_store_b128 v[16:17], v[56:59], off
	s_clause 0x1
	scratch_load_b128 v[14:17], off, s25
	scratch_load_b128 v[52:55], off, s27
	s_wait_loadcnt 0x11
	global_store_b128 v[98:99], v[60:63], off
	s_clause 0x1
	scratch_load_b128 v[56:59], off, s21
	scratch_load_b128 v[60:63], off, s23
	;; [unrolled: 5-line block ×3, first 2 shown]
	s_wait_loadcnt 0x13
	global_store_b128 v[94:95], v[68:71], off
	s_wait_loadcnt 0x12
	global_store_b128 v[96:97], v[72:75], off
	s_clause 0x1
	scratch_load_b128 v[68:71], off, s10
	scratch_load_b128 v[72:75], off, s11
	s_wait_loadcnt 0x13
	global_store_b128 v[90:91], v[76:79], off
	s_clause 0x1
	scratch_load_b128 v[76:79], off, s8
	scratch_load_b128 v[90:93], off, s9
	;; [unrolled: 5-line block ×3, first 2 shown]
	s_wait_loadcnt 0x15
	global_store_b128 v[84:85], v[104:107], off
	s_wait_loadcnt 0x14
	global_store_b128 v[86:87], v[108:111], off
	s_clause 0x1
	scratch_load_b128 v[84:87], off, s15
	scratch_load_b128 v[102:105], off, s22
	s_wait_loadcnt 0x15
	global_store_b128 v[82:83], v[112:115], off
	s_clause 0x1
	scratch_load_b128 v[80:83], off, s12
	scratch_load_b128 v[106:109], off, s14
	s_wait_loadcnt 0x16
	global_store_b128 v[2:3], v[116:119], off
	s_wait_loadcnt 0x15
	global_store_b128 v[4:5], v[120:123], off
	;; [unrolled: 2-line block ×21, first 2 shown]
	s_wait_loadcnt 0x0
	s_clause 0x1
	global_store_b128 v[48:49], v[106:109], off
	global_store_b128 v[50:51], v[140:143], off
	s_sendmsg sendmsg(MSG_DEALLOC_VGPRS)
	s_endpgm
	.section	.rodata,"a",@progbits
	.p2align	6, 0x0
	.amdhsa_kernel _ZN9rocsolver6v33100L18getri_kernel_smallILi34E19rocblas_complex_numIdEPS3_EEvT1_iilPiilS6_bb
		.amdhsa_group_segment_fixed_size 2120
		.amdhsa_private_segment_fixed_size 560
		.amdhsa_kernarg_size 60
		.amdhsa_user_sgpr_count 4
		.amdhsa_user_sgpr_dispatch_ptr 1
		.amdhsa_user_sgpr_queue_ptr 0
		.amdhsa_user_sgpr_kernarg_segment_ptr 1
		.amdhsa_user_sgpr_dispatch_id 0
		.amdhsa_user_sgpr_kernarg_preload_length 0
		.amdhsa_user_sgpr_kernarg_preload_offset 0
		.amdhsa_user_sgpr_private_segment_size 0
		.amdhsa_wavefront_size32 1
		.amdhsa_uses_dynamic_stack 0
		.amdhsa_enable_private_segment 1
		.amdhsa_system_sgpr_workgroup_id_x 1
		.amdhsa_system_sgpr_workgroup_id_y 0
		.amdhsa_system_sgpr_workgroup_id_z 0
		.amdhsa_system_sgpr_workgroup_info 0
		.amdhsa_system_vgpr_workitem_id 2
		.amdhsa_next_free_vgpr 150
		.amdhsa_next_free_sgpr 60
		.amdhsa_named_barrier_count 0
		.amdhsa_reserve_vcc 1
		.amdhsa_float_round_mode_32 0
		.amdhsa_float_round_mode_16_64 0
		.amdhsa_float_denorm_mode_32 3
		.amdhsa_float_denorm_mode_16_64 3
		.amdhsa_fp16_overflow 0
		.amdhsa_memory_ordered 1
		.amdhsa_forward_progress 1
		.amdhsa_inst_pref_size 255
		.amdhsa_round_robin_scheduling 0
		.amdhsa_exception_fp_ieee_invalid_op 0
		.amdhsa_exception_fp_denorm_src 0
		.amdhsa_exception_fp_ieee_div_zero 0
		.amdhsa_exception_fp_ieee_overflow 0
		.amdhsa_exception_fp_ieee_underflow 0
		.amdhsa_exception_fp_ieee_inexact 0
		.amdhsa_exception_int_div_zero 0
	.end_amdhsa_kernel
	.section	.text._ZN9rocsolver6v33100L18getri_kernel_smallILi34E19rocblas_complex_numIdEPS3_EEvT1_iilPiilS6_bb,"axG",@progbits,_ZN9rocsolver6v33100L18getri_kernel_smallILi34E19rocblas_complex_numIdEPS3_EEvT1_iilPiilS6_bb,comdat
.Lfunc_end33:
	.size	_ZN9rocsolver6v33100L18getri_kernel_smallILi34E19rocblas_complex_numIdEPS3_EEvT1_iilPiilS6_bb, .Lfunc_end33-_ZN9rocsolver6v33100L18getri_kernel_smallILi34E19rocblas_complex_numIdEPS3_EEvT1_iilPiilS6_bb
                                        ; -- End function
	.set _ZN9rocsolver6v33100L18getri_kernel_smallILi34E19rocblas_complex_numIdEPS3_EEvT1_iilPiilS6_bb.num_vgpr, 150
	.set _ZN9rocsolver6v33100L18getri_kernel_smallILi34E19rocblas_complex_numIdEPS3_EEvT1_iilPiilS6_bb.num_agpr, 0
	.set _ZN9rocsolver6v33100L18getri_kernel_smallILi34E19rocblas_complex_numIdEPS3_EEvT1_iilPiilS6_bb.numbered_sgpr, 60
	.set _ZN9rocsolver6v33100L18getri_kernel_smallILi34E19rocblas_complex_numIdEPS3_EEvT1_iilPiilS6_bb.num_named_barrier, 0
	.set _ZN9rocsolver6v33100L18getri_kernel_smallILi34E19rocblas_complex_numIdEPS3_EEvT1_iilPiilS6_bb.private_seg_size, 560
	.set _ZN9rocsolver6v33100L18getri_kernel_smallILi34E19rocblas_complex_numIdEPS3_EEvT1_iilPiilS6_bb.uses_vcc, 1
	.set _ZN9rocsolver6v33100L18getri_kernel_smallILi34E19rocblas_complex_numIdEPS3_EEvT1_iilPiilS6_bb.uses_flat_scratch, 1
	.set _ZN9rocsolver6v33100L18getri_kernel_smallILi34E19rocblas_complex_numIdEPS3_EEvT1_iilPiilS6_bb.has_dyn_sized_stack, 0
	.set _ZN9rocsolver6v33100L18getri_kernel_smallILi34E19rocblas_complex_numIdEPS3_EEvT1_iilPiilS6_bb.has_recursion, 0
	.set _ZN9rocsolver6v33100L18getri_kernel_smallILi34E19rocblas_complex_numIdEPS3_EEvT1_iilPiilS6_bb.has_indirect_call, 0
	.section	.AMDGPU.csdata,"",@progbits
; Kernel info:
; codeLenInByte = 50556
; TotalNumSgprs: 62
; NumVgprs: 150
; ScratchSize: 560
; MemoryBound: 0
; FloatMode: 240
; IeeeMode: 1
; LDSByteSize: 2120 bytes/workgroup (compile time only)
; SGPRBlocks: 0
; VGPRBlocks: 9
; NumSGPRsForWavesPerEU: 62
; NumVGPRsForWavesPerEU: 150
; NamedBarCnt: 0
; Occupancy: 6
; WaveLimiterHint : 1
; COMPUTE_PGM_RSRC2:SCRATCH_EN: 1
; COMPUTE_PGM_RSRC2:USER_SGPR: 4
; COMPUTE_PGM_RSRC2:TRAP_HANDLER: 0
; COMPUTE_PGM_RSRC2:TGID_X_EN: 1
; COMPUTE_PGM_RSRC2:TGID_Y_EN: 0
; COMPUTE_PGM_RSRC2:TGID_Z_EN: 0
; COMPUTE_PGM_RSRC2:TIDIG_COMP_CNT: 2
	.section	.text._ZN9rocsolver6v33100L18getri_kernel_smallILi35E19rocblas_complex_numIdEPS3_EEvT1_iilPiilS6_bb,"axG",@progbits,_ZN9rocsolver6v33100L18getri_kernel_smallILi35E19rocblas_complex_numIdEPS3_EEvT1_iilPiilS6_bb,comdat
	.globl	_ZN9rocsolver6v33100L18getri_kernel_smallILi35E19rocblas_complex_numIdEPS3_EEvT1_iilPiilS6_bb ; -- Begin function _ZN9rocsolver6v33100L18getri_kernel_smallILi35E19rocblas_complex_numIdEPS3_EEvT1_iilPiilS6_bb
	.p2align	8
	.type	_ZN9rocsolver6v33100L18getri_kernel_smallILi35E19rocblas_complex_numIdEPS3_EEvT1_iilPiilS6_bb,@function
_ZN9rocsolver6v33100L18getri_kernel_smallILi35E19rocblas_complex_numIdEPS3_EEvT1_iilPiilS6_bb: ; @_ZN9rocsolver6v33100L18getri_kernel_smallILi35E19rocblas_complex_numIdEPS3_EEvT1_iilPiilS6_bb
; %bb.0:
	v_and_b32_e32 v1, 0x3ff, v0
	s_mov_b32 s4, exec_lo
	s_delay_alu instid0(VALU_DEP_1)
	v_cmpx_gt_u32_e32 35, v1
	s_cbranch_execz .LBB34_154
; %bb.1:
	s_clause 0x2
	s_load_b32 s8, s[2:3], 0x38
	s_load_b128 s[12:15], s[2:3], 0x10
	s_load_b128 s[4:7], s[2:3], 0x28
	s_getreg_b32 s11, hwreg(HW_REG_IB_STS2, 6, 4)
                                        ; implicit-def: $sgpr16_sgpr17
	s_wait_kmcnt 0x0
	s_bitcmp1_b32 s8, 8
	s_cselect_b32 s47, -1, 0
	s_bfe_u32 s9, ttmp6, 0x4000c
	s_and_b32 s10, ttmp6, 15
	s_add_co_i32 s9, s9, 1
	s_delay_alu instid0(SALU_CYCLE_1) | instskip(NEXT) | instid1(SALU_CYCLE_1)
	s_mul_i32 s9, ttmp9, s9
	s_add_co_i32 s10, s10, s9
	s_cmp_eq_u32 s11, 0
	s_cselect_b32 s18, ttmp9, s10
	s_bfe_u32 s8, s8, 0x10008
	s_ashr_i32 s19, s18, 31
	s_cmp_eq_u32 s8, 0
	s_cbranch_scc1 .LBB34_3
; %bb.2:
	s_load_b32 s8, s[2:3], 0x20
	s_mul_u64 s[4:5], s[4:5], s[18:19]
	s_delay_alu instid0(SALU_CYCLE_1) | instskip(NEXT) | instid1(SALU_CYCLE_1)
	s_lshl_b64 s[4:5], s[4:5], 2
	s_add_nc_u64 s[4:5], s[14:15], s[4:5]
	s_wait_kmcnt 0x0
	s_ashr_i32 s9, s8, 31
	s_delay_alu instid0(SALU_CYCLE_1) | instskip(NEXT) | instid1(SALU_CYCLE_1)
	s_lshl_b64 s[8:9], s[8:9], 2
	s_add_nc_u64 s[16:17], s[4:5], s[8:9]
.LBB34_3:
	s_clause 0x1
	s_load_b128 s[8:11], s[2:3], 0x0
	s_load_b32 s48, s[2:3], 0x38
	s_wait_xcnt 0x0
	s_mul_u64 s[2:3], s[12:13], s[18:19]
	s_movk_i32 s49, 0x150
	s_lshl_b64 s[2:3], s[2:3], 4
	s_movk_i32 s50, 0x160
	s_movk_i32 s51, 0x170
	;; [unrolled: 1-line block ×13, first 2 shown]
	s_mov_b32 s27, 16
	s_mov_b32 s22, 32
	s_wait_kmcnt 0x0
	v_add3_u32 v18, s11, s11, v1
	s_ashr_i32 s5, s10, 31
	s_mov_b32 s4, s10
	s_add_nc_u64 s[2:3], s[8:9], s[2:3]
	s_lshl_b64 s[4:5], s[4:5], 4
	v_add_nc_u32_e32 v20, s11, v18
	s_add_nc_u64 s[4:5], s[2:3], s[4:5]
	s_ashr_i32 s3, s11, 31
	s_mov_b32 s2, s11
	s_mov_b32 s23, 48
	v_add_nc_u32_e32 v22, s11, v20
	s_mov_b32 s25, 64
	s_movk_i32 s37, 0x50
	s_movk_i32 s40, 0x60
	;; [unrolled: 1-line block ×3, first 2 shown]
	v_dual_add_nc_u32 v24, s11, v22 :: v_dual_lshlrev_b32 v84, 4, v1
	s_movk_i32 s35, 0x80
	s_movk_i32 s36, 0x90
	;; [unrolled: 1-line block ×3, first 2 shown]
	s_delay_alu instid0(VALU_DEP_1)
	v_add_nc_u32_e32 v26, s11, v24
	s_clause 0x1
	global_load_b128 v[2:5], v18, s[4:5] scale_offset
	global_load_b128 v[6:9], v20, s[4:5] scale_offset
	s_movk_i32 s42, 0xb0
	s_movk_i32 s44, 0xc0
	;; [unrolled: 1-line block ×3, first 2 shown]
	v_dual_mov_b32 v85, 0 :: v_dual_add_nc_u32 v28, s11, v26
	global_load_b128 v[10:13], v22, s[4:5] scale_offset
	s_movk_i32 s46, 0xe0
	s_movk_i32 s41, 0xf0
	v_add_nc_u32_e32 v30, s11, v28
	v_add_nc_u64_e32 v[14:15], s[4:5], v[84:85]
	s_movk_i32 s39, 0x100
	s_movk_i32 s33, 0x110
	;; [unrolled: 1-line block ×3, first 2 shown]
	v_add_nc_u32_e32 v32, s11, v30
	s_movk_i32 s30, 0x130
	s_movk_i32 s31, 0x140
	v_lshl_add_u64 v[16:17], s[2:3], 4, v[14:15]
	s_mov_b32 s28, s49
	v_add_nc_u32_e32 v34, s11, v32
	s_clause 0x4
	global_load_b128 v[74:77], v1, s[4:5] scale_offset
	global_load_b128 v[78:81], v[16:17], off
	global_load_b128 v[86:89], v24, s[4:5] scale_offset
	global_load_b128 v[90:93], v26, s[4:5] scale_offset
	;; [unrolled: 1-line block ×3, first 2 shown]
	s_mov_b32 s29, s50
	v_add_nc_u32_e32 v36, s11, v34
	s_mov_b32 s24, s51
	s_mov_b32 s26, s52
	;; [unrolled: 1-line block ×4, first 2 shown]
	v_add_nc_u32_e32 v38, s11, v36
	s_clause 0x1
	global_load_b128 v[98:101], v30, s[4:5] scale_offset
	global_load_b128 v[102:105], v32, s[4:5] scale_offset
	s_mov_b32 s13, s55
	s_mov_b32 s14, s56
	;; [unrolled: 1-line block ×3, first 2 shown]
	v_add_nc_u32_e32 v40, s11, v38
	s_mov_b32 s10, s58
	s_mov_b32 s8, s59
	;; [unrolled: 1-line block ×4, first 2 shown]
	v_add_nc_u32_e32 v42, s11, v40
	s_clause 0x2
	global_load_b128 v[106:109], v34, s[4:5] scale_offset
	global_load_b128 v[110:113], v36, s[4:5] scale_offset
	;; [unrolled: 1-line block ×3, first 2 shown]
	s_bitcmp0_b32 s48, 0
	s_mov_b32 s3, -1
	s_clause 0x1
	global_load_b128 v[118:121], v40, s[4:5] scale_offset
	global_load_b128 v[122:125], v42, s[4:5] scale_offset
	v_add_nc_u32_e32 v44, s11, v42
	s_delay_alu instid0(VALU_DEP_1) | instskip(NEXT) | instid1(VALU_DEP_1)
	v_add_nc_u32_e32 v46, s11, v44
	v_add_nc_u32_e32 v48, s11, v46
	s_delay_alu instid0(VALU_DEP_1) | instskip(NEXT) | instid1(VALU_DEP_1)
	v_add_nc_u32_e32 v50, s11, v48
	v_add_nc_u32_e32 v52, s11, v50
	s_delay_alu instid0(VALU_DEP_1)
	v_add_nc_u32_e32 v54, s11, v52
	s_clause 0x4
	global_load_b128 v[126:129], v44, s[4:5] scale_offset
	global_load_b128 v[130:133], v46, s[4:5] scale_offset
	;; [unrolled: 1-line block ×5, first 2 shown]
	v_add_nc_u32_e32 v56, s11, v54
	s_delay_alu instid0(VALU_DEP_1) | instskip(NEXT) | instid1(VALU_DEP_1)
	v_add_nc_u32_e32 v58, s11, v56
	v_add_nc_u32_e32 v60, s11, v58
	s_delay_alu instid0(VALU_DEP_1) | instskip(NEXT) | instid1(VALU_DEP_1)
	v_add_nc_u32_e32 v62, s11, v60
	;; [unrolled: 3-line block ×4, first 2 shown]
	v_add_nc_u32_e32 v72, s11, v70
	s_wait_loadcnt 0x13
	scratch_store_b128 off, v[2:5], off offset:32
	s_wait_loadcnt 0x12
	scratch_store_b128 off, v[6:9], off offset:48
	s_wait_loadcnt 0x11
	scratch_store_b128 off, v[10:13], off offset:64
	s_clause 0x1
	global_load_b128 v[2:5], v54, s[4:5] scale_offset
	global_load_b128 v[6:9], v56, s[4:5] scale_offset
	s_wait_loadcnt 0x12
	scratch_store_b128 off, v[74:77], off
	s_wait_loadcnt 0x11
	scratch_store_b128 off, v[78:81], off offset:16
	s_wait_xcnt 0x1
	v_add_nc_u32_e32 v74, s11, v72
	s_clause 0x1
	global_load_b128 v[10:13], v58, s[4:5] scale_offset
	global_load_b128 v[146:149], v60, s[4:5] scale_offset
	s_wait_loadcnt 0x12
	scratch_store_b128 off, v[86:89], off offset:80
	s_wait_loadcnt 0x11
	scratch_store_b128 off, v[90:93], off offset:96
	;; [unrolled: 2-line block ×3, first 2 shown]
	s_clause 0x1
	global_load_b128 v[86:89], v62, s[4:5] scale_offset
	global_load_b128 v[90:93], v64, s[4:5] scale_offset
	v_add_nc_u32_e32 v76, s11, v74
	s_wait_loadcnt 0x11
	scratch_store_b128 off, v[98:101], off offset:128
	s_wait_loadcnt 0x10
	scratch_store_b128 off, v[102:105], off offset:144
	v_add_nc_u32_e32 v78, s11, v76
	s_clause 0x1
	global_load_b128 v[94:97], v66, s[4:5] scale_offset
	global_load_b128 v[98:101], v68, s[4:5] scale_offset
	v_add_nc_u32_e32 v80, s11, v78
	s_wait_loadcnt 0x11
	scratch_store_b128 off, v[106:109], off offset:160
	s_wait_loadcnt 0x10
	scratch_store_b128 off, v[110:113], off offset:176
	;; [unrolled: 2-line block ×3, first 2 shown]
	v_add_nc_u32_e32 v82, s11, v80
	s_clause 0x1
	global_load_b128 v[102:105], v70, s[4:5] scale_offset
	global_load_b128 v[106:109], v72, s[4:5] scale_offset
	s_wait_loadcnt 0x10
	scratch_store_b128 off, v[118:121], off offset:208
	s_wait_loadcnt 0xf
	scratch_store_b128 off, v[122:125], off offset:224
	s_clause 0x1
	global_load_b128 v[110:113], v74, s[4:5] scale_offset
	global_load_b128 v[114:117], v76, s[4:5] scale_offset
	s_mov_b32 s11, s61
	s_wait_loadcnt 0x10
	scratch_store_b128 off, v[126:129], off offset:240
	s_wait_loadcnt 0xf
	scratch_store_b128 off, v[130:133], off offset:256
	s_clause 0x2
	global_load_b128 v[118:121], v78, s[4:5] scale_offset
	global_load_b128 v[122:125], v80, s[4:5] scale_offset
	;; [unrolled: 1-line block ×3, first 2 shown]
	s_wait_loadcnt 0x11
	scratch_store_b128 off, v[134:137], off offset:272
	s_wait_loadcnt 0x10
	scratch_store_b128 off, v[138:141], off offset:288
	s_wait_loadcnt 0xf
	scratch_store_b128 off, v[142:145], off offset:304
	s_wait_loadcnt 0xe
	scratch_store_b128 off, v[2:5], off offset:320
	s_wait_loadcnt 0xd
	scratch_store_b128 off, v[6:9], off offset:336
	s_wait_loadcnt 0xc
	scratch_store_b128 off, v[10:13], off offset:352
	s_wait_loadcnt 0xb
	scratch_store_b128 off, v[146:149], off offset:368
	s_wait_loadcnt 0xa
	scratch_store_b128 off, v[86:89], off offset:384
	s_wait_loadcnt 0x9
	scratch_store_b128 off, v[90:93], off offset:400
	s_wait_loadcnt 0x8
	scratch_store_b128 off, v[94:97], off offset:416
	s_wait_loadcnt 0x7
	scratch_store_b128 off, v[98:101], off offset:432
	s_wait_loadcnt 0x6
	scratch_store_b128 off, v[102:105], off offset:448
	s_wait_loadcnt 0x5
	scratch_store_b128 off, v[106:109], off offset:464
	s_wait_loadcnt 0x4
	scratch_store_b128 off, v[110:113], off offset:480
	s_wait_loadcnt 0x3
	scratch_store_b128 off, v[114:117], off offset:496
	s_wait_loadcnt 0x2
	scratch_store_b128 off, v[118:121], off offset:512
	s_wait_loadcnt 0x1
	scratch_store_b128 off, v[122:125], off offset:528
	s_wait_loadcnt 0x0
	scratch_store_b128 off, v[126:129], off offset:544
	s_cbranch_scc1 .LBB34_152
; %bb.4:
	v_cmp_eq_u32_e64 s2, 0, v1
	s_wait_xcnt 0x0
	s_and_saveexec_b32 s3, s2
; %bb.5:
	v_mov_b32_e32 v2, 0
	ds_store_b32 v2, v2 offset:1120
; %bb.6:
	s_or_b32 exec_lo, exec_lo, s3
	s_wait_storecnt_dscnt 0x0
	s_barrier_signal -1
	s_barrier_wait -1
	scratch_load_b128 v[2:5], v1, off scale_offset
	s_wait_loadcnt 0x0
	v_cmp_eq_f64_e32 vcc_lo, 0, v[2:3]
	v_cmp_eq_f64_e64 s3, 0, v[4:5]
	s_and_b32 s3, vcc_lo, s3
	s_delay_alu instid0(SALU_CYCLE_1)
	s_and_saveexec_b32 s48, s3
	s_cbranch_execz .LBB34_10
; %bb.7:
	v_mov_b32_e32 v2, 0
	s_mov_b32 s49, 0
	ds_load_b32 v3, v2 offset:1120
	s_wait_dscnt 0x0
	v_readfirstlane_b32 s3, v3
	v_add_nc_u32_e32 v3, 1, v1
	s_cmp_eq_u32 s3, 0
	s_delay_alu instid0(VALU_DEP_1) | instskip(SKIP_1) | instid1(SALU_CYCLE_1)
	v_cmp_gt_i32_e32 vcc_lo, s3, v3
	s_cselect_b32 s50, -1, 0
	s_or_b32 s50, s50, vcc_lo
	s_delay_alu instid0(SALU_CYCLE_1)
	s_and_b32 exec_lo, exec_lo, s50
	s_cbranch_execz .LBB34_10
; %bb.8:
	v_mov_b32_e32 v4, s3
.LBB34_9:                               ; =>This Inner Loop Header: Depth=1
	ds_cmpstore_rtn_b32 v4, v2, v3, v4 offset:1120
	s_wait_dscnt 0x0
	v_cmp_ne_u32_e32 vcc_lo, 0, v4
	v_cmp_le_i32_e64 s3, v4, v3
	s_and_b32 s3, vcc_lo, s3
	s_delay_alu instid0(SALU_CYCLE_1) | instskip(NEXT) | instid1(SALU_CYCLE_1)
	s_and_b32 s3, exec_lo, s3
	s_or_b32 s49, s3, s49
	s_delay_alu instid0(SALU_CYCLE_1)
	s_and_not1_b32 exec_lo, exec_lo, s49
	s_cbranch_execnz .LBB34_9
.LBB34_10:
	s_or_b32 exec_lo, exec_lo, s48
	v_mov_b32_e32 v2, 0
	s_barrier_signal -1
	s_barrier_wait -1
	ds_load_b32 v3, v2 offset:1120
	s_and_saveexec_b32 s3, s2
	s_cbranch_execz .LBB34_12
; %bb.11:
	s_lshl_b64 s[48:49], s[18:19], 2
	s_delay_alu instid0(SALU_CYCLE_1)
	s_add_nc_u64 s[48:49], s[6:7], s[48:49]
	s_wait_dscnt 0x0
	global_store_b32 v2, v3, s[48:49]
.LBB34_12:
	s_wait_xcnt 0x0
	s_or_b32 exec_lo, exec_lo, s3
	s_wait_dscnt 0x0
	v_cmp_ne_u32_e32 vcc_lo, 0, v3
	s_mov_b32 s3, 0
	s_cbranch_vccnz .LBB34_152
; %bb.13:
	v_lshl_add_u32 v19, v1, 4, 0
                                        ; implicit-def: $vgpr6_vgpr7
                                        ; implicit-def: $vgpr10_vgpr11
	scratch_load_b128 v[2:5], v19, off
	s_wait_loadcnt 0x0
	v_cmp_ngt_f64_e64 s3, |v[2:3]|, |v[4:5]|
	s_wait_xcnt 0x0
	s_and_saveexec_b32 s48, s3
	s_delay_alu instid0(SALU_CYCLE_1)
	s_xor_b32 s3, exec_lo, s48
	s_cbranch_execz .LBB34_15
; %bb.14:
	v_div_scale_f64 v[6:7], null, v[4:5], v[4:5], v[2:3]
	v_div_scale_f64 v[12:13], vcc_lo, v[2:3], v[4:5], v[2:3]
	s_delay_alu instid0(VALU_DEP_2) | instskip(SKIP_1) | instid1(TRANS32_DEP_1)
	v_rcp_f64_e32 v[8:9], v[6:7]
	v_nop
	v_fma_f64 v[10:11], -v[6:7], v[8:9], 1.0
	s_delay_alu instid0(VALU_DEP_1) | instskip(NEXT) | instid1(VALU_DEP_1)
	v_fmac_f64_e32 v[8:9], v[8:9], v[10:11]
	v_fma_f64 v[10:11], -v[6:7], v[8:9], 1.0
	s_delay_alu instid0(VALU_DEP_1) | instskip(NEXT) | instid1(VALU_DEP_1)
	v_fmac_f64_e32 v[8:9], v[8:9], v[10:11]
	v_mul_f64_e32 v[10:11], v[12:13], v[8:9]
	s_delay_alu instid0(VALU_DEP_1) | instskip(NEXT) | instid1(VALU_DEP_1)
	v_fma_f64 v[6:7], -v[6:7], v[10:11], v[12:13]
	v_div_fmas_f64 v[6:7], v[6:7], v[8:9], v[10:11]
	s_delay_alu instid0(VALU_DEP_1) | instskip(NEXT) | instid1(VALU_DEP_1)
	v_div_fixup_f64 v[6:7], v[6:7], v[4:5], v[2:3]
	v_fmac_f64_e32 v[4:5], v[2:3], v[6:7]
	s_delay_alu instid0(VALU_DEP_1) | instskip(SKIP_1) | instid1(VALU_DEP_2)
	v_div_scale_f64 v[2:3], null, v[4:5], v[4:5], 1.0
	v_div_scale_f64 v[12:13], vcc_lo, 1.0, v[4:5], 1.0
	v_rcp_f64_e32 v[8:9], v[2:3]
	v_nop
	s_delay_alu instid0(TRANS32_DEP_1) | instskip(NEXT) | instid1(VALU_DEP_1)
	v_fma_f64 v[10:11], -v[2:3], v[8:9], 1.0
	v_fmac_f64_e32 v[8:9], v[8:9], v[10:11]
	s_delay_alu instid0(VALU_DEP_1) | instskip(NEXT) | instid1(VALU_DEP_1)
	v_fma_f64 v[10:11], -v[2:3], v[8:9], 1.0
	v_fmac_f64_e32 v[8:9], v[8:9], v[10:11]
	s_delay_alu instid0(VALU_DEP_1) | instskip(NEXT) | instid1(VALU_DEP_1)
	v_mul_f64_e32 v[10:11], v[12:13], v[8:9]
	v_fma_f64 v[2:3], -v[2:3], v[10:11], v[12:13]
	s_delay_alu instid0(VALU_DEP_1) | instskip(NEXT) | instid1(VALU_DEP_1)
	v_div_fmas_f64 v[2:3], v[2:3], v[8:9], v[10:11]
	v_div_fixup_f64 v[8:9], v[2:3], v[4:5], 1.0
                                        ; implicit-def: $vgpr2_vgpr3
	s_delay_alu instid0(VALU_DEP_1) | instskip(SKIP_1) | instid1(VALU_DEP_2)
	v_mul_f64_e32 v[6:7], v[6:7], v[8:9]
	v_xor_b32_e32 v9, 0x80000000, v9
	v_xor_b32_e32 v11, 0x80000000, v7
	s_delay_alu instid0(VALU_DEP_3)
	v_mov_b32_e32 v10, v6
.LBB34_15:
	s_and_not1_saveexec_b32 s3, s3
	s_cbranch_execz .LBB34_17
; %bb.16:
	v_div_scale_f64 v[6:7], null, v[2:3], v[2:3], v[4:5]
	v_div_scale_f64 v[12:13], vcc_lo, v[4:5], v[2:3], v[4:5]
	s_delay_alu instid0(VALU_DEP_2) | instskip(SKIP_1) | instid1(TRANS32_DEP_1)
	v_rcp_f64_e32 v[8:9], v[6:7]
	v_nop
	v_fma_f64 v[10:11], -v[6:7], v[8:9], 1.0
	s_delay_alu instid0(VALU_DEP_1) | instskip(NEXT) | instid1(VALU_DEP_1)
	v_fmac_f64_e32 v[8:9], v[8:9], v[10:11]
	v_fma_f64 v[10:11], -v[6:7], v[8:9], 1.0
	s_delay_alu instid0(VALU_DEP_1) | instskip(NEXT) | instid1(VALU_DEP_1)
	v_fmac_f64_e32 v[8:9], v[8:9], v[10:11]
	v_mul_f64_e32 v[10:11], v[12:13], v[8:9]
	s_delay_alu instid0(VALU_DEP_1) | instskip(NEXT) | instid1(VALU_DEP_1)
	v_fma_f64 v[6:7], -v[6:7], v[10:11], v[12:13]
	v_div_fmas_f64 v[6:7], v[6:7], v[8:9], v[10:11]
	s_delay_alu instid0(VALU_DEP_1) | instskip(NEXT) | instid1(VALU_DEP_1)
	v_div_fixup_f64 v[8:9], v[6:7], v[2:3], v[4:5]
	v_fmac_f64_e32 v[2:3], v[4:5], v[8:9]
	s_delay_alu instid0(VALU_DEP_1) | instskip(NEXT) | instid1(VALU_DEP_1)
	v_div_scale_f64 v[4:5], null, v[2:3], v[2:3], 1.0
	v_rcp_f64_e32 v[6:7], v[4:5]
	v_nop
	s_delay_alu instid0(TRANS32_DEP_1) | instskip(NEXT) | instid1(VALU_DEP_1)
	v_fma_f64 v[10:11], -v[4:5], v[6:7], 1.0
	v_fmac_f64_e32 v[6:7], v[6:7], v[10:11]
	s_delay_alu instid0(VALU_DEP_1) | instskip(NEXT) | instid1(VALU_DEP_1)
	v_fma_f64 v[10:11], -v[4:5], v[6:7], 1.0
	v_fmac_f64_e32 v[6:7], v[6:7], v[10:11]
	v_div_scale_f64 v[10:11], vcc_lo, 1.0, v[2:3], 1.0
	s_delay_alu instid0(VALU_DEP_1) | instskip(NEXT) | instid1(VALU_DEP_1)
	v_mul_f64_e32 v[12:13], v[10:11], v[6:7]
	v_fma_f64 v[4:5], -v[4:5], v[12:13], v[10:11]
	s_delay_alu instid0(VALU_DEP_1) | instskip(NEXT) | instid1(VALU_DEP_1)
	v_div_fmas_f64 v[4:5], v[4:5], v[6:7], v[12:13]
	v_div_fixup_f64 v[6:7], v[4:5], v[2:3], 1.0
	s_delay_alu instid0(VALU_DEP_1)
	v_mul_f64_e64 v[8:9], v[8:9], -v[6:7]
	v_xor_b32_e32 v11, 0x80000000, v7
	v_mov_b32_e32 v10, v6
.LBB34_17:
	s_or_b32 exec_lo, exec_lo, s3
	s_clause 0x1
	scratch_store_b128 v19, v[6:9], off
	scratch_load_b128 v[2:5], off, s27
	v_xor_b32_e32 v13, 0x80000000, v9
	v_mov_b32_e32 v12, v8
	s_wait_xcnt 0x1
	v_add_nc_u32_e32 v6, 0x230, v84
	ds_store_b128 v84, v[10:13]
	s_wait_loadcnt 0x0
	ds_store_b128 v84, v[2:5] offset:560
	s_wait_storecnt_dscnt 0x0
	s_barrier_signal -1
	s_barrier_wait -1
	s_wait_xcnt 0x0
	s_and_saveexec_b32 s3, s2
	s_cbranch_execz .LBB34_19
; %bb.18:
	scratch_load_b128 v[2:5], v19, off
	ds_load_b128 v[8:11], v6
	v_mov_b32_e32 v7, 0
	ds_load_b128 v[86:89], v7 offset:16
	s_wait_loadcnt_dscnt 0x1
	v_mul_f64_e32 v[12:13], v[8:9], v[4:5]
	v_mul_f64_e32 v[4:5], v[10:11], v[4:5]
	s_delay_alu instid0(VALU_DEP_2) | instskip(NEXT) | instid1(VALU_DEP_2)
	v_fmac_f64_e32 v[12:13], v[10:11], v[2:3]
	v_fma_f64 v[2:3], v[8:9], v[2:3], -v[4:5]
	s_delay_alu instid0(VALU_DEP_2) | instskip(NEXT) | instid1(VALU_DEP_2)
	v_add_f64_e32 v[8:9], 0, v[12:13]
	v_add_f64_e32 v[2:3], 0, v[2:3]
	s_wait_dscnt 0x0
	s_delay_alu instid0(VALU_DEP_2) | instskip(NEXT) | instid1(VALU_DEP_2)
	v_mul_f64_e32 v[10:11], v[8:9], v[88:89]
	v_mul_f64_e32 v[4:5], v[2:3], v[88:89]
	s_delay_alu instid0(VALU_DEP_2) | instskip(NEXT) | instid1(VALU_DEP_2)
	v_fma_f64 v[2:3], v[2:3], v[86:87], -v[10:11]
	v_fmac_f64_e32 v[4:5], v[8:9], v[86:87]
	scratch_store_b128 off, v[2:5], off offset:16
.LBB34_19:
	s_wait_xcnt 0x0
	s_or_b32 exec_lo, exec_lo, s3
	s_wait_storecnt 0x0
	s_barrier_signal -1
	s_barrier_wait -1
	scratch_load_b128 v[2:5], off, s22
	s_mov_b32 s3, exec_lo
	s_wait_loadcnt 0x0
	ds_store_b128 v6, v[2:5]
	s_wait_dscnt 0x0
	s_barrier_signal -1
	s_barrier_wait -1
	v_cmpx_gt_u32_e32 2, v1
	s_cbranch_execz .LBB34_23
; %bb.20:
	scratch_load_b128 v[2:5], v19, off
	ds_load_b128 v[8:11], v6
	s_wait_loadcnt_dscnt 0x0
	v_mul_f64_e32 v[12:13], v[10:11], v[4:5]
	v_mul_f64_e32 v[86:87], v[8:9], v[4:5]
	s_delay_alu instid0(VALU_DEP_2) | instskip(NEXT) | instid1(VALU_DEP_2)
	v_fma_f64 v[4:5], v[8:9], v[2:3], -v[12:13]
	v_fmac_f64_e32 v[86:87], v[10:11], v[2:3]
	s_delay_alu instid0(VALU_DEP_2) | instskip(NEXT) | instid1(VALU_DEP_2)
	v_add_f64_e32 v[4:5], 0, v[4:5]
	v_add_f64_e32 v[2:3], 0, v[86:87]
	s_and_saveexec_b32 s48, s2
	s_cbranch_execz .LBB34_22
; %bb.21:
	scratch_load_b128 v[8:11], off, off offset:16
	v_mov_b32_e32 v7, 0
	ds_load_b128 v[86:89], v7 offset:576
	s_wait_loadcnt_dscnt 0x0
	v_mul_f64_e32 v[12:13], v[86:87], v[10:11]
	v_mul_f64_e32 v[10:11], v[88:89], v[10:11]
	s_delay_alu instid0(VALU_DEP_2) | instskip(NEXT) | instid1(VALU_DEP_2)
	v_fmac_f64_e32 v[12:13], v[88:89], v[8:9]
	v_fma_f64 v[8:9], v[86:87], v[8:9], -v[10:11]
	s_delay_alu instid0(VALU_DEP_2) | instskip(NEXT) | instid1(VALU_DEP_2)
	v_add_f64_e32 v[2:3], v[2:3], v[12:13]
	v_add_f64_e32 v[4:5], v[4:5], v[8:9]
.LBB34_22:
	s_or_b32 exec_lo, exec_lo, s48
	v_mov_b32_e32 v7, 0
	ds_load_b128 v[8:11], v7 offset:32
	s_wait_dscnt 0x0
	v_mul_f64_e32 v[86:87], v[2:3], v[10:11]
	v_mul_f64_e32 v[12:13], v[4:5], v[10:11]
	s_delay_alu instid0(VALU_DEP_2) | instskip(NEXT) | instid1(VALU_DEP_2)
	v_fma_f64 v[10:11], v[4:5], v[8:9], -v[86:87]
	v_fmac_f64_e32 v[12:13], v[2:3], v[8:9]
	scratch_store_b128 off, v[10:13], off offset:32
.LBB34_23:
	s_wait_xcnt 0x0
	s_or_b32 exec_lo, exec_lo, s3
	s_wait_storecnt 0x0
	s_barrier_signal -1
	s_barrier_wait -1
	scratch_load_b128 v[2:5], off, s23
	v_add_nc_u32_e32 v7, -1, v1
	s_mov_b32 s2, exec_lo
	s_wait_loadcnt 0x0
	ds_store_b128 v6, v[2:5]
	s_wait_dscnt 0x0
	s_barrier_signal -1
	s_barrier_wait -1
	v_cmpx_gt_u32_e32 3, v1
	s_cbranch_execz .LBB34_27
; %bb.24:
	v_dual_mov_b32 v10, v84 :: v_dual_add_nc_u32 v8, -1, v1
	v_mov_b64_e32 v[2:3], 0
	v_mov_b64_e32 v[4:5], 0
	v_add_nc_u32_e32 v9, 0x230, v84
	s_delay_alu instid0(VALU_DEP_4)
	v_or_b32_e32 v10, 8, v10
	s_mov_b32 s3, 0
.LBB34_25:                              ; =>This Inner Loop Header: Depth=1
	scratch_load_b128 v[86:89], v10, off offset:-8
	ds_load_b128 v[90:93], v9
	s_wait_xcnt 0x0
	v_dual_add_nc_u32 v9, 16, v9 :: v_dual_add_nc_u32 v10, 16, v10
	v_add_nc_u32_e32 v8, 1, v8
	s_delay_alu instid0(VALU_DEP_1) | instskip(SKIP_4) | instid1(VALU_DEP_2)
	v_cmp_lt_u32_e32 vcc_lo, 1, v8
	s_or_b32 s3, vcc_lo, s3
	s_wait_loadcnt_dscnt 0x0
	v_mul_f64_e32 v[12:13], v[92:93], v[88:89]
	v_mul_f64_e32 v[88:89], v[90:91], v[88:89]
	v_fma_f64 v[12:13], v[90:91], v[86:87], -v[12:13]
	s_delay_alu instid0(VALU_DEP_2) | instskip(NEXT) | instid1(VALU_DEP_2)
	v_fmac_f64_e32 v[88:89], v[92:93], v[86:87]
	v_add_f64_e32 v[4:5], v[4:5], v[12:13]
	s_delay_alu instid0(VALU_DEP_2)
	v_add_f64_e32 v[2:3], v[2:3], v[88:89]
	s_and_not1_b32 exec_lo, exec_lo, s3
	s_cbranch_execnz .LBB34_25
; %bb.26:
	s_or_b32 exec_lo, exec_lo, s3
	v_mov_b32_e32 v8, 0
	ds_load_b128 v[8:11], v8 offset:48
	s_wait_dscnt 0x0
	v_mul_f64_e32 v[86:87], v[2:3], v[10:11]
	v_mul_f64_e32 v[12:13], v[4:5], v[10:11]
	s_delay_alu instid0(VALU_DEP_2) | instskip(NEXT) | instid1(VALU_DEP_2)
	v_fma_f64 v[10:11], v[4:5], v[8:9], -v[86:87]
	v_fmac_f64_e32 v[12:13], v[2:3], v[8:9]
	scratch_store_b128 off, v[10:13], off offset:48
.LBB34_27:
	s_wait_xcnt 0x0
	s_or_b32 exec_lo, exec_lo, s2
	s_wait_storecnt 0x0
	s_barrier_signal -1
	s_barrier_wait -1
	scratch_load_b128 v[2:5], off, s25
	s_mov_b32 s2, exec_lo
	s_wait_loadcnt 0x0
	ds_store_b128 v6, v[2:5]
	s_wait_dscnt 0x0
	s_barrier_signal -1
	s_barrier_wait -1
	v_cmpx_gt_u32_e32 4, v1
	s_cbranch_execz .LBB34_31
; %bb.28:
	v_dual_mov_b32 v10, v84 :: v_dual_add_nc_u32 v8, -1, v1
	v_mov_b64_e32 v[2:3], 0
	v_mov_b64_e32 v[4:5], 0
	v_add_nc_u32_e32 v9, 0x230, v84
	s_delay_alu instid0(VALU_DEP_4)
	v_or_b32_e32 v10, 8, v10
	s_mov_b32 s3, 0
.LBB34_29:                              ; =>This Inner Loop Header: Depth=1
	scratch_load_b128 v[86:89], v10, off offset:-8
	ds_load_b128 v[90:93], v9
	s_wait_xcnt 0x0
	v_dual_add_nc_u32 v9, 16, v9 :: v_dual_add_nc_u32 v10, 16, v10
	v_add_nc_u32_e32 v8, 1, v8
	s_delay_alu instid0(VALU_DEP_1) | instskip(SKIP_4) | instid1(VALU_DEP_2)
	v_cmp_lt_u32_e32 vcc_lo, 2, v8
	s_or_b32 s3, vcc_lo, s3
	s_wait_loadcnt_dscnt 0x0
	v_mul_f64_e32 v[12:13], v[92:93], v[88:89]
	v_mul_f64_e32 v[88:89], v[90:91], v[88:89]
	v_fma_f64 v[12:13], v[90:91], v[86:87], -v[12:13]
	s_delay_alu instid0(VALU_DEP_2) | instskip(NEXT) | instid1(VALU_DEP_2)
	v_fmac_f64_e32 v[88:89], v[92:93], v[86:87]
	v_add_f64_e32 v[4:5], v[4:5], v[12:13]
	s_delay_alu instid0(VALU_DEP_2)
	v_add_f64_e32 v[2:3], v[2:3], v[88:89]
	s_and_not1_b32 exec_lo, exec_lo, s3
	s_cbranch_execnz .LBB34_29
; %bb.30:
	s_or_b32 exec_lo, exec_lo, s3
	v_mov_b32_e32 v8, 0
	ds_load_b128 v[8:11], v8 offset:64
	s_wait_dscnt 0x0
	v_mul_f64_e32 v[86:87], v[2:3], v[10:11]
	v_mul_f64_e32 v[12:13], v[4:5], v[10:11]
	s_delay_alu instid0(VALU_DEP_2) | instskip(NEXT) | instid1(VALU_DEP_2)
	v_fma_f64 v[10:11], v[4:5], v[8:9], -v[86:87]
	v_fmac_f64_e32 v[12:13], v[2:3], v[8:9]
	scratch_store_b128 off, v[10:13], off offset:64
.LBB34_31:
	s_wait_xcnt 0x0
	s_or_b32 exec_lo, exec_lo, s2
	s_wait_storecnt 0x0
	s_barrier_signal -1
	s_barrier_wait -1
	scratch_load_b128 v[2:5], off, s37
	;; [unrolled: 54-line block ×19, first 2 shown]
	s_mov_b32 s2, exec_lo
	s_wait_loadcnt 0x0
	ds_store_b128 v6, v[2:5]
	s_wait_dscnt 0x0
	s_barrier_signal -1
	s_barrier_wait -1
	v_cmpx_gt_u32_e32 22, v1
	s_cbranch_execz .LBB34_103
; %bb.100:
	v_dual_mov_b32 v10, v84 :: v_dual_add_nc_u32 v8, -1, v1
	v_mov_b64_e32 v[2:3], 0
	v_mov_b64_e32 v[4:5], 0
	v_add_nc_u32_e32 v9, 0x230, v84
	s_delay_alu instid0(VALU_DEP_4)
	v_or_b32_e32 v10, 8, v10
	s_mov_b32 s3, 0
.LBB34_101:                             ; =>This Inner Loop Header: Depth=1
	scratch_load_b128 v[86:89], v10, off offset:-8
	ds_load_b128 v[90:93], v9
	s_wait_xcnt 0x0
	v_dual_add_nc_u32 v9, 16, v9 :: v_dual_add_nc_u32 v10, 16, v10
	v_add_nc_u32_e32 v8, 1, v8
	s_delay_alu instid0(VALU_DEP_1) | instskip(SKIP_4) | instid1(VALU_DEP_2)
	v_cmp_lt_u32_e32 vcc_lo, 20, v8
	s_or_b32 s3, vcc_lo, s3
	s_wait_loadcnt_dscnt 0x0
	v_mul_f64_e32 v[12:13], v[92:93], v[88:89]
	v_mul_f64_e32 v[88:89], v[90:91], v[88:89]
	v_fma_f64 v[12:13], v[90:91], v[86:87], -v[12:13]
	s_delay_alu instid0(VALU_DEP_2) | instskip(NEXT) | instid1(VALU_DEP_2)
	v_fmac_f64_e32 v[88:89], v[92:93], v[86:87]
	v_add_f64_e32 v[4:5], v[4:5], v[12:13]
	s_delay_alu instid0(VALU_DEP_2)
	v_add_f64_e32 v[2:3], v[2:3], v[88:89]
	s_and_not1_b32 exec_lo, exec_lo, s3
	s_cbranch_execnz .LBB34_101
; %bb.102:
	s_or_b32 exec_lo, exec_lo, s3
	v_mov_b32_e32 v8, 0
	ds_load_b128 v[8:11], v8 offset:352
	s_wait_dscnt 0x0
	v_mul_f64_e32 v[86:87], v[2:3], v[10:11]
	v_mul_f64_e32 v[12:13], v[4:5], v[10:11]
	s_delay_alu instid0(VALU_DEP_2) | instskip(NEXT) | instid1(VALU_DEP_2)
	v_fma_f64 v[10:11], v[4:5], v[8:9], -v[86:87]
	v_fmac_f64_e32 v[12:13], v[2:3], v[8:9]
	scratch_store_b128 off, v[10:13], off offset:352
.LBB34_103:
	s_wait_xcnt 0x0
	s_or_b32 exec_lo, exec_lo, s2
	s_wait_storecnt 0x0
	s_barrier_signal -1
	s_barrier_wait -1
	scratch_load_b128 v[2:5], off, s24
	s_mov_b32 s2, exec_lo
	s_wait_loadcnt 0x0
	ds_store_b128 v6, v[2:5]
	s_wait_dscnt 0x0
	s_barrier_signal -1
	s_barrier_wait -1
	v_cmpx_gt_u32_e32 23, v1
	s_cbranch_execz .LBB34_107
; %bb.104:
	v_dual_mov_b32 v10, v84 :: v_dual_add_nc_u32 v8, -1, v1
	v_mov_b64_e32 v[2:3], 0
	v_mov_b64_e32 v[4:5], 0
	v_add_nc_u32_e32 v9, 0x230, v84
	s_delay_alu instid0(VALU_DEP_4)
	v_or_b32_e32 v10, 8, v10
	s_mov_b32 s3, 0
.LBB34_105:                             ; =>This Inner Loop Header: Depth=1
	scratch_load_b128 v[86:89], v10, off offset:-8
	ds_load_b128 v[90:93], v9
	s_wait_xcnt 0x0
	v_dual_add_nc_u32 v9, 16, v9 :: v_dual_add_nc_u32 v10, 16, v10
	v_add_nc_u32_e32 v8, 1, v8
	s_delay_alu instid0(VALU_DEP_1) | instskip(SKIP_4) | instid1(VALU_DEP_2)
	v_cmp_lt_u32_e32 vcc_lo, 21, v8
	s_or_b32 s3, vcc_lo, s3
	s_wait_loadcnt_dscnt 0x0
	v_mul_f64_e32 v[12:13], v[92:93], v[88:89]
	v_mul_f64_e32 v[88:89], v[90:91], v[88:89]
	v_fma_f64 v[12:13], v[90:91], v[86:87], -v[12:13]
	s_delay_alu instid0(VALU_DEP_2) | instskip(NEXT) | instid1(VALU_DEP_2)
	v_fmac_f64_e32 v[88:89], v[92:93], v[86:87]
	v_add_f64_e32 v[4:5], v[4:5], v[12:13]
	s_delay_alu instid0(VALU_DEP_2)
	v_add_f64_e32 v[2:3], v[2:3], v[88:89]
	s_and_not1_b32 exec_lo, exec_lo, s3
	s_cbranch_execnz .LBB34_105
; %bb.106:
	s_or_b32 exec_lo, exec_lo, s3
	v_mov_b32_e32 v8, 0
	ds_load_b128 v[8:11], v8 offset:368
	s_wait_dscnt 0x0
	v_mul_f64_e32 v[86:87], v[2:3], v[10:11]
	v_mul_f64_e32 v[12:13], v[4:5], v[10:11]
	s_delay_alu instid0(VALU_DEP_2) | instskip(NEXT) | instid1(VALU_DEP_2)
	v_fma_f64 v[10:11], v[4:5], v[8:9], -v[86:87]
	v_fmac_f64_e32 v[12:13], v[2:3], v[8:9]
	scratch_store_b128 off, v[10:13], off offset:368
.LBB34_107:
	s_wait_xcnt 0x0
	s_or_b32 exec_lo, exec_lo, s2
	s_wait_storecnt 0x0
	s_barrier_signal -1
	s_barrier_wait -1
	scratch_load_b128 v[2:5], off, s26
	;; [unrolled: 54-line block ×12, first 2 shown]
	s_mov_b32 s2, exec_lo
	s_wait_loadcnt 0x0
	ds_store_b128 v6, v[2:5]
	s_wait_dscnt 0x0
	s_barrier_signal -1
	s_barrier_wait -1
	v_cmpx_ne_u32_e32 34, v1
	s_cbranch_execz .LBB34_151
; %bb.148:
	v_mov_b32_e32 v8, v84
	v_mov_b64_e32 v[2:3], 0
	v_mov_b64_e32 v[4:5], 0
	s_mov_b32 s3, 0
	s_delay_alu instid0(VALU_DEP_3)
	v_or_b32_e32 v8, 8, v8
.LBB34_149:                             ; =>This Inner Loop Header: Depth=1
	scratch_load_b128 v[10:13], v8, off offset:-8
	ds_load_b128 v[84:87], v6
	v_dual_add_nc_u32 v7, 1, v7 :: v_dual_add_nc_u32 v6, 16, v6
	s_wait_xcnt 0x0
	v_add_nc_u32_e32 v8, 16, v8
	s_delay_alu instid0(VALU_DEP_2) | instskip(SKIP_4) | instid1(VALU_DEP_2)
	v_cmp_lt_u32_e32 vcc_lo, 32, v7
	s_or_b32 s3, vcc_lo, s3
	s_wait_loadcnt_dscnt 0x0
	v_mul_f64_e32 v[88:89], v[86:87], v[12:13]
	v_mul_f64_e32 v[12:13], v[84:85], v[12:13]
	v_fma_f64 v[84:85], v[84:85], v[10:11], -v[88:89]
	s_delay_alu instid0(VALU_DEP_2) | instskip(NEXT) | instid1(VALU_DEP_2)
	v_fmac_f64_e32 v[12:13], v[86:87], v[10:11]
	v_add_f64_e32 v[4:5], v[4:5], v[84:85]
	s_delay_alu instid0(VALU_DEP_2)
	v_add_f64_e32 v[2:3], v[2:3], v[12:13]
	s_and_not1_b32 exec_lo, exec_lo, s3
	s_cbranch_execnz .LBB34_149
; %bb.150:
	s_or_b32 exec_lo, exec_lo, s3
	v_mov_b32_e32 v6, 0
	ds_load_b128 v[6:9], v6 offset:544
	s_wait_dscnt 0x0
	v_mul_f64_e32 v[12:13], v[2:3], v[8:9]
	v_mul_f64_e32 v[10:11], v[4:5], v[8:9]
	s_delay_alu instid0(VALU_DEP_2) | instskip(NEXT) | instid1(VALU_DEP_2)
	v_fma_f64 v[8:9], v[4:5], v[6:7], -v[12:13]
	v_fmac_f64_e32 v[10:11], v[2:3], v[6:7]
	scratch_store_b128 off, v[8:11], off offset:544
.LBB34_151:
	s_wait_xcnt 0x0
	s_or_b32 exec_lo, exec_lo, s2
	s_mov_b32 s3, -1
	s_wait_storecnt 0x0
	s_barrier_signal -1
	s_barrier_wait -1
.LBB34_152:
	s_and_b32 vcc_lo, exec_lo, s3
	s_cbranch_vccz .LBB34_154
; %bb.153:
	s_wait_xcnt 0xe
	v_mov_b32_e32 v2, 0
	s_lshl_b64 s[2:3], s[18:19], 2
	s_delay_alu instid0(SALU_CYCLE_1)
	s_add_nc_u64 s[2:3], s[6:7], s[2:3]
	global_load_b32 v2, v2, s[2:3]
	s_wait_loadcnt 0x0
	v_cmp_ne_u32_e32 vcc_lo, 0, v2
	s_cbranch_vccz .LBB34_155
.LBB34_154:
	s_sendmsg sendmsg(MSG_DEALLOC_VGPRS)
	s_endpgm
.LBB34_155:
	s_wait_xcnt 0xe
	v_lshl_add_u32 v6, v1, 4, 0x230
	s_wait_xcnt 0x0
	s_mov_b32 s2, exec_lo
	v_cmpx_eq_u32_e32 34, v1
	s_cbranch_execz .LBB34_157
; %bb.156:
	scratch_load_b128 v[2:5], off, s11
	v_mov_b32_e32 v8, 0
	s_delay_alu instid0(VALU_DEP_1)
	v_dual_mov_b32 v9, v8 :: v_dual_mov_b32 v10, v8
	v_mov_b32_e32 v11, v8
	scratch_store_b128 off, v[8:11], off offset:528
	s_wait_loadcnt 0x0
	ds_store_b128 v6, v[2:5]
.LBB34_157:
	s_wait_xcnt 0x0
	s_or_b32 exec_lo, exec_lo, s2
	s_wait_storecnt_dscnt 0x0
	s_barrier_signal -1
	s_barrier_wait -1
	s_clause 0x1
	scratch_load_b128 v[8:11], off, off offset:544
	scratch_load_b128 v[84:87], off, off offset:528
	v_mov_b32_e32 v2, 0
	s_mov_b32 s2, exec_lo
	ds_load_b128 v[88:91], v2 offset:1104
	s_wait_loadcnt_dscnt 0x100
	v_mul_f64_e32 v[4:5], v[90:91], v[10:11]
	v_mul_f64_e32 v[10:11], v[88:89], v[10:11]
	s_delay_alu instid0(VALU_DEP_2) | instskip(NEXT) | instid1(VALU_DEP_2)
	v_fma_f64 v[4:5], v[88:89], v[8:9], -v[4:5]
	v_fmac_f64_e32 v[10:11], v[90:91], v[8:9]
	s_delay_alu instid0(VALU_DEP_2) | instskip(NEXT) | instid1(VALU_DEP_2)
	v_add_f64_e32 v[4:5], 0, v[4:5]
	v_add_f64_e32 v[10:11], 0, v[10:11]
	s_wait_loadcnt 0x0
	s_delay_alu instid0(VALU_DEP_2) | instskip(NEXT) | instid1(VALU_DEP_2)
	v_add_f64_e64 v[8:9], v[84:85], -v[4:5]
	v_add_f64_e64 v[10:11], v[86:87], -v[10:11]
	scratch_store_b128 off, v[8:11], off offset:528
	s_wait_xcnt 0x0
	v_cmpx_lt_u32_e32 32, v1
	s_cbranch_execz .LBB34_159
; %bb.158:
	scratch_load_b128 v[8:11], off, s15
	v_dual_mov_b32 v3, v2 :: v_dual_mov_b32 v4, v2
	v_mov_b32_e32 v5, v2
	scratch_store_b128 off, v[2:5], off offset:512
	s_wait_loadcnt 0x0
	ds_store_b128 v6, v[8:11]
.LBB34_159:
	s_wait_xcnt 0x0
	s_or_b32 exec_lo, exec_lo, s2
	s_wait_storecnt_dscnt 0x0
	s_barrier_signal -1
	s_barrier_wait -1
	s_clause 0x2
	scratch_load_b128 v[8:11], off, off offset:528
	scratch_load_b128 v[84:87], off, off offset:544
	;; [unrolled: 1-line block ×3, first 2 shown]
	ds_load_b128 v[92:95], v2 offset:1088
	ds_load_b128 v[2:5], v2 offset:1104
	s_mov_b32 s2, exec_lo
	s_wait_loadcnt_dscnt 0x201
	v_mul_f64_e32 v[12:13], v[94:95], v[10:11]
	v_mul_f64_e32 v[10:11], v[92:93], v[10:11]
	s_wait_loadcnt_dscnt 0x100
	v_mul_f64_e32 v[96:97], v[2:3], v[86:87]
	v_mul_f64_e32 v[86:87], v[4:5], v[86:87]
	s_delay_alu instid0(VALU_DEP_4) | instskip(NEXT) | instid1(VALU_DEP_4)
	v_fma_f64 v[12:13], v[92:93], v[8:9], -v[12:13]
	v_fmac_f64_e32 v[10:11], v[94:95], v[8:9]
	s_delay_alu instid0(VALU_DEP_4) | instskip(NEXT) | instid1(VALU_DEP_4)
	v_fmac_f64_e32 v[96:97], v[4:5], v[84:85]
	v_fma_f64 v[2:3], v[2:3], v[84:85], -v[86:87]
	s_delay_alu instid0(VALU_DEP_4) | instskip(NEXT) | instid1(VALU_DEP_4)
	v_add_f64_e32 v[4:5], 0, v[12:13]
	v_add_f64_e32 v[8:9], 0, v[10:11]
	s_delay_alu instid0(VALU_DEP_2) | instskip(NEXT) | instid1(VALU_DEP_2)
	v_add_f64_e32 v[2:3], v[4:5], v[2:3]
	v_add_f64_e32 v[4:5], v[8:9], v[96:97]
	s_wait_loadcnt 0x0
	s_delay_alu instid0(VALU_DEP_2) | instskip(NEXT) | instid1(VALU_DEP_2)
	v_add_f64_e64 v[2:3], v[88:89], -v[2:3]
	v_add_f64_e64 v[4:5], v[90:91], -v[4:5]
	scratch_store_b128 off, v[2:5], off offset:512
	s_wait_xcnt 0x0
	v_cmpx_lt_u32_e32 31, v1
	s_cbranch_execz .LBB34_161
; %bb.160:
	scratch_load_b128 v[2:5], off, s8
	v_mov_b32_e32 v8, 0
	s_delay_alu instid0(VALU_DEP_1)
	v_dual_mov_b32 v9, v8 :: v_dual_mov_b32 v10, v8
	v_mov_b32_e32 v11, v8
	scratch_store_b128 off, v[8:11], off offset:496
	s_wait_loadcnt 0x0
	ds_store_b128 v6, v[2:5]
.LBB34_161:
	s_wait_xcnt 0x0
	s_or_b32 exec_lo, exec_lo, s2
	s_wait_storecnt_dscnt 0x0
	s_barrier_signal -1
	s_barrier_wait -1
	s_clause 0x3
	scratch_load_b128 v[8:11], off, off offset:512
	scratch_load_b128 v[84:87], off, off offset:528
	;; [unrolled: 1-line block ×4, first 2 shown]
	v_mov_b32_e32 v2, 0
	ds_load_b128 v[96:99], v2 offset:1072
	ds_load_b128 v[100:103], v2 offset:1088
	s_mov_b32 s2, exec_lo
	s_wait_loadcnt_dscnt 0x301
	v_mul_f64_e32 v[4:5], v[98:99], v[10:11]
	v_mul_f64_e32 v[12:13], v[96:97], v[10:11]
	s_wait_loadcnt_dscnt 0x200
	v_mul_f64_e32 v[104:105], v[100:101], v[86:87]
	v_mul_f64_e32 v[86:87], v[102:103], v[86:87]
	s_delay_alu instid0(VALU_DEP_4) | instskip(NEXT) | instid1(VALU_DEP_4)
	v_fma_f64 v[4:5], v[96:97], v[8:9], -v[4:5]
	v_fmac_f64_e32 v[12:13], v[98:99], v[8:9]
	ds_load_b128 v[8:11], v2 offset:1104
	v_fmac_f64_e32 v[104:105], v[102:103], v[84:85]
	v_fma_f64 v[84:85], v[100:101], v[84:85], -v[86:87]
	s_wait_loadcnt_dscnt 0x100
	v_mul_f64_e32 v[96:97], v[8:9], v[90:91]
	v_mul_f64_e32 v[90:91], v[10:11], v[90:91]
	v_add_f64_e32 v[4:5], 0, v[4:5]
	v_add_f64_e32 v[12:13], 0, v[12:13]
	s_delay_alu instid0(VALU_DEP_4) | instskip(NEXT) | instid1(VALU_DEP_4)
	v_fmac_f64_e32 v[96:97], v[10:11], v[88:89]
	v_fma_f64 v[8:9], v[8:9], v[88:89], -v[90:91]
	s_delay_alu instid0(VALU_DEP_4) | instskip(NEXT) | instid1(VALU_DEP_4)
	v_add_f64_e32 v[4:5], v[4:5], v[84:85]
	v_add_f64_e32 v[10:11], v[12:13], v[104:105]
	s_delay_alu instid0(VALU_DEP_2) | instskip(NEXT) | instid1(VALU_DEP_2)
	v_add_f64_e32 v[4:5], v[4:5], v[8:9]
	v_add_f64_e32 v[10:11], v[10:11], v[96:97]
	s_wait_loadcnt 0x0
	s_delay_alu instid0(VALU_DEP_2) | instskip(NEXT) | instid1(VALU_DEP_2)
	v_add_f64_e64 v[8:9], v[92:93], -v[4:5]
	v_add_f64_e64 v[10:11], v[94:95], -v[10:11]
	scratch_store_b128 off, v[8:11], off offset:496
	s_wait_xcnt 0x0
	v_cmpx_lt_u32_e32 30, v1
	s_cbranch_execz .LBB34_163
; %bb.162:
	scratch_load_b128 v[8:11], off, s10
	v_dual_mov_b32 v3, v2 :: v_dual_mov_b32 v4, v2
	v_mov_b32_e32 v5, v2
	scratch_store_b128 off, v[2:5], off offset:480
	s_wait_loadcnt 0x0
	ds_store_b128 v6, v[8:11]
.LBB34_163:
	s_wait_xcnt 0x0
	s_or_b32 exec_lo, exec_lo, s2
	s_wait_storecnt_dscnt 0x0
	s_barrier_signal -1
	s_barrier_wait -1
	s_clause 0x4
	scratch_load_b128 v[8:11], off, off offset:496
	scratch_load_b128 v[84:87], off, off offset:512
	;; [unrolled: 1-line block ×5, first 2 shown]
	ds_load_b128 v[100:103], v2 offset:1056
	ds_load_b128 v[104:107], v2 offset:1072
	s_mov_b32 s2, exec_lo
	s_wait_loadcnt_dscnt 0x401
	v_mul_f64_e32 v[4:5], v[102:103], v[10:11]
	v_mul_f64_e32 v[12:13], v[100:101], v[10:11]
	s_wait_loadcnt_dscnt 0x300
	v_mul_f64_e32 v[108:109], v[104:105], v[86:87]
	v_mul_f64_e32 v[86:87], v[106:107], v[86:87]
	s_delay_alu instid0(VALU_DEP_4) | instskip(NEXT) | instid1(VALU_DEP_4)
	v_fma_f64 v[100:101], v[100:101], v[8:9], -v[4:5]
	v_fmac_f64_e32 v[12:13], v[102:103], v[8:9]
	ds_load_b128 v[8:11], v2 offset:1088
	ds_load_b128 v[2:5], v2 offset:1104
	v_fmac_f64_e32 v[108:109], v[106:107], v[84:85]
	v_fma_f64 v[84:85], v[104:105], v[84:85], -v[86:87]
	s_wait_loadcnt_dscnt 0x201
	v_mul_f64_e32 v[102:103], v[8:9], v[90:91]
	v_mul_f64_e32 v[90:91], v[10:11], v[90:91]
	v_add_f64_e32 v[86:87], 0, v[100:101]
	v_add_f64_e32 v[12:13], 0, v[12:13]
	s_wait_loadcnt_dscnt 0x100
	v_mul_f64_e32 v[100:101], v[2:3], v[94:95]
	v_mul_f64_e32 v[94:95], v[4:5], v[94:95]
	v_fmac_f64_e32 v[102:103], v[10:11], v[88:89]
	v_fma_f64 v[8:9], v[8:9], v[88:89], -v[90:91]
	v_add_f64_e32 v[10:11], v[86:87], v[84:85]
	v_add_f64_e32 v[12:13], v[12:13], v[108:109]
	v_fmac_f64_e32 v[100:101], v[4:5], v[92:93]
	v_fma_f64 v[2:3], v[2:3], v[92:93], -v[94:95]
	s_delay_alu instid0(VALU_DEP_4) | instskip(NEXT) | instid1(VALU_DEP_4)
	v_add_f64_e32 v[4:5], v[10:11], v[8:9]
	v_add_f64_e32 v[8:9], v[12:13], v[102:103]
	s_delay_alu instid0(VALU_DEP_2) | instskip(NEXT) | instid1(VALU_DEP_2)
	v_add_f64_e32 v[2:3], v[4:5], v[2:3]
	v_add_f64_e32 v[4:5], v[8:9], v[100:101]
	s_wait_loadcnt 0x0
	s_delay_alu instid0(VALU_DEP_2) | instskip(NEXT) | instid1(VALU_DEP_2)
	v_add_f64_e64 v[2:3], v[96:97], -v[2:3]
	v_add_f64_e64 v[4:5], v[98:99], -v[4:5]
	scratch_store_b128 off, v[2:5], off offset:480
	s_wait_xcnt 0x0
	v_cmpx_lt_u32_e32 29, v1
	s_cbranch_execz .LBB34_165
; %bb.164:
	scratch_load_b128 v[2:5], off, s9
	v_mov_b32_e32 v8, 0
	s_delay_alu instid0(VALU_DEP_1)
	v_dual_mov_b32 v9, v8 :: v_dual_mov_b32 v10, v8
	v_mov_b32_e32 v11, v8
	scratch_store_b128 off, v[8:11], off offset:464
	s_wait_loadcnt 0x0
	ds_store_b128 v6, v[2:5]
.LBB34_165:
	s_wait_xcnt 0x0
	s_or_b32 exec_lo, exec_lo, s2
	s_wait_storecnt_dscnt 0x0
	s_barrier_signal -1
	s_barrier_wait -1
	s_clause 0x5
	scratch_load_b128 v[8:11], off, off offset:480
	scratch_load_b128 v[84:87], off, off offset:496
	;; [unrolled: 1-line block ×6, first 2 shown]
	v_mov_b32_e32 v2, 0
	ds_load_b128 v[104:107], v2 offset:1040
	ds_load_b128 v[108:111], v2 offset:1056
	s_mov_b32 s2, exec_lo
	s_wait_loadcnt_dscnt 0x501
	v_mul_f64_e32 v[4:5], v[106:107], v[10:11]
	v_mul_f64_e32 v[12:13], v[104:105], v[10:11]
	s_wait_loadcnt_dscnt 0x400
	v_mul_f64_e32 v[112:113], v[108:109], v[86:87]
	v_mul_f64_e32 v[86:87], v[110:111], v[86:87]
	s_delay_alu instid0(VALU_DEP_4) | instskip(NEXT) | instid1(VALU_DEP_4)
	v_fma_f64 v[4:5], v[104:105], v[8:9], -v[4:5]
	v_fmac_f64_e32 v[12:13], v[106:107], v[8:9]
	ds_load_b128 v[8:11], v2 offset:1072
	ds_load_b128 v[104:107], v2 offset:1088
	v_fmac_f64_e32 v[112:113], v[110:111], v[84:85]
	v_fma_f64 v[84:85], v[108:109], v[84:85], -v[86:87]
	s_wait_loadcnt_dscnt 0x301
	v_mul_f64_e32 v[114:115], v[8:9], v[90:91]
	v_mul_f64_e32 v[90:91], v[10:11], v[90:91]
	s_wait_loadcnt_dscnt 0x200
	v_mul_f64_e32 v[86:87], v[104:105], v[94:95]
	v_mul_f64_e32 v[94:95], v[106:107], v[94:95]
	v_add_f64_e32 v[4:5], 0, v[4:5]
	v_add_f64_e32 v[12:13], 0, v[12:13]
	v_fmac_f64_e32 v[114:115], v[10:11], v[88:89]
	v_fma_f64 v[88:89], v[8:9], v[88:89], -v[90:91]
	ds_load_b128 v[8:11], v2 offset:1104
	v_fmac_f64_e32 v[86:87], v[106:107], v[92:93]
	v_fma_f64 v[92:93], v[104:105], v[92:93], -v[94:95]
	v_add_f64_e32 v[4:5], v[4:5], v[84:85]
	v_add_f64_e32 v[12:13], v[12:13], v[112:113]
	s_wait_loadcnt_dscnt 0x100
	v_mul_f64_e32 v[84:85], v[8:9], v[98:99]
	v_mul_f64_e32 v[90:91], v[10:11], v[98:99]
	s_delay_alu instid0(VALU_DEP_4) | instskip(NEXT) | instid1(VALU_DEP_4)
	v_add_f64_e32 v[4:5], v[4:5], v[88:89]
	v_add_f64_e32 v[12:13], v[12:13], v[114:115]
	s_delay_alu instid0(VALU_DEP_4) | instskip(NEXT) | instid1(VALU_DEP_4)
	v_fmac_f64_e32 v[84:85], v[10:11], v[96:97]
	v_fma_f64 v[8:9], v[8:9], v[96:97], -v[90:91]
	s_delay_alu instid0(VALU_DEP_4) | instskip(NEXT) | instid1(VALU_DEP_4)
	v_add_f64_e32 v[4:5], v[4:5], v[92:93]
	v_add_f64_e32 v[10:11], v[12:13], v[86:87]
	s_delay_alu instid0(VALU_DEP_2) | instskip(NEXT) | instid1(VALU_DEP_2)
	v_add_f64_e32 v[4:5], v[4:5], v[8:9]
	v_add_f64_e32 v[10:11], v[10:11], v[84:85]
	s_wait_loadcnt 0x0
	s_delay_alu instid0(VALU_DEP_2) | instskip(NEXT) | instid1(VALU_DEP_2)
	v_add_f64_e64 v[8:9], v[100:101], -v[4:5]
	v_add_f64_e64 v[10:11], v[102:103], -v[10:11]
	scratch_store_b128 off, v[8:11], off offset:464
	s_wait_xcnt 0x0
	v_cmpx_lt_u32_e32 28, v1
	s_cbranch_execz .LBB34_167
; %bb.166:
	scratch_load_b128 v[8:11], off, s14
	v_dual_mov_b32 v3, v2 :: v_dual_mov_b32 v4, v2
	v_mov_b32_e32 v5, v2
	scratch_store_b128 off, v[2:5], off offset:448
	s_wait_loadcnt 0x0
	ds_store_b128 v6, v[8:11]
.LBB34_167:
	s_wait_xcnt 0x0
	s_or_b32 exec_lo, exec_lo, s2
	s_wait_storecnt_dscnt 0x0
	s_barrier_signal -1
	s_barrier_wait -1
	s_clause 0x6
	scratch_load_b128 v[8:11], off, off offset:464
	scratch_load_b128 v[84:87], off, off offset:480
	;; [unrolled: 1-line block ×7, first 2 shown]
	ds_load_b128 v[108:111], v2 offset:1024
	ds_load_b128 v[112:115], v2 offset:1040
	s_mov_b32 s2, exec_lo
	s_wait_loadcnt_dscnt 0x601
	v_mul_f64_e32 v[4:5], v[110:111], v[10:11]
	v_mul_f64_e32 v[12:13], v[108:109], v[10:11]
	s_wait_loadcnt_dscnt 0x500
	v_mul_f64_e32 v[116:117], v[112:113], v[86:87]
	v_mul_f64_e32 v[86:87], v[114:115], v[86:87]
	s_delay_alu instid0(VALU_DEP_4) | instskip(NEXT) | instid1(VALU_DEP_4)
	v_fma_f64 v[4:5], v[108:109], v[8:9], -v[4:5]
	v_fmac_f64_e32 v[12:13], v[110:111], v[8:9]
	ds_load_b128 v[8:11], v2 offset:1056
	ds_load_b128 v[108:111], v2 offset:1072
	v_fmac_f64_e32 v[116:117], v[114:115], v[84:85]
	v_fma_f64 v[84:85], v[112:113], v[84:85], -v[86:87]
	s_wait_loadcnt_dscnt 0x401
	v_mul_f64_e32 v[118:119], v[8:9], v[90:91]
	v_mul_f64_e32 v[90:91], v[10:11], v[90:91]
	s_wait_loadcnt_dscnt 0x300
	v_mul_f64_e32 v[86:87], v[108:109], v[94:95]
	v_mul_f64_e32 v[94:95], v[110:111], v[94:95]
	v_add_f64_e32 v[4:5], 0, v[4:5]
	v_add_f64_e32 v[12:13], 0, v[12:13]
	v_fmac_f64_e32 v[118:119], v[10:11], v[88:89]
	v_fma_f64 v[88:89], v[8:9], v[88:89], -v[90:91]
	v_fmac_f64_e32 v[86:87], v[110:111], v[92:93]
	v_fma_f64 v[92:93], v[108:109], v[92:93], -v[94:95]
	v_add_f64_e32 v[84:85], v[4:5], v[84:85]
	v_add_f64_e32 v[12:13], v[12:13], v[116:117]
	ds_load_b128 v[8:11], v2 offset:1088
	ds_load_b128 v[2:5], v2 offset:1104
	s_wait_loadcnt_dscnt 0x201
	v_mul_f64_e32 v[90:91], v[8:9], v[98:99]
	v_mul_f64_e32 v[98:99], v[10:11], v[98:99]
	s_wait_loadcnt_dscnt 0x100
	v_mul_f64_e32 v[94:95], v[4:5], v[102:103]
	v_add_f64_e32 v[84:85], v[84:85], v[88:89]
	v_add_f64_e32 v[12:13], v[12:13], v[118:119]
	v_mul_f64_e32 v[88:89], v[2:3], v[102:103]
	v_fmac_f64_e32 v[90:91], v[10:11], v[96:97]
	v_fma_f64 v[8:9], v[8:9], v[96:97], -v[98:99]
	v_fma_f64 v[2:3], v[2:3], v[100:101], -v[94:95]
	v_add_f64_e32 v[10:11], v[84:85], v[92:93]
	v_add_f64_e32 v[12:13], v[12:13], v[86:87]
	v_fmac_f64_e32 v[88:89], v[4:5], v[100:101]
	s_delay_alu instid0(VALU_DEP_3) | instskip(NEXT) | instid1(VALU_DEP_3)
	v_add_f64_e32 v[4:5], v[10:11], v[8:9]
	v_add_f64_e32 v[8:9], v[12:13], v[90:91]
	s_delay_alu instid0(VALU_DEP_2) | instskip(NEXT) | instid1(VALU_DEP_2)
	v_add_f64_e32 v[2:3], v[4:5], v[2:3]
	v_add_f64_e32 v[4:5], v[8:9], v[88:89]
	s_wait_loadcnt 0x0
	s_delay_alu instid0(VALU_DEP_2) | instskip(NEXT) | instid1(VALU_DEP_2)
	v_add_f64_e64 v[2:3], v[104:105], -v[2:3]
	v_add_f64_e64 v[4:5], v[106:107], -v[4:5]
	scratch_store_b128 off, v[2:5], off offset:448
	s_wait_xcnt 0x0
	v_cmpx_lt_u32_e32 27, v1
	s_cbranch_execz .LBB34_169
; %bb.168:
	scratch_load_b128 v[2:5], off, s13
	v_mov_b32_e32 v8, 0
	s_delay_alu instid0(VALU_DEP_1)
	v_dual_mov_b32 v9, v8 :: v_dual_mov_b32 v10, v8
	v_mov_b32_e32 v11, v8
	scratch_store_b128 off, v[8:11], off offset:432
	s_wait_loadcnt 0x0
	ds_store_b128 v6, v[2:5]
.LBB34_169:
	s_wait_xcnt 0x0
	s_or_b32 exec_lo, exec_lo, s2
	s_wait_storecnt_dscnt 0x0
	s_barrier_signal -1
	s_barrier_wait -1
	s_clause 0x7
	scratch_load_b128 v[8:11], off, off offset:448
	scratch_load_b128 v[84:87], off, off offset:464
	;; [unrolled: 1-line block ×8, first 2 shown]
	v_mov_b32_e32 v2, 0
	ds_load_b128 v[112:115], v2 offset:1008
	ds_load_b128 v[116:119], v2 offset:1024
	s_mov_b32 s2, exec_lo
	s_wait_loadcnt_dscnt 0x701
	v_mul_f64_e32 v[4:5], v[114:115], v[10:11]
	v_mul_f64_e32 v[12:13], v[112:113], v[10:11]
	s_wait_loadcnt_dscnt 0x600
	v_mul_f64_e32 v[120:121], v[116:117], v[86:87]
	v_mul_f64_e32 v[86:87], v[118:119], v[86:87]
	s_delay_alu instid0(VALU_DEP_4) | instskip(NEXT) | instid1(VALU_DEP_4)
	v_fma_f64 v[4:5], v[112:113], v[8:9], -v[4:5]
	v_fmac_f64_e32 v[12:13], v[114:115], v[8:9]
	ds_load_b128 v[8:11], v2 offset:1040
	ds_load_b128 v[112:115], v2 offset:1056
	v_fmac_f64_e32 v[120:121], v[118:119], v[84:85]
	v_fma_f64 v[84:85], v[116:117], v[84:85], -v[86:87]
	s_wait_loadcnt_dscnt 0x501
	v_mul_f64_e32 v[122:123], v[8:9], v[90:91]
	v_mul_f64_e32 v[90:91], v[10:11], v[90:91]
	s_wait_loadcnt_dscnt 0x400
	v_mul_f64_e32 v[116:117], v[112:113], v[94:95]
	v_mul_f64_e32 v[94:95], v[114:115], v[94:95]
	v_add_f64_e32 v[4:5], 0, v[4:5]
	v_add_f64_e32 v[12:13], 0, v[12:13]
	v_fmac_f64_e32 v[122:123], v[10:11], v[88:89]
	v_fma_f64 v[88:89], v[8:9], v[88:89], -v[90:91]
	v_fmac_f64_e32 v[116:117], v[114:115], v[92:93]
	v_fma_f64 v[92:93], v[112:113], v[92:93], -v[94:95]
	v_add_f64_e32 v[4:5], v[4:5], v[84:85]
	v_add_f64_e32 v[12:13], v[12:13], v[120:121]
	ds_load_b128 v[8:11], v2 offset:1072
	ds_load_b128 v[84:87], v2 offset:1088
	s_wait_loadcnt_dscnt 0x301
	v_mul_f64_e32 v[90:91], v[8:9], v[98:99]
	v_mul_f64_e32 v[98:99], v[10:11], v[98:99]
	s_wait_loadcnt_dscnt 0x200
	v_mul_f64_e32 v[94:95], v[86:87], v[102:103]
	v_add_f64_e32 v[4:5], v[4:5], v[88:89]
	v_add_f64_e32 v[12:13], v[12:13], v[122:123]
	v_mul_f64_e32 v[88:89], v[84:85], v[102:103]
	v_fmac_f64_e32 v[90:91], v[10:11], v[96:97]
	v_fma_f64 v[96:97], v[8:9], v[96:97], -v[98:99]
	ds_load_b128 v[8:11], v2 offset:1104
	v_fma_f64 v[84:85], v[84:85], v[100:101], -v[94:95]
	v_add_f64_e32 v[4:5], v[4:5], v[92:93]
	v_add_f64_e32 v[12:13], v[12:13], v[116:117]
	v_fmac_f64_e32 v[88:89], v[86:87], v[100:101]
	s_wait_loadcnt_dscnt 0x100
	v_mul_f64_e32 v[92:93], v[8:9], v[106:107]
	v_mul_f64_e32 v[98:99], v[10:11], v[106:107]
	v_add_f64_e32 v[4:5], v[4:5], v[96:97]
	v_add_f64_e32 v[12:13], v[12:13], v[90:91]
	s_delay_alu instid0(VALU_DEP_4) | instskip(NEXT) | instid1(VALU_DEP_4)
	v_fmac_f64_e32 v[92:93], v[10:11], v[104:105]
	v_fma_f64 v[8:9], v[8:9], v[104:105], -v[98:99]
	s_delay_alu instid0(VALU_DEP_4) | instskip(NEXT) | instid1(VALU_DEP_4)
	v_add_f64_e32 v[4:5], v[4:5], v[84:85]
	v_add_f64_e32 v[10:11], v[12:13], v[88:89]
	s_delay_alu instid0(VALU_DEP_2) | instskip(NEXT) | instid1(VALU_DEP_2)
	v_add_f64_e32 v[4:5], v[4:5], v[8:9]
	v_add_f64_e32 v[10:11], v[10:11], v[92:93]
	s_wait_loadcnt 0x0
	s_delay_alu instid0(VALU_DEP_2) | instskip(NEXT) | instid1(VALU_DEP_2)
	v_add_f64_e64 v[8:9], v[108:109], -v[4:5]
	v_add_f64_e64 v[10:11], v[110:111], -v[10:11]
	scratch_store_b128 off, v[8:11], off offset:432
	s_wait_xcnt 0x0
	v_cmpx_lt_u32_e32 26, v1
	s_cbranch_execz .LBB34_171
; %bb.170:
	scratch_load_b128 v[8:11], off, s21
	v_dual_mov_b32 v3, v2 :: v_dual_mov_b32 v4, v2
	v_mov_b32_e32 v5, v2
	scratch_store_b128 off, v[2:5], off offset:416
	s_wait_loadcnt 0x0
	ds_store_b128 v6, v[8:11]
.LBB34_171:
	s_wait_xcnt 0x0
	s_or_b32 exec_lo, exec_lo, s2
	s_wait_storecnt_dscnt 0x0
	s_barrier_signal -1
	s_barrier_wait -1
	s_clause 0x7
	scratch_load_b128 v[8:11], off, off offset:432
	scratch_load_b128 v[84:87], off, off offset:448
	;; [unrolled: 1-line block ×8, first 2 shown]
	ds_load_b128 v[112:115], v2 offset:992
	ds_load_b128 v[116:119], v2 offset:1008
	scratch_load_b128 v[120:123], off, off offset:416
	s_mov_b32 s2, exec_lo
	s_wait_loadcnt_dscnt 0x801
	v_mul_f64_e32 v[4:5], v[114:115], v[10:11]
	v_mul_f64_e32 v[12:13], v[112:113], v[10:11]
	s_wait_loadcnt_dscnt 0x700
	v_mul_f64_e32 v[124:125], v[116:117], v[86:87]
	v_mul_f64_e32 v[86:87], v[118:119], v[86:87]
	s_delay_alu instid0(VALU_DEP_4) | instskip(NEXT) | instid1(VALU_DEP_4)
	v_fma_f64 v[4:5], v[112:113], v[8:9], -v[4:5]
	v_fmac_f64_e32 v[12:13], v[114:115], v[8:9]
	ds_load_b128 v[8:11], v2 offset:1024
	ds_load_b128 v[112:115], v2 offset:1040
	v_fmac_f64_e32 v[124:125], v[118:119], v[84:85]
	v_fma_f64 v[84:85], v[116:117], v[84:85], -v[86:87]
	s_wait_loadcnt_dscnt 0x601
	v_mul_f64_e32 v[126:127], v[8:9], v[90:91]
	v_mul_f64_e32 v[90:91], v[10:11], v[90:91]
	s_wait_loadcnt_dscnt 0x500
	v_mul_f64_e32 v[116:117], v[112:113], v[94:95]
	v_mul_f64_e32 v[94:95], v[114:115], v[94:95]
	v_add_f64_e32 v[4:5], 0, v[4:5]
	v_add_f64_e32 v[12:13], 0, v[12:13]
	v_fmac_f64_e32 v[126:127], v[10:11], v[88:89]
	v_fma_f64 v[88:89], v[8:9], v[88:89], -v[90:91]
	v_fmac_f64_e32 v[116:117], v[114:115], v[92:93]
	v_fma_f64 v[92:93], v[112:113], v[92:93], -v[94:95]
	v_add_f64_e32 v[4:5], v[4:5], v[84:85]
	v_add_f64_e32 v[12:13], v[12:13], v[124:125]
	ds_load_b128 v[8:11], v2 offset:1056
	ds_load_b128 v[84:87], v2 offset:1072
	s_wait_loadcnt_dscnt 0x401
	v_mul_f64_e32 v[90:91], v[8:9], v[98:99]
	v_mul_f64_e32 v[98:99], v[10:11], v[98:99]
	s_wait_loadcnt_dscnt 0x300
	v_mul_f64_e32 v[94:95], v[86:87], v[102:103]
	v_add_f64_e32 v[4:5], v[4:5], v[88:89]
	v_add_f64_e32 v[12:13], v[12:13], v[126:127]
	v_mul_f64_e32 v[88:89], v[84:85], v[102:103]
	v_fmac_f64_e32 v[90:91], v[10:11], v[96:97]
	v_fma_f64 v[96:97], v[8:9], v[96:97], -v[98:99]
	v_fma_f64 v[84:85], v[84:85], v[100:101], -v[94:95]
	v_add_f64_e32 v[92:93], v[4:5], v[92:93]
	v_add_f64_e32 v[12:13], v[12:13], v[116:117]
	ds_load_b128 v[8:11], v2 offset:1088
	ds_load_b128 v[2:5], v2 offset:1104
	v_fmac_f64_e32 v[88:89], v[86:87], v[100:101]
	s_wait_loadcnt_dscnt 0x201
	v_mul_f64_e32 v[98:99], v[8:9], v[106:107]
	v_mul_f64_e32 v[102:103], v[10:11], v[106:107]
	v_add_f64_e32 v[86:87], v[92:93], v[96:97]
	v_add_f64_e32 v[12:13], v[12:13], v[90:91]
	s_wait_loadcnt_dscnt 0x100
	v_mul_f64_e32 v[90:91], v[2:3], v[110:111]
	v_mul_f64_e32 v[92:93], v[4:5], v[110:111]
	v_fmac_f64_e32 v[98:99], v[10:11], v[104:105]
	v_fma_f64 v[8:9], v[8:9], v[104:105], -v[102:103]
	v_add_f64_e32 v[10:11], v[86:87], v[84:85]
	v_add_f64_e32 v[12:13], v[12:13], v[88:89]
	v_fmac_f64_e32 v[90:91], v[4:5], v[108:109]
	v_fma_f64 v[2:3], v[2:3], v[108:109], -v[92:93]
	s_delay_alu instid0(VALU_DEP_4) | instskip(NEXT) | instid1(VALU_DEP_4)
	v_add_f64_e32 v[4:5], v[10:11], v[8:9]
	v_add_f64_e32 v[8:9], v[12:13], v[98:99]
	s_delay_alu instid0(VALU_DEP_2) | instskip(NEXT) | instid1(VALU_DEP_2)
	v_add_f64_e32 v[2:3], v[4:5], v[2:3]
	v_add_f64_e32 v[4:5], v[8:9], v[90:91]
	s_wait_loadcnt 0x0
	s_delay_alu instid0(VALU_DEP_2) | instskip(NEXT) | instid1(VALU_DEP_2)
	v_add_f64_e64 v[2:3], v[120:121], -v[2:3]
	v_add_f64_e64 v[4:5], v[122:123], -v[4:5]
	scratch_store_b128 off, v[2:5], off offset:416
	s_wait_xcnt 0x0
	v_cmpx_lt_u32_e32 25, v1
	s_cbranch_execz .LBB34_173
; %bb.172:
	scratch_load_b128 v[2:5], off, s20
	v_mov_b32_e32 v8, 0
	s_delay_alu instid0(VALU_DEP_1)
	v_dual_mov_b32 v9, v8 :: v_dual_mov_b32 v10, v8
	v_mov_b32_e32 v11, v8
	scratch_store_b128 off, v[8:11], off offset:400
	s_wait_loadcnt 0x0
	ds_store_b128 v6, v[2:5]
.LBB34_173:
	s_wait_xcnt 0x0
	s_or_b32 exec_lo, exec_lo, s2
	s_wait_storecnt_dscnt 0x0
	s_barrier_signal -1
	s_barrier_wait -1
	s_clause 0x8
	scratch_load_b128 v[8:11], off, off offset:416
	scratch_load_b128 v[84:87], off, off offset:432
	;; [unrolled: 1-line block ×9, first 2 shown]
	v_mov_b32_e32 v2, 0
	scratch_load_b128 v[120:123], off, off offset:400
	s_mov_b32 s2, exec_lo
	ds_load_b128 v[116:119], v2 offset:976
	ds_load_b128 v[124:127], v2 offset:992
	s_wait_loadcnt_dscnt 0x901
	v_mul_f64_e32 v[4:5], v[118:119], v[10:11]
	v_mul_f64_e32 v[12:13], v[116:117], v[10:11]
	s_wait_loadcnt_dscnt 0x800
	v_mul_f64_e32 v[128:129], v[124:125], v[86:87]
	v_mul_f64_e32 v[86:87], v[126:127], v[86:87]
	s_delay_alu instid0(VALU_DEP_4) | instskip(NEXT) | instid1(VALU_DEP_4)
	v_fma_f64 v[4:5], v[116:117], v[8:9], -v[4:5]
	v_fmac_f64_e32 v[12:13], v[118:119], v[8:9]
	ds_load_b128 v[8:11], v2 offset:1008
	ds_load_b128 v[116:119], v2 offset:1024
	v_fmac_f64_e32 v[128:129], v[126:127], v[84:85]
	v_fma_f64 v[84:85], v[124:125], v[84:85], -v[86:87]
	s_wait_loadcnt_dscnt 0x701
	v_mul_f64_e32 v[130:131], v[8:9], v[90:91]
	v_mul_f64_e32 v[90:91], v[10:11], v[90:91]
	s_wait_loadcnt_dscnt 0x600
	v_mul_f64_e32 v[124:125], v[116:117], v[94:95]
	v_mul_f64_e32 v[94:95], v[118:119], v[94:95]
	v_add_f64_e32 v[4:5], 0, v[4:5]
	v_add_f64_e32 v[12:13], 0, v[12:13]
	v_fmac_f64_e32 v[130:131], v[10:11], v[88:89]
	v_fma_f64 v[88:89], v[8:9], v[88:89], -v[90:91]
	v_fmac_f64_e32 v[124:125], v[118:119], v[92:93]
	v_fma_f64 v[92:93], v[116:117], v[92:93], -v[94:95]
	v_add_f64_e32 v[4:5], v[4:5], v[84:85]
	v_add_f64_e32 v[12:13], v[12:13], v[128:129]
	ds_load_b128 v[8:11], v2 offset:1040
	ds_load_b128 v[84:87], v2 offset:1056
	s_wait_loadcnt_dscnt 0x501
	v_mul_f64_e32 v[126:127], v[8:9], v[98:99]
	v_mul_f64_e32 v[90:91], v[10:11], v[98:99]
	s_wait_loadcnt_dscnt 0x400
	v_mul_f64_e32 v[94:95], v[84:85], v[102:103]
	v_mul_f64_e32 v[98:99], v[86:87], v[102:103]
	v_add_f64_e32 v[4:5], v[4:5], v[88:89]
	v_add_f64_e32 v[12:13], v[12:13], v[130:131]
	v_fmac_f64_e32 v[126:127], v[10:11], v[96:97]
	v_fma_f64 v[96:97], v[8:9], v[96:97], -v[90:91]
	ds_load_b128 v[8:11], v2 offset:1072
	ds_load_b128 v[88:91], v2 offset:1088
	v_fmac_f64_e32 v[94:95], v[86:87], v[100:101]
	v_fma_f64 v[84:85], v[84:85], v[100:101], -v[98:99]
	v_add_f64_e32 v[4:5], v[4:5], v[92:93]
	v_add_f64_e32 v[12:13], v[12:13], v[124:125]
	s_wait_loadcnt_dscnt 0x301
	v_mul_f64_e32 v[92:93], v[8:9], v[106:107]
	v_mul_f64_e32 v[102:103], v[10:11], v[106:107]
	s_wait_loadcnt_dscnt 0x200
	v_mul_f64_e32 v[86:87], v[88:89], v[110:111]
	v_add_f64_e32 v[4:5], v[4:5], v[96:97]
	v_add_f64_e32 v[12:13], v[12:13], v[126:127]
	v_mul_f64_e32 v[96:97], v[90:91], v[110:111]
	v_fmac_f64_e32 v[92:93], v[10:11], v[104:105]
	v_fma_f64 v[98:99], v[8:9], v[104:105], -v[102:103]
	ds_load_b128 v[8:11], v2 offset:1104
	v_fmac_f64_e32 v[86:87], v[90:91], v[108:109]
	v_add_f64_e32 v[4:5], v[4:5], v[84:85]
	v_add_f64_e32 v[12:13], v[12:13], v[94:95]
	s_wait_loadcnt_dscnt 0x100
	v_mul_f64_e32 v[84:85], v[8:9], v[114:115]
	v_mul_f64_e32 v[94:95], v[10:11], v[114:115]
	v_fma_f64 v[88:89], v[88:89], v[108:109], -v[96:97]
	v_add_f64_e32 v[4:5], v[4:5], v[98:99]
	v_add_f64_e32 v[12:13], v[12:13], v[92:93]
	v_fmac_f64_e32 v[84:85], v[10:11], v[112:113]
	v_fma_f64 v[8:9], v[8:9], v[112:113], -v[94:95]
	s_delay_alu instid0(VALU_DEP_4) | instskip(NEXT) | instid1(VALU_DEP_4)
	v_add_f64_e32 v[4:5], v[4:5], v[88:89]
	v_add_f64_e32 v[10:11], v[12:13], v[86:87]
	s_delay_alu instid0(VALU_DEP_2) | instskip(NEXT) | instid1(VALU_DEP_2)
	v_add_f64_e32 v[4:5], v[4:5], v[8:9]
	v_add_f64_e32 v[10:11], v[10:11], v[84:85]
	s_wait_loadcnt 0x0
	s_delay_alu instid0(VALU_DEP_2) | instskip(NEXT) | instid1(VALU_DEP_2)
	v_add_f64_e64 v[8:9], v[120:121], -v[4:5]
	v_add_f64_e64 v[10:11], v[122:123], -v[10:11]
	scratch_store_b128 off, v[8:11], off offset:400
	s_wait_xcnt 0x0
	v_cmpx_lt_u32_e32 24, v1
	s_cbranch_execz .LBB34_175
; %bb.174:
	scratch_load_b128 v[8:11], off, s26
	v_dual_mov_b32 v3, v2 :: v_dual_mov_b32 v4, v2
	v_mov_b32_e32 v5, v2
	scratch_store_b128 off, v[2:5], off offset:384
	s_wait_loadcnt 0x0
	ds_store_b128 v6, v[8:11]
.LBB34_175:
	s_wait_xcnt 0x0
	s_or_b32 exec_lo, exec_lo, s2
	s_wait_storecnt_dscnt 0x0
	s_barrier_signal -1
	s_barrier_wait -1
	s_clause 0x9
	scratch_load_b128 v[8:11], off, off offset:400
	scratch_load_b128 v[84:87], off, off offset:416
	;; [unrolled: 1-line block ×10, first 2 shown]
	ds_load_b128 v[120:123], v2 offset:960
	ds_load_b128 v[124:127], v2 offset:976
	scratch_load_b128 v[128:131], off, off offset:384
	s_mov_b32 s2, exec_lo
	s_wait_loadcnt_dscnt 0xa01
	v_mul_f64_e32 v[4:5], v[122:123], v[10:11]
	v_mul_f64_e32 v[12:13], v[120:121], v[10:11]
	s_wait_loadcnt_dscnt 0x900
	v_mul_f64_e32 v[132:133], v[124:125], v[86:87]
	v_mul_f64_e32 v[86:87], v[126:127], v[86:87]
	s_delay_alu instid0(VALU_DEP_4) | instskip(NEXT) | instid1(VALU_DEP_4)
	v_fma_f64 v[4:5], v[120:121], v[8:9], -v[4:5]
	v_fmac_f64_e32 v[12:13], v[122:123], v[8:9]
	ds_load_b128 v[8:11], v2 offset:992
	ds_load_b128 v[120:123], v2 offset:1008
	v_fmac_f64_e32 v[132:133], v[126:127], v[84:85]
	v_fma_f64 v[84:85], v[124:125], v[84:85], -v[86:87]
	s_wait_loadcnt_dscnt 0x801
	v_mul_f64_e32 v[134:135], v[8:9], v[90:91]
	v_mul_f64_e32 v[90:91], v[10:11], v[90:91]
	s_wait_loadcnt_dscnt 0x700
	v_mul_f64_e32 v[124:125], v[120:121], v[94:95]
	v_mul_f64_e32 v[94:95], v[122:123], v[94:95]
	v_add_f64_e32 v[4:5], 0, v[4:5]
	v_add_f64_e32 v[12:13], 0, v[12:13]
	v_fmac_f64_e32 v[134:135], v[10:11], v[88:89]
	v_fma_f64 v[88:89], v[8:9], v[88:89], -v[90:91]
	v_fmac_f64_e32 v[124:125], v[122:123], v[92:93]
	v_fma_f64 v[92:93], v[120:121], v[92:93], -v[94:95]
	v_add_f64_e32 v[4:5], v[4:5], v[84:85]
	v_add_f64_e32 v[12:13], v[12:13], v[132:133]
	ds_load_b128 v[8:11], v2 offset:1024
	ds_load_b128 v[84:87], v2 offset:1040
	s_wait_loadcnt_dscnt 0x601
	v_mul_f64_e32 v[126:127], v[8:9], v[98:99]
	v_mul_f64_e32 v[90:91], v[10:11], v[98:99]
	s_wait_loadcnt_dscnt 0x500
	v_mul_f64_e32 v[94:95], v[84:85], v[102:103]
	v_mul_f64_e32 v[98:99], v[86:87], v[102:103]
	v_add_f64_e32 v[4:5], v[4:5], v[88:89]
	v_add_f64_e32 v[12:13], v[12:13], v[134:135]
	v_fmac_f64_e32 v[126:127], v[10:11], v[96:97]
	v_fma_f64 v[96:97], v[8:9], v[96:97], -v[90:91]
	ds_load_b128 v[8:11], v2 offset:1056
	ds_load_b128 v[88:91], v2 offset:1072
	v_fmac_f64_e32 v[94:95], v[86:87], v[100:101]
	v_fma_f64 v[84:85], v[84:85], v[100:101], -v[98:99]
	v_add_f64_e32 v[4:5], v[4:5], v[92:93]
	v_add_f64_e32 v[12:13], v[12:13], v[124:125]
	s_wait_loadcnt_dscnt 0x401
	v_mul_f64_e32 v[92:93], v[8:9], v[106:107]
	v_mul_f64_e32 v[102:103], v[10:11], v[106:107]
	s_wait_loadcnt_dscnt 0x300
	v_mul_f64_e32 v[86:87], v[88:89], v[110:111]
	v_add_f64_e32 v[4:5], v[4:5], v[96:97]
	v_add_f64_e32 v[12:13], v[12:13], v[126:127]
	v_mul_f64_e32 v[96:97], v[90:91], v[110:111]
	v_fmac_f64_e32 v[92:93], v[10:11], v[104:105]
	v_fma_f64 v[98:99], v[8:9], v[104:105], -v[102:103]
	v_fmac_f64_e32 v[86:87], v[90:91], v[108:109]
	v_add_f64_e32 v[84:85], v[4:5], v[84:85]
	v_add_f64_e32 v[12:13], v[12:13], v[94:95]
	ds_load_b128 v[8:11], v2 offset:1088
	ds_load_b128 v[2:5], v2 offset:1104
	v_fma_f64 v[88:89], v[88:89], v[108:109], -v[96:97]
	s_wait_loadcnt_dscnt 0x201
	v_mul_f64_e32 v[94:95], v[8:9], v[114:115]
	v_mul_f64_e32 v[100:101], v[10:11], v[114:115]
	s_wait_loadcnt_dscnt 0x100
	v_mul_f64_e32 v[90:91], v[2:3], v[118:119]
	v_add_f64_e32 v[84:85], v[84:85], v[98:99]
	v_add_f64_e32 v[12:13], v[12:13], v[92:93]
	v_mul_f64_e32 v[92:93], v[4:5], v[118:119]
	v_fmac_f64_e32 v[94:95], v[10:11], v[112:113]
	v_fma_f64 v[8:9], v[8:9], v[112:113], -v[100:101]
	v_fmac_f64_e32 v[90:91], v[4:5], v[116:117]
	v_add_f64_e32 v[10:11], v[84:85], v[88:89]
	v_add_f64_e32 v[12:13], v[12:13], v[86:87]
	v_fma_f64 v[2:3], v[2:3], v[116:117], -v[92:93]
	s_delay_alu instid0(VALU_DEP_3) | instskip(NEXT) | instid1(VALU_DEP_3)
	v_add_f64_e32 v[4:5], v[10:11], v[8:9]
	v_add_f64_e32 v[8:9], v[12:13], v[94:95]
	s_delay_alu instid0(VALU_DEP_2) | instskip(NEXT) | instid1(VALU_DEP_2)
	v_add_f64_e32 v[2:3], v[4:5], v[2:3]
	v_add_f64_e32 v[4:5], v[8:9], v[90:91]
	s_wait_loadcnt 0x0
	s_delay_alu instid0(VALU_DEP_2) | instskip(NEXT) | instid1(VALU_DEP_2)
	v_add_f64_e64 v[2:3], v[128:129], -v[2:3]
	v_add_f64_e64 v[4:5], v[130:131], -v[4:5]
	scratch_store_b128 off, v[2:5], off offset:384
	s_wait_xcnt 0x0
	v_cmpx_lt_u32_e32 23, v1
	s_cbranch_execz .LBB34_177
; %bb.176:
	scratch_load_b128 v[2:5], off, s24
	v_mov_b32_e32 v8, 0
	s_delay_alu instid0(VALU_DEP_1)
	v_dual_mov_b32 v9, v8 :: v_dual_mov_b32 v10, v8
	v_mov_b32_e32 v11, v8
	scratch_store_b128 off, v[8:11], off offset:368
	s_wait_loadcnt 0x0
	ds_store_b128 v6, v[2:5]
.LBB34_177:
	s_wait_xcnt 0x0
	s_or_b32 exec_lo, exec_lo, s2
	s_wait_storecnt_dscnt 0x0
	s_barrier_signal -1
	s_barrier_wait -1
	s_clause 0x9
	scratch_load_b128 v[8:11], off, off offset:384
	scratch_load_b128 v[84:87], off, off offset:400
	;; [unrolled: 1-line block ×10, first 2 shown]
	v_mov_b32_e32 v2, 0
	s_mov_b32 s2, exec_lo
	ds_load_b128 v[120:123], v2 offset:944
	s_clause 0x1
	scratch_load_b128 v[124:127], off, off offset:544
	scratch_load_b128 v[128:131], off, off offset:368
	s_wait_loadcnt_dscnt 0xb00
	v_mul_f64_e32 v[4:5], v[122:123], v[10:11]
	v_mul_f64_e32 v[12:13], v[120:121], v[10:11]
	ds_load_b128 v[132:135], v2 offset:960
	s_wait_loadcnt_dscnt 0xa00
	v_mul_f64_e32 v[136:137], v[132:133], v[86:87]
	v_mul_f64_e32 v[86:87], v[134:135], v[86:87]
	v_fma_f64 v[4:5], v[120:121], v[8:9], -v[4:5]
	v_fmac_f64_e32 v[12:13], v[122:123], v[8:9]
	ds_load_b128 v[8:11], v2 offset:976
	ds_load_b128 v[120:123], v2 offset:992
	s_wait_loadcnt_dscnt 0x901
	v_mul_f64_e32 v[138:139], v[8:9], v[90:91]
	v_mul_f64_e32 v[90:91], v[10:11], v[90:91]
	v_fmac_f64_e32 v[136:137], v[134:135], v[84:85]
	v_fma_f64 v[84:85], v[132:133], v[84:85], -v[86:87]
	s_wait_loadcnt_dscnt 0x800
	v_mul_f64_e32 v[132:133], v[120:121], v[94:95]
	v_mul_f64_e32 v[94:95], v[122:123], v[94:95]
	v_add_f64_e32 v[4:5], 0, v[4:5]
	v_add_f64_e32 v[12:13], 0, v[12:13]
	v_fmac_f64_e32 v[138:139], v[10:11], v[88:89]
	v_fma_f64 v[88:89], v[8:9], v[88:89], -v[90:91]
	v_fmac_f64_e32 v[132:133], v[122:123], v[92:93]
	v_fma_f64 v[92:93], v[120:121], v[92:93], -v[94:95]
	v_add_f64_e32 v[4:5], v[4:5], v[84:85]
	v_add_f64_e32 v[12:13], v[12:13], v[136:137]
	ds_load_b128 v[8:11], v2 offset:1008
	ds_load_b128 v[84:87], v2 offset:1024
	s_wait_loadcnt_dscnt 0x701
	v_mul_f64_e32 v[134:135], v[8:9], v[98:99]
	v_mul_f64_e32 v[90:91], v[10:11], v[98:99]
	s_wait_loadcnt_dscnt 0x600
	v_mul_f64_e32 v[94:95], v[84:85], v[102:103]
	v_mul_f64_e32 v[98:99], v[86:87], v[102:103]
	v_add_f64_e32 v[4:5], v[4:5], v[88:89]
	v_add_f64_e32 v[12:13], v[12:13], v[138:139]
	v_fmac_f64_e32 v[134:135], v[10:11], v[96:97]
	v_fma_f64 v[96:97], v[8:9], v[96:97], -v[90:91]
	ds_load_b128 v[8:11], v2 offset:1040
	ds_load_b128 v[88:91], v2 offset:1056
	v_fmac_f64_e32 v[94:95], v[86:87], v[100:101]
	v_fma_f64 v[84:85], v[84:85], v[100:101], -v[98:99]
	v_add_f64_e32 v[4:5], v[4:5], v[92:93]
	v_add_f64_e32 v[12:13], v[12:13], v[132:133]
	s_wait_loadcnt_dscnt 0x501
	v_mul_f64_e32 v[92:93], v[8:9], v[106:107]
	v_mul_f64_e32 v[102:103], v[10:11], v[106:107]
	s_wait_loadcnt_dscnt 0x400
	v_mul_f64_e32 v[98:99], v[90:91], v[110:111]
	v_add_f64_e32 v[4:5], v[4:5], v[96:97]
	v_add_f64_e32 v[12:13], v[12:13], v[134:135]
	v_mul_f64_e32 v[96:97], v[88:89], v[110:111]
	v_fmac_f64_e32 v[92:93], v[10:11], v[104:105]
	v_fma_f64 v[100:101], v[8:9], v[104:105], -v[102:103]
	v_fma_f64 v[88:89], v[88:89], v[108:109], -v[98:99]
	v_add_f64_e32 v[4:5], v[4:5], v[84:85]
	v_add_f64_e32 v[12:13], v[12:13], v[94:95]
	ds_load_b128 v[8:11], v2 offset:1072
	ds_load_b128 v[84:87], v2 offset:1088
	v_fmac_f64_e32 v[96:97], v[90:91], v[108:109]
	s_wait_loadcnt_dscnt 0x301
	v_mul_f64_e32 v[94:95], v[8:9], v[114:115]
	v_mul_f64_e32 v[102:103], v[10:11], v[114:115]
	s_wait_loadcnt_dscnt 0x200
	v_mul_f64_e32 v[90:91], v[84:85], v[118:119]
	v_add_f64_e32 v[4:5], v[4:5], v[100:101]
	v_add_f64_e32 v[12:13], v[12:13], v[92:93]
	v_mul_f64_e32 v[92:93], v[86:87], v[118:119]
	v_fmac_f64_e32 v[94:95], v[10:11], v[112:113]
	v_fma_f64 v[98:99], v[8:9], v[112:113], -v[102:103]
	ds_load_b128 v[8:11], v2 offset:1104
	v_fmac_f64_e32 v[90:91], v[86:87], v[116:117]
	v_add_f64_e32 v[4:5], v[4:5], v[88:89]
	v_add_f64_e32 v[12:13], v[12:13], v[96:97]
	v_fma_f64 v[84:85], v[84:85], v[116:117], -v[92:93]
	s_wait_loadcnt_dscnt 0x100
	v_mul_f64_e32 v[88:89], v[8:9], v[126:127]
	v_mul_f64_e32 v[96:97], v[10:11], v[126:127]
	v_add_f64_e32 v[4:5], v[4:5], v[98:99]
	v_add_f64_e32 v[12:13], v[12:13], v[94:95]
	s_delay_alu instid0(VALU_DEP_4) | instskip(NEXT) | instid1(VALU_DEP_4)
	v_fmac_f64_e32 v[88:89], v[10:11], v[124:125]
	v_fma_f64 v[8:9], v[8:9], v[124:125], -v[96:97]
	s_delay_alu instid0(VALU_DEP_4) | instskip(NEXT) | instid1(VALU_DEP_4)
	v_add_f64_e32 v[4:5], v[4:5], v[84:85]
	v_add_f64_e32 v[10:11], v[12:13], v[90:91]
	s_delay_alu instid0(VALU_DEP_2) | instskip(NEXT) | instid1(VALU_DEP_2)
	v_add_f64_e32 v[4:5], v[4:5], v[8:9]
	v_add_f64_e32 v[10:11], v[10:11], v[88:89]
	s_wait_loadcnt 0x0
	s_delay_alu instid0(VALU_DEP_2) | instskip(NEXT) | instid1(VALU_DEP_2)
	v_add_f64_e64 v[8:9], v[128:129], -v[4:5]
	v_add_f64_e64 v[10:11], v[130:131], -v[10:11]
	scratch_store_b128 off, v[8:11], off offset:368
	s_wait_xcnt 0x0
	v_cmpx_lt_u32_e32 22, v1
	s_cbranch_execz .LBB34_179
; %bb.178:
	scratch_load_b128 v[8:11], off, s29
	v_dual_mov_b32 v3, v2 :: v_dual_mov_b32 v4, v2
	v_mov_b32_e32 v5, v2
	scratch_store_b128 off, v[2:5], off offset:352
	s_wait_loadcnt 0x0
	ds_store_b128 v6, v[8:11]
.LBB34_179:
	s_wait_xcnt 0x0
	s_or_b32 exec_lo, exec_lo, s2
	s_wait_storecnt_dscnt 0x0
	s_barrier_signal -1
	s_barrier_wait -1
	s_clause 0x9
	scratch_load_b128 v[8:11], off, off offset:368
	scratch_load_b128 v[84:87], off, off offset:384
	;; [unrolled: 1-line block ×10, first 2 shown]
	ds_load_b128 v[120:123], v2 offset:928
	ds_load_b128 v[128:131], v2 offset:944
	s_clause 0x1
	scratch_load_b128 v[124:127], off, off offset:528
	scratch_load_b128 v[132:135], off, off offset:352
	s_mov_b32 s2, exec_lo
	s_wait_loadcnt_dscnt 0xb01
	v_mul_f64_e32 v[4:5], v[122:123], v[10:11]
	v_mul_f64_e32 v[140:141], v[120:121], v[10:11]
	scratch_load_b128 v[10:13], off, off offset:544
	s_wait_loadcnt_dscnt 0xb00
	v_mul_f64_e32 v[142:143], v[128:129], v[86:87]
	v_mul_f64_e32 v[86:87], v[130:131], v[86:87]
	v_fma_f64 v[4:5], v[120:121], v[8:9], -v[4:5]
	v_fmac_f64_e32 v[140:141], v[122:123], v[8:9]
	ds_load_b128 v[120:123], v2 offset:960
	ds_load_b128 v[136:139], v2 offset:976
	v_fmac_f64_e32 v[142:143], v[130:131], v[84:85]
	v_fma_f64 v[84:85], v[128:129], v[84:85], -v[86:87]
	s_wait_loadcnt_dscnt 0xa01
	v_mul_f64_e32 v[8:9], v[120:121], v[90:91]
	v_mul_f64_e32 v[90:91], v[122:123], v[90:91]
	s_wait_loadcnt_dscnt 0x900
	v_mul_f64_e32 v[128:129], v[136:137], v[94:95]
	v_mul_f64_e32 v[94:95], v[138:139], v[94:95]
	v_add_f64_e32 v[4:5], 0, v[4:5]
	v_add_f64_e32 v[86:87], 0, v[140:141]
	v_fmac_f64_e32 v[8:9], v[122:123], v[88:89]
	v_fma_f64 v[120:121], v[120:121], v[88:89], -v[90:91]
	v_fmac_f64_e32 v[128:129], v[138:139], v[92:93]
	v_fma_f64 v[92:93], v[136:137], v[92:93], -v[94:95]
	v_add_f64_e32 v[4:5], v[4:5], v[84:85]
	v_add_f64_e32 v[122:123], v[86:87], v[142:143]
	ds_load_b128 v[84:87], v2 offset:992
	ds_load_b128 v[88:91], v2 offset:1008
	s_wait_loadcnt_dscnt 0x801
	v_mul_f64_e32 v[130:131], v[84:85], v[98:99]
	v_mul_f64_e32 v[98:99], v[86:87], v[98:99]
	v_add_f64_e32 v[4:5], v[4:5], v[120:121]
	v_add_f64_e32 v[8:9], v[122:123], v[8:9]
	s_wait_loadcnt_dscnt 0x700
	v_mul_f64_e32 v[120:121], v[88:89], v[102:103]
	v_mul_f64_e32 v[102:103], v[90:91], v[102:103]
	v_fmac_f64_e32 v[130:131], v[86:87], v[96:97]
	v_fma_f64 v[96:97], v[84:85], v[96:97], -v[98:99]
	v_add_f64_e32 v[4:5], v[4:5], v[92:93]
	v_add_f64_e32 v[8:9], v[8:9], v[128:129]
	ds_load_b128 v[84:87], v2 offset:1024
	ds_load_b128 v[92:95], v2 offset:1040
	v_fmac_f64_e32 v[120:121], v[90:91], v[100:101]
	v_fma_f64 v[88:89], v[88:89], v[100:101], -v[102:103]
	s_wait_loadcnt_dscnt 0x601
	v_mul_f64_e32 v[98:99], v[84:85], v[106:107]
	v_mul_f64_e32 v[106:107], v[86:87], v[106:107]
	s_wait_loadcnt_dscnt 0x500
	v_mul_f64_e32 v[100:101], v[94:95], v[110:111]
	v_add_f64_e32 v[4:5], v[4:5], v[96:97]
	v_add_f64_e32 v[8:9], v[8:9], v[130:131]
	v_mul_f64_e32 v[96:97], v[92:93], v[110:111]
	v_fmac_f64_e32 v[98:99], v[86:87], v[104:105]
	v_fma_f64 v[102:103], v[84:85], v[104:105], -v[106:107]
	v_fma_f64 v[92:93], v[92:93], v[108:109], -v[100:101]
	v_add_f64_e32 v[4:5], v[4:5], v[88:89]
	v_add_f64_e32 v[8:9], v[8:9], v[120:121]
	ds_load_b128 v[84:87], v2 offset:1056
	ds_load_b128 v[88:91], v2 offset:1072
	v_fmac_f64_e32 v[96:97], v[94:95], v[108:109]
	s_wait_loadcnt_dscnt 0x401
	v_mul_f64_e32 v[104:105], v[84:85], v[114:115]
	v_mul_f64_e32 v[106:107], v[86:87], v[114:115]
	s_wait_loadcnt_dscnt 0x300
	v_mul_f64_e32 v[94:95], v[88:89], v[118:119]
	v_add_f64_e32 v[4:5], v[4:5], v[102:103]
	v_add_f64_e32 v[8:9], v[8:9], v[98:99]
	v_mul_f64_e32 v[98:99], v[90:91], v[118:119]
	v_fmac_f64_e32 v[104:105], v[86:87], v[112:113]
	v_fma_f64 v[100:101], v[84:85], v[112:113], -v[106:107]
	v_fmac_f64_e32 v[94:95], v[90:91], v[116:117]
	v_add_f64_e32 v[92:93], v[4:5], v[92:93]
	v_add_f64_e32 v[8:9], v[8:9], v[96:97]
	ds_load_b128 v[84:87], v2 offset:1088
	ds_load_b128 v[2:5], v2 offset:1104
	v_fma_f64 v[88:89], v[88:89], v[116:117], -v[98:99]
	s_wait_loadcnt_dscnt 0x201
	v_mul_f64_e32 v[96:97], v[84:85], v[126:127]
	v_mul_f64_e32 v[102:103], v[86:87], v[126:127]
	v_add_f64_e32 v[90:91], v[92:93], v[100:101]
	v_add_f64_e32 v[8:9], v[8:9], v[104:105]
	s_wait_loadcnt_dscnt 0x0
	v_mul_f64_e32 v[92:93], v[2:3], v[12:13]
	v_mul_f64_e32 v[12:13], v[4:5], v[12:13]
	v_fmac_f64_e32 v[96:97], v[86:87], v[124:125]
	v_fma_f64 v[84:85], v[84:85], v[124:125], -v[102:103]
	v_add_f64_e32 v[86:87], v[90:91], v[88:89]
	v_add_f64_e32 v[8:9], v[8:9], v[94:95]
	v_fmac_f64_e32 v[92:93], v[4:5], v[10:11]
	v_fma_f64 v[2:3], v[2:3], v[10:11], -v[12:13]
	s_delay_alu instid0(VALU_DEP_4) | instskip(NEXT) | instid1(VALU_DEP_4)
	v_add_f64_e32 v[4:5], v[86:87], v[84:85]
	v_add_f64_e32 v[8:9], v[8:9], v[96:97]
	s_delay_alu instid0(VALU_DEP_2) | instskip(NEXT) | instid1(VALU_DEP_2)
	v_add_f64_e32 v[2:3], v[4:5], v[2:3]
	v_add_f64_e32 v[4:5], v[8:9], v[92:93]
	s_delay_alu instid0(VALU_DEP_2) | instskip(NEXT) | instid1(VALU_DEP_2)
	v_add_f64_e64 v[2:3], v[132:133], -v[2:3]
	v_add_f64_e64 v[4:5], v[134:135], -v[4:5]
	scratch_store_b128 off, v[2:5], off offset:352
	s_wait_xcnt 0x0
	v_cmpx_lt_u32_e32 21, v1
	s_cbranch_execz .LBB34_181
; %bb.180:
	scratch_load_b128 v[2:5], off, s28
	v_mov_b32_e32 v8, 0
	s_delay_alu instid0(VALU_DEP_1)
	v_dual_mov_b32 v9, v8 :: v_dual_mov_b32 v10, v8
	v_mov_b32_e32 v11, v8
	scratch_store_b128 off, v[8:11], off offset:336
	s_wait_loadcnt 0x0
	ds_store_b128 v6, v[2:5]
.LBB34_181:
	s_wait_xcnt 0x0
	s_or_b32 exec_lo, exec_lo, s2
	s_wait_storecnt_dscnt 0x0
	s_barrier_signal -1
	s_barrier_wait -1
	s_clause 0x9
	scratch_load_b128 v[8:11], off, off offset:352
	scratch_load_b128 v[84:87], off, off offset:368
	;; [unrolled: 1-line block ×10, first 2 shown]
	v_mov_b32_e32 v2, 0
	s_mov_b32 s2, exec_lo
	ds_load_b128 v[120:123], v2 offset:912
	s_clause 0x2
	scratch_load_b128 v[124:127], off, off offset:512
	scratch_load_b128 v[128:131], off, off offset:336
	;; [unrolled: 1-line block ×3, first 2 shown]
	s_wait_loadcnt_dscnt 0xc00
	v_mul_f64_e32 v[4:5], v[122:123], v[10:11]
	v_mul_f64_e32 v[144:145], v[120:121], v[10:11]
	ds_load_b128 v[132:135], v2 offset:928
	scratch_load_b128 v[10:13], off, off offset:528
	ds_load_b128 v[140:143], v2 offset:960
	v_fma_f64 v[4:5], v[120:121], v[8:9], -v[4:5]
	v_fmac_f64_e32 v[144:145], v[122:123], v[8:9]
	ds_load_b128 v[120:123], v2 offset:944
	s_wait_loadcnt_dscnt 0xc02
	v_mul_f64_e32 v[146:147], v[132:133], v[86:87]
	v_mul_f64_e32 v[86:87], v[134:135], v[86:87]
	s_wait_loadcnt_dscnt 0xb00
	v_mul_f64_e32 v[8:9], v[120:121], v[90:91]
	v_mul_f64_e32 v[90:91], v[122:123], v[90:91]
	v_add_f64_e32 v[4:5], 0, v[4:5]
	v_fmac_f64_e32 v[146:147], v[134:135], v[84:85]
	v_fma_f64 v[84:85], v[132:133], v[84:85], -v[86:87]
	v_add_f64_e32 v[86:87], 0, v[144:145]
	s_wait_loadcnt 0xa
	v_mul_f64_e32 v[132:133], v[140:141], v[94:95]
	v_mul_f64_e32 v[94:95], v[142:143], v[94:95]
	v_fmac_f64_e32 v[8:9], v[122:123], v[88:89]
	v_fma_f64 v[120:121], v[120:121], v[88:89], -v[90:91]
	v_add_f64_e32 v[4:5], v[4:5], v[84:85]
	v_add_f64_e32 v[122:123], v[86:87], v[146:147]
	ds_load_b128 v[84:87], v2 offset:976
	ds_load_b128 v[88:91], v2 offset:992
	v_fmac_f64_e32 v[132:133], v[142:143], v[92:93]
	v_fma_f64 v[92:93], v[140:141], v[92:93], -v[94:95]
	s_wait_loadcnt_dscnt 0x901
	v_mul_f64_e32 v[134:135], v[84:85], v[98:99]
	v_mul_f64_e32 v[98:99], v[86:87], v[98:99]
	v_add_f64_e32 v[4:5], v[4:5], v[120:121]
	v_add_f64_e32 v[8:9], v[122:123], v[8:9]
	s_wait_loadcnt_dscnt 0x800
	v_mul_f64_e32 v[120:121], v[88:89], v[102:103]
	v_mul_f64_e32 v[102:103], v[90:91], v[102:103]
	v_fmac_f64_e32 v[134:135], v[86:87], v[96:97]
	v_fma_f64 v[96:97], v[84:85], v[96:97], -v[98:99]
	v_add_f64_e32 v[4:5], v[4:5], v[92:93]
	v_add_f64_e32 v[8:9], v[8:9], v[132:133]
	ds_load_b128 v[84:87], v2 offset:1008
	ds_load_b128 v[92:95], v2 offset:1024
	v_fmac_f64_e32 v[120:121], v[90:91], v[100:101]
	v_fma_f64 v[88:89], v[88:89], v[100:101], -v[102:103]
	s_wait_loadcnt_dscnt 0x701
	v_mul_f64_e32 v[98:99], v[84:85], v[106:107]
	v_mul_f64_e32 v[106:107], v[86:87], v[106:107]
	s_wait_loadcnt_dscnt 0x600
	v_mul_f64_e32 v[100:101], v[94:95], v[110:111]
	v_add_f64_e32 v[4:5], v[4:5], v[96:97]
	v_add_f64_e32 v[8:9], v[8:9], v[134:135]
	v_mul_f64_e32 v[96:97], v[92:93], v[110:111]
	v_fmac_f64_e32 v[98:99], v[86:87], v[104:105]
	v_fma_f64 v[102:103], v[84:85], v[104:105], -v[106:107]
	v_fma_f64 v[92:93], v[92:93], v[108:109], -v[100:101]
	v_add_f64_e32 v[4:5], v[4:5], v[88:89]
	v_add_f64_e32 v[8:9], v[8:9], v[120:121]
	ds_load_b128 v[84:87], v2 offset:1040
	ds_load_b128 v[88:91], v2 offset:1056
	v_fmac_f64_e32 v[96:97], v[94:95], v[108:109]
	s_wait_loadcnt_dscnt 0x501
	v_mul_f64_e32 v[104:105], v[84:85], v[114:115]
	v_mul_f64_e32 v[106:107], v[86:87], v[114:115]
	s_wait_loadcnt_dscnt 0x400
	v_mul_f64_e32 v[100:101], v[90:91], v[118:119]
	v_add_f64_e32 v[4:5], v[4:5], v[102:103]
	v_add_f64_e32 v[8:9], v[8:9], v[98:99]
	v_mul_f64_e32 v[98:99], v[88:89], v[118:119]
	v_fmac_f64_e32 v[104:105], v[86:87], v[112:113]
	v_fma_f64 v[102:103], v[84:85], v[112:113], -v[106:107]
	v_fma_f64 v[88:89], v[88:89], v[116:117], -v[100:101]
	v_add_f64_e32 v[4:5], v[4:5], v[92:93]
	v_add_f64_e32 v[8:9], v[8:9], v[96:97]
	ds_load_b128 v[84:87], v2 offset:1072
	ds_load_b128 v[92:95], v2 offset:1088
	v_fmac_f64_e32 v[98:99], v[90:91], v[116:117]
	s_wait_loadcnt_dscnt 0x301
	v_mul_f64_e32 v[96:97], v[84:85], v[126:127]
	v_mul_f64_e32 v[106:107], v[86:87], v[126:127]
	s_wait_loadcnt_dscnt 0x0
	v_mul_f64_e32 v[90:91], v[92:93], v[12:13]
	v_add_f64_e32 v[4:5], v[4:5], v[102:103]
	v_add_f64_e32 v[8:9], v[8:9], v[104:105]
	v_mul_f64_e32 v[12:13], v[94:95], v[12:13]
	v_fmac_f64_e32 v[96:97], v[86:87], v[124:125]
	v_fma_f64 v[100:101], v[84:85], v[124:125], -v[106:107]
	ds_load_b128 v[84:87], v2 offset:1104
	v_fmac_f64_e32 v[90:91], v[94:95], v[10:11]
	v_add_f64_e32 v[4:5], v[4:5], v[88:89]
	v_add_f64_e32 v[8:9], v[8:9], v[98:99]
	v_fma_f64 v[10:11], v[92:93], v[10:11], -v[12:13]
	s_wait_dscnt 0x0
	v_mul_f64_e32 v[88:89], v[84:85], v[138:139]
	v_mul_f64_e32 v[98:99], v[86:87], v[138:139]
	v_add_f64_e32 v[4:5], v[4:5], v[100:101]
	v_add_f64_e32 v[8:9], v[8:9], v[96:97]
	s_delay_alu instid0(VALU_DEP_4) | instskip(NEXT) | instid1(VALU_DEP_4)
	v_fmac_f64_e32 v[88:89], v[86:87], v[136:137]
	v_fma_f64 v[12:13], v[84:85], v[136:137], -v[98:99]
	s_delay_alu instid0(VALU_DEP_4) | instskip(NEXT) | instid1(VALU_DEP_4)
	v_add_f64_e32 v[4:5], v[4:5], v[10:11]
	v_add_f64_e32 v[8:9], v[8:9], v[90:91]
	s_delay_alu instid0(VALU_DEP_2) | instskip(NEXT) | instid1(VALU_DEP_2)
	v_add_f64_e32 v[4:5], v[4:5], v[12:13]
	v_add_f64_e32 v[10:11], v[8:9], v[88:89]
	s_delay_alu instid0(VALU_DEP_2) | instskip(NEXT) | instid1(VALU_DEP_2)
	v_add_f64_e64 v[8:9], v[128:129], -v[4:5]
	v_add_f64_e64 v[10:11], v[130:131], -v[10:11]
	scratch_store_b128 off, v[8:11], off offset:336
	s_wait_xcnt 0x0
	v_cmpx_lt_u32_e32 20, v1
	s_cbranch_execz .LBB34_183
; %bb.182:
	scratch_load_b128 v[8:11], off, s31
	v_dual_mov_b32 v3, v2 :: v_dual_mov_b32 v4, v2
	v_mov_b32_e32 v5, v2
	scratch_store_b128 off, v[2:5], off offset:320
	s_wait_loadcnt 0x0
	ds_store_b128 v6, v[8:11]
.LBB34_183:
	s_wait_xcnt 0x0
	s_or_b32 exec_lo, exec_lo, s2
	s_wait_storecnt_dscnt 0x0
	s_barrier_signal -1
	s_barrier_wait -1
	s_clause 0x9
	scratch_load_b128 v[8:11], off, off offset:336
	scratch_load_b128 v[84:87], off, off offset:352
	;; [unrolled: 1-line block ×10, first 2 shown]
	ds_load_b128 v[120:123], v2 offset:896
	ds_load_b128 v[128:131], v2 offset:912
	s_clause 0x1
	scratch_load_b128 v[124:127], off, off offset:496
	scratch_load_b128 v[132:135], off, off offset:320
	s_mov_b32 s2, exec_lo
	s_wait_loadcnt_dscnt 0xb01
	v_mul_f64_e32 v[4:5], v[122:123], v[10:11]
	v_mul_f64_e32 v[144:145], v[120:121], v[10:11]
	scratch_load_b128 v[10:13], off, off offset:512
	s_wait_loadcnt_dscnt 0xb00
	v_mul_f64_e32 v[146:147], v[128:129], v[86:87]
	v_mul_f64_e32 v[86:87], v[130:131], v[86:87]
	v_fma_f64 v[4:5], v[120:121], v[8:9], -v[4:5]
	v_fmac_f64_e32 v[144:145], v[122:123], v[8:9]
	ds_load_b128 v[120:123], v2 offset:928
	ds_load_b128 v[136:139], v2 offset:944
	scratch_load_b128 v[140:143], off, off offset:528
	v_fmac_f64_e32 v[146:147], v[130:131], v[84:85]
	v_fma_f64 v[128:129], v[128:129], v[84:85], -v[86:87]
	scratch_load_b128 v[84:87], off, off offset:544
	s_wait_loadcnt_dscnt 0xc01
	v_mul_f64_e32 v[8:9], v[120:121], v[90:91]
	v_mul_f64_e32 v[90:91], v[122:123], v[90:91]
	v_add_f64_e32 v[4:5], 0, v[4:5]
	v_add_f64_e32 v[130:131], 0, v[144:145]
	s_wait_loadcnt_dscnt 0xb00
	v_mul_f64_e32 v[144:145], v[136:137], v[94:95]
	v_mul_f64_e32 v[94:95], v[138:139], v[94:95]
	v_fmac_f64_e32 v[8:9], v[122:123], v[88:89]
	v_fma_f64 v[148:149], v[120:121], v[88:89], -v[90:91]
	ds_load_b128 v[88:91], v2 offset:960
	ds_load_b128 v[120:123], v2 offset:976
	v_add_f64_e32 v[4:5], v[4:5], v[128:129]
	v_add_f64_e32 v[128:129], v[130:131], v[146:147]
	v_fmac_f64_e32 v[144:145], v[138:139], v[92:93]
	v_fma_f64 v[92:93], v[136:137], v[92:93], -v[94:95]
	s_wait_loadcnt_dscnt 0xa01
	v_mul_f64_e32 v[130:131], v[88:89], v[98:99]
	v_mul_f64_e32 v[98:99], v[90:91], v[98:99]
	v_add_f64_e32 v[4:5], v[4:5], v[148:149]
	v_add_f64_e32 v[8:9], v[128:129], v[8:9]
	s_wait_loadcnt_dscnt 0x900
	v_mul_f64_e32 v[128:129], v[120:121], v[102:103]
	v_mul_f64_e32 v[102:103], v[122:123], v[102:103]
	v_fmac_f64_e32 v[130:131], v[90:91], v[96:97]
	v_fma_f64 v[96:97], v[88:89], v[96:97], -v[98:99]
	v_add_f64_e32 v[4:5], v[4:5], v[92:93]
	v_add_f64_e32 v[8:9], v[8:9], v[144:145]
	ds_load_b128 v[88:91], v2 offset:992
	ds_load_b128 v[92:95], v2 offset:1008
	v_fmac_f64_e32 v[128:129], v[122:123], v[100:101]
	v_fma_f64 v[100:101], v[120:121], v[100:101], -v[102:103]
	s_wait_loadcnt_dscnt 0x801
	v_mul_f64_e32 v[136:137], v[88:89], v[106:107]
	v_mul_f64_e32 v[98:99], v[90:91], v[106:107]
	s_wait_loadcnt_dscnt 0x700
	v_mul_f64_e32 v[102:103], v[92:93], v[110:111]
	v_mul_f64_e32 v[106:107], v[94:95], v[110:111]
	v_add_f64_e32 v[4:5], v[4:5], v[96:97]
	v_add_f64_e32 v[8:9], v[8:9], v[130:131]
	v_fmac_f64_e32 v[136:137], v[90:91], v[104:105]
	v_fma_f64 v[104:105], v[88:89], v[104:105], -v[98:99]
	ds_load_b128 v[88:91], v2 offset:1024
	ds_load_b128 v[96:99], v2 offset:1040
	v_fmac_f64_e32 v[102:103], v[94:95], v[108:109]
	v_fma_f64 v[92:93], v[92:93], v[108:109], -v[106:107]
	v_add_f64_e32 v[4:5], v[4:5], v[100:101]
	v_add_f64_e32 v[8:9], v[8:9], v[128:129]
	s_wait_loadcnt_dscnt 0x601
	v_mul_f64_e32 v[100:101], v[88:89], v[114:115]
	v_mul_f64_e32 v[110:111], v[90:91], v[114:115]
	s_wait_loadcnt_dscnt 0x500
	v_mul_f64_e32 v[106:107], v[98:99], v[118:119]
	v_add_f64_e32 v[4:5], v[4:5], v[104:105]
	v_add_f64_e32 v[8:9], v[8:9], v[136:137]
	v_mul_f64_e32 v[104:105], v[96:97], v[118:119]
	v_fmac_f64_e32 v[100:101], v[90:91], v[112:113]
	v_fma_f64 v[108:109], v[88:89], v[112:113], -v[110:111]
	v_fma_f64 v[96:97], v[96:97], v[116:117], -v[106:107]
	v_add_f64_e32 v[4:5], v[4:5], v[92:93]
	v_add_f64_e32 v[8:9], v[8:9], v[102:103]
	ds_load_b128 v[88:91], v2 offset:1056
	ds_load_b128 v[92:95], v2 offset:1072
	v_fmac_f64_e32 v[104:105], v[98:99], v[116:117]
	s_wait_loadcnt_dscnt 0x401
	v_mul_f64_e32 v[102:103], v[88:89], v[126:127]
	v_mul_f64_e32 v[110:111], v[90:91], v[126:127]
	v_add_f64_e32 v[4:5], v[4:5], v[108:109]
	v_add_f64_e32 v[8:9], v[8:9], v[100:101]
	s_wait_loadcnt_dscnt 0x200
	v_mul_f64_e32 v[98:99], v[92:93], v[12:13]
	v_mul_f64_e32 v[12:13], v[94:95], v[12:13]
	v_fmac_f64_e32 v[102:103], v[90:91], v[124:125]
	v_fma_f64 v[100:101], v[88:89], v[124:125], -v[110:111]
	v_add_f64_e32 v[96:97], v[4:5], v[96:97]
	v_add_f64_e32 v[8:9], v[8:9], v[104:105]
	ds_load_b128 v[88:91], v2 offset:1088
	ds_load_b128 v[2:5], v2 offset:1104
	v_fmac_f64_e32 v[98:99], v[94:95], v[10:11]
	v_fma_f64 v[10:11], v[92:93], v[10:11], -v[12:13]
	s_wait_loadcnt_dscnt 0x101
	v_mul_f64_e32 v[104:105], v[88:89], v[142:143]
	v_mul_f64_e32 v[106:107], v[90:91], v[142:143]
	s_wait_loadcnt_dscnt 0x0
	v_mul_f64_e32 v[92:93], v[2:3], v[86:87]
	v_mul_f64_e32 v[86:87], v[4:5], v[86:87]
	v_add_f64_e32 v[12:13], v[96:97], v[100:101]
	v_add_f64_e32 v[8:9], v[8:9], v[102:103]
	v_fmac_f64_e32 v[104:105], v[90:91], v[140:141]
	v_fma_f64 v[88:89], v[88:89], v[140:141], -v[106:107]
	v_fmac_f64_e32 v[92:93], v[4:5], v[84:85]
	v_fma_f64 v[2:3], v[2:3], v[84:85], -v[86:87]
	v_add_f64_e32 v[10:11], v[12:13], v[10:11]
	v_add_f64_e32 v[8:9], v[8:9], v[98:99]
	s_delay_alu instid0(VALU_DEP_2) | instskip(NEXT) | instid1(VALU_DEP_2)
	v_add_f64_e32 v[4:5], v[10:11], v[88:89]
	v_add_f64_e32 v[8:9], v[8:9], v[104:105]
	s_delay_alu instid0(VALU_DEP_2) | instskip(NEXT) | instid1(VALU_DEP_2)
	;; [unrolled: 3-line block ×3, first 2 shown]
	v_add_f64_e64 v[2:3], v[132:133], -v[2:3]
	v_add_f64_e64 v[4:5], v[134:135], -v[4:5]
	scratch_store_b128 off, v[2:5], off offset:320
	s_wait_xcnt 0x0
	v_cmpx_lt_u32_e32 19, v1
	s_cbranch_execz .LBB34_185
; %bb.184:
	scratch_load_b128 v[2:5], off, s30
	v_mov_b32_e32 v8, 0
	s_delay_alu instid0(VALU_DEP_1)
	v_dual_mov_b32 v9, v8 :: v_dual_mov_b32 v10, v8
	v_mov_b32_e32 v11, v8
	scratch_store_b128 off, v[8:11], off offset:304
	s_wait_loadcnt 0x0
	ds_store_b128 v6, v[2:5]
.LBB34_185:
	s_wait_xcnt 0x0
	s_or_b32 exec_lo, exec_lo, s2
	s_wait_storecnt_dscnt 0x0
	s_barrier_signal -1
	s_barrier_wait -1
	s_clause 0x9
	scratch_load_b128 v[8:11], off, off offset:320
	scratch_load_b128 v[84:87], off, off offset:336
	;; [unrolled: 1-line block ×10, first 2 shown]
	v_mov_b32_e32 v2, 0
	s_mov_b32 s2, exec_lo
	ds_load_b128 v[120:123], v2 offset:880
	s_clause 0x2
	scratch_load_b128 v[124:127], off, off offset:480
	scratch_load_b128 v[128:131], off, off offset:304
	;; [unrolled: 1-line block ×3, first 2 shown]
	s_wait_loadcnt_dscnt 0xc00
	v_mul_f64_e32 v[4:5], v[122:123], v[10:11]
	v_mul_f64_e32 v[144:145], v[120:121], v[10:11]
	ds_load_b128 v[132:135], v2 offset:896
	scratch_load_b128 v[10:13], off, off offset:496
	ds_load_b128 v[140:143], v2 offset:928
	v_fma_f64 v[4:5], v[120:121], v[8:9], -v[4:5]
	v_fmac_f64_e32 v[144:145], v[122:123], v[8:9]
	ds_load_b128 v[120:123], v2 offset:912
	s_wait_loadcnt_dscnt 0xc02
	v_mul_f64_e32 v[146:147], v[132:133], v[86:87]
	v_mul_f64_e32 v[86:87], v[134:135], v[86:87]
	s_wait_loadcnt_dscnt 0xb00
	v_mul_f64_e32 v[8:9], v[120:121], v[90:91]
	v_mul_f64_e32 v[90:91], v[122:123], v[90:91]
	v_add_f64_e32 v[4:5], 0, v[4:5]
	v_fmac_f64_e32 v[146:147], v[134:135], v[84:85]
	v_fma_f64 v[132:133], v[132:133], v[84:85], -v[86:87]
	v_add_f64_e32 v[134:135], 0, v[144:145]
	scratch_load_b128 v[84:87], off, off offset:528
	v_fmac_f64_e32 v[8:9], v[122:123], v[88:89]
	v_fma_f64 v[148:149], v[120:121], v[88:89], -v[90:91]
	ds_load_b128 v[88:91], v2 offset:944
	s_wait_loadcnt 0xb
	v_mul_f64_e32 v[144:145], v[140:141], v[94:95]
	v_mul_f64_e32 v[94:95], v[142:143], v[94:95]
	scratch_load_b128 v[120:123], off, off offset:544
	v_add_f64_e32 v[4:5], v[4:5], v[132:133]
	v_add_f64_e32 v[146:147], v[134:135], v[146:147]
	ds_load_b128 v[132:135], v2 offset:960
	s_wait_loadcnt_dscnt 0xb01
	v_mul_f64_e32 v[150:151], v[88:89], v[98:99]
	v_mul_f64_e32 v[98:99], v[90:91], v[98:99]
	v_fmac_f64_e32 v[144:145], v[142:143], v[92:93]
	v_fma_f64 v[92:93], v[140:141], v[92:93], -v[94:95]
	s_wait_loadcnt_dscnt 0xa00
	v_mul_f64_e32 v[140:141], v[132:133], v[102:103]
	v_mul_f64_e32 v[102:103], v[134:135], v[102:103]
	v_add_f64_e32 v[4:5], v[4:5], v[148:149]
	v_add_f64_e32 v[8:9], v[146:147], v[8:9]
	v_fmac_f64_e32 v[150:151], v[90:91], v[96:97]
	v_fma_f64 v[96:97], v[88:89], v[96:97], -v[98:99]
	v_fmac_f64_e32 v[140:141], v[134:135], v[100:101]
	v_fma_f64 v[100:101], v[132:133], v[100:101], -v[102:103]
	v_add_f64_e32 v[4:5], v[4:5], v[92:93]
	v_add_f64_e32 v[8:9], v[8:9], v[144:145]
	ds_load_b128 v[88:91], v2 offset:976
	ds_load_b128 v[92:95], v2 offset:992
	s_wait_loadcnt_dscnt 0x901
	v_mul_f64_e32 v[142:143], v[88:89], v[106:107]
	v_mul_f64_e32 v[98:99], v[90:91], v[106:107]
	s_wait_loadcnt_dscnt 0x800
	v_mul_f64_e32 v[102:103], v[92:93], v[110:111]
	v_mul_f64_e32 v[106:107], v[94:95], v[110:111]
	v_add_f64_e32 v[4:5], v[4:5], v[96:97]
	v_add_f64_e32 v[8:9], v[8:9], v[150:151]
	v_fmac_f64_e32 v[142:143], v[90:91], v[104:105]
	v_fma_f64 v[104:105], v[88:89], v[104:105], -v[98:99]
	ds_load_b128 v[88:91], v2 offset:1008
	ds_load_b128 v[96:99], v2 offset:1024
	v_fmac_f64_e32 v[102:103], v[94:95], v[108:109]
	v_fma_f64 v[92:93], v[92:93], v[108:109], -v[106:107]
	v_add_f64_e32 v[4:5], v[4:5], v[100:101]
	v_add_f64_e32 v[8:9], v[8:9], v[140:141]
	s_wait_loadcnt_dscnt 0x701
	v_mul_f64_e32 v[100:101], v[88:89], v[114:115]
	v_mul_f64_e32 v[110:111], v[90:91], v[114:115]
	s_wait_loadcnt_dscnt 0x600
	v_mul_f64_e32 v[106:107], v[98:99], v[118:119]
	v_add_f64_e32 v[4:5], v[4:5], v[104:105]
	v_add_f64_e32 v[8:9], v[8:9], v[142:143]
	v_mul_f64_e32 v[104:105], v[96:97], v[118:119]
	v_fmac_f64_e32 v[100:101], v[90:91], v[112:113]
	v_fma_f64 v[108:109], v[88:89], v[112:113], -v[110:111]
	v_fma_f64 v[96:97], v[96:97], v[116:117], -v[106:107]
	v_add_f64_e32 v[4:5], v[4:5], v[92:93]
	v_add_f64_e32 v[8:9], v[8:9], v[102:103]
	ds_load_b128 v[88:91], v2 offset:1040
	ds_load_b128 v[92:95], v2 offset:1056
	v_fmac_f64_e32 v[104:105], v[98:99], v[116:117]
	s_wait_loadcnt_dscnt 0x501
	v_mul_f64_e32 v[102:103], v[88:89], v[126:127]
	v_mul_f64_e32 v[110:111], v[90:91], v[126:127]
	v_add_f64_e32 v[4:5], v[4:5], v[108:109]
	v_add_f64_e32 v[8:9], v[8:9], v[100:101]
	s_wait_loadcnt_dscnt 0x200
	v_mul_f64_e32 v[100:101], v[92:93], v[12:13]
	v_mul_f64_e32 v[12:13], v[94:95], v[12:13]
	v_fmac_f64_e32 v[102:103], v[90:91], v[124:125]
	v_fma_f64 v[106:107], v[88:89], v[124:125], -v[110:111]
	v_add_f64_e32 v[4:5], v[4:5], v[96:97]
	v_add_f64_e32 v[8:9], v[8:9], v[104:105]
	ds_load_b128 v[88:91], v2 offset:1072
	ds_load_b128 v[96:99], v2 offset:1088
	v_fmac_f64_e32 v[100:101], v[94:95], v[10:11]
	v_fma_f64 v[10:11], v[92:93], v[10:11], -v[12:13]
	s_wait_dscnt 0x1
	v_mul_f64_e32 v[104:105], v[88:89], v[138:139]
	v_mul_f64_e32 v[108:109], v[90:91], v[138:139]
	v_add_f64_e32 v[4:5], v[4:5], v[106:107]
	v_add_f64_e32 v[8:9], v[8:9], v[102:103]
	s_wait_loadcnt_dscnt 0x100
	v_mul_f64_e32 v[12:13], v[96:97], v[86:87]
	v_mul_f64_e32 v[86:87], v[98:99], v[86:87]
	v_fmac_f64_e32 v[104:105], v[90:91], v[136:137]
	v_fma_f64 v[88:89], v[88:89], v[136:137], -v[108:109]
	v_add_f64_e32 v[4:5], v[4:5], v[10:11]
	v_add_f64_e32 v[90:91], v[8:9], v[100:101]
	ds_load_b128 v[8:11], v2 offset:1104
	v_fmac_f64_e32 v[12:13], v[98:99], v[84:85]
	v_fma_f64 v[84:85], v[96:97], v[84:85], -v[86:87]
	s_wait_loadcnt_dscnt 0x0
	v_mul_f64_e32 v[92:93], v[8:9], v[122:123]
	v_mul_f64_e32 v[94:95], v[10:11], v[122:123]
	v_add_f64_e32 v[4:5], v[4:5], v[88:89]
	v_add_f64_e32 v[86:87], v[90:91], v[104:105]
	s_delay_alu instid0(VALU_DEP_4) | instskip(NEXT) | instid1(VALU_DEP_4)
	v_fmac_f64_e32 v[92:93], v[10:11], v[120:121]
	v_fma_f64 v[8:9], v[8:9], v[120:121], -v[94:95]
	s_delay_alu instid0(VALU_DEP_4) | instskip(NEXT) | instid1(VALU_DEP_4)
	v_add_f64_e32 v[4:5], v[4:5], v[84:85]
	v_add_f64_e32 v[10:11], v[86:87], v[12:13]
	s_delay_alu instid0(VALU_DEP_2) | instskip(NEXT) | instid1(VALU_DEP_2)
	v_add_f64_e32 v[4:5], v[4:5], v[8:9]
	v_add_f64_e32 v[10:11], v[10:11], v[92:93]
	s_delay_alu instid0(VALU_DEP_2) | instskip(NEXT) | instid1(VALU_DEP_2)
	v_add_f64_e64 v[8:9], v[128:129], -v[4:5]
	v_add_f64_e64 v[10:11], v[130:131], -v[10:11]
	scratch_store_b128 off, v[8:11], off offset:304
	s_wait_xcnt 0x0
	v_cmpx_lt_u32_e32 18, v1
	s_cbranch_execz .LBB34_187
; %bb.186:
	scratch_load_b128 v[8:11], off, s34
	v_dual_mov_b32 v3, v2 :: v_dual_mov_b32 v4, v2
	v_mov_b32_e32 v5, v2
	scratch_store_b128 off, v[2:5], off offset:288
	s_wait_loadcnt 0x0
	ds_store_b128 v6, v[8:11]
.LBB34_187:
	s_wait_xcnt 0x0
	s_or_b32 exec_lo, exec_lo, s2
	s_wait_storecnt_dscnt 0x0
	s_barrier_signal -1
	s_barrier_wait -1
	s_clause 0x9
	scratch_load_b128 v[8:11], off, off offset:304
	scratch_load_b128 v[84:87], off, off offset:320
	;; [unrolled: 1-line block ×10, first 2 shown]
	ds_load_b128 v[120:123], v2 offset:864
	ds_load_b128 v[128:131], v2 offset:880
	s_clause 0x1
	scratch_load_b128 v[124:127], off, off offset:464
	scratch_load_b128 v[132:135], off, off offset:288
	s_mov_b32 s2, exec_lo
	s_wait_loadcnt_dscnt 0xb01
	v_mul_f64_e32 v[4:5], v[122:123], v[10:11]
	v_mul_f64_e32 v[144:145], v[120:121], v[10:11]
	scratch_load_b128 v[10:13], off, off offset:480
	s_wait_loadcnt_dscnt 0xb00
	v_mul_f64_e32 v[146:147], v[128:129], v[86:87]
	v_mul_f64_e32 v[86:87], v[130:131], v[86:87]
	v_fma_f64 v[4:5], v[120:121], v[8:9], -v[4:5]
	v_fmac_f64_e32 v[144:145], v[122:123], v[8:9]
	ds_load_b128 v[120:123], v2 offset:896
	ds_load_b128 v[136:139], v2 offset:912
	scratch_load_b128 v[140:143], off, off offset:496
	v_fmac_f64_e32 v[146:147], v[130:131], v[84:85]
	v_fma_f64 v[128:129], v[128:129], v[84:85], -v[86:87]
	scratch_load_b128 v[84:87], off, off offset:512
	s_wait_loadcnt_dscnt 0xc01
	v_mul_f64_e32 v[8:9], v[120:121], v[90:91]
	v_mul_f64_e32 v[90:91], v[122:123], v[90:91]
	v_add_f64_e32 v[4:5], 0, v[4:5]
	v_add_f64_e32 v[130:131], 0, v[144:145]
	s_wait_loadcnt_dscnt 0xb00
	v_mul_f64_e32 v[144:145], v[136:137], v[94:95]
	v_mul_f64_e32 v[94:95], v[138:139], v[94:95]
	v_fmac_f64_e32 v[8:9], v[122:123], v[88:89]
	v_fma_f64 v[148:149], v[120:121], v[88:89], -v[90:91]
	ds_load_b128 v[88:91], v2 offset:928
	ds_load_b128 v[120:123], v2 offset:944
	v_add_f64_e32 v[4:5], v[4:5], v[128:129]
	v_add_f64_e32 v[146:147], v[130:131], v[146:147]
	scratch_load_b128 v[128:131], off, off offset:528
	v_fmac_f64_e32 v[144:145], v[138:139], v[92:93]
	v_fma_f64 v[136:137], v[136:137], v[92:93], -v[94:95]
	scratch_load_b128 v[92:95], off, off offset:544
	s_wait_loadcnt_dscnt 0xc01
	v_mul_f64_e32 v[150:151], v[88:89], v[98:99]
	v_mul_f64_e32 v[98:99], v[90:91], v[98:99]
	s_wait_loadcnt_dscnt 0xb00
	v_mul_f64_e32 v[138:139], v[120:121], v[102:103]
	v_mul_f64_e32 v[102:103], v[122:123], v[102:103]
	v_add_f64_e32 v[4:5], v[4:5], v[148:149]
	v_add_f64_e32 v[8:9], v[146:147], v[8:9]
	v_fmac_f64_e32 v[150:151], v[90:91], v[96:97]
	v_fma_f64 v[146:147], v[88:89], v[96:97], -v[98:99]
	ds_load_b128 v[88:91], v2 offset:960
	ds_load_b128 v[96:99], v2 offset:976
	v_fmac_f64_e32 v[138:139], v[122:123], v[100:101]
	v_fma_f64 v[100:101], v[120:121], v[100:101], -v[102:103]
	s_wait_loadcnt_dscnt 0x900
	v_mul_f64_e32 v[120:121], v[96:97], v[110:111]
	v_add_f64_e32 v[4:5], v[4:5], v[136:137]
	v_add_f64_e32 v[8:9], v[8:9], v[144:145]
	v_mul_f64_e32 v[136:137], v[88:89], v[106:107]
	v_mul_f64_e32 v[106:107], v[90:91], v[106:107]
	;; [unrolled: 1-line block ×3, first 2 shown]
	v_fmac_f64_e32 v[120:121], v[98:99], v[108:109]
	v_add_f64_e32 v[4:5], v[4:5], v[146:147]
	v_add_f64_e32 v[8:9], v[8:9], v[150:151]
	v_fmac_f64_e32 v[136:137], v[90:91], v[104:105]
	v_fma_f64 v[104:105], v[88:89], v[104:105], -v[106:107]
	v_fma_f64 v[96:97], v[96:97], v[108:109], -v[110:111]
	v_add_f64_e32 v[4:5], v[4:5], v[100:101]
	v_add_f64_e32 v[8:9], v[8:9], v[138:139]
	ds_load_b128 v[88:91], v2 offset:992
	ds_load_b128 v[100:103], v2 offset:1008
	s_wait_loadcnt_dscnt 0x801
	v_mul_f64_e32 v[106:107], v[88:89], v[114:115]
	v_mul_f64_e32 v[114:115], v[90:91], v[114:115]
	s_wait_loadcnt_dscnt 0x700
	v_mul_f64_e32 v[108:109], v[102:103], v[118:119]
	v_add_f64_e32 v[4:5], v[4:5], v[104:105]
	v_add_f64_e32 v[8:9], v[8:9], v[136:137]
	v_mul_f64_e32 v[104:105], v[100:101], v[118:119]
	v_fmac_f64_e32 v[106:107], v[90:91], v[112:113]
	v_fma_f64 v[110:111], v[88:89], v[112:113], -v[114:115]
	v_fma_f64 v[100:101], v[100:101], v[116:117], -v[108:109]
	v_add_f64_e32 v[4:5], v[4:5], v[96:97]
	v_add_f64_e32 v[8:9], v[8:9], v[120:121]
	ds_load_b128 v[88:91], v2 offset:1024
	ds_load_b128 v[96:99], v2 offset:1040
	v_fmac_f64_e32 v[104:105], v[102:103], v[116:117]
	s_wait_loadcnt_dscnt 0x601
	v_mul_f64_e32 v[112:113], v[88:89], v[126:127]
	v_mul_f64_e32 v[114:115], v[90:91], v[126:127]
	v_add_f64_e32 v[4:5], v[4:5], v[110:111]
	v_add_f64_e32 v[8:9], v[8:9], v[106:107]
	s_wait_loadcnt_dscnt 0x400
	v_mul_f64_e32 v[106:107], v[96:97], v[12:13]
	v_mul_f64_e32 v[12:13], v[98:99], v[12:13]
	v_fmac_f64_e32 v[112:113], v[90:91], v[124:125]
	v_fma_f64 v[108:109], v[88:89], v[124:125], -v[114:115]
	v_add_f64_e32 v[4:5], v[4:5], v[100:101]
	v_add_f64_e32 v[8:9], v[8:9], v[104:105]
	ds_load_b128 v[88:91], v2 offset:1056
	ds_load_b128 v[100:103], v2 offset:1072
	v_fmac_f64_e32 v[106:107], v[98:99], v[10:11]
	v_fma_f64 v[10:11], v[96:97], v[10:11], -v[12:13]
	s_wait_loadcnt_dscnt 0x301
	v_mul_f64_e32 v[104:105], v[88:89], v[142:143]
	v_mul_f64_e32 v[110:111], v[90:91], v[142:143]
	s_wait_loadcnt_dscnt 0x200
	v_mul_f64_e32 v[12:13], v[100:101], v[86:87]
	v_mul_f64_e32 v[86:87], v[102:103], v[86:87]
	v_add_f64_e32 v[4:5], v[4:5], v[108:109]
	v_add_f64_e32 v[8:9], v[8:9], v[112:113]
	v_fmac_f64_e32 v[104:105], v[90:91], v[140:141]
	v_fma_f64 v[88:89], v[88:89], v[140:141], -v[110:111]
	v_fmac_f64_e32 v[12:13], v[102:103], v[84:85]
	v_fma_f64 v[84:85], v[100:101], v[84:85], -v[86:87]
	v_add_f64_e32 v[90:91], v[4:5], v[10:11]
	v_add_f64_e32 v[96:97], v[8:9], v[106:107]
	ds_load_b128 v[8:11], v2 offset:1088
	ds_load_b128 v[2:5], v2 offset:1104
	s_wait_loadcnt_dscnt 0x101
	v_mul_f64_e32 v[98:99], v[8:9], v[130:131]
	v_mul_f64_e32 v[106:107], v[10:11], v[130:131]
	v_add_f64_e32 v[86:87], v[90:91], v[88:89]
	v_add_f64_e32 v[88:89], v[96:97], v[104:105]
	s_wait_loadcnt_dscnt 0x0
	v_mul_f64_e32 v[90:91], v[2:3], v[94:95]
	v_mul_f64_e32 v[94:95], v[4:5], v[94:95]
	v_fmac_f64_e32 v[98:99], v[10:11], v[128:129]
	v_fma_f64 v[8:9], v[8:9], v[128:129], -v[106:107]
	v_add_f64_e32 v[10:11], v[86:87], v[84:85]
	v_add_f64_e32 v[12:13], v[88:89], v[12:13]
	v_fmac_f64_e32 v[90:91], v[4:5], v[92:93]
	v_fma_f64 v[2:3], v[2:3], v[92:93], -v[94:95]
	s_delay_alu instid0(VALU_DEP_4) | instskip(NEXT) | instid1(VALU_DEP_4)
	v_add_f64_e32 v[4:5], v[10:11], v[8:9]
	v_add_f64_e32 v[8:9], v[12:13], v[98:99]
	s_delay_alu instid0(VALU_DEP_2) | instskip(NEXT) | instid1(VALU_DEP_2)
	v_add_f64_e32 v[2:3], v[4:5], v[2:3]
	v_add_f64_e32 v[4:5], v[8:9], v[90:91]
	s_delay_alu instid0(VALU_DEP_2) | instskip(NEXT) | instid1(VALU_DEP_2)
	v_add_f64_e64 v[2:3], v[132:133], -v[2:3]
	v_add_f64_e64 v[4:5], v[134:135], -v[4:5]
	scratch_store_b128 off, v[2:5], off offset:288
	s_wait_xcnt 0x0
	v_cmpx_lt_u32_e32 17, v1
	s_cbranch_execz .LBB34_189
; %bb.188:
	scratch_load_b128 v[2:5], off, s33
	v_mov_b32_e32 v8, 0
	s_delay_alu instid0(VALU_DEP_1)
	v_dual_mov_b32 v9, v8 :: v_dual_mov_b32 v10, v8
	v_mov_b32_e32 v11, v8
	scratch_store_b128 off, v[8:11], off offset:272
	s_wait_loadcnt 0x0
	ds_store_b128 v6, v[2:5]
.LBB34_189:
	s_wait_xcnt 0x0
	s_or_b32 exec_lo, exec_lo, s2
	s_wait_storecnt_dscnt 0x0
	s_barrier_signal -1
	s_barrier_wait -1
	s_clause 0x9
	scratch_load_b128 v[8:11], off, off offset:288
	scratch_load_b128 v[84:87], off, off offset:304
	;; [unrolled: 1-line block ×10, first 2 shown]
	v_mov_b32_e32 v2, 0
	s_mov_b32 s2, exec_lo
	ds_load_b128 v[120:123], v2 offset:848
	s_clause 0x2
	scratch_load_b128 v[124:127], off, off offset:448
	scratch_load_b128 v[128:131], off, off offset:272
	;; [unrolled: 1-line block ×3, first 2 shown]
	s_wait_loadcnt_dscnt 0xc00
	v_mul_f64_e32 v[4:5], v[122:123], v[10:11]
	v_mul_f64_e32 v[144:145], v[120:121], v[10:11]
	ds_load_b128 v[132:135], v2 offset:864
	scratch_load_b128 v[10:13], off, off offset:464
	ds_load_b128 v[140:143], v2 offset:896
	v_fma_f64 v[4:5], v[120:121], v[8:9], -v[4:5]
	v_fmac_f64_e32 v[144:145], v[122:123], v[8:9]
	ds_load_b128 v[120:123], v2 offset:880
	s_wait_loadcnt_dscnt 0xc02
	v_mul_f64_e32 v[146:147], v[132:133], v[86:87]
	v_mul_f64_e32 v[86:87], v[134:135], v[86:87]
	s_wait_loadcnt_dscnt 0xb00
	v_mul_f64_e32 v[8:9], v[120:121], v[90:91]
	v_mul_f64_e32 v[90:91], v[122:123], v[90:91]
	v_add_f64_e32 v[4:5], 0, v[4:5]
	v_fmac_f64_e32 v[146:147], v[134:135], v[84:85]
	v_fma_f64 v[132:133], v[132:133], v[84:85], -v[86:87]
	v_add_f64_e32 v[134:135], 0, v[144:145]
	scratch_load_b128 v[84:87], off, off offset:496
	v_fmac_f64_e32 v[8:9], v[122:123], v[88:89]
	v_fma_f64 v[148:149], v[120:121], v[88:89], -v[90:91]
	ds_load_b128 v[88:91], v2 offset:912
	s_wait_loadcnt 0xb
	v_mul_f64_e32 v[144:145], v[140:141], v[94:95]
	v_mul_f64_e32 v[94:95], v[142:143], v[94:95]
	scratch_load_b128 v[120:123], off, off offset:512
	v_add_f64_e32 v[4:5], v[4:5], v[132:133]
	v_add_f64_e32 v[146:147], v[134:135], v[146:147]
	ds_load_b128 v[132:135], v2 offset:928
	s_wait_loadcnt_dscnt 0xb01
	v_mul_f64_e32 v[150:151], v[88:89], v[98:99]
	v_mul_f64_e32 v[98:99], v[90:91], v[98:99]
	v_fmac_f64_e32 v[144:145], v[142:143], v[92:93]
	v_fma_f64 v[140:141], v[140:141], v[92:93], -v[94:95]
	scratch_load_b128 v[92:95], off, off offset:528
	v_add_f64_e32 v[4:5], v[4:5], v[148:149]
	v_add_f64_e32 v[8:9], v[146:147], v[8:9]
	v_fmac_f64_e32 v[150:151], v[90:91], v[96:97]
	v_fma_f64 v[148:149], v[88:89], v[96:97], -v[98:99]
	ds_load_b128 v[88:91], v2 offset:944
	s_wait_loadcnt_dscnt 0xb01
	v_mul_f64_e32 v[146:147], v[132:133], v[102:103]
	v_mul_f64_e32 v[102:103], v[134:135], v[102:103]
	scratch_load_b128 v[96:99], off, off offset:544
	v_add_f64_e32 v[4:5], v[4:5], v[140:141]
	v_add_f64_e32 v[8:9], v[8:9], v[144:145]
	s_wait_loadcnt_dscnt 0xb00
	v_mul_f64_e32 v[144:145], v[88:89], v[106:107]
	v_mul_f64_e32 v[106:107], v[90:91], v[106:107]
	ds_load_b128 v[140:143], v2 offset:960
	v_fmac_f64_e32 v[146:147], v[134:135], v[100:101]
	v_fma_f64 v[100:101], v[132:133], v[100:101], -v[102:103]
	s_wait_loadcnt_dscnt 0xa00
	v_mul_f64_e32 v[132:133], v[140:141], v[110:111]
	v_mul_f64_e32 v[110:111], v[142:143], v[110:111]
	v_add_f64_e32 v[4:5], v[4:5], v[148:149]
	v_add_f64_e32 v[8:9], v[8:9], v[150:151]
	v_fmac_f64_e32 v[144:145], v[90:91], v[104:105]
	v_fma_f64 v[104:105], v[88:89], v[104:105], -v[106:107]
	v_fmac_f64_e32 v[132:133], v[142:143], v[108:109]
	v_fma_f64 v[108:109], v[140:141], v[108:109], -v[110:111]
	v_add_f64_e32 v[4:5], v[4:5], v[100:101]
	v_add_f64_e32 v[8:9], v[8:9], v[146:147]
	ds_load_b128 v[88:91], v2 offset:976
	ds_load_b128 v[100:103], v2 offset:992
	s_wait_loadcnt_dscnt 0x901
	v_mul_f64_e32 v[134:135], v[88:89], v[114:115]
	v_mul_f64_e32 v[106:107], v[90:91], v[114:115]
	s_wait_loadcnt_dscnt 0x800
	v_mul_f64_e32 v[110:111], v[100:101], v[118:119]
	v_mul_f64_e32 v[114:115], v[102:103], v[118:119]
	v_add_f64_e32 v[4:5], v[4:5], v[104:105]
	v_add_f64_e32 v[8:9], v[8:9], v[144:145]
	v_fmac_f64_e32 v[134:135], v[90:91], v[112:113]
	v_fma_f64 v[112:113], v[88:89], v[112:113], -v[106:107]
	ds_load_b128 v[88:91], v2 offset:1008
	ds_load_b128 v[104:107], v2 offset:1024
	v_fmac_f64_e32 v[110:111], v[102:103], v[116:117]
	v_fma_f64 v[100:101], v[100:101], v[116:117], -v[114:115]
	v_add_f64_e32 v[4:5], v[4:5], v[108:109]
	v_add_f64_e32 v[8:9], v[8:9], v[132:133]
	s_wait_loadcnt_dscnt 0x701
	v_mul_f64_e32 v[108:109], v[88:89], v[126:127]
	v_mul_f64_e32 v[118:119], v[90:91], v[126:127]
	s_delay_alu instid0(VALU_DEP_4) | instskip(NEXT) | instid1(VALU_DEP_4)
	v_add_f64_e32 v[4:5], v[4:5], v[112:113]
	v_add_f64_e32 v[8:9], v[8:9], v[134:135]
	s_wait_loadcnt_dscnt 0x400
	v_mul_f64_e32 v[112:113], v[104:105], v[12:13]
	v_mul_f64_e32 v[12:13], v[106:107], v[12:13]
	v_fmac_f64_e32 v[108:109], v[90:91], v[124:125]
	v_fma_f64 v[114:115], v[88:89], v[124:125], -v[118:119]
	v_add_f64_e32 v[4:5], v[4:5], v[100:101]
	v_add_f64_e32 v[8:9], v[8:9], v[110:111]
	ds_load_b128 v[88:91], v2 offset:1040
	ds_load_b128 v[100:103], v2 offset:1056
	v_fmac_f64_e32 v[112:113], v[106:107], v[10:11]
	v_fma_f64 v[10:11], v[104:105], v[10:11], -v[12:13]
	s_wait_dscnt 0x1
	v_mul_f64_e32 v[110:111], v[88:89], v[138:139]
	v_mul_f64_e32 v[116:117], v[90:91], v[138:139]
	v_add_f64_e32 v[4:5], v[4:5], v[114:115]
	v_add_f64_e32 v[8:9], v[8:9], v[108:109]
	s_wait_loadcnt_dscnt 0x300
	v_mul_f64_e32 v[12:13], v[100:101], v[86:87]
	v_mul_f64_e32 v[104:105], v[102:103], v[86:87]
	v_fmac_f64_e32 v[110:111], v[90:91], v[136:137]
	v_fma_f64 v[90:91], v[88:89], v[136:137], -v[116:117]
	v_add_f64_e32 v[4:5], v[4:5], v[10:11]
	v_add_f64_e32 v[106:107], v[8:9], v[112:113]
	ds_load_b128 v[8:11], v2 offset:1072
	ds_load_b128 v[86:89], v2 offset:1088
	v_fmac_f64_e32 v[12:13], v[102:103], v[84:85]
	v_fma_f64 v[84:85], v[100:101], v[84:85], -v[104:105]
	s_wait_loadcnt_dscnt 0x201
	v_mul_f64_e32 v[108:109], v[8:9], v[122:123]
	v_mul_f64_e32 v[112:113], v[10:11], v[122:123]
	s_wait_loadcnt_dscnt 0x100
	v_mul_f64_e32 v[100:101], v[86:87], v[94:95]
	v_mul_f64_e32 v[94:95], v[88:89], v[94:95]
	v_add_f64_e32 v[4:5], v[4:5], v[90:91]
	v_add_f64_e32 v[90:91], v[106:107], v[110:111]
	v_fmac_f64_e32 v[108:109], v[10:11], v[120:121]
	v_fma_f64 v[102:103], v[8:9], v[120:121], -v[112:113]
	ds_load_b128 v[8:11], v2 offset:1104
	v_fmac_f64_e32 v[100:101], v[88:89], v[92:93]
	v_fma_f64 v[86:87], v[86:87], v[92:93], -v[94:95]
	v_add_f64_e32 v[4:5], v[4:5], v[84:85]
	v_add_f64_e32 v[12:13], v[90:91], v[12:13]
	s_wait_loadcnt_dscnt 0x0
	v_mul_f64_e32 v[84:85], v[8:9], v[98:99]
	v_mul_f64_e32 v[90:91], v[10:11], v[98:99]
	s_delay_alu instid0(VALU_DEP_4) | instskip(NEXT) | instid1(VALU_DEP_4)
	v_add_f64_e32 v[4:5], v[4:5], v[102:103]
	v_add_f64_e32 v[12:13], v[12:13], v[108:109]
	s_delay_alu instid0(VALU_DEP_4) | instskip(NEXT) | instid1(VALU_DEP_4)
	v_fmac_f64_e32 v[84:85], v[10:11], v[96:97]
	v_fma_f64 v[8:9], v[8:9], v[96:97], -v[90:91]
	s_delay_alu instid0(VALU_DEP_4) | instskip(NEXT) | instid1(VALU_DEP_4)
	v_add_f64_e32 v[4:5], v[4:5], v[86:87]
	v_add_f64_e32 v[10:11], v[12:13], v[100:101]
	s_delay_alu instid0(VALU_DEP_2) | instskip(NEXT) | instid1(VALU_DEP_2)
	v_add_f64_e32 v[4:5], v[4:5], v[8:9]
	v_add_f64_e32 v[10:11], v[10:11], v[84:85]
	s_delay_alu instid0(VALU_DEP_2) | instskip(NEXT) | instid1(VALU_DEP_2)
	v_add_f64_e64 v[8:9], v[128:129], -v[4:5]
	v_add_f64_e64 v[10:11], v[130:131], -v[10:11]
	scratch_store_b128 off, v[8:11], off offset:272
	s_wait_xcnt 0x0
	v_cmpx_lt_u32_e32 16, v1
	s_cbranch_execz .LBB34_191
; %bb.190:
	scratch_load_b128 v[8:11], off, s39
	v_dual_mov_b32 v3, v2 :: v_dual_mov_b32 v4, v2
	v_mov_b32_e32 v5, v2
	scratch_store_b128 off, v[2:5], off offset:256
	s_wait_loadcnt 0x0
	ds_store_b128 v6, v[8:11]
.LBB34_191:
	s_wait_xcnt 0x0
	s_or_b32 exec_lo, exec_lo, s2
	s_wait_storecnt_dscnt 0x0
	s_barrier_signal -1
	s_barrier_wait -1
	s_clause 0x9
	scratch_load_b128 v[8:11], off, off offset:272
	scratch_load_b128 v[84:87], off, off offset:288
	;; [unrolled: 1-line block ×10, first 2 shown]
	ds_load_b128 v[120:123], v2 offset:832
	ds_load_b128 v[128:131], v2 offset:848
	s_clause 0x1
	scratch_load_b128 v[124:127], off, off offset:432
	scratch_load_b128 v[132:135], off, off offset:256
	s_mov_b32 s2, exec_lo
	s_wait_loadcnt_dscnt 0xb01
	v_mul_f64_e32 v[4:5], v[122:123], v[10:11]
	v_mul_f64_e32 v[144:145], v[120:121], v[10:11]
	scratch_load_b128 v[10:13], off, off offset:448
	s_wait_loadcnt_dscnt 0xb00
	v_mul_f64_e32 v[146:147], v[128:129], v[86:87]
	v_mul_f64_e32 v[86:87], v[130:131], v[86:87]
	v_fma_f64 v[4:5], v[120:121], v[8:9], -v[4:5]
	v_fmac_f64_e32 v[144:145], v[122:123], v[8:9]
	ds_load_b128 v[120:123], v2 offset:864
	ds_load_b128 v[136:139], v2 offset:880
	scratch_load_b128 v[140:143], off, off offset:464
	v_fmac_f64_e32 v[146:147], v[130:131], v[84:85]
	v_fma_f64 v[128:129], v[128:129], v[84:85], -v[86:87]
	scratch_load_b128 v[84:87], off, off offset:480
	s_wait_loadcnt_dscnt 0xc01
	v_mul_f64_e32 v[8:9], v[120:121], v[90:91]
	v_mul_f64_e32 v[90:91], v[122:123], v[90:91]
	v_add_f64_e32 v[4:5], 0, v[4:5]
	v_add_f64_e32 v[130:131], 0, v[144:145]
	s_wait_loadcnt_dscnt 0xb00
	v_mul_f64_e32 v[144:145], v[136:137], v[94:95]
	v_mul_f64_e32 v[94:95], v[138:139], v[94:95]
	v_fmac_f64_e32 v[8:9], v[122:123], v[88:89]
	v_fma_f64 v[148:149], v[120:121], v[88:89], -v[90:91]
	ds_load_b128 v[88:91], v2 offset:896
	ds_load_b128 v[120:123], v2 offset:912
	v_add_f64_e32 v[4:5], v[4:5], v[128:129]
	v_add_f64_e32 v[146:147], v[130:131], v[146:147]
	scratch_load_b128 v[128:131], off, off offset:496
	v_fmac_f64_e32 v[144:145], v[138:139], v[92:93]
	v_fma_f64 v[136:137], v[136:137], v[92:93], -v[94:95]
	scratch_load_b128 v[92:95], off, off offset:512
	s_wait_loadcnt_dscnt 0xc01
	v_mul_f64_e32 v[150:151], v[88:89], v[98:99]
	v_mul_f64_e32 v[98:99], v[90:91], v[98:99]
	v_add_f64_e32 v[4:5], v[4:5], v[148:149]
	v_add_f64_e32 v[8:9], v[146:147], v[8:9]
	s_wait_loadcnt_dscnt 0xb00
	v_mul_f64_e32 v[146:147], v[120:121], v[102:103]
	v_mul_f64_e32 v[102:103], v[122:123], v[102:103]
	v_fmac_f64_e32 v[150:151], v[90:91], v[96:97]
	v_fma_f64 v[148:149], v[88:89], v[96:97], -v[98:99]
	ds_load_b128 v[88:91], v2 offset:928
	ds_load_b128 v[96:99], v2 offset:944
	v_add_f64_e32 v[4:5], v[4:5], v[136:137]
	v_add_f64_e32 v[8:9], v[8:9], v[144:145]
	scratch_load_b128 v[136:139], off, off offset:528
	s_wait_loadcnt_dscnt 0xb01
	v_mul_f64_e32 v[144:145], v[88:89], v[106:107]
	v_mul_f64_e32 v[106:107], v[90:91], v[106:107]
	v_fmac_f64_e32 v[146:147], v[122:123], v[100:101]
	v_fma_f64 v[120:121], v[120:121], v[100:101], -v[102:103]
	scratch_load_b128 v[100:103], off, off offset:544
	s_wait_loadcnt_dscnt 0xb00
	v_mul_f64_e32 v[122:123], v[96:97], v[110:111]
	v_mul_f64_e32 v[110:111], v[98:99], v[110:111]
	v_add_f64_e32 v[4:5], v[4:5], v[148:149]
	v_add_f64_e32 v[8:9], v[8:9], v[150:151]
	v_fmac_f64_e32 v[144:145], v[90:91], v[104:105]
	v_fma_f64 v[148:149], v[88:89], v[104:105], -v[106:107]
	ds_load_b128 v[88:91], v2 offset:960
	ds_load_b128 v[104:107], v2 offset:976
	v_fmac_f64_e32 v[122:123], v[98:99], v[108:109]
	v_fma_f64 v[96:97], v[96:97], v[108:109], -v[110:111]
	s_wait_loadcnt_dscnt 0x900
	v_mul_f64_e32 v[108:109], v[104:105], v[118:119]
	v_mul_f64_e32 v[110:111], v[106:107], v[118:119]
	v_add_f64_e32 v[4:5], v[4:5], v[120:121]
	v_add_f64_e32 v[8:9], v[8:9], v[146:147]
	v_mul_f64_e32 v[120:121], v[88:89], v[114:115]
	v_mul_f64_e32 v[114:115], v[90:91], v[114:115]
	v_fmac_f64_e32 v[108:109], v[106:107], v[116:117]
	v_fma_f64 v[104:105], v[104:105], v[116:117], -v[110:111]
	v_add_f64_e32 v[4:5], v[4:5], v[148:149]
	v_add_f64_e32 v[8:9], v[8:9], v[144:145]
	v_fmac_f64_e32 v[120:121], v[90:91], v[112:113]
	v_fma_f64 v[112:113], v[88:89], v[112:113], -v[114:115]
	s_delay_alu instid0(VALU_DEP_4) | instskip(NEXT) | instid1(VALU_DEP_4)
	v_add_f64_e32 v[4:5], v[4:5], v[96:97]
	v_add_f64_e32 v[8:9], v[8:9], v[122:123]
	ds_load_b128 v[88:91], v2 offset:992
	ds_load_b128 v[96:99], v2 offset:1008
	s_wait_loadcnt_dscnt 0x801
	v_mul_f64_e32 v[114:115], v[88:89], v[126:127]
	v_mul_f64_e32 v[118:119], v[90:91], v[126:127]
	v_add_f64_e32 v[4:5], v[4:5], v[112:113]
	v_add_f64_e32 v[8:9], v[8:9], v[120:121]
	s_wait_loadcnt_dscnt 0x600
	v_mul_f64_e32 v[110:111], v[96:97], v[12:13]
	v_mul_f64_e32 v[12:13], v[98:99], v[12:13]
	v_fmac_f64_e32 v[114:115], v[90:91], v[124:125]
	v_fma_f64 v[112:113], v[88:89], v[124:125], -v[118:119]
	v_add_f64_e32 v[4:5], v[4:5], v[104:105]
	v_add_f64_e32 v[8:9], v[8:9], v[108:109]
	ds_load_b128 v[88:91], v2 offset:1024
	ds_load_b128 v[104:107], v2 offset:1040
	v_fmac_f64_e32 v[110:111], v[98:99], v[10:11]
	v_fma_f64 v[10:11], v[96:97], v[10:11], -v[12:13]
	s_wait_loadcnt_dscnt 0x501
	v_mul_f64_e32 v[108:109], v[88:89], v[142:143]
	v_mul_f64_e32 v[116:117], v[90:91], v[142:143]
	s_wait_loadcnt_dscnt 0x400
	v_mul_f64_e32 v[12:13], v[104:105], v[86:87]
	v_mul_f64_e32 v[96:97], v[106:107], v[86:87]
	v_add_f64_e32 v[4:5], v[4:5], v[112:113]
	v_add_f64_e32 v[8:9], v[8:9], v[114:115]
	v_fmac_f64_e32 v[108:109], v[90:91], v[140:141]
	v_fma_f64 v[90:91], v[88:89], v[140:141], -v[116:117]
	v_fmac_f64_e32 v[12:13], v[106:107], v[84:85]
	v_fma_f64 v[84:85], v[104:105], v[84:85], -v[96:97]
	v_add_f64_e32 v[4:5], v[4:5], v[10:11]
	v_add_f64_e32 v[98:99], v[8:9], v[110:111]
	ds_load_b128 v[8:11], v2 offset:1056
	ds_load_b128 v[86:89], v2 offset:1072
	s_wait_loadcnt_dscnt 0x301
	v_mul_f64_e32 v[110:111], v[8:9], v[130:131]
	v_mul_f64_e32 v[112:113], v[10:11], v[130:131]
	s_wait_loadcnt_dscnt 0x200
	v_mul_f64_e32 v[96:97], v[86:87], v[94:95]
	v_mul_f64_e32 v[94:95], v[88:89], v[94:95]
	v_add_f64_e32 v[4:5], v[4:5], v[90:91]
	v_add_f64_e32 v[90:91], v[98:99], v[108:109]
	v_fmac_f64_e32 v[110:111], v[10:11], v[128:129]
	v_fma_f64 v[98:99], v[8:9], v[128:129], -v[112:113]
	v_fmac_f64_e32 v[96:97], v[88:89], v[92:93]
	v_fma_f64 v[86:87], v[86:87], v[92:93], -v[94:95]
	v_add_f64_e32 v[84:85], v[4:5], v[84:85]
	v_add_f64_e32 v[12:13], v[90:91], v[12:13]
	ds_load_b128 v[8:11], v2 offset:1088
	ds_load_b128 v[2:5], v2 offset:1104
	s_wait_loadcnt_dscnt 0x101
	v_mul_f64_e32 v[90:91], v[8:9], v[138:139]
	v_mul_f64_e32 v[104:105], v[10:11], v[138:139]
	s_wait_loadcnt_dscnt 0x0
	v_mul_f64_e32 v[88:89], v[2:3], v[102:103]
	v_mul_f64_e32 v[92:93], v[4:5], v[102:103]
	v_add_f64_e32 v[84:85], v[84:85], v[98:99]
	v_add_f64_e32 v[12:13], v[12:13], v[110:111]
	v_fmac_f64_e32 v[90:91], v[10:11], v[136:137]
	v_fma_f64 v[8:9], v[8:9], v[136:137], -v[104:105]
	v_fmac_f64_e32 v[88:89], v[4:5], v[100:101]
	v_fma_f64 v[2:3], v[2:3], v[100:101], -v[92:93]
	v_add_f64_e32 v[10:11], v[84:85], v[86:87]
	v_add_f64_e32 v[12:13], v[12:13], v[96:97]
	s_delay_alu instid0(VALU_DEP_2) | instskip(NEXT) | instid1(VALU_DEP_2)
	v_add_f64_e32 v[4:5], v[10:11], v[8:9]
	v_add_f64_e32 v[8:9], v[12:13], v[90:91]
	s_delay_alu instid0(VALU_DEP_2) | instskip(NEXT) | instid1(VALU_DEP_2)
	;; [unrolled: 3-line block ×3, first 2 shown]
	v_add_f64_e64 v[2:3], v[132:133], -v[2:3]
	v_add_f64_e64 v[4:5], v[134:135], -v[4:5]
	scratch_store_b128 off, v[2:5], off offset:256
	s_wait_xcnt 0x0
	v_cmpx_lt_u32_e32 15, v1
	s_cbranch_execz .LBB34_193
; %bb.192:
	scratch_load_b128 v[2:5], off, s41
	v_mov_b32_e32 v8, 0
	s_delay_alu instid0(VALU_DEP_1)
	v_dual_mov_b32 v9, v8 :: v_dual_mov_b32 v10, v8
	v_mov_b32_e32 v11, v8
	scratch_store_b128 off, v[8:11], off offset:240
	s_wait_loadcnt 0x0
	ds_store_b128 v6, v[2:5]
.LBB34_193:
	s_wait_xcnt 0x0
	s_or_b32 exec_lo, exec_lo, s2
	s_wait_storecnt_dscnt 0x0
	s_barrier_signal -1
	s_barrier_wait -1
	s_clause 0x9
	scratch_load_b128 v[8:11], off, off offset:256
	scratch_load_b128 v[84:87], off, off offset:272
	;; [unrolled: 1-line block ×10, first 2 shown]
	v_mov_b32_e32 v2, 0
	s_mov_b32 s2, exec_lo
	ds_load_b128 v[120:123], v2 offset:816
	s_clause 0x2
	scratch_load_b128 v[124:127], off, off offset:416
	scratch_load_b128 v[128:131], off, off offset:240
	;; [unrolled: 1-line block ×3, first 2 shown]
	s_wait_loadcnt_dscnt 0xc00
	v_mul_f64_e32 v[4:5], v[122:123], v[10:11]
	v_mul_f64_e32 v[144:145], v[120:121], v[10:11]
	ds_load_b128 v[132:135], v2 offset:832
	scratch_load_b128 v[10:13], off, off offset:432
	ds_load_b128 v[140:143], v2 offset:864
	v_fma_f64 v[4:5], v[120:121], v[8:9], -v[4:5]
	v_fmac_f64_e32 v[144:145], v[122:123], v[8:9]
	ds_load_b128 v[120:123], v2 offset:848
	s_wait_loadcnt_dscnt 0xc02
	v_mul_f64_e32 v[146:147], v[132:133], v[86:87]
	v_mul_f64_e32 v[86:87], v[134:135], v[86:87]
	s_wait_loadcnt_dscnt 0xb00
	v_mul_f64_e32 v[8:9], v[120:121], v[90:91]
	v_mul_f64_e32 v[90:91], v[122:123], v[90:91]
	v_add_f64_e32 v[4:5], 0, v[4:5]
	v_fmac_f64_e32 v[146:147], v[134:135], v[84:85]
	v_fma_f64 v[132:133], v[132:133], v[84:85], -v[86:87]
	v_add_f64_e32 v[134:135], 0, v[144:145]
	scratch_load_b128 v[84:87], off, off offset:464
	v_fmac_f64_e32 v[8:9], v[122:123], v[88:89]
	v_fma_f64 v[148:149], v[120:121], v[88:89], -v[90:91]
	ds_load_b128 v[88:91], v2 offset:880
	s_wait_loadcnt 0xb
	v_mul_f64_e32 v[144:145], v[140:141], v[94:95]
	v_mul_f64_e32 v[94:95], v[142:143], v[94:95]
	scratch_load_b128 v[120:123], off, off offset:480
	v_add_f64_e32 v[4:5], v[4:5], v[132:133]
	v_add_f64_e32 v[146:147], v[134:135], v[146:147]
	ds_load_b128 v[132:135], v2 offset:896
	s_wait_loadcnt_dscnt 0xb01
	v_mul_f64_e32 v[150:151], v[88:89], v[98:99]
	v_mul_f64_e32 v[98:99], v[90:91], v[98:99]
	v_fmac_f64_e32 v[144:145], v[142:143], v[92:93]
	v_fma_f64 v[140:141], v[140:141], v[92:93], -v[94:95]
	scratch_load_b128 v[92:95], off, off offset:496
	v_add_f64_e32 v[4:5], v[4:5], v[148:149]
	v_add_f64_e32 v[8:9], v[146:147], v[8:9]
	v_fmac_f64_e32 v[150:151], v[90:91], v[96:97]
	v_fma_f64 v[148:149], v[88:89], v[96:97], -v[98:99]
	ds_load_b128 v[88:91], v2 offset:912
	s_wait_loadcnt_dscnt 0xb01
	v_mul_f64_e32 v[146:147], v[132:133], v[102:103]
	v_mul_f64_e32 v[102:103], v[134:135], v[102:103]
	scratch_load_b128 v[96:99], off, off offset:512
	v_add_f64_e32 v[4:5], v[4:5], v[140:141]
	v_add_f64_e32 v[8:9], v[8:9], v[144:145]
	s_wait_loadcnt_dscnt 0xb00
	v_mul_f64_e32 v[144:145], v[88:89], v[106:107]
	v_mul_f64_e32 v[106:107], v[90:91], v[106:107]
	ds_load_b128 v[140:143], v2 offset:928
	v_fmac_f64_e32 v[146:147], v[134:135], v[100:101]
	v_fma_f64 v[132:133], v[132:133], v[100:101], -v[102:103]
	scratch_load_b128 v[100:103], off, off offset:528
	v_add_f64_e32 v[4:5], v[4:5], v[148:149]
	v_add_f64_e32 v[8:9], v[8:9], v[150:151]
	v_fmac_f64_e32 v[144:145], v[90:91], v[104:105]
	v_fma_f64 v[150:151], v[88:89], v[104:105], -v[106:107]
	ds_load_b128 v[88:91], v2 offset:944
	s_wait_loadcnt_dscnt 0xb01
	v_mul_f64_e32 v[148:149], v[140:141], v[110:111]
	v_mul_f64_e32 v[110:111], v[142:143], v[110:111]
	scratch_load_b128 v[104:107], off, off offset:544
	v_add_f64_e32 v[4:5], v[4:5], v[132:133]
	v_add_f64_e32 v[8:9], v[8:9], v[146:147]
	s_wait_loadcnt_dscnt 0xb00
	v_mul_f64_e32 v[146:147], v[88:89], v[114:115]
	v_mul_f64_e32 v[114:115], v[90:91], v[114:115]
	ds_load_b128 v[132:135], v2 offset:960
	v_fmac_f64_e32 v[148:149], v[142:143], v[108:109]
	v_fma_f64 v[108:109], v[140:141], v[108:109], -v[110:111]
	s_wait_loadcnt_dscnt 0xa00
	v_mul_f64_e32 v[140:141], v[132:133], v[118:119]
	v_mul_f64_e32 v[118:119], v[134:135], v[118:119]
	v_add_f64_e32 v[4:5], v[4:5], v[150:151]
	v_add_f64_e32 v[8:9], v[8:9], v[144:145]
	v_fmac_f64_e32 v[146:147], v[90:91], v[112:113]
	v_fma_f64 v[112:113], v[88:89], v[112:113], -v[114:115]
	v_fmac_f64_e32 v[140:141], v[134:135], v[116:117]
	v_fma_f64 v[116:117], v[132:133], v[116:117], -v[118:119]
	v_add_f64_e32 v[4:5], v[4:5], v[108:109]
	v_add_f64_e32 v[8:9], v[8:9], v[148:149]
	ds_load_b128 v[88:91], v2 offset:976
	ds_load_b128 v[108:111], v2 offset:992
	s_wait_loadcnt_dscnt 0x901
	v_mul_f64_e32 v[142:143], v[88:89], v[126:127]
	v_mul_f64_e32 v[114:115], v[90:91], v[126:127]
	s_wait_loadcnt_dscnt 0x600
	v_mul_f64_e32 v[118:119], v[108:109], v[12:13]
	v_add_f64_e32 v[4:5], v[4:5], v[112:113]
	v_add_f64_e32 v[8:9], v[8:9], v[146:147]
	v_mul_f64_e32 v[12:13], v[110:111], v[12:13]
	v_fmac_f64_e32 v[142:143], v[90:91], v[124:125]
	v_fma_f64 v[124:125], v[88:89], v[124:125], -v[114:115]
	ds_load_b128 v[88:91], v2 offset:1008
	ds_load_b128 v[112:115], v2 offset:1024
	v_fmac_f64_e32 v[118:119], v[110:111], v[10:11]
	v_add_f64_e32 v[4:5], v[4:5], v[116:117]
	v_add_f64_e32 v[8:9], v[8:9], v[140:141]
	v_fma_f64 v[10:11], v[108:109], v[10:11], -v[12:13]
	s_wait_dscnt 0x1
	v_mul_f64_e32 v[116:117], v[88:89], v[138:139]
	v_mul_f64_e32 v[126:127], v[90:91], v[138:139]
	v_add_f64_e32 v[4:5], v[4:5], v[124:125]
	v_add_f64_e32 v[8:9], v[8:9], v[142:143]
	s_wait_loadcnt_dscnt 0x500
	v_mul_f64_e32 v[12:13], v[112:113], v[86:87]
	v_mul_f64_e32 v[108:109], v[114:115], v[86:87]
	v_fmac_f64_e32 v[116:117], v[90:91], v[136:137]
	v_fma_f64 v[90:91], v[88:89], v[136:137], -v[126:127]
	v_add_f64_e32 v[4:5], v[4:5], v[10:11]
	v_add_f64_e32 v[110:111], v[8:9], v[118:119]
	ds_load_b128 v[8:11], v2 offset:1040
	ds_load_b128 v[86:89], v2 offset:1056
	v_fmac_f64_e32 v[12:13], v[114:115], v[84:85]
	v_fma_f64 v[84:85], v[112:113], v[84:85], -v[108:109]
	s_wait_loadcnt_dscnt 0x401
	v_mul_f64_e32 v[118:119], v[8:9], v[122:123]
	v_mul_f64_e32 v[122:123], v[10:11], v[122:123]
	s_wait_loadcnt_dscnt 0x300
	v_mul_f64_e32 v[112:113], v[86:87], v[94:95]
	v_mul_f64_e32 v[94:95], v[88:89], v[94:95]
	v_add_f64_e32 v[4:5], v[4:5], v[90:91]
	v_add_f64_e32 v[90:91], v[110:111], v[116:117]
	v_fmac_f64_e32 v[118:119], v[10:11], v[120:121]
	v_fma_f64 v[114:115], v[8:9], v[120:121], -v[122:123]
	ds_load_b128 v[8:11], v2 offset:1072
	ds_load_b128 v[108:111], v2 offset:1088
	v_fmac_f64_e32 v[112:113], v[88:89], v[92:93]
	v_fma_f64 v[86:87], v[86:87], v[92:93], -v[94:95]
	v_add_f64_e32 v[4:5], v[4:5], v[84:85]
	v_add_f64_e32 v[12:13], v[90:91], v[12:13]
	s_wait_loadcnt_dscnt 0x201
	v_mul_f64_e32 v[84:85], v[8:9], v[98:99]
	v_mul_f64_e32 v[90:91], v[10:11], v[98:99]
	s_wait_loadcnt_dscnt 0x100
	v_mul_f64_e32 v[88:89], v[108:109], v[102:103]
	v_mul_f64_e32 v[92:93], v[110:111], v[102:103]
	v_add_f64_e32 v[4:5], v[4:5], v[114:115]
	v_add_f64_e32 v[12:13], v[12:13], v[118:119]
	v_fmac_f64_e32 v[84:85], v[10:11], v[96:97]
	v_fma_f64 v[90:91], v[8:9], v[96:97], -v[90:91]
	ds_load_b128 v[8:11], v2 offset:1104
	v_fmac_f64_e32 v[88:89], v[110:111], v[100:101]
	v_fma_f64 v[92:93], v[108:109], v[100:101], -v[92:93]
	s_wait_loadcnt_dscnt 0x0
	v_mul_f64_e32 v[94:95], v[10:11], v[106:107]
	v_add_f64_e32 v[4:5], v[4:5], v[86:87]
	v_add_f64_e32 v[12:13], v[12:13], v[112:113]
	v_mul_f64_e32 v[86:87], v[8:9], v[106:107]
	s_delay_alu instid0(VALU_DEP_4) | instskip(NEXT) | instid1(VALU_DEP_4)
	v_fma_f64 v[8:9], v[8:9], v[104:105], -v[94:95]
	v_add_f64_e32 v[4:5], v[4:5], v[90:91]
	s_delay_alu instid0(VALU_DEP_4) | instskip(NEXT) | instid1(VALU_DEP_4)
	v_add_f64_e32 v[12:13], v[12:13], v[84:85]
	v_fmac_f64_e32 v[86:87], v[10:11], v[104:105]
	s_delay_alu instid0(VALU_DEP_3) | instskip(NEXT) | instid1(VALU_DEP_3)
	v_add_f64_e32 v[4:5], v[4:5], v[92:93]
	v_add_f64_e32 v[10:11], v[12:13], v[88:89]
	s_delay_alu instid0(VALU_DEP_2) | instskip(NEXT) | instid1(VALU_DEP_2)
	v_add_f64_e32 v[4:5], v[4:5], v[8:9]
	v_add_f64_e32 v[10:11], v[10:11], v[86:87]
	s_delay_alu instid0(VALU_DEP_2) | instskip(NEXT) | instid1(VALU_DEP_2)
	v_add_f64_e64 v[8:9], v[128:129], -v[4:5]
	v_add_f64_e64 v[10:11], v[130:131], -v[10:11]
	scratch_store_b128 off, v[8:11], off offset:240
	s_wait_xcnt 0x0
	v_cmpx_lt_u32_e32 14, v1
	s_cbranch_execz .LBB34_195
; %bb.194:
	scratch_load_b128 v[8:11], off, s46
	v_dual_mov_b32 v3, v2 :: v_dual_mov_b32 v4, v2
	v_mov_b32_e32 v5, v2
	scratch_store_b128 off, v[2:5], off offset:224
	s_wait_loadcnt 0x0
	ds_store_b128 v6, v[8:11]
.LBB34_195:
	s_wait_xcnt 0x0
	s_or_b32 exec_lo, exec_lo, s2
	s_wait_storecnt_dscnt 0x0
	s_barrier_signal -1
	s_barrier_wait -1
	s_clause 0x9
	scratch_load_b128 v[8:11], off, off offset:240
	scratch_load_b128 v[84:87], off, off offset:256
	;; [unrolled: 1-line block ×10, first 2 shown]
	ds_load_b128 v[120:123], v2 offset:800
	ds_load_b128 v[128:131], v2 offset:816
	s_clause 0x1
	scratch_load_b128 v[124:127], off, off offset:400
	scratch_load_b128 v[132:135], off, off offset:224
	s_mov_b32 s2, exec_lo
	s_wait_loadcnt_dscnt 0xb01
	v_mul_f64_e32 v[4:5], v[122:123], v[10:11]
	v_mul_f64_e32 v[144:145], v[120:121], v[10:11]
	scratch_load_b128 v[10:13], off, off offset:416
	s_wait_loadcnt_dscnt 0xb00
	v_mul_f64_e32 v[146:147], v[128:129], v[86:87]
	v_mul_f64_e32 v[86:87], v[130:131], v[86:87]
	v_fma_f64 v[4:5], v[120:121], v[8:9], -v[4:5]
	v_fmac_f64_e32 v[144:145], v[122:123], v[8:9]
	ds_load_b128 v[120:123], v2 offset:832
	ds_load_b128 v[136:139], v2 offset:848
	scratch_load_b128 v[140:143], off, off offset:432
	v_fmac_f64_e32 v[146:147], v[130:131], v[84:85]
	v_fma_f64 v[128:129], v[128:129], v[84:85], -v[86:87]
	scratch_load_b128 v[84:87], off, off offset:448
	s_wait_loadcnt_dscnt 0xc01
	v_mul_f64_e32 v[8:9], v[120:121], v[90:91]
	v_mul_f64_e32 v[90:91], v[122:123], v[90:91]
	v_add_f64_e32 v[4:5], 0, v[4:5]
	v_add_f64_e32 v[130:131], 0, v[144:145]
	s_wait_loadcnt_dscnt 0xb00
	v_mul_f64_e32 v[144:145], v[136:137], v[94:95]
	v_mul_f64_e32 v[94:95], v[138:139], v[94:95]
	v_fmac_f64_e32 v[8:9], v[122:123], v[88:89]
	v_fma_f64 v[148:149], v[120:121], v[88:89], -v[90:91]
	ds_load_b128 v[88:91], v2 offset:864
	ds_load_b128 v[120:123], v2 offset:880
	v_add_f64_e32 v[4:5], v[4:5], v[128:129]
	v_add_f64_e32 v[146:147], v[130:131], v[146:147]
	scratch_load_b128 v[128:131], off, off offset:464
	v_fmac_f64_e32 v[144:145], v[138:139], v[92:93]
	v_fma_f64 v[136:137], v[136:137], v[92:93], -v[94:95]
	scratch_load_b128 v[92:95], off, off offset:480
	s_wait_loadcnt_dscnt 0xc01
	v_mul_f64_e32 v[150:151], v[88:89], v[98:99]
	v_mul_f64_e32 v[98:99], v[90:91], v[98:99]
	v_add_f64_e32 v[4:5], v[4:5], v[148:149]
	v_add_f64_e32 v[8:9], v[146:147], v[8:9]
	s_wait_loadcnt_dscnt 0xb00
	v_mul_f64_e32 v[146:147], v[120:121], v[102:103]
	v_mul_f64_e32 v[102:103], v[122:123], v[102:103]
	v_fmac_f64_e32 v[150:151], v[90:91], v[96:97]
	v_fma_f64 v[148:149], v[88:89], v[96:97], -v[98:99]
	ds_load_b128 v[88:91], v2 offset:896
	ds_load_b128 v[96:99], v2 offset:912
	v_add_f64_e32 v[4:5], v[4:5], v[136:137]
	v_add_f64_e32 v[8:9], v[8:9], v[144:145]
	scratch_load_b128 v[136:139], off, off offset:496
	s_wait_loadcnt_dscnt 0xb01
	v_mul_f64_e32 v[144:145], v[88:89], v[106:107]
	v_mul_f64_e32 v[106:107], v[90:91], v[106:107]
	v_fmac_f64_e32 v[146:147], v[122:123], v[100:101]
	v_fma_f64 v[120:121], v[120:121], v[100:101], -v[102:103]
	scratch_load_b128 v[100:103], off, off offset:512
	v_add_f64_e32 v[4:5], v[4:5], v[148:149]
	v_add_f64_e32 v[8:9], v[8:9], v[150:151]
	s_wait_loadcnt_dscnt 0xb00
	v_mul_f64_e32 v[148:149], v[96:97], v[110:111]
	v_mul_f64_e32 v[110:111], v[98:99], v[110:111]
	v_fmac_f64_e32 v[144:145], v[90:91], v[104:105]
	v_fma_f64 v[150:151], v[88:89], v[104:105], -v[106:107]
	ds_load_b128 v[88:91], v2 offset:928
	ds_load_b128 v[104:107], v2 offset:944
	v_add_f64_e32 v[4:5], v[4:5], v[120:121]
	v_add_f64_e32 v[8:9], v[8:9], v[146:147]
	scratch_load_b128 v[120:123], off, off offset:528
	s_wait_loadcnt_dscnt 0xb01
	v_mul_f64_e32 v[146:147], v[88:89], v[114:115]
	v_mul_f64_e32 v[114:115], v[90:91], v[114:115]
	v_fmac_f64_e32 v[148:149], v[98:99], v[108:109]
	v_fma_f64 v[108:109], v[96:97], v[108:109], -v[110:111]
	scratch_load_b128 v[96:99], off, off offset:544
	v_add_f64_e32 v[4:5], v[4:5], v[150:151]
	v_add_f64_e32 v[8:9], v[8:9], v[144:145]
	s_wait_loadcnt_dscnt 0xb00
	v_mul_f64_e32 v[144:145], v[104:105], v[118:119]
	v_mul_f64_e32 v[118:119], v[106:107], v[118:119]
	v_fmac_f64_e32 v[146:147], v[90:91], v[112:113]
	v_fma_f64 v[112:113], v[88:89], v[112:113], -v[114:115]
	v_add_f64_e32 v[4:5], v[4:5], v[108:109]
	v_add_f64_e32 v[8:9], v[8:9], v[148:149]
	ds_load_b128 v[88:91], v2 offset:960
	ds_load_b128 v[108:111], v2 offset:976
	v_fmac_f64_e32 v[144:145], v[106:107], v[116:117]
	v_fma_f64 v[104:105], v[104:105], v[116:117], -v[118:119]
	s_wait_loadcnt_dscnt 0xa01
	v_mul_f64_e32 v[114:115], v[88:89], v[126:127]
	v_mul_f64_e32 v[126:127], v[90:91], v[126:127]
	v_add_f64_e32 v[4:5], v[4:5], v[112:113]
	v_add_f64_e32 v[8:9], v[8:9], v[146:147]
	s_wait_loadcnt_dscnt 0x800
	v_mul_f64_e32 v[112:113], v[108:109], v[12:13]
	v_mul_f64_e32 v[12:13], v[110:111], v[12:13]
	v_fmac_f64_e32 v[114:115], v[90:91], v[124:125]
	v_fma_f64 v[116:117], v[88:89], v[124:125], -v[126:127]
	v_add_f64_e32 v[4:5], v[4:5], v[104:105]
	v_add_f64_e32 v[8:9], v[8:9], v[144:145]
	ds_load_b128 v[88:91], v2 offset:992
	ds_load_b128 v[104:107], v2 offset:1008
	v_fmac_f64_e32 v[112:113], v[110:111], v[10:11]
	v_fma_f64 v[10:11], v[108:109], v[10:11], -v[12:13]
	s_wait_loadcnt_dscnt 0x701
	v_mul_f64_e32 v[118:119], v[88:89], v[142:143]
	v_mul_f64_e32 v[124:125], v[90:91], v[142:143]
	s_wait_loadcnt_dscnt 0x600
	v_mul_f64_e32 v[12:13], v[104:105], v[86:87]
	v_mul_f64_e32 v[108:109], v[106:107], v[86:87]
	v_add_f64_e32 v[4:5], v[4:5], v[116:117]
	v_add_f64_e32 v[8:9], v[8:9], v[114:115]
	v_fmac_f64_e32 v[118:119], v[90:91], v[140:141]
	v_fma_f64 v[90:91], v[88:89], v[140:141], -v[124:125]
	v_fmac_f64_e32 v[12:13], v[106:107], v[84:85]
	v_fma_f64 v[84:85], v[104:105], v[84:85], -v[108:109]
	v_add_f64_e32 v[4:5], v[4:5], v[10:11]
	v_add_f64_e32 v[110:111], v[8:9], v[112:113]
	ds_load_b128 v[8:11], v2 offset:1024
	ds_load_b128 v[86:89], v2 offset:1040
	s_wait_loadcnt_dscnt 0x501
	v_mul_f64_e32 v[112:113], v[8:9], v[130:131]
	v_mul_f64_e32 v[114:115], v[10:11], v[130:131]
	s_wait_loadcnt_dscnt 0x400
	v_mul_f64_e32 v[108:109], v[86:87], v[94:95]
	v_mul_f64_e32 v[94:95], v[88:89], v[94:95]
	v_add_f64_e32 v[4:5], v[4:5], v[90:91]
	v_add_f64_e32 v[90:91], v[110:111], v[118:119]
	v_fmac_f64_e32 v[112:113], v[10:11], v[128:129]
	v_fma_f64 v[110:111], v[8:9], v[128:129], -v[114:115]
	ds_load_b128 v[8:11], v2 offset:1056
	ds_load_b128 v[104:107], v2 offset:1072
	v_fmac_f64_e32 v[108:109], v[88:89], v[92:93]
	v_fma_f64 v[86:87], v[86:87], v[92:93], -v[94:95]
	v_add_f64_e32 v[4:5], v[4:5], v[84:85]
	v_add_f64_e32 v[12:13], v[90:91], v[12:13]
	s_wait_loadcnt_dscnt 0x301
	v_mul_f64_e32 v[84:85], v[8:9], v[138:139]
	v_mul_f64_e32 v[90:91], v[10:11], v[138:139]
	s_wait_loadcnt_dscnt 0x200
	v_mul_f64_e32 v[88:89], v[104:105], v[102:103]
	v_mul_f64_e32 v[92:93], v[106:107], v[102:103]
	v_add_f64_e32 v[4:5], v[4:5], v[110:111]
	v_add_f64_e32 v[12:13], v[12:13], v[112:113]
	v_fmac_f64_e32 v[84:85], v[10:11], v[136:137]
	v_fma_f64 v[90:91], v[8:9], v[136:137], -v[90:91]
	v_fmac_f64_e32 v[88:89], v[106:107], v[100:101]
	v_fma_f64 v[92:93], v[104:105], v[100:101], -v[92:93]
	v_add_f64_e32 v[86:87], v[4:5], v[86:87]
	v_add_f64_e32 v[12:13], v[12:13], v[108:109]
	ds_load_b128 v[8:11], v2 offset:1088
	ds_load_b128 v[2:5], v2 offset:1104
	s_wait_loadcnt_dscnt 0x101
	v_mul_f64_e32 v[94:95], v[8:9], v[122:123]
	v_mul_f64_e32 v[102:103], v[10:11], v[122:123]
	v_add_f64_e32 v[86:87], v[86:87], v[90:91]
	v_add_f64_e32 v[12:13], v[12:13], v[84:85]
	s_wait_loadcnt_dscnt 0x0
	v_mul_f64_e32 v[84:85], v[2:3], v[98:99]
	v_mul_f64_e32 v[90:91], v[4:5], v[98:99]
	v_fmac_f64_e32 v[94:95], v[10:11], v[120:121]
	v_fma_f64 v[8:9], v[8:9], v[120:121], -v[102:103]
	v_add_f64_e32 v[10:11], v[86:87], v[92:93]
	v_add_f64_e32 v[12:13], v[12:13], v[88:89]
	v_fmac_f64_e32 v[84:85], v[4:5], v[96:97]
	v_fma_f64 v[2:3], v[2:3], v[96:97], -v[90:91]
	s_delay_alu instid0(VALU_DEP_4) | instskip(NEXT) | instid1(VALU_DEP_4)
	v_add_f64_e32 v[4:5], v[10:11], v[8:9]
	v_add_f64_e32 v[8:9], v[12:13], v[94:95]
	s_delay_alu instid0(VALU_DEP_2) | instskip(NEXT) | instid1(VALU_DEP_2)
	v_add_f64_e32 v[2:3], v[4:5], v[2:3]
	v_add_f64_e32 v[4:5], v[8:9], v[84:85]
	s_delay_alu instid0(VALU_DEP_2) | instskip(NEXT) | instid1(VALU_DEP_2)
	v_add_f64_e64 v[2:3], v[132:133], -v[2:3]
	v_add_f64_e64 v[4:5], v[134:135], -v[4:5]
	scratch_store_b128 off, v[2:5], off offset:224
	s_wait_xcnt 0x0
	v_cmpx_lt_u32_e32 13, v1
	s_cbranch_execz .LBB34_197
; %bb.196:
	scratch_load_b128 v[2:5], off, s45
	v_mov_b32_e32 v8, 0
	s_delay_alu instid0(VALU_DEP_1)
	v_dual_mov_b32 v9, v8 :: v_dual_mov_b32 v10, v8
	v_mov_b32_e32 v11, v8
	scratch_store_b128 off, v[8:11], off offset:208
	s_wait_loadcnt 0x0
	ds_store_b128 v6, v[2:5]
.LBB34_197:
	s_wait_xcnt 0x0
	s_or_b32 exec_lo, exec_lo, s2
	s_wait_storecnt_dscnt 0x0
	s_barrier_signal -1
	s_barrier_wait -1
	s_clause 0x9
	scratch_load_b128 v[8:11], off, off offset:224
	scratch_load_b128 v[84:87], off, off offset:240
	;; [unrolled: 1-line block ×10, first 2 shown]
	v_mov_b32_e32 v2, 0
	s_mov_b32 s2, exec_lo
	ds_load_b128 v[120:123], v2 offset:784
	s_clause 0x2
	scratch_load_b128 v[124:127], off, off offset:384
	scratch_load_b128 v[128:131], off, off offset:208
	;; [unrolled: 1-line block ×3, first 2 shown]
	s_wait_loadcnt_dscnt 0xc00
	v_mul_f64_e32 v[4:5], v[122:123], v[10:11]
	v_mul_f64_e32 v[144:145], v[120:121], v[10:11]
	ds_load_b128 v[132:135], v2 offset:800
	scratch_load_b128 v[10:13], off, off offset:400
	ds_load_b128 v[140:143], v2 offset:832
	v_fma_f64 v[4:5], v[120:121], v[8:9], -v[4:5]
	v_fmac_f64_e32 v[144:145], v[122:123], v[8:9]
	ds_load_b128 v[120:123], v2 offset:816
	s_wait_loadcnt_dscnt 0xc02
	v_mul_f64_e32 v[146:147], v[132:133], v[86:87]
	v_mul_f64_e32 v[86:87], v[134:135], v[86:87]
	s_wait_loadcnt_dscnt 0xb00
	v_mul_f64_e32 v[8:9], v[120:121], v[90:91]
	v_mul_f64_e32 v[90:91], v[122:123], v[90:91]
	v_add_f64_e32 v[4:5], 0, v[4:5]
	v_fmac_f64_e32 v[146:147], v[134:135], v[84:85]
	v_fma_f64 v[132:133], v[132:133], v[84:85], -v[86:87]
	v_add_f64_e32 v[134:135], 0, v[144:145]
	scratch_load_b128 v[84:87], off, off offset:432
	v_fmac_f64_e32 v[8:9], v[122:123], v[88:89]
	v_fma_f64 v[148:149], v[120:121], v[88:89], -v[90:91]
	ds_load_b128 v[88:91], v2 offset:848
	s_wait_loadcnt 0xb
	v_mul_f64_e32 v[144:145], v[140:141], v[94:95]
	v_mul_f64_e32 v[94:95], v[142:143], v[94:95]
	scratch_load_b128 v[120:123], off, off offset:448
	v_add_f64_e32 v[4:5], v[4:5], v[132:133]
	v_add_f64_e32 v[146:147], v[134:135], v[146:147]
	ds_load_b128 v[132:135], v2 offset:864
	s_wait_loadcnt_dscnt 0xb01
	v_mul_f64_e32 v[150:151], v[88:89], v[98:99]
	v_mul_f64_e32 v[98:99], v[90:91], v[98:99]
	v_fmac_f64_e32 v[144:145], v[142:143], v[92:93]
	v_fma_f64 v[140:141], v[140:141], v[92:93], -v[94:95]
	scratch_load_b128 v[92:95], off, off offset:464
	v_add_f64_e32 v[4:5], v[4:5], v[148:149]
	v_add_f64_e32 v[8:9], v[146:147], v[8:9]
	v_fmac_f64_e32 v[150:151], v[90:91], v[96:97]
	v_fma_f64 v[148:149], v[88:89], v[96:97], -v[98:99]
	ds_load_b128 v[88:91], v2 offset:880
	s_wait_loadcnt_dscnt 0xb01
	v_mul_f64_e32 v[146:147], v[132:133], v[102:103]
	v_mul_f64_e32 v[102:103], v[134:135], v[102:103]
	scratch_load_b128 v[96:99], off, off offset:480
	v_add_f64_e32 v[4:5], v[4:5], v[140:141]
	v_add_f64_e32 v[8:9], v[8:9], v[144:145]
	s_wait_loadcnt_dscnt 0xb00
	v_mul_f64_e32 v[144:145], v[88:89], v[106:107]
	v_mul_f64_e32 v[106:107], v[90:91], v[106:107]
	ds_load_b128 v[140:143], v2 offset:896
	v_fmac_f64_e32 v[146:147], v[134:135], v[100:101]
	v_fma_f64 v[132:133], v[132:133], v[100:101], -v[102:103]
	scratch_load_b128 v[100:103], off, off offset:496
	v_add_f64_e32 v[4:5], v[4:5], v[148:149]
	v_add_f64_e32 v[8:9], v[8:9], v[150:151]
	v_fmac_f64_e32 v[144:145], v[90:91], v[104:105]
	v_fma_f64 v[150:151], v[88:89], v[104:105], -v[106:107]
	ds_load_b128 v[88:91], v2 offset:912
	s_wait_loadcnt_dscnt 0xb01
	v_mul_f64_e32 v[148:149], v[140:141], v[110:111]
	v_mul_f64_e32 v[110:111], v[142:143], v[110:111]
	scratch_load_b128 v[104:107], off, off offset:512
	v_add_f64_e32 v[4:5], v[4:5], v[132:133]
	v_add_f64_e32 v[8:9], v[8:9], v[146:147]
	s_wait_loadcnt_dscnt 0xb00
	v_mul_f64_e32 v[146:147], v[88:89], v[114:115]
	v_mul_f64_e32 v[114:115], v[90:91], v[114:115]
	ds_load_b128 v[132:135], v2 offset:928
	;; [unrolled: 18-line block ×3, first 2 shown]
	v_fmac_f64_e32 v[144:145], v[134:135], v[116:117]
	v_fma_f64 v[116:117], v[132:133], v[116:117], -v[118:119]
	s_wait_loadcnt_dscnt 0x800
	v_mul_f64_e32 v[132:133], v[140:141], v[12:13]
	v_add_f64_e32 v[4:5], v[4:5], v[150:151]
	v_add_f64_e32 v[8:9], v[8:9], v[146:147]
	v_mul_f64_e32 v[12:13], v[142:143], v[12:13]
	v_fmac_f64_e32 v[148:149], v[90:91], v[124:125]
	v_fma_f64 v[124:125], v[88:89], v[124:125], -v[126:127]
	v_fmac_f64_e32 v[132:133], v[142:143], v[10:11]
	v_add_f64_e32 v[4:5], v[4:5], v[116:117]
	v_add_f64_e32 v[8:9], v[8:9], v[144:145]
	ds_load_b128 v[88:91], v2 offset:976
	ds_load_b128 v[116:119], v2 offset:992
	v_fma_f64 v[10:11], v[140:141], v[10:11], -v[12:13]
	s_wait_dscnt 0x1
	v_mul_f64_e32 v[126:127], v[88:89], v[138:139]
	v_mul_f64_e32 v[134:135], v[90:91], v[138:139]
	v_add_f64_e32 v[4:5], v[4:5], v[124:125]
	v_add_f64_e32 v[8:9], v[8:9], v[148:149]
	s_wait_loadcnt_dscnt 0x700
	v_mul_f64_e32 v[12:13], v[116:117], v[86:87]
	v_mul_f64_e32 v[124:125], v[118:119], v[86:87]
	v_fmac_f64_e32 v[126:127], v[90:91], v[136:137]
	v_fma_f64 v[90:91], v[88:89], v[136:137], -v[134:135]
	v_add_f64_e32 v[4:5], v[4:5], v[10:11]
	v_add_f64_e32 v[132:133], v[8:9], v[132:133]
	ds_load_b128 v[8:11], v2 offset:1008
	ds_load_b128 v[86:89], v2 offset:1024
	v_fmac_f64_e32 v[12:13], v[118:119], v[84:85]
	v_fma_f64 v[84:85], v[116:117], v[84:85], -v[124:125]
	s_wait_loadcnt_dscnt 0x601
	v_mul_f64_e32 v[134:135], v[8:9], v[122:123]
	v_mul_f64_e32 v[122:123], v[10:11], v[122:123]
	s_wait_loadcnt_dscnt 0x500
	v_mul_f64_e32 v[124:125], v[86:87], v[94:95]
	v_mul_f64_e32 v[94:95], v[88:89], v[94:95]
	v_add_f64_e32 v[4:5], v[4:5], v[90:91]
	v_add_f64_e32 v[90:91], v[132:133], v[126:127]
	v_fmac_f64_e32 v[134:135], v[10:11], v[120:121]
	v_fma_f64 v[120:121], v[8:9], v[120:121], -v[122:123]
	ds_load_b128 v[8:11], v2 offset:1040
	ds_load_b128 v[116:119], v2 offset:1056
	v_fmac_f64_e32 v[124:125], v[88:89], v[92:93]
	v_fma_f64 v[86:87], v[86:87], v[92:93], -v[94:95]
	v_add_f64_e32 v[4:5], v[4:5], v[84:85]
	v_add_f64_e32 v[12:13], v[90:91], v[12:13]
	s_wait_loadcnt_dscnt 0x401
	v_mul_f64_e32 v[90:91], v[8:9], v[98:99]
	v_mul_f64_e32 v[84:85], v[10:11], v[98:99]
	s_wait_loadcnt_dscnt 0x300
	v_mul_f64_e32 v[88:89], v[116:117], v[102:103]
	v_mul_f64_e32 v[92:93], v[118:119], v[102:103]
	v_add_f64_e32 v[4:5], v[4:5], v[120:121]
	v_add_f64_e32 v[12:13], v[12:13], v[134:135]
	v_fmac_f64_e32 v[90:91], v[10:11], v[96:97]
	v_fma_f64 v[94:95], v[8:9], v[96:97], -v[84:85]
	v_fmac_f64_e32 v[88:89], v[118:119], v[100:101]
	v_fma_f64 v[92:93], v[116:117], v[100:101], -v[92:93]
	v_add_f64_e32 v[4:5], v[4:5], v[86:87]
	v_add_f64_e32 v[12:13], v[12:13], v[124:125]
	ds_load_b128 v[8:11], v2 offset:1072
	ds_load_b128 v[84:87], v2 offset:1088
	s_wait_loadcnt_dscnt 0x201
	v_mul_f64_e32 v[96:97], v[8:9], v[106:107]
	v_mul_f64_e32 v[98:99], v[10:11], v[106:107]
	v_add_f64_e32 v[4:5], v[4:5], v[94:95]
	v_add_f64_e32 v[12:13], v[12:13], v[90:91]
	s_wait_loadcnt_dscnt 0x100
	v_mul_f64_e32 v[90:91], v[84:85], v[110:111]
	v_mul_f64_e32 v[94:95], v[86:87], v[110:111]
	v_fmac_f64_e32 v[96:97], v[10:11], v[104:105]
	v_fma_f64 v[98:99], v[8:9], v[104:105], -v[98:99]
	ds_load_b128 v[8:11], v2 offset:1104
	v_add_f64_e32 v[4:5], v[4:5], v[92:93]
	v_add_f64_e32 v[12:13], v[12:13], v[88:89]
	v_fmac_f64_e32 v[90:91], v[86:87], v[108:109]
	v_fma_f64 v[84:85], v[84:85], v[108:109], -v[94:95]
	s_wait_loadcnt_dscnt 0x0
	v_mul_f64_e32 v[88:89], v[8:9], v[114:115]
	v_mul_f64_e32 v[92:93], v[10:11], v[114:115]
	v_add_f64_e32 v[4:5], v[4:5], v[98:99]
	v_add_f64_e32 v[12:13], v[12:13], v[96:97]
	s_delay_alu instid0(VALU_DEP_4) | instskip(NEXT) | instid1(VALU_DEP_4)
	v_fmac_f64_e32 v[88:89], v[10:11], v[112:113]
	v_fma_f64 v[8:9], v[8:9], v[112:113], -v[92:93]
	s_delay_alu instid0(VALU_DEP_4) | instskip(NEXT) | instid1(VALU_DEP_4)
	v_add_f64_e32 v[4:5], v[4:5], v[84:85]
	v_add_f64_e32 v[10:11], v[12:13], v[90:91]
	s_delay_alu instid0(VALU_DEP_2) | instskip(NEXT) | instid1(VALU_DEP_2)
	v_add_f64_e32 v[4:5], v[4:5], v[8:9]
	v_add_f64_e32 v[10:11], v[10:11], v[88:89]
	s_delay_alu instid0(VALU_DEP_2) | instskip(NEXT) | instid1(VALU_DEP_2)
	v_add_f64_e64 v[8:9], v[128:129], -v[4:5]
	v_add_f64_e64 v[10:11], v[130:131], -v[10:11]
	scratch_store_b128 off, v[8:11], off offset:208
	s_wait_xcnt 0x0
	v_cmpx_lt_u32_e32 12, v1
	s_cbranch_execz .LBB34_199
; %bb.198:
	scratch_load_b128 v[8:11], off, s44
	v_dual_mov_b32 v3, v2 :: v_dual_mov_b32 v4, v2
	v_mov_b32_e32 v5, v2
	scratch_store_b128 off, v[2:5], off offset:192
	s_wait_loadcnt 0x0
	ds_store_b128 v6, v[8:11]
.LBB34_199:
	s_wait_xcnt 0x0
	s_or_b32 exec_lo, exec_lo, s2
	s_wait_storecnt_dscnt 0x0
	s_barrier_signal -1
	s_barrier_wait -1
	s_clause 0x9
	scratch_load_b128 v[8:11], off, off offset:208
	scratch_load_b128 v[84:87], off, off offset:224
	;; [unrolled: 1-line block ×10, first 2 shown]
	ds_load_b128 v[120:123], v2 offset:768
	ds_load_b128 v[128:131], v2 offset:784
	s_clause 0x1
	scratch_load_b128 v[124:127], off, off offset:368
	scratch_load_b128 v[132:135], off, off offset:192
	s_mov_b32 s2, exec_lo
	s_wait_loadcnt_dscnt 0xb01
	v_mul_f64_e32 v[4:5], v[122:123], v[10:11]
	v_mul_f64_e32 v[144:145], v[120:121], v[10:11]
	scratch_load_b128 v[10:13], off, off offset:384
	s_wait_loadcnt_dscnt 0xb00
	v_mul_f64_e32 v[146:147], v[128:129], v[86:87]
	v_mul_f64_e32 v[86:87], v[130:131], v[86:87]
	v_fma_f64 v[4:5], v[120:121], v[8:9], -v[4:5]
	v_fmac_f64_e32 v[144:145], v[122:123], v[8:9]
	ds_load_b128 v[120:123], v2 offset:800
	ds_load_b128 v[136:139], v2 offset:816
	scratch_load_b128 v[140:143], off, off offset:400
	v_fmac_f64_e32 v[146:147], v[130:131], v[84:85]
	v_fma_f64 v[128:129], v[128:129], v[84:85], -v[86:87]
	scratch_load_b128 v[84:87], off, off offset:416
	s_wait_loadcnt_dscnt 0xc01
	v_mul_f64_e32 v[8:9], v[120:121], v[90:91]
	v_mul_f64_e32 v[90:91], v[122:123], v[90:91]
	v_add_f64_e32 v[4:5], 0, v[4:5]
	v_add_f64_e32 v[130:131], 0, v[144:145]
	s_wait_loadcnt_dscnt 0xb00
	v_mul_f64_e32 v[144:145], v[136:137], v[94:95]
	v_mul_f64_e32 v[94:95], v[138:139], v[94:95]
	v_fmac_f64_e32 v[8:9], v[122:123], v[88:89]
	v_fma_f64 v[148:149], v[120:121], v[88:89], -v[90:91]
	ds_load_b128 v[88:91], v2 offset:832
	ds_load_b128 v[120:123], v2 offset:848
	v_add_f64_e32 v[4:5], v[4:5], v[128:129]
	v_add_f64_e32 v[146:147], v[130:131], v[146:147]
	scratch_load_b128 v[128:131], off, off offset:432
	v_fmac_f64_e32 v[144:145], v[138:139], v[92:93]
	v_fma_f64 v[136:137], v[136:137], v[92:93], -v[94:95]
	scratch_load_b128 v[92:95], off, off offset:448
	s_wait_loadcnt_dscnt 0xc01
	v_mul_f64_e32 v[150:151], v[88:89], v[98:99]
	v_mul_f64_e32 v[98:99], v[90:91], v[98:99]
	v_add_f64_e32 v[4:5], v[4:5], v[148:149]
	v_add_f64_e32 v[8:9], v[146:147], v[8:9]
	s_wait_loadcnt_dscnt 0xb00
	v_mul_f64_e32 v[146:147], v[120:121], v[102:103]
	v_mul_f64_e32 v[102:103], v[122:123], v[102:103]
	v_fmac_f64_e32 v[150:151], v[90:91], v[96:97]
	v_fma_f64 v[148:149], v[88:89], v[96:97], -v[98:99]
	ds_load_b128 v[88:91], v2 offset:864
	ds_load_b128 v[96:99], v2 offset:880
	v_add_f64_e32 v[4:5], v[4:5], v[136:137]
	v_add_f64_e32 v[8:9], v[8:9], v[144:145]
	scratch_load_b128 v[136:139], off, off offset:464
	s_wait_loadcnt_dscnt 0xb01
	v_mul_f64_e32 v[144:145], v[88:89], v[106:107]
	v_mul_f64_e32 v[106:107], v[90:91], v[106:107]
	v_fmac_f64_e32 v[146:147], v[122:123], v[100:101]
	v_fma_f64 v[120:121], v[120:121], v[100:101], -v[102:103]
	scratch_load_b128 v[100:103], off, off offset:480
	v_add_f64_e32 v[4:5], v[4:5], v[148:149]
	v_add_f64_e32 v[8:9], v[8:9], v[150:151]
	s_wait_loadcnt_dscnt 0xb00
	v_mul_f64_e32 v[148:149], v[96:97], v[110:111]
	v_mul_f64_e32 v[110:111], v[98:99], v[110:111]
	v_fmac_f64_e32 v[144:145], v[90:91], v[104:105]
	v_fma_f64 v[150:151], v[88:89], v[104:105], -v[106:107]
	ds_load_b128 v[88:91], v2 offset:896
	ds_load_b128 v[104:107], v2 offset:912
	v_add_f64_e32 v[4:5], v[4:5], v[120:121]
	v_add_f64_e32 v[8:9], v[8:9], v[146:147]
	scratch_load_b128 v[120:123], off, off offset:496
	s_wait_loadcnt_dscnt 0xb01
	v_mul_f64_e32 v[146:147], v[88:89], v[114:115]
	v_mul_f64_e32 v[114:115], v[90:91], v[114:115]
	v_fmac_f64_e32 v[148:149], v[98:99], v[108:109]
	v_fma_f64 v[108:109], v[96:97], v[108:109], -v[110:111]
	scratch_load_b128 v[96:99], off, off offset:512
	v_add_f64_e32 v[4:5], v[4:5], v[150:151]
	v_add_f64_e32 v[8:9], v[8:9], v[144:145]
	s_wait_loadcnt_dscnt 0xb00
	v_mul_f64_e32 v[144:145], v[104:105], v[118:119]
	v_mul_f64_e32 v[118:119], v[106:107], v[118:119]
	v_fmac_f64_e32 v[146:147], v[90:91], v[112:113]
	v_fma_f64 v[150:151], v[88:89], v[112:113], -v[114:115]
	v_add_f64_e32 v[4:5], v[4:5], v[108:109]
	v_add_f64_e32 v[8:9], v[8:9], v[148:149]
	ds_load_b128 v[88:91], v2 offset:928
	ds_load_b128 v[108:111], v2 offset:944
	scratch_load_b128 v[112:115], off, off offset:528
	v_fmac_f64_e32 v[144:145], v[106:107], v[116:117]
	v_fma_f64 v[116:117], v[104:105], v[116:117], -v[118:119]
	scratch_load_b128 v[104:107], off, off offset:544
	s_wait_loadcnt_dscnt 0xc01
	v_mul_f64_e32 v[148:149], v[88:89], v[126:127]
	v_mul_f64_e32 v[126:127], v[90:91], v[126:127]
	v_add_f64_e32 v[4:5], v[4:5], v[150:151]
	v_add_f64_e32 v[8:9], v[8:9], v[146:147]
	s_wait_loadcnt_dscnt 0xa00
	v_mul_f64_e32 v[146:147], v[108:109], v[12:13]
	v_mul_f64_e32 v[12:13], v[110:111], v[12:13]
	v_fmac_f64_e32 v[148:149], v[90:91], v[124:125]
	v_fma_f64 v[124:125], v[88:89], v[124:125], -v[126:127]
	v_add_f64_e32 v[4:5], v[4:5], v[116:117]
	v_add_f64_e32 v[8:9], v[8:9], v[144:145]
	ds_load_b128 v[88:91], v2 offset:960
	ds_load_b128 v[116:119], v2 offset:976
	v_fmac_f64_e32 v[146:147], v[110:111], v[10:11]
	v_fma_f64 v[10:11], v[108:109], v[10:11], -v[12:13]
	s_wait_loadcnt_dscnt 0x901
	v_mul_f64_e32 v[126:127], v[88:89], v[142:143]
	v_mul_f64_e32 v[142:143], v[90:91], v[142:143]
	s_wait_loadcnt_dscnt 0x800
	v_mul_f64_e32 v[12:13], v[116:117], v[86:87]
	v_mul_f64_e32 v[108:109], v[118:119], v[86:87]
	v_add_f64_e32 v[4:5], v[4:5], v[124:125]
	v_add_f64_e32 v[8:9], v[8:9], v[148:149]
	v_fmac_f64_e32 v[126:127], v[90:91], v[140:141]
	v_fma_f64 v[90:91], v[88:89], v[140:141], -v[142:143]
	v_fmac_f64_e32 v[12:13], v[118:119], v[84:85]
	v_fma_f64 v[84:85], v[116:117], v[84:85], -v[108:109]
	v_add_f64_e32 v[4:5], v[4:5], v[10:11]
	v_add_f64_e32 v[110:111], v[8:9], v[146:147]
	ds_load_b128 v[8:11], v2 offset:992
	ds_load_b128 v[86:89], v2 offset:1008
	s_wait_loadcnt_dscnt 0x701
	v_mul_f64_e32 v[124:125], v[8:9], v[130:131]
	v_mul_f64_e32 v[130:131], v[10:11], v[130:131]
	s_wait_loadcnt_dscnt 0x600
	v_mul_f64_e32 v[116:117], v[86:87], v[94:95]
	v_mul_f64_e32 v[94:95], v[88:89], v[94:95]
	v_add_f64_e32 v[4:5], v[4:5], v[90:91]
	v_add_f64_e32 v[90:91], v[110:111], v[126:127]
	v_fmac_f64_e32 v[124:125], v[10:11], v[128:129]
	v_fma_f64 v[118:119], v[8:9], v[128:129], -v[130:131]
	ds_load_b128 v[8:11], v2 offset:1024
	ds_load_b128 v[108:111], v2 offset:1040
	v_fmac_f64_e32 v[116:117], v[88:89], v[92:93]
	v_fma_f64 v[86:87], v[86:87], v[92:93], -v[94:95]
	v_add_f64_e32 v[4:5], v[4:5], v[84:85]
	v_add_f64_e32 v[12:13], v[90:91], v[12:13]
	s_wait_loadcnt_dscnt 0x501
	v_mul_f64_e32 v[90:91], v[8:9], v[138:139]
	v_mul_f64_e32 v[84:85], v[10:11], v[138:139]
	s_wait_loadcnt_dscnt 0x400
	v_mul_f64_e32 v[88:89], v[108:109], v[102:103]
	v_mul_f64_e32 v[92:93], v[110:111], v[102:103]
	v_add_f64_e32 v[4:5], v[4:5], v[118:119]
	v_add_f64_e32 v[12:13], v[12:13], v[124:125]
	v_fmac_f64_e32 v[90:91], v[10:11], v[136:137]
	v_fma_f64 v[94:95], v[8:9], v[136:137], -v[84:85]
	v_fmac_f64_e32 v[88:89], v[110:111], v[100:101]
	v_fma_f64 v[92:93], v[108:109], v[100:101], -v[92:93]
	v_add_f64_e32 v[4:5], v[4:5], v[86:87]
	v_add_f64_e32 v[12:13], v[12:13], v[116:117]
	ds_load_b128 v[8:11], v2 offset:1056
	ds_load_b128 v[84:87], v2 offset:1072
	s_wait_loadcnt_dscnt 0x301
	v_mul_f64_e32 v[102:103], v[8:9], v[122:123]
	v_mul_f64_e32 v[116:117], v[10:11], v[122:123]
	v_add_f64_e32 v[4:5], v[4:5], v[94:95]
	v_add_f64_e32 v[12:13], v[12:13], v[90:91]
	s_wait_loadcnt_dscnt 0x200
	v_mul_f64_e32 v[90:91], v[84:85], v[98:99]
	v_mul_f64_e32 v[94:95], v[86:87], v[98:99]
	v_fmac_f64_e32 v[102:103], v[10:11], v[120:121]
	v_fma_f64 v[98:99], v[8:9], v[120:121], -v[116:117]
	v_add_f64_e32 v[92:93], v[4:5], v[92:93]
	v_add_f64_e32 v[12:13], v[12:13], v[88:89]
	ds_load_b128 v[8:11], v2 offset:1088
	ds_load_b128 v[2:5], v2 offset:1104
	v_fmac_f64_e32 v[90:91], v[86:87], v[96:97]
	v_fma_f64 v[84:85], v[84:85], v[96:97], -v[94:95]
	s_wait_loadcnt_dscnt 0x101
	v_mul_f64_e32 v[88:89], v[8:9], v[114:115]
	v_mul_f64_e32 v[100:101], v[10:11], v[114:115]
	s_wait_loadcnt_dscnt 0x0
	v_mul_f64_e32 v[94:95], v[4:5], v[106:107]
	v_add_f64_e32 v[86:87], v[92:93], v[98:99]
	v_add_f64_e32 v[12:13], v[12:13], v[102:103]
	v_mul_f64_e32 v[92:93], v[2:3], v[106:107]
	v_fmac_f64_e32 v[88:89], v[10:11], v[112:113]
	v_fma_f64 v[8:9], v[8:9], v[112:113], -v[100:101]
	v_fma_f64 v[2:3], v[2:3], v[104:105], -v[94:95]
	v_add_f64_e32 v[10:11], v[86:87], v[84:85]
	v_add_f64_e32 v[12:13], v[12:13], v[90:91]
	v_fmac_f64_e32 v[92:93], v[4:5], v[104:105]
	s_delay_alu instid0(VALU_DEP_3) | instskip(NEXT) | instid1(VALU_DEP_3)
	v_add_f64_e32 v[4:5], v[10:11], v[8:9]
	v_add_f64_e32 v[8:9], v[12:13], v[88:89]
	s_delay_alu instid0(VALU_DEP_2) | instskip(NEXT) | instid1(VALU_DEP_2)
	v_add_f64_e32 v[2:3], v[4:5], v[2:3]
	v_add_f64_e32 v[4:5], v[8:9], v[92:93]
	s_delay_alu instid0(VALU_DEP_2) | instskip(NEXT) | instid1(VALU_DEP_2)
	v_add_f64_e64 v[2:3], v[132:133], -v[2:3]
	v_add_f64_e64 v[4:5], v[134:135], -v[4:5]
	scratch_store_b128 off, v[2:5], off offset:192
	s_wait_xcnt 0x0
	v_cmpx_lt_u32_e32 11, v1
	s_cbranch_execz .LBB34_201
; %bb.200:
	scratch_load_b128 v[2:5], off, s42
	v_mov_b32_e32 v8, 0
	s_delay_alu instid0(VALU_DEP_1)
	v_dual_mov_b32 v9, v8 :: v_dual_mov_b32 v10, v8
	v_mov_b32_e32 v11, v8
	scratch_store_b128 off, v[8:11], off offset:176
	s_wait_loadcnt 0x0
	ds_store_b128 v6, v[2:5]
.LBB34_201:
	s_wait_xcnt 0x0
	s_or_b32 exec_lo, exec_lo, s2
	s_wait_storecnt_dscnt 0x0
	s_barrier_signal -1
	s_barrier_wait -1
	s_clause 0x9
	scratch_load_b128 v[8:11], off, off offset:192
	scratch_load_b128 v[84:87], off, off offset:208
	;; [unrolled: 1-line block ×10, first 2 shown]
	v_mov_b32_e32 v2, 0
	s_mov_b32 s2, exec_lo
	ds_load_b128 v[120:123], v2 offset:752
	s_clause 0x2
	scratch_load_b128 v[124:127], off, off offset:352
	scratch_load_b128 v[128:131], off, off offset:176
	;; [unrolled: 1-line block ×3, first 2 shown]
	s_wait_loadcnt_dscnt 0xc00
	v_mul_f64_e32 v[4:5], v[122:123], v[10:11]
	v_mul_f64_e32 v[144:145], v[120:121], v[10:11]
	ds_load_b128 v[132:135], v2 offset:768
	scratch_load_b128 v[10:13], off, off offset:368
	ds_load_b128 v[140:143], v2 offset:800
	v_fma_f64 v[4:5], v[120:121], v[8:9], -v[4:5]
	v_fmac_f64_e32 v[144:145], v[122:123], v[8:9]
	ds_load_b128 v[120:123], v2 offset:784
	s_wait_loadcnt_dscnt 0xc02
	v_mul_f64_e32 v[146:147], v[132:133], v[86:87]
	v_mul_f64_e32 v[86:87], v[134:135], v[86:87]
	s_wait_loadcnt_dscnt 0xb00
	v_mul_f64_e32 v[8:9], v[120:121], v[90:91]
	v_mul_f64_e32 v[90:91], v[122:123], v[90:91]
	v_add_f64_e32 v[4:5], 0, v[4:5]
	v_fmac_f64_e32 v[146:147], v[134:135], v[84:85]
	v_fma_f64 v[132:133], v[132:133], v[84:85], -v[86:87]
	v_add_f64_e32 v[134:135], 0, v[144:145]
	scratch_load_b128 v[84:87], off, off offset:400
	v_fmac_f64_e32 v[8:9], v[122:123], v[88:89]
	v_fma_f64 v[148:149], v[120:121], v[88:89], -v[90:91]
	ds_load_b128 v[88:91], v2 offset:816
	s_wait_loadcnt 0xb
	v_mul_f64_e32 v[144:145], v[140:141], v[94:95]
	v_mul_f64_e32 v[94:95], v[142:143], v[94:95]
	scratch_load_b128 v[120:123], off, off offset:416
	v_add_f64_e32 v[4:5], v[4:5], v[132:133]
	v_add_f64_e32 v[146:147], v[134:135], v[146:147]
	ds_load_b128 v[132:135], v2 offset:832
	s_wait_loadcnt_dscnt 0xb01
	v_mul_f64_e32 v[150:151], v[88:89], v[98:99]
	v_mul_f64_e32 v[98:99], v[90:91], v[98:99]
	v_fmac_f64_e32 v[144:145], v[142:143], v[92:93]
	v_fma_f64 v[140:141], v[140:141], v[92:93], -v[94:95]
	scratch_load_b128 v[92:95], off, off offset:432
	v_add_f64_e32 v[4:5], v[4:5], v[148:149]
	v_add_f64_e32 v[8:9], v[146:147], v[8:9]
	v_fmac_f64_e32 v[150:151], v[90:91], v[96:97]
	v_fma_f64 v[148:149], v[88:89], v[96:97], -v[98:99]
	ds_load_b128 v[88:91], v2 offset:848
	s_wait_loadcnt_dscnt 0xb01
	v_mul_f64_e32 v[146:147], v[132:133], v[102:103]
	v_mul_f64_e32 v[102:103], v[134:135], v[102:103]
	scratch_load_b128 v[96:99], off, off offset:448
	v_add_f64_e32 v[4:5], v[4:5], v[140:141]
	v_add_f64_e32 v[8:9], v[8:9], v[144:145]
	s_wait_loadcnt_dscnt 0xb00
	v_mul_f64_e32 v[144:145], v[88:89], v[106:107]
	v_mul_f64_e32 v[106:107], v[90:91], v[106:107]
	ds_load_b128 v[140:143], v2 offset:864
	v_fmac_f64_e32 v[146:147], v[134:135], v[100:101]
	v_fma_f64 v[132:133], v[132:133], v[100:101], -v[102:103]
	scratch_load_b128 v[100:103], off, off offset:464
	v_add_f64_e32 v[4:5], v[4:5], v[148:149]
	v_add_f64_e32 v[8:9], v[8:9], v[150:151]
	v_fmac_f64_e32 v[144:145], v[90:91], v[104:105]
	v_fma_f64 v[150:151], v[88:89], v[104:105], -v[106:107]
	ds_load_b128 v[88:91], v2 offset:880
	s_wait_loadcnt_dscnt 0xb01
	v_mul_f64_e32 v[148:149], v[140:141], v[110:111]
	v_mul_f64_e32 v[110:111], v[142:143], v[110:111]
	scratch_load_b128 v[104:107], off, off offset:480
	v_add_f64_e32 v[4:5], v[4:5], v[132:133]
	v_add_f64_e32 v[8:9], v[8:9], v[146:147]
	s_wait_loadcnt_dscnt 0xb00
	v_mul_f64_e32 v[146:147], v[88:89], v[114:115]
	v_mul_f64_e32 v[114:115], v[90:91], v[114:115]
	ds_load_b128 v[132:135], v2 offset:896
	;; [unrolled: 18-line block ×3, first 2 shown]
	v_fmac_f64_e32 v[144:145], v[134:135], v[116:117]
	v_fma_f64 v[132:133], v[132:133], v[116:117], -v[118:119]
	scratch_load_b128 v[116:119], off, off offset:528
	v_add_f64_e32 v[4:5], v[4:5], v[150:151]
	v_add_f64_e32 v[8:9], v[8:9], v[146:147]
	v_fmac_f64_e32 v[148:149], v[90:91], v[124:125]
	v_fma_f64 v[150:151], v[88:89], v[124:125], -v[126:127]
	ds_load_b128 v[88:91], v2 offset:944
	s_wait_loadcnt_dscnt 0x901
	v_mul_f64_e32 v[146:147], v[140:141], v[12:13]
	v_mul_f64_e32 v[12:13], v[142:143], v[12:13]
	scratch_load_b128 v[124:127], off, off offset:544
	v_add_f64_e32 v[4:5], v[4:5], v[132:133]
	v_add_f64_e32 v[8:9], v[8:9], v[144:145]
	s_wait_dscnt 0x0
	v_mul_f64_e32 v[144:145], v[88:89], v[138:139]
	v_mul_f64_e32 v[138:139], v[90:91], v[138:139]
	ds_load_b128 v[132:135], v2 offset:960
	v_fmac_f64_e32 v[146:147], v[142:143], v[10:11]
	v_fma_f64 v[10:11], v[140:141], v[10:11], -v[12:13]
	v_add_f64_e32 v[4:5], v[4:5], v[150:151]
	v_add_f64_e32 v[8:9], v[8:9], v[148:149]
	s_wait_loadcnt_dscnt 0x900
	v_mul_f64_e32 v[12:13], v[132:133], v[86:87]
	v_mul_f64_e32 v[140:141], v[134:135], v[86:87]
	v_fmac_f64_e32 v[144:145], v[90:91], v[136:137]
	v_fma_f64 v[90:91], v[88:89], v[136:137], -v[138:139]
	v_add_f64_e32 v[4:5], v[4:5], v[10:11]
	v_add_f64_e32 v[136:137], v[8:9], v[146:147]
	ds_load_b128 v[8:11], v2 offset:976
	ds_load_b128 v[86:89], v2 offset:992
	v_fmac_f64_e32 v[12:13], v[134:135], v[84:85]
	v_fma_f64 v[84:85], v[132:133], v[84:85], -v[140:141]
	s_wait_loadcnt_dscnt 0x801
	v_mul_f64_e32 v[138:139], v[8:9], v[122:123]
	v_mul_f64_e32 v[122:123], v[10:11], v[122:123]
	s_wait_loadcnt_dscnt 0x700
	v_mul_f64_e32 v[132:133], v[86:87], v[94:95]
	v_mul_f64_e32 v[94:95], v[88:89], v[94:95]
	v_add_f64_e32 v[4:5], v[4:5], v[90:91]
	v_add_f64_e32 v[90:91], v[136:137], v[144:145]
	v_fmac_f64_e32 v[138:139], v[10:11], v[120:121]
	v_fma_f64 v[134:135], v[8:9], v[120:121], -v[122:123]
	ds_load_b128 v[8:11], v2 offset:1008
	ds_load_b128 v[120:123], v2 offset:1024
	v_fmac_f64_e32 v[132:133], v[88:89], v[92:93]
	v_fma_f64 v[86:87], v[86:87], v[92:93], -v[94:95]
	v_add_f64_e32 v[4:5], v[4:5], v[84:85]
	v_add_f64_e32 v[12:13], v[90:91], v[12:13]
	s_wait_loadcnt_dscnt 0x601
	v_mul_f64_e32 v[90:91], v[8:9], v[98:99]
	v_mul_f64_e32 v[84:85], v[10:11], v[98:99]
	s_wait_loadcnt_dscnt 0x500
	v_mul_f64_e32 v[88:89], v[120:121], v[102:103]
	v_mul_f64_e32 v[92:93], v[122:123], v[102:103]
	v_add_f64_e32 v[4:5], v[4:5], v[134:135]
	v_add_f64_e32 v[12:13], v[12:13], v[138:139]
	v_fmac_f64_e32 v[90:91], v[10:11], v[96:97]
	v_fma_f64 v[94:95], v[8:9], v[96:97], -v[84:85]
	v_fmac_f64_e32 v[88:89], v[122:123], v[100:101]
	v_fma_f64 v[92:93], v[120:121], v[100:101], -v[92:93]
	v_add_f64_e32 v[4:5], v[4:5], v[86:87]
	v_add_f64_e32 v[12:13], v[12:13], v[132:133]
	ds_load_b128 v[8:11], v2 offset:1040
	ds_load_b128 v[84:87], v2 offset:1056
	s_wait_loadcnt_dscnt 0x401
	v_mul_f64_e32 v[96:97], v[8:9], v[106:107]
	v_mul_f64_e32 v[98:99], v[10:11], v[106:107]
	s_wait_loadcnt_dscnt 0x300
	v_mul_f64_e32 v[100:101], v[86:87], v[110:111]
	v_add_f64_e32 v[4:5], v[4:5], v[94:95]
	v_add_f64_e32 v[12:13], v[12:13], v[90:91]
	v_mul_f64_e32 v[94:95], v[84:85], v[110:111]
	v_fmac_f64_e32 v[96:97], v[10:11], v[104:105]
	v_fma_f64 v[98:99], v[8:9], v[104:105], -v[98:99]
	v_fma_f64 v[84:85], v[84:85], v[108:109], -v[100:101]
	v_add_f64_e32 v[4:5], v[4:5], v[92:93]
	v_add_f64_e32 v[12:13], v[12:13], v[88:89]
	ds_load_b128 v[8:11], v2 offset:1072
	ds_load_b128 v[88:91], v2 offset:1088
	v_fmac_f64_e32 v[94:95], v[86:87], v[108:109]
	s_wait_loadcnt_dscnt 0x201
	v_mul_f64_e32 v[92:93], v[8:9], v[114:115]
	v_mul_f64_e32 v[102:103], v[10:11], v[114:115]
	s_wait_loadcnt_dscnt 0x100
	v_mul_f64_e32 v[86:87], v[88:89], v[118:119]
	v_add_f64_e32 v[4:5], v[4:5], v[98:99]
	v_add_f64_e32 v[12:13], v[12:13], v[96:97]
	v_mul_f64_e32 v[96:97], v[90:91], v[118:119]
	v_fmac_f64_e32 v[92:93], v[10:11], v[112:113]
	v_fma_f64 v[98:99], v[8:9], v[112:113], -v[102:103]
	ds_load_b128 v[8:11], v2 offset:1104
	v_fmac_f64_e32 v[86:87], v[90:91], v[116:117]
	v_add_f64_e32 v[4:5], v[4:5], v[84:85]
	v_add_f64_e32 v[12:13], v[12:13], v[94:95]
	v_fma_f64 v[88:89], v[88:89], v[116:117], -v[96:97]
	s_wait_loadcnt_dscnt 0x0
	v_mul_f64_e32 v[84:85], v[8:9], v[126:127]
	v_mul_f64_e32 v[94:95], v[10:11], v[126:127]
	v_add_f64_e32 v[4:5], v[4:5], v[98:99]
	v_add_f64_e32 v[12:13], v[12:13], v[92:93]
	s_delay_alu instid0(VALU_DEP_4) | instskip(NEXT) | instid1(VALU_DEP_4)
	v_fmac_f64_e32 v[84:85], v[10:11], v[124:125]
	v_fma_f64 v[8:9], v[8:9], v[124:125], -v[94:95]
	s_delay_alu instid0(VALU_DEP_4) | instskip(NEXT) | instid1(VALU_DEP_4)
	v_add_f64_e32 v[4:5], v[4:5], v[88:89]
	v_add_f64_e32 v[10:11], v[12:13], v[86:87]
	s_delay_alu instid0(VALU_DEP_2) | instskip(NEXT) | instid1(VALU_DEP_2)
	v_add_f64_e32 v[4:5], v[4:5], v[8:9]
	v_add_f64_e32 v[10:11], v[10:11], v[84:85]
	s_delay_alu instid0(VALU_DEP_2) | instskip(NEXT) | instid1(VALU_DEP_2)
	v_add_f64_e64 v[8:9], v[128:129], -v[4:5]
	v_add_f64_e64 v[10:11], v[130:131], -v[10:11]
	scratch_store_b128 off, v[8:11], off offset:176
	s_wait_xcnt 0x0
	v_cmpx_lt_u32_e32 10, v1
	s_cbranch_execz .LBB34_203
; %bb.202:
	scratch_load_b128 v[8:11], off, s38
	v_dual_mov_b32 v3, v2 :: v_dual_mov_b32 v4, v2
	v_mov_b32_e32 v5, v2
	scratch_store_b128 off, v[2:5], off offset:160
	s_wait_loadcnt 0x0
	ds_store_b128 v6, v[8:11]
.LBB34_203:
	s_wait_xcnt 0x0
	s_or_b32 exec_lo, exec_lo, s2
	s_wait_storecnt_dscnt 0x0
	s_barrier_signal -1
	s_barrier_wait -1
	s_clause 0x9
	scratch_load_b128 v[8:11], off, off offset:176
	scratch_load_b128 v[84:87], off, off offset:192
	;; [unrolled: 1-line block ×10, first 2 shown]
	ds_load_b128 v[120:123], v2 offset:736
	ds_load_b128 v[128:131], v2 offset:752
	s_clause 0x1
	scratch_load_b128 v[124:127], off, off offset:336
	scratch_load_b128 v[132:135], off, off offset:160
	s_mov_b32 s2, exec_lo
	s_wait_loadcnt_dscnt 0xb01
	v_mul_f64_e32 v[4:5], v[122:123], v[10:11]
	v_mul_f64_e32 v[144:145], v[120:121], v[10:11]
	scratch_load_b128 v[10:13], off, off offset:352
	s_wait_loadcnt_dscnt 0xb00
	v_mul_f64_e32 v[146:147], v[128:129], v[86:87]
	v_mul_f64_e32 v[86:87], v[130:131], v[86:87]
	v_fma_f64 v[4:5], v[120:121], v[8:9], -v[4:5]
	v_fmac_f64_e32 v[144:145], v[122:123], v[8:9]
	ds_load_b128 v[120:123], v2 offset:768
	ds_load_b128 v[136:139], v2 offset:784
	scratch_load_b128 v[140:143], off, off offset:368
	v_fmac_f64_e32 v[146:147], v[130:131], v[84:85]
	v_fma_f64 v[128:129], v[128:129], v[84:85], -v[86:87]
	scratch_load_b128 v[84:87], off, off offset:384
	s_wait_loadcnt_dscnt 0xc01
	v_mul_f64_e32 v[8:9], v[120:121], v[90:91]
	v_mul_f64_e32 v[90:91], v[122:123], v[90:91]
	v_add_f64_e32 v[4:5], 0, v[4:5]
	v_add_f64_e32 v[130:131], 0, v[144:145]
	s_wait_loadcnt_dscnt 0xb00
	v_mul_f64_e32 v[144:145], v[136:137], v[94:95]
	v_mul_f64_e32 v[94:95], v[138:139], v[94:95]
	v_fmac_f64_e32 v[8:9], v[122:123], v[88:89]
	v_fma_f64 v[148:149], v[120:121], v[88:89], -v[90:91]
	ds_load_b128 v[88:91], v2 offset:800
	ds_load_b128 v[120:123], v2 offset:816
	v_add_f64_e32 v[4:5], v[4:5], v[128:129]
	v_add_f64_e32 v[146:147], v[130:131], v[146:147]
	scratch_load_b128 v[128:131], off, off offset:400
	v_fmac_f64_e32 v[144:145], v[138:139], v[92:93]
	v_fma_f64 v[136:137], v[136:137], v[92:93], -v[94:95]
	scratch_load_b128 v[92:95], off, off offset:416
	s_wait_loadcnt_dscnt 0xc01
	v_mul_f64_e32 v[150:151], v[88:89], v[98:99]
	v_mul_f64_e32 v[98:99], v[90:91], v[98:99]
	v_add_f64_e32 v[4:5], v[4:5], v[148:149]
	v_add_f64_e32 v[8:9], v[146:147], v[8:9]
	s_wait_loadcnt_dscnt 0xb00
	v_mul_f64_e32 v[146:147], v[120:121], v[102:103]
	v_mul_f64_e32 v[102:103], v[122:123], v[102:103]
	v_fmac_f64_e32 v[150:151], v[90:91], v[96:97]
	v_fma_f64 v[148:149], v[88:89], v[96:97], -v[98:99]
	ds_load_b128 v[88:91], v2 offset:832
	ds_load_b128 v[96:99], v2 offset:848
	v_add_f64_e32 v[4:5], v[4:5], v[136:137]
	v_add_f64_e32 v[8:9], v[8:9], v[144:145]
	scratch_load_b128 v[136:139], off, off offset:432
	s_wait_loadcnt_dscnt 0xb01
	v_mul_f64_e32 v[144:145], v[88:89], v[106:107]
	v_mul_f64_e32 v[106:107], v[90:91], v[106:107]
	v_fmac_f64_e32 v[146:147], v[122:123], v[100:101]
	v_fma_f64 v[120:121], v[120:121], v[100:101], -v[102:103]
	scratch_load_b128 v[100:103], off, off offset:448
	v_add_f64_e32 v[4:5], v[4:5], v[148:149]
	v_add_f64_e32 v[8:9], v[8:9], v[150:151]
	s_wait_loadcnt_dscnt 0xb00
	v_mul_f64_e32 v[148:149], v[96:97], v[110:111]
	v_mul_f64_e32 v[110:111], v[98:99], v[110:111]
	v_fmac_f64_e32 v[144:145], v[90:91], v[104:105]
	v_fma_f64 v[150:151], v[88:89], v[104:105], -v[106:107]
	ds_load_b128 v[88:91], v2 offset:864
	ds_load_b128 v[104:107], v2 offset:880
	v_add_f64_e32 v[4:5], v[4:5], v[120:121]
	v_add_f64_e32 v[8:9], v[8:9], v[146:147]
	scratch_load_b128 v[120:123], off, off offset:464
	s_wait_loadcnt_dscnt 0xb01
	v_mul_f64_e32 v[146:147], v[88:89], v[114:115]
	v_mul_f64_e32 v[114:115], v[90:91], v[114:115]
	v_fmac_f64_e32 v[148:149], v[98:99], v[108:109]
	v_fma_f64 v[108:109], v[96:97], v[108:109], -v[110:111]
	scratch_load_b128 v[96:99], off, off offset:480
	v_add_f64_e32 v[4:5], v[4:5], v[150:151]
	v_add_f64_e32 v[8:9], v[8:9], v[144:145]
	s_wait_loadcnt_dscnt 0xb00
	v_mul_f64_e32 v[144:145], v[104:105], v[118:119]
	v_mul_f64_e32 v[118:119], v[106:107], v[118:119]
	v_fmac_f64_e32 v[146:147], v[90:91], v[112:113]
	v_fma_f64 v[150:151], v[88:89], v[112:113], -v[114:115]
	v_add_f64_e32 v[4:5], v[4:5], v[108:109]
	v_add_f64_e32 v[8:9], v[8:9], v[148:149]
	ds_load_b128 v[88:91], v2 offset:896
	ds_load_b128 v[108:111], v2 offset:912
	scratch_load_b128 v[112:115], off, off offset:496
	v_fmac_f64_e32 v[144:145], v[106:107], v[116:117]
	v_fma_f64 v[116:117], v[104:105], v[116:117], -v[118:119]
	scratch_load_b128 v[104:107], off, off offset:512
	s_wait_loadcnt_dscnt 0xc01
	v_mul_f64_e32 v[148:149], v[88:89], v[126:127]
	v_mul_f64_e32 v[126:127], v[90:91], v[126:127]
	v_add_f64_e32 v[4:5], v[4:5], v[150:151]
	v_add_f64_e32 v[8:9], v[8:9], v[146:147]
	s_wait_loadcnt_dscnt 0xa00
	v_mul_f64_e32 v[146:147], v[108:109], v[12:13]
	v_mul_f64_e32 v[12:13], v[110:111], v[12:13]
	v_fmac_f64_e32 v[148:149], v[90:91], v[124:125]
	v_fma_f64 v[150:151], v[88:89], v[124:125], -v[126:127]
	v_add_f64_e32 v[4:5], v[4:5], v[116:117]
	v_add_f64_e32 v[8:9], v[8:9], v[144:145]
	ds_load_b128 v[88:91], v2 offset:928
	ds_load_b128 v[116:119], v2 offset:944
	scratch_load_b128 v[124:127], off, off offset:528
	v_fmac_f64_e32 v[146:147], v[110:111], v[10:11]
	v_fma_f64 v[12:13], v[108:109], v[10:11], -v[12:13]
	s_wait_loadcnt_dscnt 0xa01
	v_mul_f64_e32 v[144:145], v[88:89], v[142:143]
	v_mul_f64_e32 v[142:143], v[90:91], v[142:143]
	v_add_f64_e32 v[4:5], v[4:5], v[150:151]
	v_add_f64_e32 v[108:109], v[8:9], v[148:149]
	scratch_load_b128 v[8:11], off, off offset:544
	s_wait_loadcnt_dscnt 0xa00
	v_mul_f64_e32 v[148:149], v[116:117], v[86:87]
	v_mul_f64_e32 v[150:151], v[118:119], v[86:87]
	v_fmac_f64_e32 v[144:145], v[90:91], v[140:141]
	v_fma_f64 v[90:91], v[88:89], v[140:141], -v[142:143]
	v_add_f64_e32 v[4:5], v[4:5], v[12:13]
	v_add_f64_e32 v[12:13], v[108:109], v[146:147]
	ds_load_b128 v[86:89], v2 offset:960
	ds_load_b128 v[108:111], v2 offset:976
	v_fmac_f64_e32 v[148:149], v[118:119], v[84:85]
	v_fma_f64 v[84:85], v[116:117], v[84:85], -v[150:151]
	s_wait_loadcnt_dscnt 0x901
	v_mul_f64_e32 v[140:141], v[86:87], v[130:131]
	v_mul_f64_e32 v[130:131], v[88:89], v[130:131]
	s_wait_loadcnt_dscnt 0x800
	v_mul_f64_e32 v[116:117], v[108:109], v[94:95]
	v_mul_f64_e32 v[94:95], v[110:111], v[94:95]
	v_add_f64_e32 v[4:5], v[4:5], v[90:91]
	v_add_f64_e32 v[12:13], v[12:13], v[144:145]
	v_fmac_f64_e32 v[140:141], v[88:89], v[128:129]
	v_fma_f64 v[118:119], v[86:87], v[128:129], -v[130:131]
	v_fmac_f64_e32 v[116:117], v[110:111], v[92:93]
	v_fma_f64 v[92:93], v[108:109], v[92:93], -v[94:95]
	v_add_f64_e32 v[4:5], v[4:5], v[84:85]
	v_add_f64_e32 v[12:13], v[12:13], v[148:149]
	ds_load_b128 v[84:87], v2 offset:992
	ds_load_b128 v[88:91], v2 offset:1008
	s_wait_loadcnt_dscnt 0x701
	v_mul_f64_e32 v[128:129], v[84:85], v[138:139]
	v_mul_f64_e32 v[130:131], v[86:87], v[138:139]
	s_wait_loadcnt_dscnt 0x600
	v_mul_f64_e32 v[108:109], v[88:89], v[102:103]
	v_mul_f64_e32 v[102:103], v[90:91], v[102:103]
	v_add_f64_e32 v[4:5], v[4:5], v[118:119]
	v_add_f64_e32 v[12:13], v[12:13], v[140:141]
	v_fmac_f64_e32 v[128:129], v[86:87], v[136:137]
	v_fma_f64 v[110:111], v[84:85], v[136:137], -v[130:131]
	v_fmac_f64_e32 v[108:109], v[90:91], v[100:101]
	v_fma_f64 v[88:89], v[88:89], v[100:101], -v[102:103]
	v_add_f64_e32 v[4:5], v[4:5], v[92:93]
	v_add_f64_e32 v[12:13], v[12:13], v[116:117]
	ds_load_b128 v[84:87], v2 offset:1024
	ds_load_b128 v[92:95], v2 offset:1040
	;; [unrolled: 16-line block ×4, first 2 shown]
	s_wait_loadcnt_dscnt 0x101
	v_mul_f64_e32 v[100:101], v[84:85], v[126:127]
	v_mul_f64_e32 v[102:103], v[86:87], v[126:127]
	v_add_f64_e32 v[90:91], v[92:93], v[98:99]
	v_add_f64_e32 v[12:13], v[12:13], v[108:109]
	s_wait_loadcnt_dscnt 0x0
	v_mul_f64_e32 v[92:93], v[2:3], v[10:11]
	v_mul_f64_e32 v[10:11], v[4:5], v[10:11]
	v_fmac_f64_e32 v[100:101], v[86:87], v[124:125]
	v_fma_f64 v[84:85], v[84:85], v[124:125], -v[102:103]
	v_add_f64_e32 v[86:87], v[90:91], v[88:89]
	v_add_f64_e32 v[12:13], v[12:13], v[94:95]
	v_fmac_f64_e32 v[92:93], v[4:5], v[8:9]
	v_fma_f64 v[2:3], v[2:3], v[8:9], -v[10:11]
	s_delay_alu instid0(VALU_DEP_4) | instskip(NEXT) | instid1(VALU_DEP_4)
	v_add_f64_e32 v[4:5], v[86:87], v[84:85]
	v_add_f64_e32 v[8:9], v[12:13], v[100:101]
	s_delay_alu instid0(VALU_DEP_2) | instskip(NEXT) | instid1(VALU_DEP_2)
	v_add_f64_e32 v[2:3], v[4:5], v[2:3]
	v_add_f64_e32 v[4:5], v[8:9], v[92:93]
	s_delay_alu instid0(VALU_DEP_2) | instskip(NEXT) | instid1(VALU_DEP_2)
	v_add_f64_e64 v[2:3], v[132:133], -v[2:3]
	v_add_f64_e64 v[4:5], v[134:135], -v[4:5]
	scratch_store_b128 off, v[2:5], off offset:160
	s_wait_xcnt 0x0
	v_cmpx_lt_u32_e32 9, v1
	s_cbranch_execz .LBB34_205
; %bb.204:
	scratch_load_b128 v[2:5], off, s36
	v_mov_b32_e32 v8, 0
	s_delay_alu instid0(VALU_DEP_1)
	v_dual_mov_b32 v9, v8 :: v_dual_mov_b32 v10, v8
	v_mov_b32_e32 v11, v8
	scratch_store_b128 off, v[8:11], off offset:144
	s_wait_loadcnt 0x0
	ds_store_b128 v6, v[2:5]
.LBB34_205:
	s_wait_xcnt 0x0
	s_or_b32 exec_lo, exec_lo, s2
	s_wait_storecnt_dscnt 0x0
	s_barrier_signal -1
	s_barrier_wait -1
	s_clause 0x9
	scratch_load_b128 v[8:11], off, off offset:160
	scratch_load_b128 v[84:87], off, off offset:176
	;; [unrolled: 1-line block ×10, first 2 shown]
	v_mov_b32_e32 v2, 0
	s_mov_b32 s2, exec_lo
	ds_load_b128 v[120:123], v2 offset:720
	s_clause 0x2
	scratch_load_b128 v[124:127], off, off offset:320
	scratch_load_b128 v[128:131], off, off offset:144
	;; [unrolled: 1-line block ×3, first 2 shown]
	s_wait_loadcnt_dscnt 0xc00
	v_mul_f64_e32 v[4:5], v[122:123], v[10:11]
	v_mul_f64_e32 v[144:145], v[120:121], v[10:11]
	ds_load_b128 v[132:135], v2 offset:736
	scratch_load_b128 v[10:13], off, off offset:336
	ds_load_b128 v[140:143], v2 offset:768
	v_fma_f64 v[4:5], v[120:121], v[8:9], -v[4:5]
	v_fmac_f64_e32 v[144:145], v[122:123], v[8:9]
	ds_load_b128 v[120:123], v2 offset:752
	s_wait_loadcnt_dscnt 0xc02
	v_mul_f64_e32 v[146:147], v[132:133], v[86:87]
	v_mul_f64_e32 v[86:87], v[134:135], v[86:87]
	s_wait_loadcnt_dscnt 0xb00
	v_mul_f64_e32 v[8:9], v[120:121], v[90:91]
	v_mul_f64_e32 v[90:91], v[122:123], v[90:91]
	v_add_f64_e32 v[4:5], 0, v[4:5]
	v_fmac_f64_e32 v[146:147], v[134:135], v[84:85]
	v_fma_f64 v[132:133], v[132:133], v[84:85], -v[86:87]
	v_add_f64_e32 v[134:135], 0, v[144:145]
	scratch_load_b128 v[84:87], off, off offset:368
	v_fmac_f64_e32 v[8:9], v[122:123], v[88:89]
	v_fma_f64 v[148:149], v[120:121], v[88:89], -v[90:91]
	ds_load_b128 v[88:91], v2 offset:784
	s_wait_loadcnt 0xb
	v_mul_f64_e32 v[144:145], v[140:141], v[94:95]
	v_mul_f64_e32 v[94:95], v[142:143], v[94:95]
	scratch_load_b128 v[120:123], off, off offset:384
	v_add_f64_e32 v[4:5], v[4:5], v[132:133]
	v_add_f64_e32 v[146:147], v[134:135], v[146:147]
	ds_load_b128 v[132:135], v2 offset:800
	s_wait_loadcnt_dscnt 0xb01
	v_mul_f64_e32 v[150:151], v[88:89], v[98:99]
	v_mul_f64_e32 v[98:99], v[90:91], v[98:99]
	v_fmac_f64_e32 v[144:145], v[142:143], v[92:93]
	v_fma_f64 v[140:141], v[140:141], v[92:93], -v[94:95]
	scratch_load_b128 v[92:95], off, off offset:400
	v_add_f64_e32 v[4:5], v[4:5], v[148:149]
	v_add_f64_e32 v[8:9], v[146:147], v[8:9]
	v_fmac_f64_e32 v[150:151], v[90:91], v[96:97]
	v_fma_f64 v[148:149], v[88:89], v[96:97], -v[98:99]
	ds_load_b128 v[88:91], v2 offset:816
	s_wait_loadcnt_dscnt 0xb01
	v_mul_f64_e32 v[146:147], v[132:133], v[102:103]
	v_mul_f64_e32 v[102:103], v[134:135], v[102:103]
	scratch_load_b128 v[96:99], off, off offset:416
	v_add_f64_e32 v[4:5], v[4:5], v[140:141]
	v_add_f64_e32 v[8:9], v[8:9], v[144:145]
	s_wait_loadcnt_dscnt 0xb00
	v_mul_f64_e32 v[144:145], v[88:89], v[106:107]
	v_mul_f64_e32 v[106:107], v[90:91], v[106:107]
	ds_load_b128 v[140:143], v2 offset:832
	v_fmac_f64_e32 v[146:147], v[134:135], v[100:101]
	v_fma_f64 v[132:133], v[132:133], v[100:101], -v[102:103]
	scratch_load_b128 v[100:103], off, off offset:432
	v_add_f64_e32 v[4:5], v[4:5], v[148:149]
	v_add_f64_e32 v[8:9], v[8:9], v[150:151]
	v_fmac_f64_e32 v[144:145], v[90:91], v[104:105]
	v_fma_f64 v[150:151], v[88:89], v[104:105], -v[106:107]
	ds_load_b128 v[88:91], v2 offset:848
	s_wait_loadcnt_dscnt 0xb01
	v_mul_f64_e32 v[148:149], v[140:141], v[110:111]
	v_mul_f64_e32 v[110:111], v[142:143], v[110:111]
	scratch_load_b128 v[104:107], off, off offset:448
	v_add_f64_e32 v[4:5], v[4:5], v[132:133]
	v_add_f64_e32 v[8:9], v[8:9], v[146:147]
	s_wait_loadcnt_dscnt 0xb00
	v_mul_f64_e32 v[146:147], v[88:89], v[114:115]
	v_mul_f64_e32 v[114:115], v[90:91], v[114:115]
	ds_load_b128 v[132:135], v2 offset:864
	;; [unrolled: 18-line block ×3, first 2 shown]
	v_fmac_f64_e32 v[144:145], v[134:135], v[116:117]
	v_fma_f64 v[132:133], v[132:133], v[116:117], -v[118:119]
	scratch_load_b128 v[116:119], off, off offset:496
	v_add_f64_e32 v[4:5], v[4:5], v[150:151]
	v_add_f64_e32 v[8:9], v[8:9], v[146:147]
	v_fmac_f64_e32 v[148:149], v[90:91], v[124:125]
	v_fma_f64 v[150:151], v[88:89], v[124:125], -v[126:127]
	ds_load_b128 v[88:91], v2 offset:912
	s_wait_loadcnt_dscnt 0x901
	v_mul_f64_e32 v[146:147], v[140:141], v[12:13]
	v_mul_f64_e32 v[12:13], v[142:143], v[12:13]
	scratch_load_b128 v[124:127], off, off offset:512
	v_add_f64_e32 v[4:5], v[4:5], v[132:133]
	v_add_f64_e32 v[8:9], v[8:9], v[144:145]
	s_wait_dscnt 0x0
	v_mul_f64_e32 v[144:145], v[88:89], v[138:139]
	v_mul_f64_e32 v[138:139], v[90:91], v[138:139]
	ds_load_b128 v[132:135], v2 offset:928
	v_fmac_f64_e32 v[146:147], v[142:143], v[10:11]
	v_fma_f64 v[12:13], v[140:141], v[10:11], -v[12:13]
	v_add_f64_e32 v[4:5], v[4:5], v[150:151]
	v_add_f64_e32 v[140:141], v[8:9], v[148:149]
	scratch_load_b128 v[8:11], off, off offset:528
	v_fmac_f64_e32 v[144:145], v[90:91], v[136:137]
	v_fma_f64 v[90:91], v[88:89], v[136:137], -v[138:139]
	scratch_load_b128 v[136:139], off, off offset:544
	v_add_f64_e32 v[4:5], v[4:5], v[12:13]
	v_add_f64_e32 v[12:13], v[140:141], v[146:147]
	ds_load_b128 v[140:143], v2 offset:960
	s_wait_loadcnt_dscnt 0xb01
	v_mul_f64_e32 v[148:149], v[132:133], v[86:87]
	v_mul_f64_e32 v[150:151], v[134:135], v[86:87]
	ds_load_b128 v[86:89], v2 offset:944
	s_wait_loadcnt_dscnt 0xa00
	v_mul_f64_e32 v[146:147], v[86:87], v[122:123]
	v_mul_f64_e32 v[122:123], v[88:89], v[122:123]
	v_add_f64_e32 v[4:5], v[4:5], v[90:91]
	v_add_f64_e32 v[12:13], v[12:13], v[144:145]
	v_fmac_f64_e32 v[148:149], v[134:135], v[84:85]
	v_fma_f64 v[84:85], v[132:133], v[84:85], -v[150:151]
	s_wait_loadcnt 0x9
	v_mul_f64_e32 v[132:133], v[140:141], v[94:95]
	v_mul_f64_e32 v[94:95], v[142:143], v[94:95]
	v_fmac_f64_e32 v[146:147], v[88:89], v[120:121]
	v_fma_f64 v[120:121], v[86:87], v[120:121], -v[122:123]
	v_add_f64_e32 v[12:13], v[12:13], v[148:149]
	v_add_f64_e32 v[4:5], v[4:5], v[84:85]
	ds_load_b128 v[84:87], v2 offset:976
	ds_load_b128 v[88:91], v2 offset:992
	v_fmac_f64_e32 v[132:133], v[142:143], v[92:93]
	v_fma_f64 v[92:93], v[140:141], v[92:93], -v[94:95]
	s_wait_loadcnt_dscnt 0x801
	v_mul_f64_e32 v[122:123], v[84:85], v[98:99]
	v_mul_f64_e32 v[98:99], v[86:87], v[98:99]
	v_add_f64_e32 v[12:13], v[12:13], v[146:147]
	v_add_f64_e32 v[4:5], v[4:5], v[120:121]
	s_wait_loadcnt_dscnt 0x700
	v_mul_f64_e32 v[120:121], v[88:89], v[102:103]
	v_mul_f64_e32 v[102:103], v[90:91], v[102:103]
	v_fmac_f64_e32 v[122:123], v[86:87], v[96:97]
	v_fma_f64 v[96:97], v[84:85], v[96:97], -v[98:99]
	v_add_f64_e32 v[12:13], v[12:13], v[132:133]
	v_add_f64_e32 v[4:5], v[4:5], v[92:93]
	ds_load_b128 v[84:87], v2 offset:1008
	ds_load_b128 v[92:95], v2 offset:1024
	v_fmac_f64_e32 v[120:121], v[90:91], v[100:101]
	v_fma_f64 v[88:89], v[88:89], v[100:101], -v[102:103]
	s_wait_loadcnt_dscnt 0x601
	v_mul_f64_e32 v[98:99], v[84:85], v[106:107]
	v_mul_f64_e32 v[106:107], v[86:87], v[106:107]
	s_wait_loadcnt_dscnt 0x500
	v_mul_f64_e32 v[100:101], v[94:95], v[110:111]
	v_add_f64_e32 v[12:13], v[12:13], v[122:123]
	v_add_f64_e32 v[4:5], v[4:5], v[96:97]
	v_mul_f64_e32 v[96:97], v[92:93], v[110:111]
	v_fmac_f64_e32 v[98:99], v[86:87], v[104:105]
	v_fma_f64 v[102:103], v[84:85], v[104:105], -v[106:107]
	v_fma_f64 v[92:93], v[92:93], v[108:109], -v[100:101]
	v_add_f64_e32 v[12:13], v[12:13], v[120:121]
	v_add_f64_e32 v[4:5], v[4:5], v[88:89]
	ds_load_b128 v[84:87], v2 offset:1040
	ds_load_b128 v[88:91], v2 offset:1056
	v_fmac_f64_e32 v[96:97], v[94:95], v[108:109]
	s_wait_loadcnt_dscnt 0x401
	v_mul_f64_e32 v[104:105], v[84:85], v[114:115]
	v_mul_f64_e32 v[106:107], v[86:87], v[114:115]
	s_wait_loadcnt_dscnt 0x300
	v_mul_f64_e32 v[100:101], v[90:91], v[118:119]
	v_add_f64_e32 v[12:13], v[12:13], v[98:99]
	v_add_f64_e32 v[4:5], v[4:5], v[102:103]
	v_mul_f64_e32 v[98:99], v[88:89], v[118:119]
	v_fmac_f64_e32 v[104:105], v[86:87], v[112:113]
	v_fma_f64 v[102:103], v[84:85], v[112:113], -v[106:107]
	v_fma_f64 v[88:89], v[88:89], v[116:117], -v[100:101]
	v_add_f64_e32 v[12:13], v[12:13], v[96:97]
	v_add_f64_e32 v[4:5], v[4:5], v[92:93]
	ds_load_b128 v[84:87], v2 offset:1072
	ds_load_b128 v[92:95], v2 offset:1088
	v_fmac_f64_e32 v[98:99], v[90:91], v[116:117]
	s_wait_loadcnt_dscnt 0x201
	v_mul_f64_e32 v[96:97], v[84:85], v[126:127]
	v_mul_f64_e32 v[106:107], v[86:87], v[126:127]
	s_wait_loadcnt_dscnt 0x100
	v_mul_f64_e32 v[90:91], v[92:93], v[10:11]
	v_add_f64_e32 v[12:13], v[12:13], v[104:105]
	v_add_f64_e32 v[4:5], v[4:5], v[102:103]
	v_mul_f64_e32 v[100:101], v[94:95], v[10:11]
	v_fmac_f64_e32 v[96:97], v[86:87], v[124:125]
	v_fma_f64 v[84:85], v[84:85], v[124:125], -v[106:107]
	v_fmac_f64_e32 v[90:91], v[94:95], v[8:9]
	v_add_f64_e32 v[86:87], v[12:13], v[98:99]
	v_add_f64_e32 v[4:5], v[4:5], v[88:89]
	ds_load_b128 v[10:13], v2 offset:1104
	v_fma_f64 v[8:9], v[92:93], v[8:9], -v[100:101]
	s_wait_loadcnt_dscnt 0x0
	v_mul_f64_e32 v[88:89], v[10:11], v[138:139]
	v_mul_f64_e32 v[98:99], v[12:13], v[138:139]
	v_add_f64_e32 v[4:5], v[4:5], v[84:85]
	v_add_f64_e32 v[84:85], v[86:87], v[96:97]
	s_delay_alu instid0(VALU_DEP_4) | instskip(NEXT) | instid1(VALU_DEP_4)
	v_fmac_f64_e32 v[88:89], v[12:13], v[136:137]
	v_fma_f64 v[10:11], v[10:11], v[136:137], -v[98:99]
	s_delay_alu instid0(VALU_DEP_4) | instskip(NEXT) | instid1(VALU_DEP_4)
	v_add_f64_e32 v[4:5], v[4:5], v[8:9]
	v_add_f64_e32 v[8:9], v[84:85], v[90:91]
	s_delay_alu instid0(VALU_DEP_2) | instskip(NEXT) | instid1(VALU_DEP_2)
	v_add_f64_e32 v[4:5], v[4:5], v[10:11]
	v_add_f64_e32 v[10:11], v[8:9], v[88:89]
	s_delay_alu instid0(VALU_DEP_2) | instskip(NEXT) | instid1(VALU_DEP_2)
	v_add_f64_e64 v[8:9], v[128:129], -v[4:5]
	v_add_f64_e64 v[10:11], v[130:131], -v[10:11]
	scratch_store_b128 off, v[8:11], off offset:144
	s_wait_xcnt 0x0
	v_cmpx_lt_u32_e32 8, v1
	s_cbranch_execz .LBB34_207
; %bb.206:
	scratch_load_b128 v[8:11], off, s35
	v_dual_mov_b32 v3, v2 :: v_dual_mov_b32 v4, v2
	v_mov_b32_e32 v5, v2
	scratch_store_b128 off, v[2:5], off offset:128
	s_wait_loadcnt 0x0
	ds_store_b128 v6, v[8:11]
.LBB34_207:
	s_wait_xcnt 0x0
	s_or_b32 exec_lo, exec_lo, s2
	s_wait_storecnt_dscnt 0x0
	s_barrier_signal -1
	s_barrier_wait -1
	s_clause 0x9
	scratch_load_b128 v[8:11], off, off offset:144
	scratch_load_b128 v[84:87], off, off offset:160
	;; [unrolled: 1-line block ×10, first 2 shown]
	ds_load_b128 v[120:123], v2 offset:704
	ds_load_b128 v[128:131], v2 offset:720
	s_clause 0x1
	scratch_load_b128 v[124:127], off, off offset:304
	scratch_load_b128 v[132:135], off, off offset:128
	s_mov_b32 s2, exec_lo
	s_wait_loadcnt_dscnt 0xb01
	v_mul_f64_e32 v[4:5], v[122:123], v[10:11]
	v_mul_f64_e32 v[144:145], v[120:121], v[10:11]
	scratch_load_b128 v[10:13], off, off offset:320
	s_wait_loadcnt_dscnt 0xb00
	v_mul_f64_e32 v[146:147], v[128:129], v[86:87]
	v_mul_f64_e32 v[86:87], v[130:131], v[86:87]
	v_fma_f64 v[4:5], v[120:121], v[8:9], -v[4:5]
	v_fmac_f64_e32 v[144:145], v[122:123], v[8:9]
	ds_load_b128 v[120:123], v2 offset:736
	ds_load_b128 v[136:139], v2 offset:752
	scratch_load_b128 v[140:143], off, off offset:336
	v_fmac_f64_e32 v[146:147], v[130:131], v[84:85]
	v_fma_f64 v[128:129], v[128:129], v[84:85], -v[86:87]
	scratch_load_b128 v[84:87], off, off offset:352
	s_wait_loadcnt_dscnt 0xc01
	v_mul_f64_e32 v[8:9], v[120:121], v[90:91]
	v_mul_f64_e32 v[90:91], v[122:123], v[90:91]
	v_add_f64_e32 v[4:5], 0, v[4:5]
	v_add_f64_e32 v[130:131], 0, v[144:145]
	s_wait_loadcnt_dscnt 0xb00
	v_mul_f64_e32 v[144:145], v[136:137], v[94:95]
	v_mul_f64_e32 v[94:95], v[138:139], v[94:95]
	v_fmac_f64_e32 v[8:9], v[122:123], v[88:89]
	v_fma_f64 v[148:149], v[120:121], v[88:89], -v[90:91]
	ds_load_b128 v[88:91], v2 offset:768
	ds_load_b128 v[120:123], v2 offset:784
	v_add_f64_e32 v[4:5], v[4:5], v[128:129]
	v_add_f64_e32 v[146:147], v[130:131], v[146:147]
	scratch_load_b128 v[128:131], off, off offset:368
	v_fmac_f64_e32 v[144:145], v[138:139], v[92:93]
	v_fma_f64 v[136:137], v[136:137], v[92:93], -v[94:95]
	scratch_load_b128 v[92:95], off, off offset:384
	s_wait_loadcnt_dscnt 0xc01
	v_mul_f64_e32 v[150:151], v[88:89], v[98:99]
	v_mul_f64_e32 v[98:99], v[90:91], v[98:99]
	v_add_f64_e32 v[4:5], v[4:5], v[148:149]
	v_add_f64_e32 v[8:9], v[146:147], v[8:9]
	s_wait_loadcnt_dscnt 0xb00
	v_mul_f64_e32 v[146:147], v[120:121], v[102:103]
	v_mul_f64_e32 v[102:103], v[122:123], v[102:103]
	v_fmac_f64_e32 v[150:151], v[90:91], v[96:97]
	v_fma_f64 v[148:149], v[88:89], v[96:97], -v[98:99]
	ds_load_b128 v[88:91], v2 offset:800
	ds_load_b128 v[96:99], v2 offset:816
	v_add_f64_e32 v[4:5], v[4:5], v[136:137]
	v_add_f64_e32 v[8:9], v[8:9], v[144:145]
	scratch_load_b128 v[136:139], off, off offset:400
	s_wait_loadcnt_dscnt 0xb01
	v_mul_f64_e32 v[144:145], v[88:89], v[106:107]
	v_mul_f64_e32 v[106:107], v[90:91], v[106:107]
	v_fmac_f64_e32 v[146:147], v[122:123], v[100:101]
	v_fma_f64 v[120:121], v[120:121], v[100:101], -v[102:103]
	scratch_load_b128 v[100:103], off, off offset:416
	v_add_f64_e32 v[4:5], v[4:5], v[148:149]
	v_add_f64_e32 v[8:9], v[8:9], v[150:151]
	s_wait_loadcnt_dscnt 0xb00
	v_mul_f64_e32 v[148:149], v[96:97], v[110:111]
	v_mul_f64_e32 v[110:111], v[98:99], v[110:111]
	v_fmac_f64_e32 v[144:145], v[90:91], v[104:105]
	v_fma_f64 v[150:151], v[88:89], v[104:105], -v[106:107]
	ds_load_b128 v[88:91], v2 offset:832
	ds_load_b128 v[104:107], v2 offset:848
	v_add_f64_e32 v[4:5], v[4:5], v[120:121]
	v_add_f64_e32 v[8:9], v[8:9], v[146:147]
	scratch_load_b128 v[120:123], off, off offset:432
	s_wait_loadcnt_dscnt 0xb01
	v_mul_f64_e32 v[146:147], v[88:89], v[114:115]
	v_mul_f64_e32 v[114:115], v[90:91], v[114:115]
	v_fmac_f64_e32 v[148:149], v[98:99], v[108:109]
	v_fma_f64 v[108:109], v[96:97], v[108:109], -v[110:111]
	scratch_load_b128 v[96:99], off, off offset:448
	v_add_f64_e32 v[4:5], v[4:5], v[150:151]
	v_add_f64_e32 v[8:9], v[8:9], v[144:145]
	s_wait_loadcnt_dscnt 0xb00
	v_mul_f64_e32 v[144:145], v[104:105], v[118:119]
	v_mul_f64_e32 v[118:119], v[106:107], v[118:119]
	v_fmac_f64_e32 v[146:147], v[90:91], v[112:113]
	v_fma_f64 v[150:151], v[88:89], v[112:113], -v[114:115]
	v_add_f64_e32 v[4:5], v[4:5], v[108:109]
	v_add_f64_e32 v[8:9], v[8:9], v[148:149]
	ds_load_b128 v[88:91], v2 offset:864
	ds_load_b128 v[108:111], v2 offset:880
	scratch_load_b128 v[112:115], off, off offset:464
	v_fmac_f64_e32 v[144:145], v[106:107], v[116:117]
	v_fma_f64 v[116:117], v[104:105], v[116:117], -v[118:119]
	scratch_load_b128 v[104:107], off, off offset:480
	s_wait_loadcnt_dscnt 0xc01
	v_mul_f64_e32 v[148:149], v[88:89], v[126:127]
	v_mul_f64_e32 v[126:127], v[90:91], v[126:127]
	v_add_f64_e32 v[4:5], v[4:5], v[150:151]
	v_add_f64_e32 v[8:9], v[8:9], v[146:147]
	s_wait_loadcnt_dscnt 0xa00
	v_mul_f64_e32 v[146:147], v[108:109], v[12:13]
	v_mul_f64_e32 v[12:13], v[110:111], v[12:13]
	v_fmac_f64_e32 v[148:149], v[90:91], v[124:125]
	v_fma_f64 v[150:151], v[88:89], v[124:125], -v[126:127]
	v_add_f64_e32 v[4:5], v[4:5], v[116:117]
	v_add_f64_e32 v[8:9], v[8:9], v[144:145]
	ds_load_b128 v[88:91], v2 offset:896
	ds_load_b128 v[116:119], v2 offset:912
	scratch_load_b128 v[124:127], off, off offset:496
	v_fmac_f64_e32 v[146:147], v[110:111], v[10:11]
	v_fma_f64 v[12:13], v[108:109], v[10:11], -v[12:13]
	s_wait_loadcnt_dscnt 0xa01
	v_mul_f64_e32 v[144:145], v[88:89], v[142:143]
	v_mul_f64_e32 v[142:143], v[90:91], v[142:143]
	v_add_f64_e32 v[4:5], v[4:5], v[150:151]
	v_add_f64_e32 v[108:109], v[8:9], v[148:149]
	scratch_load_b128 v[8:11], off, off offset:512
	s_wait_loadcnt_dscnt 0xa00
	v_mul_f64_e32 v[148:149], v[116:117], v[86:87]
	v_mul_f64_e32 v[150:151], v[118:119], v[86:87]
	v_fmac_f64_e32 v[144:145], v[90:91], v[140:141]
	v_fma_f64 v[90:91], v[88:89], v[140:141], -v[142:143]
	v_add_f64_e32 v[4:5], v[4:5], v[12:13]
	v_add_f64_e32 v[12:13], v[108:109], v[146:147]
	ds_load_b128 v[86:89], v2 offset:928
	ds_load_b128 v[108:111], v2 offset:944
	scratch_load_b128 v[140:143], off, off offset:528
	v_fmac_f64_e32 v[148:149], v[118:119], v[84:85]
	v_fma_f64 v[84:85], v[116:117], v[84:85], -v[150:151]
	scratch_load_b128 v[116:119], off, off offset:544
	s_wait_loadcnt_dscnt 0xb01
	v_mul_f64_e32 v[146:147], v[86:87], v[130:131]
	v_mul_f64_e32 v[130:131], v[88:89], v[130:131]
	v_add_f64_e32 v[4:5], v[4:5], v[90:91]
	v_add_f64_e32 v[12:13], v[12:13], v[144:145]
	s_wait_loadcnt_dscnt 0xa00
	v_mul_f64_e32 v[144:145], v[108:109], v[94:95]
	v_mul_f64_e32 v[94:95], v[110:111], v[94:95]
	v_fmac_f64_e32 v[146:147], v[88:89], v[128:129]
	v_fma_f64 v[128:129], v[86:87], v[128:129], -v[130:131]
	v_add_f64_e32 v[4:5], v[4:5], v[84:85]
	v_add_f64_e32 v[12:13], v[12:13], v[148:149]
	ds_load_b128 v[84:87], v2 offset:960
	ds_load_b128 v[88:91], v2 offset:976
	v_fmac_f64_e32 v[144:145], v[110:111], v[92:93]
	v_fma_f64 v[92:93], v[108:109], v[92:93], -v[94:95]
	s_wait_loadcnt_dscnt 0x901
	v_mul_f64_e32 v[130:131], v[84:85], v[138:139]
	v_mul_f64_e32 v[138:139], v[86:87], v[138:139]
	s_wait_loadcnt_dscnt 0x800
	v_mul_f64_e32 v[108:109], v[88:89], v[102:103]
	v_mul_f64_e32 v[102:103], v[90:91], v[102:103]
	v_add_f64_e32 v[4:5], v[4:5], v[128:129]
	v_add_f64_e32 v[12:13], v[12:13], v[146:147]
	v_fmac_f64_e32 v[130:131], v[86:87], v[136:137]
	v_fma_f64 v[110:111], v[84:85], v[136:137], -v[138:139]
	v_fmac_f64_e32 v[108:109], v[90:91], v[100:101]
	v_fma_f64 v[88:89], v[88:89], v[100:101], -v[102:103]
	v_add_f64_e32 v[4:5], v[4:5], v[92:93]
	v_add_f64_e32 v[12:13], v[12:13], v[144:145]
	ds_load_b128 v[84:87], v2 offset:992
	ds_load_b128 v[92:95], v2 offset:1008
	s_wait_loadcnt_dscnt 0x701
	v_mul_f64_e32 v[128:129], v[84:85], v[122:123]
	v_mul_f64_e32 v[122:123], v[86:87], v[122:123]
	s_wait_loadcnt_dscnt 0x600
	v_mul_f64_e32 v[100:101], v[92:93], v[98:99]
	v_mul_f64_e32 v[98:99], v[94:95], v[98:99]
	v_add_f64_e32 v[4:5], v[4:5], v[110:111]
	v_add_f64_e32 v[12:13], v[12:13], v[130:131]
	v_fmac_f64_e32 v[128:129], v[86:87], v[120:121]
	v_fma_f64 v[102:103], v[84:85], v[120:121], -v[122:123]
	v_fmac_f64_e32 v[100:101], v[94:95], v[96:97]
	v_fma_f64 v[92:93], v[92:93], v[96:97], -v[98:99]
	v_add_f64_e32 v[4:5], v[4:5], v[88:89]
	v_add_f64_e32 v[12:13], v[12:13], v[108:109]
	ds_load_b128 v[84:87], v2 offset:1024
	ds_load_b128 v[88:91], v2 offset:1040
	;; [unrolled: 16-line block ×3, first 2 shown]
	s_wait_loadcnt_dscnt 0x301
	v_mul_f64_e32 v[100:101], v[84:85], v[126:127]
	v_mul_f64_e32 v[106:107], v[86:87], v[126:127]
	v_add_f64_e32 v[4:5], v[4:5], v[102:103]
	v_add_f64_e32 v[12:13], v[12:13], v[108:109]
	s_wait_loadcnt_dscnt 0x200
	v_mul_f64_e32 v[90:91], v[92:93], v[10:11]
	v_mul_f64_e32 v[98:99], v[94:95], v[10:11]
	v_fmac_f64_e32 v[100:101], v[86:87], v[124:125]
	v_fma_f64 v[84:85], v[84:85], v[124:125], -v[106:107]
	v_add_f64_e32 v[86:87], v[4:5], v[88:89]
	v_add_f64_e32 v[88:89], v[12:13], v[96:97]
	ds_load_b128 v[10:13], v2 offset:1088
	ds_load_b128 v[2:5], v2 offset:1104
	v_fmac_f64_e32 v[90:91], v[94:95], v[8:9]
	v_fma_f64 v[8:9], v[92:93], v[8:9], -v[98:99]
	s_wait_loadcnt_dscnt 0x101
	v_mul_f64_e32 v[96:97], v[10:11], v[142:143]
	v_mul_f64_e32 v[102:103], v[12:13], v[142:143]
	s_wait_loadcnt_dscnt 0x0
	v_mul_f64_e32 v[92:93], v[4:5], v[118:119]
	v_add_f64_e32 v[84:85], v[86:87], v[84:85]
	v_add_f64_e32 v[86:87], v[88:89], v[100:101]
	v_mul_f64_e32 v[88:89], v[2:3], v[118:119]
	v_fmac_f64_e32 v[96:97], v[12:13], v[140:141]
	v_fma_f64 v[10:11], v[10:11], v[140:141], -v[102:103]
	v_fma_f64 v[2:3], v[2:3], v[116:117], -v[92:93]
	v_add_f64_e32 v[8:9], v[84:85], v[8:9]
	v_add_f64_e32 v[12:13], v[86:87], v[90:91]
	v_fmac_f64_e32 v[88:89], v[4:5], v[116:117]
	s_delay_alu instid0(VALU_DEP_3) | instskip(NEXT) | instid1(VALU_DEP_3)
	v_add_f64_e32 v[4:5], v[8:9], v[10:11]
	v_add_f64_e32 v[8:9], v[12:13], v[96:97]
	s_delay_alu instid0(VALU_DEP_2) | instskip(NEXT) | instid1(VALU_DEP_2)
	v_add_f64_e32 v[2:3], v[4:5], v[2:3]
	v_add_f64_e32 v[4:5], v[8:9], v[88:89]
	s_delay_alu instid0(VALU_DEP_2) | instskip(NEXT) | instid1(VALU_DEP_2)
	v_add_f64_e64 v[2:3], v[132:133], -v[2:3]
	v_add_f64_e64 v[4:5], v[134:135], -v[4:5]
	scratch_store_b128 off, v[2:5], off offset:128
	s_wait_xcnt 0x0
	v_cmpx_lt_u32_e32 7, v1
	s_cbranch_execz .LBB34_209
; %bb.208:
	scratch_load_b128 v[2:5], off, s43
	v_mov_b32_e32 v8, 0
	s_delay_alu instid0(VALU_DEP_1)
	v_dual_mov_b32 v9, v8 :: v_dual_mov_b32 v10, v8
	v_mov_b32_e32 v11, v8
	scratch_store_b128 off, v[8:11], off offset:112
	s_wait_loadcnt 0x0
	ds_store_b128 v6, v[2:5]
.LBB34_209:
	s_wait_xcnt 0x0
	s_or_b32 exec_lo, exec_lo, s2
	s_wait_storecnt_dscnt 0x0
	s_barrier_signal -1
	s_barrier_wait -1
	s_clause 0x9
	scratch_load_b128 v[8:11], off, off offset:128
	scratch_load_b128 v[84:87], off, off offset:144
	;; [unrolled: 1-line block ×10, first 2 shown]
	v_mov_b32_e32 v2, 0
	s_mov_b32 s2, exec_lo
	ds_load_b128 v[120:123], v2 offset:688
	s_clause 0x2
	scratch_load_b128 v[124:127], off, off offset:288
	scratch_load_b128 v[128:131], off, off offset:112
	;; [unrolled: 1-line block ×3, first 2 shown]
	s_wait_loadcnt_dscnt 0xc00
	v_mul_f64_e32 v[4:5], v[122:123], v[10:11]
	v_mul_f64_e32 v[144:145], v[120:121], v[10:11]
	ds_load_b128 v[132:135], v2 offset:704
	scratch_load_b128 v[10:13], off, off offset:304
	ds_load_b128 v[140:143], v2 offset:736
	v_fma_f64 v[4:5], v[120:121], v[8:9], -v[4:5]
	v_fmac_f64_e32 v[144:145], v[122:123], v[8:9]
	ds_load_b128 v[120:123], v2 offset:720
	s_wait_loadcnt_dscnt 0xc02
	v_mul_f64_e32 v[146:147], v[132:133], v[86:87]
	v_mul_f64_e32 v[86:87], v[134:135], v[86:87]
	s_wait_loadcnt_dscnt 0xb00
	v_mul_f64_e32 v[8:9], v[120:121], v[90:91]
	v_mul_f64_e32 v[90:91], v[122:123], v[90:91]
	v_add_f64_e32 v[4:5], 0, v[4:5]
	v_fmac_f64_e32 v[146:147], v[134:135], v[84:85]
	v_fma_f64 v[132:133], v[132:133], v[84:85], -v[86:87]
	v_add_f64_e32 v[134:135], 0, v[144:145]
	scratch_load_b128 v[84:87], off, off offset:336
	v_fmac_f64_e32 v[8:9], v[122:123], v[88:89]
	v_fma_f64 v[148:149], v[120:121], v[88:89], -v[90:91]
	ds_load_b128 v[88:91], v2 offset:752
	s_wait_loadcnt 0xb
	v_mul_f64_e32 v[144:145], v[140:141], v[94:95]
	v_mul_f64_e32 v[94:95], v[142:143], v[94:95]
	scratch_load_b128 v[120:123], off, off offset:352
	v_add_f64_e32 v[4:5], v[4:5], v[132:133]
	v_add_f64_e32 v[146:147], v[134:135], v[146:147]
	ds_load_b128 v[132:135], v2 offset:768
	s_wait_loadcnt_dscnt 0xb01
	v_mul_f64_e32 v[150:151], v[88:89], v[98:99]
	v_mul_f64_e32 v[98:99], v[90:91], v[98:99]
	v_fmac_f64_e32 v[144:145], v[142:143], v[92:93]
	v_fma_f64 v[140:141], v[140:141], v[92:93], -v[94:95]
	scratch_load_b128 v[92:95], off, off offset:368
	v_add_f64_e32 v[4:5], v[4:5], v[148:149]
	v_add_f64_e32 v[8:9], v[146:147], v[8:9]
	v_fmac_f64_e32 v[150:151], v[90:91], v[96:97]
	v_fma_f64 v[148:149], v[88:89], v[96:97], -v[98:99]
	ds_load_b128 v[88:91], v2 offset:784
	s_wait_loadcnt_dscnt 0xb01
	v_mul_f64_e32 v[146:147], v[132:133], v[102:103]
	v_mul_f64_e32 v[102:103], v[134:135], v[102:103]
	scratch_load_b128 v[96:99], off, off offset:384
	v_add_f64_e32 v[4:5], v[4:5], v[140:141]
	v_add_f64_e32 v[8:9], v[8:9], v[144:145]
	s_wait_loadcnt_dscnt 0xb00
	v_mul_f64_e32 v[144:145], v[88:89], v[106:107]
	v_mul_f64_e32 v[106:107], v[90:91], v[106:107]
	ds_load_b128 v[140:143], v2 offset:800
	v_fmac_f64_e32 v[146:147], v[134:135], v[100:101]
	v_fma_f64 v[132:133], v[132:133], v[100:101], -v[102:103]
	scratch_load_b128 v[100:103], off, off offset:400
	v_add_f64_e32 v[4:5], v[4:5], v[148:149]
	v_add_f64_e32 v[8:9], v[8:9], v[150:151]
	v_fmac_f64_e32 v[144:145], v[90:91], v[104:105]
	v_fma_f64 v[150:151], v[88:89], v[104:105], -v[106:107]
	ds_load_b128 v[88:91], v2 offset:816
	s_wait_loadcnt_dscnt 0xb01
	v_mul_f64_e32 v[148:149], v[140:141], v[110:111]
	v_mul_f64_e32 v[110:111], v[142:143], v[110:111]
	scratch_load_b128 v[104:107], off, off offset:416
	v_add_f64_e32 v[4:5], v[4:5], v[132:133]
	v_add_f64_e32 v[8:9], v[8:9], v[146:147]
	s_wait_loadcnt_dscnt 0xb00
	v_mul_f64_e32 v[146:147], v[88:89], v[114:115]
	v_mul_f64_e32 v[114:115], v[90:91], v[114:115]
	ds_load_b128 v[132:135], v2 offset:832
	;; [unrolled: 18-line block ×3, first 2 shown]
	v_fmac_f64_e32 v[144:145], v[134:135], v[116:117]
	v_fma_f64 v[132:133], v[132:133], v[116:117], -v[118:119]
	scratch_load_b128 v[116:119], off, off offset:464
	v_add_f64_e32 v[4:5], v[4:5], v[150:151]
	v_add_f64_e32 v[8:9], v[8:9], v[146:147]
	v_fmac_f64_e32 v[148:149], v[90:91], v[124:125]
	v_fma_f64 v[150:151], v[88:89], v[124:125], -v[126:127]
	ds_load_b128 v[88:91], v2 offset:880
	s_wait_loadcnt_dscnt 0x901
	v_mul_f64_e32 v[146:147], v[140:141], v[12:13]
	v_mul_f64_e32 v[12:13], v[142:143], v[12:13]
	scratch_load_b128 v[124:127], off, off offset:480
	v_add_f64_e32 v[4:5], v[4:5], v[132:133]
	v_add_f64_e32 v[8:9], v[8:9], v[144:145]
	s_wait_dscnt 0x0
	v_mul_f64_e32 v[144:145], v[88:89], v[138:139]
	v_mul_f64_e32 v[138:139], v[90:91], v[138:139]
	ds_load_b128 v[132:135], v2 offset:896
	v_fmac_f64_e32 v[146:147], v[142:143], v[10:11]
	v_fma_f64 v[12:13], v[140:141], v[10:11], -v[12:13]
	v_add_f64_e32 v[4:5], v[4:5], v[150:151]
	v_add_f64_e32 v[140:141], v[8:9], v[148:149]
	scratch_load_b128 v[8:11], off, off offset:496
	v_fmac_f64_e32 v[144:145], v[90:91], v[136:137]
	v_fma_f64 v[90:91], v[88:89], v[136:137], -v[138:139]
	scratch_load_b128 v[136:139], off, off offset:512
	v_add_f64_e32 v[4:5], v[4:5], v[12:13]
	v_add_f64_e32 v[12:13], v[140:141], v[146:147]
	ds_load_b128 v[140:143], v2 offset:928
	s_wait_loadcnt_dscnt 0xb01
	v_mul_f64_e32 v[148:149], v[132:133], v[86:87]
	v_mul_f64_e32 v[150:151], v[134:135], v[86:87]
	ds_load_b128 v[86:89], v2 offset:912
	s_wait_loadcnt_dscnt 0xa00
	v_mul_f64_e32 v[146:147], v[86:87], v[122:123]
	v_mul_f64_e32 v[122:123], v[88:89], v[122:123]
	v_add_f64_e32 v[4:5], v[4:5], v[90:91]
	v_add_f64_e32 v[12:13], v[12:13], v[144:145]
	s_wait_loadcnt 0x9
	v_mul_f64_e32 v[144:145], v[140:141], v[94:95]
	v_fmac_f64_e32 v[148:149], v[134:135], v[84:85]
	v_fma_f64 v[84:85], v[132:133], v[84:85], -v[150:151]
	scratch_load_b128 v[132:135], off, off offset:528
	v_mul_f64_e32 v[94:95], v[142:143], v[94:95]
	v_fmac_f64_e32 v[146:147], v[88:89], v[120:121]
	v_fma_f64 v[150:151], v[86:87], v[120:121], -v[122:123]
	scratch_load_b128 v[88:91], off, off offset:544
	ds_load_b128 v[120:123], v2 offset:960
	v_fmac_f64_e32 v[144:145], v[142:143], v[92:93]
	v_add_f64_e32 v[12:13], v[12:13], v[148:149]
	v_add_f64_e32 v[4:5], v[4:5], v[84:85]
	ds_load_b128 v[84:87], v2 offset:944
	v_fma_f64 v[92:93], v[140:141], v[92:93], -v[94:95]
	s_wait_loadcnt_dscnt 0x901
	v_mul_f64_e32 v[140:141], v[120:121], v[102:103]
	v_mul_f64_e32 v[102:103], v[122:123], v[102:103]
	s_wait_dscnt 0x0
	v_mul_f64_e32 v[148:149], v[84:85], v[98:99]
	v_mul_f64_e32 v[98:99], v[86:87], v[98:99]
	v_add_f64_e32 v[12:13], v[12:13], v[146:147]
	v_add_f64_e32 v[4:5], v[4:5], v[150:151]
	v_fmac_f64_e32 v[140:141], v[122:123], v[100:101]
	v_fma_f64 v[100:101], v[120:121], v[100:101], -v[102:103]
	v_fmac_f64_e32 v[148:149], v[86:87], v[96:97]
	v_fma_f64 v[96:97], v[84:85], v[96:97], -v[98:99]
	v_add_f64_e32 v[12:13], v[12:13], v[144:145]
	v_add_f64_e32 v[4:5], v[4:5], v[92:93]
	ds_load_b128 v[84:87], v2 offset:976
	ds_load_b128 v[92:95], v2 offset:992
	s_wait_loadcnt_dscnt 0x801
	v_mul_f64_e32 v[142:143], v[84:85], v[106:107]
	v_mul_f64_e32 v[98:99], v[86:87], v[106:107]
	s_wait_loadcnt_dscnt 0x700
	v_mul_f64_e32 v[102:103], v[92:93], v[110:111]
	v_mul_f64_e32 v[106:107], v[94:95], v[110:111]
	v_add_f64_e32 v[12:13], v[12:13], v[148:149]
	v_add_f64_e32 v[4:5], v[4:5], v[96:97]
	v_fmac_f64_e32 v[142:143], v[86:87], v[104:105]
	v_fma_f64 v[104:105], v[84:85], v[104:105], -v[98:99]
	ds_load_b128 v[84:87], v2 offset:1008
	ds_load_b128 v[96:99], v2 offset:1024
	v_fmac_f64_e32 v[102:103], v[94:95], v[108:109]
	v_fma_f64 v[92:93], v[92:93], v[108:109], -v[106:107]
	v_add_f64_e32 v[12:13], v[12:13], v[140:141]
	v_add_f64_e32 v[4:5], v[4:5], v[100:101]
	s_wait_loadcnt_dscnt 0x601
	v_mul_f64_e32 v[100:101], v[84:85], v[114:115]
	v_mul_f64_e32 v[110:111], v[86:87], v[114:115]
	s_wait_loadcnt_dscnt 0x500
	v_mul_f64_e32 v[106:107], v[98:99], v[118:119]
	v_add_f64_e32 v[12:13], v[12:13], v[142:143]
	v_add_f64_e32 v[4:5], v[4:5], v[104:105]
	v_mul_f64_e32 v[104:105], v[96:97], v[118:119]
	v_fmac_f64_e32 v[100:101], v[86:87], v[112:113]
	v_fma_f64 v[108:109], v[84:85], v[112:113], -v[110:111]
	v_fma_f64 v[96:97], v[96:97], v[116:117], -v[106:107]
	v_add_f64_e32 v[12:13], v[12:13], v[102:103]
	v_add_f64_e32 v[4:5], v[4:5], v[92:93]
	ds_load_b128 v[84:87], v2 offset:1040
	ds_load_b128 v[92:95], v2 offset:1056
	v_fmac_f64_e32 v[104:105], v[98:99], v[116:117]
	s_wait_loadcnt_dscnt 0x401
	v_mul_f64_e32 v[102:103], v[84:85], v[126:127]
	v_mul_f64_e32 v[110:111], v[86:87], v[126:127]
	s_wait_loadcnt_dscnt 0x300
	v_mul_f64_e32 v[98:99], v[92:93], v[10:11]
	v_add_f64_e32 v[12:13], v[12:13], v[100:101]
	v_add_f64_e32 v[4:5], v[4:5], v[108:109]
	v_mul_f64_e32 v[100:101], v[94:95], v[10:11]
	v_fmac_f64_e32 v[102:103], v[86:87], v[124:125]
	v_fma_f64 v[106:107], v[84:85], v[124:125], -v[110:111]
	v_fmac_f64_e32 v[98:99], v[94:95], v[8:9]
	v_add_f64_e32 v[4:5], v[4:5], v[96:97]
	v_add_f64_e32 v[96:97], v[12:13], v[104:105]
	ds_load_b128 v[10:13], v2 offset:1072
	ds_load_b128 v[84:87], v2 offset:1088
	v_fma_f64 v[8:9], v[92:93], v[8:9], -v[100:101]
	s_wait_loadcnt_dscnt 0x201
	v_mul_f64_e32 v[104:105], v[10:11], v[138:139]
	v_mul_f64_e32 v[108:109], v[12:13], v[138:139]
	v_add_f64_e32 v[4:5], v[4:5], v[106:107]
	v_add_f64_e32 v[92:93], v[96:97], v[102:103]
	s_wait_loadcnt_dscnt 0x100
	v_mul_f64_e32 v[94:95], v[84:85], v[134:135]
	v_mul_f64_e32 v[96:97], v[86:87], v[134:135]
	v_fmac_f64_e32 v[104:105], v[12:13], v[136:137]
	v_fma_f64 v[12:13], v[10:11], v[136:137], -v[108:109]
	v_add_f64_e32 v[4:5], v[4:5], v[8:9]
	v_add_f64_e32 v[92:93], v[92:93], v[98:99]
	ds_load_b128 v[8:11], v2 offset:1104
	v_fmac_f64_e32 v[94:95], v[86:87], v[132:133]
	v_fma_f64 v[84:85], v[84:85], v[132:133], -v[96:97]
	s_wait_loadcnt_dscnt 0x0
	v_mul_f64_e32 v[98:99], v[8:9], v[90:91]
	v_mul_f64_e32 v[90:91], v[10:11], v[90:91]
	v_add_f64_e32 v[4:5], v[4:5], v[12:13]
	v_add_f64_e32 v[12:13], v[92:93], v[104:105]
	s_delay_alu instid0(VALU_DEP_4) | instskip(NEXT) | instid1(VALU_DEP_4)
	v_fmac_f64_e32 v[98:99], v[10:11], v[88:89]
	v_fma_f64 v[8:9], v[8:9], v[88:89], -v[90:91]
	s_delay_alu instid0(VALU_DEP_4) | instskip(NEXT) | instid1(VALU_DEP_4)
	v_add_f64_e32 v[4:5], v[4:5], v[84:85]
	v_add_f64_e32 v[10:11], v[12:13], v[94:95]
	s_delay_alu instid0(VALU_DEP_2) | instskip(NEXT) | instid1(VALU_DEP_2)
	v_add_f64_e32 v[4:5], v[4:5], v[8:9]
	v_add_f64_e32 v[10:11], v[10:11], v[98:99]
	s_delay_alu instid0(VALU_DEP_2) | instskip(NEXT) | instid1(VALU_DEP_2)
	v_add_f64_e64 v[8:9], v[128:129], -v[4:5]
	v_add_f64_e64 v[10:11], v[130:131], -v[10:11]
	scratch_store_b128 off, v[8:11], off offset:112
	s_wait_xcnt 0x0
	v_cmpx_lt_u32_e32 6, v1
	s_cbranch_execz .LBB34_211
; %bb.210:
	scratch_load_b128 v[8:11], off, s40
	v_dual_mov_b32 v3, v2 :: v_dual_mov_b32 v4, v2
	v_mov_b32_e32 v5, v2
	scratch_store_b128 off, v[2:5], off offset:96
	s_wait_loadcnt 0x0
	ds_store_b128 v6, v[8:11]
.LBB34_211:
	s_wait_xcnt 0x0
	s_or_b32 exec_lo, exec_lo, s2
	s_wait_storecnt_dscnt 0x0
	s_barrier_signal -1
	s_barrier_wait -1
	s_clause 0x9
	scratch_load_b128 v[8:11], off, off offset:112
	scratch_load_b128 v[84:87], off, off offset:128
	;; [unrolled: 1-line block ×10, first 2 shown]
	ds_load_b128 v[120:123], v2 offset:672
	ds_load_b128 v[128:131], v2 offset:688
	s_clause 0x1
	scratch_load_b128 v[124:127], off, off offset:272
	scratch_load_b128 v[132:135], off, off offset:96
	s_mov_b32 s2, exec_lo
	s_wait_loadcnt_dscnt 0xb01
	v_mul_f64_e32 v[4:5], v[122:123], v[10:11]
	v_mul_f64_e32 v[144:145], v[120:121], v[10:11]
	scratch_load_b128 v[10:13], off, off offset:288
	s_wait_loadcnt_dscnt 0xb00
	v_mul_f64_e32 v[146:147], v[128:129], v[86:87]
	v_mul_f64_e32 v[86:87], v[130:131], v[86:87]
	v_fma_f64 v[4:5], v[120:121], v[8:9], -v[4:5]
	v_fmac_f64_e32 v[144:145], v[122:123], v[8:9]
	ds_load_b128 v[120:123], v2 offset:704
	ds_load_b128 v[136:139], v2 offset:720
	scratch_load_b128 v[140:143], off, off offset:304
	v_fmac_f64_e32 v[146:147], v[130:131], v[84:85]
	v_fma_f64 v[128:129], v[128:129], v[84:85], -v[86:87]
	scratch_load_b128 v[84:87], off, off offset:320
	s_wait_loadcnt_dscnt 0xc01
	v_mul_f64_e32 v[8:9], v[120:121], v[90:91]
	v_mul_f64_e32 v[90:91], v[122:123], v[90:91]
	v_add_f64_e32 v[4:5], 0, v[4:5]
	v_add_f64_e32 v[130:131], 0, v[144:145]
	s_wait_loadcnt_dscnt 0xb00
	v_mul_f64_e32 v[144:145], v[136:137], v[94:95]
	v_mul_f64_e32 v[94:95], v[138:139], v[94:95]
	v_fmac_f64_e32 v[8:9], v[122:123], v[88:89]
	v_fma_f64 v[148:149], v[120:121], v[88:89], -v[90:91]
	ds_load_b128 v[88:91], v2 offset:736
	ds_load_b128 v[120:123], v2 offset:752
	v_add_f64_e32 v[4:5], v[4:5], v[128:129]
	v_add_f64_e32 v[146:147], v[130:131], v[146:147]
	scratch_load_b128 v[128:131], off, off offset:336
	v_fmac_f64_e32 v[144:145], v[138:139], v[92:93]
	v_fma_f64 v[136:137], v[136:137], v[92:93], -v[94:95]
	scratch_load_b128 v[92:95], off, off offset:352
	s_wait_loadcnt_dscnt 0xc01
	v_mul_f64_e32 v[150:151], v[88:89], v[98:99]
	v_mul_f64_e32 v[98:99], v[90:91], v[98:99]
	v_add_f64_e32 v[4:5], v[4:5], v[148:149]
	v_add_f64_e32 v[8:9], v[146:147], v[8:9]
	s_wait_loadcnt_dscnt 0xb00
	v_mul_f64_e32 v[146:147], v[120:121], v[102:103]
	v_mul_f64_e32 v[102:103], v[122:123], v[102:103]
	v_fmac_f64_e32 v[150:151], v[90:91], v[96:97]
	v_fma_f64 v[148:149], v[88:89], v[96:97], -v[98:99]
	ds_load_b128 v[88:91], v2 offset:768
	ds_load_b128 v[96:99], v2 offset:784
	v_add_f64_e32 v[4:5], v[4:5], v[136:137]
	v_add_f64_e32 v[8:9], v[8:9], v[144:145]
	scratch_load_b128 v[136:139], off, off offset:368
	s_wait_loadcnt_dscnt 0xb01
	v_mul_f64_e32 v[144:145], v[88:89], v[106:107]
	v_mul_f64_e32 v[106:107], v[90:91], v[106:107]
	v_fmac_f64_e32 v[146:147], v[122:123], v[100:101]
	v_fma_f64 v[120:121], v[120:121], v[100:101], -v[102:103]
	scratch_load_b128 v[100:103], off, off offset:384
	v_add_f64_e32 v[4:5], v[4:5], v[148:149]
	v_add_f64_e32 v[8:9], v[8:9], v[150:151]
	s_wait_loadcnt_dscnt 0xb00
	v_mul_f64_e32 v[148:149], v[96:97], v[110:111]
	v_mul_f64_e32 v[110:111], v[98:99], v[110:111]
	v_fmac_f64_e32 v[144:145], v[90:91], v[104:105]
	v_fma_f64 v[150:151], v[88:89], v[104:105], -v[106:107]
	ds_load_b128 v[88:91], v2 offset:800
	ds_load_b128 v[104:107], v2 offset:816
	v_add_f64_e32 v[4:5], v[4:5], v[120:121]
	v_add_f64_e32 v[8:9], v[8:9], v[146:147]
	scratch_load_b128 v[120:123], off, off offset:400
	s_wait_loadcnt_dscnt 0xb01
	v_mul_f64_e32 v[146:147], v[88:89], v[114:115]
	v_mul_f64_e32 v[114:115], v[90:91], v[114:115]
	v_fmac_f64_e32 v[148:149], v[98:99], v[108:109]
	v_fma_f64 v[108:109], v[96:97], v[108:109], -v[110:111]
	scratch_load_b128 v[96:99], off, off offset:416
	v_add_f64_e32 v[4:5], v[4:5], v[150:151]
	v_add_f64_e32 v[8:9], v[8:9], v[144:145]
	s_wait_loadcnt_dscnt 0xb00
	v_mul_f64_e32 v[144:145], v[104:105], v[118:119]
	v_mul_f64_e32 v[118:119], v[106:107], v[118:119]
	v_fmac_f64_e32 v[146:147], v[90:91], v[112:113]
	v_fma_f64 v[150:151], v[88:89], v[112:113], -v[114:115]
	v_add_f64_e32 v[4:5], v[4:5], v[108:109]
	v_add_f64_e32 v[8:9], v[8:9], v[148:149]
	ds_load_b128 v[88:91], v2 offset:832
	ds_load_b128 v[108:111], v2 offset:848
	scratch_load_b128 v[112:115], off, off offset:432
	v_fmac_f64_e32 v[144:145], v[106:107], v[116:117]
	v_fma_f64 v[116:117], v[104:105], v[116:117], -v[118:119]
	scratch_load_b128 v[104:107], off, off offset:448
	s_wait_loadcnt_dscnt 0xc01
	v_mul_f64_e32 v[148:149], v[88:89], v[126:127]
	v_mul_f64_e32 v[126:127], v[90:91], v[126:127]
	v_add_f64_e32 v[4:5], v[4:5], v[150:151]
	v_add_f64_e32 v[8:9], v[8:9], v[146:147]
	s_wait_loadcnt_dscnt 0xa00
	v_mul_f64_e32 v[146:147], v[108:109], v[12:13]
	v_mul_f64_e32 v[12:13], v[110:111], v[12:13]
	v_fmac_f64_e32 v[148:149], v[90:91], v[124:125]
	v_fma_f64 v[150:151], v[88:89], v[124:125], -v[126:127]
	v_add_f64_e32 v[4:5], v[4:5], v[116:117]
	v_add_f64_e32 v[8:9], v[8:9], v[144:145]
	ds_load_b128 v[88:91], v2 offset:864
	ds_load_b128 v[116:119], v2 offset:880
	scratch_load_b128 v[124:127], off, off offset:464
	v_fmac_f64_e32 v[146:147], v[110:111], v[10:11]
	v_fma_f64 v[12:13], v[108:109], v[10:11], -v[12:13]
	s_wait_loadcnt_dscnt 0xa01
	v_mul_f64_e32 v[144:145], v[88:89], v[142:143]
	v_mul_f64_e32 v[142:143], v[90:91], v[142:143]
	v_add_f64_e32 v[4:5], v[4:5], v[150:151]
	v_add_f64_e32 v[108:109], v[8:9], v[148:149]
	scratch_load_b128 v[8:11], off, off offset:480
	s_wait_loadcnt_dscnt 0xa00
	v_mul_f64_e32 v[148:149], v[116:117], v[86:87]
	v_mul_f64_e32 v[150:151], v[118:119], v[86:87]
	v_fmac_f64_e32 v[144:145], v[90:91], v[140:141]
	v_fma_f64 v[90:91], v[88:89], v[140:141], -v[142:143]
	v_add_f64_e32 v[4:5], v[4:5], v[12:13]
	v_add_f64_e32 v[12:13], v[108:109], v[146:147]
	ds_load_b128 v[86:89], v2 offset:896
	ds_load_b128 v[108:111], v2 offset:912
	scratch_load_b128 v[140:143], off, off offset:496
	v_fmac_f64_e32 v[148:149], v[118:119], v[84:85]
	v_fma_f64 v[84:85], v[116:117], v[84:85], -v[150:151]
	scratch_load_b128 v[116:119], off, off offset:512
	s_wait_loadcnt_dscnt 0xb01
	v_mul_f64_e32 v[146:147], v[86:87], v[130:131]
	v_mul_f64_e32 v[130:131], v[88:89], v[130:131]
	v_add_f64_e32 v[4:5], v[4:5], v[90:91]
	v_add_f64_e32 v[12:13], v[12:13], v[144:145]
	s_wait_loadcnt_dscnt 0xa00
	v_mul_f64_e32 v[144:145], v[108:109], v[94:95]
	v_mul_f64_e32 v[94:95], v[110:111], v[94:95]
	v_fmac_f64_e32 v[146:147], v[88:89], v[128:129]
	v_fma_f64 v[150:151], v[86:87], v[128:129], -v[130:131]
	v_add_f64_e32 v[4:5], v[4:5], v[84:85]
	v_add_f64_e32 v[12:13], v[12:13], v[148:149]
	ds_load_b128 v[84:87], v2 offset:928
	ds_load_b128 v[88:91], v2 offset:944
	scratch_load_b128 v[128:131], off, off offset:528
	v_fmac_f64_e32 v[144:145], v[110:111], v[92:93]
	v_fma_f64 v[108:109], v[108:109], v[92:93], -v[94:95]
	scratch_load_b128 v[92:95], off, off offset:544
	s_wait_loadcnt_dscnt 0xb01
	v_mul_f64_e32 v[148:149], v[84:85], v[138:139]
	v_mul_f64_e32 v[138:139], v[86:87], v[138:139]
	v_add_f64_e32 v[4:5], v[4:5], v[150:151]
	v_add_f64_e32 v[12:13], v[12:13], v[146:147]
	s_wait_loadcnt_dscnt 0xa00
	v_mul_f64_e32 v[146:147], v[88:89], v[102:103]
	v_mul_f64_e32 v[102:103], v[90:91], v[102:103]
	v_fmac_f64_e32 v[148:149], v[86:87], v[136:137]
	v_fma_f64 v[136:137], v[84:85], v[136:137], -v[138:139]
	v_add_f64_e32 v[4:5], v[4:5], v[108:109]
	v_add_f64_e32 v[12:13], v[12:13], v[144:145]
	ds_load_b128 v[84:87], v2 offset:960
	ds_load_b128 v[108:111], v2 offset:976
	v_fmac_f64_e32 v[146:147], v[90:91], v[100:101]
	v_fma_f64 v[88:89], v[88:89], v[100:101], -v[102:103]
	s_wait_loadcnt_dscnt 0x901
	v_mul_f64_e32 v[138:139], v[84:85], v[122:123]
	v_mul_f64_e32 v[122:123], v[86:87], v[122:123]
	s_wait_loadcnt_dscnt 0x800
	v_mul_f64_e32 v[100:101], v[108:109], v[98:99]
	v_mul_f64_e32 v[98:99], v[110:111], v[98:99]
	v_add_f64_e32 v[4:5], v[4:5], v[136:137]
	v_add_f64_e32 v[12:13], v[12:13], v[148:149]
	v_fmac_f64_e32 v[138:139], v[86:87], v[120:121]
	v_fma_f64 v[102:103], v[84:85], v[120:121], -v[122:123]
	v_fmac_f64_e32 v[100:101], v[110:111], v[96:97]
	v_fma_f64 v[96:97], v[108:109], v[96:97], -v[98:99]
	v_add_f64_e32 v[4:5], v[4:5], v[88:89]
	v_add_f64_e32 v[12:13], v[12:13], v[146:147]
	ds_load_b128 v[84:87], v2 offset:992
	ds_load_b128 v[88:91], v2 offset:1008
	s_wait_loadcnt_dscnt 0x701
	v_mul_f64_e32 v[120:121], v[84:85], v[114:115]
	v_mul_f64_e32 v[114:115], v[86:87], v[114:115]
	v_add_f64_e32 v[4:5], v[4:5], v[102:103]
	v_add_f64_e32 v[12:13], v[12:13], v[138:139]
	s_wait_loadcnt_dscnt 0x600
	v_mul_f64_e32 v[102:103], v[88:89], v[106:107]
	v_mul_f64_e32 v[106:107], v[90:91], v[106:107]
	v_fmac_f64_e32 v[120:121], v[86:87], v[112:113]
	v_fma_f64 v[108:109], v[84:85], v[112:113], -v[114:115]
	v_add_f64_e32 v[4:5], v[4:5], v[96:97]
	v_add_f64_e32 v[12:13], v[12:13], v[100:101]
	ds_load_b128 v[84:87], v2 offset:1024
	ds_load_b128 v[96:99], v2 offset:1040
	v_fmac_f64_e32 v[102:103], v[90:91], v[104:105]
	v_fma_f64 v[88:89], v[88:89], v[104:105], -v[106:107]
	s_wait_loadcnt_dscnt 0x501
	v_mul_f64_e32 v[100:101], v[84:85], v[126:127]
	v_mul_f64_e32 v[110:111], v[86:87], v[126:127]
	v_add_f64_e32 v[4:5], v[4:5], v[108:109]
	v_add_f64_e32 v[12:13], v[12:13], v[120:121]
	s_wait_loadcnt_dscnt 0x400
	v_mul_f64_e32 v[90:91], v[96:97], v[10:11]
	v_mul_f64_e32 v[104:105], v[98:99], v[10:11]
	v_fmac_f64_e32 v[100:101], v[86:87], v[124:125]
	v_fma_f64 v[106:107], v[84:85], v[124:125], -v[110:111]
	v_add_f64_e32 v[4:5], v[4:5], v[88:89]
	v_add_f64_e32 v[88:89], v[12:13], v[102:103]
	ds_load_b128 v[10:13], v2 offset:1056
	ds_load_b128 v[84:87], v2 offset:1072
	v_fmac_f64_e32 v[90:91], v[98:99], v[8:9]
	v_fma_f64 v[8:9], v[96:97], v[8:9], -v[104:105]
	s_wait_loadcnt_dscnt 0x301
	v_mul_f64_e32 v[102:103], v[10:11], v[142:143]
	v_mul_f64_e32 v[108:109], v[12:13], v[142:143]
	s_wait_loadcnt_dscnt 0x200
	v_mul_f64_e32 v[96:97], v[84:85], v[118:119]
	v_mul_f64_e32 v[98:99], v[86:87], v[118:119]
	v_add_f64_e32 v[4:5], v[4:5], v[106:107]
	v_add_f64_e32 v[88:89], v[88:89], v[100:101]
	v_fmac_f64_e32 v[102:103], v[12:13], v[140:141]
	v_fma_f64 v[12:13], v[10:11], v[140:141], -v[108:109]
	v_fmac_f64_e32 v[96:97], v[86:87], v[116:117]
	v_fma_f64 v[84:85], v[84:85], v[116:117], -v[98:99]
	v_add_f64_e32 v[100:101], v[4:5], v[8:9]
	v_add_f64_e32 v[88:89], v[88:89], v[90:91]
	ds_load_b128 v[8:11], v2 offset:1088
	ds_load_b128 v[2:5], v2 offset:1104
	s_wait_loadcnt_dscnt 0x101
	v_mul_f64_e32 v[90:91], v[8:9], v[130:131]
	v_mul_f64_e32 v[104:105], v[10:11], v[130:131]
	v_add_f64_e32 v[12:13], v[100:101], v[12:13]
	v_add_f64_e32 v[86:87], v[88:89], v[102:103]
	s_wait_loadcnt_dscnt 0x0
	v_mul_f64_e32 v[88:89], v[2:3], v[94:95]
	v_mul_f64_e32 v[94:95], v[4:5], v[94:95]
	v_fmac_f64_e32 v[90:91], v[10:11], v[128:129]
	v_fma_f64 v[8:9], v[8:9], v[128:129], -v[104:105]
	v_add_f64_e32 v[10:11], v[12:13], v[84:85]
	v_add_f64_e32 v[12:13], v[86:87], v[96:97]
	v_fmac_f64_e32 v[88:89], v[4:5], v[92:93]
	v_fma_f64 v[2:3], v[2:3], v[92:93], -v[94:95]
	s_delay_alu instid0(VALU_DEP_4) | instskip(NEXT) | instid1(VALU_DEP_4)
	v_add_f64_e32 v[4:5], v[10:11], v[8:9]
	v_add_f64_e32 v[8:9], v[12:13], v[90:91]
	s_delay_alu instid0(VALU_DEP_2) | instskip(NEXT) | instid1(VALU_DEP_2)
	v_add_f64_e32 v[2:3], v[4:5], v[2:3]
	v_add_f64_e32 v[4:5], v[8:9], v[88:89]
	s_delay_alu instid0(VALU_DEP_2) | instskip(NEXT) | instid1(VALU_DEP_2)
	v_add_f64_e64 v[2:3], v[132:133], -v[2:3]
	v_add_f64_e64 v[4:5], v[134:135], -v[4:5]
	scratch_store_b128 off, v[2:5], off offset:96
	s_wait_xcnt 0x0
	v_cmpx_lt_u32_e32 5, v1
	s_cbranch_execz .LBB34_213
; %bb.212:
	scratch_load_b128 v[2:5], off, s37
	v_mov_b32_e32 v8, 0
	s_delay_alu instid0(VALU_DEP_1)
	v_dual_mov_b32 v9, v8 :: v_dual_mov_b32 v10, v8
	v_mov_b32_e32 v11, v8
	scratch_store_b128 off, v[8:11], off offset:80
	s_wait_loadcnt 0x0
	ds_store_b128 v6, v[2:5]
.LBB34_213:
	s_wait_xcnt 0x0
	s_or_b32 exec_lo, exec_lo, s2
	s_wait_storecnt_dscnt 0x0
	s_barrier_signal -1
	s_barrier_wait -1
	s_clause 0x9
	scratch_load_b128 v[8:11], off, off offset:96
	scratch_load_b128 v[84:87], off, off offset:112
	;; [unrolled: 1-line block ×10, first 2 shown]
	v_mov_b32_e32 v2, 0
	s_mov_b32 s2, exec_lo
	ds_load_b128 v[120:123], v2 offset:656
	s_clause 0x2
	scratch_load_b128 v[124:127], off, off offset:256
	scratch_load_b128 v[128:131], off, off offset:80
	;; [unrolled: 1-line block ×3, first 2 shown]
	s_wait_loadcnt_dscnt 0xc00
	v_mul_f64_e32 v[4:5], v[122:123], v[10:11]
	v_mul_f64_e32 v[144:145], v[120:121], v[10:11]
	ds_load_b128 v[132:135], v2 offset:672
	scratch_load_b128 v[10:13], off, off offset:272
	ds_load_b128 v[140:143], v2 offset:704
	v_fma_f64 v[4:5], v[120:121], v[8:9], -v[4:5]
	v_fmac_f64_e32 v[144:145], v[122:123], v[8:9]
	ds_load_b128 v[120:123], v2 offset:688
	s_wait_loadcnt_dscnt 0xc02
	v_mul_f64_e32 v[146:147], v[132:133], v[86:87]
	v_mul_f64_e32 v[86:87], v[134:135], v[86:87]
	s_wait_loadcnt_dscnt 0xb00
	v_mul_f64_e32 v[8:9], v[120:121], v[90:91]
	v_mul_f64_e32 v[90:91], v[122:123], v[90:91]
	v_add_f64_e32 v[4:5], 0, v[4:5]
	v_fmac_f64_e32 v[146:147], v[134:135], v[84:85]
	v_fma_f64 v[132:133], v[132:133], v[84:85], -v[86:87]
	v_add_f64_e32 v[134:135], 0, v[144:145]
	scratch_load_b128 v[84:87], off, off offset:304
	v_fmac_f64_e32 v[8:9], v[122:123], v[88:89]
	v_fma_f64 v[148:149], v[120:121], v[88:89], -v[90:91]
	ds_load_b128 v[88:91], v2 offset:720
	s_wait_loadcnt 0xb
	v_mul_f64_e32 v[144:145], v[140:141], v[94:95]
	v_mul_f64_e32 v[94:95], v[142:143], v[94:95]
	scratch_load_b128 v[120:123], off, off offset:320
	v_add_f64_e32 v[4:5], v[4:5], v[132:133]
	v_add_f64_e32 v[146:147], v[134:135], v[146:147]
	ds_load_b128 v[132:135], v2 offset:736
	s_wait_loadcnt_dscnt 0xb01
	v_mul_f64_e32 v[150:151], v[88:89], v[98:99]
	v_mul_f64_e32 v[98:99], v[90:91], v[98:99]
	v_fmac_f64_e32 v[144:145], v[142:143], v[92:93]
	v_fma_f64 v[140:141], v[140:141], v[92:93], -v[94:95]
	scratch_load_b128 v[92:95], off, off offset:336
	v_add_f64_e32 v[4:5], v[4:5], v[148:149]
	v_add_f64_e32 v[8:9], v[146:147], v[8:9]
	v_fmac_f64_e32 v[150:151], v[90:91], v[96:97]
	v_fma_f64 v[148:149], v[88:89], v[96:97], -v[98:99]
	ds_load_b128 v[88:91], v2 offset:752
	s_wait_loadcnt_dscnt 0xb01
	v_mul_f64_e32 v[146:147], v[132:133], v[102:103]
	v_mul_f64_e32 v[102:103], v[134:135], v[102:103]
	scratch_load_b128 v[96:99], off, off offset:352
	v_add_f64_e32 v[4:5], v[4:5], v[140:141]
	v_add_f64_e32 v[8:9], v[8:9], v[144:145]
	s_wait_loadcnt_dscnt 0xb00
	v_mul_f64_e32 v[144:145], v[88:89], v[106:107]
	v_mul_f64_e32 v[106:107], v[90:91], v[106:107]
	ds_load_b128 v[140:143], v2 offset:768
	v_fmac_f64_e32 v[146:147], v[134:135], v[100:101]
	v_fma_f64 v[132:133], v[132:133], v[100:101], -v[102:103]
	scratch_load_b128 v[100:103], off, off offset:368
	v_add_f64_e32 v[4:5], v[4:5], v[148:149]
	v_add_f64_e32 v[8:9], v[8:9], v[150:151]
	v_fmac_f64_e32 v[144:145], v[90:91], v[104:105]
	v_fma_f64 v[150:151], v[88:89], v[104:105], -v[106:107]
	ds_load_b128 v[88:91], v2 offset:784
	s_wait_loadcnt_dscnt 0xb01
	v_mul_f64_e32 v[148:149], v[140:141], v[110:111]
	v_mul_f64_e32 v[110:111], v[142:143], v[110:111]
	scratch_load_b128 v[104:107], off, off offset:384
	v_add_f64_e32 v[4:5], v[4:5], v[132:133]
	v_add_f64_e32 v[8:9], v[8:9], v[146:147]
	s_wait_loadcnt_dscnt 0xb00
	v_mul_f64_e32 v[146:147], v[88:89], v[114:115]
	v_mul_f64_e32 v[114:115], v[90:91], v[114:115]
	ds_load_b128 v[132:135], v2 offset:800
	;; [unrolled: 18-line block ×3, first 2 shown]
	v_fmac_f64_e32 v[144:145], v[134:135], v[116:117]
	v_fma_f64 v[132:133], v[132:133], v[116:117], -v[118:119]
	scratch_load_b128 v[116:119], off, off offset:432
	v_add_f64_e32 v[4:5], v[4:5], v[150:151]
	v_add_f64_e32 v[8:9], v[8:9], v[146:147]
	v_fmac_f64_e32 v[148:149], v[90:91], v[124:125]
	v_fma_f64 v[150:151], v[88:89], v[124:125], -v[126:127]
	ds_load_b128 v[88:91], v2 offset:848
	s_wait_loadcnt_dscnt 0x901
	v_mul_f64_e32 v[146:147], v[140:141], v[12:13]
	v_mul_f64_e32 v[12:13], v[142:143], v[12:13]
	scratch_load_b128 v[124:127], off, off offset:448
	v_add_f64_e32 v[4:5], v[4:5], v[132:133]
	v_add_f64_e32 v[8:9], v[8:9], v[144:145]
	s_wait_dscnt 0x0
	v_mul_f64_e32 v[144:145], v[88:89], v[138:139]
	v_mul_f64_e32 v[138:139], v[90:91], v[138:139]
	ds_load_b128 v[132:135], v2 offset:864
	v_fmac_f64_e32 v[146:147], v[142:143], v[10:11]
	v_fma_f64 v[12:13], v[140:141], v[10:11], -v[12:13]
	v_add_f64_e32 v[4:5], v[4:5], v[150:151]
	v_add_f64_e32 v[140:141], v[8:9], v[148:149]
	scratch_load_b128 v[8:11], off, off offset:464
	v_fmac_f64_e32 v[144:145], v[90:91], v[136:137]
	v_fma_f64 v[90:91], v[88:89], v[136:137], -v[138:139]
	scratch_load_b128 v[136:139], off, off offset:480
	v_add_f64_e32 v[4:5], v[4:5], v[12:13]
	v_add_f64_e32 v[12:13], v[140:141], v[146:147]
	ds_load_b128 v[140:143], v2 offset:896
	s_wait_loadcnt_dscnt 0xb01
	v_mul_f64_e32 v[148:149], v[132:133], v[86:87]
	v_mul_f64_e32 v[150:151], v[134:135], v[86:87]
	ds_load_b128 v[86:89], v2 offset:880
	s_wait_loadcnt_dscnt 0xa00
	v_mul_f64_e32 v[146:147], v[86:87], v[122:123]
	v_mul_f64_e32 v[122:123], v[88:89], v[122:123]
	v_add_f64_e32 v[4:5], v[4:5], v[90:91]
	v_add_f64_e32 v[12:13], v[12:13], v[144:145]
	s_wait_loadcnt 0x9
	v_mul_f64_e32 v[144:145], v[140:141], v[94:95]
	v_fmac_f64_e32 v[148:149], v[134:135], v[84:85]
	v_fma_f64 v[84:85], v[132:133], v[84:85], -v[150:151]
	scratch_load_b128 v[132:135], off, off offset:496
	v_mul_f64_e32 v[94:95], v[142:143], v[94:95]
	v_fmac_f64_e32 v[146:147], v[88:89], v[120:121]
	v_fma_f64 v[150:151], v[86:87], v[120:121], -v[122:123]
	scratch_load_b128 v[88:91], off, off offset:512
	ds_load_b128 v[120:123], v2 offset:928
	v_fmac_f64_e32 v[144:145], v[142:143], v[92:93]
	v_add_f64_e32 v[12:13], v[12:13], v[148:149]
	v_add_f64_e32 v[4:5], v[4:5], v[84:85]
	ds_load_b128 v[84:87], v2 offset:912
	v_fma_f64 v[140:141], v[140:141], v[92:93], -v[94:95]
	scratch_load_b128 v[92:95], off, off offset:528
	s_wait_loadcnt_dscnt 0xb00
	v_mul_f64_e32 v[148:149], v[84:85], v[98:99]
	v_mul_f64_e32 v[98:99], v[86:87], v[98:99]
	v_add_f64_e32 v[12:13], v[12:13], v[146:147]
	v_add_f64_e32 v[4:5], v[4:5], v[150:151]
	s_wait_loadcnt 0xa
	v_mul_f64_e32 v[146:147], v[120:121], v[102:103]
	v_mul_f64_e32 v[102:103], v[122:123], v[102:103]
	v_fmac_f64_e32 v[148:149], v[86:87], v[96:97]
	v_fma_f64 v[150:151], v[84:85], v[96:97], -v[98:99]
	ds_load_b128 v[84:87], v2 offset:944
	scratch_load_b128 v[96:99], off, off offset:544
	v_add_f64_e32 v[12:13], v[12:13], v[144:145]
	v_add_f64_e32 v[4:5], v[4:5], v[140:141]
	ds_load_b128 v[140:143], v2 offset:960
	v_fmac_f64_e32 v[146:147], v[122:123], v[100:101]
	v_fma_f64 v[100:101], v[120:121], v[100:101], -v[102:103]
	s_wait_loadcnt_dscnt 0xa01
	v_mul_f64_e32 v[144:145], v[84:85], v[106:107]
	v_mul_f64_e32 v[106:107], v[86:87], v[106:107]
	s_wait_loadcnt_dscnt 0x900
	v_mul_f64_e32 v[120:121], v[140:141], v[110:111]
	v_mul_f64_e32 v[110:111], v[142:143], v[110:111]
	v_add_f64_e32 v[12:13], v[12:13], v[148:149]
	v_add_f64_e32 v[4:5], v[4:5], v[150:151]
	v_fmac_f64_e32 v[144:145], v[86:87], v[104:105]
	v_fma_f64 v[104:105], v[84:85], v[104:105], -v[106:107]
	v_fmac_f64_e32 v[120:121], v[142:143], v[108:109]
	v_fma_f64 v[108:109], v[140:141], v[108:109], -v[110:111]
	v_add_f64_e32 v[12:13], v[12:13], v[146:147]
	v_add_f64_e32 v[4:5], v[4:5], v[100:101]
	ds_load_b128 v[84:87], v2 offset:976
	ds_load_b128 v[100:103], v2 offset:992
	s_wait_loadcnt_dscnt 0x801
	v_mul_f64_e32 v[122:123], v[84:85], v[114:115]
	v_mul_f64_e32 v[106:107], v[86:87], v[114:115]
	s_wait_loadcnt_dscnt 0x700
	v_mul_f64_e32 v[110:111], v[100:101], v[118:119]
	v_mul_f64_e32 v[114:115], v[102:103], v[118:119]
	v_add_f64_e32 v[12:13], v[12:13], v[144:145]
	v_add_f64_e32 v[4:5], v[4:5], v[104:105]
	v_fmac_f64_e32 v[122:123], v[86:87], v[112:113]
	v_fma_f64 v[112:113], v[84:85], v[112:113], -v[106:107]
	ds_load_b128 v[84:87], v2 offset:1008
	ds_load_b128 v[104:107], v2 offset:1024
	v_fmac_f64_e32 v[110:111], v[102:103], v[116:117]
	v_fma_f64 v[100:101], v[100:101], v[116:117], -v[114:115]
	v_add_f64_e32 v[12:13], v[12:13], v[120:121]
	v_add_f64_e32 v[4:5], v[4:5], v[108:109]
	s_wait_loadcnt_dscnt 0x601
	v_mul_f64_e32 v[108:109], v[84:85], v[126:127]
	v_mul_f64_e32 v[118:119], v[86:87], v[126:127]
	s_wait_loadcnt_dscnt 0x500
	v_mul_f64_e32 v[102:103], v[104:105], v[10:11]
	v_add_f64_e32 v[12:13], v[12:13], v[122:123]
	v_add_f64_e32 v[4:5], v[4:5], v[112:113]
	v_mul_f64_e32 v[112:113], v[106:107], v[10:11]
	v_fmac_f64_e32 v[108:109], v[86:87], v[124:125]
	v_fma_f64 v[114:115], v[84:85], v[124:125], -v[118:119]
	v_fmac_f64_e32 v[102:103], v[106:107], v[8:9]
	v_add_f64_e32 v[4:5], v[4:5], v[100:101]
	v_add_f64_e32 v[100:101], v[12:13], v[110:111]
	ds_load_b128 v[10:13], v2 offset:1040
	ds_load_b128 v[84:87], v2 offset:1056
	v_fma_f64 v[8:9], v[104:105], v[8:9], -v[112:113]
	s_wait_loadcnt_dscnt 0x401
	v_mul_f64_e32 v[110:111], v[10:11], v[138:139]
	v_mul_f64_e32 v[116:117], v[12:13], v[138:139]
	v_add_f64_e32 v[4:5], v[4:5], v[114:115]
	v_add_f64_e32 v[100:101], v[100:101], v[108:109]
	s_wait_loadcnt_dscnt 0x300
	v_mul_f64_e32 v[104:105], v[84:85], v[134:135]
	v_mul_f64_e32 v[106:107], v[86:87], v[134:135]
	v_fmac_f64_e32 v[110:111], v[12:13], v[136:137]
	v_fma_f64 v[12:13], v[10:11], v[136:137], -v[116:117]
	v_add_f64_e32 v[4:5], v[4:5], v[8:9]
	v_add_f64_e32 v[108:109], v[100:101], v[102:103]
	ds_load_b128 v[8:11], v2 offset:1072
	ds_load_b128 v[100:103], v2 offset:1088
	v_fmac_f64_e32 v[104:105], v[86:87], v[132:133]
	v_fma_f64 v[84:85], v[84:85], v[132:133], -v[106:107]
	s_wait_loadcnt_dscnt 0x201
	v_mul_f64_e32 v[112:113], v[8:9], v[90:91]
	v_mul_f64_e32 v[90:91], v[10:11], v[90:91]
	s_wait_loadcnt_dscnt 0x100
	v_mul_f64_e32 v[86:87], v[100:101], v[94:95]
	v_mul_f64_e32 v[94:95], v[102:103], v[94:95]
	v_add_f64_e32 v[4:5], v[4:5], v[12:13]
	v_add_f64_e32 v[12:13], v[108:109], v[110:111]
	v_fmac_f64_e32 v[112:113], v[10:11], v[88:89]
	v_fma_f64 v[88:89], v[8:9], v[88:89], -v[90:91]
	ds_load_b128 v[8:11], v2 offset:1104
	v_fmac_f64_e32 v[86:87], v[102:103], v[92:93]
	v_fma_f64 v[92:93], v[100:101], v[92:93], -v[94:95]
	v_add_f64_e32 v[4:5], v[4:5], v[84:85]
	v_add_f64_e32 v[12:13], v[12:13], v[104:105]
	s_wait_loadcnt_dscnt 0x0
	v_mul_f64_e32 v[84:85], v[8:9], v[98:99]
	v_mul_f64_e32 v[90:91], v[10:11], v[98:99]
	s_delay_alu instid0(VALU_DEP_4) | instskip(NEXT) | instid1(VALU_DEP_4)
	v_add_f64_e32 v[4:5], v[4:5], v[88:89]
	v_add_f64_e32 v[12:13], v[12:13], v[112:113]
	s_delay_alu instid0(VALU_DEP_4) | instskip(NEXT) | instid1(VALU_DEP_4)
	v_fmac_f64_e32 v[84:85], v[10:11], v[96:97]
	v_fma_f64 v[8:9], v[8:9], v[96:97], -v[90:91]
	s_delay_alu instid0(VALU_DEP_4) | instskip(NEXT) | instid1(VALU_DEP_4)
	v_add_f64_e32 v[4:5], v[4:5], v[92:93]
	v_add_f64_e32 v[10:11], v[12:13], v[86:87]
	s_delay_alu instid0(VALU_DEP_2) | instskip(NEXT) | instid1(VALU_DEP_2)
	v_add_f64_e32 v[4:5], v[4:5], v[8:9]
	v_add_f64_e32 v[10:11], v[10:11], v[84:85]
	s_delay_alu instid0(VALU_DEP_2) | instskip(NEXT) | instid1(VALU_DEP_2)
	v_add_f64_e64 v[8:9], v[128:129], -v[4:5]
	v_add_f64_e64 v[10:11], v[130:131], -v[10:11]
	scratch_store_b128 off, v[8:11], off offset:80
	s_wait_xcnt 0x0
	v_cmpx_lt_u32_e32 4, v1
	s_cbranch_execz .LBB34_215
; %bb.214:
	scratch_load_b128 v[8:11], off, s25
	v_dual_mov_b32 v3, v2 :: v_dual_mov_b32 v4, v2
	v_mov_b32_e32 v5, v2
	scratch_store_b128 off, v[2:5], off offset:64
	s_wait_loadcnt 0x0
	ds_store_b128 v6, v[8:11]
.LBB34_215:
	s_wait_xcnt 0x0
	s_or_b32 exec_lo, exec_lo, s2
	s_wait_storecnt_dscnt 0x0
	s_barrier_signal -1
	s_barrier_wait -1
	s_clause 0x9
	scratch_load_b128 v[8:11], off, off offset:80
	scratch_load_b128 v[84:87], off, off offset:96
	;; [unrolled: 1-line block ×10, first 2 shown]
	ds_load_b128 v[120:123], v2 offset:640
	ds_load_b128 v[128:131], v2 offset:656
	s_clause 0x1
	scratch_load_b128 v[124:127], off, off offset:240
	scratch_load_b128 v[132:135], off, off offset:64
	s_mov_b32 s2, exec_lo
	s_wait_loadcnt_dscnt 0xb01
	v_mul_f64_e32 v[4:5], v[122:123], v[10:11]
	v_mul_f64_e32 v[144:145], v[120:121], v[10:11]
	scratch_load_b128 v[10:13], off, off offset:256
	s_wait_loadcnt_dscnt 0xb00
	v_mul_f64_e32 v[146:147], v[128:129], v[86:87]
	v_mul_f64_e32 v[86:87], v[130:131], v[86:87]
	v_fma_f64 v[4:5], v[120:121], v[8:9], -v[4:5]
	v_fmac_f64_e32 v[144:145], v[122:123], v[8:9]
	ds_load_b128 v[120:123], v2 offset:672
	ds_load_b128 v[136:139], v2 offset:688
	scratch_load_b128 v[140:143], off, off offset:272
	v_fmac_f64_e32 v[146:147], v[130:131], v[84:85]
	v_fma_f64 v[128:129], v[128:129], v[84:85], -v[86:87]
	scratch_load_b128 v[84:87], off, off offset:288
	s_wait_loadcnt_dscnt 0xc01
	v_mul_f64_e32 v[8:9], v[120:121], v[90:91]
	v_mul_f64_e32 v[90:91], v[122:123], v[90:91]
	v_add_f64_e32 v[4:5], 0, v[4:5]
	v_add_f64_e32 v[130:131], 0, v[144:145]
	s_wait_loadcnt_dscnt 0xb00
	v_mul_f64_e32 v[144:145], v[136:137], v[94:95]
	v_mul_f64_e32 v[94:95], v[138:139], v[94:95]
	v_fmac_f64_e32 v[8:9], v[122:123], v[88:89]
	v_fma_f64 v[148:149], v[120:121], v[88:89], -v[90:91]
	ds_load_b128 v[88:91], v2 offset:704
	ds_load_b128 v[120:123], v2 offset:720
	v_add_f64_e32 v[4:5], v[4:5], v[128:129]
	v_add_f64_e32 v[146:147], v[130:131], v[146:147]
	scratch_load_b128 v[128:131], off, off offset:304
	v_fmac_f64_e32 v[144:145], v[138:139], v[92:93]
	v_fma_f64 v[136:137], v[136:137], v[92:93], -v[94:95]
	scratch_load_b128 v[92:95], off, off offset:320
	s_wait_loadcnt_dscnt 0xc01
	v_mul_f64_e32 v[150:151], v[88:89], v[98:99]
	v_mul_f64_e32 v[98:99], v[90:91], v[98:99]
	v_add_f64_e32 v[4:5], v[4:5], v[148:149]
	v_add_f64_e32 v[8:9], v[146:147], v[8:9]
	s_wait_loadcnt_dscnt 0xb00
	v_mul_f64_e32 v[146:147], v[120:121], v[102:103]
	v_mul_f64_e32 v[102:103], v[122:123], v[102:103]
	v_fmac_f64_e32 v[150:151], v[90:91], v[96:97]
	v_fma_f64 v[148:149], v[88:89], v[96:97], -v[98:99]
	ds_load_b128 v[88:91], v2 offset:736
	ds_load_b128 v[96:99], v2 offset:752
	v_add_f64_e32 v[4:5], v[4:5], v[136:137]
	v_add_f64_e32 v[8:9], v[8:9], v[144:145]
	scratch_load_b128 v[136:139], off, off offset:336
	s_wait_loadcnt_dscnt 0xb01
	v_mul_f64_e32 v[144:145], v[88:89], v[106:107]
	v_mul_f64_e32 v[106:107], v[90:91], v[106:107]
	v_fmac_f64_e32 v[146:147], v[122:123], v[100:101]
	v_fma_f64 v[120:121], v[120:121], v[100:101], -v[102:103]
	scratch_load_b128 v[100:103], off, off offset:352
	v_add_f64_e32 v[4:5], v[4:5], v[148:149]
	v_add_f64_e32 v[8:9], v[8:9], v[150:151]
	s_wait_loadcnt_dscnt 0xb00
	v_mul_f64_e32 v[148:149], v[96:97], v[110:111]
	v_mul_f64_e32 v[110:111], v[98:99], v[110:111]
	v_fmac_f64_e32 v[144:145], v[90:91], v[104:105]
	v_fma_f64 v[150:151], v[88:89], v[104:105], -v[106:107]
	ds_load_b128 v[88:91], v2 offset:768
	ds_load_b128 v[104:107], v2 offset:784
	v_add_f64_e32 v[4:5], v[4:5], v[120:121]
	v_add_f64_e32 v[8:9], v[8:9], v[146:147]
	scratch_load_b128 v[120:123], off, off offset:368
	s_wait_loadcnt_dscnt 0xb01
	v_mul_f64_e32 v[146:147], v[88:89], v[114:115]
	v_mul_f64_e32 v[114:115], v[90:91], v[114:115]
	v_fmac_f64_e32 v[148:149], v[98:99], v[108:109]
	v_fma_f64 v[108:109], v[96:97], v[108:109], -v[110:111]
	scratch_load_b128 v[96:99], off, off offset:384
	v_add_f64_e32 v[4:5], v[4:5], v[150:151]
	v_add_f64_e32 v[8:9], v[8:9], v[144:145]
	s_wait_loadcnt_dscnt 0xb00
	v_mul_f64_e32 v[144:145], v[104:105], v[118:119]
	v_mul_f64_e32 v[118:119], v[106:107], v[118:119]
	v_fmac_f64_e32 v[146:147], v[90:91], v[112:113]
	v_fma_f64 v[150:151], v[88:89], v[112:113], -v[114:115]
	v_add_f64_e32 v[4:5], v[4:5], v[108:109]
	v_add_f64_e32 v[8:9], v[8:9], v[148:149]
	ds_load_b128 v[88:91], v2 offset:800
	ds_load_b128 v[108:111], v2 offset:816
	scratch_load_b128 v[112:115], off, off offset:400
	v_fmac_f64_e32 v[144:145], v[106:107], v[116:117]
	v_fma_f64 v[116:117], v[104:105], v[116:117], -v[118:119]
	scratch_load_b128 v[104:107], off, off offset:416
	s_wait_loadcnt_dscnt 0xc01
	v_mul_f64_e32 v[148:149], v[88:89], v[126:127]
	v_mul_f64_e32 v[126:127], v[90:91], v[126:127]
	v_add_f64_e32 v[4:5], v[4:5], v[150:151]
	v_add_f64_e32 v[8:9], v[8:9], v[146:147]
	s_wait_loadcnt_dscnt 0xa00
	v_mul_f64_e32 v[146:147], v[108:109], v[12:13]
	v_mul_f64_e32 v[12:13], v[110:111], v[12:13]
	v_fmac_f64_e32 v[148:149], v[90:91], v[124:125]
	v_fma_f64 v[150:151], v[88:89], v[124:125], -v[126:127]
	v_add_f64_e32 v[4:5], v[4:5], v[116:117]
	v_add_f64_e32 v[8:9], v[8:9], v[144:145]
	ds_load_b128 v[88:91], v2 offset:832
	ds_load_b128 v[116:119], v2 offset:848
	scratch_load_b128 v[124:127], off, off offset:432
	v_fmac_f64_e32 v[146:147], v[110:111], v[10:11]
	v_fma_f64 v[12:13], v[108:109], v[10:11], -v[12:13]
	s_wait_loadcnt_dscnt 0xa01
	v_mul_f64_e32 v[144:145], v[88:89], v[142:143]
	v_mul_f64_e32 v[142:143], v[90:91], v[142:143]
	v_add_f64_e32 v[4:5], v[4:5], v[150:151]
	v_add_f64_e32 v[108:109], v[8:9], v[148:149]
	scratch_load_b128 v[8:11], off, off offset:448
	s_wait_loadcnt_dscnt 0xa00
	v_mul_f64_e32 v[148:149], v[116:117], v[86:87]
	v_mul_f64_e32 v[150:151], v[118:119], v[86:87]
	v_fmac_f64_e32 v[144:145], v[90:91], v[140:141]
	v_fma_f64 v[90:91], v[88:89], v[140:141], -v[142:143]
	v_add_f64_e32 v[4:5], v[4:5], v[12:13]
	v_add_f64_e32 v[12:13], v[108:109], v[146:147]
	ds_load_b128 v[86:89], v2 offset:864
	ds_load_b128 v[108:111], v2 offset:880
	scratch_load_b128 v[140:143], off, off offset:464
	v_fmac_f64_e32 v[148:149], v[118:119], v[84:85]
	v_fma_f64 v[84:85], v[116:117], v[84:85], -v[150:151]
	scratch_load_b128 v[116:119], off, off offset:480
	s_wait_loadcnt_dscnt 0xb01
	v_mul_f64_e32 v[146:147], v[86:87], v[130:131]
	v_mul_f64_e32 v[130:131], v[88:89], v[130:131]
	v_add_f64_e32 v[4:5], v[4:5], v[90:91]
	v_add_f64_e32 v[12:13], v[12:13], v[144:145]
	s_wait_loadcnt_dscnt 0xa00
	v_mul_f64_e32 v[144:145], v[108:109], v[94:95]
	v_mul_f64_e32 v[94:95], v[110:111], v[94:95]
	v_fmac_f64_e32 v[146:147], v[88:89], v[128:129]
	v_fma_f64 v[150:151], v[86:87], v[128:129], -v[130:131]
	v_add_f64_e32 v[4:5], v[4:5], v[84:85]
	v_add_f64_e32 v[12:13], v[12:13], v[148:149]
	ds_load_b128 v[84:87], v2 offset:896
	ds_load_b128 v[88:91], v2 offset:912
	scratch_load_b128 v[128:131], off, off offset:496
	v_fmac_f64_e32 v[144:145], v[110:111], v[92:93]
	v_fma_f64 v[108:109], v[108:109], v[92:93], -v[94:95]
	scratch_load_b128 v[92:95], off, off offset:512
	s_wait_loadcnt_dscnt 0xb01
	v_mul_f64_e32 v[148:149], v[84:85], v[138:139]
	v_mul_f64_e32 v[138:139], v[86:87], v[138:139]
	v_add_f64_e32 v[4:5], v[4:5], v[150:151]
	v_add_f64_e32 v[12:13], v[12:13], v[146:147]
	s_wait_loadcnt_dscnt 0xa00
	v_mul_f64_e32 v[146:147], v[88:89], v[102:103]
	v_mul_f64_e32 v[102:103], v[90:91], v[102:103]
	v_fmac_f64_e32 v[148:149], v[86:87], v[136:137]
	v_fma_f64 v[150:151], v[84:85], v[136:137], -v[138:139]
	v_add_f64_e32 v[4:5], v[4:5], v[108:109]
	v_add_f64_e32 v[12:13], v[12:13], v[144:145]
	ds_load_b128 v[84:87], v2 offset:928
	ds_load_b128 v[108:111], v2 offset:944
	scratch_load_b128 v[136:139], off, off offset:528
	v_fmac_f64_e32 v[146:147], v[90:91], v[100:101]
	v_fma_f64 v[100:101], v[88:89], v[100:101], -v[102:103]
	scratch_load_b128 v[88:91], off, off offset:544
	s_wait_loadcnt_dscnt 0xb01
	v_mul_f64_e32 v[144:145], v[84:85], v[122:123]
	v_mul_f64_e32 v[122:123], v[86:87], v[122:123]
	s_wait_loadcnt_dscnt 0xa00
	v_mul_f64_e32 v[102:103], v[108:109], v[98:99]
	v_add_f64_e32 v[4:5], v[4:5], v[150:151]
	v_add_f64_e32 v[12:13], v[12:13], v[148:149]
	v_mul_f64_e32 v[148:149], v[110:111], v[98:99]
	v_fmac_f64_e32 v[144:145], v[86:87], v[120:121]
	v_fma_f64 v[120:121], v[84:85], v[120:121], -v[122:123]
	v_fmac_f64_e32 v[102:103], v[110:111], v[96:97]
	v_add_f64_e32 v[4:5], v[4:5], v[100:101]
	v_add_f64_e32 v[12:13], v[12:13], v[146:147]
	ds_load_b128 v[84:87], v2 offset:960
	ds_load_b128 v[98:101], v2 offset:976
	v_fma_f64 v[96:97], v[108:109], v[96:97], -v[148:149]
	s_wait_loadcnt_dscnt 0x901
	v_mul_f64_e32 v[122:123], v[84:85], v[114:115]
	v_mul_f64_e32 v[114:115], v[86:87], v[114:115]
	s_wait_loadcnt_dscnt 0x800
	v_mul_f64_e32 v[110:111], v[98:99], v[106:107]
	v_add_f64_e32 v[4:5], v[4:5], v[120:121]
	v_add_f64_e32 v[12:13], v[12:13], v[144:145]
	v_mul_f64_e32 v[120:121], v[100:101], v[106:107]
	v_fmac_f64_e32 v[122:123], v[86:87], v[112:113]
	v_fma_f64 v[112:113], v[84:85], v[112:113], -v[114:115]
	ds_load_b128 v[84:87], v2 offset:992
	ds_load_b128 v[106:109], v2 offset:1008
	v_fmac_f64_e32 v[110:111], v[100:101], v[104:105]
	v_add_f64_e32 v[4:5], v[4:5], v[96:97]
	v_add_f64_e32 v[12:13], v[12:13], v[102:103]
	v_fma_f64 v[98:99], v[98:99], v[104:105], -v[120:121]
	s_wait_loadcnt_dscnt 0x701
	v_mul_f64_e32 v[96:97], v[84:85], v[126:127]
	v_mul_f64_e32 v[102:103], v[86:87], v[126:127]
	v_add_f64_e32 v[4:5], v[4:5], v[112:113]
	v_add_f64_e32 v[12:13], v[12:13], v[122:123]
	s_wait_loadcnt_dscnt 0x600
	v_mul_f64_e32 v[100:101], v[106:107], v[10:11]
	v_mul_f64_e32 v[104:105], v[108:109], v[10:11]
	v_fmac_f64_e32 v[96:97], v[86:87], v[124:125]
	v_fma_f64 v[102:103], v[84:85], v[124:125], -v[102:103]
	v_add_f64_e32 v[4:5], v[4:5], v[98:99]
	v_add_f64_e32 v[98:99], v[12:13], v[110:111]
	ds_load_b128 v[10:13], v2 offset:1024
	ds_load_b128 v[84:87], v2 offset:1040
	v_fmac_f64_e32 v[100:101], v[108:109], v[8:9]
	v_fma_f64 v[8:9], v[106:107], v[8:9], -v[104:105]
	s_wait_loadcnt_dscnt 0x501
	v_mul_f64_e32 v[110:111], v[10:11], v[142:143]
	v_mul_f64_e32 v[112:113], v[12:13], v[142:143]
	s_wait_loadcnt_dscnt 0x400
	v_mul_f64_e32 v[104:105], v[86:87], v[118:119]
	v_add_f64_e32 v[4:5], v[4:5], v[102:103]
	v_add_f64_e32 v[96:97], v[98:99], v[96:97]
	v_mul_f64_e32 v[102:103], v[84:85], v[118:119]
	v_fmac_f64_e32 v[110:111], v[12:13], v[140:141]
	v_fma_f64 v[12:13], v[10:11], v[140:141], -v[112:113]
	v_fma_f64 v[84:85], v[84:85], v[116:117], -v[104:105]
	v_add_f64_e32 v[4:5], v[4:5], v[8:9]
	v_add_f64_e32 v[100:101], v[96:97], v[100:101]
	ds_load_b128 v[8:11], v2 offset:1056
	ds_load_b128 v[96:99], v2 offset:1072
	v_fmac_f64_e32 v[102:103], v[86:87], v[116:117]
	s_wait_loadcnt_dscnt 0x301
	v_mul_f64_e32 v[106:107], v[8:9], v[130:131]
	v_mul_f64_e32 v[108:109], v[10:11], v[130:131]
	s_wait_loadcnt_dscnt 0x200
	v_mul_f64_e32 v[86:87], v[96:97], v[94:95]
	v_mul_f64_e32 v[94:95], v[98:99], v[94:95]
	v_add_f64_e32 v[4:5], v[4:5], v[12:13]
	v_add_f64_e32 v[12:13], v[100:101], v[110:111]
	v_fmac_f64_e32 v[106:107], v[10:11], v[128:129]
	v_fma_f64 v[100:101], v[8:9], v[128:129], -v[108:109]
	v_fmac_f64_e32 v[86:87], v[98:99], v[92:93]
	v_fma_f64 v[92:93], v[96:97], v[92:93], -v[94:95]
	v_add_f64_e32 v[84:85], v[4:5], v[84:85]
	v_add_f64_e32 v[12:13], v[12:13], v[102:103]
	ds_load_b128 v[8:11], v2 offset:1088
	ds_load_b128 v[2:5], v2 offset:1104
	s_wait_loadcnt_dscnt 0x101
	v_mul_f64_e32 v[102:103], v[8:9], v[138:139]
	v_mul_f64_e32 v[104:105], v[10:11], v[138:139]
	s_wait_loadcnt_dscnt 0x0
	v_mul_f64_e32 v[94:95], v[2:3], v[90:91]
	v_mul_f64_e32 v[90:91], v[4:5], v[90:91]
	v_add_f64_e32 v[84:85], v[84:85], v[100:101]
	v_add_f64_e32 v[12:13], v[12:13], v[106:107]
	v_fmac_f64_e32 v[102:103], v[10:11], v[136:137]
	v_fma_f64 v[8:9], v[8:9], v[136:137], -v[104:105]
	v_fmac_f64_e32 v[94:95], v[4:5], v[88:89]
	v_fma_f64 v[2:3], v[2:3], v[88:89], -v[90:91]
	v_add_f64_e32 v[10:11], v[84:85], v[92:93]
	v_add_f64_e32 v[12:13], v[12:13], v[86:87]
	s_delay_alu instid0(VALU_DEP_2) | instskip(NEXT) | instid1(VALU_DEP_2)
	v_add_f64_e32 v[4:5], v[10:11], v[8:9]
	v_add_f64_e32 v[8:9], v[12:13], v[102:103]
	s_delay_alu instid0(VALU_DEP_2) | instskip(NEXT) | instid1(VALU_DEP_2)
	;; [unrolled: 3-line block ×3, first 2 shown]
	v_add_f64_e64 v[2:3], v[132:133], -v[2:3]
	v_add_f64_e64 v[4:5], v[134:135], -v[4:5]
	scratch_store_b128 off, v[2:5], off offset:64
	s_wait_xcnt 0x0
	v_cmpx_lt_u32_e32 3, v1
	s_cbranch_execz .LBB34_217
; %bb.216:
	scratch_load_b128 v[2:5], off, s23
	v_mov_b32_e32 v8, 0
	s_delay_alu instid0(VALU_DEP_1)
	v_dual_mov_b32 v9, v8 :: v_dual_mov_b32 v10, v8
	v_mov_b32_e32 v11, v8
	scratch_store_b128 off, v[8:11], off offset:48
	s_wait_loadcnt 0x0
	ds_store_b128 v6, v[2:5]
.LBB34_217:
	s_wait_xcnt 0x0
	s_or_b32 exec_lo, exec_lo, s2
	s_wait_storecnt_dscnt 0x0
	s_barrier_signal -1
	s_barrier_wait -1
	s_clause 0x9
	scratch_load_b128 v[8:11], off, off offset:64
	scratch_load_b128 v[84:87], off, off offset:80
	;; [unrolled: 1-line block ×10, first 2 shown]
	v_mov_b32_e32 v2, 0
	s_mov_b32 s2, exec_lo
	ds_load_b128 v[120:123], v2 offset:624
	s_clause 0x2
	scratch_load_b128 v[124:127], off, off offset:224
	scratch_load_b128 v[128:131], off, off offset:48
	;; [unrolled: 1-line block ×3, first 2 shown]
	s_wait_loadcnt_dscnt 0xc00
	v_mul_f64_e32 v[4:5], v[122:123], v[10:11]
	v_mul_f64_e32 v[144:145], v[120:121], v[10:11]
	ds_load_b128 v[132:135], v2 offset:640
	scratch_load_b128 v[10:13], off, off offset:240
	ds_load_b128 v[140:143], v2 offset:672
	v_fma_f64 v[4:5], v[120:121], v[8:9], -v[4:5]
	v_fmac_f64_e32 v[144:145], v[122:123], v[8:9]
	ds_load_b128 v[120:123], v2 offset:656
	s_wait_loadcnt_dscnt 0xc02
	v_mul_f64_e32 v[146:147], v[132:133], v[86:87]
	v_mul_f64_e32 v[86:87], v[134:135], v[86:87]
	s_wait_loadcnt_dscnt 0xb00
	v_mul_f64_e32 v[8:9], v[120:121], v[90:91]
	v_mul_f64_e32 v[90:91], v[122:123], v[90:91]
	v_add_f64_e32 v[4:5], 0, v[4:5]
	v_fmac_f64_e32 v[146:147], v[134:135], v[84:85]
	v_fma_f64 v[132:133], v[132:133], v[84:85], -v[86:87]
	v_add_f64_e32 v[134:135], 0, v[144:145]
	scratch_load_b128 v[84:87], off, off offset:272
	v_fmac_f64_e32 v[8:9], v[122:123], v[88:89]
	v_fma_f64 v[148:149], v[120:121], v[88:89], -v[90:91]
	ds_load_b128 v[88:91], v2 offset:688
	s_wait_loadcnt 0xb
	v_mul_f64_e32 v[144:145], v[140:141], v[94:95]
	v_mul_f64_e32 v[94:95], v[142:143], v[94:95]
	scratch_load_b128 v[120:123], off, off offset:288
	v_add_f64_e32 v[4:5], v[4:5], v[132:133]
	v_add_f64_e32 v[146:147], v[134:135], v[146:147]
	ds_load_b128 v[132:135], v2 offset:704
	s_wait_loadcnt_dscnt 0xb01
	v_mul_f64_e32 v[150:151], v[88:89], v[98:99]
	v_mul_f64_e32 v[98:99], v[90:91], v[98:99]
	v_fmac_f64_e32 v[144:145], v[142:143], v[92:93]
	v_fma_f64 v[140:141], v[140:141], v[92:93], -v[94:95]
	scratch_load_b128 v[92:95], off, off offset:304
	v_add_f64_e32 v[4:5], v[4:5], v[148:149]
	v_add_f64_e32 v[8:9], v[146:147], v[8:9]
	v_fmac_f64_e32 v[150:151], v[90:91], v[96:97]
	v_fma_f64 v[148:149], v[88:89], v[96:97], -v[98:99]
	ds_load_b128 v[88:91], v2 offset:720
	s_wait_loadcnt_dscnt 0xb01
	v_mul_f64_e32 v[146:147], v[132:133], v[102:103]
	v_mul_f64_e32 v[102:103], v[134:135], v[102:103]
	scratch_load_b128 v[96:99], off, off offset:320
	v_add_f64_e32 v[4:5], v[4:5], v[140:141]
	v_add_f64_e32 v[8:9], v[8:9], v[144:145]
	s_wait_loadcnt_dscnt 0xb00
	v_mul_f64_e32 v[144:145], v[88:89], v[106:107]
	v_mul_f64_e32 v[106:107], v[90:91], v[106:107]
	ds_load_b128 v[140:143], v2 offset:736
	v_fmac_f64_e32 v[146:147], v[134:135], v[100:101]
	v_fma_f64 v[132:133], v[132:133], v[100:101], -v[102:103]
	scratch_load_b128 v[100:103], off, off offset:336
	v_add_f64_e32 v[4:5], v[4:5], v[148:149]
	v_add_f64_e32 v[8:9], v[8:9], v[150:151]
	v_fmac_f64_e32 v[144:145], v[90:91], v[104:105]
	v_fma_f64 v[150:151], v[88:89], v[104:105], -v[106:107]
	ds_load_b128 v[88:91], v2 offset:752
	s_wait_loadcnt_dscnt 0xb01
	v_mul_f64_e32 v[148:149], v[140:141], v[110:111]
	v_mul_f64_e32 v[110:111], v[142:143], v[110:111]
	scratch_load_b128 v[104:107], off, off offset:352
	v_add_f64_e32 v[4:5], v[4:5], v[132:133]
	v_add_f64_e32 v[8:9], v[8:9], v[146:147]
	s_wait_loadcnt_dscnt 0xb00
	v_mul_f64_e32 v[146:147], v[88:89], v[114:115]
	v_mul_f64_e32 v[114:115], v[90:91], v[114:115]
	ds_load_b128 v[132:135], v2 offset:768
	;; [unrolled: 18-line block ×3, first 2 shown]
	v_fmac_f64_e32 v[144:145], v[134:135], v[116:117]
	v_fma_f64 v[132:133], v[132:133], v[116:117], -v[118:119]
	scratch_load_b128 v[116:119], off, off offset:400
	v_add_f64_e32 v[4:5], v[4:5], v[150:151]
	v_add_f64_e32 v[8:9], v[8:9], v[146:147]
	v_fmac_f64_e32 v[148:149], v[90:91], v[124:125]
	v_fma_f64 v[150:151], v[88:89], v[124:125], -v[126:127]
	ds_load_b128 v[88:91], v2 offset:816
	s_wait_loadcnt_dscnt 0x901
	v_mul_f64_e32 v[146:147], v[140:141], v[12:13]
	v_mul_f64_e32 v[12:13], v[142:143], v[12:13]
	scratch_load_b128 v[124:127], off, off offset:416
	v_add_f64_e32 v[4:5], v[4:5], v[132:133]
	v_add_f64_e32 v[8:9], v[8:9], v[144:145]
	s_wait_dscnt 0x0
	v_mul_f64_e32 v[144:145], v[88:89], v[138:139]
	v_mul_f64_e32 v[138:139], v[90:91], v[138:139]
	ds_load_b128 v[132:135], v2 offset:832
	v_fmac_f64_e32 v[146:147], v[142:143], v[10:11]
	v_fma_f64 v[12:13], v[140:141], v[10:11], -v[12:13]
	v_add_f64_e32 v[4:5], v[4:5], v[150:151]
	v_add_f64_e32 v[140:141], v[8:9], v[148:149]
	scratch_load_b128 v[8:11], off, off offset:432
	v_fmac_f64_e32 v[144:145], v[90:91], v[136:137]
	v_fma_f64 v[90:91], v[88:89], v[136:137], -v[138:139]
	scratch_load_b128 v[136:139], off, off offset:448
	v_add_f64_e32 v[4:5], v[4:5], v[12:13]
	v_add_f64_e32 v[12:13], v[140:141], v[146:147]
	ds_load_b128 v[140:143], v2 offset:864
	s_wait_loadcnt_dscnt 0xb01
	v_mul_f64_e32 v[148:149], v[132:133], v[86:87]
	v_mul_f64_e32 v[150:151], v[134:135], v[86:87]
	ds_load_b128 v[86:89], v2 offset:848
	s_wait_loadcnt_dscnt 0xa00
	v_mul_f64_e32 v[146:147], v[86:87], v[122:123]
	v_mul_f64_e32 v[122:123], v[88:89], v[122:123]
	v_add_f64_e32 v[4:5], v[4:5], v[90:91]
	v_add_f64_e32 v[12:13], v[12:13], v[144:145]
	s_wait_loadcnt 0x9
	v_mul_f64_e32 v[144:145], v[140:141], v[94:95]
	v_fmac_f64_e32 v[148:149], v[134:135], v[84:85]
	v_fma_f64 v[84:85], v[132:133], v[84:85], -v[150:151]
	scratch_load_b128 v[132:135], off, off offset:464
	v_mul_f64_e32 v[94:95], v[142:143], v[94:95]
	v_fmac_f64_e32 v[146:147], v[88:89], v[120:121]
	v_fma_f64 v[150:151], v[86:87], v[120:121], -v[122:123]
	scratch_load_b128 v[88:91], off, off offset:480
	ds_load_b128 v[120:123], v2 offset:896
	v_fmac_f64_e32 v[144:145], v[142:143], v[92:93]
	v_add_f64_e32 v[12:13], v[12:13], v[148:149]
	v_add_f64_e32 v[4:5], v[4:5], v[84:85]
	ds_load_b128 v[84:87], v2 offset:880
	v_fma_f64 v[140:141], v[140:141], v[92:93], -v[94:95]
	scratch_load_b128 v[92:95], off, off offset:496
	s_wait_loadcnt_dscnt 0xb00
	v_mul_f64_e32 v[148:149], v[84:85], v[98:99]
	v_mul_f64_e32 v[98:99], v[86:87], v[98:99]
	v_add_f64_e32 v[12:13], v[12:13], v[146:147]
	v_add_f64_e32 v[4:5], v[4:5], v[150:151]
	s_wait_loadcnt 0xa
	v_mul_f64_e32 v[146:147], v[120:121], v[102:103]
	v_mul_f64_e32 v[102:103], v[122:123], v[102:103]
	v_fmac_f64_e32 v[148:149], v[86:87], v[96:97]
	v_fma_f64 v[150:151], v[84:85], v[96:97], -v[98:99]
	ds_load_b128 v[84:87], v2 offset:912
	scratch_load_b128 v[96:99], off, off offset:512
	v_add_f64_e32 v[12:13], v[12:13], v[144:145]
	v_add_f64_e32 v[4:5], v[4:5], v[140:141]
	ds_load_b128 v[140:143], v2 offset:928
	v_fmac_f64_e32 v[146:147], v[122:123], v[100:101]
	v_fma_f64 v[120:121], v[120:121], v[100:101], -v[102:103]
	scratch_load_b128 v[100:103], off, off offset:528
	s_wait_loadcnt_dscnt 0xb01
	v_mul_f64_e32 v[144:145], v[84:85], v[106:107]
	v_mul_f64_e32 v[106:107], v[86:87], v[106:107]
	v_add_f64_e32 v[12:13], v[12:13], v[148:149]
	v_add_f64_e32 v[4:5], v[4:5], v[150:151]
	s_wait_loadcnt_dscnt 0xa00
	v_mul_f64_e32 v[148:149], v[140:141], v[110:111]
	v_mul_f64_e32 v[110:111], v[142:143], v[110:111]
	v_fmac_f64_e32 v[144:145], v[86:87], v[104:105]
	v_fma_f64 v[150:151], v[84:85], v[104:105], -v[106:107]
	ds_load_b128 v[84:87], v2 offset:944
	scratch_load_b128 v[104:107], off, off offset:544
	v_add_f64_e32 v[12:13], v[12:13], v[146:147]
	v_add_f64_e32 v[4:5], v[4:5], v[120:121]
	ds_load_b128 v[120:123], v2 offset:960
	s_wait_loadcnt_dscnt 0xa01
	v_mul_f64_e32 v[146:147], v[84:85], v[114:115]
	v_mul_f64_e32 v[114:115], v[86:87], v[114:115]
	v_fmac_f64_e32 v[148:149], v[142:143], v[108:109]
	v_fma_f64 v[108:109], v[140:141], v[108:109], -v[110:111]
	s_wait_loadcnt_dscnt 0x900
	v_mul_f64_e32 v[140:141], v[120:121], v[118:119]
	v_mul_f64_e32 v[118:119], v[122:123], v[118:119]
	v_add_f64_e32 v[12:13], v[12:13], v[144:145]
	v_add_f64_e32 v[4:5], v[4:5], v[150:151]
	v_fmac_f64_e32 v[146:147], v[86:87], v[112:113]
	v_fma_f64 v[112:113], v[84:85], v[112:113], -v[114:115]
	v_fmac_f64_e32 v[140:141], v[122:123], v[116:117]
	v_fma_f64 v[116:117], v[120:121], v[116:117], -v[118:119]
	v_add_f64_e32 v[12:13], v[12:13], v[148:149]
	v_add_f64_e32 v[4:5], v[4:5], v[108:109]
	ds_load_b128 v[84:87], v2 offset:976
	ds_load_b128 v[108:111], v2 offset:992
	s_wait_loadcnt_dscnt 0x801
	v_mul_f64_e32 v[114:115], v[84:85], v[126:127]
	v_mul_f64_e32 v[126:127], v[86:87], v[126:127]
	s_wait_loadcnt_dscnt 0x700
	v_mul_f64_e32 v[118:119], v[110:111], v[10:11]
	v_add_f64_e32 v[12:13], v[12:13], v[146:147]
	v_add_f64_e32 v[4:5], v[4:5], v[112:113]
	v_mul_f64_e32 v[112:113], v[108:109], v[10:11]
	v_fmac_f64_e32 v[114:115], v[86:87], v[124:125]
	v_fma_f64 v[120:121], v[84:85], v[124:125], -v[126:127]
	s_delay_alu instid0(VALU_DEP_4)
	v_add_f64_e32 v[4:5], v[4:5], v[116:117]
	v_add_f64_e32 v[116:117], v[12:13], v[140:141]
	ds_load_b128 v[10:13], v2 offset:1008
	ds_load_b128 v[84:87], v2 offset:1024
	v_fmac_f64_e32 v[112:113], v[110:111], v[8:9]
	v_fma_f64 v[8:9], v[108:109], v[8:9], -v[118:119]
	s_wait_loadcnt_dscnt 0x601
	v_mul_f64_e32 v[122:123], v[10:11], v[138:139]
	v_mul_f64_e32 v[124:125], v[12:13], v[138:139]
	v_add_f64_e32 v[4:5], v[4:5], v[120:121]
	v_add_f64_e32 v[108:109], v[116:117], v[114:115]
	s_wait_loadcnt_dscnt 0x500
	v_mul_f64_e32 v[114:115], v[84:85], v[134:135]
	v_mul_f64_e32 v[116:117], v[86:87], v[134:135]
	v_fmac_f64_e32 v[122:123], v[12:13], v[136:137]
	v_fma_f64 v[12:13], v[10:11], v[136:137], -v[124:125]
	v_add_f64_e32 v[4:5], v[4:5], v[8:9]
	v_add_f64_e32 v[112:113], v[108:109], v[112:113]
	ds_load_b128 v[8:11], v2 offset:1040
	ds_load_b128 v[108:111], v2 offset:1056
	v_fmac_f64_e32 v[114:115], v[86:87], v[132:133]
	v_fma_f64 v[84:85], v[84:85], v[132:133], -v[116:117]
	s_wait_loadcnt_dscnt 0x401
	v_mul_f64_e32 v[118:119], v[8:9], v[90:91]
	v_mul_f64_e32 v[90:91], v[10:11], v[90:91]
	v_add_f64_e32 v[4:5], v[4:5], v[12:13]
	v_add_f64_e32 v[12:13], v[112:113], v[122:123]
	s_wait_loadcnt_dscnt 0x300
	v_mul_f64_e32 v[112:113], v[108:109], v[94:95]
	v_mul_f64_e32 v[94:95], v[110:111], v[94:95]
	v_fmac_f64_e32 v[118:119], v[10:11], v[88:89]
	v_fma_f64 v[88:89], v[8:9], v[88:89], -v[90:91]
	v_add_f64_e32 v[4:5], v[4:5], v[84:85]
	v_add_f64_e32 v[12:13], v[12:13], v[114:115]
	ds_load_b128 v[8:11], v2 offset:1072
	ds_load_b128 v[84:87], v2 offset:1088
	v_fmac_f64_e32 v[112:113], v[110:111], v[92:93]
	v_fma_f64 v[92:93], v[108:109], v[92:93], -v[94:95]
	s_wait_loadcnt_dscnt 0x201
	v_mul_f64_e32 v[90:91], v[8:9], v[98:99]
	v_mul_f64_e32 v[98:99], v[10:11], v[98:99]
	s_wait_loadcnt_dscnt 0x100
	v_mul_f64_e32 v[94:95], v[86:87], v[102:103]
	v_add_f64_e32 v[4:5], v[4:5], v[88:89]
	v_add_f64_e32 v[12:13], v[12:13], v[118:119]
	v_mul_f64_e32 v[88:89], v[84:85], v[102:103]
	v_fmac_f64_e32 v[90:91], v[10:11], v[96:97]
	v_fma_f64 v[96:97], v[8:9], v[96:97], -v[98:99]
	ds_load_b128 v[8:11], v2 offset:1104
	v_fma_f64 v[84:85], v[84:85], v[100:101], -v[94:95]
	v_add_f64_e32 v[4:5], v[4:5], v[92:93]
	v_add_f64_e32 v[12:13], v[12:13], v[112:113]
	v_fmac_f64_e32 v[88:89], v[86:87], v[100:101]
	s_wait_loadcnt_dscnt 0x0
	v_mul_f64_e32 v[92:93], v[8:9], v[106:107]
	v_mul_f64_e32 v[98:99], v[10:11], v[106:107]
	v_add_f64_e32 v[4:5], v[4:5], v[96:97]
	v_add_f64_e32 v[12:13], v[12:13], v[90:91]
	s_delay_alu instid0(VALU_DEP_4) | instskip(NEXT) | instid1(VALU_DEP_4)
	v_fmac_f64_e32 v[92:93], v[10:11], v[104:105]
	v_fma_f64 v[8:9], v[8:9], v[104:105], -v[98:99]
	s_delay_alu instid0(VALU_DEP_4) | instskip(NEXT) | instid1(VALU_DEP_4)
	v_add_f64_e32 v[4:5], v[4:5], v[84:85]
	v_add_f64_e32 v[10:11], v[12:13], v[88:89]
	s_delay_alu instid0(VALU_DEP_2) | instskip(NEXT) | instid1(VALU_DEP_2)
	v_add_f64_e32 v[4:5], v[4:5], v[8:9]
	v_add_f64_e32 v[10:11], v[10:11], v[92:93]
	s_delay_alu instid0(VALU_DEP_2) | instskip(NEXT) | instid1(VALU_DEP_2)
	v_add_f64_e64 v[8:9], v[128:129], -v[4:5]
	v_add_f64_e64 v[10:11], v[130:131], -v[10:11]
	scratch_store_b128 off, v[8:11], off offset:48
	s_wait_xcnt 0x0
	v_cmpx_lt_u32_e32 2, v1
	s_cbranch_execz .LBB34_219
; %bb.218:
	scratch_load_b128 v[8:11], off, s22
	v_dual_mov_b32 v3, v2 :: v_dual_mov_b32 v4, v2
	v_mov_b32_e32 v5, v2
	scratch_store_b128 off, v[2:5], off offset:32
	s_wait_loadcnt 0x0
	ds_store_b128 v6, v[8:11]
.LBB34_219:
	s_wait_xcnt 0x0
	s_or_b32 exec_lo, exec_lo, s2
	s_wait_storecnt_dscnt 0x0
	s_barrier_signal -1
	s_barrier_wait -1
	s_clause 0x9
	scratch_load_b128 v[8:11], off, off offset:48
	scratch_load_b128 v[84:87], off, off offset:64
	;; [unrolled: 1-line block ×10, first 2 shown]
	ds_load_b128 v[120:123], v2 offset:608
	ds_load_b128 v[124:127], v2 offset:624
	s_clause 0x1
	scratch_load_b128 v[128:131], off, off offset:208
	scratch_load_b128 v[132:135], off, off offset:32
	s_mov_b32 s2, exec_lo
	v_ashrrev_i32_e32 v21, 31, v20
	v_ashrrev_i32_e32 v25, 31, v24
	;; [unrolled: 1-line block ×3, first 2 shown]
	v_dual_ashrrev_i32 v33, 31, v32 :: v_dual_ashrrev_i32 v19, 31, v18
	v_dual_ashrrev_i32 v23, 31, v22 :: v_dual_ashrrev_i32 v37, 31, v36
	v_ashrrev_i32_e32 v41, 31, v40
	v_ashrrev_i32_e32 v45, 31, v44
	v_dual_ashrrev_i32 v49, 31, v48 :: v_dual_ashrrev_i32 v27, 31, v26
	v_ashrrev_i32_e32 v31, 31, v30
	v_ashrrev_i32_e32 v35, 31, v34
	v_dual_ashrrev_i32 v47, 31, v46 :: v_dual_ashrrev_i32 v53, 31, v52
	v_dual_ashrrev_i32 v57, 31, v56 :: v_dual_ashrrev_i32 v39, 31, v38
	;; [unrolled: 1-line block ×5, first 2 shown]
	v_ashrrev_i32_e32 v59, 31, v58
	v_ashrrev_i32_e32 v63, 31, v62
	v_dual_ashrrev_i32 v67, 31, v66 :: v_dual_ashrrev_i32 v73, 31, v72
	v_dual_ashrrev_i32 v77, 31, v76 :: v_dual_ashrrev_i32 v71, 31, v70
	;; [unrolled: 1-line block ×3, first 2 shown]
	v_ashrrev_i32_e32 v79, 31, v78
	v_ashrrev_i32_e32 v83, 31, v82
	s_wait_loadcnt_dscnt 0xb01
	v_mul_f64_e32 v[4:5], v[120:121], v[10:11]
	v_mul_f64_e32 v[136:137], v[122:123], v[10:11]
	s_wait_loadcnt_dscnt 0xa00
	v_mul_f64_e32 v[140:141], v[124:125], v[86:87]
	v_mul_f64_e32 v[86:87], v[126:127], v[86:87]
	ds_load_b128 v[10:13], v2 offset:640
	v_fmac_f64_e32 v[4:5], v[122:123], v[8:9]
	v_fma_f64 v[8:9], v[120:121], v[8:9], -v[136:137]
	scratch_load_b128 v[120:123], off, off offset:224
	ds_load_b128 v[136:139], v2 offset:656
	v_fmac_f64_e32 v[140:141], v[126:127], v[84:85]
	v_fma_f64 v[124:125], v[124:125], v[84:85], -v[86:87]
	s_wait_loadcnt_dscnt 0xa01
	v_mul_f64_e32 v[126:127], v[10:11], v[90:91]
	v_mul_f64_e32 v[90:91], v[12:13], v[90:91]
	scratch_load_b128 v[84:87], off, off offset:240
	s_wait_loadcnt_dscnt 0xa00
	v_mul_f64_e32 v[144:145], v[136:137], v[94:95]
	v_mul_f64_e32 v[94:95], v[138:139], v[94:95]
	v_add_f64_e32 v[4:5], 0, v[4:5]
	v_add_f64_e32 v[142:143], 0, v[8:9]
	v_fmac_f64_e32 v[126:127], v[12:13], v[88:89]
	v_fma_f64 v[12:13], v[10:11], v[88:89], -v[90:91]
	scratch_load_b128 v[88:91], off, off offset:256
	ds_load_b128 v[8:11], v2 offset:672
	v_fmac_f64_e32 v[144:145], v[138:139], v[92:93]
	v_fma_f64 v[136:137], v[136:137], v[92:93], -v[94:95]
	ds_load_b128 v[92:95], v2 offset:688
	s_wait_loadcnt_dscnt 0xa01
	v_mul_f64_e32 v[138:139], v[8:9], v[98:99]
	v_mul_f64_e32 v[98:99], v[10:11], v[98:99]
	v_add_f64_e32 v[4:5], v[4:5], v[140:141]
	v_add_f64_e32 v[124:125], v[142:143], v[124:125]
	s_wait_loadcnt_dscnt 0x900
	v_mul_f64_e32 v[142:143], v[92:93], v[102:103]
	v_mul_f64_e32 v[102:103], v[94:95], v[102:103]
	v_fmac_f64_e32 v[138:139], v[10:11], v[96:97]
	v_fma_f64 v[140:141], v[8:9], v[96:97], -v[98:99]
	scratch_load_b128 v[96:99], off, off offset:288
	v_add_f64_e32 v[4:5], v[4:5], v[126:127]
	v_add_f64_e32 v[12:13], v[124:125], v[12:13]
	scratch_load_b128 v[124:127], off, off offset:272
	ds_load_b128 v[8:11], v2 offset:704
	v_fmac_f64_e32 v[142:143], v[94:95], v[100:101]
	v_add_f64_e32 v[4:5], v[4:5], v[144:145]
	v_add_f64_e32 v[12:13], v[12:13], v[136:137]
	v_fma_f64 v[136:137], v[92:93], v[100:101], -v[102:103]
	ds_load_b128 v[92:95], v2 offset:720
	s_wait_loadcnt_dscnt 0xa01
	v_mul_f64_e32 v[144:145], v[8:9], v[106:107]
	v_mul_f64_e32 v[106:107], v[10:11], v[106:107]
	scratch_load_b128 v[100:103], off, off offset:304
	v_add_f64_e32 v[4:5], v[4:5], v[138:139]
	v_add_f64_e32 v[12:13], v[12:13], v[140:141]
	s_wait_loadcnt_dscnt 0xa00
	v_mul_f64_e32 v[140:141], v[92:93], v[110:111]
	v_mul_f64_e32 v[110:111], v[94:95], v[110:111]
	v_fmac_f64_e32 v[144:145], v[10:11], v[104:105]
	v_fma_f64 v[138:139], v[8:9], v[104:105], -v[106:107]
	scratch_load_b128 v[104:107], off, off offset:320
	ds_load_b128 v[8:11], v2 offset:736
	v_add_f64_e32 v[4:5], v[4:5], v[142:143]
	v_add_f64_e32 v[12:13], v[12:13], v[136:137]
	v_fmac_f64_e32 v[140:141], v[94:95], v[108:109]
	v_fma_f64 v[136:137], v[92:93], v[108:109], -v[110:111]
	ds_load_b128 v[92:95], v2 offset:752
	s_wait_loadcnt_dscnt 0xa01
	v_mul_f64_e32 v[142:143], v[8:9], v[114:115]
	v_mul_f64_e32 v[114:115], v[10:11], v[114:115]
	scratch_load_b128 v[108:111], off, off offset:336
	v_add_f64_e32 v[4:5], v[4:5], v[144:145]
	v_add_f64_e32 v[12:13], v[12:13], v[138:139]
	s_wait_loadcnt_dscnt 0xa00
	v_mul_f64_e32 v[144:145], v[92:93], v[118:119]
	v_mul_f64_e32 v[118:119], v[94:95], v[118:119]
	v_fmac_f64_e32 v[142:143], v[10:11], v[112:113]
	v_fma_f64 v[138:139], v[8:9], v[112:113], -v[114:115]
	scratch_load_b128 v[112:115], off, off offset:352
	ds_load_b128 v[8:11], v2 offset:768
	v_add_f64_e32 v[4:5], v[4:5], v[140:141]
	v_add_f64_e32 v[12:13], v[12:13], v[136:137]
	v_fmac_f64_e32 v[144:145], v[94:95], v[116:117]
	v_fma_f64 v[136:137], v[92:93], v[116:117], -v[118:119]
	ds_load_b128 v[92:95], v2 offset:784
	s_wait_loadcnt_dscnt 0xa01
	v_mul_f64_e32 v[140:141], v[8:9], v[130:131]
	v_mul_f64_e32 v[130:131], v[10:11], v[130:131]
	scratch_load_b128 v[116:119], off, off offset:368
	v_add_f64_e32 v[4:5], v[4:5], v[142:143]
	v_add_f64_e32 v[12:13], v[12:13], v[138:139]
	v_fmac_f64_e32 v[140:141], v[10:11], v[128:129]
	v_fma_f64 v[138:139], v[8:9], v[128:129], -v[130:131]
	scratch_load_b128 v[128:131], off, off offset:384
	ds_load_b128 v[8:11], v2 offset:800
	v_add_f64_e32 v[4:5], v[4:5], v[144:145]
	v_add_f64_e32 v[12:13], v[12:13], v[136:137]
	s_wait_loadcnt_dscnt 0xa01
	v_mul_f64_e32 v[142:143], v[92:93], v[122:123]
	v_mul_f64_e32 v[122:123], v[94:95], v[122:123]
	s_delay_alu instid0(VALU_DEP_4) | instskip(NEXT) | instid1(VALU_DEP_4)
	v_add_f64_e32 v[4:5], v[4:5], v[140:141]
	v_add_f64_e32 v[12:13], v[12:13], v[138:139]
	s_delay_alu instid0(VALU_DEP_4) | instskip(NEXT) | instid1(VALU_DEP_4)
	v_fmac_f64_e32 v[142:143], v[94:95], v[120:121]
	v_fma_f64 v[136:137], v[92:93], v[120:121], -v[122:123]
	ds_load_b128 v[92:95], v2 offset:816
	s_wait_loadcnt_dscnt 0x901
	v_mul_f64_e32 v[144:145], v[8:9], v[86:87]
	v_mul_f64_e32 v[86:87], v[10:11], v[86:87]
	scratch_load_b128 v[120:123], off, off offset:400
	s_wait_loadcnt_dscnt 0x900
	v_mul_f64_e32 v[140:141], v[92:93], v[90:91]
	v_mul_f64_e32 v[90:91], v[94:95], v[90:91]
	v_add_f64_e32 v[4:5], v[4:5], v[142:143]
	v_add_f64_e32 v[12:13], v[12:13], v[136:137]
	v_fmac_f64_e32 v[144:145], v[10:11], v[84:85]
	v_fma_f64 v[138:139], v[8:9], v[84:85], -v[86:87]
	scratch_load_b128 v[84:87], off, off offset:416
	ds_load_b128 v[8:11], v2 offset:832
	v_fmac_f64_e32 v[140:141], v[94:95], v[88:89]
	v_fma_f64 v[136:137], v[92:93], v[88:89], -v[90:91]
	ds_load_b128 v[88:91], v2 offset:848
	scratch_load_b128 v[92:95], off, off offset:432
	s_wait_loadcnt_dscnt 0x901
	v_mul_f64_e32 v[142:143], v[8:9], v[126:127]
	v_mul_f64_e32 v[126:127], v[10:11], v[126:127]
	v_add_f64_e32 v[4:5], v[4:5], v[144:145]
	v_add_f64_e32 v[12:13], v[12:13], v[138:139]
	s_wait_dscnt 0x0
	v_mul_f64_e32 v[144:145], v[88:89], v[98:99]
	v_mul_f64_e32 v[98:99], v[90:91], v[98:99]
	v_fmac_f64_e32 v[142:143], v[10:11], v[124:125]
	v_fma_f64 v[138:139], v[8:9], v[124:125], -v[126:127]
	scratch_load_b128 v[124:127], off, off offset:448
	v_add_f64_e32 v[4:5], v[4:5], v[140:141]
	v_add_f64_e32 v[12:13], v[12:13], v[136:137]
	ds_load_b128 v[8:11], v2 offset:864
	v_fmac_f64_e32 v[144:145], v[90:91], v[96:97]
	v_fma_f64 v[136:137], v[88:89], v[96:97], -v[98:99]
	ds_load_b128 v[88:91], v2 offset:880
	scratch_load_b128 v[96:99], off, off offset:464
	s_wait_loadcnt_dscnt 0xa01
	v_mul_f64_e32 v[140:141], v[8:9], v[102:103]
	v_mul_f64_e32 v[102:103], v[10:11], v[102:103]
	v_add_f64_e32 v[4:5], v[4:5], v[142:143]
	v_add_f64_e32 v[12:13], v[12:13], v[138:139]
	s_wait_loadcnt_dscnt 0x900
	v_mul_f64_e32 v[142:143], v[88:89], v[106:107]
	v_mul_f64_e32 v[106:107], v[90:91], v[106:107]
	v_fmac_f64_e32 v[140:141], v[10:11], v[100:101]
	v_fma_f64 v[138:139], v[8:9], v[100:101], -v[102:103]
	scratch_load_b128 v[8:11], off, off offset:480
	ds_load_b128 v[100:103], v2 offset:896
	v_add_f64_e32 v[4:5], v[4:5], v[144:145]
	v_add_f64_e32 v[12:13], v[12:13], v[136:137]
	v_fmac_f64_e32 v[142:143], v[90:91], v[104:105]
	v_fma_f64 v[136:137], v[88:89], v[104:105], -v[106:107]
	ds_load_b128 v[88:91], v2 offset:912
	scratch_load_b128 v[104:107], off, off offset:496
	s_wait_loadcnt_dscnt 0xa01
	v_mul_f64_e32 v[144:145], v[100:101], v[110:111]
	v_mul_f64_e32 v[110:111], v[102:103], v[110:111]
	v_add_f64_e32 v[4:5], v[4:5], v[140:141]
	v_add_f64_e32 v[12:13], v[12:13], v[138:139]
	s_wait_loadcnt_dscnt 0x900
	v_mul_f64_e32 v[140:141], v[88:89], v[114:115]
	v_mul_f64_e32 v[114:115], v[90:91], v[114:115]
	v_fmac_f64_e32 v[144:145], v[102:103], v[108:109]
	v_fma_f64 v[138:139], v[100:101], v[108:109], -v[110:111]
	scratch_load_b128 v[100:103], off, off offset:512
	ds_load_b128 v[108:111], v2 offset:928
	v_add_f64_e32 v[4:5], v[4:5], v[142:143]
	v_add_f64_e32 v[12:13], v[12:13], v[136:137]
	v_fmac_f64_e32 v[140:141], v[90:91], v[112:113]
	v_fma_f64 v[136:137], v[88:89], v[112:113], -v[114:115]
	ds_load_b128 v[88:91], v2 offset:944
	s_wait_loadcnt_dscnt 0x901
	v_mul_f64_e32 v[142:143], v[108:109], v[118:119]
	v_mul_f64_e32 v[118:119], v[110:111], v[118:119]
	scratch_load_b128 v[112:115], off, off offset:528
	v_add_f64_e32 v[4:5], v[4:5], v[144:145]
	v_add_f64_e32 v[12:13], v[12:13], v[138:139]
	s_wait_loadcnt_dscnt 0x900
	v_mul_f64_e32 v[144:145], v[88:89], v[130:131]
	v_mul_f64_e32 v[130:131], v[90:91], v[130:131]
	v_fmac_f64_e32 v[142:143], v[110:111], v[116:117]
	v_fma_f64 v[138:139], v[108:109], v[116:117], -v[118:119]
	scratch_load_b128 v[108:111], off, off offset:544
	ds_load_b128 v[116:119], v2 offset:960
	v_add_f64_e32 v[4:5], v[4:5], v[140:141]
	v_add_f64_e32 v[12:13], v[12:13], v[136:137]
	v_fmac_f64_e32 v[144:145], v[90:91], v[128:129]
	v_fma_f64 v[128:129], v[88:89], v[128:129], -v[130:131]
	ds_load_b128 v[88:91], v2 offset:976
	v_add_f64_e32 v[4:5], v[4:5], v[142:143]
	v_add_f64_e32 v[12:13], v[12:13], v[138:139]
	s_wait_loadcnt_dscnt 0x901
	v_mul_f64_e32 v[130:131], v[116:117], v[122:123]
	v_mul_f64_e32 v[122:123], v[118:119], v[122:123]
	s_delay_alu instid0(VALU_DEP_4) | instskip(NEXT) | instid1(VALU_DEP_4)
	v_add_f64_e32 v[4:5], v[4:5], v[144:145]
	v_add_f64_e32 v[12:13], v[12:13], v[128:129]
	s_wait_loadcnt_dscnt 0x800
	v_mul_f64_e32 v[136:137], v[88:89], v[86:87]
	v_mul_f64_e32 v[86:87], v[90:91], v[86:87]
	v_fmac_f64_e32 v[130:131], v[118:119], v[120:121]
	v_fma_f64 v[138:139], v[116:117], v[120:121], -v[122:123]
	ds_load_b128 v[116:119], v2 offset:992
	ds_load_b128 v[120:123], v2 offset:1008
	s_wait_loadcnt_dscnt 0x701
	v_mul_f64_e32 v[128:129], v[116:117], v[94:95]
	v_mul_f64_e32 v[94:95], v[118:119], v[94:95]
	v_fmac_f64_e32 v[136:137], v[90:91], v[84:85]
	v_fma_f64 v[84:85], v[88:89], v[84:85], -v[86:87]
	v_add_f64_e32 v[4:5], v[4:5], v[130:131]
	v_add_f64_e32 v[12:13], v[12:13], v[138:139]
	v_fmac_f64_e32 v[128:129], v[118:119], v[92:93]
	v_fma_f64 v[92:93], v[116:117], v[92:93], -v[94:95]
	s_wait_loadcnt_dscnt 0x600
	v_mul_f64_e32 v[130:131], v[120:121], v[126:127]
	v_mul_f64_e32 v[126:127], v[122:123], v[126:127]
	v_add_f64_e32 v[4:5], v[4:5], v[136:137]
	v_add_f64_e32 v[12:13], v[12:13], v[84:85]
	ds_load_b128 v[84:87], v2 offset:1024
	ds_load_b128 v[88:91], v2 offset:1040
	s_wait_loadcnt_dscnt 0x501
	v_mul_f64_e32 v[94:95], v[84:85], v[98:99]
	v_mul_f64_e32 v[98:99], v[86:87], v[98:99]
	v_fmac_f64_e32 v[130:131], v[122:123], v[124:125]
	v_fma_f64 v[116:117], v[120:121], v[124:125], -v[126:127]
	v_add_f64_e32 v[4:5], v[4:5], v[128:129]
	v_add_f64_e32 v[12:13], v[12:13], v[92:93]
	s_wait_loadcnt_dscnt 0x400
	v_mul_f64_e32 v[92:93], v[88:89], v[10:11]
	v_mul_f64_e32 v[118:119], v[90:91], v[10:11]
	v_fmac_f64_e32 v[94:95], v[86:87], v[96:97]
	v_fma_f64 v[96:97], v[84:85], v[96:97], -v[98:99]
	v_add_f64_e32 v[4:5], v[4:5], v[130:131]
	v_add_f64_e32 v[98:99], v[12:13], v[116:117]
	ds_load_b128 v[10:13], v2 offset:1056
	ds_load_b128 v[84:87], v2 offset:1072
	v_fmac_f64_e32 v[92:93], v[90:91], v[8:9]
	s_wait_loadcnt_dscnt 0x301
	v_mul_f64_e32 v[116:117], v[10:11], v[106:107]
	v_mul_f64_e32 v[106:107], v[12:13], v[106:107]
	v_fma_f64 v[8:9], v[88:89], v[8:9], -v[118:119]
	v_add_f64_e32 v[4:5], v[4:5], v[94:95]
	v_add_f64_e32 v[88:89], v[98:99], v[96:97]
	s_wait_loadcnt_dscnt 0x200
	v_mul_f64_e32 v[90:91], v[84:85], v[102:103]
	v_mul_f64_e32 v[94:95], v[86:87], v[102:103]
	v_fmac_f64_e32 v[116:117], v[12:13], v[104:105]
	v_fma_f64 v[12:13], v[10:11], v[104:105], -v[106:107]
	v_add_f64_e32 v[92:93], v[4:5], v[92:93]
	v_add_f64_e32 v[88:89], v[88:89], v[8:9]
	ds_load_b128 v[8:11], v2 offset:1088
	ds_load_b128 v[2:5], v2 offset:1104
	v_fmac_f64_e32 v[90:91], v[86:87], v[100:101]
	v_fma_f64 v[84:85], v[84:85], v[100:101], -v[94:95]
	s_wait_loadcnt_dscnt 0x101
	v_mul_f64_e32 v[96:97], v[8:9], v[114:115]
	v_mul_f64_e32 v[98:99], v[10:11], v[114:115]
	v_add_f64_e32 v[86:87], v[92:93], v[116:117]
	v_add_f64_e32 v[12:13], v[88:89], v[12:13]
	s_wait_loadcnt_dscnt 0x0
	v_mul_f64_e32 v[88:89], v[2:3], v[110:111]
	v_mul_f64_e32 v[92:93], v[4:5], v[110:111]
	v_fmac_f64_e32 v[96:97], v[10:11], v[112:113]
	v_fma_f64 v[8:9], v[8:9], v[112:113], -v[98:99]
	v_add_f64_e32 v[10:11], v[12:13], v[84:85]
	v_add_f64_e32 v[12:13], v[86:87], v[90:91]
	v_fmac_f64_e32 v[88:89], v[4:5], v[108:109]
	v_fma_f64 v[2:3], v[2:3], v[108:109], -v[92:93]
	s_delay_alu instid0(VALU_DEP_4) | instskip(NEXT) | instid1(VALU_DEP_4)
	v_add_f64_e32 v[4:5], v[10:11], v[8:9]
	v_add_f64_e32 v[8:9], v[12:13], v[96:97]
	s_delay_alu instid0(VALU_DEP_2) | instskip(NEXT) | instid1(VALU_DEP_2)
	v_add_f64_e32 v[2:3], v[4:5], v[2:3]
	v_add_f64_e32 v[4:5], v[8:9], v[88:89]
	s_delay_alu instid0(VALU_DEP_2) | instskip(NEXT) | instid1(VALU_DEP_2)
	v_add_f64_e64 v[2:3], v[132:133], -v[2:3]
	v_add_f64_e64 v[4:5], v[134:135], -v[4:5]
	scratch_store_b128 off, v[2:5], off offset:32
	s_wait_xcnt 0x0
	v_cmpx_lt_u32_e32 1, v1
	s_cbranch_execz .LBB34_221
; %bb.220:
	scratch_load_b128 v[2:5], off, s27
	v_mov_b32_e32 v8, 0
	s_delay_alu instid0(VALU_DEP_1)
	v_dual_mov_b32 v9, v8 :: v_dual_mov_b32 v10, v8
	v_mov_b32_e32 v11, v8
	scratch_store_b128 off, v[8:11], off offset:16
	s_wait_loadcnt 0x0
	ds_store_b128 v6, v[2:5]
.LBB34_221:
	s_wait_xcnt 0x0
	s_or_b32 exec_lo, exec_lo, s2
	s_wait_storecnt_dscnt 0x0
	s_barrier_signal -1
	s_barrier_wait -1
	s_clause 0x9
	scratch_load_b128 v[8:11], off, off offset:32
	scratch_load_b128 v[84:87], off, off offset:48
	;; [unrolled: 1-line block ×10, first 2 shown]
	v_mov_b32_e32 v2, 0
	s_clause 0x2
	scratch_load_b128 v[124:127], off, off offset:192
	scratch_load_b128 v[128:131], off, off offset:208
	;; [unrolled: 1-line block ×3, first 2 shown]
	s_mov_b32 s2, exec_lo
	ds_load_b128 v[120:123], v2 offset:592
	s_wait_loadcnt_dscnt 0xc00
	v_mul_f64_e32 v[4:5], v[122:123], v[10:11]
	v_mul_f64_e32 v[136:137], v[120:121], v[10:11]
	ds_load_b128 v[10:13], v2 offset:608
	v_fma_f64 v[4:5], v[120:121], v[8:9], -v[4:5]
	v_fmac_f64_e32 v[136:137], v[122:123], v[8:9]
	ds_load_b128 v[120:123], v2 offset:624
	s_wait_loadcnt_dscnt 0xb01
	v_mul_f64_e32 v[138:139], v[10:11], v[86:87]
	v_mul_f64_e32 v[86:87], v[12:13], v[86:87]
	s_wait_loadcnt_dscnt 0xa00
	v_mul_f64_e32 v[140:141], v[120:121], v[90:91]
	v_mul_f64_e32 v[90:91], v[122:123], v[90:91]
	v_add_f64_e32 v[4:5], 0, v[4:5]
	v_add_f64_e32 v[136:137], 0, v[136:137]
	v_fmac_f64_e32 v[138:139], v[12:13], v[84:85]
	v_fma_f64 v[12:13], v[10:11], v[84:85], -v[86:87]
	ds_load_b128 v[8:11], v2 offset:640
	scratch_load_b128 v[84:87], off, off offset:240
	v_fmac_f64_e32 v[140:141], v[122:123], v[88:89]
	v_fma_f64 v[144:145], v[120:121], v[88:89], -v[90:91]
	ds_load_b128 v[88:91], v2 offset:656
	s_wait_loadcnt_dscnt 0xa01
	v_mul_f64_e32 v[142:143], v[8:9], v[94:95]
	v_mul_f64_e32 v[94:95], v[10:11], v[94:95]
	scratch_load_b128 v[120:123], off, off offset:256
	v_add_f64_e32 v[4:5], v[4:5], v[12:13]
	v_add_f64_e32 v[12:13], v[136:137], v[138:139]
	s_wait_loadcnt_dscnt 0xa00
	v_mul_f64_e32 v[136:137], v[88:89], v[98:99]
	v_mul_f64_e32 v[98:99], v[90:91], v[98:99]
	v_fmac_f64_e32 v[142:143], v[10:11], v[92:93]
	v_fma_f64 v[138:139], v[8:9], v[92:93], -v[94:95]
	ds_load_b128 v[8:11], v2 offset:672
	scratch_load_b128 v[92:95], off, off offset:272
	v_add_f64_e32 v[4:5], v[4:5], v[144:145]
	v_add_f64_e32 v[12:13], v[12:13], v[140:141]
	v_fmac_f64_e32 v[136:137], v[90:91], v[96:97]
	v_fma_f64 v[144:145], v[88:89], v[96:97], -v[98:99]
	ds_load_b128 v[88:91], v2 offset:688
	s_wait_loadcnt_dscnt 0xa01
	v_mul_f64_e32 v[140:141], v[8:9], v[102:103]
	v_mul_f64_e32 v[102:103], v[10:11], v[102:103]
	scratch_load_b128 v[96:99], off, off offset:288
	v_add_f64_e32 v[4:5], v[4:5], v[138:139]
	v_add_f64_e32 v[12:13], v[12:13], v[142:143]
	s_wait_loadcnt_dscnt 0xa00
	v_mul_f64_e32 v[138:139], v[88:89], v[106:107]
	v_mul_f64_e32 v[106:107], v[90:91], v[106:107]
	v_fmac_f64_e32 v[140:141], v[10:11], v[100:101]
	v_fma_f64 v[142:143], v[8:9], v[100:101], -v[102:103]
	ds_load_b128 v[8:11], v2 offset:704
	scratch_load_b128 v[100:103], off, off offset:304
	v_add_f64_e32 v[4:5], v[4:5], v[144:145]
	v_add_f64_e32 v[12:13], v[12:13], v[136:137]
	;; [unrolled: 18-line block ×4, first 2 shown]
	v_fmac_f64_e32 v[136:137], v[90:91], v[124:125]
	v_fma_f64 v[144:145], v[88:89], v[124:125], -v[126:127]
	ds_load_b128 v[88:91], v2 offset:784
	s_wait_loadcnt_dscnt 0xa01
	v_mul_f64_e32 v[140:141], v[8:9], v[130:131]
	v_mul_f64_e32 v[130:131], v[10:11], v[130:131]
	scratch_load_b128 v[124:127], off, off offset:384
	v_add_f64_e32 v[4:5], v[4:5], v[142:143]
	v_add_f64_e32 v[12:13], v[12:13], v[138:139]
	s_wait_loadcnt_dscnt 0xa00
	v_mul_f64_e32 v[138:139], v[88:89], v[134:135]
	v_mul_f64_e32 v[134:135], v[90:91], v[134:135]
	v_fmac_f64_e32 v[140:141], v[10:11], v[128:129]
	v_fma_f64 v[142:143], v[8:9], v[128:129], -v[130:131]
	scratch_load_b128 v[128:131], off, off offset:400
	ds_load_b128 v[8:11], v2 offset:800
	v_add_f64_e32 v[4:5], v[4:5], v[144:145]
	v_add_f64_e32 v[12:13], v[12:13], v[136:137]
	s_wait_loadcnt_dscnt 0xa00
	v_mul_f64_e32 v[144:145], v[8:9], v[86:87]
	v_mul_f64_e32 v[136:137], v[10:11], v[86:87]
	v_fmac_f64_e32 v[138:139], v[90:91], v[132:133]
	v_fma_f64 v[90:91], v[88:89], v[132:133], -v[134:135]
	ds_load_b128 v[86:89], v2 offset:816
	scratch_load_b128 v[132:135], off, off offset:416
	v_add_f64_e32 v[4:5], v[4:5], v[142:143]
	v_add_f64_e32 v[12:13], v[12:13], v[140:141]
	v_fmac_f64_e32 v[144:145], v[10:11], v[84:85]
	v_fma_f64 v[84:85], v[8:9], v[84:85], -v[136:137]
	ds_load_b128 v[8:11], v2 offset:832
	s_wait_loadcnt_dscnt 0xa01
	v_mul_f64_e32 v[140:141], v[86:87], v[122:123]
	v_mul_f64_e32 v[122:123], v[88:89], v[122:123]
	s_wait_loadcnt_dscnt 0x900
	v_mul_f64_e32 v[142:143], v[8:9], v[94:95]
	v_mul_f64_e32 v[94:95], v[10:11], v[94:95]
	v_add_f64_e32 v[4:5], v[4:5], v[90:91]
	v_add_f64_e32 v[12:13], v[12:13], v[138:139]
	scratch_load_b128 v[136:139], off, off offset:432
	v_fmac_f64_e32 v[140:141], v[88:89], v[120:121]
	v_fma_f64 v[120:121], v[86:87], v[120:121], -v[122:123]
	scratch_load_b128 v[88:91], off, off offset:448
	v_fmac_f64_e32 v[142:143], v[10:11], v[92:93]
	v_add_f64_e32 v[4:5], v[4:5], v[84:85]
	v_add_f64_e32 v[12:13], v[12:13], v[144:145]
	ds_load_b128 v[84:87], v2 offset:848
	v_fma_f64 v[144:145], v[8:9], v[92:93], -v[94:95]
	ds_load_b128 v[8:11], v2 offset:864
	scratch_load_b128 v[92:95], off, off offset:464
	s_wait_loadcnt_dscnt 0xb01
	v_mul_f64_e32 v[122:123], v[84:85], v[98:99]
	v_mul_f64_e32 v[98:99], v[86:87], v[98:99]
	v_add_f64_e32 v[4:5], v[4:5], v[120:121]
	v_add_f64_e32 v[12:13], v[12:13], v[140:141]
	s_wait_loadcnt_dscnt 0xa00
	v_mul_f64_e32 v[120:121], v[8:9], v[102:103]
	v_mul_f64_e32 v[102:103], v[10:11], v[102:103]
	v_fmac_f64_e32 v[122:123], v[86:87], v[96:97]
	v_fma_f64 v[140:141], v[84:85], v[96:97], -v[98:99]
	ds_load_b128 v[84:87], v2 offset:880
	scratch_load_b128 v[96:99], off, off offset:480
	v_add_f64_e32 v[4:5], v[4:5], v[144:145]
	v_add_f64_e32 v[12:13], v[12:13], v[142:143]
	v_fmac_f64_e32 v[120:121], v[10:11], v[100:101]
	v_fma_f64 v[144:145], v[8:9], v[100:101], -v[102:103]
	ds_load_b128 v[8:11], v2 offset:896
	scratch_load_b128 v[100:103], off, off offset:496
	s_wait_loadcnt_dscnt 0xb01
	v_mul_f64_e32 v[142:143], v[84:85], v[106:107]
	v_mul_f64_e32 v[106:107], v[86:87], v[106:107]
	v_add_f64_e32 v[4:5], v[4:5], v[140:141]
	v_add_f64_e32 v[12:13], v[12:13], v[122:123]
	s_wait_loadcnt_dscnt 0xa00
	v_mul_f64_e32 v[122:123], v[8:9], v[110:111]
	v_mul_f64_e32 v[110:111], v[10:11], v[110:111]
	v_fmac_f64_e32 v[142:143], v[86:87], v[104:105]
	v_fma_f64 v[140:141], v[84:85], v[104:105], -v[106:107]
	ds_load_b128 v[84:87], v2 offset:912
	scratch_load_b128 v[104:107], off, off offset:512
	v_add_f64_e32 v[4:5], v[4:5], v[144:145]
	v_add_f64_e32 v[12:13], v[12:13], v[120:121]
	v_fmac_f64_e32 v[122:123], v[10:11], v[108:109]
	v_fma_f64 v[144:145], v[8:9], v[108:109], -v[110:111]
	ds_load_b128 v[8:11], v2 offset:928
	s_wait_loadcnt_dscnt 0xa01
	v_mul_f64_e32 v[120:121], v[84:85], v[114:115]
	v_mul_f64_e32 v[114:115], v[86:87], v[114:115]
	scratch_load_b128 v[108:111], off, off offset:528
	v_add_f64_e32 v[4:5], v[4:5], v[140:141]
	v_add_f64_e32 v[12:13], v[12:13], v[142:143]
	s_wait_loadcnt_dscnt 0xa00
	v_mul_f64_e32 v[140:141], v[8:9], v[118:119]
	v_mul_f64_e32 v[118:119], v[10:11], v[118:119]
	v_fmac_f64_e32 v[120:121], v[86:87], v[112:113]
	v_fma_f64 v[142:143], v[84:85], v[112:113], -v[114:115]
	ds_load_b128 v[84:87], v2 offset:944
	scratch_load_b128 v[112:115], off, off offset:544
	v_add_f64_e32 v[4:5], v[4:5], v[144:145]
	v_add_f64_e32 v[12:13], v[12:13], v[122:123]
	v_fmac_f64_e32 v[140:141], v[10:11], v[116:117]
	v_fma_f64 v[116:117], v[8:9], v[116:117], -v[118:119]
	ds_load_b128 v[8:11], v2 offset:960
	s_wait_loadcnt_dscnt 0x900
	v_mul_f64_e32 v[118:119], v[10:11], v[130:131]
	v_add_f64_e32 v[4:5], v[4:5], v[142:143]
	v_add_f64_e32 v[12:13], v[12:13], v[120:121]
	v_mul_f64_e32 v[120:121], v[8:9], v[130:131]
	s_delay_alu instid0(VALU_DEP_3) | instskip(NEXT) | instid1(VALU_DEP_3)
	v_add_f64_e32 v[4:5], v[4:5], v[116:117]
	v_add_f64_e32 v[12:13], v[12:13], v[140:141]
	s_delay_alu instid0(VALU_DEP_3)
	v_fmac_f64_e32 v[120:121], v[10:11], v[128:129]
	v_fma_f64 v[128:129], v[8:9], v[128:129], -v[118:119]
	scratch_load_b128 v[116:119], off, off offset:16
	v_mul_f64_e32 v[122:123], v[84:85], v[126:127]
	v_mul_f64_e32 v[126:127], v[86:87], v[126:127]
	ds_load_b128 v[8:11], v2 offset:992
	v_fmac_f64_e32 v[122:123], v[86:87], v[124:125]
	v_fma_f64 v[124:125], v[84:85], v[124:125], -v[126:127]
	ds_load_b128 v[84:87], v2 offset:976
	s_wait_loadcnt_dscnt 0x900
	v_mul_f64_e32 v[126:127], v[84:85], v[134:135]
	v_mul_f64_e32 v[130:131], v[86:87], v[134:135]
	v_add_f64_e32 v[12:13], v[12:13], v[122:123]
	v_add_f64_e32 v[4:5], v[4:5], v[124:125]
	s_wait_loadcnt 0x8
	v_mul_f64_e32 v[122:123], v[8:9], v[138:139]
	v_mul_f64_e32 v[124:125], v[10:11], v[138:139]
	v_fmac_f64_e32 v[126:127], v[86:87], v[132:133]
	v_fma_f64 v[130:131], v[84:85], v[132:133], -v[130:131]
	ds_load_b128 v[84:87], v2 offset:1008
	v_add_f64_e32 v[12:13], v[12:13], v[120:121]
	v_add_f64_e32 v[4:5], v[4:5], v[128:129]
	v_fmac_f64_e32 v[122:123], v[10:11], v[136:137]
	v_fma_f64 v[124:125], v[8:9], v[136:137], -v[124:125]
	ds_load_b128 v[8:11], v2 offset:1024
	s_wait_loadcnt_dscnt 0x701
	v_mul_f64_e32 v[120:121], v[84:85], v[90:91]
	v_mul_f64_e32 v[90:91], v[86:87], v[90:91]
	v_add_f64_e32 v[12:13], v[12:13], v[126:127]
	v_add_f64_e32 v[4:5], v[4:5], v[130:131]
	s_wait_loadcnt_dscnt 0x600
	v_mul_f64_e32 v[126:127], v[8:9], v[94:95]
	v_mul_f64_e32 v[94:95], v[10:11], v[94:95]
	v_fmac_f64_e32 v[120:121], v[86:87], v[88:89]
	v_fma_f64 v[88:89], v[84:85], v[88:89], -v[90:91]
	ds_load_b128 v[84:87], v2 offset:1040
	v_add_f64_e32 v[12:13], v[12:13], v[122:123]
	v_add_f64_e32 v[4:5], v[4:5], v[124:125]
	v_fmac_f64_e32 v[126:127], v[10:11], v[92:93]
	v_fma_f64 v[92:93], v[8:9], v[92:93], -v[94:95]
	ds_load_b128 v[8:11], v2 offset:1056
	s_wait_loadcnt_dscnt 0x501
	v_mul_f64_e32 v[90:91], v[84:85], v[98:99]
	v_mul_f64_e32 v[98:99], v[86:87], v[98:99]
	s_wait_loadcnt_dscnt 0x400
	v_mul_f64_e32 v[94:95], v[10:11], v[102:103]
	v_add_f64_e32 v[12:13], v[12:13], v[120:121]
	v_add_f64_e32 v[4:5], v[4:5], v[88:89]
	v_mul_f64_e32 v[88:89], v[8:9], v[102:103]
	v_fmac_f64_e32 v[90:91], v[86:87], v[96:97]
	v_fma_f64 v[96:97], v[84:85], v[96:97], -v[98:99]
	ds_load_b128 v[84:87], v2 offset:1072
	v_fma_f64 v[94:95], v[8:9], v[100:101], -v[94:95]
	v_add_f64_e32 v[12:13], v[12:13], v[126:127]
	v_add_f64_e32 v[4:5], v[4:5], v[92:93]
	v_fmac_f64_e32 v[88:89], v[10:11], v[100:101]
	ds_load_b128 v[8:11], v2 offset:1088
	s_wait_loadcnt_dscnt 0x301
	v_mul_f64_e32 v[92:93], v[84:85], v[106:107]
	v_mul_f64_e32 v[98:99], v[86:87], v[106:107]
	v_add_f64_e32 v[12:13], v[12:13], v[90:91]
	v_add_f64_e32 v[4:5], v[4:5], v[96:97]
	s_wait_loadcnt_dscnt 0x200
	v_mul_f64_e32 v[90:91], v[8:9], v[110:111]
	v_mul_f64_e32 v[96:97], v[10:11], v[110:111]
	v_fmac_f64_e32 v[92:93], v[86:87], v[104:105]
	v_fma_f64 v[98:99], v[84:85], v[104:105], -v[98:99]
	ds_load_b128 v[84:87], v2 offset:1104
	v_add_f64_e32 v[12:13], v[12:13], v[88:89]
	v_add_f64_e32 v[4:5], v[4:5], v[94:95]
	s_wait_loadcnt_dscnt 0x100
	v_mul_f64_e32 v[88:89], v[84:85], v[114:115]
	v_mul_f64_e32 v[94:95], v[86:87], v[114:115]
	v_fmac_f64_e32 v[90:91], v[10:11], v[108:109]
	v_fma_f64 v[8:9], v[8:9], v[108:109], -v[96:97]
	v_add_f64_e32 v[10:11], v[12:13], v[92:93]
	v_add_f64_e32 v[4:5], v[4:5], v[98:99]
	v_fmac_f64_e32 v[88:89], v[86:87], v[112:113]
	v_fma_f64 v[12:13], v[84:85], v[112:113], -v[94:95]
	s_delay_alu instid0(VALU_DEP_3) | instskip(SKIP_1) | instid1(VALU_DEP_2)
	v_add_f64_e32 v[4:5], v[4:5], v[8:9]
	v_add_f64_e32 v[8:9], v[10:11], v[90:91]
	v_add_f64_e32 v[4:5], v[4:5], v[12:13]
	s_delay_alu instid0(VALU_DEP_2) | instskip(SKIP_1) | instid1(VALU_DEP_2)
	v_add_f64_e32 v[10:11], v[8:9], v[88:89]
	s_wait_loadcnt 0x0
	v_add_f64_e64 v[8:9], v[116:117], -v[4:5]
	s_delay_alu instid0(VALU_DEP_2)
	v_add_f64_e64 v[10:11], v[118:119], -v[10:11]
	scratch_store_b128 off, v[8:11], off offset:16
	s_wait_xcnt 0x0
	v_cmpx_ne_u32_e32 0, v1
	s_cbranch_execz .LBB34_223
; %bb.222:
	scratch_load_b128 v[8:11], off, off
	v_dual_mov_b32 v3, v2 :: v_dual_mov_b32 v4, v2
	v_mov_b32_e32 v5, v2
	scratch_store_b128 off, v[2:5], off
	s_wait_loadcnt 0x0
	ds_store_b128 v6, v[8:11]
.LBB34_223:
	s_wait_xcnt 0x0
	s_or_b32 exec_lo, exec_lo, s2
	s_wait_storecnt_dscnt 0x0
	s_barrier_signal -1
	s_barrier_wait -1
	s_clause 0x9
	scratch_load_b128 v[4:7], off, off offset:16
	scratch_load_b128 v[8:11], off, off offset:32
	;; [unrolled: 1-line block ×10, first 2 shown]
	ds_load_b128 v[116:119], v2 offset:576
	ds_load_b128 v[120:123], v2 offset:592
	s_clause 0x1
	scratch_load_b128 v[124:127], off, off offset:176
	scratch_load_b128 v[128:131], off, off
	s_and_b32 vcc_lo, exec_lo, s47
	s_wait_loadcnt_dscnt 0xb01
	v_mul_f64_e32 v[132:133], v[118:119], v[6:7]
	v_mul_f64_e32 v[134:135], v[116:117], v[6:7]
	s_wait_loadcnt_dscnt 0xa00
	v_mul_f64_e32 v[136:137], v[120:121], v[10:11]
	v_mul_f64_e32 v[138:139], v[122:123], v[10:11]
	ds_load_b128 v[10:13], v2 offset:608
	v_fma_f64 v[132:133], v[116:117], v[4:5], -v[132:133]
	v_fmac_f64_e32 v[134:135], v[118:119], v[4:5]
	scratch_load_b128 v[4:7], off, off offset:192
	ds_load_b128 v[116:119], v2 offset:624
	s_wait_loadcnt_dscnt 0xa01
	v_mul_f64_e32 v[140:141], v[10:11], v[86:87]
	v_fmac_f64_e32 v[136:137], v[122:123], v[8:9]
	v_fma_f64 v[138:139], v[120:121], v[8:9], -v[138:139]
	v_mul_f64_e32 v[8:9], v[12:13], v[86:87]
	scratch_load_b128 v[120:123], off, off offset:208
	v_add_f64_e32 v[86:87], 0, v[132:133]
	v_add_f64_e32 v[134:135], 0, v[134:135]
	s_wait_loadcnt_dscnt 0xa00
	v_mul_f64_e32 v[132:133], v[116:117], v[90:91]
	v_mul_f64_e32 v[90:91], v[118:119], v[90:91]
	v_fmac_f64_e32 v[140:141], v[12:13], v[84:85]
	v_fma_f64 v[12:13], v[10:11], v[84:85], -v[8:9]
	ds_load_b128 v[8:11], v2 offset:640
	v_add_f64_e32 v[138:139], v[86:87], v[138:139]
	scratch_load_b128 v[84:87], off, off offset:224
	v_add_f64_e32 v[134:135], v[134:135], v[136:137]
	v_fmac_f64_e32 v[132:133], v[118:119], v[88:89]
	v_fma_f64 v[142:143], v[116:117], v[88:89], -v[90:91]
	ds_load_b128 v[88:91], v2 offset:656
	s_wait_loadcnt_dscnt 0xa01
	v_mul_f64_e32 v[144:145], v[8:9], v[94:95]
	v_mul_f64_e32 v[94:95], v[10:11], v[94:95]
	scratch_load_b128 v[116:119], off, off offset:240
	v_add_f64_e32 v[12:13], v[138:139], v[12:13]
	s_wait_loadcnt_dscnt 0xa00
	v_mul_f64_e32 v[138:139], v[88:89], v[98:99]
	v_add_f64_e32 v[134:135], v[134:135], v[140:141]
	v_mul_f64_e32 v[98:99], v[90:91], v[98:99]
	v_fmac_f64_e32 v[144:145], v[10:11], v[92:93]
	v_fma_f64 v[136:137], v[8:9], v[92:93], -v[94:95]
	scratch_load_b128 v[92:95], off, off offset:256
	ds_load_b128 v[8:11], v2 offset:672
	v_add_f64_e32 v[12:13], v[12:13], v[142:143]
	v_fmac_f64_e32 v[138:139], v[90:91], v[96:97]
	v_add_f64_e32 v[132:133], v[134:135], v[132:133]
	v_fma_f64 v[140:141], v[88:89], v[96:97], -v[98:99]
	ds_load_b128 v[88:91], v2 offset:688
	s_wait_loadcnt_dscnt 0xa01
	v_mul_f64_e32 v[142:143], v[8:9], v[102:103]
	v_mul_f64_e32 v[102:103], v[10:11], v[102:103]
	scratch_load_b128 v[96:99], off, off offset:272
	v_add_f64_e32 v[12:13], v[12:13], v[136:137]
	s_wait_loadcnt_dscnt 0xa00
	v_mul_f64_e32 v[136:137], v[88:89], v[106:107]
	v_add_f64_e32 v[132:133], v[132:133], v[144:145]
	v_mul_f64_e32 v[106:107], v[90:91], v[106:107]
	v_fmac_f64_e32 v[142:143], v[10:11], v[100:101]
	v_fma_f64 v[134:135], v[8:9], v[100:101], -v[102:103]
	scratch_load_b128 v[100:103], off, off offset:288
	ds_load_b128 v[8:11], v2 offset:704
	v_add_f64_e32 v[12:13], v[12:13], v[140:141]
	v_fmac_f64_e32 v[136:137], v[90:91], v[104:105]
	v_add_f64_e32 v[132:133], v[132:133], v[138:139]
	v_fma_f64 v[140:141], v[88:89], v[104:105], -v[106:107]
	ds_load_b128 v[88:91], v2 offset:720
	s_wait_loadcnt_dscnt 0xa01
	v_mul_f64_e32 v[144:145], v[8:9], v[110:111]
	v_mul_f64_e32 v[110:111], v[10:11], v[110:111]
	scratch_load_b128 v[104:107], off, off offset:304
	s_wait_loadcnt_dscnt 0xa00
	v_mul_f64_e32 v[138:139], v[88:89], v[114:115]
	v_mul_f64_e32 v[114:115], v[90:91], v[114:115]
	v_add_f64_e32 v[12:13], v[12:13], v[134:135]
	v_add_f64_e32 v[132:133], v[132:133], v[142:143]
	v_fmac_f64_e32 v[144:145], v[10:11], v[108:109]
	v_fma_f64 v[134:135], v[8:9], v[108:109], -v[110:111]
	scratch_load_b128 v[108:111], off, off offset:320
	ds_load_b128 v[8:11], v2 offset:736
	v_fmac_f64_e32 v[138:139], v[90:91], v[112:113]
	v_add_f64_e32 v[12:13], v[12:13], v[140:141]
	v_fma_f64 v[140:141], v[88:89], v[112:113], -v[114:115]
	v_add_f64_e32 v[132:133], v[132:133], v[136:137]
	ds_load_b128 v[88:91], v2 offset:752
	s_wait_loadcnt_dscnt 0xa01
	v_mul_f64_e32 v[142:143], v[8:9], v[126:127]
	v_mul_f64_e32 v[126:127], v[10:11], v[126:127]
	scratch_load_b128 v[112:115], off, off offset:336
	v_add_f64_e32 v[12:13], v[12:13], v[134:135]
	v_add_f64_e32 v[132:133], v[132:133], v[144:145]
	v_fmac_f64_e32 v[142:143], v[10:11], v[124:125]
	v_fma_f64 v[124:125], v[8:9], v[124:125], -v[126:127]
	s_delay_alu instid0(VALU_DEP_4)
	v_add_f64_e32 v[136:137], v[12:13], v[140:141]
	scratch_load_b128 v[10:13], off, off offset:352
	s_wait_loadcnt_dscnt 0xa00
	v_mul_f64_e32 v[126:127], v[88:89], v[6:7]
	v_mul_f64_e32 v[134:135], v[90:91], v[6:7]
	v_add_f64_e32 v[132:133], v[132:133], v[138:139]
	ds_load_b128 v[6:9], v2 offset:768
	v_add_f64_e32 v[136:137], v[136:137], v[124:125]
	v_fmac_f64_e32 v[126:127], v[90:91], v[4:5]
	v_fma_f64 v[134:135], v[88:89], v[4:5], -v[134:135]
	ds_load_b128 v[88:91], v2 offset:784
	s_wait_loadcnt_dscnt 0x901
	v_mul_f64_e32 v[138:139], v[6:7], v[122:123]
	v_mul_f64_e32 v[4:5], v[8:9], v[122:123]
	scratch_load_b128 v[122:125], off, off offset:368
	v_add_f64_e32 v[140:141], v[132:133], v[142:143]
	s_wait_loadcnt_dscnt 0x900
	v_mul_f64_e32 v[142:143], v[88:89], v[86:87]
	v_mul_f64_e32 v[86:87], v[90:91], v[86:87]
	v_fmac_f64_e32 v[138:139], v[8:9], v[120:121]
	v_fma_f64 v[8:9], v[6:7], v[120:121], -v[4:5]
	v_add_f64_e32 v[120:121], v[136:137], v[134:135]
	scratch_load_b128 v[132:135], off, off offset:384
	v_add_f64_e32 v[126:127], v[140:141], v[126:127]
	ds_load_b128 v[4:7], v2 offset:800
	v_fmac_f64_e32 v[142:143], v[90:91], v[84:85]
	v_fma_f64 v[136:137], v[88:89], v[84:85], -v[86:87]
	ds_load_b128 v[84:87], v2 offset:816
	s_wait_loadcnt_dscnt 0x901
	v_mul_f64_e32 v[140:141], v[4:5], v[118:119]
	v_mul_f64_e32 v[118:119], v[6:7], v[118:119]
	scratch_load_b128 v[88:91], off, off offset:400
	v_add_f64_e32 v[8:9], v[120:121], v[8:9]
	v_add_f64_e32 v[120:121], v[126:127], v[138:139]
	s_wait_loadcnt_dscnt 0x900
	v_mul_f64_e32 v[126:127], v[84:85], v[94:95]
	v_mul_f64_e32 v[94:95], v[86:87], v[94:95]
	v_fmac_f64_e32 v[140:141], v[6:7], v[116:117]
	v_fma_f64 v[138:139], v[4:5], v[116:117], -v[118:119]
	scratch_load_b128 v[116:119], off, off offset:416
	v_add_f64_e32 v[8:9], v[8:9], v[136:137]
	ds_load_b128 v[4:7], v2 offset:832
	v_add_f64_e32 v[120:121], v[120:121], v[142:143]
	v_fmac_f64_e32 v[126:127], v[86:87], v[92:93]
	v_fma_f64 v[136:137], v[84:85], v[92:93], -v[94:95]
	ds_load_b128 v[84:87], v2 offset:848
	scratch_load_b128 v[92:95], off, off offset:432
	s_wait_loadcnt_dscnt 0xa01
	v_mul_f64_e32 v[142:143], v[4:5], v[98:99]
	v_mul_f64_e32 v[98:99], v[6:7], v[98:99]
	v_add_f64_e32 v[8:9], v[8:9], v[138:139]
	v_add_f64_e32 v[120:121], v[120:121], v[140:141]
	s_wait_loadcnt_dscnt 0x900
	v_mul_f64_e32 v[138:139], v[84:85], v[102:103]
	v_mul_f64_e32 v[102:103], v[86:87], v[102:103]
	v_fmac_f64_e32 v[142:143], v[6:7], v[96:97]
	v_fma_f64 v[140:141], v[4:5], v[96:97], -v[98:99]
	scratch_load_b128 v[96:99], off, off offset:448
	ds_load_b128 v[4:7], v2 offset:864
	v_add_f64_e32 v[8:9], v[8:9], v[136:137]
	v_add_f64_e32 v[120:121], v[120:121], v[126:127]
	v_fmac_f64_e32 v[138:139], v[86:87], v[100:101]
	v_fma_f64 v[126:127], v[84:85], v[100:101], -v[102:103]
	ds_load_b128 v[84:87], v2 offset:880
	scratch_load_b128 v[100:103], off, off offset:464
	s_wait_loadcnt_dscnt 0xa01
	v_mul_f64_e32 v[136:137], v[4:5], v[106:107]
	v_mul_f64_e32 v[106:107], v[6:7], v[106:107]
	v_add_f64_e32 v[8:9], v[8:9], v[140:141]
	s_wait_loadcnt_dscnt 0x900
	v_mul_f64_e32 v[140:141], v[84:85], v[110:111]
	v_add_f64_e32 v[120:121], v[120:121], v[142:143]
	v_mul_f64_e32 v[110:111], v[86:87], v[110:111]
	v_fmac_f64_e32 v[136:137], v[6:7], v[104:105]
	v_fma_f64 v[142:143], v[4:5], v[104:105], -v[106:107]
	scratch_load_b128 v[4:7], off, off offset:480
	ds_load_b128 v[104:107], v2 offset:896
	v_add_f64_e32 v[8:9], v[8:9], v[126:127]
	v_fmac_f64_e32 v[140:141], v[86:87], v[108:109]
	v_add_f64_e32 v[120:121], v[120:121], v[138:139]
	v_fma_f64 v[126:127], v[84:85], v[108:109], -v[110:111]
	ds_load_b128 v[84:87], v2 offset:912
	s_wait_loadcnt_dscnt 0x901
	v_mul_f64_e32 v[138:139], v[104:105], v[114:115]
	v_mul_f64_e32 v[114:115], v[106:107], v[114:115]
	scratch_load_b128 v[108:111], off, off offset:496
	v_add_f64_e32 v[8:9], v[8:9], v[142:143]
	v_add_f64_e32 v[120:121], v[120:121], v[136:137]
	v_fmac_f64_e32 v[138:139], v[106:107], v[112:113]
	v_fma_f64 v[142:143], v[104:105], v[112:113], -v[114:115]
	scratch_load_b128 v[104:107], off, off offset:512
	ds_load_b128 v[112:115], v2 offset:928
	s_wait_loadcnt_dscnt 0xa01
	v_mul_f64_e32 v[136:137], v[84:85], v[12:13]
	v_mul_f64_e32 v[12:13], v[86:87], v[12:13]
	v_add_f64_e32 v[126:127], v[8:9], v[126:127]
	v_add_f64_e32 v[120:121], v[120:121], v[140:141]
	s_delay_alu instid0(VALU_DEP_4) | instskip(NEXT) | instid1(VALU_DEP_4)
	v_fmac_f64_e32 v[136:137], v[86:87], v[10:11]
	v_fma_f64 v[12:13], v[84:85], v[10:11], -v[12:13]
	ds_load_b128 v[8:11], v2 offset:944
	scratch_load_b128 v[84:87], off, off offset:528
	s_wait_loadcnt_dscnt 0xa01
	v_mul_f64_e32 v[140:141], v[112:113], v[124:125]
	v_mul_f64_e32 v[124:125], v[114:115], v[124:125]
	v_add_f64_e32 v[126:127], v[126:127], v[142:143]
	v_add_f64_e32 v[120:121], v[120:121], v[138:139]
	s_delay_alu instid0(VALU_DEP_4) | instskip(NEXT) | instid1(VALU_DEP_4)
	v_fmac_f64_e32 v[140:141], v[114:115], v[122:123]
	v_fma_f64 v[124:125], v[112:113], v[122:123], -v[124:125]
	scratch_load_b128 v[112:115], off, off offset:544
	s_wait_loadcnt_dscnt 0xa00
	v_mul_f64_e32 v[138:139], v[8:9], v[134:135]
	v_mul_f64_e32 v[134:135], v[10:11], v[134:135]
	v_add_f64_e32 v[12:13], v[126:127], v[12:13]
	v_add_f64_e32 v[126:127], v[120:121], v[136:137]
	ds_load_b128 v[120:123], v2 offset:960
	v_fmac_f64_e32 v[138:139], v[10:11], v[132:133]
	v_fma_f64 v[132:133], v[8:9], v[132:133], -v[134:135]
	ds_load_b128 v[8:11], v2 offset:976
	s_wait_loadcnt_dscnt 0x901
	v_mul_f64_e32 v[134:135], v[120:121], v[90:91]
	v_mul_f64_e32 v[90:91], v[122:123], v[90:91]
	v_add_f64_e32 v[12:13], v[12:13], v[124:125]
	v_add_f64_e32 v[124:125], v[126:127], v[140:141]
	s_wait_loadcnt_dscnt 0x800
	v_mul_f64_e32 v[126:127], v[8:9], v[118:119]
	v_mul_f64_e32 v[136:137], v[10:11], v[118:119]
	v_fmac_f64_e32 v[134:135], v[122:123], v[88:89]
	v_fma_f64 v[122:123], v[120:121], v[88:89], -v[90:91]
	v_add_f64_e32 v[12:13], v[12:13], v[132:133]
	v_add_f64_e32 v[124:125], v[124:125], v[138:139]
	ds_load_b128 v[88:91], v2 offset:992
	ds_load_b128 v[118:121], v2 offset:1008
	s_wait_loadcnt_dscnt 0x701
	v_mul_f64_e32 v[132:133], v[88:89], v[94:95]
	v_mul_f64_e32 v[94:95], v[90:91], v[94:95]
	v_fmac_f64_e32 v[126:127], v[10:11], v[116:117]
	v_fma_f64 v[8:9], v[8:9], v[116:117], -v[136:137]
	v_add_f64_e32 v[10:11], v[12:13], v[122:123]
	v_add_f64_e32 v[12:13], v[124:125], v[134:135]
	s_wait_loadcnt_dscnt 0x600
	v_mul_f64_e32 v[116:117], v[118:119], v[98:99]
	v_mul_f64_e32 v[98:99], v[120:121], v[98:99]
	v_fmac_f64_e32 v[132:133], v[90:91], v[92:93]
	v_fma_f64 v[92:93], v[88:89], v[92:93], -v[94:95]
	v_add_f64_e32 v[94:95], v[10:11], v[8:9]
	v_add_f64_e32 v[12:13], v[12:13], v[126:127]
	ds_load_b128 v[8:11], v2 offset:1024
	ds_load_b128 v[88:91], v2 offset:1040
	v_fmac_f64_e32 v[116:117], v[120:121], v[96:97]
	v_fma_f64 v[96:97], v[118:119], v[96:97], -v[98:99]
	s_wait_loadcnt_dscnt 0x501
	v_mul_f64_e32 v[122:123], v[8:9], v[102:103]
	v_mul_f64_e32 v[102:103], v[10:11], v[102:103]
	v_add_f64_e32 v[92:93], v[94:95], v[92:93]
	v_add_f64_e32 v[12:13], v[12:13], v[132:133]
	s_wait_loadcnt_dscnt 0x400
	v_mul_f64_e32 v[94:95], v[88:89], v[6:7]
	v_mul_f64_e32 v[98:99], v[90:91], v[6:7]
	v_fmac_f64_e32 v[122:123], v[10:11], v[100:101]
	v_fma_f64 v[100:101], v[8:9], v[100:101], -v[102:103]
	v_add_f64_e32 v[92:93], v[92:93], v[96:97]
	v_add_f64_e32 v[96:97], v[12:13], v[116:117]
	ds_load_b128 v[6:9], v2 offset:1056
	ds_load_b128 v[10:13], v2 offset:1072
	v_fmac_f64_e32 v[94:95], v[90:91], v[4:5]
	v_fma_f64 v[4:5], v[88:89], v[4:5], -v[98:99]
	s_wait_loadcnt_dscnt 0x301
	v_mul_f64_e32 v[102:103], v[6:7], v[110:111]
	v_mul_f64_e32 v[110:111], v[8:9], v[110:111]
	v_add_f64_e32 v[88:89], v[92:93], v[100:101]
	v_add_f64_e32 v[90:91], v[96:97], v[122:123]
	s_wait_loadcnt_dscnt 0x200
	v_mul_f64_e32 v[92:93], v[10:11], v[106:107]
	v_mul_f64_e32 v[96:97], v[12:13], v[106:107]
	v_lshl_add_u64 v[100:101], v[20:21], 4, s[4:5]
	v_lshl_add_u64 v[20:21], v[52:53], 4, s[4:5]
	v_fmac_f64_e32 v[102:103], v[8:9], v[108:109]
	v_fma_f64 v[8:9], v[6:7], v[108:109], -v[110:111]
	v_add_f64_e32 v[98:99], v[88:89], v[4:5]
	v_add_f64_e32 v[94:95], v[90:91], v[94:95]
	ds_load_b128 v[4:7], v2 offset:1088
	ds_load_b128 v[88:91], v2 offset:1104
	v_fmac_f64_e32 v[92:93], v[12:13], v[104:105]
	v_fma_f64 v[10:11], v[10:11], v[104:105], -v[96:97]
	s_wait_loadcnt_dscnt 0x101
	v_mul_f64_e32 v[2:3], v[4:5], v[86:87]
	v_mul_f64_e32 v[86:87], v[6:7], v[86:87]
	v_add_f64_e32 v[8:9], v[98:99], v[8:9]
	v_add_f64_e32 v[12:13], v[94:95], v[102:103]
	v_lshl_add_u64 v[102:103], v[18:19], 4, s[4:5]
	v_lshl_add_u64 v[98:99], v[22:23], 4, s[4:5]
	;; [unrolled: 1-line block ×5, first 2 shown]
	v_fmac_f64_e32 v[2:3], v[6:7], v[84:85]
	v_fma_f64 v[4:5], v[4:5], v[84:85], -v[86:87]
	v_lshl_add_u64 v[86:87], v[32:33], 4, s[4:5]
	v_lshl_add_u64 v[84:85], v[36:37], 4, s[4:5]
	;; [unrolled: 1-line block ×3, first 2 shown]
	s_wait_loadcnt_dscnt 0x0
	v_mul_f64_e32 v[94:95], v[88:89], v[114:115]
	v_mul_f64_e32 v[96:97], v[90:91], v[114:115]
	v_lshl_add_u64 v[36:37], v[68:69], 4, s[4:5]
	v_add_f64_e32 v[6:7], v[8:9], v[10:11]
	v_add_f64_e32 v[8:9], v[12:13], v[92:93]
	v_lshl_add_u64 v[92:93], v[28:29], 4, s[4:5]
	v_lshl_add_u64 v[12:13], v[48:49], 4, s[4:5]
	;; [unrolled: 1-line block ×4, first 2 shown]
	v_fmac_f64_e32 v[94:95], v[90:91], v[112:113]
	v_fma_f64 v[10:11], v[88:89], v[112:113], -v[96:97]
	v_lshl_add_u64 v[96:97], v[26:27], 4, s[4:5]
	v_lshl_add_u64 v[90:91], v[30:31], 4, s[4:5]
	v_lshl_add_u64 v[88:89], v[34:35], 4, s[4:5]
	v_lshl_add_u64 v[26:27], v[58:59], 4, s[4:5]
	v_add_f64_e32 v[4:5], v[6:7], v[4:5]
	v_add_f64_e32 v[2:3], v[8:9], v[2:3]
	v_lshl_add_u64 v[6:7], v[42:43], 4, s[4:5]
	v_lshl_add_u64 v[8:9], v[44:45], 4, s[4:5]
	;; [unrolled: 1-line block ×6, first 2 shown]
	v_add_f64_e32 v[4:5], v[4:5], v[10:11]
	v_add_f64_e32 v[2:3], v[2:3], v[94:95]
	v_lshl_add_u64 v[94:95], v[24:25], 4, s[4:5]
	v_lshl_add_u64 v[10:11], v[46:47], 4, s[4:5]
	;; [unrolled: 1-line block ×4, first 2 shown]
	v_add_f64_e64 v[104:105], v[128:129], -v[4:5]
	v_add_f64_e64 v[106:107], v[130:131], -v[2:3]
	v_lshl_add_u64 v[2:3], v[38:39], 4, s[4:5]
	v_lshl_add_u64 v[4:5], v[40:41], 4, s[4:5]
	v_lshl_add_u64 v[38:39], v[70:71], 4, s[4:5]
	v_lshl_add_u64 v[40:41], v[72:73], 4, s[4:5]
	scratch_store_b128 off, v[104:107], off
	s_cbranch_vccz .LBB34_292
; %bb.224:
	v_mov_b32_e32 v52, 0
	s_load_b64 s[2:3], s[0:1], 0x4
	v_bfe_u32 v54, v0, 10, 10
	v_bfe_u32 v0, v0, 20, 10
	global_load_b32 v53, v52, s[16:17] offset:132
	s_wait_kmcnt 0x0
	s_lshr_b32 s0, s2, 16
	v_mul_u32_u24_e32 v54, s3, v54
	s_mul_i32 s0, s0, s3
	s_delay_alu instid0(SALU_CYCLE_1) | instskip(NEXT) | instid1(VALU_DEP_1)
	v_mul_u32_u24_e32 v1, s0, v1
	v_add3_u32 v0, v1, v54, v0
	s_delay_alu instid0(VALU_DEP_1)
	v_lshl_add_u32 v0, v0, 4, 0x468
	s_wait_loadcnt 0x0
	v_cmp_ne_u32_e32 vcc_lo, 34, v53
	s_cbranch_vccz .LBB34_226
; %bb.225:
	v_lshlrev_b32_e32 v1, 4, v53
	s_clause 0x1
	scratch_load_b128 v[54:57], off, s11
	scratch_load_b128 v[58:61], v1, off offset:-16
	s_wait_loadcnt 0x1
	ds_store_2addr_b64 v0, v[54:55], v[56:57] offset1:1
	s_wait_loadcnt 0x0
	s_clause 0x1
	scratch_store_b128 off, v[58:61], s11
	scratch_store_b128 v1, v[54:57], off offset:-16
.LBB34_226:
	global_load_b32 v1, v52, s[16:17] offset:128
	s_wait_loadcnt 0x0
	v_cmp_eq_u32_e32 vcc_lo, 33, v1
	s_cbranch_vccnz .LBB34_228
; %bb.227:
	v_lshlrev_b32_e32 v1, 4, v1
	s_clause 0x1
	scratch_load_b128 v[52:55], off, s15
	scratch_load_b128 v[56:59], v1, off offset:-16
	s_wait_loadcnt 0x1
	ds_store_2addr_b64 v0, v[52:53], v[54:55] offset1:1
	s_wait_loadcnt 0x0
	s_clause 0x1
	scratch_store_b128 off, v[56:59], s15
	scratch_store_b128 v1, v[52:55], off offset:-16
.LBB34_228:
	s_wait_xcnt 0x0
	v_mov_b32_e32 v1, 0
	global_load_b32 v52, v1, s[16:17] offset:124
	s_wait_loadcnt 0x0
	v_cmp_eq_u32_e32 vcc_lo, 32, v52
	s_cbranch_vccnz .LBB34_230
; %bb.229:
	v_lshlrev_b32_e32 v52, 4, v52
	s_delay_alu instid0(VALU_DEP_1)
	v_mov_b32_e32 v60, v52
	s_clause 0x1
	scratch_load_b128 v[52:55], off, s8
	scratch_load_b128 v[56:59], v60, off offset:-16
	s_wait_loadcnt 0x1
	ds_store_2addr_b64 v0, v[52:53], v[54:55] offset1:1
	s_wait_loadcnt 0x0
	s_clause 0x1
	scratch_store_b128 off, v[56:59], s8
	scratch_store_b128 v60, v[52:55], off offset:-16
.LBB34_230:
	global_load_b32 v1, v1, s[16:17] offset:120
	s_wait_loadcnt 0x0
	v_cmp_eq_u32_e32 vcc_lo, 31, v1
	s_cbranch_vccnz .LBB34_232
; %bb.231:
	s_wait_xcnt 0x0
	v_lshlrev_b32_e32 v1, 4, v1
	s_clause 0x1
	scratch_load_b128 v[52:55], off, s10
	scratch_load_b128 v[56:59], v1, off offset:-16
	s_wait_loadcnt 0x1
	ds_store_2addr_b64 v0, v[52:53], v[54:55] offset1:1
	s_wait_loadcnt 0x0
	s_clause 0x1
	scratch_store_b128 off, v[56:59], s10
	scratch_store_b128 v1, v[52:55], off offset:-16
.LBB34_232:
	s_wait_xcnt 0x0
	v_mov_b32_e32 v1, 0
	global_load_b32 v52, v1, s[16:17] offset:116
	s_wait_loadcnt 0x0
	v_cmp_eq_u32_e32 vcc_lo, 30, v52
	s_cbranch_vccnz .LBB34_234
; %bb.233:
	v_lshlrev_b32_e32 v52, 4, v52
	s_delay_alu instid0(VALU_DEP_1)
	v_mov_b32_e32 v60, v52
	s_clause 0x1
	scratch_load_b128 v[52:55], off, s9
	scratch_load_b128 v[56:59], v60, off offset:-16
	s_wait_loadcnt 0x1
	ds_store_2addr_b64 v0, v[52:53], v[54:55] offset1:1
	s_wait_loadcnt 0x0
	s_clause 0x1
	scratch_store_b128 off, v[56:59], s9
	scratch_store_b128 v60, v[52:55], off offset:-16
.LBB34_234:
	global_load_b32 v1, v1, s[16:17] offset:112
	s_wait_loadcnt 0x0
	v_cmp_eq_u32_e32 vcc_lo, 29, v1
	s_cbranch_vccnz .LBB34_236
; %bb.235:
	s_wait_xcnt 0x0
	v_lshlrev_b32_e32 v1, 4, v1
	s_clause 0x1
	scratch_load_b128 v[52:55], off, s14
	scratch_load_b128 v[56:59], v1, off offset:-16
	s_wait_loadcnt 0x1
	ds_store_2addr_b64 v0, v[52:53], v[54:55] offset1:1
	s_wait_loadcnt 0x0
	s_clause 0x1
	scratch_store_b128 off, v[56:59], s14
	scratch_store_b128 v1, v[52:55], off offset:-16
.LBB34_236:
	;; [unrolled: 37-line block ×15, first 2 shown]
	s_wait_xcnt 0x0
	v_mov_b32_e32 v1, 0
	global_load_b32 v52, v1, s[16:17] offset:4
	s_wait_loadcnt 0x0
	v_cmp_eq_u32_e32 vcc_lo, 2, v52
	s_cbranch_vccnz .LBB34_290
; %bb.289:
	v_lshlrev_b32_e32 v52, 4, v52
	s_delay_alu instid0(VALU_DEP_1)
	v_mov_b32_e32 v60, v52
	s_clause 0x1
	scratch_load_b128 v[52:55], off, s27
	scratch_load_b128 v[56:59], v60, off offset:-16
	s_wait_loadcnt 0x1
	ds_store_2addr_b64 v0, v[52:53], v[54:55] offset1:1
	s_wait_loadcnt 0x0
	s_clause 0x1
	scratch_store_b128 off, v[56:59], s27
	scratch_store_b128 v60, v[52:55], off offset:-16
.LBB34_290:
	global_load_b32 v1, v1, s[16:17]
	s_wait_loadcnt 0x0
	v_cmp_eq_u32_e32 vcc_lo, 1, v1
	s_cbranch_vccnz .LBB34_292
; %bb.291:
	s_wait_xcnt 0x0
	v_lshlrev_b32_e32 v1, 4, v1
	scratch_load_b128 v[52:55], off, off
	scratch_load_b128 v[56:59], v1, off offset:-16
	s_wait_loadcnt 0x1
	ds_store_2addr_b64 v0, v[52:53], v[54:55] offset1:1
	s_wait_loadcnt 0x0
	scratch_store_b128 off, v[56:59], off
	scratch_store_b128 v1, v[52:55], off offset:-16
.LBB34_292:
	scratch_load_b128 v[52:55], off, off
	s_clause 0xf
	scratch_load_b128 v[56:59], off, s27
	scratch_load_b128 v[60:63], off, s22
	;; [unrolled: 1-line block ×15, first 2 shown]
	; meta instruction
	; meta instruction
	;; [unrolled: 1-line block ×15, first 2 shown]
	scratch_load_b128 v[136:139], off, s39
	s_wait_loadcnt 0x10
	global_store_b128 v[14:15], v[52:55], off
	s_clause 0x1
	scratch_load_b128 v[52:55], off, s33
	scratch_load_b128 v[140:143], off, s34
	s_wait_loadcnt 0x11
	global_store_b128 v[16:17], v[56:59], off
	s_wait_loadcnt 0x10
	global_store_b128 v[102:103], v[60:63], off
	s_clause 0x1
	scratch_load_b128 v[14:17], off, s30
	scratch_load_b128 v[56:59], off, s31
	s_wait_loadcnt 0x11
	global_store_b128 v[100:101], v[64:67], off
	s_clause 0x1
	scratch_load_b128 v[60:63], off, s28
	scratch_load_b128 v[64:67], off, s29
	s_wait_loadcnt 0x12
	global_store_b128 v[98:99], v[68:71], off
	s_clause 0x1
	scratch_load_b128 v[68:71], off, s24
	scratch_load_b128 v[98:101], off, s26
	s_wait_loadcnt 0x13
	global_store_b128 v[94:95], v[72:75], off
	s_wait_loadcnt 0x12
	global_store_b128 v[96:97], v[76:79], off
	s_clause 0x1
	scratch_load_b128 v[72:75], off, s20
	scratch_load_b128 v[76:79], off, s21
	s_wait_loadcnt 0x13
	global_store_b128 v[92:93], v[80:83], off
	s_clause 0x1
	scratch_load_b128 v[80:83], off, s13
	;; [unrolled: 17-line block ×3, first 2 shown]
	scratch_load_b128 v[114:117], off, s12
	s_wait_loadcnt 0x16
	global_store_b128 v[2:3], v[120:123], off
	s_wait_loadcnt 0x15
	global_store_b128 v[4:5], v[124:127], off
	;; [unrolled: 2-line block ×23, first 2 shown]
	s_sendmsg sendmsg(MSG_DEALLOC_VGPRS)
	s_endpgm
	.section	.rodata,"a",@progbits
	.p2align	6, 0x0
	.amdhsa_kernel _ZN9rocsolver6v33100L18getri_kernel_smallILi35E19rocblas_complex_numIdEPS3_EEvT1_iilPiilS6_bb
		.amdhsa_group_segment_fixed_size 2152
		.amdhsa_private_segment_fixed_size 576
		.amdhsa_kernarg_size 60
		.amdhsa_user_sgpr_count 4
		.amdhsa_user_sgpr_dispatch_ptr 1
		.amdhsa_user_sgpr_queue_ptr 0
		.amdhsa_user_sgpr_kernarg_segment_ptr 1
		.amdhsa_user_sgpr_dispatch_id 0
		.amdhsa_user_sgpr_kernarg_preload_length 0
		.amdhsa_user_sgpr_kernarg_preload_offset 0
		.amdhsa_user_sgpr_private_segment_size 0
		.amdhsa_wavefront_size32 1
		.amdhsa_uses_dynamic_stack 0
		.amdhsa_enable_private_segment 1
		.amdhsa_system_sgpr_workgroup_id_x 1
		.amdhsa_system_sgpr_workgroup_id_y 0
		.amdhsa_system_sgpr_workgroup_id_z 0
		.amdhsa_system_sgpr_workgroup_info 0
		.amdhsa_system_vgpr_workitem_id 2
		.amdhsa_next_free_vgpr 152
		.amdhsa_next_free_sgpr 63
		.amdhsa_named_barrier_count 0
		.amdhsa_reserve_vcc 1
		.amdhsa_float_round_mode_32 0
		.amdhsa_float_round_mode_16_64 0
		.amdhsa_float_denorm_mode_32 3
		.amdhsa_float_denorm_mode_16_64 3
		.amdhsa_fp16_overflow 0
		.amdhsa_memory_ordered 1
		.amdhsa_forward_progress 1
		.amdhsa_inst_pref_size 255
		.amdhsa_round_robin_scheduling 0
		.amdhsa_exception_fp_ieee_invalid_op 0
		.amdhsa_exception_fp_denorm_src 0
		.amdhsa_exception_fp_ieee_div_zero 0
		.amdhsa_exception_fp_ieee_overflow 0
		.amdhsa_exception_fp_ieee_underflow 0
		.amdhsa_exception_fp_ieee_inexact 0
		.amdhsa_exception_int_div_zero 0
	.end_amdhsa_kernel
	.section	.text._ZN9rocsolver6v33100L18getri_kernel_smallILi35E19rocblas_complex_numIdEPS3_EEvT1_iilPiilS6_bb,"axG",@progbits,_ZN9rocsolver6v33100L18getri_kernel_smallILi35E19rocblas_complex_numIdEPS3_EEvT1_iilPiilS6_bb,comdat
.Lfunc_end34:
	.size	_ZN9rocsolver6v33100L18getri_kernel_smallILi35E19rocblas_complex_numIdEPS3_EEvT1_iilPiilS6_bb, .Lfunc_end34-_ZN9rocsolver6v33100L18getri_kernel_smallILi35E19rocblas_complex_numIdEPS3_EEvT1_iilPiilS6_bb
                                        ; -- End function
	.set _ZN9rocsolver6v33100L18getri_kernel_smallILi35E19rocblas_complex_numIdEPS3_EEvT1_iilPiilS6_bb.num_vgpr, 152
	.set _ZN9rocsolver6v33100L18getri_kernel_smallILi35E19rocblas_complex_numIdEPS3_EEvT1_iilPiilS6_bb.num_agpr, 0
	.set _ZN9rocsolver6v33100L18getri_kernel_smallILi35E19rocblas_complex_numIdEPS3_EEvT1_iilPiilS6_bb.numbered_sgpr, 63
	.set _ZN9rocsolver6v33100L18getri_kernel_smallILi35E19rocblas_complex_numIdEPS3_EEvT1_iilPiilS6_bb.num_named_barrier, 0
	.set _ZN9rocsolver6v33100L18getri_kernel_smallILi35E19rocblas_complex_numIdEPS3_EEvT1_iilPiilS6_bb.private_seg_size, 576
	.set _ZN9rocsolver6v33100L18getri_kernel_smallILi35E19rocblas_complex_numIdEPS3_EEvT1_iilPiilS6_bb.uses_vcc, 1
	.set _ZN9rocsolver6v33100L18getri_kernel_smallILi35E19rocblas_complex_numIdEPS3_EEvT1_iilPiilS6_bb.uses_flat_scratch, 1
	.set _ZN9rocsolver6v33100L18getri_kernel_smallILi35E19rocblas_complex_numIdEPS3_EEvT1_iilPiilS6_bb.has_dyn_sized_stack, 0
	.set _ZN9rocsolver6v33100L18getri_kernel_smallILi35E19rocblas_complex_numIdEPS3_EEvT1_iilPiilS6_bb.has_recursion, 0
	.set _ZN9rocsolver6v33100L18getri_kernel_smallILi35E19rocblas_complex_numIdEPS3_EEvT1_iilPiilS6_bb.has_indirect_call, 0
	.section	.AMDGPU.csdata,"",@progbits
; Kernel info:
; codeLenInByte = 52912
; TotalNumSgprs: 65
; NumVgprs: 152
; ScratchSize: 576
; MemoryBound: 0
; FloatMode: 240
; IeeeMode: 1
; LDSByteSize: 2152 bytes/workgroup (compile time only)
; SGPRBlocks: 0
; VGPRBlocks: 9
; NumSGPRsForWavesPerEU: 65
; NumVGPRsForWavesPerEU: 152
; NamedBarCnt: 0
; Occupancy: 6
; WaveLimiterHint : 1
; COMPUTE_PGM_RSRC2:SCRATCH_EN: 1
; COMPUTE_PGM_RSRC2:USER_SGPR: 4
; COMPUTE_PGM_RSRC2:TRAP_HANDLER: 0
; COMPUTE_PGM_RSRC2:TGID_X_EN: 1
; COMPUTE_PGM_RSRC2:TGID_Y_EN: 0
; COMPUTE_PGM_RSRC2:TGID_Z_EN: 0
; COMPUTE_PGM_RSRC2:TIDIG_COMP_CNT: 2
	.section	.text._ZN9rocsolver6v33100L18getri_kernel_smallILi36E19rocblas_complex_numIdEPS3_EEvT1_iilPiilS6_bb,"axG",@progbits,_ZN9rocsolver6v33100L18getri_kernel_smallILi36E19rocblas_complex_numIdEPS3_EEvT1_iilPiilS6_bb,comdat
	.globl	_ZN9rocsolver6v33100L18getri_kernel_smallILi36E19rocblas_complex_numIdEPS3_EEvT1_iilPiilS6_bb ; -- Begin function _ZN9rocsolver6v33100L18getri_kernel_smallILi36E19rocblas_complex_numIdEPS3_EEvT1_iilPiilS6_bb
	.p2align	8
	.type	_ZN9rocsolver6v33100L18getri_kernel_smallILi36E19rocblas_complex_numIdEPS3_EEvT1_iilPiilS6_bb,@function
_ZN9rocsolver6v33100L18getri_kernel_smallILi36E19rocblas_complex_numIdEPS3_EEvT1_iilPiilS6_bb: ; @_ZN9rocsolver6v33100L18getri_kernel_smallILi36E19rocblas_complex_numIdEPS3_EEvT1_iilPiilS6_bb
; %bb.0:
	v_and_b32_e32 v1, 0x3ff, v0
	s_mov_b32 s4, exec_lo
	s_delay_alu instid0(VALU_DEP_1)
	v_cmpx_gt_u32_e32 36, v1
	s_cbranch_execz .LBB35_158
; %bb.1:
	s_clause 0x2
	s_load_b32 s8, s[2:3], 0x38
	s_load_b128 s[12:15], s[2:3], 0x10
	s_load_b128 s[4:7], s[2:3], 0x28
	s_getreg_b32 s11, hwreg(HW_REG_IB_STS2, 6, 4)
                                        ; implicit-def: $sgpr16_sgpr17
	s_wait_kmcnt 0x0
	s_bitcmp1_b32 s8, 8
	s_cselect_b32 s48, -1, 0
	s_bfe_u32 s9, ttmp6, 0x4000c
	s_and_b32 s10, ttmp6, 15
	s_add_co_i32 s9, s9, 1
	s_delay_alu instid0(SALU_CYCLE_1) | instskip(NEXT) | instid1(SALU_CYCLE_1)
	s_mul_i32 s9, ttmp9, s9
	s_add_co_i32 s10, s10, s9
	s_cmp_eq_u32 s11, 0
	s_cselect_b32 s18, ttmp9, s10
	s_bfe_u32 s8, s8, 0x10008
	s_ashr_i32 s19, s18, 31
	s_cmp_eq_u32 s8, 0
	s_cbranch_scc1 .LBB35_3
; %bb.2:
	s_load_b32 s8, s[2:3], 0x20
	s_mul_u64 s[4:5], s[4:5], s[18:19]
	s_delay_alu instid0(SALU_CYCLE_1) | instskip(NEXT) | instid1(SALU_CYCLE_1)
	s_lshl_b64 s[4:5], s[4:5], 2
	s_add_nc_u64 s[4:5], s[14:15], s[4:5]
	s_wait_kmcnt 0x0
	s_ashr_i32 s9, s8, 31
	s_delay_alu instid0(SALU_CYCLE_1) | instskip(NEXT) | instid1(SALU_CYCLE_1)
	s_lshl_b64 s[8:9], s[8:9], 2
	s_add_nc_u64 s[16:17], s[4:5], s[8:9]
.LBB35_3:
	s_clause 0x1
	s_load_b128 s[8:11], s[2:3], 0x0
	s_load_b32 s49, s[2:3], 0x38
	s_wait_xcnt 0x0
	s_mul_u64 s[2:3], s[12:13], s[18:19]
	s_movk_i32 s24, 0x130
	s_lshl_b64 s[2:3], s[2:3], 4
	s_movk_i32 s28, 0x150
	s_movk_i32 s33, 0x160
	;; [unrolled: 1-line block ×15, first 2 shown]
	s_wait_kmcnt 0x0
	v_add3_u32 v18, s11, s11, v1
	s_ashr_i32 s5, s10, 31
	s_mov_b32 s4, s10
	s_add_nc_u64 s[2:3], s[8:9], s[2:3]
	s_lshl_b64 s[4:5], s[4:5], 4
	v_dual_add_nc_u32 v20, s11, v18 :: v_dual_lshlrev_b32 v86, 4, v1
	s_add_nc_u64 s[4:5], s[2:3], s[4:5]
	s_ashr_i32 s3, s11, 31
	s_mov_b32 s2, s11
	s_delay_alu instid0(VALU_DEP_1)
	v_dual_mov_b32 v87, 0 :: v_dual_add_nc_u32 v22, s11, v20
	s_clause 0x1
	global_load_b128 v[2:5], v18, s[4:5] scale_offset
	global_load_b128 v[6:9], v20, s[4:5] scale_offset
	s_mov_b32 s36, 16
	v_add_nc_u32_e32 v24, s11, v22
	v_add_nc_u64_e32 v[14:15], s[4:5], v[86:87]
	s_mov_b32 s31, 32
	s_mov_b32 s34, 48
	s_mov_b32 s35, 64
	v_add_nc_u32_e32 v26, s11, v24
	s_movk_i32 s39, 0x50
	s_movk_i32 s41, 0x60
	v_lshl_add_u64 v[16:17], s[2:3], 4, v[14:15]
	s_movk_i32 s44, 0x70
	v_add_nc_u32_e32 v28, s11, v26
	s_clause 0x1
	global_load_b128 v[10:13], v1, s[4:5] scale_offset
	global_load_b128 v[76:79], v[16:17], off
	s_movk_i32 s37, 0x80
	s_movk_i32 s38, 0x90
	v_add_nc_u32_e32 v30, s11, v28
	s_clause 0x1
	global_load_b128 v[80:83], v22, s[4:5] scale_offset
	global_load_b128 v[88:91], v24, s[4:5] scale_offset
	s_movk_i32 s40, 0xa0
	s_movk_i32 s43, 0xb0
	;; [unrolled: 1-line block ×3, first 2 shown]
	v_add_nc_u32_e32 v32, s11, v30
	s_movk_i32 s46, 0xd0
	s_movk_i32 s47, 0xe0
	;; [unrolled: 1-line block ×4, first 2 shown]
	v_add_nc_u32_e32 v34, s11, v32
	s_clause 0x2
	global_load_b128 v[92:95], v26, s[4:5] scale_offset
	global_load_b128 v[96:99], v28, s[4:5] scale_offset
	;; [unrolled: 1-line block ×3, first 2 shown]
	s_movk_i32 s29, 0x110
	s_movk_i32 s30, 0x120
	s_clause 0x1
	global_load_b128 v[104:107], v32, s[4:5] scale_offset
	global_load_b128 v[108:111], v34, s[4:5] scale_offset
	v_add_nc_u32_e32 v36, s11, v34
	s_movk_i32 s26, 0x140
	s_mov_b32 s23, s24
	s_mov_b32 s20, s28
	s_mov_b32 s22, s33
	v_add_nc_u32_e32 v38, s11, v36
	s_mov_b32 s12, s50
	s_mov_b32 s13, s51
	s_mov_b32 s10, s52
	s_mov_b32 s8, s54
	v_add_nc_u32_e32 v40, s11, v38
	s_mov_b32 s9, s55
	;; [unrolled: 5-line block ×3, first 2 shown]
	s_mov_b32 s14, s60
	s_mov_b32 s15, s61
	;; [unrolled: 1-line block ×3, first 2 shown]
	v_add_nc_u32_e32 v44, s11, v42
	s_clause 0x1
	global_load_b128 v[112:115], v36, s[4:5] scale_offset
	global_load_b128 v[116:119], v38, s[4:5] scale_offset
	s_bitcmp0_b32 s49, 0
	s_mov_b32 s3, -1
	v_add_nc_u32_e32 v46, s11, v44
	s_clause 0x2
	global_load_b128 v[120:123], v40, s[4:5] scale_offset
	global_load_b128 v[124:127], v42, s[4:5] scale_offset
	;; [unrolled: 1-line block ×3, first 2 shown]
	v_add_nc_u32_e32 v48, s11, v46
	s_delay_alu instid0(VALU_DEP_1) | instskip(NEXT) | instid1(VALU_DEP_1)
	v_add_nc_u32_e32 v50, s11, v48
	v_add_nc_u32_e32 v52, s11, v50
	s_delay_alu instid0(VALU_DEP_1) | instskip(SKIP_4) | instid1(VALU_DEP_1)
	v_add_nc_u32_e32 v54, s11, v52
	s_clause 0x1
	global_load_b128 v[132:135], v46, s[4:5] scale_offset
	global_load_b128 v[136:139], v48, s[4:5] scale_offset
	v_add_nc_u32_e32 v56, s11, v54
	v_add_nc_u32_e32 v58, s11, v56
	s_clause 0x3
	global_load_b128 v[140:143], v50, s[4:5] scale_offset
	global_load_b128 v[144:147], v52, s[4:5] scale_offset
	;; [unrolled: 1-line block ×4, first 2 shown]
	v_add_nc_u32_e32 v60, s11, v58
	s_delay_alu instid0(VALU_DEP_1) | instskip(NEXT) | instid1(VALU_DEP_1)
	v_add_nc_u32_e32 v62, s11, v60
	v_add_nc_u32_e32 v64, s11, v62
	s_delay_alu instid0(VALU_DEP_1) | instskip(NEXT) | instid1(VALU_DEP_1)
	v_add_nc_u32_e32 v66, s11, v64
	;; [unrolled: 3-line block ×3, first 2 shown]
	v_add_nc_u32_e32 v72, s11, v70
	s_delay_alu instid0(VALU_DEP_1)
	v_add_nc_u32_e32 v74, s11, v72
	s_wait_loadcnt 0x15
	scratch_store_b128 off, v[2:5], off offset:32
	s_clause 0x1
	global_load_b128 v[2:5], v58, s[4:5] scale_offset
	global_load_b128 v[156:159], v60, s[4:5] scale_offset
	s_wait_loadcnt 0x16
	scratch_store_b128 off, v[6:9], off offset:48
	s_wait_loadcnt 0x15
	scratch_store_b128 off, v[10:13], off
	s_wait_loadcnt 0x14
	scratch_store_b128 off, v[76:79], off offset:16
	s_wait_xcnt 0x0
	v_add_nc_u32_e32 v76, s11, v74
	s_clause 0x1
	global_load_b128 v[6:9], v62, s[4:5] scale_offset
	global_load_b128 v[10:13], v64, s[4:5] scale_offset
	s_wait_loadcnt 0x15
	scratch_store_b128 off, v[80:83], off offset:64
	s_wait_loadcnt 0x14
	scratch_store_b128 off, v[88:91], off offset:80
	s_clause 0x1
	global_load_b128 v[88:91], v66, s[4:5] scale_offset
	global_load_b128 v[160:163], v68, s[4:5] scale_offset
	v_add_nc_u32_e32 v78, s11, v76
	s_delay_alu instid0(VALU_DEP_1)
	v_add_nc_u32_e32 v80, s11, v78
	s_wait_loadcnt 0x15
	scratch_store_b128 off, v[92:95], off offset:96
	s_wait_loadcnt 0x14
	scratch_store_b128 off, v[96:99], off offset:112
	;; [unrolled: 2-line block ×3, first 2 shown]
	s_clause 0x1
	global_load_b128 v[92:95], v70, s[4:5] scale_offset
	global_load_b128 v[96:99], v72, s[4:5] scale_offset
	v_add_nc_u32_e32 v82, s11, v80
	s_wait_loadcnt 0x14
	scratch_store_b128 off, v[104:107], off offset:144
	s_wait_loadcnt 0x13
	scratch_store_b128 off, v[108:111], off offset:160
	s_clause 0x1
	global_load_b128 v[100:103], v74, s[4:5] scale_offset
	global_load_b128 v[104:107], v76, s[4:5] scale_offset
	s_wait_loadcnt 0x14
	scratch_store_b128 off, v[112:115], off offset:176
	s_wait_loadcnt 0x13
	scratch_store_b128 off, v[116:119], off offset:192
	v_add_nc_u32_e32 v84, s11, v82
	s_clause 0x1
	global_load_b128 v[108:111], v78, s[4:5] scale_offset
	global_load_b128 v[112:115], v80, s[4:5] scale_offset
	s_mov_b32 s11, s53
	s_wait_loadcnt 0x14
	scratch_store_b128 off, v[120:123], off offset:208
	s_wait_loadcnt 0x13
	scratch_store_b128 off, v[124:127], off offset:224
	;; [unrolled: 2-line block ×3, first 2 shown]
	s_clause 0x1
	global_load_b128 v[116:119], v82, s[4:5] scale_offset
	global_load_b128 v[120:123], v84, s[4:5] scale_offset
	s_wait_loadcnt 0x13
	scratch_store_b128 off, v[132:135], off offset:256
	s_wait_loadcnt 0x12
	scratch_store_b128 off, v[136:139], off offset:272
	s_wait_loadcnt 0x11
	scratch_store_b128 off, v[140:143], off offset:288
	s_wait_loadcnt 0x10
	scratch_store_b128 off, v[144:147], off offset:304
	s_wait_loadcnt 0xf
	scratch_store_b128 off, v[148:151], off offset:320
	s_wait_loadcnt 0xe
	scratch_store_b128 off, v[152:155], off offset:336
	s_wait_loadcnt 0xd
	scratch_store_b128 off, v[2:5], off offset:352
	s_wait_loadcnt 0xc
	scratch_store_b128 off, v[156:159], off offset:368
	s_wait_loadcnt 0xb
	scratch_store_b128 off, v[6:9], off offset:384
	s_wait_loadcnt 0xa
	scratch_store_b128 off, v[10:13], off offset:400
	s_wait_loadcnt 0x9
	scratch_store_b128 off, v[88:91], off offset:416
	s_wait_loadcnt 0x8
	scratch_store_b128 off, v[160:163], off offset:432
	s_wait_loadcnt 0x7
	scratch_store_b128 off, v[92:95], off offset:448
	s_wait_loadcnt 0x6
	scratch_store_b128 off, v[96:99], off offset:464
	s_wait_loadcnt 0x5
	scratch_store_b128 off, v[100:103], off offset:480
	s_wait_loadcnt 0x4
	scratch_store_b128 off, v[104:107], off offset:496
	s_wait_loadcnt 0x3
	scratch_store_b128 off, v[108:111], off offset:512
	s_wait_loadcnt 0x2
	scratch_store_b128 off, v[112:115], off offset:528
	s_wait_loadcnt 0x1
	scratch_store_b128 off, v[116:119], off offset:544
	s_wait_loadcnt 0x0
	scratch_store_b128 off, v[120:123], off offset:560
	s_cbranch_scc1 .LBB35_156
; %bb.4:
	v_cmp_eq_u32_e64 s2, 0, v1
	s_wait_xcnt 0x0
	s_and_saveexec_b32 s3, s2
; %bb.5:
	v_mov_b32_e32 v2, 0
	ds_store_b32 v2, v2 offset:1152
; %bb.6:
	s_or_b32 exec_lo, exec_lo, s3
	s_wait_storecnt_dscnt 0x0
	s_barrier_signal -1
	s_barrier_wait -1
	scratch_load_b128 v[2:5], v1, off scale_offset
	s_wait_loadcnt 0x0
	v_cmp_eq_f64_e32 vcc_lo, 0, v[2:3]
	v_cmp_eq_f64_e64 s3, 0, v[4:5]
	s_and_b32 s3, vcc_lo, s3
	s_delay_alu instid0(SALU_CYCLE_1)
	s_and_saveexec_b32 s49, s3
	s_cbranch_execz .LBB35_10
; %bb.7:
	v_mov_b32_e32 v2, 0
	s_mov_b32 s50, 0
	ds_load_b32 v3, v2 offset:1152
	s_wait_dscnt 0x0
	v_readfirstlane_b32 s3, v3
	v_add_nc_u32_e32 v3, 1, v1
	s_cmp_eq_u32 s3, 0
	s_delay_alu instid0(VALU_DEP_1) | instskip(SKIP_1) | instid1(SALU_CYCLE_1)
	v_cmp_gt_i32_e32 vcc_lo, s3, v3
	s_cselect_b32 s51, -1, 0
	s_or_b32 s51, s51, vcc_lo
	s_delay_alu instid0(SALU_CYCLE_1)
	s_and_b32 exec_lo, exec_lo, s51
	s_cbranch_execz .LBB35_10
; %bb.8:
	v_mov_b32_e32 v4, s3
.LBB35_9:                               ; =>This Inner Loop Header: Depth=1
	ds_cmpstore_rtn_b32 v4, v2, v3, v4 offset:1152
	s_wait_dscnt 0x0
	v_cmp_ne_u32_e32 vcc_lo, 0, v4
	v_cmp_le_i32_e64 s3, v4, v3
	s_and_b32 s3, vcc_lo, s3
	s_delay_alu instid0(SALU_CYCLE_1) | instskip(NEXT) | instid1(SALU_CYCLE_1)
	s_and_b32 s3, exec_lo, s3
	s_or_b32 s50, s3, s50
	s_delay_alu instid0(SALU_CYCLE_1)
	s_and_not1_b32 exec_lo, exec_lo, s50
	s_cbranch_execnz .LBB35_9
.LBB35_10:
	s_or_b32 exec_lo, exec_lo, s49
	v_mov_b32_e32 v2, 0
	s_barrier_signal -1
	s_barrier_wait -1
	ds_load_b32 v3, v2 offset:1152
	s_and_saveexec_b32 s3, s2
	s_cbranch_execz .LBB35_12
; %bb.11:
	s_lshl_b64 s[50:51], s[18:19], 2
	s_delay_alu instid0(SALU_CYCLE_1)
	s_add_nc_u64 s[50:51], s[6:7], s[50:51]
	s_wait_dscnt 0x0
	global_store_b32 v2, v3, s[50:51]
.LBB35_12:
	s_wait_xcnt 0x0
	s_or_b32 exec_lo, exec_lo, s3
	s_wait_dscnt 0x0
	v_cmp_ne_u32_e32 vcc_lo, 0, v3
	s_mov_b32 s3, 0
	s_cbranch_vccnz .LBB35_156
; %bb.13:
	v_lshl_add_u32 v19, v1, 4, 0
                                        ; implicit-def: $vgpr6_vgpr7
                                        ; implicit-def: $vgpr10_vgpr11
	scratch_load_b128 v[2:5], v19, off
	s_wait_loadcnt 0x0
	v_cmp_ngt_f64_e64 s3, |v[2:3]|, |v[4:5]|
	s_wait_xcnt 0x0
	s_and_saveexec_b32 s49, s3
	s_delay_alu instid0(SALU_CYCLE_1)
	s_xor_b32 s3, exec_lo, s49
	s_cbranch_execz .LBB35_15
; %bb.14:
	v_div_scale_f64 v[6:7], null, v[4:5], v[4:5], v[2:3]
	v_div_scale_f64 v[12:13], vcc_lo, v[2:3], v[4:5], v[2:3]
	s_delay_alu instid0(VALU_DEP_2) | instskip(SKIP_1) | instid1(TRANS32_DEP_1)
	v_rcp_f64_e32 v[8:9], v[6:7]
	v_nop
	v_fma_f64 v[10:11], -v[6:7], v[8:9], 1.0
	s_delay_alu instid0(VALU_DEP_1) | instskip(NEXT) | instid1(VALU_DEP_1)
	v_fmac_f64_e32 v[8:9], v[8:9], v[10:11]
	v_fma_f64 v[10:11], -v[6:7], v[8:9], 1.0
	s_delay_alu instid0(VALU_DEP_1) | instskip(NEXT) | instid1(VALU_DEP_1)
	v_fmac_f64_e32 v[8:9], v[8:9], v[10:11]
	v_mul_f64_e32 v[10:11], v[12:13], v[8:9]
	s_delay_alu instid0(VALU_DEP_1) | instskip(NEXT) | instid1(VALU_DEP_1)
	v_fma_f64 v[6:7], -v[6:7], v[10:11], v[12:13]
	v_div_fmas_f64 v[6:7], v[6:7], v[8:9], v[10:11]
	s_delay_alu instid0(VALU_DEP_1) | instskip(NEXT) | instid1(VALU_DEP_1)
	v_div_fixup_f64 v[6:7], v[6:7], v[4:5], v[2:3]
	v_fmac_f64_e32 v[4:5], v[2:3], v[6:7]
	s_delay_alu instid0(VALU_DEP_1) | instskip(SKIP_1) | instid1(VALU_DEP_2)
	v_div_scale_f64 v[2:3], null, v[4:5], v[4:5], 1.0
	v_div_scale_f64 v[12:13], vcc_lo, 1.0, v[4:5], 1.0
	v_rcp_f64_e32 v[8:9], v[2:3]
	v_nop
	s_delay_alu instid0(TRANS32_DEP_1) | instskip(NEXT) | instid1(VALU_DEP_1)
	v_fma_f64 v[10:11], -v[2:3], v[8:9], 1.0
	v_fmac_f64_e32 v[8:9], v[8:9], v[10:11]
	s_delay_alu instid0(VALU_DEP_1) | instskip(NEXT) | instid1(VALU_DEP_1)
	v_fma_f64 v[10:11], -v[2:3], v[8:9], 1.0
	v_fmac_f64_e32 v[8:9], v[8:9], v[10:11]
	s_delay_alu instid0(VALU_DEP_1) | instskip(NEXT) | instid1(VALU_DEP_1)
	v_mul_f64_e32 v[10:11], v[12:13], v[8:9]
	v_fma_f64 v[2:3], -v[2:3], v[10:11], v[12:13]
	s_delay_alu instid0(VALU_DEP_1) | instskip(NEXT) | instid1(VALU_DEP_1)
	v_div_fmas_f64 v[2:3], v[2:3], v[8:9], v[10:11]
	v_div_fixup_f64 v[8:9], v[2:3], v[4:5], 1.0
                                        ; implicit-def: $vgpr2_vgpr3
	s_delay_alu instid0(VALU_DEP_1) | instskip(SKIP_1) | instid1(VALU_DEP_2)
	v_mul_f64_e32 v[6:7], v[6:7], v[8:9]
	v_xor_b32_e32 v9, 0x80000000, v9
	v_xor_b32_e32 v11, 0x80000000, v7
	s_delay_alu instid0(VALU_DEP_3)
	v_mov_b32_e32 v10, v6
.LBB35_15:
	s_and_not1_saveexec_b32 s3, s3
	s_cbranch_execz .LBB35_17
; %bb.16:
	v_div_scale_f64 v[6:7], null, v[2:3], v[2:3], v[4:5]
	v_div_scale_f64 v[12:13], vcc_lo, v[4:5], v[2:3], v[4:5]
	s_delay_alu instid0(VALU_DEP_2) | instskip(SKIP_1) | instid1(TRANS32_DEP_1)
	v_rcp_f64_e32 v[8:9], v[6:7]
	v_nop
	v_fma_f64 v[10:11], -v[6:7], v[8:9], 1.0
	s_delay_alu instid0(VALU_DEP_1) | instskip(NEXT) | instid1(VALU_DEP_1)
	v_fmac_f64_e32 v[8:9], v[8:9], v[10:11]
	v_fma_f64 v[10:11], -v[6:7], v[8:9], 1.0
	s_delay_alu instid0(VALU_DEP_1) | instskip(NEXT) | instid1(VALU_DEP_1)
	v_fmac_f64_e32 v[8:9], v[8:9], v[10:11]
	v_mul_f64_e32 v[10:11], v[12:13], v[8:9]
	s_delay_alu instid0(VALU_DEP_1) | instskip(NEXT) | instid1(VALU_DEP_1)
	v_fma_f64 v[6:7], -v[6:7], v[10:11], v[12:13]
	v_div_fmas_f64 v[6:7], v[6:7], v[8:9], v[10:11]
	s_delay_alu instid0(VALU_DEP_1) | instskip(NEXT) | instid1(VALU_DEP_1)
	v_div_fixup_f64 v[8:9], v[6:7], v[2:3], v[4:5]
	v_fmac_f64_e32 v[2:3], v[4:5], v[8:9]
	s_delay_alu instid0(VALU_DEP_1) | instskip(NEXT) | instid1(VALU_DEP_1)
	v_div_scale_f64 v[4:5], null, v[2:3], v[2:3], 1.0
	v_rcp_f64_e32 v[6:7], v[4:5]
	v_nop
	s_delay_alu instid0(TRANS32_DEP_1) | instskip(NEXT) | instid1(VALU_DEP_1)
	v_fma_f64 v[10:11], -v[4:5], v[6:7], 1.0
	v_fmac_f64_e32 v[6:7], v[6:7], v[10:11]
	s_delay_alu instid0(VALU_DEP_1) | instskip(NEXT) | instid1(VALU_DEP_1)
	v_fma_f64 v[10:11], -v[4:5], v[6:7], 1.0
	v_fmac_f64_e32 v[6:7], v[6:7], v[10:11]
	v_div_scale_f64 v[10:11], vcc_lo, 1.0, v[2:3], 1.0
	s_delay_alu instid0(VALU_DEP_1) | instskip(NEXT) | instid1(VALU_DEP_1)
	v_mul_f64_e32 v[12:13], v[10:11], v[6:7]
	v_fma_f64 v[4:5], -v[4:5], v[12:13], v[10:11]
	s_delay_alu instid0(VALU_DEP_1) | instskip(NEXT) | instid1(VALU_DEP_1)
	v_div_fmas_f64 v[4:5], v[4:5], v[6:7], v[12:13]
	v_div_fixup_f64 v[6:7], v[4:5], v[2:3], 1.0
	s_delay_alu instid0(VALU_DEP_1)
	v_mul_f64_e64 v[8:9], v[8:9], -v[6:7]
	v_xor_b32_e32 v11, 0x80000000, v7
	v_mov_b32_e32 v10, v6
.LBB35_17:
	s_or_b32 exec_lo, exec_lo, s3
	s_clause 0x1
	scratch_store_b128 v19, v[6:9], off
	scratch_load_b128 v[2:5], off, s36
	v_xor_b32_e32 v13, 0x80000000, v9
	v_mov_b32_e32 v12, v8
	s_wait_xcnt 0x1
	v_add_nc_u32_e32 v6, 0x240, v86
	ds_store_b128 v86, v[10:13]
	s_wait_loadcnt 0x0
	ds_store_b128 v86, v[2:5] offset:576
	s_wait_storecnt_dscnt 0x0
	s_barrier_signal -1
	s_barrier_wait -1
	s_wait_xcnt 0x0
	s_and_saveexec_b32 s3, s2
	s_cbranch_execz .LBB35_19
; %bb.18:
	scratch_load_b128 v[2:5], v19, off
	ds_load_b128 v[8:11], v6
	v_mov_b32_e32 v7, 0
	ds_load_b128 v[88:91], v7 offset:16
	s_wait_loadcnt_dscnt 0x1
	v_mul_f64_e32 v[12:13], v[8:9], v[4:5]
	v_mul_f64_e32 v[4:5], v[10:11], v[4:5]
	s_delay_alu instid0(VALU_DEP_2) | instskip(NEXT) | instid1(VALU_DEP_2)
	v_fmac_f64_e32 v[12:13], v[10:11], v[2:3]
	v_fma_f64 v[2:3], v[8:9], v[2:3], -v[4:5]
	s_delay_alu instid0(VALU_DEP_2) | instskip(NEXT) | instid1(VALU_DEP_2)
	v_add_f64_e32 v[8:9], 0, v[12:13]
	v_add_f64_e32 v[2:3], 0, v[2:3]
	s_wait_dscnt 0x0
	s_delay_alu instid0(VALU_DEP_2) | instskip(NEXT) | instid1(VALU_DEP_2)
	v_mul_f64_e32 v[10:11], v[8:9], v[90:91]
	v_mul_f64_e32 v[4:5], v[2:3], v[90:91]
	s_delay_alu instid0(VALU_DEP_2) | instskip(NEXT) | instid1(VALU_DEP_2)
	v_fma_f64 v[2:3], v[2:3], v[88:89], -v[10:11]
	v_fmac_f64_e32 v[4:5], v[8:9], v[88:89]
	scratch_store_b128 off, v[2:5], off offset:16
.LBB35_19:
	s_wait_xcnt 0x0
	s_or_b32 exec_lo, exec_lo, s3
	s_wait_storecnt 0x0
	s_barrier_signal -1
	s_barrier_wait -1
	scratch_load_b128 v[2:5], off, s31
	s_mov_b32 s3, exec_lo
	s_wait_loadcnt 0x0
	ds_store_b128 v6, v[2:5]
	s_wait_dscnt 0x0
	s_barrier_signal -1
	s_barrier_wait -1
	v_cmpx_gt_u32_e32 2, v1
	s_cbranch_execz .LBB35_23
; %bb.20:
	scratch_load_b128 v[2:5], v19, off
	ds_load_b128 v[8:11], v6
	s_wait_loadcnt_dscnt 0x0
	v_mul_f64_e32 v[12:13], v[10:11], v[4:5]
	v_mul_f64_e32 v[88:89], v[8:9], v[4:5]
	s_delay_alu instid0(VALU_DEP_2) | instskip(NEXT) | instid1(VALU_DEP_2)
	v_fma_f64 v[4:5], v[8:9], v[2:3], -v[12:13]
	v_fmac_f64_e32 v[88:89], v[10:11], v[2:3]
	s_delay_alu instid0(VALU_DEP_2) | instskip(NEXT) | instid1(VALU_DEP_2)
	v_add_f64_e32 v[4:5], 0, v[4:5]
	v_add_f64_e32 v[2:3], 0, v[88:89]
	s_and_saveexec_b32 s49, s2
	s_cbranch_execz .LBB35_22
; %bb.21:
	scratch_load_b128 v[8:11], off, off offset:16
	v_mov_b32_e32 v7, 0
	ds_load_b128 v[88:91], v7 offset:592
	s_wait_loadcnt_dscnt 0x0
	v_mul_f64_e32 v[12:13], v[88:89], v[10:11]
	v_mul_f64_e32 v[10:11], v[90:91], v[10:11]
	s_delay_alu instid0(VALU_DEP_2) | instskip(NEXT) | instid1(VALU_DEP_2)
	v_fmac_f64_e32 v[12:13], v[90:91], v[8:9]
	v_fma_f64 v[8:9], v[88:89], v[8:9], -v[10:11]
	s_delay_alu instid0(VALU_DEP_2) | instskip(NEXT) | instid1(VALU_DEP_2)
	v_add_f64_e32 v[2:3], v[2:3], v[12:13]
	v_add_f64_e32 v[4:5], v[4:5], v[8:9]
.LBB35_22:
	s_or_b32 exec_lo, exec_lo, s49
	v_mov_b32_e32 v7, 0
	ds_load_b128 v[8:11], v7 offset:32
	s_wait_dscnt 0x0
	v_mul_f64_e32 v[88:89], v[2:3], v[10:11]
	v_mul_f64_e32 v[12:13], v[4:5], v[10:11]
	s_delay_alu instid0(VALU_DEP_2) | instskip(NEXT) | instid1(VALU_DEP_2)
	v_fma_f64 v[10:11], v[4:5], v[8:9], -v[88:89]
	v_fmac_f64_e32 v[12:13], v[2:3], v[8:9]
	scratch_store_b128 off, v[10:13], off offset:32
.LBB35_23:
	s_wait_xcnt 0x0
	s_or_b32 exec_lo, exec_lo, s3
	s_wait_storecnt 0x0
	s_barrier_signal -1
	s_barrier_wait -1
	scratch_load_b128 v[2:5], off, s34
	v_add_nc_u32_e32 v7, -1, v1
	s_mov_b32 s2, exec_lo
	s_wait_loadcnt 0x0
	ds_store_b128 v6, v[2:5]
	s_wait_dscnt 0x0
	s_barrier_signal -1
	s_barrier_wait -1
	v_cmpx_gt_u32_e32 3, v1
	s_cbranch_execz .LBB35_27
; %bb.24:
	v_dual_mov_b32 v10, v86 :: v_dual_add_nc_u32 v8, -1, v1
	v_mov_b64_e32 v[2:3], 0
	v_mov_b64_e32 v[4:5], 0
	v_add_nc_u32_e32 v9, 0x240, v86
	s_delay_alu instid0(VALU_DEP_4)
	v_or_b32_e32 v10, 8, v10
	s_mov_b32 s3, 0
.LBB35_25:                              ; =>This Inner Loop Header: Depth=1
	scratch_load_b128 v[88:91], v10, off offset:-8
	ds_load_b128 v[92:95], v9
	v_dual_add_nc_u32 v8, 1, v8 :: v_dual_add_nc_u32 v9, 16, v9
	s_wait_xcnt 0x0
	v_add_nc_u32_e32 v10, 16, v10
	s_delay_alu instid0(VALU_DEP_2) | instskip(SKIP_4) | instid1(VALU_DEP_2)
	v_cmp_lt_u32_e32 vcc_lo, 1, v8
	s_or_b32 s3, vcc_lo, s3
	s_wait_loadcnt_dscnt 0x0
	v_mul_f64_e32 v[12:13], v[94:95], v[90:91]
	v_mul_f64_e32 v[90:91], v[92:93], v[90:91]
	v_fma_f64 v[12:13], v[92:93], v[88:89], -v[12:13]
	s_delay_alu instid0(VALU_DEP_2) | instskip(NEXT) | instid1(VALU_DEP_2)
	v_fmac_f64_e32 v[90:91], v[94:95], v[88:89]
	v_add_f64_e32 v[4:5], v[4:5], v[12:13]
	s_delay_alu instid0(VALU_DEP_2)
	v_add_f64_e32 v[2:3], v[2:3], v[90:91]
	s_and_not1_b32 exec_lo, exec_lo, s3
	s_cbranch_execnz .LBB35_25
; %bb.26:
	s_or_b32 exec_lo, exec_lo, s3
	v_mov_b32_e32 v8, 0
	ds_load_b128 v[8:11], v8 offset:48
	s_wait_dscnt 0x0
	v_mul_f64_e32 v[88:89], v[2:3], v[10:11]
	v_mul_f64_e32 v[12:13], v[4:5], v[10:11]
	s_delay_alu instid0(VALU_DEP_2) | instskip(NEXT) | instid1(VALU_DEP_2)
	v_fma_f64 v[10:11], v[4:5], v[8:9], -v[88:89]
	v_fmac_f64_e32 v[12:13], v[2:3], v[8:9]
	scratch_store_b128 off, v[10:13], off offset:48
.LBB35_27:
	s_wait_xcnt 0x0
	s_or_b32 exec_lo, exec_lo, s2
	s_wait_storecnt 0x0
	s_barrier_signal -1
	s_barrier_wait -1
	scratch_load_b128 v[2:5], off, s35
	s_mov_b32 s2, exec_lo
	s_wait_loadcnt 0x0
	ds_store_b128 v6, v[2:5]
	s_wait_dscnt 0x0
	s_barrier_signal -1
	s_barrier_wait -1
	v_cmpx_gt_u32_e32 4, v1
	s_cbranch_execz .LBB35_31
; %bb.28:
	v_dual_mov_b32 v10, v86 :: v_dual_add_nc_u32 v8, -1, v1
	v_mov_b64_e32 v[2:3], 0
	v_mov_b64_e32 v[4:5], 0
	v_add_nc_u32_e32 v9, 0x240, v86
	s_delay_alu instid0(VALU_DEP_4)
	v_or_b32_e32 v10, 8, v10
	s_mov_b32 s3, 0
.LBB35_29:                              ; =>This Inner Loop Header: Depth=1
	scratch_load_b128 v[88:91], v10, off offset:-8
	ds_load_b128 v[92:95], v9
	v_dual_add_nc_u32 v8, 1, v8 :: v_dual_add_nc_u32 v9, 16, v9
	s_wait_xcnt 0x0
	v_add_nc_u32_e32 v10, 16, v10
	s_delay_alu instid0(VALU_DEP_2) | instskip(SKIP_4) | instid1(VALU_DEP_2)
	v_cmp_lt_u32_e32 vcc_lo, 2, v8
	s_or_b32 s3, vcc_lo, s3
	s_wait_loadcnt_dscnt 0x0
	v_mul_f64_e32 v[12:13], v[94:95], v[90:91]
	v_mul_f64_e32 v[90:91], v[92:93], v[90:91]
	v_fma_f64 v[12:13], v[92:93], v[88:89], -v[12:13]
	s_delay_alu instid0(VALU_DEP_2) | instskip(NEXT) | instid1(VALU_DEP_2)
	v_fmac_f64_e32 v[90:91], v[94:95], v[88:89]
	v_add_f64_e32 v[4:5], v[4:5], v[12:13]
	s_delay_alu instid0(VALU_DEP_2)
	v_add_f64_e32 v[2:3], v[2:3], v[90:91]
	s_and_not1_b32 exec_lo, exec_lo, s3
	s_cbranch_execnz .LBB35_29
; %bb.30:
	s_or_b32 exec_lo, exec_lo, s3
	v_mov_b32_e32 v8, 0
	ds_load_b128 v[8:11], v8 offset:64
	s_wait_dscnt 0x0
	v_mul_f64_e32 v[88:89], v[2:3], v[10:11]
	v_mul_f64_e32 v[12:13], v[4:5], v[10:11]
	s_delay_alu instid0(VALU_DEP_2) | instskip(NEXT) | instid1(VALU_DEP_2)
	v_fma_f64 v[10:11], v[4:5], v[8:9], -v[88:89]
	v_fmac_f64_e32 v[12:13], v[2:3], v[8:9]
	scratch_store_b128 off, v[10:13], off offset:64
.LBB35_31:
	s_wait_xcnt 0x0
	s_or_b32 exec_lo, exec_lo, s2
	s_wait_storecnt 0x0
	s_barrier_signal -1
	s_barrier_wait -1
	scratch_load_b128 v[2:5], off, s39
	s_mov_b32 s2, exec_lo
	s_wait_loadcnt 0x0
	ds_store_b128 v6, v[2:5]
	s_wait_dscnt 0x0
	s_barrier_signal -1
	s_barrier_wait -1
	v_cmpx_gt_u32_e32 5, v1
	s_cbranch_execz .LBB35_35
; %bb.32:
	v_dual_mov_b32 v10, v86 :: v_dual_add_nc_u32 v8, -1, v1
	v_mov_b64_e32 v[2:3], 0
	v_mov_b64_e32 v[4:5], 0
	v_add_nc_u32_e32 v9, 0x240, v86
	s_delay_alu instid0(VALU_DEP_4)
	v_or_b32_e32 v10, 8, v10
	s_mov_b32 s3, 0
.LBB35_33:                              ; =>This Inner Loop Header: Depth=1
	scratch_load_b128 v[88:91], v10, off offset:-8
	ds_load_b128 v[92:95], v9
	v_dual_add_nc_u32 v8, 1, v8 :: v_dual_add_nc_u32 v9, 16, v9
	s_wait_xcnt 0x0
	v_add_nc_u32_e32 v10, 16, v10
	s_delay_alu instid0(VALU_DEP_2) | instskip(SKIP_4) | instid1(VALU_DEP_2)
	v_cmp_lt_u32_e32 vcc_lo, 3, v8
	s_or_b32 s3, vcc_lo, s3
	s_wait_loadcnt_dscnt 0x0
	v_mul_f64_e32 v[12:13], v[94:95], v[90:91]
	v_mul_f64_e32 v[90:91], v[92:93], v[90:91]
	v_fma_f64 v[12:13], v[92:93], v[88:89], -v[12:13]
	s_delay_alu instid0(VALU_DEP_2) | instskip(NEXT) | instid1(VALU_DEP_2)
	v_fmac_f64_e32 v[90:91], v[94:95], v[88:89]
	v_add_f64_e32 v[4:5], v[4:5], v[12:13]
	s_delay_alu instid0(VALU_DEP_2)
	v_add_f64_e32 v[2:3], v[2:3], v[90:91]
	s_and_not1_b32 exec_lo, exec_lo, s3
	s_cbranch_execnz .LBB35_33
; %bb.34:
	s_or_b32 exec_lo, exec_lo, s3
	v_mov_b32_e32 v8, 0
	ds_load_b128 v[8:11], v8 offset:80
	s_wait_dscnt 0x0
	v_mul_f64_e32 v[88:89], v[2:3], v[10:11]
	v_mul_f64_e32 v[12:13], v[4:5], v[10:11]
	s_delay_alu instid0(VALU_DEP_2) | instskip(NEXT) | instid1(VALU_DEP_2)
	v_fma_f64 v[10:11], v[4:5], v[8:9], -v[88:89]
	v_fmac_f64_e32 v[12:13], v[2:3], v[8:9]
	scratch_store_b128 off, v[10:13], off offset:80
.LBB35_35:
	s_wait_xcnt 0x0
	s_or_b32 exec_lo, exec_lo, s2
	s_wait_storecnt 0x0
	s_barrier_signal -1
	s_barrier_wait -1
	scratch_load_b128 v[2:5], off, s41
	s_mov_b32 s2, exec_lo
	s_wait_loadcnt 0x0
	ds_store_b128 v6, v[2:5]
	s_wait_dscnt 0x0
	s_barrier_signal -1
	s_barrier_wait -1
	v_cmpx_gt_u32_e32 6, v1
	s_cbranch_execz .LBB35_39
; %bb.36:
	v_dual_mov_b32 v10, v86 :: v_dual_add_nc_u32 v8, -1, v1
	v_mov_b64_e32 v[2:3], 0
	v_mov_b64_e32 v[4:5], 0
	v_add_nc_u32_e32 v9, 0x240, v86
	s_delay_alu instid0(VALU_DEP_4)
	v_or_b32_e32 v10, 8, v10
	s_mov_b32 s3, 0
.LBB35_37:                              ; =>This Inner Loop Header: Depth=1
	scratch_load_b128 v[88:91], v10, off offset:-8
	ds_load_b128 v[92:95], v9
	v_dual_add_nc_u32 v8, 1, v8 :: v_dual_add_nc_u32 v9, 16, v9
	s_wait_xcnt 0x0
	v_add_nc_u32_e32 v10, 16, v10
	s_delay_alu instid0(VALU_DEP_2) | instskip(SKIP_4) | instid1(VALU_DEP_2)
	v_cmp_lt_u32_e32 vcc_lo, 4, v8
	s_or_b32 s3, vcc_lo, s3
	s_wait_loadcnt_dscnt 0x0
	v_mul_f64_e32 v[12:13], v[94:95], v[90:91]
	v_mul_f64_e32 v[90:91], v[92:93], v[90:91]
	v_fma_f64 v[12:13], v[92:93], v[88:89], -v[12:13]
	s_delay_alu instid0(VALU_DEP_2) | instskip(NEXT) | instid1(VALU_DEP_2)
	v_fmac_f64_e32 v[90:91], v[94:95], v[88:89]
	v_add_f64_e32 v[4:5], v[4:5], v[12:13]
	s_delay_alu instid0(VALU_DEP_2)
	v_add_f64_e32 v[2:3], v[2:3], v[90:91]
	s_and_not1_b32 exec_lo, exec_lo, s3
	s_cbranch_execnz .LBB35_37
; %bb.38:
	s_or_b32 exec_lo, exec_lo, s3
	v_mov_b32_e32 v8, 0
	ds_load_b128 v[8:11], v8 offset:96
	s_wait_dscnt 0x0
	v_mul_f64_e32 v[88:89], v[2:3], v[10:11]
	v_mul_f64_e32 v[12:13], v[4:5], v[10:11]
	s_delay_alu instid0(VALU_DEP_2) | instskip(NEXT) | instid1(VALU_DEP_2)
	v_fma_f64 v[10:11], v[4:5], v[8:9], -v[88:89]
	v_fmac_f64_e32 v[12:13], v[2:3], v[8:9]
	scratch_store_b128 off, v[10:13], off offset:96
.LBB35_39:
	s_wait_xcnt 0x0
	s_or_b32 exec_lo, exec_lo, s2
	s_wait_storecnt 0x0
	s_barrier_signal -1
	s_barrier_wait -1
	scratch_load_b128 v[2:5], off, s44
	s_mov_b32 s2, exec_lo
	s_wait_loadcnt 0x0
	ds_store_b128 v6, v[2:5]
	s_wait_dscnt 0x0
	s_barrier_signal -1
	s_barrier_wait -1
	v_cmpx_gt_u32_e32 7, v1
	s_cbranch_execz .LBB35_43
; %bb.40:
	v_dual_mov_b32 v10, v86 :: v_dual_add_nc_u32 v8, -1, v1
	v_mov_b64_e32 v[2:3], 0
	v_mov_b64_e32 v[4:5], 0
	v_add_nc_u32_e32 v9, 0x240, v86
	s_delay_alu instid0(VALU_DEP_4)
	v_or_b32_e32 v10, 8, v10
	s_mov_b32 s3, 0
.LBB35_41:                              ; =>This Inner Loop Header: Depth=1
	scratch_load_b128 v[88:91], v10, off offset:-8
	ds_load_b128 v[92:95], v9
	v_dual_add_nc_u32 v8, 1, v8 :: v_dual_add_nc_u32 v9, 16, v9
	s_wait_xcnt 0x0
	v_add_nc_u32_e32 v10, 16, v10
	s_delay_alu instid0(VALU_DEP_2) | instskip(SKIP_4) | instid1(VALU_DEP_2)
	v_cmp_lt_u32_e32 vcc_lo, 5, v8
	s_or_b32 s3, vcc_lo, s3
	s_wait_loadcnt_dscnt 0x0
	v_mul_f64_e32 v[12:13], v[94:95], v[90:91]
	v_mul_f64_e32 v[90:91], v[92:93], v[90:91]
	v_fma_f64 v[12:13], v[92:93], v[88:89], -v[12:13]
	s_delay_alu instid0(VALU_DEP_2) | instskip(NEXT) | instid1(VALU_DEP_2)
	v_fmac_f64_e32 v[90:91], v[94:95], v[88:89]
	v_add_f64_e32 v[4:5], v[4:5], v[12:13]
	s_delay_alu instid0(VALU_DEP_2)
	v_add_f64_e32 v[2:3], v[2:3], v[90:91]
	s_and_not1_b32 exec_lo, exec_lo, s3
	s_cbranch_execnz .LBB35_41
; %bb.42:
	s_or_b32 exec_lo, exec_lo, s3
	v_mov_b32_e32 v8, 0
	ds_load_b128 v[8:11], v8 offset:112
	s_wait_dscnt 0x0
	v_mul_f64_e32 v[88:89], v[2:3], v[10:11]
	v_mul_f64_e32 v[12:13], v[4:5], v[10:11]
	s_delay_alu instid0(VALU_DEP_2) | instskip(NEXT) | instid1(VALU_DEP_2)
	v_fma_f64 v[10:11], v[4:5], v[8:9], -v[88:89]
	v_fmac_f64_e32 v[12:13], v[2:3], v[8:9]
	scratch_store_b128 off, v[10:13], off offset:112
.LBB35_43:
	s_wait_xcnt 0x0
	s_or_b32 exec_lo, exec_lo, s2
	s_wait_storecnt 0x0
	s_barrier_signal -1
	s_barrier_wait -1
	scratch_load_b128 v[2:5], off, s37
	s_mov_b32 s2, exec_lo
	s_wait_loadcnt 0x0
	ds_store_b128 v6, v[2:5]
	s_wait_dscnt 0x0
	s_barrier_signal -1
	s_barrier_wait -1
	v_cmpx_gt_u32_e32 8, v1
	s_cbranch_execz .LBB35_47
; %bb.44:
	v_dual_mov_b32 v10, v86 :: v_dual_add_nc_u32 v8, -1, v1
	v_mov_b64_e32 v[2:3], 0
	v_mov_b64_e32 v[4:5], 0
	v_add_nc_u32_e32 v9, 0x240, v86
	s_delay_alu instid0(VALU_DEP_4)
	v_or_b32_e32 v10, 8, v10
	s_mov_b32 s3, 0
.LBB35_45:                              ; =>This Inner Loop Header: Depth=1
	scratch_load_b128 v[88:91], v10, off offset:-8
	ds_load_b128 v[92:95], v9
	v_dual_add_nc_u32 v8, 1, v8 :: v_dual_add_nc_u32 v9, 16, v9
	s_wait_xcnt 0x0
	v_add_nc_u32_e32 v10, 16, v10
	s_delay_alu instid0(VALU_DEP_2) | instskip(SKIP_4) | instid1(VALU_DEP_2)
	v_cmp_lt_u32_e32 vcc_lo, 6, v8
	s_or_b32 s3, vcc_lo, s3
	s_wait_loadcnt_dscnt 0x0
	v_mul_f64_e32 v[12:13], v[94:95], v[90:91]
	v_mul_f64_e32 v[90:91], v[92:93], v[90:91]
	v_fma_f64 v[12:13], v[92:93], v[88:89], -v[12:13]
	s_delay_alu instid0(VALU_DEP_2) | instskip(NEXT) | instid1(VALU_DEP_2)
	v_fmac_f64_e32 v[90:91], v[94:95], v[88:89]
	v_add_f64_e32 v[4:5], v[4:5], v[12:13]
	s_delay_alu instid0(VALU_DEP_2)
	v_add_f64_e32 v[2:3], v[2:3], v[90:91]
	s_and_not1_b32 exec_lo, exec_lo, s3
	s_cbranch_execnz .LBB35_45
; %bb.46:
	s_or_b32 exec_lo, exec_lo, s3
	v_mov_b32_e32 v8, 0
	ds_load_b128 v[8:11], v8 offset:128
	s_wait_dscnt 0x0
	v_mul_f64_e32 v[88:89], v[2:3], v[10:11]
	v_mul_f64_e32 v[12:13], v[4:5], v[10:11]
	s_delay_alu instid0(VALU_DEP_2) | instskip(NEXT) | instid1(VALU_DEP_2)
	v_fma_f64 v[10:11], v[4:5], v[8:9], -v[88:89]
	v_fmac_f64_e32 v[12:13], v[2:3], v[8:9]
	scratch_store_b128 off, v[10:13], off offset:128
.LBB35_47:
	s_wait_xcnt 0x0
	s_or_b32 exec_lo, exec_lo, s2
	s_wait_storecnt 0x0
	s_barrier_signal -1
	s_barrier_wait -1
	scratch_load_b128 v[2:5], off, s38
	s_mov_b32 s2, exec_lo
	s_wait_loadcnt 0x0
	ds_store_b128 v6, v[2:5]
	s_wait_dscnt 0x0
	s_barrier_signal -1
	s_barrier_wait -1
	v_cmpx_gt_u32_e32 9, v1
	s_cbranch_execz .LBB35_51
; %bb.48:
	v_dual_mov_b32 v10, v86 :: v_dual_add_nc_u32 v8, -1, v1
	v_mov_b64_e32 v[2:3], 0
	v_mov_b64_e32 v[4:5], 0
	v_add_nc_u32_e32 v9, 0x240, v86
	s_delay_alu instid0(VALU_DEP_4)
	v_or_b32_e32 v10, 8, v10
	s_mov_b32 s3, 0
.LBB35_49:                              ; =>This Inner Loop Header: Depth=1
	scratch_load_b128 v[88:91], v10, off offset:-8
	ds_load_b128 v[92:95], v9
	v_dual_add_nc_u32 v8, 1, v8 :: v_dual_add_nc_u32 v9, 16, v9
	s_wait_xcnt 0x0
	v_add_nc_u32_e32 v10, 16, v10
	s_delay_alu instid0(VALU_DEP_2) | instskip(SKIP_4) | instid1(VALU_DEP_2)
	v_cmp_lt_u32_e32 vcc_lo, 7, v8
	s_or_b32 s3, vcc_lo, s3
	s_wait_loadcnt_dscnt 0x0
	v_mul_f64_e32 v[12:13], v[94:95], v[90:91]
	v_mul_f64_e32 v[90:91], v[92:93], v[90:91]
	v_fma_f64 v[12:13], v[92:93], v[88:89], -v[12:13]
	s_delay_alu instid0(VALU_DEP_2) | instskip(NEXT) | instid1(VALU_DEP_2)
	v_fmac_f64_e32 v[90:91], v[94:95], v[88:89]
	v_add_f64_e32 v[4:5], v[4:5], v[12:13]
	s_delay_alu instid0(VALU_DEP_2)
	v_add_f64_e32 v[2:3], v[2:3], v[90:91]
	s_and_not1_b32 exec_lo, exec_lo, s3
	s_cbranch_execnz .LBB35_49
; %bb.50:
	s_or_b32 exec_lo, exec_lo, s3
	v_mov_b32_e32 v8, 0
	ds_load_b128 v[8:11], v8 offset:144
	s_wait_dscnt 0x0
	v_mul_f64_e32 v[88:89], v[2:3], v[10:11]
	v_mul_f64_e32 v[12:13], v[4:5], v[10:11]
	s_delay_alu instid0(VALU_DEP_2) | instskip(NEXT) | instid1(VALU_DEP_2)
	v_fma_f64 v[10:11], v[4:5], v[8:9], -v[88:89]
	v_fmac_f64_e32 v[12:13], v[2:3], v[8:9]
	scratch_store_b128 off, v[10:13], off offset:144
.LBB35_51:
	s_wait_xcnt 0x0
	s_or_b32 exec_lo, exec_lo, s2
	s_wait_storecnt 0x0
	s_barrier_signal -1
	s_barrier_wait -1
	scratch_load_b128 v[2:5], off, s40
	s_mov_b32 s2, exec_lo
	s_wait_loadcnt 0x0
	ds_store_b128 v6, v[2:5]
	s_wait_dscnt 0x0
	s_barrier_signal -1
	s_barrier_wait -1
	v_cmpx_gt_u32_e32 10, v1
	s_cbranch_execz .LBB35_55
; %bb.52:
	v_dual_mov_b32 v10, v86 :: v_dual_add_nc_u32 v8, -1, v1
	v_mov_b64_e32 v[2:3], 0
	v_mov_b64_e32 v[4:5], 0
	v_add_nc_u32_e32 v9, 0x240, v86
	s_delay_alu instid0(VALU_DEP_4)
	v_or_b32_e32 v10, 8, v10
	s_mov_b32 s3, 0
.LBB35_53:                              ; =>This Inner Loop Header: Depth=1
	scratch_load_b128 v[88:91], v10, off offset:-8
	ds_load_b128 v[92:95], v9
	v_dual_add_nc_u32 v8, 1, v8 :: v_dual_add_nc_u32 v9, 16, v9
	s_wait_xcnt 0x0
	v_add_nc_u32_e32 v10, 16, v10
	s_delay_alu instid0(VALU_DEP_2) | instskip(SKIP_4) | instid1(VALU_DEP_2)
	v_cmp_lt_u32_e32 vcc_lo, 8, v8
	s_or_b32 s3, vcc_lo, s3
	s_wait_loadcnt_dscnt 0x0
	v_mul_f64_e32 v[12:13], v[94:95], v[90:91]
	v_mul_f64_e32 v[90:91], v[92:93], v[90:91]
	v_fma_f64 v[12:13], v[92:93], v[88:89], -v[12:13]
	s_delay_alu instid0(VALU_DEP_2) | instskip(NEXT) | instid1(VALU_DEP_2)
	v_fmac_f64_e32 v[90:91], v[94:95], v[88:89]
	v_add_f64_e32 v[4:5], v[4:5], v[12:13]
	s_delay_alu instid0(VALU_DEP_2)
	v_add_f64_e32 v[2:3], v[2:3], v[90:91]
	s_and_not1_b32 exec_lo, exec_lo, s3
	s_cbranch_execnz .LBB35_53
; %bb.54:
	s_or_b32 exec_lo, exec_lo, s3
	v_mov_b32_e32 v8, 0
	ds_load_b128 v[8:11], v8 offset:160
	s_wait_dscnt 0x0
	v_mul_f64_e32 v[88:89], v[2:3], v[10:11]
	v_mul_f64_e32 v[12:13], v[4:5], v[10:11]
	s_delay_alu instid0(VALU_DEP_2) | instskip(NEXT) | instid1(VALU_DEP_2)
	v_fma_f64 v[10:11], v[4:5], v[8:9], -v[88:89]
	v_fmac_f64_e32 v[12:13], v[2:3], v[8:9]
	scratch_store_b128 off, v[10:13], off offset:160
.LBB35_55:
	s_wait_xcnt 0x0
	s_or_b32 exec_lo, exec_lo, s2
	s_wait_storecnt 0x0
	s_barrier_signal -1
	s_barrier_wait -1
	scratch_load_b128 v[2:5], off, s43
	s_mov_b32 s2, exec_lo
	s_wait_loadcnt 0x0
	ds_store_b128 v6, v[2:5]
	s_wait_dscnt 0x0
	s_barrier_signal -1
	s_barrier_wait -1
	v_cmpx_gt_u32_e32 11, v1
	s_cbranch_execz .LBB35_59
; %bb.56:
	v_dual_mov_b32 v10, v86 :: v_dual_add_nc_u32 v8, -1, v1
	v_mov_b64_e32 v[2:3], 0
	v_mov_b64_e32 v[4:5], 0
	v_add_nc_u32_e32 v9, 0x240, v86
	s_delay_alu instid0(VALU_DEP_4)
	v_or_b32_e32 v10, 8, v10
	s_mov_b32 s3, 0
.LBB35_57:                              ; =>This Inner Loop Header: Depth=1
	scratch_load_b128 v[88:91], v10, off offset:-8
	ds_load_b128 v[92:95], v9
	v_dual_add_nc_u32 v8, 1, v8 :: v_dual_add_nc_u32 v9, 16, v9
	s_wait_xcnt 0x0
	v_add_nc_u32_e32 v10, 16, v10
	s_delay_alu instid0(VALU_DEP_2) | instskip(SKIP_4) | instid1(VALU_DEP_2)
	v_cmp_lt_u32_e32 vcc_lo, 9, v8
	s_or_b32 s3, vcc_lo, s3
	s_wait_loadcnt_dscnt 0x0
	v_mul_f64_e32 v[12:13], v[94:95], v[90:91]
	v_mul_f64_e32 v[90:91], v[92:93], v[90:91]
	v_fma_f64 v[12:13], v[92:93], v[88:89], -v[12:13]
	s_delay_alu instid0(VALU_DEP_2) | instskip(NEXT) | instid1(VALU_DEP_2)
	v_fmac_f64_e32 v[90:91], v[94:95], v[88:89]
	v_add_f64_e32 v[4:5], v[4:5], v[12:13]
	s_delay_alu instid0(VALU_DEP_2)
	v_add_f64_e32 v[2:3], v[2:3], v[90:91]
	s_and_not1_b32 exec_lo, exec_lo, s3
	s_cbranch_execnz .LBB35_57
; %bb.58:
	s_or_b32 exec_lo, exec_lo, s3
	v_mov_b32_e32 v8, 0
	ds_load_b128 v[8:11], v8 offset:176
	s_wait_dscnt 0x0
	v_mul_f64_e32 v[88:89], v[2:3], v[10:11]
	v_mul_f64_e32 v[12:13], v[4:5], v[10:11]
	s_delay_alu instid0(VALU_DEP_2) | instskip(NEXT) | instid1(VALU_DEP_2)
	v_fma_f64 v[10:11], v[4:5], v[8:9], -v[88:89]
	v_fmac_f64_e32 v[12:13], v[2:3], v[8:9]
	scratch_store_b128 off, v[10:13], off offset:176
.LBB35_59:
	s_wait_xcnt 0x0
	s_or_b32 exec_lo, exec_lo, s2
	s_wait_storecnt 0x0
	s_barrier_signal -1
	s_barrier_wait -1
	scratch_load_b128 v[2:5], off, s45
	s_mov_b32 s2, exec_lo
	s_wait_loadcnt 0x0
	ds_store_b128 v6, v[2:5]
	s_wait_dscnt 0x0
	s_barrier_signal -1
	s_barrier_wait -1
	v_cmpx_gt_u32_e32 12, v1
	s_cbranch_execz .LBB35_63
; %bb.60:
	v_dual_mov_b32 v10, v86 :: v_dual_add_nc_u32 v8, -1, v1
	v_mov_b64_e32 v[2:3], 0
	v_mov_b64_e32 v[4:5], 0
	v_add_nc_u32_e32 v9, 0x240, v86
	s_delay_alu instid0(VALU_DEP_4)
	v_or_b32_e32 v10, 8, v10
	s_mov_b32 s3, 0
.LBB35_61:                              ; =>This Inner Loop Header: Depth=1
	scratch_load_b128 v[88:91], v10, off offset:-8
	ds_load_b128 v[92:95], v9
	v_dual_add_nc_u32 v8, 1, v8 :: v_dual_add_nc_u32 v9, 16, v9
	s_wait_xcnt 0x0
	v_add_nc_u32_e32 v10, 16, v10
	s_delay_alu instid0(VALU_DEP_2) | instskip(SKIP_4) | instid1(VALU_DEP_2)
	v_cmp_lt_u32_e32 vcc_lo, 10, v8
	s_or_b32 s3, vcc_lo, s3
	s_wait_loadcnt_dscnt 0x0
	v_mul_f64_e32 v[12:13], v[94:95], v[90:91]
	v_mul_f64_e32 v[90:91], v[92:93], v[90:91]
	v_fma_f64 v[12:13], v[92:93], v[88:89], -v[12:13]
	s_delay_alu instid0(VALU_DEP_2) | instskip(NEXT) | instid1(VALU_DEP_2)
	v_fmac_f64_e32 v[90:91], v[94:95], v[88:89]
	v_add_f64_e32 v[4:5], v[4:5], v[12:13]
	s_delay_alu instid0(VALU_DEP_2)
	v_add_f64_e32 v[2:3], v[2:3], v[90:91]
	s_and_not1_b32 exec_lo, exec_lo, s3
	s_cbranch_execnz .LBB35_61
; %bb.62:
	s_or_b32 exec_lo, exec_lo, s3
	v_mov_b32_e32 v8, 0
	ds_load_b128 v[8:11], v8 offset:192
	s_wait_dscnt 0x0
	v_mul_f64_e32 v[88:89], v[2:3], v[10:11]
	v_mul_f64_e32 v[12:13], v[4:5], v[10:11]
	s_delay_alu instid0(VALU_DEP_2) | instskip(NEXT) | instid1(VALU_DEP_2)
	v_fma_f64 v[10:11], v[4:5], v[8:9], -v[88:89]
	v_fmac_f64_e32 v[12:13], v[2:3], v[8:9]
	scratch_store_b128 off, v[10:13], off offset:192
.LBB35_63:
	s_wait_xcnt 0x0
	s_or_b32 exec_lo, exec_lo, s2
	s_wait_storecnt 0x0
	s_barrier_signal -1
	s_barrier_wait -1
	scratch_load_b128 v[2:5], off, s46
	s_mov_b32 s2, exec_lo
	s_wait_loadcnt 0x0
	ds_store_b128 v6, v[2:5]
	s_wait_dscnt 0x0
	s_barrier_signal -1
	s_barrier_wait -1
	v_cmpx_gt_u32_e32 13, v1
	s_cbranch_execz .LBB35_67
; %bb.64:
	v_dual_mov_b32 v10, v86 :: v_dual_add_nc_u32 v8, -1, v1
	v_mov_b64_e32 v[2:3], 0
	v_mov_b64_e32 v[4:5], 0
	v_add_nc_u32_e32 v9, 0x240, v86
	s_delay_alu instid0(VALU_DEP_4)
	v_or_b32_e32 v10, 8, v10
	s_mov_b32 s3, 0
.LBB35_65:                              ; =>This Inner Loop Header: Depth=1
	scratch_load_b128 v[88:91], v10, off offset:-8
	ds_load_b128 v[92:95], v9
	v_dual_add_nc_u32 v8, 1, v8 :: v_dual_add_nc_u32 v9, 16, v9
	s_wait_xcnt 0x0
	v_add_nc_u32_e32 v10, 16, v10
	s_delay_alu instid0(VALU_DEP_2) | instskip(SKIP_4) | instid1(VALU_DEP_2)
	v_cmp_lt_u32_e32 vcc_lo, 11, v8
	s_or_b32 s3, vcc_lo, s3
	s_wait_loadcnt_dscnt 0x0
	v_mul_f64_e32 v[12:13], v[94:95], v[90:91]
	v_mul_f64_e32 v[90:91], v[92:93], v[90:91]
	v_fma_f64 v[12:13], v[92:93], v[88:89], -v[12:13]
	s_delay_alu instid0(VALU_DEP_2) | instskip(NEXT) | instid1(VALU_DEP_2)
	v_fmac_f64_e32 v[90:91], v[94:95], v[88:89]
	v_add_f64_e32 v[4:5], v[4:5], v[12:13]
	s_delay_alu instid0(VALU_DEP_2)
	v_add_f64_e32 v[2:3], v[2:3], v[90:91]
	s_and_not1_b32 exec_lo, exec_lo, s3
	s_cbranch_execnz .LBB35_65
; %bb.66:
	s_or_b32 exec_lo, exec_lo, s3
	v_mov_b32_e32 v8, 0
	ds_load_b128 v[8:11], v8 offset:208
	s_wait_dscnt 0x0
	v_mul_f64_e32 v[88:89], v[2:3], v[10:11]
	v_mul_f64_e32 v[12:13], v[4:5], v[10:11]
	s_delay_alu instid0(VALU_DEP_2) | instskip(NEXT) | instid1(VALU_DEP_2)
	v_fma_f64 v[10:11], v[4:5], v[8:9], -v[88:89]
	v_fmac_f64_e32 v[12:13], v[2:3], v[8:9]
	scratch_store_b128 off, v[10:13], off offset:208
.LBB35_67:
	s_wait_xcnt 0x0
	s_or_b32 exec_lo, exec_lo, s2
	s_wait_storecnt 0x0
	s_barrier_signal -1
	s_barrier_wait -1
	scratch_load_b128 v[2:5], off, s47
	s_mov_b32 s2, exec_lo
	s_wait_loadcnt 0x0
	ds_store_b128 v6, v[2:5]
	s_wait_dscnt 0x0
	s_barrier_signal -1
	s_barrier_wait -1
	v_cmpx_gt_u32_e32 14, v1
	s_cbranch_execz .LBB35_71
; %bb.68:
	v_dual_mov_b32 v10, v86 :: v_dual_add_nc_u32 v8, -1, v1
	v_mov_b64_e32 v[2:3], 0
	v_mov_b64_e32 v[4:5], 0
	v_add_nc_u32_e32 v9, 0x240, v86
	s_delay_alu instid0(VALU_DEP_4)
	v_or_b32_e32 v10, 8, v10
	s_mov_b32 s3, 0
.LBB35_69:                              ; =>This Inner Loop Header: Depth=1
	scratch_load_b128 v[88:91], v10, off offset:-8
	ds_load_b128 v[92:95], v9
	v_dual_add_nc_u32 v8, 1, v8 :: v_dual_add_nc_u32 v9, 16, v9
	s_wait_xcnt 0x0
	v_add_nc_u32_e32 v10, 16, v10
	s_delay_alu instid0(VALU_DEP_2) | instskip(SKIP_4) | instid1(VALU_DEP_2)
	v_cmp_lt_u32_e32 vcc_lo, 12, v8
	s_or_b32 s3, vcc_lo, s3
	s_wait_loadcnt_dscnt 0x0
	v_mul_f64_e32 v[12:13], v[94:95], v[90:91]
	v_mul_f64_e32 v[90:91], v[92:93], v[90:91]
	v_fma_f64 v[12:13], v[92:93], v[88:89], -v[12:13]
	s_delay_alu instid0(VALU_DEP_2) | instskip(NEXT) | instid1(VALU_DEP_2)
	v_fmac_f64_e32 v[90:91], v[94:95], v[88:89]
	v_add_f64_e32 v[4:5], v[4:5], v[12:13]
	s_delay_alu instid0(VALU_DEP_2)
	v_add_f64_e32 v[2:3], v[2:3], v[90:91]
	s_and_not1_b32 exec_lo, exec_lo, s3
	s_cbranch_execnz .LBB35_69
; %bb.70:
	s_or_b32 exec_lo, exec_lo, s3
	v_mov_b32_e32 v8, 0
	ds_load_b128 v[8:11], v8 offset:224
	s_wait_dscnt 0x0
	v_mul_f64_e32 v[88:89], v[2:3], v[10:11]
	v_mul_f64_e32 v[12:13], v[4:5], v[10:11]
	s_delay_alu instid0(VALU_DEP_2) | instskip(NEXT) | instid1(VALU_DEP_2)
	v_fma_f64 v[10:11], v[4:5], v[8:9], -v[88:89]
	v_fmac_f64_e32 v[12:13], v[2:3], v[8:9]
	scratch_store_b128 off, v[10:13], off offset:224
.LBB35_71:
	s_wait_xcnt 0x0
	s_or_b32 exec_lo, exec_lo, s2
	s_wait_storecnt 0x0
	s_barrier_signal -1
	s_barrier_wait -1
	scratch_load_b128 v[2:5], off, s42
	s_mov_b32 s2, exec_lo
	s_wait_loadcnt 0x0
	ds_store_b128 v6, v[2:5]
	s_wait_dscnt 0x0
	s_barrier_signal -1
	s_barrier_wait -1
	v_cmpx_gt_u32_e32 15, v1
	s_cbranch_execz .LBB35_75
; %bb.72:
	v_dual_mov_b32 v10, v86 :: v_dual_add_nc_u32 v8, -1, v1
	v_mov_b64_e32 v[2:3], 0
	v_mov_b64_e32 v[4:5], 0
	v_add_nc_u32_e32 v9, 0x240, v86
	s_delay_alu instid0(VALU_DEP_4)
	v_or_b32_e32 v10, 8, v10
	s_mov_b32 s3, 0
.LBB35_73:                              ; =>This Inner Loop Header: Depth=1
	scratch_load_b128 v[88:91], v10, off offset:-8
	ds_load_b128 v[92:95], v9
	v_dual_add_nc_u32 v8, 1, v8 :: v_dual_add_nc_u32 v9, 16, v9
	s_wait_xcnt 0x0
	v_add_nc_u32_e32 v10, 16, v10
	s_delay_alu instid0(VALU_DEP_2) | instskip(SKIP_4) | instid1(VALU_DEP_2)
	v_cmp_lt_u32_e32 vcc_lo, 13, v8
	s_or_b32 s3, vcc_lo, s3
	s_wait_loadcnt_dscnt 0x0
	v_mul_f64_e32 v[12:13], v[94:95], v[90:91]
	v_mul_f64_e32 v[90:91], v[92:93], v[90:91]
	v_fma_f64 v[12:13], v[92:93], v[88:89], -v[12:13]
	s_delay_alu instid0(VALU_DEP_2) | instskip(NEXT) | instid1(VALU_DEP_2)
	v_fmac_f64_e32 v[90:91], v[94:95], v[88:89]
	v_add_f64_e32 v[4:5], v[4:5], v[12:13]
	s_delay_alu instid0(VALU_DEP_2)
	v_add_f64_e32 v[2:3], v[2:3], v[90:91]
	s_and_not1_b32 exec_lo, exec_lo, s3
	s_cbranch_execnz .LBB35_73
; %bb.74:
	s_or_b32 exec_lo, exec_lo, s3
	v_mov_b32_e32 v8, 0
	ds_load_b128 v[8:11], v8 offset:240
	s_wait_dscnt 0x0
	v_mul_f64_e32 v[88:89], v[2:3], v[10:11]
	v_mul_f64_e32 v[12:13], v[4:5], v[10:11]
	s_delay_alu instid0(VALU_DEP_2) | instskip(NEXT) | instid1(VALU_DEP_2)
	v_fma_f64 v[10:11], v[4:5], v[8:9], -v[88:89]
	v_fmac_f64_e32 v[12:13], v[2:3], v[8:9]
	scratch_store_b128 off, v[10:13], off offset:240
.LBB35_75:
	s_wait_xcnt 0x0
	s_or_b32 exec_lo, exec_lo, s2
	s_wait_storecnt 0x0
	s_barrier_signal -1
	s_barrier_wait -1
	scratch_load_b128 v[2:5], off, s27
	s_mov_b32 s2, exec_lo
	s_wait_loadcnt 0x0
	ds_store_b128 v6, v[2:5]
	s_wait_dscnt 0x0
	s_barrier_signal -1
	s_barrier_wait -1
	v_cmpx_gt_u32_e32 16, v1
	s_cbranch_execz .LBB35_79
; %bb.76:
	v_dual_mov_b32 v10, v86 :: v_dual_add_nc_u32 v8, -1, v1
	v_mov_b64_e32 v[2:3], 0
	v_mov_b64_e32 v[4:5], 0
	v_add_nc_u32_e32 v9, 0x240, v86
	s_delay_alu instid0(VALU_DEP_4)
	v_or_b32_e32 v10, 8, v10
	s_mov_b32 s3, 0
.LBB35_77:                              ; =>This Inner Loop Header: Depth=1
	scratch_load_b128 v[88:91], v10, off offset:-8
	ds_load_b128 v[92:95], v9
	v_dual_add_nc_u32 v8, 1, v8 :: v_dual_add_nc_u32 v9, 16, v9
	s_wait_xcnt 0x0
	v_add_nc_u32_e32 v10, 16, v10
	s_delay_alu instid0(VALU_DEP_2) | instskip(SKIP_4) | instid1(VALU_DEP_2)
	v_cmp_lt_u32_e32 vcc_lo, 14, v8
	s_or_b32 s3, vcc_lo, s3
	s_wait_loadcnt_dscnt 0x0
	v_mul_f64_e32 v[12:13], v[94:95], v[90:91]
	v_mul_f64_e32 v[90:91], v[92:93], v[90:91]
	v_fma_f64 v[12:13], v[92:93], v[88:89], -v[12:13]
	s_delay_alu instid0(VALU_DEP_2) | instskip(NEXT) | instid1(VALU_DEP_2)
	v_fmac_f64_e32 v[90:91], v[94:95], v[88:89]
	v_add_f64_e32 v[4:5], v[4:5], v[12:13]
	s_delay_alu instid0(VALU_DEP_2)
	v_add_f64_e32 v[2:3], v[2:3], v[90:91]
	s_and_not1_b32 exec_lo, exec_lo, s3
	s_cbranch_execnz .LBB35_77
; %bb.78:
	s_or_b32 exec_lo, exec_lo, s3
	v_mov_b32_e32 v8, 0
	ds_load_b128 v[8:11], v8 offset:256
	s_wait_dscnt 0x0
	v_mul_f64_e32 v[88:89], v[2:3], v[10:11]
	v_mul_f64_e32 v[12:13], v[4:5], v[10:11]
	s_delay_alu instid0(VALU_DEP_2) | instskip(NEXT) | instid1(VALU_DEP_2)
	v_fma_f64 v[10:11], v[4:5], v[8:9], -v[88:89]
	v_fmac_f64_e32 v[12:13], v[2:3], v[8:9]
	scratch_store_b128 off, v[10:13], off offset:256
.LBB35_79:
	s_wait_xcnt 0x0
	s_or_b32 exec_lo, exec_lo, s2
	s_wait_storecnt 0x0
	s_barrier_signal -1
	s_barrier_wait -1
	scratch_load_b128 v[2:5], off, s29
	s_mov_b32 s2, exec_lo
	s_wait_loadcnt 0x0
	ds_store_b128 v6, v[2:5]
	s_wait_dscnt 0x0
	s_barrier_signal -1
	s_barrier_wait -1
	v_cmpx_gt_u32_e32 17, v1
	s_cbranch_execz .LBB35_83
; %bb.80:
	v_dual_mov_b32 v10, v86 :: v_dual_add_nc_u32 v8, -1, v1
	v_mov_b64_e32 v[2:3], 0
	v_mov_b64_e32 v[4:5], 0
	v_add_nc_u32_e32 v9, 0x240, v86
	s_delay_alu instid0(VALU_DEP_4)
	v_or_b32_e32 v10, 8, v10
	s_mov_b32 s3, 0
.LBB35_81:                              ; =>This Inner Loop Header: Depth=1
	scratch_load_b128 v[88:91], v10, off offset:-8
	ds_load_b128 v[92:95], v9
	v_dual_add_nc_u32 v8, 1, v8 :: v_dual_add_nc_u32 v9, 16, v9
	s_wait_xcnt 0x0
	v_add_nc_u32_e32 v10, 16, v10
	s_delay_alu instid0(VALU_DEP_2) | instskip(SKIP_4) | instid1(VALU_DEP_2)
	v_cmp_lt_u32_e32 vcc_lo, 15, v8
	s_or_b32 s3, vcc_lo, s3
	s_wait_loadcnt_dscnt 0x0
	v_mul_f64_e32 v[12:13], v[94:95], v[90:91]
	v_mul_f64_e32 v[90:91], v[92:93], v[90:91]
	v_fma_f64 v[12:13], v[92:93], v[88:89], -v[12:13]
	s_delay_alu instid0(VALU_DEP_2) | instskip(NEXT) | instid1(VALU_DEP_2)
	v_fmac_f64_e32 v[90:91], v[94:95], v[88:89]
	v_add_f64_e32 v[4:5], v[4:5], v[12:13]
	s_delay_alu instid0(VALU_DEP_2)
	v_add_f64_e32 v[2:3], v[2:3], v[90:91]
	s_and_not1_b32 exec_lo, exec_lo, s3
	s_cbranch_execnz .LBB35_81
; %bb.82:
	s_or_b32 exec_lo, exec_lo, s3
	v_mov_b32_e32 v8, 0
	ds_load_b128 v[8:11], v8 offset:272
	s_wait_dscnt 0x0
	v_mul_f64_e32 v[88:89], v[2:3], v[10:11]
	v_mul_f64_e32 v[12:13], v[4:5], v[10:11]
	s_delay_alu instid0(VALU_DEP_2) | instskip(NEXT) | instid1(VALU_DEP_2)
	v_fma_f64 v[10:11], v[4:5], v[8:9], -v[88:89]
	v_fmac_f64_e32 v[12:13], v[2:3], v[8:9]
	scratch_store_b128 off, v[10:13], off offset:272
.LBB35_83:
	s_wait_xcnt 0x0
	s_or_b32 exec_lo, exec_lo, s2
	s_wait_storecnt 0x0
	s_barrier_signal -1
	s_barrier_wait -1
	scratch_load_b128 v[2:5], off, s30
	s_mov_b32 s2, exec_lo
	s_wait_loadcnt 0x0
	ds_store_b128 v6, v[2:5]
	s_wait_dscnt 0x0
	s_barrier_signal -1
	s_barrier_wait -1
	v_cmpx_gt_u32_e32 18, v1
	s_cbranch_execz .LBB35_87
; %bb.84:
	v_dual_mov_b32 v10, v86 :: v_dual_add_nc_u32 v8, -1, v1
	v_mov_b64_e32 v[2:3], 0
	v_mov_b64_e32 v[4:5], 0
	v_add_nc_u32_e32 v9, 0x240, v86
	s_delay_alu instid0(VALU_DEP_4)
	v_or_b32_e32 v10, 8, v10
	s_mov_b32 s3, 0
.LBB35_85:                              ; =>This Inner Loop Header: Depth=1
	scratch_load_b128 v[88:91], v10, off offset:-8
	ds_load_b128 v[92:95], v9
	v_dual_add_nc_u32 v8, 1, v8 :: v_dual_add_nc_u32 v9, 16, v9
	s_wait_xcnt 0x0
	v_add_nc_u32_e32 v10, 16, v10
	s_delay_alu instid0(VALU_DEP_2) | instskip(SKIP_4) | instid1(VALU_DEP_2)
	v_cmp_lt_u32_e32 vcc_lo, 16, v8
	s_or_b32 s3, vcc_lo, s3
	s_wait_loadcnt_dscnt 0x0
	v_mul_f64_e32 v[12:13], v[94:95], v[90:91]
	v_mul_f64_e32 v[90:91], v[92:93], v[90:91]
	v_fma_f64 v[12:13], v[92:93], v[88:89], -v[12:13]
	s_delay_alu instid0(VALU_DEP_2) | instskip(NEXT) | instid1(VALU_DEP_2)
	v_fmac_f64_e32 v[90:91], v[94:95], v[88:89]
	v_add_f64_e32 v[4:5], v[4:5], v[12:13]
	s_delay_alu instid0(VALU_DEP_2)
	v_add_f64_e32 v[2:3], v[2:3], v[90:91]
	s_and_not1_b32 exec_lo, exec_lo, s3
	s_cbranch_execnz .LBB35_85
; %bb.86:
	s_or_b32 exec_lo, exec_lo, s3
	v_mov_b32_e32 v8, 0
	ds_load_b128 v[8:11], v8 offset:288
	s_wait_dscnt 0x0
	v_mul_f64_e32 v[88:89], v[2:3], v[10:11]
	v_mul_f64_e32 v[12:13], v[4:5], v[10:11]
	s_delay_alu instid0(VALU_DEP_2) | instskip(NEXT) | instid1(VALU_DEP_2)
	v_fma_f64 v[10:11], v[4:5], v[8:9], -v[88:89]
	v_fmac_f64_e32 v[12:13], v[2:3], v[8:9]
	scratch_store_b128 off, v[10:13], off offset:288
.LBB35_87:
	s_wait_xcnt 0x0
	s_or_b32 exec_lo, exec_lo, s2
	s_wait_storecnt 0x0
	s_barrier_signal -1
	s_barrier_wait -1
	scratch_load_b128 v[2:5], off, s23
	s_mov_b32 s2, exec_lo
	s_wait_loadcnt 0x0
	ds_store_b128 v6, v[2:5]
	s_wait_dscnt 0x0
	s_barrier_signal -1
	s_barrier_wait -1
	v_cmpx_gt_u32_e32 19, v1
	s_cbranch_execz .LBB35_91
; %bb.88:
	v_dual_mov_b32 v10, v86 :: v_dual_add_nc_u32 v8, -1, v1
	v_mov_b64_e32 v[2:3], 0
	v_mov_b64_e32 v[4:5], 0
	v_add_nc_u32_e32 v9, 0x240, v86
	s_delay_alu instid0(VALU_DEP_4)
	v_or_b32_e32 v10, 8, v10
	s_mov_b32 s3, 0
.LBB35_89:                              ; =>This Inner Loop Header: Depth=1
	scratch_load_b128 v[88:91], v10, off offset:-8
	ds_load_b128 v[92:95], v9
	v_dual_add_nc_u32 v8, 1, v8 :: v_dual_add_nc_u32 v9, 16, v9
	s_wait_xcnt 0x0
	v_add_nc_u32_e32 v10, 16, v10
	s_delay_alu instid0(VALU_DEP_2) | instskip(SKIP_4) | instid1(VALU_DEP_2)
	v_cmp_lt_u32_e32 vcc_lo, 17, v8
	s_or_b32 s3, vcc_lo, s3
	s_wait_loadcnt_dscnt 0x0
	v_mul_f64_e32 v[12:13], v[94:95], v[90:91]
	v_mul_f64_e32 v[90:91], v[92:93], v[90:91]
	v_fma_f64 v[12:13], v[92:93], v[88:89], -v[12:13]
	s_delay_alu instid0(VALU_DEP_2) | instskip(NEXT) | instid1(VALU_DEP_2)
	v_fmac_f64_e32 v[90:91], v[94:95], v[88:89]
	v_add_f64_e32 v[4:5], v[4:5], v[12:13]
	s_delay_alu instid0(VALU_DEP_2)
	v_add_f64_e32 v[2:3], v[2:3], v[90:91]
	s_and_not1_b32 exec_lo, exec_lo, s3
	s_cbranch_execnz .LBB35_89
; %bb.90:
	s_or_b32 exec_lo, exec_lo, s3
	v_mov_b32_e32 v8, 0
	ds_load_b128 v[8:11], v8 offset:304
	s_wait_dscnt 0x0
	v_mul_f64_e32 v[88:89], v[2:3], v[10:11]
	v_mul_f64_e32 v[12:13], v[4:5], v[10:11]
	s_delay_alu instid0(VALU_DEP_2) | instskip(NEXT) | instid1(VALU_DEP_2)
	v_fma_f64 v[10:11], v[4:5], v[8:9], -v[88:89]
	v_fmac_f64_e32 v[12:13], v[2:3], v[8:9]
	scratch_store_b128 off, v[10:13], off offset:304
.LBB35_91:
	s_wait_xcnt 0x0
	s_or_b32 exec_lo, exec_lo, s2
	s_wait_storecnt 0x0
	s_barrier_signal -1
	s_barrier_wait -1
	scratch_load_b128 v[2:5], off, s26
	s_mov_b32 s2, exec_lo
	s_wait_loadcnt 0x0
	ds_store_b128 v6, v[2:5]
	s_wait_dscnt 0x0
	s_barrier_signal -1
	s_barrier_wait -1
	v_cmpx_gt_u32_e32 20, v1
	s_cbranch_execz .LBB35_95
; %bb.92:
	v_dual_mov_b32 v10, v86 :: v_dual_add_nc_u32 v8, -1, v1
	v_mov_b64_e32 v[2:3], 0
	v_mov_b64_e32 v[4:5], 0
	v_add_nc_u32_e32 v9, 0x240, v86
	s_delay_alu instid0(VALU_DEP_4)
	v_or_b32_e32 v10, 8, v10
	s_mov_b32 s3, 0
.LBB35_93:                              ; =>This Inner Loop Header: Depth=1
	scratch_load_b128 v[88:91], v10, off offset:-8
	ds_load_b128 v[92:95], v9
	v_dual_add_nc_u32 v8, 1, v8 :: v_dual_add_nc_u32 v9, 16, v9
	s_wait_xcnt 0x0
	v_add_nc_u32_e32 v10, 16, v10
	s_delay_alu instid0(VALU_DEP_2) | instskip(SKIP_4) | instid1(VALU_DEP_2)
	v_cmp_lt_u32_e32 vcc_lo, 18, v8
	s_or_b32 s3, vcc_lo, s3
	s_wait_loadcnt_dscnt 0x0
	v_mul_f64_e32 v[12:13], v[94:95], v[90:91]
	v_mul_f64_e32 v[90:91], v[92:93], v[90:91]
	v_fma_f64 v[12:13], v[92:93], v[88:89], -v[12:13]
	s_delay_alu instid0(VALU_DEP_2) | instskip(NEXT) | instid1(VALU_DEP_2)
	v_fmac_f64_e32 v[90:91], v[94:95], v[88:89]
	v_add_f64_e32 v[4:5], v[4:5], v[12:13]
	s_delay_alu instid0(VALU_DEP_2)
	v_add_f64_e32 v[2:3], v[2:3], v[90:91]
	s_and_not1_b32 exec_lo, exec_lo, s3
	s_cbranch_execnz .LBB35_93
; %bb.94:
	s_or_b32 exec_lo, exec_lo, s3
	v_mov_b32_e32 v8, 0
	ds_load_b128 v[8:11], v8 offset:320
	s_wait_dscnt 0x0
	v_mul_f64_e32 v[88:89], v[2:3], v[10:11]
	v_mul_f64_e32 v[12:13], v[4:5], v[10:11]
	s_delay_alu instid0(VALU_DEP_2) | instskip(NEXT) | instid1(VALU_DEP_2)
	v_fma_f64 v[10:11], v[4:5], v[8:9], -v[88:89]
	v_fmac_f64_e32 v[12:13], v[2:3], v[8:9]
	scratch_store_b128 off, v[10:13], off offset:320
.LBB35_95:
	s_wait_xcnt 0x0
	s_or_b32 exec_lo, exec_lo, s2
	s_wait_storecnt 0x0
	s_barrier_signal -1
	s_barrier_wait -1
	scratch_load_b128 v[2:5], off, s20
	s_mov_b32 s2, exec_lo
	s_wait_loadcnt 0x0
	ds_store_b128 v6, v[2:5]
	s_wait_dscnt 0x0
	s_barrier_signal -1
	s_barrier_wait -1
	v_cmpx_gt_u32_e32 21, v1
	s_cbranch_execz .LBB35_99
; %bb.96:
	v_dual_mov_b32 v10, v86 :: v_dual_add_nc_u32 v8, -1, v1
	v_mov_b64_e32 v[2:3], 0
	v_mov_b64_e32 v[4:5], 0
	v_add_nc_u32_e32 v9, 0x240, v86
	s_delay_alu instid0(VALU_DEP_4)
	v_or_b32_e32 v10, 8, v10
	s_mov_b32 s3, 0
.LBB35_97:                              ; =>This Inner Loop Header: Depth=1
	scratch_load_b128 v[88:91], v10, off offset:-8
	ds_load_b128 v[92:95], v9
	v_dual_add_nc_u32 v8, 1, v8 :: v_dual_add_nc_u32 v9, 16, v9
	s_wait_xcnt 0x0
	v_add_nc_u32_e32 v10, 16, v10
	s_delay_alu instid0(VALU_DEP_2) | instskip(SKIP_4) | instid1(VALU_DEP_2)
	v_cmp_lt_u32_e32 vcc_lo, 19, v8
	s_or_b32 s3, vcc_lo, s3
	s_wait_loadcnt_dscnt 0x0
	v_mul_f64_e32 v[12:13], v[94:95], v[90:91]
	v_mul_f64_e32 v[90:91], v[92:93], v[90:91]
	v_fma_f64 v[12:13], v[92:93], v[88:89], -v[12:13]
	s_delay_alu instid0(VALU_DEP_2) | instskip(NEXT) | instid1(VALU_DEP_2)
	v_fmac_f64_e32 v[90:91], v[94:95], v[88:89]
	v_add_f64_e32 v[4:5], v[4:5], v[12:13]
	s_delay_alu instid0(VALU_DEP_2)
	v_add_f64_e32 v[2:3], v[2:3], v[90:91]
	s_and_not1_b32 exec_lo, exec_lo, s3
	s_cbranch_execnz .LBB35_97
; %bb.98:
	s_or_b32 exec_lo, exec_lo, s3
	v_mov_b32_e32 v8, 0
	ds_load_b128 v[8:11], v8 offset:336
	s_wait_dscnt 0x0
	v_mul_f64_e32 v[88:89], v[2:3], v[10:11]
	v_mul_f64_e32 v[12:13], v[4:5], v[10:11]
	s_delay_alu instid0(VALU_DEP_2) | instskip(NEXT) | instid1(VALU_DEP_2)
	v_fma_f64 v[10:11], v[4:5], v[8:9], -v[88:89]
	v_fmac_f64_e32 v[12:13], v[2:3], v[8:9]
	scratch_store_b128 off, v[10:13], off offset:336
.LBB35_99:
	s_wait_xcnt 0x0
	s_or_b32 exec_lo, exec_lo, s2
	s_wait_storecnt 0x0
	s_barrier_signal -1
	s_barrier_wait -1
	scratch_load_b128 v[2:5], off, s22
	s_mov_b32 s2, exec_lo
	s_wait_loadcnt 0x0
	ds_store_b128 v6, v[2:5]
	s_wait_dscnt 0x0
	s_barrier_signal -1
	s_barrier_wait -1
	v_cmpx_gt_u32_e32 22, v1
	s_cbranch_execz .LBB35_103
; %bb.100:
	v_dual_mov_b32 v10, v86 :: v_dual_add_nc_u32 v8, -1, v1
	v_mov_b64_e32 v[2:3], 0
	v_mov_b64_e32 v[4:5], 0
	v_add_nc_u32_e32 v9, 0x240, v86
	s_delay_alu instid0(VALU_DEP_4)
	v_or_b32_e32 v10, 8, v10
	s_mov_b32 s3, 0
.LBB35_101:                             ; =>This Inner Loop Header: Depth=1
	scratch_load_b128 v[88:91], v10, off offset:-8
	ds_load_b128 v[92:95], v9
	v_dual_add_nc_u32 v8, 1, v8 :: v_dual_add_nc_u32 v9, 16, v9
	s_wait_xcnt 0x0
	v_add_nc_u32_e32 v10, 16, v10
	s_delay_alu instid0(VALU_DEP_2) | instskip(SKIP_4) | instid1(VALU_DEP_2)
	v_cmp_lt_u32_e32 vcc_lo, 20, v8
	s_or_b32 s3, vcc_lo, s3
	s_wait_loadcnt_dscnt 0x0
	v_mul_f64_e32 v[12:13], v[94:95], v[90:91]
	v_mul_f64_e32 v[90:91], v[92:93], v[90:91]
	v_fma_f64 v[12:13], v[92:93], v[88:89], -v[12:13]
	s_delay_alu instid0(VALU_DEP_2) | instskip(NEXT) | instid1(VALU_DEP_2)
	v_fmac_f64_e32 v[90:91], v[94:95], v[88:89]
	v_add_f64_e32 v[4:5], v[4:5], v[12:13]
	s_delay_alu instid0(VALU_DEP_2)
	v_add_f64_e32 v[2:3], v[2:3], v[90:91]
	s_and_not1_b32 exec_lo, exec_lo, s3
	s_cbranch_execnz .LBB35_101
; %bb.102:
	s_or_b32 exec_lo, exec_lo, s3
	v_mov_b32_e32 v8, 0
	ds_load_b128 v[8:11], v8 offset:352
	s_wait_dscnt 0x0
	v_mul_f64_e32 v[88:89], v[2:3], v[10:11]
	v_mul_f64_e32 v[12:13], v[4:5], v[10:11]
	s_delay_alu instid0(VALU_DEP_2) | instskip(NEXT) | instid1(VALU_DEP_2)
	v_fma_f64 v[10:11], v[4:5], v[8:9], -v[88:89]
	v_fmac_f64_e32 v[12:13], v[2:3], v[8:9]
	scratch_store_b128 off, v[10:13], off offset:352
.LBB35_103:
	s_wait_xcnt 0x0
	s_or_b32 exec_lo, exec_lo, s2
	s_wait_storecnt 0x0
	s_barrier_signal -1
	s_barrier_wait -1
	scratch_load_b128 v[2:5], off, s12
	s_mov_b32 s2, exec_lo
	s_wait_loadcnt 0x0
	ds_store_b128 v6, v[2:5]
	s_wait_dscnt 0x0
	s_barrier_signal -1
	s_barrier_wait -1
	v_cmpx_gt_u32_e32 23, v1
	s_cbranch_execz .LBB35_107
; %bb.104:
	v_dual_mov_b32 v10, v86 :: v_dual_add_nc_u32 v8, -1, v1
	v_mov_b64_e32 v[2:3], 0
	v_mov_b64_e32 v[4:5], 0
	v_add_nc_u32_e32 v9, 0x240, v86
	s_delay_alu instid0(VALU_DEP_4)
	v_or_b32_e32 v10, 8, v10
	s_mov_b32 s3, 0
.LBB35_105:                             ; =>This Inner Loop Header: Depth=1
	scratch_load_b128 v[88:91], v10, off offset:-8
	ds_load_b128 v[92:95], v9
	v_dual_add_nc_u32 v8, 1, v8 :: v_dual_add_nc_u32 v9, 16, v9
	s_wait_xcnt 0x0
	v_add_nc_u32_e32 v10, 16, v10
	s_delay_alu instid0(VALU_DEP_2) | instskip(SKIP_4) | instid1(VALU_DEP_2)
	v_cmp_lt_u32_e32 vcc_lo, 21, v8
	s_or_b32 s3, vcc_lo, s3
	s_wait_loadcnt_dscnt 0x0
	v_mul_f64_e32 v[12:13], v[94:95], v[90:91]
	v_mul_f64_e32 v[90:91], v[92:93], v[90:91]
	v_fma_f64 v[12:13], v[92:93], v[88:89], -v[12:13]
	s_delay_alu instid0(VALU_DEP_2) | instskip(NEXT) | instid1(VALU_DEP_2)
	v_fmac_f64_e32 v[90:91], v[94:95], v[88:89]
	v_add_f64_e32 v[4:5], v[4:5], v[12:13]
	s_delay_alu instid0(VALU_DEP_2)
	v_add_f64_e32 v[2:3], v[2:3], v[90:91]
	s_and_not1_b32 exec_lo, exec_lo, s3
	s_cbranch_execnz .LBB35_105
; %bb.106:
	s_or_b32 exec_lo, exec_lo, s3
	v_mov_b32_e32 v8, 0
	ds_load_b128 v[8:11], v8 offset:368
	s_wait_dscnt 0x0
	v_mul_f64_e32 v[88:89], v[2:3], v[10:11]
	v_mul_f64_e32 v[12:13], v[4:5], v[10:11]
	s_delay_alu instid0(VALU_DEP_2) | instskip(NEXT) | instid1(VALU_DEP_2)
	v_fma_f64 v[10:11], v[4:5], v[8:9], -v[88:89]
	v_fmac_f64_e32 v[12:13], v[2:3], v[8:9]
	scratch_store_b128 off, v[10:13], off offset:368
.LBB35_107:
	s_wait_xcnt 0x0
	s_or_b32 exec_lo, exec_lo, s2
	s_wait_storecnt 0x0
	s_barrier_signal -1
	s_barrier_wait -1
	scratch_load_b128 v[2:5], off, s13
	;; [unrolled: 54-line block ×13, first 2 shown]
	s_mov_b32 s2, exec_lo
	s_wait_loadcnt 0x0
	ds_store_b128 v6, v[2:5]
	s_wait_dscnt 0x0
	s_barrier_signal -1
	s_barrier_wait -1
	v_cmpx_ne_u32_e32 35, v1
	s_cbranch_execz .LBB35_155
; %bb.152:
	v_mov_b32_e32 v8, v86
	v_mov_b64_e32 v[2:3], 0
	v_mov_b64_e32 v[4:5], 0
	s_mov_b32 s3, 0
	s_delay_alu instid0(VALU_DEP_3)
	v_or_b32_e32 v8, 8, v8
.LBB35_153:                             ; =>This Inner Loop Header: Depth=1
	scratch_load_b128 v[10:13], v8, off offset:-8
	ds_load_b128 v[86:89], v6
	v_dual_add_nc_u32 v7, 1, v7 :: v_dual_add_nc_u32 v6, 16, v6
	s_wait_xcnt 0x0
	v_add_nc_u32_e32 v8, 16, v8
	s_delay_alu instid0(VALU_DEP_2) | instskip(SKIP_4) | instid1(VALU_DEP_2)
	v_cmp_lt_u32_e32 vcc_lo, 33, v7
	s_or_b32 s3, vcc_lo, s3
	s_wait_loadcnt_dscnt 0x0
	v_mul_f64_e32 v[90:91], v[88:89], v[12:13]
	v_mul_f64_e32 v[12:13], v[86:87], v[12:13]
	v_fma_f64 v[86:87], v[86:87], v[10:11], -v[90:91]
	s_delay_alu instid0(VALU_DEP_2) | instskip(NEXT) | instid1(VALU_DEP_2)
	v_fmac_f64_e32 v[12:13], v[88:89], v[10:11]
	v_add_f64_e32 v[4:5], v[4:5], v[86:87]
	s_delay_alu instid0(VALU_DEP_2)
	v_add_f64_e32 v[2:3], v[2:3], v[12:13]
	s_and_not1_b32 exec_lo, exec_lo, s3
	s_cbranch_execnz .LBB35_153
; %bb.154:
	s_or_b32 exec_lo, exec_lo, s3
	v_mov_b32_e32 v6, 0
	ds_load_b128 v[6:9], v6 offset:560
	s_wait_dscnt 0x0
	v_mul_f64_e32 v[12:13], v[2:3], v[8:9]
	v_mul_f64_e32 v[10:11], v[4:5], v[8:9]
	s_delay_alu instid0(VALU_DEP_2) | instskip(NEXT) | instid1(VALU_DEP_2)
	v_fma_f64 v[8:9], v[4:5], v[6:7], -v[12:13]
	v_fmac_f64_e32 v[10:11], v[2:3], v[6:7]
	scratch_store_b128 off, v[8:11], off offset:560
.LBB35_155:
	s_wait_xcnt 0x0
	s_or_b32 exec_lo, exec_lo, s2
	s_mov_b32 s3, -1
	s_wait_storecnt 0x0
	s_barrier_signal -1
	s_barrier_wait -1
.LBB35_156:
	s_and_b32 vcc_lo, exec_lo, s3
	s_cbranch_vccz .LBB35_158
; %bb.157:
	s_wait_xcnt 0xd
	v_mov_b32_e32 v2, 0
	s_lshl_b64 s[2:3], s[18:19], 2
	s_delay_alu instid0(SALU_CYCLE_1)
	s_add_nc_u64 s[2:3], s[6:7], s[2:3]
	global_load_b32 v2, v2, s[2:3]
	s_wait_loadcnt 0x0
	v_cmp_ne_u32_e32 vcc_lo, 0, v2
	s_cbranch_vccz .LBB35_159
.LBB35_158:
	s_sendmsg sendmsg(MSG_DEALLOC_VGPRS)
	s_endpgm
.LBB35_159:
	s_wait_xcnt 0xc
	v_lshl_add_u32 v6, v1, 4, 0x240
	s_wait_xcnt 0x0
	s_mov_b32 s2, exec_lo
	v_cmpx_eq_u32_e32 35, v1
	s_cbranch_execz .LBB35_161
; %bb.160:
	scratch_load_b128 v[2:5], off, s15
	v_mov_b32_e32 v8, 0
	s_delay_alu instid0(VALU_DEP_1)
	v_dual_mov_b32 v9, v8 :: v_dual_mov_b32 v10, v8
	v_mov_b32_e32 v11, v8
	scratch_store_b128 off, v[8:11], off offset:544
	s_wait_loadcnt 0x0
	ds_store_b128 v6, v[2:5]
.LBB35_161:
	s_wait_xcnt 0x0
	s_or_b32 exec_lo, exec_lo, s2
	s_wait_storecnt_dscnt 0x0
	s_barrier_signal -1
	s_barrier_wait -1
	s_clause 0x1
	scratch_load_b128 v[8:11], off, off offset:560
	scratch_load_b128 v[86:89], off, off offset:544
	v_mov_b32_e32 v2, 0
	s_mov_b32 s2, exec_lo
	ds_load_b128 v[90:93], v2 offset:1136
	s_wait_loadcnt_dscnt 0x100
	v_mul_f64_e32 v[4:5], v[92:93], v[10:11]
	v_mul_f64_e32 v[10:11], v[90:91], v[10:11]
	s_delay_alu instid0(VALU_DEP_2) | instskip(NEXT) | instid1(VALU_DEP_2)
	v_fma_f64 v[4:5], v[90:91], v[8:9], -v[4:5]
	v_fmac_f64_e32 v[10:11], v[92:93], v[8:9]
	s_delay_alu instid0(VALU_DEP_2) | instskip(NEXT) | instid1(VALU_DEP_2)
	v_add_f64_e32 v[4:5], 0, v[4:5]
	v_add_f64_e32 v[10:11], 0, v[10:11]
	s_wait_loadcnt 0x0
	s_delay_alu instid0(VALU_DEP_2) | instskip(NEXT) | instid1(VALU_DEP_2)
	v_add_f64_e64 v[8:9], v[86:87], -v[4:5]
	v_add_f64_e64 v[10:11], v[88:89], -v[10:11]
	scratch_store_b128 off, v[8:11], off offset:544
	s_wait_xcnt 0x0
	v_cmpx_lt_u32_e32 33, v1
	s_cbranch_execz .LBB35_163
; %bb.162:
	scratch_load_b128 v[8:11], off, s14
	v_dual_mov_b32 v3, v2 :: v_dual_mov_b32 v4, v2
	v_mov_b32_e32 v5, v2
	scratch_store_b128 off, v[2:5], off offset:528
	s_wait_loadcnt 0x0
	ds_store_b128 v6, v[8:11]
.LBB35_163:
	s_wait_xcnt 0x0
	s_or_b32 exec_lo, exec_lo, s2
	s_wait_storecnt_dscnt 0x0
	s_barrier_signal -1
	s_barrier_wait -1
	s_clause 0x2
	scratch_load_b128 v[8:11], off, off offset:544
	scratch_load_b128 v[86:89], off, off offset:560
	;; [unrolled: 1-line block ×3, first 2 shown]
	ds_load_b128 v[94:97], v2 offset:1120
	ds_load_b128 v[2:5], v2 offset:1136
	s_mov_b32 s2, exec_lo
	s_wait_loadcnt_dscnt 0x201
	v_mul_f64_e32 v[12:13], v[96:97], v[10:11]
	v_mul_f64_e32 v[10:11], v[94:95], v[10:11]
	s_wait_loadcnt_dscnt 0x100
	v_mul_f64_e32 v[98:99], v[2:3], v[88:89]
	v_mul_f64_e32 v[88:89], v[4:5], v[88:89]
	s_delay_alu instid0(VALU_DEP_4) | instskip(NEXT) | instid1(VALU_DEP_4)
	v_fma_f64 v[12:13], v[94:95], v[8:9], -v[12:13]
	v_fmac_f64_e32 v[10:11], v[96:97], v[8:9]
	s_delay_alu instid0(VALU_DEP_4) | instskip(NEXT) | instid1(VALU_DEP_4)
	v_fmac_f64_e32 v[98:99], v[4:5], v[86:87]
	v_fma_f64 v[2:3], v[2:3], v[86:87], -v[88:89]
	s_delay_alu instid0(VALU_DEP_4) | instskip(NEXT) | instid1(VALU_DEP_4)
	v_add_f64_e32 v[4:5], 0, v[12:13]
	v_add_f64_e32 v[8:9], 0, v[10:11]
	s_delay_alu instid0(VALU_DEP_2) | instskip(NEXT) | instid1(VALU_DEP_2)
	v_add_f64_e32 v[2:3], v[4:5], v[2:3]
	v_add_f64_e32 v[4:5], v[8:9], v[98:99]
	s_wait_loadcnt 0x0
	s_delay_alu instid0(VALU_DEP_2) | instskip(NEXT) | instid1(VALU_DEP_2)
	v_add_f64_e64 v[2:3], v[90:91], -v[2:3]
	v_add_f64_e64 v[4:5], v[92:93], -v[4:5]
	scratch_store_b128 off, v[2:5], off offset:528
	s_wait_xcnt 0x0
	v_cmpx_lt_u32_e32 32, v1
	s_cbranch_execz .LBB35_165
; %bb.164:
	scratch_load_b128 v[2:5], off, s24
	v_mov_b32_e32 v8, 0
	s_delay_alu instid0(VALU_DEP_1)
	v_dual_mov_b32 v9, v8 :: v_dual_mov_b32 v10, v8
	v_mov_b32_e32 v11, v8
	scratch_store_b128 off, v[8:11], off offset:512
	s_wait_loadcnt 0x0
	ds_store_b128 v6, v[2:5]
.LBB35_165:
	s_wait_xcnt 0x0
	s_or_b32 exec_lo, exec_lo, s2
	s_wait_storecnt_dscnt 0x0
	s_barrier_signal -1
	s_barrier_wait -1
	s_clause 0x3
	scratch_load_b128 v[8:11], off, off offset:528
	scratch_load_b128 v[86:89], off, off offset:544
	;; [unrolled: 1-line block ×4, first 2 shown]
	v_mov_b32_e32 v2, 0
	ds_load_b128 v[98:101], v2 offset:1104
	ds_load_b128 v[102:105], v2 offset:1120
	s_mov_b32 s2, exec_lo
	s_wait_loadcnt_dscnt 0x301
	v_mul_f64_e32 v[4:5], v[100:101], v[10:11]
	v_mul_f64_e32 v[12:13], v[98:99], v[10:11]
	s_wait_loadcnt_dscnt 0x200
	v_mul_f64_e32 v[106:107], v[102:103], v[88:89]
	v_mul_f64_e32 v[88:89], v[104:105], v[88:89]
	s_delay_alu instid0(VALU_DEP_4) | instskip(NEXT) | instid1(VALU_DEP_4)
	v_fma_f64 v[4:5], v[98:99], v[8:9], -v[4:5]
	v_fmac_f64_e32 v[12:13], v[100:101], v[8:9]
	ds_load_b128 v[8:11], v2 offset:1136
	v_fmac_f64_e32 v[106:107], v[104:105], v[86:87]
	v_fma_f64 v[86:87], v[102:103], v[86:87], -v[88:89]
	s_wait_loadcnt_dscnt 0x100
	v_mul_f64_e32 v[98:99], v[8:9], v[92:93]
	v_mul_f64_e32 v[92:93], v[10:11], v[92:93]
	v_add_f64_e32 v[4:5], 0, v[4:5]
	v_add_f64_e32 v[12:13], 0, v[12:13]
	s_delay_alu instid0(VALU_DEP_4) | instskip(NEXT) | instid1(VALU_DEP_4)
	v_fmac_f64_e32 v[98:99], v[10:11], v[90:91]
	v_fma_f64 v[8:9], v[8:9], v[90:91], -v[92:93]
	s_delay_alu instid0(VALU_DEP_4) | instskip(NEXT) | instid1(VALU_DEP_4)
	v_add_f64_e32 v[4:5], v[4:5], v[86:87]
	v_add_f64_e32 v[10:11], v[12:13], v[106:107]
	s_delay_alu instid0(VALU_DEP_2) | instskip(NEXT) | instid1(VALU_DEP_2)
	v_add_f64_e32 v[4:5], v[4:5], v[8:9]
	v_add_f64_e32 v[10:11], v[10:11], v[98:99]
	s_wait_loadcnt 0x0
	s_delay_alu instid0(VALU_DEP_2) | instskip(NEXT) | instid1(VALU_DEP_2)
	v_add_f64_e64 v[8:9], v[94:95], -v[4:5]
	v_add_f64_e64 v[10:11], v[96:97], -v[10:11]
	scratch_store_b128 off, v[8:11], off offset:512
	s_wait_xcnt 0x0
	v_cmpx_lt_u32_e32 31, v1
	s_cbranch_execz .LBB35_167
; %bb.166:
	scratch_load_b128 v[8:11], off, s21
	v_dual_mov_b32 v3, v2 :: v_dual_mov_b32 v4, v2
	v_mov_b32_e32 v5, v2
	scratch_store_b128 off, v[2:5], off offset:496
	s_wait_loadcnt 0x0
	ds_store_b128 v6, v[8:11]
.LBB35_167:
	s_wait_xcnt 0x0
	s_or_b32 exec_lo, exec_lo, s2
	s_wait_storecnt_dscnt 0x0
	s_barrier_signal -1
	s_barrier_wait -1
	s_clause 0x4
	scratch_load_b128 v[8:11], off, off offset:512
	scratch_load_b128 v[86:89], off, off offset:528
	;; [unrolled: 1-line block ×5, first 2 shown]
	ds_load_b128 v[102:105], v2 offset:1088
	ds_load_b128 v[106:109], v2 offset:1104
	s_mov_b32 s2, exec_lo
	s_wait_loadcnt_dscnt 0x401
	v_mul_f64_e32 v[4:5], v[104:105], v[10:11]
	v_mul_f64_e32 v[12:13], v[102:103], v[10:11]
	s_wait_loadcnt_dscnt 0x300
	v_mul_f64_e32 v[110:111], v[106:107], v[88:89]
	v_mul_f64_e32 v[88:89], v[108:109], v[88:89]
	s_delay_alu instid0(VALU_DEP_4) | instskip(NEXT) | instid1(VALU_DEP_4)
	v_fma_f64 v[102:103], v[102:103], v[8:9], -v[4:5]
	v_fmac_f64_e32 v[12:13], v[104:105], v[8:9]
	ds_load_b128 v[8:11], v2 offset:1120
	ds_load_b128 v[2:5], v2 offset:1136
	v_fmac_f64_e32 v[110:111], v[108:109], v[86:87]
	v_fma_f64 v[86:87], v[106:107], v[86:87], -v[88:89]
	s_wait_loadcnt_dscnt 0x201
	v_mul_f64_e32 v[104:105], v[8:9], v[92:93]
	v_mul_f64_e32 v[92:93], v[10:11], v[92:93]
	v_add_f64_e32 v[88:89], 0, v[102:103]
	v_add_f64_e32 v[12:13], 0, v[12:13]
	s_wait_loadcnt_dscnt 0x100
	v_mul_f64_e32 v[102:103], v[2:3], v[96:97]
	v_mul_f64_e32 v[96:97], v[4:5], v[96:97]
	v_fmac_f64_e32 v[104:105], v[10:11], v[90:91]
	v_fma_f64 v[8:9], v[8:9], v[90:91], -v[92:93]
	v_add_f64_e32 v[10:11], v[88:89], v[86:87]
	v_add_f64_e32 v[12:13], v[12:13], v[110:111]
	v_fmac_f64_e32 v[102:103], v[4:5], v[94:95]
	v_fma_f64 v[2:3], v[2:3], v[94:95], -v[96:97]
	s_delay_alu instid0(VALU_DEP_4) | instskip(NEXT) | instid1(VALU_DEP_4)
	v_add_f64_e32 v[4:5], v[10:11], v[8:9]
	v_add_f64_e32 v[8:9], v[12:13], v[104:105]
	s_delay_alu instid0(VALU_DEP_2) | instskip(NEXT) | instid1(VALU_DEP_2)
	v_add_f64_e32 v[2:3], v[4:5], v[2:3]
	v_add_f64_e32 v[4:5], v[8:9], v[102:103]
	s_wait_loadcnt 0x0
	s_delay_alu instid0(VALU_DEP_2) | instskip(NEXT) | instid1(VALU_DEP_2)
	v_add_f64_e64 v[2:3], v[98:99], -v[2:3]
	v_add_f64_e64 v[4:5], v[100:101], -v[4:5]
	scratch_store_b128 off, v[2:5], off offset:496
	s_wait_xcnt 0x0
	v_cmpx_lt_u32_e32 30, v1
	s_cbranch_execz .LBB35_169
; %bb.168:
	scratch_load_b128 v[2:5], off, s28
	v_mov_b32_e32 v8, 0
	s_delay_alu instid0(VALU_DEP_1)
	v_dual_mov_b32 v9, v8 :: v_dual_mov_b32 v10, v8
	v_mov_b32_e32 v11, v8
	scratch_store_b128 off, v[8:11], off offset:480
	s_wait_loadcnt 0x0
	ds_store_b128 v6, v[2:5]
.LBB35_169:
	s_wait_xcnt 0x0
	s_or_b32 exec_lo, exec_lo, s2
	s_wait_storecnt_dscnt 0x0
	s_barrier_signal -1
	s_barrier_wait -1
	s_clause 0x5
	scratch_load_b128 v[8:11], off, off offset:496
	scratch_load_b128 v[86:89], off, off offset:512
	;; [unrolled: 1-line block ×6, first 2 shown]
	v_mov_b32_e32 v2, 0
	ds_load_b128 v[106:109], v2 offset:1072
	ds_load_b128 v[110:113], v2 offset:1088
	s_mov_b32 s2, exec_lo
	s_wait_loadcnt_dscnt 0x501
	v_mul_f64_e32 v[4:5], v[108:109], v[10:11]
	v_mul_f64_e32 v[12:13], v[106:107], v[10:11]
	s_wait_loadcnt_dscnt 0x400
	v_mul_f64_e32 v[114:115], v[110:111], v[88:89]
	v_mul_f64_e32 v[88:89], v[112:113], v[88:89]
	s_delay_alu instid0(VALU_DEP_4) | instskip(NEXT) | instid1(VALU_DEP_4)
	v_fma_f64 v[4:5], v[106:107], v[8:9], -v[4:5]
	v_fmac_f64_e32 v[12:13], v[108:109], v[8:9]
	ds_load_b128 v[8:11], v2 offset:1104
	ds_load_b128 v[106:109], v2 offset:1120
	v_fmac_f64_e32 v[114:115], v[112:113], v[86:87]
	v_fma_f64 v[86:87], v[110:111], v[86:87], -v[88:89]
	s_wait_loadcnt_dscnt 0x301
	v_mul_f64_e32 v[116:117], v[8:9], v[92:93]
	v_mul_f64_e32 v[92:93], v[10:11], v[92:93]
	s_wait_loadcnt_dscnt 0x200
	v_mul_f64_e32 v[88:89], v[106:107], v[96:97]
	v_mul_f64_e32 v[96:97], v[108:109], v[96:97]
	v_add_f64_e32 v[4:5], 0, v[4:5]
	v_add_f64_e32 v[12:13], 0, v[12:13]
	v_fmac_f64_e32 v[116:117], v[10:11], v[90:91]
	v_fma_f64 v[90:91], v[8:9], v[90:91], -v[92:93]
	ds_load_b128 v[8:11], v2 offset:1136
	v_fmac_f64_e32 v[88:89], v[108:109], v[94:95]
	v_fma_f64 v[94:95], v[106:107], v[94:95], -v[96:97]
	v_add_f64_e32 v[4:5], v[4:5], v[86:87]
	v_add_f64_e32 v[12:13], v[12:13], v[114:115]
	s_wait_loadcnt_dscnt 0x100
	v_mul_f64_e32 v[86:87], v[8:9], v[100:101]
	v_mul_f64_e32 v[92:93], v[10:11], v[100:101]
	s_delay_alu instid0(VALU_DEP_4) | instskip(NEXT) | instid1(VALU_DEP_4)
	v_add_f64_e32 v[4:5], v[4:5], v[90:91]
	v_add_f64_e32 v[12:13], v[12:13], v[116:117]
	s_delay_alu instid0(VALU_DEP_4) | instskip(NEXT) | instid1(VALU_DEP_4)
	v_fmac_f64_e32 v[86:87], v[10:11], v[98:99]
	v_fma_f64 v[8:9], v[8:9], v[98:99], -v[92:93]
	s_delay_alu instid0(VALU_DEP_4) | instskip(NEXT) | instid1(VALU_DEP_4)
	v_add_f64_e32 v[4:5], v[4:5], v[94:95]
	v_add_f64_e32 v[10:11], v[12:13], v[88:89]
	s_delay_alu instid0(VALU_DEP_2) | instskip(NEXT) | instid1(VALU_DEP_2)
	v_add_f64_e32 v[4:5], v[4:5], v[8:9]
	v_add_f64_e32 v[10:11], v[10:11], v[86:87]
	s_wait_loadcnt 0x0
	s_delay_alu instid0(VALU_DEP_2) | instskip(NEXT) | instid1(VALU_DEP_2)
	v_add_f64_e64 v[8:9], v[102:103], -v[4:5]
	v_add_f64_e64 v[10:11], v[104:105], -v[10:11]
	scratch_store_b128 off, v[8:11], off offset:480
	s_wait_xcnt 0x0
	v_cmpx_lt_u32_e32 29, v1
	s_cbranch_execz .LBB35_171
; %bb.170:
	scratch_load_b128 v[8:11], off, s25
	v_dual_mov_b32 v3, v2 :: v_dual_mov_b32 v4, v2
	v_mov_b32_e32 v5, v2
	scratch_store_b128 off, v[2:5], off offset:464
	s_wait_loadcnt 0x0
	ds_store_b128 v6, v[8:11]
.LBB35_171:
	s_wait_xcnt 0x0
	s_or_b32 exec_lo, exec_lo, s2
	s_wait_storecnt_dscnt 0x0
	s_barrier_signal -1
	s_barrier_wait -1
	s_clause 0x6
	scratch_load_b128 v[8:11], off, off offset:480
	scratch_load_b128 v[86:89], off, off offset:496
	;; [unrolled: 1-line block ×7, first 2 shown]
	ds_load_b128 v[110:113], v2 offset:1056
	ds_load_b128 v[114:117], v2 offset:1072
	s_mov_b32 s2, exec_lo
	s_wait_loadcnt_dscnt 0x601
	v_mul_f64_e32 v[4:5], v[112:113], v[10:11]
	v_mul_f64_e32 v[12:13], v[110:111], v[10:11]
	s_wait_loadcnt_dscnt 0x500
	v_mul_f64_e32 v[118:119], v[114:115], v[88:89]
	v_mul_f64_e32 v[88:89], v[116:117], v[88:89]
	s_delay_alu instid0(VALU_DEP_4) | instskip(NEXT) | instid1(VALU_DEP_4)
	v_fma_f64 v[4:5], v[110:111], v[8:9], -v[4:5]
	v_fmac_f64_e32 v[12:13], v[112:113], v[8:9]
	ds_load_b128 v[8:11], v2 offset:1088
	ds_load_b128 v[110:113], v2 offset:1104
	v_fmac_f64_e32 v[118:119], v[116:117], v[86:87]
	v_fma_f64 v[86:87], v[114:115], v[86:87], -v[88:89]
	s_wait_loadcnt_dscnt 0x401
	v_mul_f64_e32 v[120:121], v[8:9], v[92:93]
	v_mul_f64_e32 v[92:93], v[10:11], v[92:93]
	s_wait_loadcnt_dscnt 0x300
	v_mul_f64_e32 v[88:89], v[110:111], v[96:97]
	v_mul_f64_e32 v[96:97], v[112:113], v[96:97]
	v_add_f64_e32 v[4:5], 0, v[4:5]
	v_add_f64_e32 v[12:13], 0, v[12:13]
	v_fmac_f64_e32 v[120:121], v[10:11], v[90:91]
	v_fma_f64 v[90:91], v[8:9], v[90:91], -v[92:93]
	v_fmac_f64_e32 v[88:89], v[112:113], v[94:95]
	v_fma_f64 v[94:95], v[110:111], v[94:95], -v[96:97]
	v_add_f64_e32 v[86:87], v[4:5], v[86:87]
	v_add_f64_e32 v[12:13], v[12:13], v[118:119]
	ds_load_b128 v[8:11], v2 offset:1120
	ds_load_b128 v[2:5], v2 offset:1136
	s_wait_loadcnt_dscnt 0x201
	v_mul_f64_e32 v[92:93], v[8:9], v[100:101]
	v_mul_f64_e32 v[100:101], v[10:11], v[100:101]
	s_wait_loadcnt_dscnt 0x100
	v_mul_f64_e32 v[96:97], v[4:5], v[104:105]
	v_add_f64_e32 v[86:87], v[86:87], v[90:91]
	v_add_f64_e32 v[12:13], v[12:13], v[120:121]
	v_mul_f64_e32 v[90:91], v[2:3], v[104:105]
	v_fmac_f64_e32 v[92:93], v[10:11], v[98:99]
	v_fma_f64 v[8:9], v[8:9], v[98:99], -v[100:101]
	v_fma_f64 v[2:3], v[2:3], v[102:103], -v[96:97]
	v_add_f64_e32 v[10:11], v[86:87], v[94:95]
	v_add_f64_e32 v[12:13], v[12:13], v[88:89]
	v_fmac_f64_e32 v[90:91], v[4:5], v[102:103]
	s_delay_alu instid0(VALU_DEP_3) | instskip(NEXT) | instid1(VALU_DEP_3)
	v_add_f64_e32 v[4:5], v[10:11], v[8:9]
	v_add_f64_e32 v[8:9], v[12:13], v[92:93]
	s_delay_alu instid0(VALU_DEP_2) | instskip(NEXT) | instid1(VALU_DEP_2)
	v_add_f64_e32 v[2:3], v[4:5], v[2:3]
	v_add_f64_e32 v[4:5], v[8:9], v[90:91]
	s_wait_loadcnt 0x0
	s_delay_alu instid0(VALU_DEP_2) | instskip(NEXT) | instid1(VALU_DEP_2)
	v_add_f64_e64 v[2:3], v[106:107], -v[2:3]
	v_add_f64_e64 v[4:5], v[108:109], -v[4:5]
	scratch_store_b128 off, v[2:5], off offset:464
	s_wait_xcnt 0x0
	v_cmpx_lt_u32_e32 28, v1
	s_cbranch_execz .LBB35_173
; %bb.172:
	scratch_load_b128 v[2:5], off, s9
	v_mov_b32_e32 v8, 0
	s_delay_alu instid0(VALU_DEP_1)
	v_dual_mov_b32 v9, v8 :: v_dual_mov_b32 v10, v8
	v_mov_b32_e32 v11, v8
	scratch_store_b128 off, v[8:11], off offset:448
	s_wait_loadcnt 0x0
	ds_store_b128 v6, v[2:5]
.LBB35_173:
	s_wait_xcnt 0x0
	s_or_b32 exec_lo, exec_lo, s2
	s_wait_storecnt_dscnt 0x0
	s_barrier_signal -1
	s_barrier_wait -1
	s_clause 0x7
	scratch_load_b128 v[8:11], off, off offset:464
	scratch_load_b128 v[86:89], off, off offset:480
	;; [unrolled: 1-line block ×8, first 2 shown]
	v_mov_b32_e32 v2, 0
	ds_load_b128 v[114:117], v2 offset:1040
	ds_load_b128 v[118:121], v2 offset:1056
	s_mov_b32 s2, exec_lo
	s_wait_loadcnt_dscnt 0x701
	v_mul_f64_e32 v[4:5], v[116:117], v[10:11]
	v_mul_f64_e32 v[12:13], v[114:115], v[10:11]
	s_wait_loadcnt_dscnt 0x600
	v_mul_f64_e32 v[122:123], v[118:119], v[88:89]
	v_mul_f64_e32 v[88:89], v[120:121], v[88:89]
	s_delay_alu instid0(VALU_DEP_4) | instskip(NEXT) | instid1(VALU_DEP_4)
	v_fma_f64 v[4:5], v[114:115], v[8:9], -v[4:5]
	v_fmac_f64_e32 v[12:13], v[116:117], v[8:9]
	ds_load_b128 v[8:11], v2 offset:1072
	ds_load_b128 v[114:117], v2 offset:1088
	v_fmac_f64_e32 v[122:123], v[120:121], v[86:87]
	v_fma_f64 v[86:87], v[118:119], v[86:87], -v[88:89]
	s_wait_loadcnt_dscnt 0x501
	v_mul_f64_e32 v[124:125], v[8:9], v[92:93]
	v_mul_f64_e32 v[92:93], v[10:11], v[92:93]
	s_wait_loadcnt_dscnt 0x400
	v_mul_f64_e32 v[118:119], v[114:115], v[96:97]
	v_mul_f64_e32 v[96:97], v[116:117], v[96:97]
	v_add_f64_e32 v[4:5], 0, v[4:5]
	v_add_f64_e32 v[12:13], 0, v[12:13]
	v_fmac_f64_e32 v[124:125], v[10:11], v[90:91]
	v_fma_f64 v[90:91], v[8:9], v[90:91], -v[92:93]
	v_fmac_f64_e32 v[118:119], v[116:117], v[94:95]
	v_fma_f64 v[94:95], v[114:115], v[94:95], -v[96:97]
	v_add_f64_e32 v[4:5], v[4:5], v[86:87]
	v_add_f64_e32 v[12:13], v[12:13], v[122:123]
	ds_load_b128 v[8:11], v2 offset:1104
	ds_load_b128 v[86:89], v2 offset:1120
	s_wait_loadcnt_dscnt 0x301
	v_mul_f64_e32 v[92:93], v[8:9], v[100:101]
	v_mul_f64_e32 v[100:101], v[10:11], v[100:101]
	s_wait_loadcnt_dscnt 0x200
	v_mul_f64_e32 v[96:97], v[88:89], v[104:105]
	v_add_f64_e32 v[4:5], v[4:5], v[90:91]
	v_add_f64_e32 v[12:13], v[12:13], v[124:125]
	v_mul_f64_e32 v[90:91], v[86:87], v[104:105]
	v_fmac_f64_e32 v[92:93], v[10:11], v[98:99]
	v_fma_f64 v[98:99], v[8:9], v[98:99], -v[100:101]
	ds_load_b128 v[8:11], v2 offset:1136
	v_fma_f64 v[86:87], v[86:87], v[102:103], -v[96:97]
	v_add_f64_e32 v[4:5], v[4:5], v[94:95]
	v_add_f64_e32 v[12:13], v[12:13], v[118:119]
	v_fmac_f64_e32 v[90:91], v[88:89], v[102:103]
	s_wait_loadcnt_dscnt 0x100
	v_mul_f64_e32 v[94:95], v[8:9], v[108:109]
	v_mul_f64_e32 v[100:101], v[10:11], v[108:109]
	v_add_f64_e32 v[4:5], v[4:5], v[98:99]
	v_add_f64_e32 v[12:13], v[12:13], v[92:93]
	s_delay_alu instid0(VALU_DEP_4) | instskip(NEXT) | instid1(VALU_DEP_4)
	v_fmac_f64_e32 v[94:95], v[10:11], v[106:107]
	v_fma_f64 v[8:9], v[8:9], v[106:107], -v[100:101]
	s_delay_alu instid0(VALU_DEP_4) | instskip(NEXT) | instid1(VALU_DEP_4)
	v_add_f64_e32 v[4:5], v[4:5], v[86:87]
	v_add_f64_e32 v[10:11], v[12:13], v[90:91]
	s_delay_alu instid0(VALU_DEP_2) | instskip(NEXT) | instid1(VALU_DEP_2)
	v_add_f64_e32 v[4:5], v[4:5], v[8:9]
	v_add_f64_e32 v[10:11], v[10:11], v[94:95]
	s_wait_loadcnt 0x0
	s_delay_alu instid0(VALU_DEP_2) | instskip(NEXT) | instid1(VALU_DEP_2)
	v_add_f64_e64 v[8:9], v[110:111], -v[4:5]
	v_add_f64_e64 v[10:11], v[112:113], -v[10:11]
	scratch_store_b128 off, v[8:11], off offset:448
	s_wait_xcnt 0x0
	v_cmpx_lt_u32_e32 27, v1
	s_cbranch_execz .LBB35_175
; %bb.174:
	scratch_load_b128 v[8:11], off, s8
	v_dual_mov_b32 v3, v2 :: v_dual_mov_b32 v4, v2
	v_mov_b32_e32 v5, v2
	scratch_store_b128 off, v[2:5], off offset:432
	s_wait_loadcnt 0x0
	ds_store_b128 v6, v[8:11]
.LBB35_175:
	s_wait_xcnt 0x0
	s_or_b32 exec_lo, exec_lo, s2
	s_wait_storecnt_dscnt 0x0
	s_barrier_signal -1
	s_barrier_wait -1
	s_clause 0x7
	scratch_load_b128 v[8:11], off, off offset:448
	scratch_load_b128 v[86:89], off, off offset:464
	;; [unrolled: 1-line block ×8, first 2 shown]
	ds_load_b128 v[114:117], v2 offset:1024
	ds_load_b128 v[118:121], v2 offset:1040
	scratch_load_b128 v[122:125], off, off offset:432
	s_mov_b32 s2, exec_lo
	s_wait_loadcnt_dscnt 0x801
	v_mul_f64_e32 v[4:5], v[116:117], v[10:11]
	v_mul_f64_e32 v[12:13], v[114:115], v[10:11]
	s_wait_loadcnt_dscnt 0x700
	v_mul_f64_e32 v[126:127], v[118:119], v[88:89]
	v_mul_f64_e32 v[88:89], v[120:121], v[88:89]
	s_delay_alu instid0(VALU_DEP_4) | instskip(NEXT) | instid1(VALU_DEP_4)
	v_fma_f64 v[4:5], v[114:115], v[8:9], -v[4:5]
	v_fmac_f64_e32 v[12:13], v[116:117], v[8:9]
	ds_load_b128 v[8:11], v2 offset:1056
	ds_load_b128 v[114:117], v2 offset:1072
	v_fmac_f64_e32 v[126:127], v[120:121], v[86:87]
	v_fma_f64 v[86:87], v[118:119], v[86:87], -v[88:89]
	s_wait_loadcnt_dscnt 0x601
	v_mul_f64_e32 v[128:129], v[8:9], v[92:93]
	v_mul_f64_e32 v[92:93], v[10:11], v[92:93]
	s_wait_loadcnt_dscnt 0x500
	v_mul_f64_e32 v[118:119], v[114:115], v[96:97]
	v_mul_f64_e32 v[96:97], v[116:117], v[96:97]
	v_add_f64_e32 v[4:5], 0, v[4:5]
	v_add_f64_e32 v[12:13], 0, v[12:13]
	v_fmac_f64_e32 v[128:129], v[10:11], v[90:91]
	v_fma_f64 v[90:91], v[8:9], v[90:91], -v[92:93]
	v_fmac_f64_e32 v[118:119], v[116:117], v[94:95]
	v_fma_f64 v[94:95], v[114:115], v[94:95], -v[96:97]
	v_add_f64_e32 v[4:5], v[4:5], v[86:87]
	v_add_f64_e32 v[12:13], v[12:13], v[126:127]
	ds_load_b128 v[8:11], v2 offset:1088
	ds_load_b128 v[86:89], v2 offset:1104
	s_wait_loadcnt_dscnt 0x401
	v_mul_f64_e32 v[92:93], v[8:9], v[100:101]
	v_mul_f64_e32 v[100:101], v[10:11], v[100:101]
	s_wait_loadcnt_dscnt 0x300
	v_mul_f64_e32 v[96:97], v[88:89], v[104:105]
	v_add_f64_e32 v[4:5], v[4:5], v[90:91]
	v_add_f64_e32 v[12:13], v[12:13], v[128:129]
	v_mul_f64_e32 v[90:91], v[86:87], v[104:105]
	v_fmac_f64_e32 v[92:93], v[10:11], v[98:99]
	v_fma_f64 v[98:99], v[8:9], v[98:99], -v[100:101]
	v_fma_f64 v[86:87], v[86:87], v[102:103], -v[96:97]
	v_add_f64_e32 v[94:95], v[4:5], v[94:95]
	v_add_f64_e32 v[12:13], v[12:13], v[118:119]
	ds_load_b128 v[8:11], v2 offset:1120
	ds_load_b128 v[2:5], v2 offset:1136
	v_fmac_f64_e32 v[90:91], v[88:89], v[102:103]
	s_wait_loadcnt_dscnt 0x201
	v_mul_f64_e32 v[100:101], v[8:9], v[108:109]
	v_mul_f64_e32 v[104:105], v[10:11], v[108:109]
	v_add_f64_e32 v[88:89], v[94:95], v[98:99]
	v_add_f64_e32 v[12:13], v[12:13], v[92:93]
	s_wait_loadcnt_dscnt 0x100
	v_mul_f64_e32 v[92:93], v[2:3], v[112:113]
	v_mul_f64_e32 v[94:95], v[4:5], v[112:113]
	v_fmac_f64_e32 v[100:101], v[10:11], v[106:107]
	v_fma_f64 v[8:9], v[8:9], v[106:107], -v[104:105]
	v_add_f64_e32 v[10:11], v[88:89], v[86:87]
	v_add_f64_e32 v[12:13], v[12:13], v[90:91]
	v_fmac_f64_e32 v[92:93], v[4:5], v[110:111]
	v_fma_f64 v[2:3], v[2:3], v[110:111], -v[94:95]
	s_delay_alu instid0(VALU_DEP_4) | instskip(NEXT) | instid1(VALU_DEP_4)
	v_add_f64_e32 v[4:5], v[10:11], v[8:9]
	v_add_f64_e32 v[8:9], v[12:13], v[100:101]
	s_delay_alu instid0(VALU_DEP_2) | instskip(NEXT) | instid1(VALU_DEP_2)
	v_add_f64_e32 v[2:3], v[4:5], v[2:3]
	v_add_f64_e32 v[4:5], v[8:9], v[92:93]
	s_wait_loadcnt 0x0
	s_delay_alu instid0(VALU_DEP_2) | instskip(NEXT) | instid1(VALU_DEP_2)
	v_add_f64_e64 v[2:3], v[122:123], -v[2:3]
	v_add_f64_e64 v[4:5], v[124:125], -v[4:5]
	scratch_store_b128 off, v[2:5], off offset:432
	s_wait_xcnt 0x0
	v_cmpx_lt_u32_e32 26, v1
	s_cbranch_execz .LBB35_177
; %bb.176:
	scratch_load_b128 v[2:5], off, s11
	v_mov_b32_e32 v8, 0
	s_delay_alu instid0(VALU_DEP_1)
	v_dual_mov_b32 v9, v8 :: v_dual_mov_b32 v10, v8
	v_mov_b32_e32 v11, v8
	scratch_store_b128 off, v[8:11], off offset:416
	s_wait_loadcnt 0x0
	ds_store_b128 v6, v[2:5]
.LBB35_177:
	s_wait_xcnt 0x0
	s_or_b32 exec_lo, exec_lo, s2
	s_wait_storecnt_dscnt 0x0
	s_barrier_signal -1
	s_barrier_wait -1
	s_clause 0x8
	scratch_load_b128 v[8:11], off, off offset:432
	scratch_load_b128 v[86:89], off, off offset:448
	;; [unrolled: 1-line block ×9, first 2 shown]
	v_mov_b32_e32 v2, 0
	scratch_load_b128 v[122:125], off, off offset:416
	s_mov_b32 s2, exec_lo
	ds_load_b128 v[118:121], v2 offset:1008
	ds_load_b128 v[126:129], v2 offset:1024
	s_wait_loadcnt_dscnt 0x901
	v_mul_f64_e32 v[4:5], v[120:121], v[10:11]
	v_mul_f64_e32 v[12:13], v[118:119], v[10:11]
	s_wait_loadcnt_dscnt 0x800
	v_mul_f64_e32 v[130:131], v[126:127], v[88:89]
	v_mul_f64_e32 v[88:89], v[128:129], v[88:89]
	s_delay_alu instid0(VALU_DEP_4) | instskip(NEXT) | instid1(VALU_DEP_4)
	v_fma_f64 v[4:5], v[118:119], v[8:9], -v[4:5]
	v_fmac_f64_e32 v[12:13], v[120:121], v[8:9]
	ds_load_b128 v[8:11], v2 offset:1040
	ds_load_b128 v[118:121], v2 offset:1056
	v_fmac_f64_e32 v[130:131], v[128:129], v[86:87]
	v_fma_f64 v[86:87], v[126:127], v[86:87], -v[88:89]
	s_wait_loadcnt_dscnt 0x701
	v_mul_f64_e32 v[132:133], v[8:9], v[92:93]
	v_mul_f64_e32 v[92:93], v[10:11], v[92:93]
	s_wait_loadcnt_dscnt 0x600
	v_mul_f64_e32 v[126:127], v[118:119], v[96:97]
	v_mul_f64_e32 v[96:97], v[120:121], v[96:97]
	v_add_f64_e32 v[4:5], 0, v[4:5]
	v_add_f64_e32 v[12:13], 0, v[12:13]
	v_fmac_f64_e32 v[132:133], v[10:11], v[90:91]
	v_fma_f64 v[90:91], v[8:9], v[90:91], -v[92:93]
	v_fmac_f64_e32 v[126:127], v[120:121], v[94:95]
	v_fma_f64 v[94:95], v[118:119], v[94:95], -v[96:97]
	v_add_f64_e32 v[4:5], v[4:5], v[86:87]
	v_add_f64_e32 v[12:13], v[12:13], v[130:131]
	ds_load_b128 v[8:11], v2 offset:1072
	ds_load_b128 v[86:89], v2 offset:1088
	s_wait_loadcnt_dscnt 0x501
	v_mul_f64_e32 v[128:129], v[8:9], v[100:101]
	v_mul_f64_e32 v[92:93], v[10:11], v[100:101]
	s_wait_loadcnt_dscnt 0x400
	v_mul_f64_e32 v[96:97], v[86:87], v[104:105]
	v_mul_f64_e32 v[100:101], v[88:89], v[104:105]
	v_add_f64_e32 v[4:5], v[4:5], v[90:91]
	v_add_f64_e32 v[12:13], v[12:13], v[132:133]
	v_fmac_f64_e32 v[128:129], v[10:11], v[98:99]
	v_fma_f64 v[98:99], v[8:9], v[98:99], -v[92:93]
	ds_load_b128 v[8:11], v2 offset:1104
	ds_load_b128 v[90:93], v2 offset:1120
	v_fmac_f64_e32 v[96:97], v[88:89], v[102:103]
	v_fma_f64 v[86:87], v[86:87], v[102:103], -v[100:101]
	v_add_f64_e32 v[4:5], v[4:5], v[94:95]
	v_add_f64_e32 v[12:13], v[12:13], v[126:127]
	s_wait_loadcnt_dscnt 0x301
	v_mul_f64_e32 v[94:95], v[8:9], v[108:109]
	v_mul_f64_e32 v[104:105], v[10:11], v[108:109]
	s_wait_loadcnt_dscnt 0x200
	v_mul_f64_e32 v[88:89], v[90:91], v[112:113]
	v_add_f64_e32 v[4:5], v[4:5], v[98:99]
	v_add_f64_e32 v[12:13], v[12:13], v[128:129]
	v_mul_f64_e32 v[98:99], v[92:93], v[112:113]
	v_fmac_f64_e32 v[94:95], v[10:11], v[106:107]
	v_fma_f64 v[100:101], v[8:9], v[106:107], -v[104:105]
	ds_load_b128 v[8:11], v2 offset:1136
	v_fmac_f64_e32 v[88:89], v[92:93], v[110:111]
	v_add_f64_e32 v[4:5], v[4:5], v[86:87]
	v_add_f64_e32 v[12:13], v[12:13], v[96:97]
	s_wait_loadcnt_dscnt 0x100
	v_mul_f64_e32 v[86:87], v[8:9], v[116:117]
	v_mul_f64_e32 v[96:97], v[10:11], v[116:117]
	v_fma_f64 v[90:91], v[90:91], v[110:111], -v[98:99]
	v_add_f64_e32 v[4:5], v[4:5], v[100:101]
	v_add_f64_e32 v[12:13], v[12:13], v[94:95]
	v_fmac_f64_e32 v[86:87], v[10:11], v[114:115]
	v_fma_f64 v[8:9], v[8:9], v[114:115], -v[96:97]
	s_delay_alu instid0(VALU_DEP_4) | instskip(NEXT) | instid1(VALU_DEP_4)
	v_add_f64_e32 v[4:5], v[4:5], v[90:91]
	v_add_f64_e32 v[10:11], v[12:13], v[88:89]
	s_delay_alu instid0(VALU_DEP_2) | instskip(NEXT) | instid1(VALU_DEP_2)
	v_add_f64_e32 v[4:5], v[4:5], v[8:9]
	v_add_f64_e32 v[10:11], v[10:11], v[86:87]
	s_wait_loadcnt 0x0
	s_delay_alu instid0(VALU_DEP_2) | instskip(NEXT) | instid1(VALU_DEP_2)
	v_add_f64_e64 v[8:9], v[122:123], -v[4:5]
	v_add_f64_e64 v[10:11], v[124:125], -v[10:11]
	scratch_store_b128 off, v[8:11], off offset:416
	s_wait_xcnt 0x0
	v_cmpx_lt_u32_e32 25, v1
	s_cbranch_execz .LBB35_179
; %bb.178:
	scratch_load_b128 v[8:11], off, s10
	v_dual_mov_b32 v3, v2 :: v_dual_mov_b32 v4, v2
	v_mov_b32_e32 v5, v2
	scratch_store_b128 off, v[2:5], off offset:400
	s_wait_loadcnt 0x0
	ds_store_b128 v6, v[8:11]
.LBB35_179:
	s_wait_xcnt 0x0
	s_or_b32 exec_lo, exec_lo, s2
	s_wait_storecnt_dscnt 0x0
	s_barrier_signal -1
	s_barrier_wait -1
	s_clause 0x9
	scratch_load_b128 v[8:11], off, off offset:416
	scratch_load_b128 v[86:89], off, off offset:432
	;; [unrolled: 1-line block ×10, first 2 shown]
	ds_load_b128 v[122:125], v2 offset:992
	ds_load_b128 v[126:129], v2 offset:1008
	scratch_load_b128 v[130:133], off, off offset:400
	s_mov_b32 s2, exec_lo
	s_wait_loadcnt_dscnt 0xa01
	v_mul_f64_e32 v[4:5], v[124:125], v[10:11]
	v_mul_f64_e32 v[12:13], v[122:123], v[10:11]
	s_wait_loadcnt_dscnt 0x900
	v_mul_f64_e32 v[134:135], v[126:127], v[88:89]
	v_mul_f64_e32 v[88:89], v[128:129], v[88:89]
	s_delay_alu instid0(VALU_DEP_4) | instskip(NEXT) | instid1(VALU_DEP_4)
	v_fma_f64 v[4:5], v[122:123], v[8:9], -v[4:5]
	v_fmac_f64_e32 v[12:13], v[124:125], v[8:9]
	ds_load_b128 v[8:11], v2 offset:1024
	ds_load_b128 v[122:125], v2 offset:1040
	v_fmac_f64_e32 v[134:135], v[128:129], v[86:87]
	v_fma_f64 v[86:87], v[126:127], v[86:87], -v[88:89]
	s_wait_loadcnt_dscnt 0x801
	v_mul_f64_e32 v[136:137], v[8:9], v[92:93]
	v_mul_f64_e32 v[92:93], v[10:11], v[92:93]
	s_wait_loadcnt_dscnt 0x700
	v_mul_f64_e32 v[126:127], v[122:123], v[96:97]
	v_mul_f64_e32 v[96:97], v[124:125], v[96:97]
	v_add_f64_e32 v[4:5], 0, v[4:5]
	v_add_f64_e32 v[12:13], 0, v[12:13]
	v_fmac_f64_e32 v[136:137], v[10:11], v[90:91]
	v_fma_f64 v[90:91], v[8:9], v[90:91], -v[92:93]
	v_fmac_f64_e32 v[126:127], v[124:125], v[94:95]
	v_fma_f64 v[94:95], v[122:123], v[94:95], -v[96:97]
	v_add_f64_e32 v[4:5], v[4:5], v[86:87]
	v_add_f64_e32 v[12:13], v[12:13], v[134:135]
	ds_load_b128 v[8:11], v2 offset:1056
	ds_load_b128 v[86:89], v2 offset:1072
	s_wait_loadcnt_dscnt 0x601
	v_mul_f64_e32 v[128:129], v[8:9], v[100:101]
	v_mul_f64_e32 v[92:93], v[10:11], v[100:101]
	s_wait_loadcnt_dscnt 0x500
	v_mul_f64_e32 v[96:97], v[86:87], v[104:105]
	v_mul_f64_e32 v[100:101], v[88:89], v[104:105]
	v_add_f64_e32 v[4:5], v[4:5], v[90:91]
	v_add_f64_e32 v[12:13], v[12:13], v[136:137]
	v_fmac_f64_e32 v[128:129], v[10:11], v[98:99]
	v_fma_f64 v[98:99], v[8:9], v[98:99], -v[92:93]
	ds_load_b128 v[8:11], v2 offset:1088
	ds_load_b128 v[90:93], v2 offset:1104
	v_fmac_f64_e32 v[96:97], v[88:89], v[102:103]
	v_fma_f64 v[86:87], v[86:87], v[102:103], -v[100:101]
	v_add_f64_e32 v[4:5], v[4:5], v[94:95]
	v_add_f64_e32 v[12:13], v[12:13], v[126:127]
	s_wait_loadcnt_dscnt 0x401
	v_mul_f64_e32 v[94:95], v[8:9], v[108:109]
	v_mul_f64_e32 v[104:105], v[10:11], v[108:109]
	s_wait_loadcnt_dscnt 0x300
	v_mul_f64_e32 v[88:89], v[90:91], v[112:113]
	v_add_f64_e32 v[4:5], v[4:5], v[98:99]
	v_add_f64_e32 v[12:13], v[12:13], v[128:129]
	v_mul_f64_e32 v[98:99], v[92:93], v[112:113]
	v_fmac_f64_e32 v[94:95], v[10:11], v[106:107]
	v_fma_f64 v[100:101], v[8:9], v[106:107], -v[104:105]
	v_fmac_f64_e32 v[88:89], v[92:93], v[110:111]
	v_add_f64_e32 v[86:87], v[4:5], v[86:87]
	v_add_f64_e32 v[12:13], v[12:13], v[96:97]
	ds_load_b128 v[8:11], v2 offset:1120
	ds_load_b128 v[2:5], v2 offset:1136
	v_fma_f64 v[90:91], v[90:91], v[110:111], -v[98:99]
	s_wait_loadcnt_dscnt 0x201
	v_mul_f64_e32 v[96:97], v[8:9], v[116:117]
	v_mul_f64_e32 v[102:103], v[10:11], v[116:117]
	s_wait_loadcnt_dscnt 0x100
	v_mul_f64_e32 v[92:93], v[2:3], v[120:121]
	v_add_f64_e32 v[86:87], v[86:87], v[100:101]
	v_add_f64_e32 v[12:13], v[12:13], v[94:95]
	v_mul_f64_e32 v[94:95], v[4:5], v[120:121]
	v_fmac_f64_e32 v[96:97], v[10:11], v[114:115]
	v_fma_f64 v[8:9], v[8:9], v[114:115], -v[102:103]
	v_fmac_f64_e32 v[92:93], v[4:5], v[118:119]
	v_add_f64_e32 v[10:11], v[86:87], v[90:91]
	v_add_f64_e32 v[12:13], v[12:13], v[88:89]
	v_fma_f64 v[2:3], v[2:3], v[118:119], -v[94:95]
	s_delay_alu instid0(VALU_DEP_3) | instskip(NEXT) | instid1(VALU_DEP_3)
	v_add_f64_e32 v[4:5], v[10:11], v[8:9]
	v_add_f64_e32 v[8:9], v[12:13], v[96:97]
	s_delay_alu instid0(VALU_DEP_2) | instskip(NEXT) | instid1(VALU_DEP_2)
	v_add_f64_e32 v[2:3], v[4:5], v[2:3]
	v_add_f64_e32 v[4:5], v[8:9], v[92:93]
	s_wait_loadcnt 0x0
	s_delay_alu instid0(VALU_DEP_2) | instskip(NEXT) | instid1(VALU_DEP_2)
	v_add_f64_e64 v[2:3], v[130:131], -v[2:3]
	v_add_f64_e64 v[4:5], v[132:133], -v[4:5]
	scratch_store_b128 off, v[2:5], off offset:400
	s_wait_xcnt 0x0
	v_cmpx_lt_u32_e32 24, v1
	s_cbranch_execz .LBB35_181
; %bb.180:
	scratch_load_b128 v[2:5], off, s13
	v_mov_b32_e32 v8, 0
	s_delay_alu instid0(VALU_DEP_1)
	v_dual_mov_b32 v9, v8 :: v_dual_mov_b32 v10, v8
	v_mov_b32_e32 v11, v8
	scratch_store_b128 off, v[8:11], off offset:384
	s_wait_loadcnt 0x0
	ds_store_b128 v6, v[2:5]
.LBB35_181:
	s_wait_xcnt 0x0
	s_or_b32 exec_lo, exec_lo, s2
	s_wait_storecnt_dscnt 0x0
	s_barrier_signal -1
	s_barrier_wait -1
	s_clause 0x9
	scratch_load_b128 v[8:11], off, off offset:400
	scratch_load_b128 v[86:89], off, off offset:416
	;; [unrolled: 1-line block ×10, first 2 shown]
	v_mov_b32_e32 v2, 0
	s_mov_b32 s2, exec_lo
	ds_load_b128 v[122:125], v2 offset:976
	s_clause 0x1
	scratch_load_b128 v[126:129], off, off offset:560
	scratch_load_b128 v[130:133], off, off offset:384
	s_wait_loadcnt_dscnt 0xb00
	v_mul_f64_e32 v[4:5], v[124:125], v[10:11]
	v_mul_f64_e32 v[12:13], v[122:123], v[10:11]
	ds_load_b128 v[134:137], v2 offset:992
	s_wait_loadcnt_dscnt 0xa00
	v_mul_f64_e32 v[138:139], v[134:135], v[88:89]
	v_mul_f64_e32 v[88:89], v[136:137], v[88:89]
	v_fma_f64 v[4:5], v[122:123], v[8:9], -v[4:5]
	v_fmac_f64_e32 v[12:13], v[124:125], v[8:9]
	ds_load_b128 v[8:11], v2 offset:1008
	ds_load_b128 v[122:125], v2 offset:1024
	s_wait_loadcnt_dscnt 0x901
	v_mul_f64_e32 v[140:141], v[8:9], v[92:93]
	v_mul_f64_e32 v[92:93], v[10:11], v[92:93]
	v_fmac_f64_e32 v[138:139], v[136:137], v[86:87]
	v_fma_f64 v[86:87], v[134:135], v[86:87], -v[88:89]
	s_wait_loadcnt_dscnt 0x800
	v_mul_f64_e32 v[134:135], v[122:123], v[96:97]
	v_mul_f64_e32 v[96:97], v[124:125], v[96:97]
	v_add_f64_e32 v[4:5], 0, v[4:5]
	v_add_f64_e32 v[12:13], 0, v[12:13]
	v_fmac_f64_e32 v[140:141], v[10:11], v[90:91]
	v_fma_f64 v[90:91], v[8:9], v[90:91], -v[92:93]
	v_fmac_f64_e32 v[134:135], v[124:125], v[94:95]
	v_fma_f64 v[94:95], v[122:123], v[94:95], -v[96:97]
	v_add_f64_e32 v[4:5], v[4:5], v[86:87]
	v_add_f64_e32 v[12:13], v[12:13], v[138:139]
	ds_load_b128 v[8:11], v2 offset:1040
	ds_load_b128 v[86:89], v2 offset:1056
	s_wait_loadcnt_dscnt 0x701
	v_mul_f64_e32 v[136:137], v[8:9], v[100:101]
	v_mul_f64_e32 v[92:93], v[10:11], v[100:101]
	s_wait_loadcnt_dscnt 0x600
	v_mul_f64_e32 v[96:97], v[86:87], v[104:105]
	v_mul_f64_e32 v[100:101], v[88:89], v[104:105]
	v_add_f64_e32 v[4:5], v[4:5], v[90:91]
	v_add_f64_e32 v[12:13], v[12:13], v[140:141]
	v_fmac_f64_e32 v[136:137], v[10:11], v[98:99]
	v_fma_f64 v[98:99], v[8:9], v[98:99], -v[92:93]
	ds_load_b128 v[8:11], v2 offset:1072
	ds_load_b128 v[90:93], v2 offset:1088
	v_fmac_f64_e32 v[96:97], v[88:89], v[102:103]
	v_fma_f64 v[86:87], v[86:87], v[102:103], -v[100:101]
	v_add_f64_e32 v[4:5], v[4:5], v[94:95]
	v_add_f64_e32 v[12:13], v[12:13], v[134:135]
	s_wait_loadcnt_dscnt 0x501
	v_mul_f64_e32 v[94:95], v[8:9], v[108:109]
	v_mul_f64_e32 v[104:105], v[10:11], v[108:109]
	s_wait_loadcnt_dscnt 0x400
	v_mul_f64_e32 v[100:101], v[92:93], v[112:113]
	v_add_f64_e32 v[4:5], v[4:5], v[98:99]
	v_add_f64_e32 v[12:13], v[12:13], v[136:137]
	v_mul_f64_e32 v[98:99], v[90:91], v[112:113]
	v_fmac_f64_e32 v[94:95], v[10:11], v[106:107]
	v_fma_f64 v[102:103], v[8:9], v[106:107], -v[104:105]
	v_fma_f64 v[90:91], v[90:91], v[110:111], -v[100:101]
	v_add_f64_e32 v[4:5], v[4:5], v[86:87]
	v_add_f64_e32 v[12:13], v[12:13], v[96:97]
	ds_load_b128 v[8:11], v2 offset:1104
	ds_load_b128 v[86:89], v2 offset:1120
	v_fmac_f64_e32 v[98:99], v[92:93], v[110:111]
	s_wait_loadcnt_dscnt 0x301
	v_mul_f64_e32 v[96:97], v[8:9], v[116:117]
	v_mul_f64_e32 v[104:105], v[10:11], v[116:117]
	s_wait_loadcnt_dscnt 0x200
	v_mul_f64_e32 v[92:93], v[86:87], v[120:121]
	v_add_f64_e32 v[4:5], v[4:5], v[102:103]
	v_add_f64_e32 v[12:13], v[12:13], v[94:95]
	v_mul_f64_e32 v[94:95], v[88:89], v[120:121]
	v_fmac_f64_e32 v[96:97], v[10:11], v[114:115]
	v_fma_f64 v[100:101], v[8:9], v[114:115], -v[104:105]
	ds_load_b128 v[8:11], v2 offset:1136
	v_fmac_f64_e32 v[92:93], v[88:89], v[118:119]
	v_add_f64_e32 v[4:5], v[4:5], v[90:91]
	v_add_f64_e32 v[12:13], v[12:13], v[98:99]
	v_fma_f64 v[86:87], v[86:87], v[118:119], -v[94:95]
	s_wait_loadcnt_dscnt 0x100
	v_mul_f64_e32 v[90:91], v[8:9], v[128:129]
	v_mul_f64_e32 v[98:99], v[10:11], v[128:129]
	v_add_f64_e32 v[4:5], v[4:5], v[100:101]
	v_add_f64_e32 v[12:13], v[12:13], v[96:97]
	s_delay_alu instid0(VALU_DEP_4) | instskip(NEXT) | instid1(VALU_DEP_4)
	v_fmac_f64_e32 v[90:91], v[10:11], v[126:127]
	v_fma_f64 v[8:9], v[8:9], v[126:127], -v[98:99]
	s_delay_alu instid0(VALU_DEP_4) | instskip(NEXT) | instid1(VALU_DEP_4)
	v_add_f64_e32 v[4:5], v[4:5], v[86:87]
	v_add_f64_e32 v[10:11], v[12:13], v[92:93]
	s_delay_alu instid0(VALU_DEP_2) | instskip(NEXT) | instid1(VALU_DEP_2)
	v_add_f64_e32 v[4:5], v[4:5], v[8:9]
	v_add_f64_e32 v[10:11], v[10:11], v[90:91]
	s_wait_loadcnt 0x0
	s_delay_alu instid0(VALU_DEP_2) | instskip(NEXT) | instid1(VALU_DEP_2)
	v_add_f64_e64 v[8:9], v[130:131], -v[4:5]
	v_add_f64_e64 v[10:11], v[132:133], -v[10:11]
	scratch_store_b128 off, v[8:11], off offset:384
	s_wait_xcnt 0x0
	v_cmpx_lt_u32_e32 23, v1
	s_cbranch_execz .LBB35_183
; %bb.182:
	scratch_load_b128 v[8:11], off, s12
	v_dual_mov_b32 v3, v2 :: v_dual_mov_b32 v4, v2
	v_mov_b32_e32 v5, v2
	scratch_store_b128 off, v[2:5], off offset:368
	s_wait_loadcnt 0x0
	ds_store_b128 v6, v[8:11]
.LBB35_183:
	s_wait_xcnt 0x0
	s_or_b32 exec_lo, exec_lo, s2
	s_wait_storecnt_dscnt 0x0
	s_barrier_signal -1
	s_barrier_wait -1
	s_clause 0x9
	scratch_load_b128 v[8:11], off, off offset:384
	scratch_load_b128 v[86:89], off, off offset:400
	;; [unrolled: 1-line block ×10, first 2 shown]
	ds_load_b128 v[122:125], v2 offset:960
	ds_load_b128 v[130:133], v2 offset:976
	s_clause 0x1
	scratch_load_b128 v[126:129], off, off offset:544
	scratch_load_b128 v[134:137], off, off offset:368
	s_mov_b32 s2, exec_lo
	s_wait_loadcnt_dscnt 0xb01
	v_mul_f64_e32 v[4:5], v[124:125], v[10:11]
	v_mul_f64_e32 v[142:143], v[122:123], v[10:11]
	scratch_load_b128 v[10:13], off, off offset:560
	s_wait_loadcnt_dscnt 0xb00
	v_mul_f64_e32 v[144:145], v[130:131], v[88:89]
	v_mul_f64_e32 v[88:89], v[132:133], v[88:89]
	v_fma_f64 v[4:5], v[122:123], v[8:9], -v[4:5]
	v_fmac_f64_e32 v[142:143], v[124:125], v[8:9]
	ds_load_b128 v[122:125], v2 offset:992
	ds_load_b128 v[138:141], v2 offset:1008
	v_fmac_f64_e32 v[144:145], v[132:133], v[86:87]
	v_fma_f64 v[86:87], v[130:131], v[86:87], -v[88:89]
	s_wait_loadcnt_dscnt 0xa01
	v_mul_f64_e32 v[8:9], v[122:123], v[92:93]
	v_mul_f64_e32 v[92:93], v[124:125], v[92:93]
	s_wait_loadcnt_dscnt 0x900
	v_mul_f64_e32 v[130:131], v[138:139], v[96:97]
	v_mul_f64_e32 v[96:97], v[140:141], v[96:97]
	v_add_f64_e32 v[4:5], 0, v[4:5]
	v_add_f64_e32 v[88:89], 0, v[142:143]
	v_fmac_f64_e32 v[8:9], v[124:125], v[90:91]
	v_fma_f64 v[122:123], v[122:123], v[90:91], -v[92:93]
	v_fmac_f64_e32 v[130:131], v[140:141], v[94:95]
	v_fma_f64 v[94:95], v[138:139], v[94:95], -v[96:97]
	v_add_f64_e32 v[4:5], v[4:5], v[86:87]
	v_add_f64_e32 v[124:125], v[88:89], v[144:145]
	ds_load_b128 v[86:89], v2 offset:1024
	ds_load_b128 v[90:93], v2 offset:1040
	s_wait_loadcnt_dscnt 0x801
	v_mul_f64_e32 v[132:133], v[86:87], v[100:101]
	v_mul_f64_e32 v[100:101], v[88:89], v[100:101]
	v_add_f64_e32 v[4:5], v[4:5], v[122:123]
	v_add_f64_e32 v[8:9], v[124:125], v[8:9]
	s_wait_loadcnt_dscnt 0x700
	v_mul_f64_e32 v[122:123], v[90:91], v[104:105]
	v_mul_f64_e32 v[104:105], v[92:93], v[104:105]
	v_fmac_f64_e32 v[132:133], v[88:89], v[98:99]
	v_fma_f64 v[98:99], v[86:87], v[98:99], -v[100:101]
	v_add_f64_e32 v[4:5], v[4:5], v[94:95]
	v_add_f64_e32 v[8:9], v[8:9], v[130:131]
	ds_load_b128 v[86:89], v2 offset:1056
	ds_load_b128 v[94:97], v2 offset:1072
	v_fmac_f64_e32 v[122:123], v[92:93], v[102:103]
	v_fma_f64 v[90:91], v[90:91], v[102:103], -v[104:105]
	s_wait_loadcnt_dscnt 0x601
	v_mul_f64_e32 v[100:101], v[86:87], v[108:109]
	v_mul_f64_e32 v[108:109], v[88:89], v[108:109]
	s_wait_loadcnt_dscnt 0x500
	v_mul_f64_e32 v[102:103], v[96:97], v[112:113]
	v_add_f64_e32 v[4:5], v[4:5], v[98:99]
	v_add_f64_e32 v[8:9], v[8:9], v[132:133]
	v_mul_f64_e32 v[98:99], v[94:95], v[112:113]
	v_fmac_f64_e32 v[100:101], v[88:89], v[106:107]
	v_fma_f64 v[104:105], v[86:87], v[106:107], -v[108:109]
	v_fma_f64 v[94:95], v[94:95], v[110:111], -v[102:103]
	v_add_f64_e32 v[4:5], v[4:5], v[90:91]
	v_add_f64_e32 v[8:9], v[8:9], v[122:123]
	ds_load_b128 v[86:89], v2 offset:1088
	ds_load_b128 v[90:93], v2 offset:1104
	v_fmac_f64_e32 v[98:99], v[96:97], v[110:111]
	s_wait_loadcnt_dscnt 0x401
	v_mul_f64_e32 v[106:107], v[86:87], v[116:117]
	v_mul_f64_e32 v[108:109], v[88:89], v[116:117]
	s_wait_loadcnt_dscnt 0x300
	v_mul_f64_e32 v[96:97], v[90:91], v[120:121]
	v_add_f64_e32 v[4:5], v[4:5], v[104:105]
	v_add_f64_e32 v[8:9], v[8:9], v[100:101]
	v_mul_f64_e32 v[100:101], v[92:93], v[120:121]
	v_fmac_f64_e32 v[106:107], v[88:89], v[114:115]
	v_fma_f64 v[102:103], v[86:87], v[114:115], -v[108:109]
	v_fmac_f64_e32 v[96:97], v[92:93], v[118:119]
	v_add_f64_e32 v[94:95], v[4:5], v[94:95]
	v_add_f64_e32 v[8:9], v[8:9], v[98:99]
	ds_load_b128 v[86:89], v2 offset:1120
	ds_load_b128 v[2:5], v2 offset:1136
	v_fma_f64 v[90:91], v[90:91], v[118:119], -v[100:101]
	s_wait_loadcnt_dscnt 0x201
	v_mul_f64_e32 v[98:99], v[86:87], v[128:129]
	v_mul_f64_e32 v[104:105], v[88:89], v[128:129]
	v_add_f64_e32 v[92:93], v[94:95], v[102:103]
	v_add_f64_e32 v[8:9], v[8:9], v[106:107]
	s_wait_loadcnt_dscnt 0x0
	v_mul_f64_e32 v[94:95], v[2:3], v[12:13]
	v_mul_f64_e32 v[12:13], v[4:5], v[12:13]
	v_fmac_f64_e32 v[98:99], v[88:89], v[126:127]
	v_fma_f64 v[86:87], v[86:87], v[126:127], -v[104:105]
	v_add_f64_e32 v[88:89], v[92:93], v[90:91]
	v_add_f64_e32 v[8:9], v[8:9], v[96:97]
	v_fmac_f64_e32 v[94:95], v[4:5], v[10:11]
	v_fma_f64 v[2:3], v[2:3], v[10:11], -v[12:13]
	s_delay_alu instid0(VALU_DEP_4) | instskip(NEXT) | instid1(VALU_DEP_4)
	v_add_f64_e32 v[4:5], v[88:89], v[86:87]
	v_add_f64_e32 v[8:9], v[8:9], v[98:99]
	s_delay_alu instid0(VALU_DEP_2) | instskip(NEXT) | instid1(VALU_DEP_2)
	v_add_f64_e32 v[2:3], v[4:5], v[2:3]
	v_add_f64_e32 v[4:5], v[8:9], v[94:95]
	s_delay_alu instid0(VALU_DEP_2) | instskip(NEXT) | instid1(VALU_DEP_2)
	v_add_f64_e64 v[2:3], v[134:135], -v[2:3]
	v_add_f64_e64 v[4:5], v[136:137], -v[4:5]
	scratch_store_b128 off, v[2:5], off offset:368
	s_wait_xcnt 0x0
	v_cmpx_lt_u32_e32 22, v1
	s_cbranch_execz .LBB35_185
; %bb.184:
	scratch_load_b128 v[2:5], off, s22
	v_mov_b32_e32 v8, 0
	s_delay_alu instid0(VALU_DEP_1)
	v_dual_mov_b32 v9, v8 :: v_dual_mov_b32 v10, v8
	v_mov_b32_e32 v11, v8
	scratch_store_b128 off, v[8:11], off offset:352
	s_wait_loadcnt 0x0
	ds_store_b128 v6, v[2:5]
.LBB35_185:
	s_wait_xcnt 0x0
	s_or_b32 exec_lo, exec_lo, s2
	s_wait_storecnt_dscnt 0x0
	s_barrier_signal -1
	s_barrier_wait -1
	s_clause 0x9
	scratch_load_b128 v[8:11], off, off offset:368
	scratch_load_b128 v[86:89], off, off offset:384
	;; [unrolled: 1-line block ×10, first 2 shown]
	v_mov_b32_e32 v2, 0
	s_mov_b32 s2, exec_lo
	ds_load_b128 v[122:125], v2 offset:944
	s_clause 0x2
	scratch_load_b128 v[126:129], off, off offset:528
	scratch_load_b128 v[130:133], off, off offset:352
	;; [unrolled: 1-line block ×3, first 2 shown]
	s_wait_loadcnt_dscnt 0xc00
	v_mul_f64_e32 v[4:5], v[124:125], v[10:11]
	v_mul_f64_e32 v[146:147], v[122:123], v[10:11]
	ds_load_b128 v[134:137], v2 offset:960
	scratch_load_b128 v[10:13], off, off offset:544
	ds_load_b128 v[142:145], v2 offset:992
	v_fma_f64 v[4:5], v[122:123], v[8:9], -v[4:5]
	v_fmac_f64_e32 v[146:147], v[124:125], v[8:9]
	ds_load_b128 v[122:125], v2 offset:976
	s_wait_loadcnt_dscnt 0xc02
	v_mul_f64_e32 v[148:149], v[134:135], v[88:89]
	v_mul_f64_e32 v[88:89], v[136:137], v[88:89]
	s_wait_loadcnt_dscnt 0xb00
	v_mul_f64_e32 v[8:9], v[122:123], v[92:93]
	v_mul_f64_e32 v[92:93], v[124:125], v[92:93]
	v_add_f64_e32 v[4:5], 0, v[4:5]
	v_fmac_f64_e32 v[148:149], v[136:137], v[86:87]
	v_fma_f64 v[86:87], v[134:135], v[86:87], -v[88:89]
	v_add_f64_e32 v[88:89], 0, v[146:147]
	s_wait_loadcnt 0xa
	v_mul_f64_e32 v[134:135], v[142:143], v[96:97]
	v_mul_f64_e32 v[96:97], v[144:145], v[96:97]
	v_fmac_f64_e32 v[8:9], v[124:125], v[90:91]
	v_fma_f64 v[122:123], v[122:123], v[90:91], -v[92:93]
	v_add_f64_e32 v[4:5], v[4:5], v[86:87]
	v_add_f64_e32 v[124:125], v[88:89], v[148:149]
	ds_load_b128 v[86:89], v2 offset:1008
	ds_load_b128 v[90:93], v2 offset:1024
	v_fmac_f64_e32 v[134:135], v[144:145], v[94:95]
	v_fma_f64 v[94:95], v[142:143], v[94:95], -v[96:97]
	s_wait_loadcnt_dscnt 0x901
	v_mul_f64_e32 v[136:137], v[86:87], v[100:101]
	v_mul_f64_e32 v[100:101], v[88:89], v[100:101]
	v_add_f64_e32 v[4:5], v[4:5], v[122:123]
	v_add_f64_e32 v[8:9], v[124:125], v[8:9]
	s_wait_loadcnt_dscnt 0x800
	v_mul_f64_e32 v[122:123], v[90:91], v[104:105]
	v_mul_f64_e32 v[104:105], v[92:93], v[104:105]
	v_fmac_f64_e32 v[136:137], v[88:89], v[98:99]
	v_fma_f64 v[98:99], v[86:87], v[98:99], -v[100:101]
	v_add_f64_e32 v[4:5], v[4:5], v[94:95]
	v_add_f64_e32 v[8:9], v[8:9], v[134:135]
	ds_load_b128 v[86:89], v2 offset:1040
	ds_load_b128 v[94:97], v2 offset:1056
	v_fmac_f64_e32 v[122:123], v[92:93], v[102:103]
	v_fma_f64 v[90:91], v[90:91], v[102:103], -v[104:105]
	s_wait_loadcnt_dscnt 0x701
	v_mul_f64_e32 v[100:101], v[86:87], v[108:109]
	v_mul_f64_e32 v[108:109], v[88:89], v[108:109]
	s_wait_loadcnt_dscnt 0x600
	v_mul_f64_e32 v[102:103], v[96:97], v[112:113]
	v_add_f64_e32 v[4:5], v[4:5], v[98:99]
	v_add_f64_e32 v[8:9], v[8:9], v[136:137]
	v_mul_f64_e32 v[98:99], v[94:95], v[112:113]
	v_fmac_f64_e32 v[100:101], v[88:89], v[106:107]
	v_fma_f64 v[104:105], v[86:87], v[106:107], -v[108:109]
	v_fma_f64 v[94:95], v[94:95], v[110:111], -v[102:103]
	v_add_f64_e32 v[4:5], v[4:5], v[90:91]
	v_add_f64_e32 v[8:9], v[8:9], v[122:123]
	ds_load_b128 v[86:89], v2 offset:1072
	ds_load_b128 v[90:93], v2 offset:1088
	v_fmac_f64_e32 v[98:99], v[96:97], v[110:111]
	s_wait_loadcnt_dscnt 0x501
	v_mul_f64_e32 v[106:107], v[86:87], v[116:117]
	v_mul_f64_e32 v[108:109], v[88:89], v[116:117]
	s_wait_loadcnt_dscnt 0x400
	v_mul_f64_e32 v[102:103], v[92:93], v[120:121]
	v_add_f64_e32 v[4:5], v[4:5], v[104:105]
	v_add_f64_e32 v[8:9], v[8:9], v[100:101]
	v_mul_f64_e32 v[100:101], v[90:91], v[120:121]
	v_fmac_f64_e32 v[106:107], v[88:89], v[114:115]
	v_fma_f64 v[104:105], v[86:87], v[114:115], -v[108:109]
	v_fma_f64 v[90:91], v[90:91], v[118:119], -v[102:103]
	v_add_f64_e32 v[4:5], v[4:5], v[94:95]
	v_add_f64_e32 v[8:9], v[8:9], v[98:99]
	ds_load_b128 v[86:89], v2 offset:1104
	ds_load_b128 v[94:97], v2 offset:1120
	v_fmac_f64_e32 v[100:101], v[92:93], v[118:119]
	s_wait_loadcnt_dscnt 0x301
	v_mul_f64_e32 v[98:99], v[86:87], v[128:129]
	v_mul_f64_e32 v[108:109], v[88:89], v[128:129]
	s_wait_loadcnt_dscnt 0x0
	v_mul_f64_e32 v[92:93], v[94:95], v[12:13]
	v_add_f64_e32 v[4:5], v[4:5], v[104:105]
	v_add_f64_e32 v[8:9], v[8:9], v[106:107]
	v_mul_f64_e32 v[12:13], v[96:97], v[12:13]
	v_fmac_f64_e32 v[98:99], v[88:89], v[126:127]
	v_fma_f64 v[102:103], v[86:87], v[126:127], -v[108:109]
	ds_load_b128 v[86:89], v2 offset:1136
	v_fmac_f64_e32 v[92:93], v[96:97], v[10:11]
	v_add_f64_e32 v[4:5], v[4:5], v[90:91]
	v_add_f64_e32 v[8:9], v[8:9], v[100:101]
	v_fma_f64 v[10:11], v[94:95], v[10:11], -v[12:13]
	s_wait_dscnt 0x0
	v_mul_f64_e32 v[90:91], v[86:87], v[140:141]
	v_mul_f64_e32 v[100:101], v[88:89], v[140:141]
	v_add_f64_e32 v[4:5], v[4:5], v[102:103]
	v_add_f64_e32 v[8:9], v[8:9], v[98:99]
	s_delay_alu instid0(VALU_DEP_4) | instskip(NEXT) | instid1(VALU_DEP_4)
	v_fmac_f64_e32 v[90:91], v[88:89], v[138:139]
	v_fma_f64 v[12:13], v[86:87], v[138:139], -v[100:101]
	s_delay_alu instid0(VALU_DEP_4) | instskip(NEXT) | instid1(VALU_DEP_4)
	v_add_f64_e32 v[4:5], v[4:5], v[10:11]
	v_add_f64_e32 v[8:9], v[8:9], v[92:93]
	s_delay_alu instid0(VALU_DEP_2) | instskip(NEXT) | instid1(VALU_DEP_2)
	v_add_f64_e32 v[4:5], v[4:5], v[12:13]
	v_add_f64_e32 v[10:11], v[8:9], v[90:91]
	s_delay_alu instid0(VALU_DEP_2) | instskip(NEXT) | instid1(VALU_DEP_2)
	v_add_f64_e64 v[8:9], v[130:131], -v[4:5]
	v_add_f64_e64 v[10:11], v[132:133], -v[10:11]
	scratch_store_b128 off, v[8:11], off offset:352
	s_wait_xcnt 0x0
	v_cmpx_lt_u32_e32 21, v1
	s_cbranch_execz .LBB35_187
; %bb.186:
	scratch_load_b128 v[8:11], off, s20
	v_dual_mov_b32 v3, v2 :: v_dual_mov_b32 v4, v2
	v_mov_b32_e32 v5, v2
	scratch_store_b128 off, v[2:5], off offset:336
	s_wait_loadcnt 0x0
	ds_store_b128 v6, v[8:11]
.LBB35_187:
	s_wait_xcnt 0x0
	s_or_b32 exec_lo, exec_lo, s2
	s_wait_storecnt_dscnt 0x0
	s_barrier_signal -1
	s_barrier_wait -1
	s_clause 0x9
	scratch_load_b128 v[8:11], off, off offset:352
	scratch_load_b128 v[86:89], off, off offset:368
	;; [unrolled: 1-line block ×10, first 2 shown]
	ds_load_b128 v[122:125], v2 offset:928
	ds_load_b128 v[130:133], v2 offset:944
	s_clause 0x1
	scratch_load_b128 v[126:129], off, off offset:512
	scratch_load_b128 v[134:137], off, off offset:336
	s_mov_b32 s2, exec_lo
	s_wait_loadcnt_dscnt 0xb01
	v_mul_f64_e32 v[4:5], v[124:125], v[10:11]
	v_mul_f64_e32 v[146:147], v[122:123], v[10:11]
	scratch_load_b128 v[10:13], off, off offset:528
	s_wait_loadcnt_dscnt 0xb00
	v_mul_f64_e32 v[148:149], v[130:131], v[88:89]
	v_mul_f64_e32 v[88:89], v[132:133], v[88:89]
	v_fma_f64 v[4:5], v[122:123], v[8:9], -v[4:5]
	v_fmac_f64_e32 v[146:147], v[124:125], v[8:9]
	ds_load_b128 v[122:125], v2 offset:960
	ds_load_b128 v[138:141], v2 offset:976
	scratch_load_b128 v[142:145], off, off offset:544
	v_fmac_f64_e32 v[148:149], v[132:133], v[86:87]
	v_fma_f64 v[130:131], v[130:131], v[86:87], -v[88:89]
	scratch_load_b128 v[86:89], off, off offset:560
	s_wait_loadcnt_dscnt 0xc01
	v_mul_f64_e32 v[8:9], v[122:123], v[92:93]
	v_mul_f64_e32 v[92:93], v[124:125], v[92:93]
	v_add_f64_e32 v[4:5], 0, v[4:5]
	v_add_f64_e32 v[132:133], 0, v[146:147]
	s_wait_loadcnt_dscnt 0xb00
	v_mul_f64_e32 v[146:147], v[138:139], v[96:97]
	v_mul_f64_e32 v[96:97], v[140:141], v[96:97]
	v_fmac_f64_e32 v[8:9], v[124:125], v[90:91]
	v_fma_f64 v[150:151], v[122:123], v[90:91], -v[92:93]
	ds_load_b128 v[90:93], v2 offset:992
	ds_load_b128 v[122:125], v2 offset:1008
	v_add_f64_e32 v[4:5], v[4:5], v[130:131]
	v_add_f64_e32 v[130:131], v[132:133], v[148:149]
	v_fmac_f64_e32 v[146:147], v[140:141], v[94:95]
	v_fma_f64 v[94:95], v[138:139], v[94:95], -v[96:97]
	s_wait_loadcnt_dscnt 0xa01
	v_mul_f64_e32 v[132:133], v[90:91], v[100:101]
	v_mul_f64_e32 v[100:101], v[92:93], v[100:101]
	v_add_f64_e32 v[4:5], v[4:5], v[150:151]
	v_add_f64_e32 v[8:9], v[130:131], v[8:9]
	s_wait_loadcnt_dscnt 0x900
	v_mul_f64_e32 v[130:131], v[122:123], v[104:105]
	v_mul_f64_e32 v[104:105], v[124:125], v[104:105]
	v_fmac_f64_e32 v[132:133], v[92:93], v[98:99]
	v_fma_f64 v[98:99], v[90:91], v[98:99], -v[100:101]
	v_add_f64_e32 v[4:5], v[4:5], v[94:95]
	v_add_f64_e32 v[8:9], v[8:9], v[146:147]
	ds_load_b128 v[90:93], v2 offset:1024
	ds_load_b128 v[94:97], v2 offset:1040
	v_fmac_f64_e32 v[130:131], v[124:125], v[102:103]
	v_fma_f64 v[102:103], v[122:123], v[102:103], -v[104:105]
	s_wait_loadcnt_dscnt 0x801
	v_mul_f64_e32 v[138:139], v[90:91], v[108:109]
	v_mul_f64_e32 v[100:101], v[92:93], v[108:109]
	s_wait_loadcnt_dscnt 0x700
	v_mul_f64_e32 v[104:105], v[94:95], v[112:113]
	v_mul_f64_e32 v[108:109], v[96:97], v[112:113]
	v_add_f64_e32 v[4:5], v[4:5], v[98:99]
	v_add_f64_e32 v[8:9], v[8:9], v[132:133]
	v_fmac_f64_e32 v[138:139], v[92:93], v[106:107]
	v_fma_f64 v[106:107], v[90:91], v[106:107], -v[100:101]
	ds_load_b128 v[90:93], v2 offset:1056
	ds_load_b128 v[98:101], v2 offset:1072
	v_fmac_f64_e32 v[104:105], v[96:97], v[110:111]
	v_fma_f64 v[94:95], v[94:95], v[110:111], -v[108:109]
	v_add_f64_e32 v[4:5], v[4:5], v[102:103]
	v_add_f64_e32 v[8:9], v[8:9], v[130:131]
	s_wait_loadcnt_dscnt 0x601
	v_mul_f64_e32 v[102:103], v[90:91], v[116:117]
	v_mul_f64_e32 v[112:113], v[92:93], v[116:117]
	s_wait_loadcnt_dscnt 0x500
	v_mul_f64_e32 v[108:109], v[100:101], v[120:121]
	v_add_f64_e32 v[4:5], v[4:5], v[106:107]
	v_add_f64_e32 v[8:9], v[8:9], v[138:139]
	v_mul_f64_e32 v[106:107], v[98:99], v[120:121]
	v_fmac_f64_e32 v[102:103], v[92:93], v[114:115]
	v_fma_f64 v[110:111], v[90:91], v[114:115], -v[112:113]
	v_fma_f64 v[98:99], v[98:99], v[118:119], -v[108:109]
	v_add_f64_e32 v[4:5], v[4:5], v[94:95]
	v_add_f64_e32 v[8:9], v[8:9], v[104:105]
	ds_load_b128 v[90:93], v2 offset:1088
	ds_load_b128 v[94:97], v2 offset:1104
	v_fmac_f64_e32 v[106:107], v[100:101], v[118:119]
	s_wait_loadcnt_dscnt 0x401
	v_mul_f64_e32 v[104:105], v[90:91], v[128:129]
	v_mul_f64_e32 v[112:113], v[92:93], v[128:129]
	v_add_f64_e32 v[4:5], v[4:5], v[110:111]
	v_add_f64_e32 v[8:9], v[8:9], v[102:103]
	s_wait_loadcnt_dscnt 0x200
	v_mul_f64_e32 v[100:101], v[94:95], v[12:13]
	v_mul_f64_e32 v[12:13], v[96:97], v[12:13]
	v_fmac_f64_e32 v[104:105], v[92:93], v[126:127]
	v_fma_f64 v[102:103], v[90:91], v[126:127], -v[112:113]
	v_add_f64_e32 v[98:99], v[4:5], v[98:99]
	v_add_f64_e32 v[8:9], v[8:9], v[106:107]
	ds_load_b128 v[90:93], v2 offset:1120
	ds_load_b128 v[2:5], v2 offset:1136
	v_fmac_f64_e32 v[100:101], v[96:97], v[10:11]
	v_fma_f64 v[10:11], v[94:95], v[10:11], -v[12:13]
	s_wait_loadcnt_dscnt 0x101
	v_mul_f64_e32 v[106:107], v[90:91], v[144:145]
	v_mul_f64_e32 v[108:109], v[92:93], v[144:145]
	s_wait_loadcnt_dscnt 0x0
	v_mul_f64_e32 v[94:95], v[2:3], v[88:89]
	v_mul_f64_e32 v[88:89], v[4:5], v[88:89]
	v_add_f64_e32 v[12:13], v[98:99], v[102:103]
	v_add_f64_e32 v[8:9], v[8:9], v[104:105]
	v_fmac_f64_e32 v[106:107], v[92:93], v[142:143]
	v_fma_f64 v[90:91], v[90:91], v[142:143], -v[108:109]
	v_fmac_f64_e32 v[94:95], v[4:5], v[86:87]
	v_fma_f64 v[2:3], v[2:3], v[86:87], -v[88:89]
	v_add_f64_e32 v[10:11], v[12:13], v[10:11]
	v_add_f64_e32 v[8:9], v[8:9], v[100:101]
	s_delay_alu instid0(VALU_DEP_2) | instskip(NEXT) | instid1(VALU_DEP_2)
	v_add_f64_e32 v[4:5], v[10:11], v[90:91]
	v_add_f64_e32 v[8:9], v[8:9], v[106:107]
	s_delay_alu instid0(VALU_DEP_2) | instskip(NEXT) | instid1(VALU_DEP_2)
	;; [unrolled: 3-line block ×3, first 2 shown]
	v_add_f64_e64 v[2:3], v[134:135], -v[2:3]
	v_add_f64_e64 v[4:5], v[136:137], -v[4:5]
	scratch_store_b128 off, v[2:5], off offset:336
	s_wait_xcnt 0x0
	v_cmpx_lt_u32_e32 20, v1
	s_cbranch_execz .LBB35_189
; %bb.188:
	scratch_load_b128 v[2:5], off, s26
	v_mov_b32_e32 v8, 0
	s_delay_alu instid0(VALU_DEP_1)
	v_dual_mov_b32 v9, v8 :: v_dual_mov_b32 v10, v8
	v_mov_b32_e32 v11, v8
	scratch_store_b128 off, v[8:11], off offset:320
	s_wait_loadcnt 0x0
	ds_store_b128 v6, v[2:5]
.LBB35_189:
	s_wait_xcnt 0x0
	s_or_b32 exec_lo, exec_lo, s2
	s_wait_storecnt_dscnt 0x0
	s_barrier_signal -1
	s_barrier_wait -1
	s_clause 0x9
	scratch_load_b128 v[8:11], off, off offset:336
	scratch_load_b128 v[86:89], off, off offset:352
	;; [unrolled: 1-line block ×10, first 2 shown]
	v_mov_b32_e32 v2, 0
	s_mov_b32 s2, exec_lo
	ds_load_b128 v[122:125], v2 offset:912
	s_clause 0x2
	scratch_load_b128 v[126:129], off, off offset:496
	scratch_load_b128 v[130:133], off, off offset:320
	scratch_load_b128 v[138:141], off, off offset:528
	s_wait_loadcnt_dscnt 0xc00
	v_mul_f64_e32 v[4:5], v[124:125], v[10:11]
	v_mul_f64_e32 v[146:147], v[122:123], v[10:11]
	ds_load_b128 v[134:137], v2 offset:928
	scratch_load_b128 v[10:13], off, off offset:512
	ds_load_b128 v[142:145], v2 offset:960
	v_fma_f64 v[4:5], v[122:123], v[8:9], -v[4:5]
	v_fmac_f64_e32 v[146:147], v[124:125], v[8:9]
	ds_load_b128 v[122:125], v2 offset:944
	s_wait_loadcnt_dscnt 0xc02
	v_mul_f64_e32 v[148:149], v[134:135], v[88:89]
	v_mul_f64_e32 v[88:89], v[136:137], v[88:89]
	s_wait_loadcnt_dscnt 0xb00
	v_mul_f64_e32 v[8:9], v[122:123], v[92:93]
	v_mul_f64_e32 v[92:93], v[124:125], v[92:93]
	v_add_f64_e32 v[4:5], 0, v[4:5]
	v_fmac_f64_e32 v[148:149], v[136:137], v[86:87]
	v_fma_f64 v[134:135], v[134:135], v[86:87], -v[88:89]
	v_add_f64_e32 v[136:137], 0, v[146:147]
	scratch_load_b128 v[86:89], off, off offset:544
	v_fmac_f64_e32 v[8:9], v[124:125], v[90:91]
	v_fma_f64 v[150:151], v[122:123], v[90:91], -v[92:93]
	ds_load_b128 v[90:93], v2 offset:976
	s_wait_loadcnt 0xb
	v_mul_f64_e32 v[146:147], v[142:143], v[96:97]
	v_mul_f64_e32 v[96:97], v[144:145], v[96:97]
	scratch_load_b128 v[122:125], off, off offset:560
	v_add_f64_e32 v[4:5], v[4:5], v[134:135]
	v_add_f64_e32 v[148:149], v[136:137], v[148:149]
	ds_load_b128 v[134:137], v2 offset:992
	s_wait_loadcnt_dscnt 0xb01
	v_mul_f64_e32 v[152:153], v[90:91], v[100:101]
	v_mul_f64_e32 v[100:101], v[92:93], v[100:101]
	v_fmac_f64_e32 v[146:147], v[144:145], v[94:95]
	v_fma_f64 v[94:95], v[142:143], v[94:95], -v[96:97]
	s_wait_loadcnt_dscnt 0xa00
	v_mul_f64_e32 v[142:143], v[134:135], v[104:105]
	v_mul_f64_e32 v[104:105], v[136:137], v[104:105]
	v_add_f64_e32 v[4:5], v[4:5], v[150:151]
	v_add_f64_e32 v[8:9], v[148:149], v[8:9]
	v_fmac_f64_e32 v[152:153], v[92:93], v[98:99]
	v_fma_f64 v[98:99], v[90:91], v[98:99], -v[100:101]
	v_fmac_f64_e32 v[142:143], v[136:137], v[102:103]
	v_fma_f64 v[102:103], v[134:135], v[102:103], -v[104:105]
	v_add_f64_e32 v[4:5], v[4:5], v[94:95]
	v_add_f64_e32 v[8:9], v[8:9], v[146:147]
	ds_load_b128 v[90:93], v2 offset:1008
	ds_load_b128 v[94:97], v2 offset:1024
	s_wait_loadcnt_dscnt 0x901
	v_mul_f64_e32 v[144:145], v[90:91], v[108:109]
	v_mul_f64_e32 v[100:101], v[92:93], v[108:109]
	s_wait_loadcnt_dscnt 0x800
	v_mul_f64_e32 v[104:105], v[94:95], v[112:113]
	v_mul_f64_e32 v[108:109], v[96:97], v[112:113]
	v_add_f64_e32 v[4:5], v[4:5], v[98:99]
	v_add_f64_e32 v[8:9], v[8:9], v[152:153]
	v_fmac_f64_e32 v[144:145], v[92:93], v[106:107]
	v_fma_f64 v[106:107], v[90:91], v[106:107], -v[100:101]
	ds_load_b128 v[90:93], v2 offset:1040
	ds_load_b128 v[98:101], v2 offset:1056
	v_fmac_f64_e32 v[104:105], v[96:97], v[110:111]
	v_fma_f64 v[94:95], v[94:95], v[110:111], -v[108:109]
	v_add_f64_e32 v[4:5], v[4:5], v[102:103]
	v_add_f64_e32 v[8:9], v[8:9], v[142:143]
	s_wait_loadcnt_dscnt 0x701
	v_mul_f64_e32 v[102:103], v[90:91], v[116:117]
	v_mul_f64_e32 v[112:113], v[92:93], v[116:117]
	s_wait_loadcnt_dscnt 0x600
	v_mul_f64_e32 v[108:109], v[100:101], v[120:121]
	v_add_f64_e32 v[4:5], v[4:5], v[106:107]
	v_add_f64_e32 v[8:9], v[8:9], v[144:145]
	v_mul_f64_e32 v[106:107], v[98:99], v[120:121]
	v_fmac_f64_e32 v[102:103], v[92:93], v[114:115]
	v_fma_f64 v[110:111], v[90:91], v[114:115], -v[112:113]
	v_fma_f64 v[98:99], v[98:99], v[118:119], -v[108:109]
	v_add_f64_e32 v[4:5], v[4:5], v[94:95]
	v_add_f64_e32 v[8:9], v[8:9], v[104:105]
	ds_load_b128 v[90:93], v2 offset:1072
	ds_load_b128 v[94:97], v2 offset:1088
	v_fmac_f64_e32 v[106:107], v[100:101], v[118:119]
	s_wait_loadcnt_dscnt 0x501
	v_mul_f64_e32 v[104:105], v[90:91], v[128:129]
	v_mul_f64_e32 v[112:113], v[92:93], v[128:129]
	v_add_f64_e32 v[4:5], v[4:5], v[110:111]
	v_add_f64_e32 v[8:9], v[8:9], v[102:103]
	s_wait_loadcnt_dscnt 0x200
	v_mul_f64_e32 v[102:103], v[94:95], v[12:13]
	v_mul_f64_e32 v[12:13], v[96:97], v[12:13]
	v_fmac_f64_e32 v[104:105], v[92:93], v[126:127]
	v_fma_f64 v[108:109], v[90:91], v[126:127], -v[112:113]
	v_add_f64_e32 v[4:5], v[4:5], v[98:99]
	v_add_f64_e32 v[8:9], v[8:9], v[106:107]
	ds_load_b128 v[90:93], v2 offset:1104
	ds_load_b128 v[98:101], v2 offset:1120
	v_fmac_f64_e32 v[102:103], v[96:97], v[10:11]
	v_fma_f64 v[10:11], v[94:95], v[10:11], -v[12:13]
	s_wait_dscnt 0x1
	v_mul_f64_e32 v[106:107], v[90:91], v[140:141]
	v_mul_f64_e32 v[110:111], v[92:93], v[140:141]
	v_add_f64_e32 v[4:5], v[4:5], v[108:109]
	v_add_f64_e32 v[8:9], v[8:9], v[104:105]
	s_wait_loadcnt_dscnt 0x100
	v_mul_f64_e32 v[12:13], v[98:99], v[88:89]
	v_mul_f64_e32 v[88:89], v[100:101], v[88:89]
	v_fmac_f64_e32 v[106:107], v[92:93], v[138:139]
	v_fma_f64 v[90:91], v[90:91], v[138:139], -v[110:111]
	v_add_f64_e32 v[4:5], v[4:5], v[10:11]
	v_add_f64_e32 v[92:93], v[8:9], v[102:103]
	ds_load_b128 v[8:11], v2 offset:1136
	v_fmac_f64_e32 v[12:13], v[100:101], v[86:87]
	v_fma_f64 v[86:87], v[98:99], v[86:87], -v[88:89]
	s_wait_loadcnt_dscnt 0x0
	v_mul_f64_e32 v[94:95], v[8:9], v[124:125]
	v_mul_f64_e32 v[96:97], v[10:11], v[124:125]
	v_add_f64_e32 v[4:5], v[4:5], v[90:91]
	v_add_f64_e32 v[88:89], v[92:93], v[106:107]
	s_delay_alu instid0(VALU_DEP_4) | instskip(NEXT) | instid1(VALU_DEP_4)
	v_fmac_f64_e32 v[94:95], v[10:11], v[122:123]
	v_fma_f64 v[8:9], v[8:9], v[122:123], -v[96:97]
	s_delay_alu instid0(VALU_DEP_4) | instskip(NEXT) | instid1(VALU_DEP_4)
	v_add_f64_e32 v[4:5], v[4:5], v[86:87]
	v_add_f64_e32 v[10:11], v[88:89], v[12:13]
	s_delay_alu instid0(VALU_DEP_2) | instskip(NEXT) | instid1(VALU_DEP_2)
	v_add_f64_e32 v[4:5], v[4:5], v[8:9]
	v_add_f64_e32 v[10:11], v[10:11], v[94:95]
	s_delay_alu instid0(VALU_DEP_2) | instskip(NEXT) | instid1(VALU_DEP_2)
	v_add_f64_e64 v[8:9], v[130:131], -v[4:5]
	v_add_f64_e64 v[10:11], v[132:133], -v[10:11]
	scratch_store_b128 off, v[8:11], off offset:320
	s_wait_xcnt 0x0
	v_cmpx_lt_u32_e32 19, v1
	s_cbranch_execz .LBB35_191
; %bb.190:
	scratch_load_b128 v[8:11], off, s23
	v_dual_mov_b32 v3, v2 :: v_dual_mov_b32 v4, v2
	v_mov_b32_e32 v5, v2
	scratch_store_b128 off, v[2:5], off offset:304
	s_wait_loadcnt 0x0
	ds_store_b128 v6, v[8:11]
.LBB35_191:
	s_wait_xcnt 0x0
	s_or_b32 exec_lo, exec_lo, s2
	s_wait_storecnt_dscnt 0x0
	s_barrier_signal -1
	s_barrier_wait -1
	s_clause 0x9
	scratch_load_b128 v[8:11], off, off offset:320
	scratch_load_b128 v[86:89], off, off offset:336
	;; [unrolled: 1-line block ×10, first 2 shown]
	ds_load_b128 v[122:125], v2 offset:896
	ds_load_b128 v[130:133], v2 offset:912
	s_clause 0x1
	scratch_load_b128 v[126:129], off, off offset:480
	scratch_load_b128 v[134:137], off, off offset:304
	s_mov_b32 s2, exec_lo
	s_wait_loadcnt_dscnt 0xb01
	v_mul_f64_e32 v[4:5], v[124:125], v[10:11]
	v_mul_f64_e32 v[146:147], v[122:123], v[10:11]
	scratch_load_b128 v[10:13], off, off offset:496
	s_wait_loadcnt_dscnt 0xb00
	v_mul_f64_e32 v[148:149], v[130:131], v[88:89]
	v_mul_f64_e32 v[88:89], v[132:133], v[88:89]
	v_fma_f64 v[4:5], v[122:123], v[8:9], -v[4:5]
	v_fmac_f64_e32 v[146:147], v[124:125], v[8:9]
	ds_load_b128 v[122:125], v2 offset:928
	ds_load_b128 v[138:141], v2 offset:944
	scratch_load_b128 v[142:145], off, off offset:512
	v_fmac_f64_e32 v[148:149], v[132:133], v[86:87]
	v_fma_f64 v[130:131], v[130:131], v[86:87], -v[88:89]
	scratch_load_b128 v[86:89], off, off offset:528
	s_wait_loadcnt_dscnt 0xc01
	v_mul_f64_e32 v[8:9], v[122:123], v[92:93]
	v_mul_f64_e32 v[92:93], v[124:125], v[92:93]
	v_add_f64_e32 v[4:5], 0, v[4:5]
	v_add_f64_e32 v[132:133], 0, v[146:147]
	s_wait_loadcnt_dscnt 0xb00
	v_mul_f64_e32 v[146:147], v[138:139], v[96:97]
	v_mul_f64_e32 v[96:97], v[140:141], v[96:97]
	v_fmac_f64_e32 v[8:9], v[124:125], v[90:91]
	v_fma_f64 v[150:151], v[122:123], v[90:91], -v[92:93]
	ds_load_b128 v[90:93], v2 offset:960
	ds_load_b128 v[122:125], v2 offset:976
	v_add_f64_e32 v[4:5], v[4:5], v[130:131]
	v_add_f64_e32 v[148:149], v[132:133], v[148:149]
	scratch_load_b128 v[130:133], off, off offset:544
	v_fmac_f64_e32 v[146:147], v[140:141], v[94:95]
	v_fma_f64 v[138:139], v[138:139], v[94:95], -v[96:97]
	scratch_load_b128 v[94:97], off, off offset:560
	s_wait_loadcnt_dscnt 0xc01
	v_mul_f64_e32 v[152:153], v[90:91], v[100:101]
	v_mul_f64_e32 v[100:101], v[92:93], v[100:101]
	s_wait_loadcnt_dscnt 0xb00
	v_mul_f64_e32 v[140:141], v[122:123], v[104:105]
	v_mul_f64_e32 v[104:105], v[124:125], v[104:105]
	v_add_f64_e32 v[4:5], v[4:5], v[150:151]
	v_add_f64_e32 v[8:9], v[148:149], v[8:9]
	v_fmac_f64_e32 v[152:153], v[92:93], v[98:99]
	v_fma_f64 v[148:149], v[90:91], v[98:99], -v[100:101]
	ds_load_b128 v[90:93], v2 offset:992
	ds_load_b128 v[98:101], v2 offset:1008
	v_fmac_f64_e32 v[140:141], v[124:125], v[102:103]
	v_fma_f64 v[102:103], v[122:123], v[102:103], -v[104:105]
	s_wait_loadcnt_dscnt 0x900
	v_mul_f64_e32 v[122:123], v[98:99], v[112:113]
	v_add_f64_e32 v[4:5], v[4:5], v[138:139]
	v_add_f64_e32 v[8:9], v[8:9], v[146:147]
	v_mul_f64_e32 v[138:139], v[90:91], v[108:109]
	v_mul_f64_e32 v[108:109], v[92:93], v[108:109]
	;; [unrolled: 1-line block ×3, first 2 shown]
	v_fmac_f64_e32 v[122:123], v[100:101], v[110:111]
	v_add_f64_e32 v[4:5], v[4:5], v[148:149]
	v_add_f64_e32 v[8:9], v[8:9], v[152:153]
	v_fmac_f64_e32 v[138:139], v[92:93], v[106:107]
	v_fma_f64 v[106:107], v[90:91], v[106:107], -v[108:109]
	v_fma_f64 v[98:99], v[98:99], v[110:111], -v[112:113]
	v_add_f64_e32 v[4:5], v[4:5], v[102:103]
	v_add_f64_e32 v[8:9], v[8:9], v[140:141]
	ds_load_b128 v[90:93], v2 offset:1024
	ds_load_b128 v[102:105], v2 offset:1040
	s_wait_loadcnt_dscnt 0x801
	v_mul_f64_e32 v[108:109], v[90:91], v[116:117]
	v_mul_f64_e32 v[116:117], v[92:93], v[116:117]
	s_wait_loadcnt_dscnt 0x700
	v_mul_f64_e32 v[110:111], v[104:105], v[120:121]
	v_add_f64_e32 v[4:5], v[4:5], v[106:107]
	v_add_f64_e32 v[8:9], v[8:9], v[138:139]
	v_mul_f64_e32 v[106:107], v[102:103], v[120:121]
	v_fmac_f64_e32 v[108:109], v[92:93], v[114:115]
	v_fma_f64 v[112:113], v[90:91], v[114:115], -v[116:117]
	v_fma_f64 v[102:103], v[102:103], v[118:119], -v[110:111]
	v_add_f64_e32 v[4:5], v[4:5], v[98:99]
	v_add_f64_e32 v[8:9], v[8:9], v[122:123]
	ds_load_b128 v[90:93], v2 offset:1056
	ds_load_b128 v[98:101], v2 offset:1072
	v_fmac_f64_e32 v[106:107], v[104:105], v[118:119]
	s_wait_loadcnt_dscnt 0x601
	v_mul_f64_e32 v[114:115], v[90:91], v[128:129]
	v_mul_f64_e32 v[116:117], v[92:93], v[128:129]
	v_add_f64_e32 v[4:5], v[4:5], v[112:113]
	v_add_f64_e32 v[8:9], v[8:9], v[108:109]
	s_wait_loadcnt_dscnt 0x400
	v_mul_f64_e32 v[108:109], v[98:99], v[12:13]
	v_mul_f64_e32 v[12:13], v[100:101], v[12:13]
	v_fmac_f64_e32 v[114:115], v[92:93], v[126:127]
	v_fma_f64 v[110:111], v[90:91], v[126:127], -v[116:117]
	v_add_f64_e32 v[4:5], v[4:5], v[102:103]
	v_add_f64_e32 v[8:9], v[8:9], v[106:107]
	ds_load_b128 v[90:93], v2 offset:1088
	ds_load_b128 v[102:105], v2 offset:1104
	v_fmac_f64_e32 v[108:109], v[100:101], v[10:11]
	v_fma_f64 v[10:11], v[98:99], v[10:11], -v[12:13]
	s_wait_loadcnt_dscnt 0x301
	v_mul_f64_e32 v[106:107], v[90:91], v[144:145]
	v_mul_f64_e32 v[112:113], v[92:93], v[144:145]
	s_wait_loadcnt_dscnt 0x200
	v_mul_f64_e32 v[12:13], v[102:103], v[88:89]
	v_mul_f64_e32 v[88:89], v[104:105], v[88:89]
	v_add_f64_e32 v[4:5], v[4:5], v[110:111]
	v_add_f64_e32 v[8:9], v[8:9], v[114:115]
	v_fmac_f64_e32 v[106:107], v[92:93], v[142:143]
	v_fma_f64 v[90:91], v[90:91], v[142:143], -v[112:113]
	v_fmac_f64_e32 v[12:13], v[104:105], v[86:87]
	v_fma_f64 v[86:87], v[102:103], v[86:87], -v[88:89]
	v_add_f64_e32 v[92:93], v[4:5], v[10:11]
	v_add_f64_e32 v[98:99], v[8:9], v[108:109]
	ds_load_b128 v[8:11], v2 offset:1120
	ds_load_b128 v[2:5], v2 offset:1136
	s_wait_loadcnt_dscnt 0x101
	v_mul_f64_e32 v[100:101], v[8:9], v[132:133]
	v_mul_f64_e32 v[108:109], v[10:11], v[132:133]
	v_add_f64_e32 v[88:89], v[92:93], v[90:91]
	v_add_f64_e32 v[90:91], v[98:99], v[106:107]
	s_wait_loadcnt_dscnt 0x0
	v_mul_f64_e32 v[92:93], v[2:3], v[96:97]
	v_mul_f64_e32 v[96:97], v[4:5], v[96:97]
	v_fmac_f64_e32 v[100:101], v[10:11], v[130:131]
	v_fma_f64 v[8:9], v[8:9], v[130:131], -v[108:109]
	v_add_f64_e32 v[10:11], v[88:89], v[86:87]
	v_add_f64_e32 v[12:13], v[90:91], v[12:13]
	v_fmac_f64_e32 v[92:93], v[4:5], v[94:95]
	v_fma_f64 v[2:3], v[2:3], v[94:95], -v[96:97]
	s_delay_alu instid0(VALU_DEP_4) | instskip(NEXT) | instid1(VALU_DEP_4)
	v_add_f64_e32 v[4:5], v[10:11], v[8:9]
	v_add_f64_e32 v[8:9], v[12:13], v[100:101]
	s_delay_alu instid0(VALU_DEP_2) | instskip(NEXT) | instid1(VALU_DEP_2)
	v_add_f64_e32 v[2:3], v[4:5], v[2:3]
	v_add_f64_e32 v[4:5], v[8:9], v[92:93]
	s_delay_alu instid0(VALU_DEP_2) | instskip(NEXT) | instid1(VALU_DEP_2)
	v_add_f64_e64 v[2:3], v[134:135], -v[2:3]
	v_add_f64_e64 v[4:5], v[136:137], -v[4:5]
	scratch_store_b128 off, v[2:5], off offset:304
	s_wait_xcnt 0x0
	v_cmpx_lt_u32_e32 18, v1
	s_cbranch_execz .LBB35_193
; %bb.192:
	scratch_load_b128 v[2:5], off, s30
	v_mov_b32_e32 v8, 0
	s_delay_alu instid0(VALU_DEP_1)
	v_dual_mov_b32 v9, v8 :: v_dual_mov_b32 v10, v8
	v_mov_b32_e32 v11, v8
	scratch_store_b128 off, v[8:11], off offset:288
	s_wait_loadcnt 0x0
	ds_store_b128 v6, v[2:5]
.LBB35_193:
	s_wait_xcnt 0x0
	s_or_b32 exec_lo, exec_lo, s2
	s_wait_storecnt_dscnt 0x0
	s_barrier_signal -1
	s_barrier_wait -1
	s_clause 0x9
	scratch_load_b128 v[8:11], off, off offset:304
	scratch_load_b128 v[86:89], off, off offset:320
	;; [unrolled: 1-line block ×10, first 2 shown]
	v_mov_b32_e32 v2, 0
	s_mov_b32 s2, exec_lo
	ds_load_b128 v[122:125], v2 offset:880
	s_clause 0x2
	scratch_load_b128 v[126:129], off, off offset:464
	scratch_load_b128 v[130:133], off, off offset:288
	;; [unrolled: 1-line block ×3, first 2 shown]
	s_wait_loadcnt_dscnt 0xc00
	v_mul_f64_e32 v[4:5], v[124:125], v[10:11]
	v_mul_f64_e32 v[146:147], v[122:123], v[10:11]
	ds_load_b128 v[134:137], v2 offset:896
	scratch_load_b128 v[10:13], off, off offset:480
	ds_load_b128 v[142:145], v2 offset:928
	v_fma_f64 v[4:5], v[122:123], v[8:9], -v[4:5]
	v_fmac_f64_e32 v[146:147], v[124:125], v[8:9]
	ds_load_b128 v[122:125], v2 offset:912
	s_wait_loadcnt_dscnt 0xc02
	v_mul_f64_e32 v[148:149], v[134:135], v[88:89]
	v_mul_f64_e32 v[88:89], v[136:137], v[88:89]
	s_wait_loadcnt_dscnt 0xb00
	v_mul_f64_e32 v[8:9], v[122:123], v[92:93]
	v_mul_f64_e32 v[92:93], v[124:125], v[92:93]
	v_add_f64_e32 v[4:5], 0, v[4:5]
	v_fmac_f64_e32 v[148:149], v[136:137], v[86:87]
	v_fma_f64 v[134:135], v[134:135], v[86:87], -v[88:89]
	v_add_f64_e32 v[136:137], 0, v[146:147]
	scratch_load_b128 v[86:89], off, off offset:512
	v_fmac_f64_e32 v[8:9], v[124:125], v[90:91]
	v_fma_f64 v[150:151], v[122:123], v[90:91], -v[92:93]
	ds_load_b128 v[90:93], v2 offset:944
	s_wait_loadcnt 0xb
	v_mul_f64_e32 v[146:147], v[142:143], v[96:97]
	v_mul_f64_e32 v[96:97], v[144:145], v[96:97]
	scratch_load_b128 v[122:125], off, off offset:528
	v_add_f64_e32 v[4:5], v[4:5], v[134:135]
	v_add_f64_e32 v[148:149], v[136:137], v[148:149]
	ds_load_b128 v[134:137], v2 offset:960
	s_wait_loadcnt_dscnt 0xb01
	v_mul_f64_e32 v[152:153], v[90:91], v[100:101]
	v_mul_f64_e32 v[100:101], v[92:93], v[100:101]
	v_fmac_f64_e32 v[146:147], v[144:145], v[94:95]
	v_fma_f64 v[142:143], v[142:143], v[94:95], -v[96:97]
	scratch_load_b128 v[94:97], off, off offset:544
	v_add_f64_e32 v[4:5], v[4:5], v[150:151]
	v_add_f64_e32 v[8:9], v[148:149], v[8:9]
	v_fmac_f64_e32 v[152:153], v[92:93], v[98:99]
	v_fma_f64 v[150:151], v[90:91], v[98:99], -v[100:101]
	ds_load_b128 v[90:93], v2 offset:976
	s_wait_loadcnt_dscnt 0xb01
	v_mul_f64_e32 v[148:149], v[134:135], v[104:105]
	v_mul_f64_e32 v[104:105], v[136:137], v[104:105]
	scratch_load_b128 v[98:101], off, off offset:560
	v_add_f64_e32 v[4:5], v[4:5], v[142:143]
	v_add_f64_e32 v[8:9], v[8:9], v[146:147]
	s_wait_loadcnt_dscnt 0xb00
	v_mul_f64_e32 v[146:147], v[90:91], v[108:109]
	v_mul_f64_e32 v[108:109], v[92:93], v[108:109]
	ds_load_b128 v[142:145], v2 offset:992
	v_fmac_f64_e32 v[148:149], v[136:137], v[102:103]
	v_fma_f64 v[102:103], v[134:135], v[102:103], -v[104:105]
	s_wait_loadcnt_dscnt 0xa00
	v_mul_f64_e32 v[134:135], v[142:143], v[112:113]
	v_mul_f64_e32 v[112:113], v[144:145], v[112:113]
	v_add_f64_e32 v[4:5], v[4:5], v[150:151]
	v_add_f64_e32 v[8:9], v[8:9], v[152:153]
	v_fmac_f64_e32 v[146:147], v[92:93], v[106:107]
	v_fma_f64 v[106:107], v[90:91], v[106:107], -v[108:109]
	v_fmac_f64_e32 v[134:135], v[144:145], v[110:111]
	v_fma_f64 v[110:111], v[142:143], v[110:111], -v[112:113]
	v_add_f64_e32 v[4:5], v[4:5], v[102:103]
	v_add_f64_e32 v[8:9], v[8:9], v[148:149]
	ds_load_b128 v[90:93], v2 offset:1008
	ds_load_b128 v[102:105], v2 offset:1024
	s_wait_loadcnt_dscnt 0x901
	v_mul_f64_e32 v[136:137], v[90:91], v[116:117]
	v_mul_f64_e32 v[108:109], v[92:93], v[116:117]
	s_wait_loadcnt_dscnt 0x800
	v_mul_f64_e32 v[112:113], v[102:103], v[120:121]
	v_mul_f64_e32 v[116:117], v[104:105], v[120:121]
	v_add_f64_e32 v[4:5], v[4:5], v[106:107]
	v_add_f64_e32 v[8:9], v[8:9], v[146:147]
	v_fmac_f64_e32 v[136:137], v[92:93], v[114:115]
	v_fma_f64 v[114:115], v[90:91], v[114:115], -v[108:109]
	ds_load_b128 v[90:93], v2 offset:1040
	ds_load_b128 v[106:109], v2 offset:1056
	v_fmac_f64_e32 v[112:113], v[104:105], v[118:119]
	v_fma_f64 v[102:103], v[102:103], v[118:119], -v[116:117]
	v_add_f64_e32 v[4:5], v[4:5], v[110:111]
	v_add_f64_e32 v[8:9], v[8:9], v[134:135]
	s_wait_loadcnt_dscnt 0x701
	v_mul_f64_e32 v[110:111], v[90:91], v[128:129]
	v_mul_f64_e32 v[120:121], v[92:93], v[128:129]
	s_delay_alu instid0(VALU_DEP_4) | instskip(NEXT) | instid1(VALU_DEP_4)
	v_add_f64_e32 v[4:5], v[4:5], v[114:115]
	v_add_f64_e32 v[8:9], v[8:9], v[136:137]
	s_wait_loadcnt_dscnt 0x400
	v_mul_f64_e32 v[114:115], v[106:107], v[12:13]
	v_mul_f64_e32 v[12:13], v[108:109], v[12:13]
	v_fmac_f64_e32 v[110:111], v[92:93], v[126:127]
	v_fma_f64 v[116:117], v[90:91], v[126:127], -v[120:121]
	v_add_f64_e32 v[4:5], v[4:5], v[102:103]
	v_add_f64_e32 v[8:9], v[8:9], v[112:113]
	ds_load_b128 v[90:93], v2 offset:1072
	ds_load_b128 v[102:105], v2 offset:1088
	v_fmac_f64_e32 v[114:115], v[108:109], v[10:11]
	v_fma_f64 v[10:11], v[106:107], v[10:11], -v[12:13]
	s_wait_dscnt 0x1
	v_mul_f64_e32 v[112:113], v[90:91], v[140:141]
	v_mul_f64_e32 v[118:119], v[92:93], v[140:141]
	v_add_f64_e32 v[4:5], v[4:5], v[116:117]
	v_add_f64_e32 v[8:9], v[8:9], v[110:111]
	s_wait_loadcnt_dscnt 0x300
	v_mul_f64_e32 v[12:13], v[102:103], v[88:89]
	v_mul_f64_e32 v[106:107], v[104:105], v[88:89]
	v_fmac_f64_e32 v[112:113], v[92:93], v[138:139]
	v_fma_f64 v[92:93], v[90:91], v[138:139], -v[118:119]
	v_add_f64_e32 v[4:5], v[4:5], v[10:11]
	v_add_f64_e32 v[108:109], v[8:9], v[114:115]
	ds_load_b128 v[8:11], v2 offset:1104
	ds_load_b128 v[88:91], v2 offset:1120
	v_fmac_f64_e32 v[12:13], v[104:105], v[86:87]
	v_fma_f64 v[86:87], v[102:103], v[86:87], -v[106:107]
	s_wait_loadcnt_dscnt 0x201
	v_mul_f64_e32 v[110:111], v[8:9], v[124:125]
	v_mul_f64_e32 v[114:115], v[10:11], v[124:125]
	s_wait_loadcnt_dscnt 0x100
	v_mul_f64_e32 v[102:103], v[88:89], v[96:97]
	v_mul_f64_e32 v[96:97], v[90:91], v[96:97]
	v_add_f64_e32 v[4:5], v[4:5], v[92:93]
	v_add_f64_e32 v[92:93], v[108:109], v[112:113]
	v_fmac_f64_e32 v[110:111], v[10:11], v[122:123]
	v_fma_f64 v[104:105], v[8:9], v[122:123], -v[114:115]
	ds_load_b128 v[8:11], v2 offset:1136
	v_fmac_f64_e32 v[102:103], v[90:91], v[94:95]
	v_fma_f64 v[88:89], v[88:89], v[94:95], -v[96:97]
	v_add_f64_e32 v[4:5], v[4:5], v[86:87]
	v_add_f64_e32 v[12:13], v[92:93], v[12:13]
	s_wait_loadcnt_dscnt 0x0
	v_mul_f64_e32 v[86:87], v[8:9], v[100:101]
	v_mul_f64_e32 v[92:93], v[10:11], v[100:101]
	s_delay_alu instid0(VALU_DEP_4) | instskip(NEXT) | instid1(VALU_DEP_4)
	v_add_f64_e32 v[4:5], v[4:5], v[104:105]
	v_add_f64_e32 v[12:13], v[12:13], v[110:111]
	s_delay_alu instid0(VALU_DEP_4) | instskip(NEXT) | instid1(VALU_DEP_4)
	v_fmac_f64_e32 v[86:87], v[10:11], v[98:99]
	v_fma_f64 v[8:9], v[8:9], v[98:99], -v[92:93]
	s_delay_alu instid0(VALU_DEP_4) | instskip(NEXT) | instid1(VALU_DEP_4)
	v_add_f64_e32 v[4:5], v[4:5], v[88:89]
	v_add_f64_e32 v[10:11], v[12:13], v[102:103]
	s_delay_alu instid0(VALU_DEP_2) | instskip(NEXT) | instid1(VALU_DEP_2)
	v_add_f64_e32 v[4:5], v[4:5], v[8:9]
	v_add_f64_e32 v[10:11], v[10:11], v[86:87]
	s_delay_alu instid0(VALU_DEP_2) | instskip(NEXT) | instid1(VALU_DEP_2)
	v_add_f64_e64 v[8:9], v[130:131], -v[4:5]
	v_add_f64_e64 v[10:11], v[132:133], -v[10:11]
	scratch_store_b128 off, v[8:11], off offset:288
	s_wait_xcnt 0x0
	v_cmpx_lt_u32_e32 17, v1
	s_cbranch_execz .LBB35_195
; %bb.194:
	scratch_load_b128 v[8:11], off, s29
	v_dual_mov_b32 v3, v2 :: v_dual_mov_b32 v4, v2
	v_mov_b32_e32 v5, v2
	scratch_store_b128 off, v[2:5], off offset:272
	s_wait_loadcnt 0x0
	ds_store_b128 v6, v[8:11]
.LBB35_195:
	s_wait_xcnt 0x0
	s_or_b32 exec_lo, exec_lo, s2
	s_wait_storecnt_dscnt 0x0
	s_barrier_signal -1
	s_barrier_wait -1
	s_clause 0x9
	scratch_load_b128 v[8:11], off, off offset:288
	scratch_load_b128 v[86:89], off, off offset:304
	;; [unrolled: 1-line block ×10, first 2 shown]
	ds_load_b128 v[122:125], v2 offset:864
	ds_load_b128 v[130:133], v2 offset:880
	s_clause 0x1
	scratch_load_b128 v[126:129], off, off offset:448
	scratch_load_b128 v[134:137], off, off offset:272
	s_mov_b32 s2, exec_lo
	s_wait_loadcnt_dscnt 0xb01
	v_mul_f64_e32 v[4:5], v[124:125], v[10:11]
	v_mul_f64_e32 v[146:147], v[122:123], v[10:11]
	scratch_load_b128 v[10:13], off, off offset:464
	s_wait_loadcnt_dscnt 0xb00
	v_mul_f64_e32 v[148:149], v[130:131], v[88:89]
	v_mul_f64_e32 v[88:89], v[132:133], v[88:89]
	v_fma_f64 v[4:5], v[122:123], v[8:9], -v[4:5]
	v_fmac_f64_e32 v[146:147], v[124:125], v[8:9]
	ds_load_b128 v[122:125], v2 offset:896
	ds_load_b128 v[138:141], v2 offset:912
	scratch_load_b128 v[142:145], off, off offset:480
	v_fmac_f64_e32 v[148:149], v[132:133], v[86:87]
	v_fma_f64 v[130:131], v[130:131], v[86:87], -v[88:89]
	scratch_load_b128 v[86:89], off, off offset:496
	s_wait_loadcnt_dscnt 0xc01
	v_mul_f64_e32 v[8:9], v[122:123], v[92:93]
	v_mul_f64_e32 v[92:93], v[124:125], v[92:93]
	v_add_f64_e32 v[4:5], 0, v[4:5]
	v_add_f64_e32 v[132:133], 0, v[146:147]
	s_wait_loadcnt_dscnt 0xb00
	v_mul_f64_e32 v[146:147], v[138:139], v[96:97]
	v_mul_f64_e32 v[96:97], v[140:141], v[96:97]
	v_fmac_f64_e32 v[8:9], v[124:125], v[90:91]
	v_fma_f64 v[150:151], v[122:123], v[90:91], -v[92:93]
	ds_load_b128 v[90:93], v2 offset:928
	ds_load_b128 v[122:125], v2 offset:944
	v_add_f64_e32 v[4:5], v[4:5], v[130:131]
	v_add_f64_e32 v[148:149], v[132:133], v[148:149]
	scratch_load_b128 v[130:133], off, off offset:512
	v_fmac_f64_e32 v[146:147], v[140:141], v[94:95]
	v_fma_f64 v[138:139], v[138:139], v[94:95], -v[96:97]
	scratch_load_b128 v[94:97], off, off offset:528
	s_wait_loadcnt_dscnt 0xc01
	v_mul_f64_e32 v[152:153], v[90:91], v[100:101]
	v_mul_f64_e32 v[100:101], v[92:93], v[100:101]
	v_add_f64_e32 v[4:5], v[4:5], v[150:151]
	v_add_f64_e32 v[8:9], v[148:149], v[8:9]
	s_wait_loadcnt_dscnt 0xb00
	v_mul_f64_e32 v[148:149], v[122:123], v[104:105]
	v_mul_f64_e32 v[104:105], v[124:125], v[104:105]
	v_fmac_f64_e32 v[152:153], v[92:93], v[98:99]
	v_fma_f64 v[150:151], v[90:91], v[98:99], -v[100:101]
	ds_load_b128 v[90:93], v2 offset:960
	ds_load_b128 v[98:101], v2 offset:976
	v_add_f64_e32 v[4:5], v[4:5], v[138:139]
	v_add_f64_e32 v[8:9], v[8:9], v[146:147]
	scratch_load_b128 v[138:141], off, off offset:544
	s_wait_loadcnt_dscnt 0xb01
	v_mul_f64_e32 v[146:147], v[90:91], v[108:109]
	v_mul_f64_e32 v[108:109], v[92:93], v[108:109]
	v_fmac_f64_e32 v[148:149], v[124:125], v[102:103]
	v_fma_f64 v[122:123], v[122:123], v[102:103], -v[104:105]
	scratch_load_b128 v[102:105], off, off offset:560
	s_wait_loadcnt_dscnt 0xb00
	v_mul_f64_e32 v[124:125], v[98:99], v[112:113]
	v_mul_f64_e32 v[112:113], v[100:101], v[112:113]
	v_add_f64_e32 v[4:5], v[4:5], v[150:151]
	v_add_f64_e32 v[8:9], v[8:9], v[152:153]
	v_fmac_f64_e32 v[146:147], v[92:93], v[106:107]
	v_fma_f64 v[150:151], v[90:91], v[106:107], -v[108:109]
	ds_load_b128 v[90:93], v2 offset:992
	ds_load_b128 v[106:109], v2 offset:1008
	v_fmac_f64_e32 v[124:125], v[100:101], v[110:111]
	v_fma_f64 v[98:99], v[98:99], v[110:111], -v[112:113]
	s_wait_loadcnt_dscnt 0x900
	v_mul_f64_e32 v[110:111], v[106:107], v[120:121]
	v_mul_f64_e32 v[112:113], v[108:109], v[120:121]
	v_add_f64_e32 v[4:5], v[4:5], v[122:123]
	v_add_f64_e32 v[8:9], v[8:9], v[148:149]
	v_mul_f64_e32 v[122:123], v[90:91], v[116:117]
	v_mul_f64_e32 v[116:117], v[92:93], v[116:117]
	v_fmac_f64_e32 v[110:111], v[108:109], v[118:119]
	v_fma_f64 v[106:107], v[106:107], v[118:119], -v[112:113]
	v_add_f64_e32 v[4:5], v[4:5], v[150:151]
	v_add_f64_e32 v[8:9], v[8:9], v[146:147]
	v_fmac_f64_e32 v[122:123], v[92:93], v[114:115]
	v_fma_f64 v[114:115], v[90:91], v[114:115], -v[116:117]
	s_delay_alu instid0(VALU_DEP_4) | instskip(NEXT) | instid1(VALU_DEP_4)
	v_add_f64_e32 v[4:5], v[4:5], v[98:99]
	v_add_f64_e32 v[8:9], v[8:9], v[124:125]
	ds_load_b128 v[90:93], v2 offset:1024
	ds_load_b128 v[98:101], v2 offset:1040
	s_wait_loadcnt_dscnt 0x801
	v_mul_f64_e32 v[116:117], v[90:91], v[128:129]
	v_mul_f64_e32 v[120:121], v[92:93], v[128:129]
	v_add_f64_e32 v[4:5], v[4:5], v[114:115]
	v_add_f64_e32 v[8:9], v[8:9], v[122:123]
	s_wait_loadcnt_dscnt 0x600
	v_mul_f64_e32 v[112:113], v[98:99], v[12:13]
	v_mul_f64_e32 v[12:13], v[100:101], v[12:13]
	v_fmac_f64_e32 v[116:117], v[92:93], v[126:127]
	v_fma_f64 v[114:115], v[90:91], v[126:127], -v[120:121]
	v_add_f64_e32 v[4:5], v[4:5], v[106:107]
	v_add_f64_e32 v[8:9], v[8:9], v[110:111]
	ds_load_b128 v[90:93], v2 offset:1056
	ds_load_b128 v[106:109], v2 offset:1072
	v_fmac_f64_e32 v[112:113], v[100:101], v[10:11]
	v_fma_f64 v[10:11], v[98:99], v[10:11], -v[12:13]
	s_wait_loadcnt_dscnt 0x501
	v_mul_f64_e32 v[110:111], v[90:91], v[144:145]
	v_mul_f64_e32 v[118:119], v[92:93], v[144:145]
	s_wait_loadcnt_dscnt 0x400
	v_mul_f64_e32 v[12:13], v[106:107], v[88:89]
	v_mul_f64_e32 v[98:99], v[108:109], v[88:89]
	v_add_f64_e32 v[4:5], v[4:5], v[114:115]
	v_add_f64_e32 v[8:9], v[8:9], v[116:117]
	v_fmac_f64_e32 v[110:111], v[92:93], v[142:143]
	v_fma_f64 v[92:93], v[90:91], v[142:143], -v[118:119]
	v_fmac_f64_e32 v[12:13], v[108:109], v[86:87]
	v_fma_f64 v[86:87], v[106:107], v[86:87], -v[98:99]
	v_add_f64_e32 v[4:5], v[4:5], v[10:11]
	v_add_f64_e32 v[100:101], v[8:9], v[112:113]
	ds_load_b128 v[8:11], v2 offset:1088
	ds_load_b128 v[88:91], v2 offset:1104
	s_wait_loadcnt_dscnt 0x301
	v_mul_f64_e32 v[112:113], v[8:9], v[132:133]
	v_mul_f64_e32 v[114:115], v[10:11], v[132:133]
	s_wait_loadcnt_dscnt 0x200
	v_mul_f64_e32 v[98:99], v[88:89], v[96:97]
	v_mul_f64_e32 v[96:97], v[90:91], v[96:97]
	v_add_f64_e32 v[4:5], v[4:5], v[92:93]
	v_add_f64_e32 v[92:93], v[100:101], v[110:111]
	v_fmac_f64_e32 v[112:113], v[10:11], v[130:131]
	v_fma_f64 v[100:101], v[8:9], v[130:131], -v[114:115]
	v_fmac_f64_e32 v[98:99], v[90:91], v[94:95]
	v_fma_f64 v[88:89], v[88:89], v[94:95], -v[96:97]
	v_add_f64_e32 v[86:87], v[4:5], v[86:87]
	v_add_f64_e32 v[12:13], v[92:93], v[12:13]
	ds_load_b128 v[8:11], v2 offset:1120
	ds_load_b128 v[2:5], v2 offset:1136
	s_wait_loadcnt_dscnt 0x101
	v_mul_f64_e32 v[92:93], v[8:9], v[140:141]
	v_mul_f64_e32 v[106:107], v[10:11], v[140:141]
	s_wait_loadcnt_dscnt 0x0
	v_mul_f64_e32 v[90:91], v[2:3], v[104:105]
	v_mul_f64_e32 v[94:95], v[4:5], v[104:105]
	v_add_f64_e32 v[86:87], v[86:87], v[100:101]
	v_add_f64_e32 v[12:13], v[12:13], v[112:113]
	v_fmac_f64_e32 v[92:93], v[10:11], v[138:139]
	v_fma_f64 v[8:9], v[8:9], v[138:139], -v[106:107]
	v_fmac_f64_e32 v[90:91], v[4:5], v[102:103]
	v_fma_f64 v[2:3], v[2:3], v[102:103], -v[94:95]
	v_add_f64_e32 v[10:11], v[86:87], v[88:89]
	v_add_f64_e32 v[12:13], v[12:13], v[98:99]
	s_delay_alu instid0(VALU_DEP_2) | instskip(NEXT) | instid1(VALU_DEP_2)
	v_add_f64_e32 v[4:5], v[10:11], v[8:9]
	v_add_f64_e32 v[8:9], v[12:13], v[92:93]
	s_delay_alu instid0(VALU_DEP_2) | instskip(NEXT) | instid1(VALU_DEP_2)
	;; [unrolled: 3-line block ×3, first 2 shown]
	v_add_f64_e64 v[2:3], v[134:135], -v[2:3]
	v_add_f64_e64 v[4:5], v[136:137], -v[4:5]
	scratch_store_b128 off, v[2:5], off offset:272
	s_wait_xcnt 0x0
	v_cmpx_lt_u32_e32 16, v1
	s_cbranch_execz .LBB35_197
; %bb.196:
	scratch_load_b128 v[2:5], off, s27
	v_mov_b32_e32 v8, 0
	s_delay_alu instid0(VALU_DEP_1)
	v_dual_mov_b32 v9, v8 :: v_dual_mov_b32 v10, v8
	v_mov_b32_e32 v11, v8
	scratch_store_b128 off, v[8:11], off offset:256
	s_wait_loadcnt 0x0
	ds_store_b128 v6, v[2:5]
.LBB35_197:
	s_wait_xcnt 0x0
	s_or_b32 exec_lo, exec_lo, s2
	s_wait_storecnt_dscnt 0x0
	s_barrier_signal -1
	s_barrier_wait -1
	s_clause 0x9
	scratch_load_b128 v[8:11], off, off offset:272
	scratch_load_b128 v[86:89], off, off offset:288
	;; [unrolled: 1-line block ×10, first 2 shown]
	v_mov_b32_e32 v2, 0
	s_mov_b32 s2, exec_lo
	ds_load_b128 v[122:125], v2 offset:848
	s_clause 0x2
	scratch_load_b128 v[126:129], off, off offset:432
	scratch_load_b128 v[130:133], off, off offset:256
	;; [unrolled: 1-line block ×3, first 2 shown]
	s_wait_loadcnt_dscnt 0xc00
	v_mul_f64_e32 v[4:5], v[124:125], v[10:11]
	v_mul_f64_e32 v[146:147], v[122:123], v[10:11]
	ds_load_b128 v[134:137], v2 offset:864
	scratch_load_b128 v[10:13], off, off offset:448
	ds_load_b128 v[142:145], v2 offset:896
	v_fma_f64 v[4:5], v[122:123], v[8:9], -v[4:5]
	v_fmac_f64_e32 v[146:147], v[124:125], v[8:9]
	ds_load_b128 v[122:125], v2 offset:880
	s_wait_loadcnt_dscnt 0xc02
	v_mul_f64_e32 v[148:149], v[134:135], v[88:89]
	v_mul_f64_e32 v[88:89], v[136:137], v[88:89]
	s_wait_loadcnt_dscnt 0xb00
	v_mul_f64_e32 v[8:9], v[122:123], v[92:93]
	v_mul_f64_e32 v[92:93], v[124:125], v[92:93]
	v_add_f64_e32 v[4:5], 0, v[4:5]
	v_fmac_f64_e32 v[148:149], v[136:137], v[86:87]
	v_fma_f64 v[134:135], v[134:135], v[86:87], -v[88:89]
	v_add_f64_e32 v[136:137], 0, v[146:147]
	scratch_load_b128 v[86:89], off, off offset:480
	v_fmac_f64_e32 v[8:9], v[124:125], v[90:91]
	v_fma_f64 v[150:151], v[122:123], v[90:91], -v[92:93]
	ds_load_b128 v[90:93], v2 offset:912
	s_wait_loadcnt 0xb
	v_mul_f64_e32 v[146:147], v[142:143], v[96:97]
	v_mul_f64_e32 v[96:97], v[144:145], v[96:97]
	scratch_load_b128 v[122:125], off, off offset:496
	v_add_f64_e32 v[4:5], v[4:5], v[134:135]
	v_add_f64_e32 v[148:149], v[136:137], v[148:149]
	ds_load_b128 v[134:137], v2 offset:928
	s_wait_loadcnt_dscnt 0xb01
	v_mul_f64_e32 v[152:153], v[90:91], v[100:101]
	v_mul_f64_e32 v[100:101], v[92:93], v[100:101]
	v_fmac_f64_e32 v[146:147], v[144:145], v[94:95]
	v_fma_f64 v[142:143], v[142:143], v[94:95], -v[96:97]
	scratch_load_b128 v[94:97], off, off offset:512
	v_add_f64_e32 v[4:5], v[4:5], v[150:151]
	v_add_f64_e32 v[8:9], v[148:149], v[8:9]
	v_fmac_f64_e32 v[152:153], v[92:93], v[98:99]
	v_fma_f64 v[150:151], v[90:91], v[98:99], -v[100:101]
	ds_load_b128 v[90:93], v2 offset:944
	s_wait_loadcnt_dscnt 0xb01
	v_mul_f64_e32 v[148:149], v[134:135], v[104:105]
	v_mul_f64_e32 v[104:105], v[136:137], v[104:105]
	scratch_load_b128 v[98:101], off, off offset:528
	v_add_f64_e32 v[4:5], v[4:5], v[142:143]
	v_add_f64_e32 v[8:9], v[8:9], v[146:147]
	s_wait_loadcnt_dscnt 0xb00
	v_mul_f64_e32 v[146:147], v[90:91], v[108:109]
	v_mul_f64_e32 v[108:109], v[92:93], v[108:109]
	ds_load_b128 v[142:145], v2 offset:960
	v_fmac_f64_e32 v[148:149], v[136:137], v[102:103]
	v_fma_f64 v[134:135], v[134:135], v[102:103], -v[104:105]
	scratch_load_b128 v[102:105], off, off offset:544
	v_add_f64_e32 v[4:5], v[4:5], v[150:151]
	v_add_f64_e32 v[8:9], v[8:9], v[152:153]
	v_fmac_f64_e32 v[146:147], v[92:93], v[106:107]
	v_fma_f64 v[152:153], v[90:91], v[106:107], -v[108:109]
	ds_load_b128 v[90:93], v2 offset:976
	s_wait_loadcnt_dscnt 0xb01
	v_mul_f64_e32 v[150:151], v[142:143], v[112:113]
	v_mul_f64_e32 v[112:113], v[144:145], v[112:113]
	scratch_load_b128 v[106:109], off, off offset:560
	v_add_f64_e32 v[4:5], v[4:5], v[134:135]
	v_add_f64_e32 v[8:9], v[8:9], v[148:149]
	s_wait_loadcnt_dscnt 0xb00
	v_mul_f64_e32 v[148:149], v[90:91], v[116:117]
	v_mul_f64_e32 v[116:117], v[92:93], v[116:117]
	ds_load_b128 v[134:137], v2 offset:992
	v_fmac_f64_e32 v[150:151], v[144:145], v[110:111]
	v_fma_f64 v[110:111], v[142:143], v[110:111], -v[112:113]
	s_wait_loadcnt_dscnt 0xa00
	v_mul_f64_e32 v[142:143], v[134:135], v[120:121]
	v_mul_f64_e32 v[120:121], v[136:137], v[120:121]
	v_add_f64_e32 v[4:5], v[4:5], v[152:153]
	v_add_f64_e32 v[8:9], v[8:9], v[146:147]
	v_fmac_f64_e32 v[148:149], v[92:93], v[114:115]
	v_fma_f64 v[114:115], v[90:91], v[114:115], -v[116:117]
	v_fmac_f64_e32 v[142:143], v[136:137], v[118:119]
	v_fma_f64 v[118:119], v[134:135], v[118:119], -v[120:121]
	v_add_f64_e32 v[4:5], v[4:5], v[110:111]
	v_add_f64_e32 v[8:9], v[8:9], v[150:151]
	ds_load_b128 v[90:93], v2 offset:1008
	ds_load_b128 v[110:113], v2 offset:1024
	s_wait_loadcnt_dscnt 0x901
	v_mul_f64_e32 v[144:145], v[90:91], v[128:129]
	v_mul_f64_e32 v[116:117], v[92:93], v[128:129]
	s_wait_loadcnt_dscnt 0x600
	v_mul_f64_e32 v[120:121], v[110:111], v[12:13]
	v_add_f64_e32 v[4:5], v[4:5], v[114:115]
	v_add_f64_e32 v[8:9], v[8:9], v[148:149]
	v_mul_f64_e32 v[12:13], v[112:113], v[12:13]
	v_fmac_f64_e32 v[144:145], v[92:93], v[126:127]
	v_fma_f64 v[126:127], v[90:91], v[126:127], -v[116:117]
	ds_load_b128 v[90:93], v2 offset:1040
	ds_load_b128 v[114:117], v2 offset:1056
	v_fmac_f64_e32 v[120:121], v[112:113], v[10:11]
	v_add_f64_e32 v[4:5], v[4:5], v[118:119]
	v_add_f64_e32 v[8:9], v[8:9], v[142:143]
	v_fma_f64 v[10:11], v[110:111], v[10:11], -v[12:13]
	s_wait_dscnt 0x1
	v_mul_f64_e32 v[118:119], v[90:91], v[140:141]
	v_mul_f64_e32 v[128:129], v[92:93], v[140:141]
	v_add_f64_e32 v[4:5], v[4:5], v[126:127]
	v_add_f64_e32 v[8:9], v[8:9], v[144:145]
	s_wait_loadcnt_dscnt 0x500
	v_mul_f64_e32 v[12:13], v[114:115], v[88:89]
	v_mul_f64_e32 v[110:111], v[116:117], v[88:89]
	v_fmac_f64_e32 v[118:119], v[92:93], v[138:139]
	v_fma_f64 v[92:93], v[90:91], v[138:139], -v[128:129]
	v_add_f64_e32 v[4:5], v[4:5], v[10:11]
	v_add_f64_e32 v[112:113], v[8:9], v[120:121]
	ds_load_b128 v[8:11], v2 offset:1072
	ds_load_b128 v[88:91], v2 offset:1088
	v_fmac_f64_e32 v[12:13], v[116:117], v[86:87]
	v_fma_f64 v[86:87], v[114:115], v[86:87], -v[110:111]
	s_wait_loadcnt_dscnt 0x401
	v_mul_f64_e32 v[120:121], v[8:9], v[124:125]
	v_mul_f64_e32 v[124:125], v[10:11], v[124:125]
	s_wait_loadcnt_dscnt 0x300
	v_mul_f64_e32 v[114:115], v[88:89], v[96:97]
	v_mul_f64_e32 v[96:97], v[90:91], v[96:97]
	v_add_f64_e32 v[4:5], v[4:5], v[92:93]
	v_add_f64_e32 v[92:93], v[112:113], v[118:119]
	v_fmac_f64_e32 v[120:121], v[10:11], v[122:123]
	v_fma_f64 v[116:117], v[8:9], v[122:123], -v[124:125]
	ds_load_b128 v[8:11], v2 offset:1104
	ds_load_b128 v[110:113], v2 offset:1120
	v_fmac_f64_e32 v[114:115], v[90:91], v[94:95]
	v_fma_f64 v[88:89], v[88:89], v[94:95], -v[96:97]
	v_add_f64_e32 v[4:5], v[4:5], v[86:87]
	v_add_f64_e32 v[12:13], v[92:93], v[12:13]
	s_wait_loadcnt_dscnt 0x201
	v_mul_f64_e32 v[86:87], v[8:9], v[100:101]
	v_mul_f64_e32 v[92:93], v[10:11], v[100:101]
	s_wait_loadcnt_dscnt 0x100
	v_mul_f64_e32 v[90:91], v[110:111], v[104:105]
	v_mul_f64_e32 v[94:95], v[112:113], v[104:105]
	v_add_f64_e32 v[4:5], v[4:5], v[116:117]
	v_add_f64_e32 v[12:13], v[12:13], v[120:121]
	v_fmac_f64_e32 v[86:87], v[10:11], v[98:99]
	v_fma_f64 v[92:93], v[8:9], v[98:99], -v[92:93]
	ds_load_b128 v[8:11], v2 offset:1136
	v_fmac_f64_e32 v[90:91], v[112:113], v[102:103]
	v_fma_f64 v[94:95], v[110:111], v[102:103], -v[94:95]
	s_wait_loadcnt_dscnt 0x0
	v_mul_f64_e32 v[96:97], v[10:11], v[108:109]
	v_add_f64_e32 v[4:5], v[4:5], v[88:89]
	v_add_f64_e32 v[12:13], v[12:13], v[114:115]
	v_mul_f64_e32 v[88:89], v[8:9], v[108:109]
	s_delay_alu instid0(VALU_DEP_4) | instskip(NEXT) | instid1(VALU_DEP_4)
	v_fma_f64 v[8:9], v[8:9], v[106:107], -v[96:97]
	v_add_f64_e32 v[4:5], v[4:5], v[92:93]
	s_delay_alu instid0(VALU_DEP_4) | instskip(NEXT) | instid1(VALU_DEP_4)
	v_add_f64_e32 v[12:13], v[12:13], v[86:87]
	v_fmac_f64_e32 v[88:89], v[10:11], v[106:107]
	s_delay_alu instid0(VALU_DEP_3) | instskip(NEXT) | instid1(VALU_DEP_3)
	v_add_f64_e32 v[4:5], v[4:5], v[94:95]
	v_add_f64_e32 v[10:11], v[12:13], v[90:91]
	s_delay_alu instid0(VALU_DEP_2) | instskip(NEXT) | instid1(VALU_DEP_2)
	v_add_f64_e32 v[4:5], v[4:5], v[8:9]
	v_add_f64_e32 v[10:11], v[10:11], v[88:89]
	s_delay_alu instid0(VALU_DEP_2) | instskip(NEXT) | instid1(VALU_DEP_2)
	v_add_f64_e64 v[8:9], v[130:131], -v[4:5]
	v_add_f64_e64 v[10:11], v[132:133], -v[10:11]
	scratch_store_b128 off, v[8:11], off offset:256
	s_wait_xcnt 0x0
	v_cmpx_lt_u32_e32 15, v1
	s_cbranch_execz .LBB35_199
; %bb.198:
	scratch_load_b128 v[8:11], off, s42
	v_dual_mov_b32 v3, v2 :: v_dual_mov_b32 v4, v2
	v_mov_b32_e32 v5, v2
	scratch_store_b128 off, v[2:5], off offset:240
	s_wait_loadcnt 0x0
	ds_store_b128 v6, v[8:11]
.LBB35_199:
	s_wait_xcnt 0x0
	s_or_b32 exec_lo, exec_lo, s2
	s_wait_storecnt_dscnt 0x0
	s_barrier_signal -1
	s_barrier_wait -1
	s_clause 0x9
	scratch_load_b128 v[8:11], off, off offset:256
	scratch_load_b128 v[86:89], off, off offset:272
	;; [unrolled: 1-line block ×10, first 2 shown]
	ds_load_b128 v[122:125], v2 offset:832
	ds_load_b128 v[130:133], v2 offset:848
	s_clause 0x1
	scratch_load_b128 v[126:129], off, off offset:416
	scratch_load_b128 v[134:137], off, off offset:240
	s_mov_b32 s2, exec_lo
	s_wait_loadcnt_dscnt 0xb01
	v_mul_f64_e32 v[4:5], v[124:125], v[10:11]
	v_mul_f64_e32 v[146:147], v[122:123], v[10:11]
	scratch_load_b128 v[10:13], off, off offset:432
	s_wait_loadcnt_dscnt 0xb00
	v_mul_f64_e32 v[148:149], v[130:131], v[88:89]
	v_mul_f64_e32 v[88:89], v[132:133], v[88:89]
	v_fma_f64 v[4:5], v[122:123], v[8:9], -v[4:5]
	v_fmac_f64_e32 v[146:147], v[124:125], v[8:9]
	ds_load_b128 v[122:125], v2 offset:864
	ds_load_b128 v[138:141], v2 offset:880
	scratch_load_b128 v[142:145], off, off offset:448
	v_fmac_f64_e32 v[148:149], v[132:133], v[86:87]
	v_fma_f64 v[130:131], v[130:131], v[86:87], -v[88:89]
	scratch_load_b128 v[86:89], off, off offset:464
	s_wait_loadcnt_dscnt 0xc01
	v_mul_f64_e32 v[8:9], v[122:123], v[92:93]
	v_mul_f64_e32 v[92:93], v[124:125], v[92:93]
	v_add_f64_e32 v[4:5], 0, v[4:5]
	v_add_f64_e32 v[132:133], 0, v[146:147]
	s_wait_loadcnt_dscnt 0xb00
	v_mul_f64_e32 v[146:147], v[138:139], v[96:97]
	v_mul_f64_e32 v[96:97], v[140:141], v[96:97]
	v_fmac_f64_e32 v[8:9], v[124:125], v[90:91]
	v_fma_f64 v[150:151], v[122:123], v[90:91], -v[92:93]
	ds_load_b128 v[90:93], v2 offset:896
	ds_load_b128 v[122:125], v2 offset:912
	v_add_f64_e32 v[4:5], v[4:5], v[130:131]
	v_add_f64_e32 v[148:149], v[132:133], v[148:149]
	scratch_load_b128 v[130:133], off, off offset:480
	v_fmac_f64_e32 v[146:147], v[140:141], v[94:95]
	v_fma_f64 v[138:139], v[138:139], v[94:95], -v[96:97]
	scratch_load_b128 v[94:97], off, off offset:496
	s_wait_loadcnt_dscnt 0xc01
	v_mul_f64_e32 v[152:153], v[90:91], v[100:101]
	v_mul_f64_e32 v[100:101], v[92:93], v[100:101]
	v_add_f64_e32 v[4:5], v[4:5], v[150:151]
	v_add_f64_e32 v[8:9], v[148:149], v[8:9]
	s_wait_loadcnt_dscnt 0xb00
	v_mul_f64_e32 v[148:149], v[122:123], v[104:105]
	v_mul_f64_e32 v[104:105], v[124:125], v[104:105]
	v_fmac_f64_e32 v[152:153], v[92:93], v[98:99]
	v_fma_f64 v[150:151], v[90:91], v[98:99], -v[100:101]
	ds_load_b128 v[90:93], v2 offset:928
	ds_load_b128 v[98:101], v2 offset:944
	v_add_f64_e32 v[4:5], v[4:5], v[138:139]
	v_add_f64_e32 v[8:9], v[8:9], v[146:147]
	scratch_load_b128 v[138:141], off, off offset:512
	s_wait_loadcnt_dscnt 0xb01
	v_mul_f64_e32 v[146:147], v[90:91], v[108:109]
	v_mul_f64_e32 v[108:109], v[92:93], v[108:109]
	v_fmac_f64_e32 v[148:149], v[124:125], v[102:103]
	v_fma_f64 v[122:123], v[122:123], v[102:103], -v[104:105]
	scratch_load_b128 v[102:105], off, off offset:528
	v_add_f64_e32 v[4:5], v[4:5], v[150:151]
	v_add_f64_e32 v[8:9], v[8:9], v[152:153]
	s_wait_loadcnt_dscnt 0xb00
	v_mul_f64_e32 v[150:151], v[98:99], v[112:113]
	v_mul_f64_e32 v[112:113], v[100:101], v[112:113]
	v_fmac_f64_e32 v[146:147], v[92:93], v[106:107]
	v_fma_f64 v[152:153], v[90:91], v[106:107], -v[108:109]
	ds_load_b128 v[90:93], v2 offset:960
	ds_load_b128 v[106:109], v2 offset:976
	v_add_f64_e32 v[4:5], v[4:5], v[122:123]
	v_add_f64_e32 v[8:9], v[8:9], v[148:149]
	scratch_load_b128 v[122:125], off, off offset:544
	s_wait_loadcnt_dscnt 0xb01
	v_mul_f64_e32 v[148:149], v[90:91], v[116:117]
	v_mul_f64_e32 v[116:117], v[92:93], v[116:117]
	v_fmac_f64_e32 v[150:151], v[100:101], v[110:111]
	v_fma_f64 v[110:111], v[98:99], v[110:111], -v[112:113]
	scratch_load_b128 v[98:101], off, off offset:560
	v_add_f64_e32 v[4:5], v[4:5], v[152:153]
	v_add_f64_e32 v[8:9], v[8:9], v[146:147]
	s_wait_loadcnt_dscnt 0xb00
	v_mul_f64_e32 v[146:147], v[106:107], v[120:121]
	v_mul_f64_e32 v[120:121], v[108:109], v[120:121]
	v_fmac_f64_e32 v[148:149], v[92:93], v[114:115]
	v_fma_f64 v[114:115], v[90:91], v[114:115], -v[116:117]
	v_add_f64_e32 v[4:5], v[4:5], v[110:111]
	v_add_f64_e32 v[8:9], v[8:9], v[150:151]
	ds_load_b128 v[90:93], v2 offset:992
	ds_load_b128 v[110:113], v2 offset:1008
	v_fmac_f64_e32 v[146:147], v[108:109], v[118:119]
	v_fma_f64 v[106:107], v[106:107], v[118:119], -v[120:121]
	s_wait_loadcnt_dscnt 0xa01
	v_mul_f64_e32 v[116:117], v[90:91], v[128:129]
	v_mul_f64_e32 v[128:129], v[92:93], v[128:129]
	v_add_f64_e32 v[4:5], v[4:5], v[114:115]
	v_add_f64_e32 v[8:9], v[8:9], v[148:149]
	s_wait_loadcnt_dscnt 0x800
	v_mul_f64_e32 v[114:115], v[110:111], v[12:13]
	v_mul_f64_e32 v[12:13], v[112:113], v[12:13]
	v_fmac_f64_e32 v[116:117], v[92:93], v[126:127]
	v_fma_f64 v[118:119], v[90:91], v[126:127], -v[128:129]
	v_add_f64_e32 v[4:5], v[4:5], v[106:107]
	v_add_f64_e32 v[8:9], v[8:9], v[146:147]
	ds_load_b128 v[90:93], v2 offset:1024
	ds_load_b128 v[106:109], v2 offset:1040
	v_fmac_f64_e32 v[114:115], v[112:113], v[10:11]
	v_fma_f64 v[10:11], v[110:111], v[10:11], -v[12:13]
	s_wait_loadcnt_dscnt 0x701
	v_mul_f64_e32 v[120:121], v[90:91], v[144:145]
	v_mul_f64_e32 v[126:127], v[92:93], v[144:145]
	s_wait_loadcnt_dscnt 0x600
	v_mul_f64_e32 v[12:13], v[106:107], v[88:89]
	v_mul_f64_e32 v[110:111], v[108:109], v[88:89]
	v_add_f64_e32 v[4:5], v[4:5], v[118:119]
	v_add_f64_e32 v[8:9], v[8:9], v[116:117]
	v_fmac_f64_e32 v[120:121], v[92:93], v[142:143]
	v_fma_f64 v[92:93], v[90:91], v[142:143], -v[126:127]
	v_fmac_f64_e32 v[12:13], v[108:109], v[86:87]
	v_fma_f64 v[86:87], v[106:107], v[86:87], -v[110:111]
	v_add_f64_e32 v[4:5], v[4:5], v[10:11]
	v_add_f64_e32 v[112:113], v[8:9], v[114:115]
	ds_load_b128 v[8:11], v2 offset:1056
	ds_load_b128 v[88:91], v2 offset:1072
	s_wait_loadcnt_dscnt 0x501
	v_mul_f64_e32 v[114:115], v[8:9], v[132:133]
	v_mul_f64_e32 v[116:117], v[10:11], v[132:133]
	s_wait_loadcnt_dscnt 0x400
	v_mul_f64_e32 v[110:111], v[88:89], v[96:97]
	v_mul_f64_e32 v[96:97], v[90:91], v[96:97]
	v_add_f64_e32 v[4:5], v[4:5], v[92:93]
	v_add_f64_e32 v[92:93], v[112:113], v[120:121]
	v_fmac_f64_e32 v[114:115], v[10:11], v[130:131]
	v_fma_f64 v[112:113], v[8:9], v[130:131], -v[116:117]
	ds_load_b128 v[8:11], v2 offset:1088
	ds_load_b128 v[106:109], v2 offset:1104
	v_fmac_f64_e32 v[110:111], v[90:91], v[94:95]
	v_fma_f64 v[88:89], v[88:89], v[94:95], -v[96:97]
	v_add_f64_e32 v[4:5], v[4:5], v[86:87]
	v_add_f64_e32 v[12:13], v[92:93], v[12:13]
	s_wait_loadcnt_dscnt 0x301
	v_mul_f64_e32 v[86:87], v[8:9], v[140:141]
	v_mul_f64_e32 v[92:93], v[10:11], v[140:141]
	s_wait_loadcnt_dscnt 0x200
	v_mul_f64_e32 v[90:91], v[106:107], v[104:105]
	v_mul_f64_e32 v[94:95], v[108:109], v[104:105]
	v_add_f64_e32 v[4:5], v[4:5], v[112:113]
	v_add_f64_e32 v[12:13], v[12:13], v[114:115]
	v_fmac_f64_e32 v[86:87], v[10:11], v[138:139]
	v_fma_f64 v[92:93], v[8:9], v[138:139], -v[92:93]
	v_fmac_f64_e32 v[90:91], v[108:109], v[102:103]
	v_fma_f64 v[94:95], v[106:107], v[102:103], -v[94:95]
	v_add_f64_e32 v[88:89], v[4:5], v[88:89]
	v_add_f64_e32 v[12:13], v[12:13], v[110:111]
	ds_load_b128 v[8:11], v2 offset:1120
	ds_load_b128 v[2:5], v2 offset:1136
	s_wait_loadcnt_dscnt 0x101
	v_mul_f64_e32 v[96:97], v[8:9], v[124:125]
	v_mul_f64_e32 v[104:105], v[10:11], v[124:125]
	v_add_f64_e32 v[88:89], v[88:89], v[92:93]
	v_add_f64_e32 v[12:13], v[12:13], v[86:87]
	s_wait_loadcnt_dscnt 0x0
	v_mul_f64_e32 v[86:87], v[2:3], v[100:101]
	v_mul_f64_e32 v[92:93], v[4:5], v[100:101]
	v_fmac_f64_e32 v[96:97], v[10:11], v[122:123]
	v_fma_f64 v[8:9], v[8:9], v[122:123], -v[104:105]
	v_add_f64_e32 v[10:11], v[88:89], v[94:95]
	v_add_f64_e32 v[12:13], v[12:13], v[90:91]
	v_fmac_f64_e32 v[86:87], v[4:5], v[98:99]
	v_fma_f64 v[2:3], v[2:3], v[98:99], -v[92:93]
	s_delay_alu instid0(VALU_DEP_4) | instskip(NEXT) | instid1(VALU_DEP_4)
	v_add_f64_e32 v[4:5], v[10:11], v[8:9]
	v_add_f64_e32 v[8:9], v[12:13], v[96:97]
	s_delay_alu instid0(VALU_DEP_2) | instskip(NEXT) | instid1(VALU_DEP_2)
	v_add_f64_e32 v[2:3], v[4:5], v[2:3]
	v_add_f64_e32 v[4:5], v[8:9], v[86:87]
	s_delay_alu instid0(VALU_DEP_2) | instskip(NEXT) | instid1(VALU_DEP_2)
	v_add_f64_e64 v[2:3], v[134:135], -v[2:3]
	v_add_f64_e64 v[4:5], v[136:137], -v[4:5]
	scratch_store_b128 off, v[2:5], off offset:240
	s_wait_xcnt 0x0
	v_cmpx_lt_u32_e32 14, v1
	s_cbranch_execz .LBB35_201
; %bb.200:
	scratch_load_b128 v[2:5], off, s47
	v_mov_b32_e32 v8, 0
	s_delay_alu instid0(VALU_DEP_1)
	v_dual_mov_b32 v9, v8 :: v_dual_mov_b32 v10, v8
	v_mov_b32_e32 v11, v8
	scratch_store_b128 off, v[8:11], off offset:224
	s_wait_loadcnt 0x0
	ds_store_b128 v6, v[2:5]
.LBB35_201:
	s_wait_xcnt 0x0
	s_or_b32 exec_lo, exec_lo, s2
	s_wait_storecnt_dscnt 0x0
	s_barrier_signal -1
	s_barrier_wait -1
	s_clause 0x9
	scratch_load_b128 v[8:11], off, off offset:240
	scratch_load_b128 v[86:89], off, off offset:256
	scratch_load_b128 v[90:93], off, off offset:272
	scratch_load_b128 v[94:97], off, off offset:288
	scratch_load_b128 v[98:101], off, off offset:304
	scratch_load_b128 v[102:105], off, off offset:320
	scratch_load_b128 v[106:109], off, off offset:336
	scratch_load_b128 v[110:113], off, off offset:352
	scratch_load_b128 v[114:117], off, off offset:368
	scratch_load_b128 v[118:121], off, off offset:384
	v_mov_b32_e32 v2, 0
	s_mov_b32 s2, exec_lo
	ds_load_b128 v[122:125], v2 offset:816
	s_clause 0x2
	scratch_load_b128 v[126:129], off, off offset:400
	scratch_load_b128 v[130:133], off, off offset:224
	;; [unrolled: 1-line block ×3, first 2 shown]
	s_wait_loadcnt_dscnt 0xc00
	v_mul_f64_e32 v[4:5], v[124:125], v[10:11]
	v_mul_f64_e32 v[146:147], v[122:123], v[10:11]
	ds_load_b128 v[134:137], v2 offset:832
	scratch_load_b128 v[10:13], off, off offset:416
	ds_load_b128 v[142:145], v2 offset:864
	v_fma_f64 v[4:5], v[122:123], v[8:9], -v[4:5]
	v_fmac_f64_e32 v[146:147], v[124:125], v[8:9]
	ds_load_b128 v[122:125], v2 offset:848
	s_wait_loadcnt_dscnt 0xc02
	v_mul_f64_e32 v[148:149], v[134:135], v[88:89]
	v_mul_f64_e32 v[88:89], v[136:137], v[88:89]
	s_wait_loadcnt_dscnt 0xb00
	v_mul_f64_e32 v[8:9], v[122:123], v[92:93]
	v_mul_f64_e32 v[92:93], v[124:125], v[92:93]
	v_add_f64_e32 v[4:5], 0, v[4:5]
	v_fmac_f64_e32 v[148:149], v[136:137], v[86:87]
	v_fma_f64 v[134:135], v[134:135], v[86:87], -v[88:89]
	v_add_f64_e32 v[136:137], 0, v[146:147]
	scratch_load_b128 v[86:89], off, off offset:448
	v_fmac_f64_e32 v[8:9], v[124:125], v[90:91]
	v_fma_f64 v[150:151], v[122:123], v[90:91], -v[92:93]
	ds_load_b128 v[90:93], v2 offset:880
	s_wait_loadcnt 0xb
	v_mul_f64_e32 v[146:147], v[142:143], v[96:97]
	v_mul_f64_e32 v[96:97], v[144:145], v[96:97]
	scratch_load_b128 v[122:125], off, off offset:464
	v_add_f64_e32 v[4:5], v[4:5], v[134:135]
	v_add_f64_e32 v[148:149], v[136:137], v[148:149]
	ds_load_b128 v[134:137], v2 offset:896
	s_wait_loadcnt_dscnt 0xb01
	v_mul_f64_e32 v[152:153], v[90:91], v[100:101]
	v_mul_f64_e32 v[100:101], v[92:93], v[100:101]
	v_fmac_f64_e32 v[146:147], v[144:145], v[94:95]
	v_fma_f64 v[142:143], v[142:143], v[94:95], -v[96:97]
	scratch_load_b128 v[94:97], off, off offset:480
	v_add_f64_e32 v[4:5], v[4:5], v[150:151]
	v_add_f64_e32 v[8:9], v[148:149], v[8:9]
	v_fmac_f64_e32 v[152:153], v[92:93], v[98:99]
	v_fma_f64 v[150:151], v[90:91], v[98:99], -v[100:101]
	ds_load_b128 v[90:93], v2 offset:912
	s_wait_loadcnt_dscnt 0xb01
	v_mul_f64_e32 v[148:149], v[134:135], v[104:105]
	v_mul_f64_e32 v[104:105], v[136:137], v[104:105]
	scratch_load_b128 v[98:101], off, off offset:496
	v_add_f64_e32 v[4:5], v[4:5], v[142:143]
	v_add_f64_e32 v[8:9], v[8:9], v[146:147]
	s_wait_loadcnt_dscnt 0xb00
	v_mul_f64_e32 v[146:147], v[90:91], v[108:109]
	v_mul_f64_e32 v[108:109], v[92:93], v[108:109]
	ds_load_b128 v[142:145], v2 offset:928
	v_fmac_f64_e32 v[148:149], v[136:137], v[102:103]
	v_fma_f64 v[134:135], v[134:135], v[102:103], -v[104:105]
	scratch_load_b128 v[102:105], off, off offset:512
	v_add_f64_e32 v[4:5], v[4:5], v[150:151]
	v_add_f64_e32 v[8:9], v[8:9], v[152:153]
	v_fmac_f64_e32 v[146:147], v[92:93], v[106:107]
	v_fma_f64 v[152:153], v[90:91], v[106:107], -v[108:109]
	ds_load_b128 v[90:93], v2 offset:944
	s_wait_loadcnt_dscnt 0xb01
	v_mul_f64_e32 v[150:151], v[142:143], v[112:113]
	v_mul_f64_e32 v[112:113], v[144:145], v[112:113]
	scratch_load_b128 v[106:109], off, off offset:528
	v_add_f64_e32 v[4:5], v[4:5], v[134:135]
	v_add_f64_e32 v[8:9], v[8:9], v[148:149]
	s_wait_loadcnt_dscnt 0xb00
	v_mul_f64_e32 v[148:149], v[90:91], v[116:117]
	v_mul_f64_e32 v[116:117], v[92:93], v[116:117]
	ds_load_b128 v[134:137], v2 offset:960
	;; [unrolled: 18-line block ×3, first 2 shown]
	v_fmac_f64_e32 v[146:147], v[136:137], v[118:119]
	v_fma_f64 v[118:119], v[134:135], v[118:119], -v[120:121]
	s_wait_loadcnt_dscnt 0x800
	v_mul_f64_e32 v[134:135], v[142:143], v[12:13]
	v_add_f64_e32 v[4:5], v[4:5], v[152:153]
	v_add_f64_e32 v[8:9], v[8:9], v[148:149]
	v_mul_f64_e32 v[12:13], v[144:145], v[12:13]
	v_fmac_f64_e32 v[150:151], v[92:93], v[126:127]
	v_fma_f64 v[126:127], v[90:91], v[126:127], -v[128:129]
	v_fmac_f64_e32 v[134:135], v[144:145], v[10:11]
	v_add_f64_e32 v[4:5], v[4:5], v[118:119]
	v_add_f64_e32 v[8:9], v[8:9], v[146:147]
	ds_load_b128 v[90:93], v2 offset:1008
	ds_load_b128 v[118:121], v2 offset:1024
	v_fma_f64 v[10:11], v[142:143], v[10:11], -v[12:13]
	s_wait_dscnt 0x1
	v_mul_f64_e32 v[128:129], v[90:91], v[140:141]
	v_mul_f64_e32 v[136:137], v[92:93], v[140:141]
	v_add_f64_e32 v[4:5], v[4:5], v[126:127]
	v_add_f64_e32 v[8:9], v[8:9], v[150:151]
	s_wait_loadcnt_dscnt 0x700
	v_mul_f64_e32 v[12:13], v[118:119], v[88:89]
	v_mul_f64_e32 v[126:127], v[120:121], v[88:89]
	v_fmac_f64_e32 v[128:129], v[92:93], v[138:139]
	v_fma_f64 v[92:93], v[90:91], v[138:139], -v[136:137]
	v_add_f64_e32 v[4:5], v[4:5], v[10:11]
	v_add_f64_e32 v[134:135], v[8:9], v[134:135]
	ds_load_b128 v[8:11], v2 offset:1040
	ds_load_b128 v[88:91], v2 offset:1056
	v_fmac_f64_e32 v[12:13], v[120:121], v[86:87]
	v_fma_f64 v[86:87], v[118:119], v[86:87], -v[126:127]
	s_wait_loadcnt_dscnt 0x601
	v_mul_f64_e32 v[136:137], v[8:9], v[124:125]
	v_mul_f64_e32 v[124:125], v[10:11], v[124:125]
	s_wait_loadcnt_dscnt 0x500
	v_mul_f64_e32 v[126:127], v[88:89], v[96:97]
	v_mul_f64_e32 v[96:97], v[90:91], v[96:97]
	v_add_f64_e32 v[4:5], v[4:5], v[92:93]
	v_add_f64_e32 v[92:93], v[134:135], v[128:129]
	v_fmac_f64_e32 v[136:137], v[10:11], v[122:123]
	v_fma_f64 v[122:123], v[8:9], v[122:123], -v[124:125]
	ds_load_b128 v[8:11], v2 offset:1072
	ds_load_b128 v[118:121], v2 offset:1088
	v_fmac_f64_e32 v[126:127], v[90:91], v[94:95]
	v_fma_f64 v[88:89], v[88:89], v[94:95], -v[96:97]
	v_add_f64_e32 v[4:5], v[4:5], v[86:87]
	v_add_f64_e32 v[12:13], v[92:93], v[12:13]
	s_wait_loadcnt_dscnt 0x401
	v_mul_f64_e32 v[92:93], v[8:9], v[100:101]
	v_mul_f64_e32 v[86:87], v[10:11], v[100:101]
	s_wait_loadcnt_dscnt 0x300
	v_mul_f64_e32 v[90:91], v[118:119], v[104:105]
	v_mul_f64_e32 v[94:95], v[120:121], v[104:105]
	v_add_f64_e32 v[4:5], v[4:5], v[122:123]
	v_add_f64_e32 v[12:13], v[12:13], v[136:137]
	v_fmac_f64_e32 v[92:93], v[10:11], v[98:99]
	v_fma_f64 v[96:97], v[8:9], v[98:99], -v[86:87]
	v_fmac_f64_e32 v[90:91], v[120:121], v[102:103]
	v_fma_f64 v[94:95], v[118:119], v[102:103], -v[94:95]
	v_add_f64_e32 v[4:5], v[4:5], v[88:89]
	v_add_f64_e32 v[12:13], v[12:13], v[126:127]
	ds_load_b128 v[8:11], v2 offset:1104
	ds_load_b128 v[86:89], v2 offset:1120
	s_wait_loadcnt_dscnt 0x201
	v_mul_f64_e32 v[98:99], v[8:9], v[108:109]
	v_mul_f64_e32 v[100:101], v[10:11], v[108:109]
	v_add_f64_e32 v[4:5], v[4:5], v[96:97]
	v_add_f64_e32 v[12:13], v[12:13], v[92:93]
	s_wait_loadcnt_dscnt 0x100
	v_mul_f64_e32 v[92:93], v[86:87], v[112:113]
	v_mul_f64_e32 v[96:97], v[88:89], v[112:113]
	v_fmac_f64_e32 v[98:99], v[10:11], v[106:107]
	v_fma_f64 v[100:101], v[8:9], v[106:107], -v[100:101]
	ds_load_b128 v[8:11], v2 offset:1136
	v_add_f64_e32 v[4:5], v[4:5], v[94:95]
	v_add_f64_e32 v[12:13], v[12:13], v[90:91]
	v_fmac_f64_e32 v[92:93], v[88:89], v[110:111]
	v_fma_f64 v[86:87], v[86:87], v[110:111], -v[96:97]
	s_wait_loadcnt_dscnt 0x0
	v_mul_f64_e32 v[90:91], v[8:9], v[116:117]
	v_mul_f64_e32 v[94:95], v[10:11], v[116:117]
	v_add_f64_e32 v[4:5], v[4:5], v[100:101]
	v_add_f64_e32 v[12:13], v[12:13], v[98:99]
	s_delay_alu instid0(VALU_DEP_4) | instskip(NEXT) | instid1(VALU_DEP_4)
	v_fmac_f64_e32 v[90:91], v[10:11], v[114:115]
	v_fma_f64 v[8:9], v[8:9], v[114:115], -v[94:95]
	s_delay_alu instid0(VALU_DEP_4) | instskip(NEXT) | instid1(VALU_DEP_4)
	v_add_f64_e32 v[4:5], v[4:5], v[86:87]
	v_add_f64_e32 v[10:11], v[12:13], v[92:93]
	s_delay_alu instid0(VALU_DEP_2) | instskip(NEXT) | instid1(VALU_DEP_2)
	v_add_f64_e32 v[4:5], v[4:5], v[8:9]
	v_add_f64_e32 v[10:11], v[10:11], v[90:91]
	s_delay_alu instid0(VALU_DEP_2) | instskip(NEXT) | instid1(VALU_DEP_2)
	v_add_f64_e64 v[8:9], v[130:131], -v[4:5]
	v_add_f64_e64 v[10:11], v[132:133], -v[10:11]
	scratch_store_b128 off, v[8:11], off offset:224
	s_wait_xcnt 0x0
	v_cmpx_lt_u32_e32 13, v1
	s_cbranch_execz .LBB35_203
; %bb.202:
	scratch_load_b128 v[8:11], off, s46
	v_dual_mov_b32 v3, v2 :: v_dual_mov_b32 v4, v2
	v_mov_b32_e32 v5, v2
	scratch_store_b128 off, v[2:5], off offset:208
	s_wait_loadcnt 0x0
	ds_store_b128 v6, v[8:11]
.LBB35_203:
	s_wait_xcnt 0x0
	s_or_b32 exec_lo, exec_lo, s2
	s_wait_storecnt_dscnt 0x0
	s_barrier_signal -1
	s_barrier_wait -1
	s_clause 0x9
	scratch_load_b128 v[8:11], off, off offset:224
	scratch_load_b128 v[86:89], off, off offset:240
	;; [unrolled: 1-line block ×10, first 2 shown]
	ds_load_b128 v[122:125], v2 offset:800
	ds_load_b128 v[130:133], v2 offset:816
	s_clause 0x1
	scratch_load_b128 v[126:129], off, off offset:384
	scratch_load_b128 v[134:137], off, off offset:208
	s_mov_b32 s2, exec_lo
	s_wait_loadcnt_dscnt 0xb01
	v_mul_f64_e32 v[4:5], v[124:125], v[10:11]
	v_mul_f64_e32 v[146:147], v[122:123], v[10:11]
	scratch_load_b128 v[10:13], off, off offset:400
	s_wait_loadcnt_dscnt 0xb00
	v_mul_f64_e32 v[148:149], v[130:131], v[88:89]
	v_mul_f64_e32 v[88:89], v[132:133], v[88:89]
	v_fma_f64 v[4:5], v[122:123], v[8:9], -v[4:5]
	v_fmac_f64_e32 v[146:147], v[124:125], v[8:9]
	ds_load_b128 v[122:125], v2 offset:832
	ds_load_b128 v[138:141], v2 offset:848
	scratch_load_b128 v[142:145], off, off offset:416
	v_fmac_f64_e32 v[148:149], v[132:133], v[86:87]
	v_fma_f64 v[130:131], v[130:131], v[86:87], -v[88:89]
	scratch_load_b128 v[86:89], off, off offset:432
	s_wait_loadcnt_dscnt 0xc01
	v_mul_f64_e32 v[8:9], v[122:123], v[92:93]
	v_mul_f64_e32 v[92:93], v[124:125], v[92:93]
	v_add_f64_e32 v[4:5], 0, v[4:5]
	v_add_f64_e32 v[132:133], 0, v[146:147]
	s_wait_loadcnt_dscnt 0xb00
	v_mul_f64_e32 v[146:147], v[138:139], v[96:97]
	v_mul_f64_e32 v[96:97], v[140:141], v[96:97]
	v_fmac_f64_e32 v[8:9], v[124:125], v[90:91]
	v_fma_f64 v[150:151], v[122:123], v[90:91], -v[92:93]
	ds_load_b128 v[90:93], v2 offset:864
	ds_load_b128 v[122:125], v2 offset:880
	v_add_f64_e32 v[4:5], v[4:5], v[130:131]
	v_add_f64_e32 v[148:149], v[132:133], v[148:149]
	scratch_load_b128 v[130:133], off, off offset:448
	v_fmac_f64_e32 v[146:147], v[140:141], v[94:95]
	v_fma_f64 v[138:139], v[138:139], v[94:95], -v[96:97]
	scratch_load_b128 v[94:97], off, off offset:464
	s_wait_loadcnt_dscnt 0xc01
	v_mul_f64_e32 v[152:153], v[90:91], v[100:101]
	v_mul_f64_e32 v[100:101], v[92:93], v[100:101]
	v_add_f64_e32 v[4:5], v[4:5], v[150:151]
	v_add_f64_e32 v[8:9], v[148:149], v[8:9]
	s_wait_loadcnt_dscnt 0xb00
	v_mul_f64_e32 v[148:149], v[122:123], v[104:105]
	v_mul_f64_e32 v[104:105], v[124:125], v[104:105]
	v_fmac_f64_e32 v[152:153], v[92:93], v[98:99]
	v_fma_f64 v[150:151], v[90:91], v[98:99], -v[100:101]
	ds_load_b128 v[90:93], v2 offset:896
	ds_load_b128 v[98:101], v2 offset:912
	v_add_f64_e32 v[4:5], v[4:5], v[138:139]
	v_add_f64_e32 v[8:9], v[8:9], v[146:147]
	scratch_load_b128 v[138:141], off, off offset:480
	s_wait_loadcnt_dscnt 0xb01
	v_mul_f64_e32 v[146:147], v[90:91], v[108:109]
	v_mul_f64_e32 v[108:109], v[92:93], v[108:109]
	v_fmac_f64_e32 v[148:149], v[124:125], v[102:103]
	v_fma_f64 v[122:123], v[122:123], v[102:103], -v[104:105]
	scratch_load_b128 v[102:105], off, off offset:496
	v_add_f64_e32 v[4:5], v[4:5], v[150:151]
	v_add_f64_e32 v[8:9], v[8:9], v[152:153]
	s_wait_loadcnt_dscnt 0xb00
	v_mul_f64_e32 v[150:151], v[98:99], v[112:113]
	v_mul_f64_e32 v[112:113], v[100:101], v[112:113]
	v_fmac_f64_e32 v[146:147], v[92:93], v[106:107]
	v_fma_f64 v[152:153], v[90:91], v[106:107], -v[108:109]
	ds_load_b128 v[90:93], v2 offset:928
	ds_load_b128 v[106:109], v2 offset:944
	v_add_f64_e32 v[4:5], v[4:5], v[122:123]
	v_add_f64_e32 v[8:9], v[8:9], v[148:149]
	scratch_load_b128 v[122:125], off, off offset:512
	s_wait_loadcnt_dscnt 0xb01
	v_mul_f64_e32 v[148:149], v[90:91], v[116:117]
	v_mul_f64_e32 v[116:117], v[92:93], v[116:117]
	v_fmac_f64_e32 v[150:151], v[100:101], v[110:111]
	v_fma_f64 v[110:111], v[98:99], v[110:111], -v[112:113]
	scratch_load_b128 v[98:101], off, off offset:528
	v_add_f64_e32 v[4:5], v[4:5], v[152:153]
	v_add_f64_e32 v[8:9], v[8:9], v[146:147]
	s_wait_loadcnt_dscnt 0xb00
	v_mul_f64_e32 v[146:147], v[106:107], v[120:121]
	v_mul_f64_e32 v[120:121], v[108:109], v[120:121]
	v_fmac_f64_e32 v[148:149], v[92:93], v[114:115]
	v_fma_f64 v[152:153], v[90:91], v[114:115], -v[116:117]
	v_add_f64_e32 v[4:5], v[4:5], v[110:111]
	v_add_f64_e32 v[8:9], v[8:9], v[150:151]
	ds_load_b128 v[90:93], v2 offset:960
	ds_load_b128 v[110:113], v2 offset:976
	scratch_load_b128 v[114:117], off, off offset:544
	v_fmac_f64_e32 v[146:147], v[108:109], v[118:119]
	v_fma_f64 v[118:119], v[106:107], v[118:119], -v[120:121]
	scratch_load_b128 v[106:109], off, off offset:560
	s_wait_loadcnt_dscnt 0xc01
	v_mul_f64_e32 v[150:151], v[90:91], v[128:129]
	v_mul_f64_e32 v[128:129], v[92:93], v[128:129]
	v_add_f64_e32 v[4:5], v[4:5], v[152:153]
	v_add_f64_e32 v[8:9], v[8:9], v[148:149]
	s_wait_loadcnt_dscnt 0xa00
	v_mul_f64_e32 v[148:149], v[110:111], v[12:13]
	v_mul_f64_e32 v[12:13], v[112:113], v[12:13]
	v_fmac_f64_e32 v[150:151], v[92:93], v[126:127]
	v_fma_f64 v[126:127], v[90:91], v[126:127], -v[128:129]
	v_add_f64_e32 v[4:5], v[4:5], v[118:119]
	v_add_f64_e32 v[8:9], v[8:9], v[146:147]
	ds_load_b128 v[90:93], v2 offset:992
	ds_load_b128 v[118:121], v2 offset:1008
	v_fmac_f64_e32 v[148:149], v[112:113], v[10:11]
	v_fma_f64 v[10:11], v[110:111], v[10:11], -v[12:13]
	s_wait_loadcnt_dscnt 0x901
	v_mul_f64_e32 v[128:129], v[90:91], v[144:145]
	v_mul_f64_e32 v[144:145], v[92:93], v[144:145]
	s_wait_loadcnt_dscnt 0x800
	v_mul_f64_e32 v[12:13], v[118:119], v[88:89]
	v_mul_f64_e32 v[110:111], v[120:121], v[88:89]
	v_add_f64_e32 v[4:5], v[4:5], v[126:127]
	v_add_f64_e32 v[8:9], v[8:9], v[150:151]
	v_fmac_f64_e32 v[128:129], v[92:93], v[142:143]
	v_fma_f64 v[92:93], v[90:91], v[142:143], -v[144:145]
	v_fmac_f64_e32 v[12:13], v[120:121], v[86:87]
	v_fma_f64 v[86:87], v[118:119], v[86:87], -v[110:111]
	v_add_f64_e32 v[4:5], v[4:5], v[10:11]
	v_add_f64_e32 v[112:113], v[8:9], v[148:149]
	ds_load_b128 v[8:11], v2 offset:1024
	ds_load_b128 v[88:91], v2 offset:1040
	s_wait_loadcnt_dscnt 0x701
	v_mul_f64_e32 v[126:127], v[8:9], v[132:133]
	v_mul_f64_e32 v[132:133], v[10:11], v[132:133]
	s_wait_loadcnt_dscnt 0x600
	v_mul_f64_e32 v[118:119], v[88:89], v[96:97]
	v_mul_f64_e32 v[96:97], v[90:91], v[96:97]
	v_add_f64_e32 v[4:5], v[4:5], v[92:93]
	v_add_f64_e32 v[92:93], v[112:113], v[128:129]
	v_fmac_f64_e32 v[126:127], v[10:11], v[130:131]
	v_fma_f64 v[120:121], v[8:9], v[130:131], -v[132:133]
	ds_load_b128 v[8:11], v2 offset:1056
	ds_load_b128 v[110:113], v2 offset:1072
	v_fmac_f64_e32 v[118:119], v[90:91], v[94:95]
	v_fma_f64 v[88:89], v[88:89], v[94:95], -v[96:97]
	v_add_f64_e32 v[4:5], v[4:5], v[86:87]
	v_add_f64_e32 v[12:13], v[92:93], v[12:13]
	s_wait_loadcnt_dscnt 0x501
	v_mul_f64_e32 v[92:93], v[8:9], v[140:141]
	v_mul_f64_e32 v[86:87], v[10:11], v[140:141]
	s_wait_loadcnt_dscnt 0x400
	v_mul_f64_e32 v[90:91], v[110:111], v[104:105]
	v_mul_f64_e32 v[94:95], v[112:113], v[104:105]
	v_add_f64_e32 v[4:5], v[4:5], v[120:121]
	v_add_f64_e32 v[12:13], v[12:13], v[126:127]
	v_fmac_f64_e32 v[92:93], v[10:11], v[138:139]
	v_fma_f64 v[96:97], v[8:9], v[138:139], -v[86:87]
	v_fmac_f64_e32 v[90:91], v[112:113], v[102:103]
	v_fma_f64 v[94:95], v[110:111], v[102:103], -v[94:95]
	v_add_f64_e32 v[4:5], v[4:5], v[88:89]
	v_add_f64_e32 v[12:13], v[12:13], v[118:119]
	ds_load_b128 v[8:11], v2 offset:1088
	ds_load_b128 v[86:89], v2 offset:1104
	s_wait_loadcnt_dscnt 0x301
	v_mul_f64_e32 v[104:105], v[8:9], v[124:125]
	v_mul_f64_e32 v[118:119], v[10:11], v[124:125]
	v_add_f64_e32 v[4:5], v[4:5], v[96:97]
	v_add_f64_e32 v[12:13], v[12:13], v[92:93]
	s_wait_loadcnt_dscnt 0x200
	v_mul_f64_e32 v[92:93], v[86:87], v[100:101]
	v_mul_f64_e32 v[96:97], v[88:89], v[100:101]
	v_fmac_f64_e32 v[104:105], v[10:11], v[122:123]
	v_fma_f64 v[100:101], v[8:9], v[122:123], -v[118:119]
	v_add_f64_e32 v[94:95], v[4:5], v[94:95]
	v_add_f64_e32 v[12:13], v[12:13], v[90:91]
	ds_load_b128 v[8:11], v2 offset:1120
	ds_load_b128 v[2:5], v2 offset:1136
	v_fmac_f64_e32 v[92:93], v[88:89], v[98:99]
	v_fma_f64 v[86:87], v[86:87], v[98:99], -v[96:97]
	s_wait_loadcnt_dscnt 0x101
	v_mul_f64_e32 v[90:91], v[8:9], v[116:117]
	v_mul_f64_e32 v[102:103], v[10:11], v[116:117]
	s_wait_loadcnt_dscnt 0x0
	v_mul_f64_e32 v[96:97], v[4:5], v[108:109]
	v_add_f64_e32 v[88:89], v[94:95], v[100:101]
	v_add_f64_e32 v[12:13], v[12:13], v[104:105]
	v_mul_f64_e32 v[94:95], v[2:3], v[108:109]
	v_fmac_f64_e32 v[90:91], v[10:11], v[114:115]
	v_fma_f64 v[8:9], v[8:9], v[114:115], -v[102:103]
	v_fma_f64 v[2:3], v[2:3], v[106:107], -v[96:97]
	v_add_f64_e32 v[10:11], v[88:89], v[86:87]
	v_add_f64_e32 v[12:13], v[12:13], v[92:93]
	v_fmac_f64_e32 v[94:95], v[4:5], v[106:107]
	s_delay_alu instid0(VALU_DEP_3) | instskip(NEXT) | instid1(VALU_DEP_3)
	v_add_f64_e32 v[4:5], v[10:11], v[8:9]
	v_add_f64_e32 v[8:9], v[12:13], v[90:91]
	s_delay_alu instid0(VALU_DEP_2) | instskip(NEXT) | instid1(VALU_DEP_2)
	v_add_f64_e32 v[2:3], v[4:5], v[2:3]
	v_add_f64_e32 v[4:5], v[8:9], v[94:95]
	s_delay_alu instid0(VALU_DEP_2) | instskip(NEXT) | instid1(VALU_DEP_2)
	v_add_f64_e64 v[2:3], v[134:135], -v[2:3]
	v_add_f64_e64 v[4:5], v[136:137], -v[4:5]
	scratch_store_b128 off, v[2:5], off offset:208
	s_wait_xcnt 0x0
	v_cmpx_lt_u32_e32 12, v1
	s_cbranch_execz .LBB35_205
; %bb.204:
	scratch_load_b128 v[2:5], off, s45
	v_mov_b32_e32 v8, 0
	s_delay_alu instid0(VALU_DEP_1)
	v_dual_mov_b32 v9, v8 :: v_dual_mov_b32 v10, v8
	v_mov_b32_e32 v11, v8
	scratch_store_b128 off, v[8:11], off offset:192
	s_wait_loadcnt 0x0
	ds_store_b128 v6, v[2:5]
.LBB35_205:
	s_wait_xcnt 0x0
	s_or_b32 exec_lo, exec_lo, s2
	s_wait_storecnt_dscnt 0x0
	s_barrier_signal -1
	s_barrier_wait -1
	s_clause 0x9
	scratch_load_b128 v[8:11], off, off offset:208
	scratch_load_b128 v[86:89], off, off offset:224
	;; [unrolled: 1-line block ×10, first 2 shown]
	v_mov_b32_e32 v2, 0
	s_mov_b32 s2, exec_lo
	ds_load_b128 v[122:125], v2 offset:784
	s_clause 0x2
	scratch_load_b128 v[126:129], off, off offset:368
	scratch_load_b128 v[130:133], off, off offset:192
	scratch_load_b128 v[138:141], off, off offset:400
	s_wait_loadcnt_dscnt 0xc00
	v_mul_f64_e32 v[4:5], v[124:125], v[10:11]
	v_mul_f64_e32 v[146:147], v[122:123], v[10:11]
	ds_load_b128 v[134:137], v2 offset:800
	scratch_load_b128 v[10:13], off, off offset:384
	ds_load_b128 v[142:145], v2 offset:832
	v_fma_f64 v[4:5], v[122:123], v[8:9], -v[4:5]
	v_fmac_f64_e32 v[146:147], v[124:125], v[8:9]
	ds_load_b128 v[122:125], v2 offset:816
	s_wait_loadcnt_dscnt 0xc02
	v_mul_f64_e32 v[148:149], v[134:135], v[88:89]
	v_mul_f64_e32 v[88:89], v[136:137], v[88:89]
	s_wait_loadcnt_dscnt 0xb00
	v_mul_f64_e32 v[8:9], v[122:123], v[92:93]
	v_mul_f64_e32 v[92:93], v[124:125], v[92:93]
	v_add_f64_e32 v[4:5], 0, v[4:5]
	v_fmac_f64_e32 v[148:149], v[136:137], v[86:87]
	v_fma_f64 v[134:135], v[134:135], v[86:87], -v[88:89]
	v_add_f64_e32 v[136:137], 0, v[146:147]
	scratch_load_b128 v[86:89], off, off offset:416
	v_fmac_f64_e32 v[8:9], v[124:125], v[90:91]
	v_fma_f64 v[150:151], v[122:123], v[90:91], -v[92:93]
	ds_load_b128 v[90:93], v2 offset:848
	s_wait_loadcnt 0xb
	v_mul_f64_e32 v[146:147], v[142:143], v[96:97]
	v_mul_f64_e32 v[96:97], v[144:145], v[96:97]
	scratch_load_b128 v[122:125], off, off offset:432
	v_add_f64_e32 v[4:5], v[4:5], v[134:135]
	v_add_f64_e32 v[148:149], v[136:137], v[148:149]
	ds_load_b128 v[134:137], v2 offset:864
	s_wait_loadcnt_dscnt 0xb01
	v_mul_f64_e32 v[152:153], v[90:91], v[100:101]
	v_mul_f64_e32 v[100:101], v[92:93], v[100:101]
	v_fmac_f64_e32 v[146:147], v[144:145], v[94:95]
	v_fma_f64 v[142:143], v[142:143], v[94:95], -v[96:97]
	scratch_load_b128 v[94:97], off, off offset:448
	v_add_f64_e32 v[4:5], v[4:5], v[150:151]
	v_add_f64_e32 v[8:9], v[148:149], v[8:9]
	v_fmac_f64_e32 v[152:153], v[92:93], v[98:99]
	v_fma_f64 v[150:151], v[90:91], v[98:99], -v[100:101]
	ds_load_b128 v[90:93], v2 offset:880
	s_wait_loadcnt_dscnt 0xb01
	v_mul_f64_e32 v[148:149], v[134:135], v[104:105]
	v_mul_f64_e32 v[104:105], v[136:137], v[104:105]
	scratch_load_b128 v[98:101], off, off offset:464
	v_add_f64_e32 v[4:5], v[4:5], v[142:143]
	v_add_f64_e32 v[8:9], v[8:9], v[146:147]
	s_wait_loadcnt_dscnt 0xb00
	v_mul_f64_e32 v[146:147], v[90:91], v[108:109]
	v_mul_f64_e32 v[108:109], v[92:93], v[108:109]
	ds_load_b128 v[142:145], v2 offset:896
	v_fmac_f64_e32 v[148:149], v[136:137], v[102:103]
	v_fma_f64 v[134:135], v[134:135], v[102:103], -v[104:105]
	scratch_load_b128 v[102:105], off, off offset:480
	v_add_f64_e32 v[4:5], v[4:5], v[150:151]
	v_add_f64_e32 v[8:9], v[8:9], v[152:153]
	v_fmac_f64_e32 v[146:147], v[92:93], v[106:107]
	v_fma_f64 v[152:153], v[90:91], v[106:107], -v[108:109]
	ds_load_b128 v[90:93], v2 offset:912
	s_wait_loadcnt_dscnt 0xb01
	v_mul_f64_e32 v[150:151], v[142:143], v[112:113]
	v_mul_f64_e32 v[112:113], v[144:145], v[112:113]
	scratch_load_b128 v[106:109], off, off offset:496
	v_add_f64_e32 v[4:5], v[4:5], v[134:135]
	v_add_f64_e32 v[8:9], v[8:9], v[148:149]
	s_wait_loadcnt_dscnt 0xb00
	v_mul_f64_e32 v[148:149], v[90:91], v[116:117]
	v_mul_f64_e32 v[116:117], v[92:93], v[116:117]
	ds_load_b128 v[134:137], v2 offset:928
	;; [unrolled: 18-line block ×3, first 2 shown]
	v_fmac_f64_e32 v[146:147], v[136:137], v[118:119]
	v_fma_f64 v[134:135], v[134:135], v[118:119], -v[120:121]
	scratch_load_b128 v[118:121], off, off offset:544
	v_add_f64_e32 v[4:5], v[4:5], v[152:153]
	v_add_f64_e32 v[8:9], v[8:9], v[148:149]
	v_fmac_f64_e32 v[150:151], v[92:93], v[126:127]
	v_fma_f64 v[152:153], v[90:91], v[126:127], -v[128:129]
	ds_load_b128 v[90:93], v2 offset:976
	s_wait_loadcnt_dscnt 0x901
	v_mul_f64_e32 v[148:149], v[142:143], v[12:13]
	v_mul_f64_e32 v[12:13], v[144:145], v[12:13]
	scratch_load_b128 v[126:129], off, off offset:560
	v_add_f64_e32 v[4:5], v[4:5], v[134:135]
	v_add_f64_e32 v[8:9], v[8:9], v[146:147]
	s_wait_dscnt 0x0
	v_mul_f64_e32 v[146:147], v[90:91], v[140:141]
	v_mul_f64_e32 v[140:141], v[92:93], v[140:141]
	ds_load_b128 v[134:137], v2 offset:992
	v_fmac_f64_e32 v[148:149], v[144:145], v[10:11]
	v_fma_f64 v[10:11], v[142:143], v[10:11], -v[12:13]
	v_add_f64_e32 v[4:5], v[4:5], v[152:153]
	v_add_f64_e32 v[8:9], v[8:9], v[150:151]
	s_wait_loadcnt_dscnt 0x900
	v_mul_f64_e32 v[12:13], v[134:135], v[88:89]
	v_mul_f64_e32 v[142:143], v[136:137], v[88:89]
	v_fmac_f64_e32 v[146:147], v[92:93], v[138:139]
	v_fma_f64 v[92:93], v[90:91], v[138:139], -v[140:141]
	v_add_f64_e32 v[4:5], v[4:5], v[10:11]
	v_add_f64_e32 v[138:139], v[8:9], v[148:149]
	ds_load_b128 v[8:11], v2 offset:1008
	ds_load_b128 v[88:91], v2 offset:1024
	v_fmac_f64_e32 v[12:13], v[136:137], v[86:87]
	v_fma_f64 v[86:87], v[134:135], v[86:87], -v[142:143]
	s_wait_loadcnt_dscnt 0x801
	v_mul_f64_e32 v[140:141], v[8:9], v[124:125]
	v_mul_f64_e32 v[124:125], v[10:11], v[124:125]
	s_wait_loadcnt_dscnt 0x700
	v_mul_f64_e32 v[134:135], v[88:89], v[96:97]
	v_mul_f64_e32 v[96:97], v[90:91], v[96:97]
	v_add_f64_e32 v[4:5], v[4:5], v[92:93]
	v_add_f64_e32 v[92:93], v[138:139], v[146:147]
	v_fmac_f64_e32 v[140:141], v[10:11], v[122:123]
	v_fma_f64 v[136:137], v[8:9], v[122:123], -v[124:125]
	ds_load_b128 v[8:11], v2 offset:1040
	ds_load_b128 v[122:125], v2 offset:1056
	v_fmac_f64_e32 v[134:135], v[90:91], v[94:95]
	v_fma_f64 v[88:89], v[88:89], v[94:95], -v[96:97]
	v_add_f64_e32 v[4:5], v[4:5], v[86:87]
	v_add_f64_e32 v[12:13], v[92:93], v[12:13]
	s_wait_loadcnt_dscnt 0x601
	v_mul_f64_e32 v[92:93], v[8:9], v[100:101]
	v_mul_f64_e32 v[86:87], v[10:11], v[100:101]
	s_wait_loadcnt_dscnt 0x500
	v_mul_f64_e32 v[90:91], v[122:123], v[104:105]
	v_mul_f64_e32 v[94:95], v[124:125], v[104:105]
	v_add_f64_e32 v[4:5], v[4:5], v[136:137]
	v_add_f64_e32 v[12:13], v[12:13], v[140:141]
	v_fmac_f64_e32 v[92:93], v[10:11], v[98:99]
	v_fma_f64 v[96:97], v[8:9], v[98:99], -v[86:87]
	v_fmac_f64_e32 v[90:91], v[124:125], v[102:103]
	v_fma_f64 v[94:95], v[122:123], v[102:103], -v[94:95]
	v_add_f64_e32 v[4:5], v[4:5], v[88:89]
	v_add_f64_e32 v[12:13], v[12:13], v[134:135]
	ds_load_b128 v[8:11], v2 offset:1072
	ds_load_b128 v[86:89], v2 offset:1088
	s_wait_loadcnt_dscnt 0x401
	v_mul_f64_e32 v[98:99], v[8:9], v[108:109]
	v_mul_f64_e32 v[100:101], v[10:11], v[108:109]
	s_wait_loadcnt_dscnt 0x300
	v_mul_f64_e32 v[102:103], v[88:89], v[112:113]
	v_add_f64_e32 v[4:5], v[4:5], v[96:97]
	v_add_f64_e32 v[12:13], v[12:13], v[92:93]
	v_mul_f64_e32 v[96:97], v[86:87], v[112:113]
	v_fmac_f64_e32 v[98:99], v[10:11], v[106:107]
	v_fma_f64 v[100:101], v[8:9], v[106:107], -v[100:101]
	v_fma_f64 v[86:87], v[86:87], v[110:111], -v[102:103]
	v_add_f64_e32 v[4:5], v[4:5], v[94:95]
	v_add_f64_e32 v[12:13], v[12:13], v[90:91]
	ds_load_b128 v[8:11], v2 offset:1104
	ds_load_b128 v[90:93], v2 offset:1120
	v_fmac_f64_e32 v[96:97], v[88:89], v[110:111]
	s_wait_loadcnt_dscnt 0x201
	v_mul_f64_e32 v[94:95], v[8:9], v[116:117]
	v_mul_f64_e32 v[104:105], v[10:11], v[116:117]
	s_wait_loadcnt_dscnt 0x100
	v_mul_f64_e32 v[88:89], v[90:91], v[120:121]
	v_add_f64_e32 v[4:5], v[4:5], v[100:101]
	v_add_f64_e32 v[12:13], v[12:13], v[98:99]
	v_mul_f64_e32 v[98:99], v[92:93], v[120:121]
	v_fmac_f64_e32 v[94:95], v[10:11], v[114:115]
	v_fma_f64 v[100:101], v[8:9], v[114:115], -v[104:105]
	ds_load_b128 v[8:11], v2 offset:1136
	v_fmac_f64_e32 v[88:89], v[92:93], v[118:119]
	v_add_f64_e32 v[4:5], v[4:5], v[86:87]
	v_add_f64_e32 v[12:13], v[12:13], v[96:97]
	v_fma_f64 v[90:91], v[90:91], v[118:119], -v[98:99]
	s_wait_loadcnt_dscnt 0x0
	v_mul_f64_e32 v[86:87], v[8:9], v[128:129]
	v_mul_f64_e32 v[96:97], v[10:11], v[128:129]
	v_add_f64_e32 v[4:5], v[4:5], v[100:101]
	v_add_f64_e32 v[12:13], v[12:13], v[94:95]
	s_delay_alu instid0(VALU_DEP_4) | instskip(NEXT) | instid1(VALU_DEP_4)
	v_fmac_f64_e32 v[86:87], v[10:11], v[126:127]
	v_fma_f64 v[8:9], v[8:9], v[126:127], -v[96:97]
	s_delay_alu instid0(VALU_DEP_4) | instskip(NEXT) | instid1(VALU_DEP_4)
	v_add_f64_e32 v[4:5], v[4:5], v[90:91]
	v_add_f64_e32 v[10:11], v[12:13], v[88:89]
	s_delay_alu instid0(VALU_DEP_2) | instskip(NEXT) | instid1(VALU_DEP_2)
	v_add_f64_e32 v[4:5], v[4:5], v[8:9]
	v_add_f64_e32 v[10:11], v[10:11], v[86:87]
	s_delay_alu instid0(VALU_DEP_2) | instskip(NEXT) | instid1(VALU_DEP_2)
	v_add_f64_e64 v[8:9], v[130:131], -v[4:5]
	v_add_f64_e64 v[10:11], v[132:133], -v[10:11]
	scratch_store_b128 off, v[8:11], off offset:192
	s_wait_xcnt 0x0
	v_cmpx_lt_u32_e32 11, v1
	s_cbranch_execz .LBB35_207
; %bb.206:
	scratch_load_b128 v[8:11], off, s43
	v_dual_mov_b32 v3, v2 :: v_dual_mov_b32 v4, v2
	v_mov_b32_e32 v5, v2
	scratch_store_b128 off, v[2:5], off offset:176
	s_wait_loadcnt 0x0
	ds_store_b128 v6, v[8:11]
.LBB35_207:
	s_wait_xcnt 0x0
	s_or_b32 exec_lo, exec_lo, s2
	s_wait_storecnt_dscnt 0x0
	s_barrier_signal -1
	s_barrier_wait -1
	s_clause 0x9
	scratch_load_b128 v[8:11], off, off offset:192
	scratch_load_b128 v[86:89], off, off offset:208
	;; [unrolled: 1-line block ×10, first 2 shown]
	ds_load_b128 v[122:125], v2 offset:768
	ds_load_b128 v[130:133], v2 offset:784
	s_clause 0x1
	scratch_load_b128 v[126:129], off, off offset:352
	scratch_load_b128 v[134:137], off, off offset:176
	s_mov_b32 s2, exec_lo
	s_wait_loadcnt_dscnt 0xb01
	v_mul_f64_e32 v[4:5], v[124:125], v[10:11]
	v_mul_f64_e32 v[146:147], v[122:123], v[10:11]
	scratch_load_b128 v[10:13], off, off offset:368
	s_wait_loadcnt_dscnt 0xb00
	v_mul_f64_e32 v[148:149], v[130:131], v[88:89]
	v_mul_f64_e32 v[88:89], v[132:133], v[88:89]
	v_fma_f64 v[4:5], v[122:123], v[8:9], -v[4:5]
	v_fmac_f64_e32 v[146:147], v[124:125], v[8:9]
	ds_load_b128 v[122:125], v2 offset:800
	ds_load_b128 v[138:141], v2 offset:816
	scratch_load_b128 v[142:145], off, off offset:384
	v_fmac_f64_e32 v[148:149], v[132:133], v[86:87]
	v_fma_f64 v[130:131], v[130:131], v[86:87], -v[88:89]
	scratch_load_b128 v[86:89], off, off offset:400
	s_wait_loadcnt_dscnt 0xc01
	v_mul_f64_e32 v[8:9], v[122:123], v[92:93]
	v_mul_f64_e32 v[92:93], v[124:125], v[92:93]
	v_add_f64_e32 v[4:5], 0, v[4:5]
	v_add_f64_e32 v[132:133], 0, v[146:147]
	s_wait_loadcnt_dscnt 0xb00
	v_mul_f64_e32 v[146:147], v[138:139], v[96:97]
	v_mul_f64_e32 v[96:97], v[140:141], v[96:97]
	v_fmac_f64_e32 v[8:9], v[124:125], v[90:91]
	v_fma_f64 v[150:151], v[122:123], v[90:91], -v[92:93]
	ds_load_b128 v[90:93], v2 offset:832
	ds_load_b128 v[122:125], v2 offset:848
	v_add_f64_e32 v[4:5], v[4:5], v[130:131]
	v_add_f64_e32 v[148:149], v[132:133], v[148:149]
	scratch_load_b128 v[130:133], off, off offset:416
	v_fmac_f64_e32 v[146:147], v[140:141], v[94:95]
	v_fma_f64 v[138:139], v[138:139], v[94:95], -v[96:97]
	scratch_load_b128 v[94:97], off, off offset:432
	s_wait_loadcnt_dscnt 0xc01
	v_mul_f64_e32 v[152:153], v[90:91], v[100:101]
	v_mul_f64_e32 v[100:101], v[92:93], v[100:101]
	v_add_f64_e32 v[4:5], v[4:5], v[150:151]
	v_add_f64_e32 v[8:9], v[148:149], v[8:9]
	s_wait_loadcnt_dscnt 0xb00
	v_mul_f64_e32 v[148:149], v[122:123], v[104:105]
	v_mul_f64_e32 v[104:105], v[124:125], v[104:105]
	v_fmac_f64_e32 v[152:153], v[92:93], v[98:99]
	v_fma_f64 v[150:151], v[90:91], v[98:99], -v[100:101]
	ds_load_b128 v[90:93], v2 offset:864
	ds_load_b128 v[98:101], v2 offset:880
	v_add_f64_e32 v[4:5], v[4:5], v[138:139]
	v_add_f64_e32 v[8:9], v[8:9], v[146:147]
	scratch_load_b128 v[138:141], off, off offset:448
	s_wait_loadcnt_dscnt 0xb01
	v_mul_f64_e32 v[146:147], v[90:91], v[108:109]
	v_mul_f64_e32 v[108:109], v[92:93], v[108:109]
	v_fmac_f64_e32 v[148:149], v[124:125], v[102:103]
	v_fma_f64 v[122:123], v[122:123], v[102:103], -v[104:105]
	scratch_load_b128 v[102:105], off, off offset:464
	v_add_f64_e32 v[4:5], v[4:5], v[150:151]
	v_add_f64_e32 v[8:9], v[8:9], v[152:153]
	s_wait_loadcnt_dscnt 0xb00
	v_mul_f64_e32 v[150:151], v[98:99], v[112:113]
	v_mul_f64_e32 v[112:113], v[100:101], v[112:113]
	v_fmac_f64_e32 v[146:147], v[92:93], v[106:107]
	v_fma_f64 v[152:153], v[90:91], v[106:107], -v[108:109]
	ds_load_b128 v[90:93], v2 offset:896
	ds_load_b128 v[106:109], v2 offset:912
	v_add_f64_e32 v[4:5], v[4:5], v[122:123]
	v_add_f64_e32 v[8:9], v[8:9], v[148:149]
	scratch_load_b128 v[122:125], off, off offset:480
	s_wait_loadcnt_dscnt 0xb01
	v_mul_f64_e32 v[148:149], v[90:91], v[116:117]
	v_mul_f64_e32 v[116:117], v[92:93], v[116:117]
	v_fmac_f64_e32 v[150:151], v[100:101], v[110:111]
	v_fma_f64 v[110:111], v[98:99], v[110:111], -v[112:113]
	scratch_load_b128 v[98:101], off, off offset:496
	v_add_f64_e32 v[4:5], v[4:5], v[152:153]
	v_add_f64_e32 v[8:9], v[8:9], v[146:147]
	s_wait_loadcnt_dscnt 0xb00
	v_mul_f64_e32 v[146:147], v[106:107], v[120:121]
	v_mul_f64_e32 v[120:121], v[108:109], v[120:121]
	v_fmac_f64_e32 v[148:149], v[92:93], v[114:115]
	v_fma_f64 v[152:153], v[90:91], v[114:115], -v[116:117]
	v_add_f64_e32 v[4:5], v[4:5], v[110:111]
	v_add_f64_e32 v[8:9], v[8:9], v[150:151]
	ds_load_b128 v[90:93], v2 offset:928
	ds_load_b128 v[110:113], v2 offset:944
	scratch_load_b128 v[114:117], off, off offset:512
	v_fmac_f64_e32 v[146:147], v[108:109], v[118:119]
	v_fma_f64 v[118:119], v[106:107], v[118:119], -v[120:121]
	scratch_load_b128 v[106:109], off, off offset:528
	s_wait_loadcnt_dscnt 0xc01
	v_mul_f64_e32 v[150:151], v[90:91], v[128:129]
	v_mul_f64_e32 v[128:129], v[92:93], v[128:129]
	v_add_f64_e32 v[4:5], v[4:5], v[152:153]
	v_add_f64_e32 v[8:9], v[8:9], v[148:149]
	s_wait_loadcnt_dscnt 0xa00
	v_mul_f64_e32 v[148:149], v[110:111], v[12:13]
	v_mul_f64_e32 v[12:13], v[112:113], v[12:13]
	v_fmac_f64_e32 v[150:151], v[92:93], v[126:127]
	v_fma_f64 v[152:153], v[90:91], v[126:127], -v[128:129]
	v_add_f64_e32 v[4:5], v[4:5], v[118:119]
	v_add_f64_e32 v[8:9], v[8:9], v[146:147]
	ds_load_b128 v[90:93], v2 offset:960
	ds_load_b128 v[118:121], v2 offset:976
	scratch_load_b128 v[126:129], off, off offset:544
	v_fmac_f64_e32 v[148:149], v[112:113], v[10:11]
	v_fma_f64 v[12:13], v[110:111], v[10:11], -v[12:13]
	s_wait_loadcnt_dscnt 0xa01
	v_mul_f64_e32 v[146:147], v[90:91], v[144:145]
	v_mul_f64_e32 v[144:145], v[92:93], v[144:145]
	v_add_f64_e32 v[4:5], v[4:5], v[152:153]
	v_add_f64_e32 v[110:111], v[8:9], v[150:151]
	scratch_load_b128 v[8:11], off, off offset:560
	s_wait_loadcnt_dscnt 0xa00
	v_mul_f64_e32 v[150:151], v[118:119], v[88:89]
	v_mul_f64_e32 v[152:153], v[120:121], v[88:89]
	v_fmac_f64_e32 v[146:147], v[92:93], v[142:143]
	v_fma_f64 v[92:93], v[90:91], v[142:143], -v[144:145]
	v_add_f64_e32 v[4:5], v[4:5], v[12:13]
	v_add_f64_e32 v[12:13], v[110:111], v[148:149]
	ds_load_b128 v[88:91], v2 offset:992
	ds_load_b128 v[110:113], v2 offset:1008
	v_fmac_f64_e32 v[150:151], v[120:121], v[86:87]
	v_fma_f64 v[86:87], v[118:119], v[86:87], -v[152:153]
	s_wait_loadcnt_dscnt 0x901
	v_mul_f64_e32 v[142:143], v[88:89], v[132:133]
	v_mul_f64_e32 v[132:133], v[90:91], v[132:133]
	s_wait_loadcnt_dscnt 0x800
	v_mul_f64_e32 v[118:119], v[110:111], v[96:97]
	v_mul_f64_e32 v[96:97], v[112:113], v[96:97]
	v_add_f64_e32 v[4:5], v[4:5], v[92:93]
	v_add_f64_e32 v[12:13], v[12:13], v[146:147]
	v_fmac_f64_e32 v[142:143], v[90:91], v[130:131]
	v_fma_f64 v[120:121], v[88:89], v[130:131], -v[132:133]
	v_fmac_f64_e32 v[118:119], v[112:113], v[94:95]
	v_fma_f64 v[94:95], v[110:111], v[94:95], -v[96:97]
	v_add_f64_e32 v[4:5], v[4:5], v[86:87]
	v_add_f64_e32 v[12:13], v[12:13], v[150:151]
	ds_load_b128 v[86:89], v2 offset:1024
	ds_load_b128 v[90:93], v2 offset:1040
	s_wait_loadcnt_dscnt 0x701
	v_mul_f64_e32 v[130:131], v[86:87], v[140:141]
	v_mul_f64_e32 v[132:133], v[88:89], v[140:141]
	s_wait_loadcnt_dscnt 0x600
	v_mul_f64_e32 v[110:111], v[90:91], v[104:105]
	v_mul_f64_e32 v[104:105], v[92:93], v[104:105]
	v_add_f64_e32 v[4:5], v[4:5], v[120:121]
	v_add_f64_e32 v[12:13], v[12:13], v[142:143]
	v_fmac_f64_e32 v[130:131], v[88:89], v[138:139]
	v_fma_f64 v[112:113], v[86:87], v[138:139], -v[132:133]
	v_fmac_f64_e32 v[110:111], v[92:93], v[102:103]
	v_fma_f64 v[90:91], v[90:91], v[102:103], -v[104:105]
	v_add_f64_e32 v[4:5], v[4:5], v[94:95]
	v_add_f64_e32 v[12:13], v[12:13], v[118:119]
	ds_load_b128 v[86:89], v2 offset:1056
	ds_load_b128 v[94:97], v2 offset:1072
	;; [unrolled: 16-line block ×4, first 2 shown]
	s_wait_loadcnt_dscnt 0x101
	v_mul_f64_e32 v[102:103], v[86:87], v[128:129]
	v_mul_f64_e32 v[104:105], v[88:89], v[128:129]
	v_add_f64_e32 v[92:93], v[94:95], v[100:101]
	v_add_f64_e32 v[12:13], v[12:13], v[110:111]
	s_wait_loadcnt_dscnt 0x0
	v_mul_f64_e32 v[94:95], v[2:3], v[10:11]
	v_mul_f64_e32 v[10:11], v[4:5], v[10:11]
	v_fmac_f64_e32 v[102:103], v[88:89], v[126:127]
	v_fma_f64 v[86:87], v[86:87], v[126:127], -v[104:105]
	v_add_f64_e32 v[88:89], v[92:93], v[90:91]
	v_add_f64_e32 v[12:13], v[12:13], v[96:97]
	v_fmac_f64_e32 v[94:95], v[4:5], v[8:9]
	v_fma_f64 v[2:3], v[2:3], v[8:9], -v[10:11]
	s_delay_alu instid0(VALU_DEP_4) | instskip(NEXT) | instid1(VALU_DEP_4)
	v_add_f64_e32 v[4:5], v[88:89], v[86:87]
	v_add_f64_e32 v[8:9], v[12:13], v[102:103]
	s_delay_alu instid0(VALU_DEP_2) | instskip(NEXT) | instid1(VALU_DEP_2)
	v_add_f64_e32 v[2:3], v[4:5], v[2:3]
	v_add_f64_e32 v[4:5], v[8:9], v[94:95]
	s_delay_alu instid0(VALU_DEP_2) | instskip(NEXT) | instid1(VALU_DEP_2)
	v_add_f64_e64 v[2:3], v[134:135], -v[2:3]
	v_add_f64_e64 v[4:5], v[136:137], -v[4:5]
	scratch_store_b128 off, v[2:5], off offset:176
	s_wait_xcnt 0x0
	v_cmpx_lt_u32_e32 10, v1
	s_cbranch_execz .LBB35_209
; %bb.208:
	scratch_load_b128 v[2:5], off, s40
	v_mov_b32_e32 v8, 0
	s_delay_alu instid0(VALU_DEP_1)
	v_dual_mov_b32 v9, v8 :: v_dual_mov_b32 v10, v8
	v_mov_b32_e32 v11, v8
	scratch_store_b128 off, v[8:11], off offset:160
	s_wait_loadcnt 0x0
	ds_store_b128 v6, v[2:5]
.LBB35_209:
	s_wait_xcnt 0x0
	s_or_b32 exec_lo, exec_lo, s2
	s_wait_storecnt_dscnt 0x0
	s_barrier_signal -1
	s_barrier_wait -1
	s_clause 0x9
	scratch_load_b128 v[8:11], off, off offset:176
	scratch_load_b128 v[86:89], off, off offset:192
	;; [unrolled: 1-line block ×10, first 2 shown]
	v_mov_b32_e32 v2, 0
	s_mov_b32 s2, exec_lo
	ds_load_b128 v[122:125], v2 offset:752
	s_clause 0x2
	scratch_load_b128 v[126:129], off, off offset:336
	scratch_load_b128 v[130:133], off, off offset:160
	;; [unrolled: 1-line block ×3, first 2 shown]
	s_wait_loadcnt_dscnt 0xc00
	v_mul_f64_e32 v[4:5], v[124:125], v[10:11]
	v_mul_f64_e32 v[146:147], v[122:123], v[10:11]
	ds_load_b128 v[134:137], v2 offset:768
	scratch_load_b128 v[10:13], off, off offset:352
	ds_load_b128 v[142:145], v2 offset:800
	v_fma_f64 v[4:5], v[122:123], v[8:9], -v[4:5]
	v_fmac_f64_e32 v[146:147], v[124:125], v[8:9]
	ds_load_b128 v[122:125], v2 offset:784
	s_wait_loadcnt_dscnt 0xc02
	v_mul_f64_e32 v[148:149], v[134:135], v[88:89]
	v_mul_f64_e32 v[88:89], v[136:137], v[88:89]
	s_wait_loadcnt_dscnt 0xb00
	v_mul_f64_e32 v[8:9], v[122:123], v[92:93]
	v_mul_f64_e32 v[92:93], v[124:125], v[92:93]
	v_add_f64_e32 v[4:5], 0, v[4:5]
	v_fmac_f64_e32 v[148:149], v[136:137], v[86:87]
	v_fma_f64 v[134:135], v[134:135], v[86:87], -v[88:89]
	v_add_f64_e32 v[136:137], 0, v[146:147]
	scratch_load_b128 v[86:89], off, off offset:384
	v_fmac_f64_e32 v[8:9], v[124:125], v[90:91]
	v_fma_f64 v[150:151], v[122:123], v[90:91], -v[92:93]
	ds_load_b128 v[90:93], v2 offset:816
	s_wait_loadcnt 0xb
	v_mul_f64_e32 v[146:147], v[142:143], v[96:97]
	v_mul_f64_e32 v[96:97], v[144:145], v[96:97]
	scratch_load_b128 v[122:125], off, off offset:400
	v_add_f64_e32 v[4:5], v[4:5], v[134:135]
	v_add_f64_e32 v[148:149], v[136:137], v[148:149]
	ds_load_b128 v[134:137], v2 offset:832
	s_wait_loadcnt_dscnt 0xb01
	v_mul_f64_e32 v[152:153], v[90:91], v[100:101]
	v_mul_f64_e32 v[100:101], v[92:93], v[100:101]
	v_fmac_f64_e32 v[146:147], v[144:145], v[94:95]
	v_fma_f64 v[142:143], v[142:143], v[94:95], -v[96:97]
	scratch_load_b128 v[94:97], off, off offset:416
	v_add_f64_e32 v[4:5], v[4:5], v[150:151]
	v_add_f64_e32 v[8:9], v[148:149], v[8:9]
	v_fmac_f64_e32 v[152:153], v[92:93], v[98:99]
	v_fma_f64 v[150:151], v[90:91], v[98:99], -v[100:101]
	ds_load_b128 v[90:93], v2 offset:848
	s_wait_loadcnt_dscnt 0xb01
	v_mul_f64_e32 v[148:149], v[134:135], v[104:105]
	v_mul_f64_e32 v[104:105], v[136:137], v[104:105]
	scratch_load_b128 v[98:101], off, off offset:432
	v_add_f64_e32 v[4:5], v[4:5], v[142:143]
	v_add_f64_e32 v[8:9], v[8:9], v[146:147]
	s_wait_loadcnt_dscnt 0xb00
	v_mul_f64_e32 v[146:147], v[90:91], v[108:109]
	v_mul_f64_e32 v[108:109], v[92:93], v[108:109]
	ds_load_b128 v[142:145], v2 offset:864
	v_fmac_f64_e32 v[148:149], v[136:137], v[102:103]
	v_fma_f64 v[134:135], v[134:135], v[102:103], -v[104:105]
	scratch_load_b128 v[102:105], off, off offset:448
	v_add_f64_e32 v[4:5], v[4:5], v[150:151]
	v_add_f64_e32 v[8:9], v[8:9], v[152:153]
	v_fmac_f64_e32 v[146:147], v[92:93], v[106:107]
	v_fma_f64 v[152:153], v[90:91], v[106:107], -v[108:109]
	ds_load_b128 v[90:93], v2 offset:880
	s_wait_loadcnt_dscnt 0xb01
	v_mul_f64_e32 v[150:151], v[142:143], v[112:113]
	v_mul_f64_e32 v[112:113], v[144:145], v[112:113]
	scratch_load_b128 v[106:109], off, off offset:464
	v_add_f64_e32 v[4:5], v[4:5], v[134:135]
	v_add_f64_e32 v[8:9], v[8:9], v[148:149]
	s_wait_loadcnt_dscnt 0xb00
	v_mul_f64_e32 v[148:149], v[90:91], v[116:117]
	v_mul_f64_e32 v[116:117], v[92:93], v[116:117]
	ds_load_b128 v[134:137], v2 offset:896
	;; [unrolled: 18-line block ×3, first 2 shown]
	v_fmac_f64_e32 v[146:147], v[136:137], v[118:119]
	v_fma_f64 v[134:135], v[134:135], v[118:119], -v[120:121]
	scratch_load_b128 v[118:121], off, off offset:512
	v_add_f64_e32 v[4:5], v[4:5], v[152:153]
	v_add_f64_e32 v[8:9], v[8:9], v[148:149]
	v_fmac_f64_e32 v[150:151], v[92:93], v[126:127]
	v_fma_f64 v[152:153], v[90:91], v[126:127], -v[128:129]
	ds_load_b128 v[90:93], v2 offset:944
	s_wait_loadcnt_dscnt 0x901
	v_mul_f64_e32 v[148:149], v[142:143], v[12:13]
	v_mul_f64_e32 v[12:13], v[144:145], v[12:13]
	scratch_load_b128 v[126:129], off, off offset:528
	v_add_f64_e32 v[4:5], v[4:5], v[134:135]
	v_add_f64_e32 v[8:9], v[8:9], v[146:147]
	s_wait_dscnt 0x0
	v_mul_f64_e32 v[146:147], v[90:91], v[140:141]
	v_mul_f64_e32 v[140:141], v[92:93], v[140:141]
	ds_load_b128 v[134:137], v2 offset:960
	v_fmac_f64_e32 v[148:149], v[144:145], v[10:11]
	v_fma_f64 v[12:13], v[142:143], v[10:11], -v[12:13]
	v_add_f64_e32 v[4:5], v[4:5], v[152:153]
	v_add_f64_e32 v[142:143], v[8:9], v[150:151]
	scratch_load_b128 v[8:11], off, off offset:544
	v_fmac_f64_e32 v[146:147], v[92:93], v[138:139]
	v_fma_f64 v[92:93], v[90:91], v[138:139], -v[140:141]
	scratch_load_b128 v[138:141], off, off offset:560
	v_add_f64_e32 v[4:5], v[4:5], v[12:13]
	v_add_f64_e32 v[12:13], v[142:143], v[148:149]
	ds_load_b128 v[142:145], v2 offset:992
	s_wait_loadcnt_dscnt 0xb01
	v_mul_f64_e32 v[150:151], v[134:135], v[88:89]
	v_mul_f64_e32 v[152:153], v[136:137], v[88:89]
	ds_load_b128 v[88:91], v2 offset:976
	s_wait_loadcnt_dscnt 0xa00
	v_mul_f64_e32 v[148:149], v[88:89], v[124:125]
	v_mul_f64_e32 v[124:125], v[90:91], v[124:125]
	v_add_f64_e32 v[4:5], v[4:5], v[92:93]
	v_add_f64_e32 v[12:13], v[12:13], v[146:147]
	v_fmac_f64_e32 v[150:151], v[136:137], v[86:87]
	v_fma_f64 v[86:87], v[134:135], v[86:87], -v[152:153]
	s_wait_loadcnt 0x9
	v_mul_f64_e32 v[134:135], v[142:143], v[96:97]
	v_mul_f64_e32 v[96:97], v[144:145], v[96:97]
	v_fmac_f64_e32 v[148:149], v[90:91], v[122:123]
	v_fma_f64 v[122:123], v[88:89], v[122:123], -v[124:125]
	v_add_f64_e32 v[12:13], v[12:13], v[150:151]
	v_add_f64_e32 v[4:5], v[4:5], v[86:87]
	ds_load_b128 v[86:89], v2 offset:1008
	ds_load_b128 v[90:93], v2 offset:1024
	v_fmac_f64_e32 v[134:135], v[144:145], v[94:95]
	v_fma_f64 v[94:95], v[142:143], v[94:95], -v[96:97]
	s_wait_loadcnt_dscnt 0x801
	v_mul_f64_e32 v[124:125], v[86:87], v[100:101]
	v_mul_f64_e32 v[100:101], v[88:89], v[100:101]
	v_add_f64_e32 v[12:13], v[12:13], v[148:149]
	v_add_f64_e32 v[4:5], v[4:5], v[122:123]
	s_wait_loadcnt_dscnt 0x700
	v_mul_f64_e32 v[122:123], v[90:91], v[104:105]
	v_mul_f64_e32 v[104:105], v[92:93], v[104:105]
	v_fmac_f64_e32 v[124:125], v[88:89], v[98:99]
	v_fma_f64 v[98:99], v[86:87], v[98:99], -v[100:101]
	v_add_f64_e32 v[12:13], v[12:13], v[134:135]
	v_add_f64_e32 v[4:5], v[4:5], v[94:95]
	ds_load_b128 v[86:89], v2 offset:1040
	ds_load_b128 v[94:97], v2 offset:1056
	v_fmac_f64_e32 v[122:123], v[92:93], v[102:103]
	v_fma_f64 v[90:91], v[90:91], v[102:103], -v[104:105]
	s_wait_loadcnt_dscnt 0x601
	v_mul_f64_e32 v[100:101], v[86:87], v[108:109]
	v_mul_f64_e32 v[108:109], v[88:89], v[108:109]
	s_wait_loadcnt_dscnt 0x500
	v_mul_f64_e32 v[102:103], v[96:97], v[112:113]
	v_add_f64_e32 v[12:13], v[12:13], v[124:125]
	v_add_f64_e32 v[4:5], v[4:5], v[98:99]
	v_mul_f64_e32 v[98:99], v[94:95], v[112:113]
	v_fmac_f64_e32 v[100:101], v[88:89], v[106:107]
	v_fma_f64 v[104:105], v[86:87], v[106:107], -v[108:109]
	v_fma_f64 v[94:95], v[94:95], v[110:111], -v[102:103]
	v_add_f64_e32 v[12:13], v[12:13], v[122:123]
	v_add_f64_e32 v[4:5], v[4:5], v[90:91]
	ds_load_b128 v[86:89], v2 offset:1072
	ds_load_b128 v[90:93], v2 offset:1088
	v_fmac_f64_e32 v[98:99], v[96:97], v[110:111]
	s_wait_loadcnt_dscnt 0x401
	v_mul_f64_e32 v[106:107], v[86:87], v[116:117]
	v_mul_f64_e32 v[108:109], v[88:89], v[116:117]
	s_wait_loadcnt_dscnt 0x300
	v_mul_f64_e32 v[102:103], v[92:93], v[120:121]
	v_add_f64_e32 v[12:13], v[12:13], v[100:101]
	v_add_f64_e32 v[4:5], v[4:5], v[104:105]
	v_mul_f64_e32 v[100:101], v[90:91], v[120:121]
	v_fmac_f64_e32 v[106:107], v[88:89], v[114:115]
	v_fma_f64 v[104:105], v[86:87], v[114:115], -v[108:109]
	v_fma_f64 v[90:91], v[90:91], v[118:119], -v[102:103]
	v_add_f64_e32 v[12:13], v[12:13], v[98:99]
	v_add_f64_e32 v[4:5], v[4:5], v[94:95]
	ds_load_b128 v[86:89], v2 offset:1104
	ds_load_b128 v[94:97], v2 offset:1120
	v_fmac_f64_e32 v[100:101], v[92:93], v[118:119]
	s_wait_loadcnt_dscnt 0x201
	v_mul_f64_e32 v[98:99], v[86:87], v[128:129]
	v_mul_f64_e32 v[108:109], v[88:89], v[128:129]
	s_wait_loadcnt_dscnt 0x100
	v_mul_f64_e32 v[92:93], v[94:95], v[10:11]
	v_add_f64_e32 v[12:13], v[12:13], v[106:107]
	v_add_f64_e32 v[4:5], v[4:5], v[104:105]
	v_mul_f64_e32 v[102:103], v[96:97], v[10:11]
	v_fmac_f64_e32 v[98:99], v[88:89], v[126:127]
	v_fma_f64 v[86:87], v[86:87], v[126:127], -v[108:109]
	v_fmac_f64_e32 v[92:93], v[96:97], v[8:9]
	v_add_f64_e32 v[88:89], v[12:13], v[100:101]
	v_add_f64_e32 v[4:5], v[4:5], v[90:91]
	ds_load_b128 v[10:13], v2 offset:1136
	v_fma_f64 v[8:9], v[94:95], v[8:9], -v[102:103]
	s_wait_loadcnt_dscnt 0x0
	v_mul_f64_e32 v[90:91], v[10:11], v[140:141]
	v_mul_f64_e32 v[100:101], v[12:13], v[140:141]
	v_add_f64_e32 v[4:5], v[4:5], v[86:87]
	v_add_f64_e32 v[86:87], v[88:89], v[98:99]
	s_delay_alu instid0(VALU_DEP_4) | instskip(NEXT) | instid1(VALU_DEP_4)
	v_fmac_f64_e32 v[90:91], v[12:13], v[138:139]
	v_fma_f64 v[10:11], v[10:11], v[138:139], -v[100:101]
	s_delay_alu instid0(VALU_DEP_4) | instskip(NEXT) | instid1(VALU_DEP_4)
	v_add_f64_e32 v[4:5], v[4:5], v[8:9]
	v_add_f64_e32 v[8:9], v[86:87], v[92:93]
	s_delay_alu instid0(VALU_DEP_2) | instskip(NEXT) | instid1(VALU_DEP_2)
	v_add_f64_e32 v[4:5], v[4:5], v[10:11]
	v_add_f64_e32 v[10:11], v[8:9], v[90:91]
	s_delay_alu instid0(VALU_DEP_2) | instskip(NEXT) | instid1(VALU_DEP_2)
	v_add_f64_e64 v[8:9], v[130:131], -v[4:5]
	v_add_f64_e64 v[10:11], v[132:133], -v[10:11]
	scratch_store_b128 off, v[8:11], off offset:160
	s_wait_xcnt 0x0
	v_cmpx_lt_u32_e32 9, v1
	s_cbranch_execz .LBB35_211
; %bb.210:
	scratch_load_b128 v[8:11], off, s38
	v_dual_mov_b32 v3, v2 :: v_dual_mov_b32 v4, v2
	v_mov_b32_e32 v5, v2
	scratch_store_b128 off, v[2:5], off offset:144
	s_wait_loadcnt 0x0
	ds_store_b128 v6, v[8:11]
.LBB35_211:
	s_wait_xcnt 0x0
	s_or_b32 exec_lo, exec_lo, s2
	s_wait_storecnt_dscnt 0x0
	s_barrier_signal -1
	s_barrier_wait -1
	s_clause 0x9
	scratch_load_b128 v[8:11], off, off offset:160
	scratch_load_b128 v[86:89], off, off offset:176
	;; [unrolled: 1-line block ×10, first 2 shown]
	ds_load_b128 v[122:125], v2 offset:736
	ds_load_b128 v[130:133], v2 offset:752
	s_clause 0x1
	scratch_load_b128 v[126:129], off, off offset:320
	scratch_load_b128 v[134:137], off, off offset:144
	s_mov_b32 s2, exec_lo
	s_wait_loadcnt_dscnt 0xb01
	v_mul_f64_e32 v[4:5], v[124:125], v[10:11]
	v_mul_f64_e32 v[146:147], v[122:123], v[10:11]
	scratch_load_b128 v[10:13], off, off offset:336
	s_wait_loadcnt_dscnt 0xb00
	v_mul_f64_e32 v[148:149], v[130:131], v[88:89]
	v_mul_f64_e32 v[88:89], v[132:133], v[88:89]
	v_fma_f64 v[4:5], v[122:123], v[8:9], -v[4:5]
	v_fmac_f64_e32 v[146:147], v[124:125], v[8:9]
	ds_load_b128 v[122:125], v2 offset:768
	ds_load_b128 v[138:141], v2 offset:784
	scratch_load_b128 v[142:145], off, off offset:352
	v_fmac_f64_e32 v[148:149], v[132:133], v[86:87]
	v_fma_f64 v[130:131], v[130:131], v[86:87], -v[88:89]
	scratch_load_b128 v[86:89], off, off offset:368
	s_wait_loadcnt_dscnt 0xc01
	v_mul_f64_e32 v[8:9], v[122:123], v[92:93]
	v_mul_f64_e32 v[92:93], v[124:125], v[92:93]
	v_add_f64_e32 v[4:5], 0, v[4:5]
	v_add_f64_e32 v[132:133], 0, v[146:147]
	s_wait_loadcnt_dscnt 0xb00
	v_mul_f64_e32 v[146:147], v[138:139], v[96:97]
	v_mul_f64_e32 v[96:97], v[140:141], v[96:97]
	v_fmac_f64_e32 v[8:9], v[124:125], v[90:91]
	v_fma_f64 v[150:151], v[122:123], v[90:91], -v[92:93]
	ds_load_b128 v[90:93], v2 offset:800
	ds_load_b128 v[122:125], v2 offset:816
	v_add_f64_e32 v[4:5], v[4:5], v[130:131]
	v_add_f64_e32 v[148:149], v[132:133], v[148:149]
	scratch_load_b128 v[130:133], off, off offset:384
	v_fmac_f64_e32 v[146:147], v[140:141], v[94:95]
	v_fma_f64 v[138:139], v[138:139], v[94:95], -v[96:97]
	scratch_load_b128 v[94:97], off, off offset:400
	s_wait_loadcnt_dscnt 0xc01
	v_mul_f64_e32 v[152:153], v[90:91], v[100:101]
	v_mul_f64_e32 v[100:101], v[92:93], v[100:101]
	v_add_f64_e32 v[4:5], v[4:5], v[150:151]
	v_add_f64_e32 v[8:9], v[148:149], v[8:9]
	s_wait_loadcnt_dscnt 0xb00
	v_mul_f64_e32 v[148:149], v[122:123], v[104:105]
	v_mul_f64_e32 v[104:105], v[124:125], v[104:105]
	v_fmac_f64_e32 v[152:153], v[92:93], v[98:99]
	v_fma_f64 v[150:151], v[90:91], v[98:99], -v[100:101]
	ds_load_b128 v[90:93], v2 offset:832
	ds_load_b128 v[98:101], v2 offset:848
	v_add_f64_e32 v[4:5], v[4:5], v[138:139]
	v_add_f64_e32 v[8:9], v[8:9], v[146:147]
	scratch_load_b128 v[138:141], off, off offset:416
	s_wait_loadcnt_dscnt 0xb01
	v_mul_f64_e32 v[146:147], v[90:91], v[108:109]
	v_mul_f64_e32 v[108:109], v[92:93], v[108:109]
	v_fmac_f64_e32 v[148:149], v[124:125], v[102:103]
	v_fma_f64 v[122:123], v[122:123], v[102:103], -v[104:105]
	scratch_load_b128 v[102:105], off, off offset:432
	v_add_f64_e32 v[4:5], v[4:5], v[150:151]
	v_add_f64_e32 v[8:9], v[8:9], v[152:153]
	s_wait_loadcnt_dscnt 0xb00
	v_mul_f64_e32 v[150:151], v[98:99], v[112:113]
	v_mul_f64_e32 v[112:113], v[100:101], v[112:113]
	v_fmac_f64_e32 v[146:147], v[92:93], v[106:107]
	v_fma_f64 v[152:153], v[90:91], v[106:107], -v[108:109]
	ds_load_b128 v[90:93], v2 offset:864
	ds_load_b128 v[106:109], v2 offset:880
	v_add_f64_e32 v[4:5], v[4:5], v[122:123]
	v_add_f64_e32 v[8:9], v[8:9], v[148:149]
	scratch_load_b128 v[122:125], off, off offset:448
	s_wait_loadcnt_dscnt 0xb01
	v_mul_f64_e32 v[148:149], v[90:91], v[116:117]
	v_mul_f64_e32 v[116:117], v[92:93], v[116:117]
	v_fmac_f64_e32 v[150:151], v[100:101], v[110:111]
	v_fma_f64 v[110:111], v[98:99], v[110:111], -v[112:113]
	scratch_load_b128 v[98:101], off, off offset:464
	v_add_f64_e32 v[4:5], v[4:5], v[152:153]
	v_add_f64_e32 v[8:9], v[8:9], v[146:147]
	s_wait_loadcnt_dscnt 0xb00
	v_mul_f64_e32 v[146:147], v[106:107], v[120:121]
	v_mul_f64_e32 v[120:121], v[108:109], v[120:121]
	v_fmac_f64_e32 v[148:149], v[92:93], v[114:115]
	v_fma_f64 v[152:153], v[90:91], v[114:115], -v[116:117]
	v_add_f64_e32 v[4:5], v[4:5], v[110:111]
	v_add_f64_e32 v[8:9], v[8:9], v[150:151]
	ds_load_b128 v[90:93], v2 offset:896
	ds_load_b128 v[110:113], v2 offset:912
	scratch_load_b128 v[114:117], off, off offset:480
	v_fmac_f64_e32 v[146:147], v[108:109], v[118:119]
	v_fma_f64 v[118:119], v[106:107], v[118:119], -v[120:121]
	scratch_load_b128 v[106:109], off, off offset:496
	s_wait_loadcnt_dscnt 0xc01
	v_mul_f64_e32 v[150:151], v[90:91], v[128:129]
	v_mul_f64_e32 v[128:129], v[92:93], v[128:129]
	v_add_f64_e32 v[4:5], v[4:5], v[152:153]
	v_add_f64_e32 v[8:9], v[8:9], v[148:149]
	s_wait_loadcnt_dscnt 0xa00
	v_mul_f64_e32 v[148:149], v[110:111], v[12:13]
	v_mul_f64_e32 v[12:13], v[112:113], v[12:13]
	v_fmac_f64_e32 v[150:151], v[92:93], v[126:127]
	v_fma_f64 v[152:153], v[90:91], v[126:127], -v[128:129]
	v_add_f64_e32 v[4:5], v[4:5], v[118:119]
	v_add_f64_e32 v[8:9], v[8:9], v[146:147]
	ds_load_b128 v[90:93], v2 offset:928
	ds_load_b128 v[118:121], v2 offset:944
	scratch_load_b128 v[126:129], off, off offset:512
	v_fmac_f64_e32 v[148:149], v[112:113], v[10:11]
	v_fma_f64 v[12:13], v[110:111], v[10:11], -v[12:13]
	s_wait_loadcnt_dscnt 0xa01
	v_mul_f64_e32 v[146:147], v[90:91], v[144:145]
	v_mul_f64_e32 v[144:145], v[92:93], v[144:145]
	v_add_f64_e32 v[4:5], v[4:5], v[152:153]
	v_add_f64_e32 v[110:111], v[8:9], v[150:151]
	scratch_load_b128 v[8:11], off, off offset:528
	s_wait_loadcnt_dscnt 0xa00
	v_mul_f64_e32 v[150:151], v[118:119], v[88:89]
	v_mul_f64_e32 v[152:153], v[120:121], v[88:89]
	v_fmac_f64_e32 v[146:147], v[92:93], v[142:143]
	v_fma_f64 v[92:93], v[90:91], v[142:143], -v[144:145]
	v_add_f64_e32 v[4:5], v[4:5], v[12:13]
	v_add_f64_e32 v[12:13], v[110:111], v[148:149]
	ds_load_b128 v[88:91], v2 offset:960
	ds_load_b128 v[110:113], v2 offset:976
	scratch_load_b128 v[142:145], off, off offset:544
	v_fmac_f64_e32 v[150:151], v[120:121], v[86:87]
	v_fma_f64 v[86:87], v[118:119], v[86:87], -v[152:153]
	scratch_load_b128 v[118:121], off, off offset:560
	s_wait_loadcnt_dscnt 0xb01
	v_mul_f64_e32 v[148:149], v[88:89], v[132:133]
	v_mul_f64_e32 v[132:133], v[90:91], v[132:133]
	v_add_f64_e32 v[4:5], v[4:5], v[92:93]
	v_add_f64_e32 v[12:13], v[12:13], v[146:147]
	s_wait_loadcnt_dscnt 0xa00
	v_mul_f64_e32 v[146:147], v[110:111], v[96:97]
	v_mul_f64_e32 v[96:97], v[112:113], v[96:97]
	v_fmac_f64_e32 v[148:149], v[90:91], v[130:131]
	v_fma_f64 v[130:131], v[88:89], v[130:131], -v[132:133]
	v_add_f64_e32 v[4:5], v[4:5], v[86:87]
	v_add_f64_e32 v[12:13], v[12:13], v[150:151]
	ds_load_b128 v[86:89], v2 offset:992
	ds_load_b128 v[90:93], v2 offset:1008
	v_fmac_f64_e32 v[146:147], v[112:113], v[94:95]
	v_fma_f64 v[94:95], v[110:111], v[94:95], -v[96:97]
	s_wait_loadcnt_dscnt 0x901
	v_mul_f64_e32 v[132:133], v[86:87], v[140:141]
	v_mul_f64_e32 v[140:141], v[88:89], v[140:141]
	s_wait_loadcnt_dscnt 0x800
	v_mul_f64_e32 v[110:111], v[90:91], v[104:105]
	v_mul_f64_e32 v[104:105], v[92:93], v[104:105]
	v_add_f64_e32 v[4:5], v[4:5], v[130:131]
	v_add_f64_e32 v[12:13], v[12:13], v[148:149]
	v_fmac_f64_e32 v[132:133], v[88:89], v[138:139]
	v_fma_f64 v[112:113], v[86:87], v[138:139], -v[140:141]
	v_fmac_f64_e32 v[110:111], v[92:93], v[102:103]
	v_fma_f64 v[90:91], v[90:91], v[102:103], -v[104:105]
	v_add_f64_e32 v[4:5], v[4:5], v[94:95]
	v_add_f64_e32 v[12:13], v[12:13], v[146:147]
	ds_load_b128 v[86:89], v2 offset:1024
	ds_load_b128 v[94:97], v2 offset:1040
	s_wait_loadcnt_dscnt 0x701
	v_mul_f64_e32 v[130:131], v[86:87], v[124:125]
	v_mul_f64_e32 v[124:125], v[88:89], v[124:125]
	s_wait_loadcnt_dscnt 0x600
	v_mul_f64_e32 v[102:103], v[94:95], v[100:101]
	v_mul_f64_e32 v[100:101], v[96:97], v[100:101]
	v_add_f64_e32 v[4:5], v[4:5], v[112:113]
	v_add_f64_e32 v[12:13], v[12:13], v[132:133]
	v_fmac_f64_e32 v[130:131], v[88:89], v[122:123]
	v_fma_f64 v[104:105], v[86:87], v[122:123], -v[124:125]
	v_fmac_f64_e32 v[102:103], v[96:97], v[98:99]
	v_fma_f64 v[94:95], v[94:95], v[98:99], -v[100:101]
	v_add_f64_e32 v[4:5], v[4:5], v[90:91]
	v_add_f64_e32 v[12:13], v[12:13], v[110:111]
	ds_load_b128 v[86:89], v2 offset:1056
	ds_load_b128 v[90:93], v2 offset:1072
	;; [unrolled: 16-line block ×3, first 2 shown]
	s_wait_loadcnt_dscnt 0x301
	v_mul_f64_e32 v[102:103], v[86:87], v[128:129]
	v_mul_f64_e32 v[108:109], v[88:89], v[128:129]
	v_add_f64_e32 v[4:5], v[4:5], v[104:105]
	v_add_f64_e32 v[12:13], v[12:13], v[110:111]
	s_wait_loadcnt_dscnt 0x200
	v_mul_f64_e32 v[92:93], v[94:95], v[10:11]
	v_mul_f64_e32 v[100:101], v[96:97], v[10:11]
	v_fmac_f64_e32 v[102:103], v[88:89], v[126:127]
	v_fma_f64 v[86:87], v[86:87], v[126:127], -v[108:109]
	v_add_f64_e32 v[88:89], v[4:5], v[90:91]
	v_add_f64_e32 v[90:91], v[12:13], v[98:99]
	ds_load_b128 v[10:13], v2 offset:1120
	ds_load_b128 v[2:5], v2 offset:1136
	v_fmac_f64_e32 v[92:93], v[96:97], v[8:9]
	v_fma_f64 v[8:9], v[94:95], v[8:9], -v[100:101]
	s_wait_loadcnt_dscnt 0x101
	v_mul_f64_e32 v[98:99], v[10:11], v[144:145]
	v_mul_f64_e32 v[104:105], v[12:13], v[144:145]
	s_wait_loadcnt_dscnt 0x0
	v_mul_f64_e32 v[94:95], v[4:5], v[120:121]
	v_add_f64_e32 v[86:87], v[88:89], v[86:87]
	v_add_f64_e32 v[88:89], v[90:91], v[102:103]
	v_mul_f64_e32 v[90:91], v[2:3], v[120:121]
	v_fmac_f64_e32 v[98:99], v[12:13], v[142:143]
	v_fma_f64 v[10:11], v[10:11], v[142:143], -v[104:105]
	v_fma_f64 v[2:3], v[2:3], v[118:119], -v[94:95]
	v_add_f64_e32 v[8:9], v[86:87], v[8:9]
	v_add_f64_e32 v[12:13], v[88:89], v[92:93]
	v_fmac_f64_e32 v[90:91], v[4:5], v[118:119]
	s_delay_alu instid0(VALU_DEP_3) | instskip(NEXT) | instid1(VALU_DEP_3)
	v_add_f64_e32 v[4:5], v[8:9], v[10:11]
	v_add_f64_e32 v[8:9], v[12:13], v[98:99]
	s_delay_alu instid0(VALU_DEP_2) | instskip(NEXT) | instid1(VALU_DEP_2)
	v_add_f64_e32 v[2:3], v[4:5], v[2:3]
	v_add_f64_e32 v[4:5], v[8:9], v[90:91]
	s_delay_alu instid0(VALU_DEP_2) | instskip(NEXT) | instid1(VALU_DEP_2)
	v_add_f64_e64 v[2:3], v[134:135], -v[2:3]
	v_add_f64_e64 v[4:5], v[136:137], -v[4:5]
	scratch_store_b128 off, v[2:5], off offset:144
	s_wait_xcnt 0x0
	v_cmpx_lt_u32_e32 8, v1
	s_cbranch_execz .LBB35_213
; %bb.212:
	scratch_load_b128 v[2:5], off, s37
	v_mov_b32_e32 v8, 0
	s_delay_alu instid0(VALU_DEP_1)
	v_dual_mov_b32 v9, v8 :: v_dual_mov_b32 v10, v8
	v_mov_b32_e32 v11, v8
	scratch_store_b128 off, v[8:11], off offset:128
	s_wait_loadcnt 0x0
	ds_store_b128 v6, v[2:5]
.LBB35_213:
	s_wait_xcnt 0x0
	s_or_b32 exec_lo, exec_lo, s2
	s_wait_storecnt_dscnt 0x0
	s_barrier_signal -1
	s_barrier_wait -1
	s_clause 0x9
	scratch_load_b128 v[8:11], off, off offset:144
	scratch_load_b128 v[86:89], off, off offset:160
	;; [unrolled: 1-line block ×10, first 2 shown]
	v_mov_b32_e32 v2, 0
	s_mov_b32 s2, exec_lo
	ds_load_b128 v[122:125], v2 offset:720
	s_clause 0x2
	scratch_load_b128 v[126:129], off, off offset:304
	scratch_load_b128 v[130:133], off, off offset:128
	;; [unrolled: 1-line block ×3, first 2 shown]
	s_wait_loadcnt_dscnt 0xc00
	v_mul_f64_e32 v[4:5], v[124:125], v[10:11]
	v_mul_f64_e32 v[146:147], v[122:123], v[10:11]
	ds_load_b128 v[134:137], v2 offset:736
	scratch_load_b128 v[10:13], off, off offset:320
	ds_load_b128 v[142:145], v2 offset:768
	v_fma_f64 v[4:5], v[122:123], v[8:9], -v[4:5]
	v_fmac_f64_e32 v[146:147], v[124:125], v[8:9]
	ds_load_b128 v[122:125], v2 offset:752
	s_wait_loadcnt_dscnt 0xc02
	v_mul_f64_e32 v[148:149], v[134:135], v[88:89]
	v_mul_f64_e32 v[88:89], v[136:137], v[88:89]
	s_wait_loadcnt_dscnt 0xb00
	v_mul_f64_e32 v[8:9], v[122:123], v[92:93]
	v_mul_f64_e32 v[92:93], v[124:125], v[92:93]
	v_add_f64_e32 v[4:5], 0, v[4:5]
	v_fmac_f64_e32 v[148:149], v[136:137], v[86:87]
	v_fma_f64 v[134:135], v[134:135], v[86:87], -v[88:89]
	v_add_f64_e32 v[136:137], 0, v[146:147]
	scratch_load_b128 v[86:89], off, off offset:352
	v_fmac_f64_e32 v[8:9], v[124:125], v[90:91]
	v_fma_f64 v[150:151], v[122:123], v[90:91], -v[92:93]
	ds_load_b128 v[90:93], v2 offset:784
	s_wait_loadcnt 0xb
	v_mul_f64_e32 v[146:147], v[142:143], v[96:97]
	v_mul_f64_e32 v[96:97], v[144:145], v[96:97]
	scratch_load_b128 v[122:125], off, off offset:368
	v_add_f64_e32 v[4:5], v[4:5], v[134:135]
	v_add_f64_e32 v[148:149], v[136:137], v[148:149]
	ds_load_b128 v[134:137], v2 offset:800
	s_wait_loadcnt_dscnt 0xb01
	v_mul_f64_e32 v[152:153], v[90:91], v[100:101]
	v_mul_f64_e32 v[100:101], v[92:93], v[100:101]
	v_fmac_f64_e32 v[146:147], v[144:145], v[94:95]
	v_fma_f64 v[142:143], v[142:143], v[94:95], -v[96:97]
	scratch_load_b128 v[94:97], off, off offset:384
	v_add_f64_e32 v[4:5], v[4:5], v[150:151]
	v_add_f64_e32 v[8:9], v[148:149], v[8:9]
	v_fmac_f64_e32 v[152:153], v[92:93], v[98:99]
	v_fma_f64 v[150:151], v[90:91], v[98:99], -v[100:101]
	ds_load_b128 v[90:93], v2 offset:816
	s_wait_loadcnt_dscnt 0xb01
	v_mul_f64_e32 v[148:149], v[134:135], v[104:105]
	v_mul_f64_e32 v[104:105], v[136:137], v[104:105]
	scratch_load_b128 v[98:101], off, off offset:400
	v_add_f64_e32 v[4:5], v[4:5], v[142:143]
	v_add_f64_e32 v[8:9], v[8:9], v[146:147]
	s_wait_loadcnt_dscnt 0xb00
	v_mul_f64_e32 v[146:147], v[90:91], v[108:109]
	v_mul_f64_e32 v[108:109], v[92:93], v[108:109]
	ds_load_b128 v[142:145], v2 offset:832
	v_fmac_f64_e32 v[148:149], v[136:137], v[102:103]
	v_fma_f64 v[134:135], v[134:135], v[102:103], -v[104:105]
	scratch_load_b128 v[102:105], off, off offset:416
	v_add_f64_e32 v[4:5], v[4:5], v[150:151]
	v_add_f64_e32 v[8:9], v[8:9], v[152:153]
	v_fmac_f64_e32 v[146:147], v[92:93], v[106:107]
	v_fma_f64 v[152:153], v[90:91], v[106:107], -v[108:109]
	ds_load_b128 v[90:93], v2 offset:848
	s_wait_loadcnt_dscnt 0xb01
	v_mul_f64_e32 v[150:151], v[142:143], v[112:113]
	v_mul_f64_e32 v[112:113], v[144:145], v[112:113]
	scratch_load_b128 v[106:109], off, off offset:432
	v_add_f64_e32 v[4:5], v[4:5], v[134:135]
	v_add_f64_e32 v[8:9], v[8:9], v[148:149]
	s_wait_loadcnt_dscnt 0xb00
	v_mul_f64_e32 v[148:149], v[90:91], v[116:117]
	v_mul_f64_e32 v[116:117], v[92:93], v[116:117]
	ds_load_b128 v[134:137], v2 offset:864
	;; [unrolled: 18-line block ×3, first 2 shown]
	v_fmac_f64_e32 v[146:147], v[136:137], v[118:119]
	v_fma_f64 v[134:135], v[134:135], v[118:119], -v[120:121]
	scratch_load_b128 v[118:121], off, off offset:480
	v_add_f64_e32 v[4:5], v[4:5], v[152:153]
	v_add_f64_e32 v[8:9], v[8:9], v[148:149]
	v_fmac_f64_e32 v[150:151], v[92:93], v[126:127]
	v_fma_f64 v[152:153], v[90:91], v[126:127], -v[128:129]
	ds_load_b128 v[90:93], v2 offset:912
	s_wait_loadcnt_dscnt 0x901
	v_mul_f64_e32 v[148:149], v[142:143], v[12:13]
	v_mul_f64_e32 v[12:13], v[144:145], v[12:13]
	scratch_load_b128 v[126:129], off, off offset:496
	v_add_f64_e32 v[4:5], v[4:5], v[134:135]
	v_add_f64_e32 v[8:9], v[8:9], v[146:147]
	s_wait_dscnt 0x0
	v_mul_f64_e32 v[146:147], v[90:91], v[140:141]
	v_mul_f64_e32 v[140:141], v[92:93], v[140:141]
	ds_load_b128 v[134:137], v2 offset:928
	v_fmac_f64_e32 v[148:149], v[144:145], v[10:11]
	v_fma_f64 v[12:13], v[142:143], v[10:11], -v[12:13]
	v_add_f64_e32 v[4:5], v[4:5], v[152:153]
	v_add_f64_e32 v[142:143], v[8:9], v[150:151]
	scratch_load_b128 v[8:11], off, off offset:512
	v_fmac_f64_e32 v[146:147], v[92:93], v[138:139]
	v_fma_f64 v[92:93], v[90:91], v[138:139], -v[140:141]
	scratch_load_b128 v[138:141], off, off offset:528
	v_add_f64_e32 v[4:5], v[4:5], v[12:13]
	v_add_f64_e32 v[12:13], v[142:143], v[148:149]
	ds_load_b128 v[142:145], v2 offset:960
	s_wait_loadcnt_dscnt 0xb01
	v_mul_f64_e32 v[150:151], v[134:135], v[88:89]
	v_mul_f64_e32 v[152:153], v[136:137], v[88:89]
	ds_load_b128 v[88:91], v2 offset:944
	s_wait_loadcnt_dscnt 0xa00
	v_mul_f64_e32 v[148:149], v[88:89], v[124:125]
	v_mul_f64_e32 v[124:125], v[90:91], v[124:125]
	v_add_f64_e32 v[4:5], v[4:5], v[92:93]
	v_add_f64_e32 v[12:13], v[12:13], v[146:147]
	s_wait_loadcnt 0x9
	v_mul_f64_e32 v[146:147], v[142:143], v[96:97]
	v_fmac_f64_e32 v[150:151], v[136:137], v[86:87]
	v_fma_f64 v[86:87], v[134:135], v[86:87], -v[152:153]
	scratch_load_b128 v[134:137], off, off offset:544
	v_mul_f64_e32 v[96:97], v[144:145], v[96:97]
	v_fmac_f64_e32 v[148:149], v[90:91], v[122:123]
	v_fma_f64 v[152:153], v[88:89], v[122:123], -v[124:125]
	scratch_load_b128 v[90:93], off, off offset:560
	ds_load_b128 v[122:125], v2 offset:992
	v_fmac_f64_e32 v[146:147], v[144:145], v[94:95]
	v_add_f64_e32 v[12:13], v[12:13], v[150:151]
	v_add_f64_e32 v[4:5], v[4:5], v[86:87]
	ds_load_b128 v[86:89], v2 offset:976
	v_fma_f64 v[94:95], v[142:143], v[94:95], -v[96:97]
	s_wait_loadcnt_dscnt 0x901
	v_mul_f64_e32 v[142:143], v[122:123], v[104:105]
	v_mul_f64_e32 v[104:105], v[124:125], v[104:105]
	s_wait_dscnt 0x0
	v_mul_f64_e32 v[150:151], v[86:87], v[100:101]
	v_mul_f64_e32 v[100:101], v[88:89], v[100:101]
	v_add_f64_e32 v[12:13], v[12:13], v[148:149]
	v_add_f64_e32 v[4:5], v[4:5], v[152:153]
	v_fmac_f64_e32 v[142:143], v[124:125], v[102:103]
	v_fma_f64 v[102:103], v[122:123], v[102:103], -v[104:105]
	v_fmac_f64_e32 v[150:151], v[88:89], v[98:99]
	v_fma_f64 v[98:99], v[86:87], v[98:99], -v[100:101]
	v_add_f64_e32 v[12:13], v[12:13], v[146:147]
	v_add_f64_e32 v[4:5], v[4:5], v[94:95]
	ds_load_b128 v[86:89], v2 offset:1008
	ds_load_b128 v[94:97], v2 offset:1024
	s_wait_loadcnt_dscnt 0x801
	v_mul_f64_e32 v[144:145], v[86:87], v[108:109]
	v_mul_f64_e32 v[100:101], v[88:89], v[108:109]
	s_wait_loadcnt_dscnt 0x700
	v_mul_f64_e32 v[104:105], v[94:95], v[112:113]
	v_mul_f64_e32 v[108:109], v[96:97], v[112:113]
	v_add_f64_e32 v[12:13], v[12:13], v[150:151]
	v_add_f64_e32 v[4:5], v[4:5], v[98:99]
	v_fmac_f64_e32 v[144:145], v[88:89], v[106:107]
	v_fma_f64 v[106:107], v[86:87], v[106:107], -v[100:101]
	ds_load_b128 v[86:89], v2 offset:1040
	ds_load_b128 v[98:101], v2 offset:1056
	v_fmac_f64_e32 v[104:105], v[96:97], v[110:111]
	v_fma_f64 v[94:95], v[94:95], v[110:111], -v[108:109]
	v_add_f64_e32 v[12:13], v[12:13], v[142:143]
	v_add_f64_e32 v[4:5], v[4:5], v[102:103]
	s_wait_loadcnt_dscnt 0x601
	v_mul_f64_e32 v[102:103], v[86:87], v[116:117]
	v_mul_f64_e32 v[112:113], v[88:89], v[116:117]
	s_wait_loadcnt_dscnt 0x500
	v_mul_f64_e32 v[108:109], v[100:101], v[120:121]
	v_add_f64_e32 v[12:13], v[12:13], v[144:145]
	v_add_f64_e32 v[4:5], v[4:5], v[106:107]
	v_mul_f64_e32 v[106:107], v[98:99], v[120:121]
	v_fmac_f64_e32 v[102:103], v[88:89], v[114:115]
	v_fma_f64 v[110:111], v[86:87], v[114:115], -v[112:113]
	v_fma_f64 v[98:99], v[98:99], v[118:119], -v[108:109]
	v_add_f64_e32 v[12:13], v[12:13], v[104:105]
	v_add_f64_e32 v[4:5], v[4:5], v[94:95]
	ds_load_b128 v[86:89], v2 offset:1072
	ds_load_b128 v[94:97], v2 offset:1088
	v_fmac_f64_e32 v[106:107], v[100:101], v[118:119]
	s_wait_loadcnt_dscnt 0x401
	v_mul_f64_e32 v[104:105], v[86:87], v[128:129]
	v_mul_f64_e32 v[112:113], v[88:89], v[128:129]
	s_wait_loadcnt_dscnt 0x300
	v_mul_f64_e32 v[100:101], v[94:95], v[10:11]
	v_add_f64_e32 v[12:13], v[12:13], v[102:103]
	v_add_f64_e32 v[4:5], v[4:5], v[110:111]
	v_mul_f64_e32 v[102:103], v[96:97], v[10:11]
	v_fmac_f64_e32 v[104:105], v[88:89], v[126:127]
	v_fma_f64 v[108:109], v[86:87], v[126:127], -v[112:113]
	v_fmac_f64_e32 v[100:101], v[96:97], v[8:9]
	v_add_f64_e32 v[4:5], v[4:5], v[98:99]
	v_add_f64_e32 v[98:99], v[12:13], v[106:107]
	ds_load_b128 v[10:13], v2 offset:1104
	ds_load_b128 v[86:89], v2 offset:1120
	v_fma_f64 v[8:9], v[94:95], v[8:9], -v[102:103]
	s_wait_loadcnt_dscnt 0x201
	v_mul_f64_e32 v[106:107], v[10:11], v[140:141]
	v_mul_f64_e32 v[110:111], v[12:13], v[140:141]
	v_add_f64_e32 v[4:5], v[4:5], v[108:109]
	v_add_f64_e32 v[94:95], v[98:99], v[104:105]
	s_wait_loadcnt_dscnt 0x100
	v_mul_f64_e32 v[96:97], v[86:87], v[136:137]
	v_mul_f64_e32 v[98:99], v[88:89], v[136:137]
	v_fmac_f64_e32 v[106:107], v[12:13], v[138:139]
	v_fma_f64 v[12:13], v[10:11], v[138:139], -v[110:111]
	v_add_f64_e32 v[4:5], v[4:5], v[8:9]
	v_add_f64_e32 v[94:95], v[94:95], v[100:101]
	ds_load_b128 v[8:11], v2 offset:1136
	v_fmac_f64_e32 v[96:97], v[88:89], v[134:135]
	v_fma_f64 v[86:87], v[86:87], v[134:135], -v[98:99]
	s_wait_loadcnt_dscnt 0x0
	v_mul_f64_e32 v[100:101], v[8:9], v[92:93]
	v_mul_f64_e32 v[92:93], v[10:11], v[92:93]
	v_add_f64_e32 v[4:5], v[4:5], v[12:13]
	v_add_f64_e32 v[12:13], v[94:95], v[106:107]
	s_delay_alu instid0(VALU_DEP_4) | instskip(NEXT) | instid1(VALU_DEP_4)
	v_fmac_f64_e32 v[100:101], v[10:11], v[90:91]
	v_fma_f64 v[8:9], v[8:9], v[90:91], -v[92:93]
	s_delay_alu instid0(VALU_DEP_4) | instskip(NEXT) | instid1(VALU_DEP_4)
	v_add_f64_e32 v[4:5], v[4:5], v[86:87]
	v_add_f64_e32 v[10:11], v[12:13], v[96:97]
	s_delay_alu instid0(VALU_DEP_2) | instskip(NEXT) | instid1(VALU_DEP_2)
	v_add_f64_e32 v[4:5], v[4:5], v[8:9]
	v_add_f64_e32 v[10:11], v[10:11], v[100:101]
	s_delay_alu instid0(VALU_DEP_2) | instskip(NEXT) | instid1(VALU_DEP_2)
	v_add_f64_e64 v[8:9], v[130:131], -v[4:5]
	v_add_f64_e64 v[10:11], v[132:133], -v[10:11]
	scratch_store_b128 off, v[8:11], off offset:128
	s_wait_xcnt 0x0
	v_cmpx_lt_u32_e32 7, v1
	s_cbranch_execz .LBB35_215
; %bb.214:
	scratch_load_b128 v[8:11], off, s44
	v_dual_mov_b32 v3, v2 :: v_dual_mov_b32 v4, v2
	v_mov_b32_e32 v5, v2
	scratch_store_b128 off, v[2:5], off offset:112
	s_wait_loadcnt 0x0
	ds_store_b128 v6, v[8:11]
.LBB35_215:
	s_wait_xcnt 0x0
	s_or_b32 exec_lo, exec_lo, s2
	s_wait_storecnt_dscnt 0x0
	s_barrier_signal -1
	s_barrier_wait -1
	s_clause 0x9
	scratch_load_b128 v[8:11], off, off offset:128
	scratch_load_b128 v[86:89], off, off offset:144
	;; [unrolled: 1-line block ×10, first 2 shown]
	ds_load_b128 v[122:125], v2 offset:704
	ds_load_b128 v[130:133], v2 offset:720
	s_clause 0x1
	scratch_load_b128 v[126:129], off, off offset:288
	scratch_load_b128 v[134:137], off, off offset:112
	s_mov_b32 s2, exec_lo
	s_wait_loadcnt_dscnt 0xb01
	v_mul_f64_e32 v[4:5], v[124:125], v[10:11]
	v_mul_f64_e32 v[146:147], v[122:123], v[10:11]
	scratch_load_b128 v[10:13], off, off offset:304
	s_wait_loadcnt_dscnt 0xb00
	v_mul_f64_e32 v[148:149], v[130:131], v[88:89]
	v_mul_f64_e32 v[88:89], v[132:133], v[88:89]
	v_fma_f64 v[4:5], v[122:123], v[8:9], -v[4:5]
	v_fmac_f64_e32 v[146:147], v[124:125], v[8:9]
	ds_load_b128 v[122:125], v2 offset:736
	ds_load_b128 v[138:141], v2 offset:752
	scratch_load_b128 v[142:145], off, off offset:320
	v_fmac_f64_e32 v[148:149], v[132:133], v[86:87]
	v_fma_f64 v[130:131], v[130:131], v[86:87], -v[88:89]
	scratch_load_b128 v[86:89], off, off offset:336
	s_wait_loadcnt_dscnt 0xc01
	v_mul_f64_e32 v[8:9], v[122:123], v[92:93]
	v_mul_f64_e32 v[92:93], v[124:125], v[92:93]
	v_add_f64_e32 v[4:5], 0, v[4:5]
	v_add_f64_e32 v[132:133], 0, v[146:147]
	s_wait_loadcnt_dscnt 0xb00
	v_mul_f64_e32 v[146:147], v[138:139], v[96:97]
	v_mul_f64_e32 v[96:97], v[140:141], v[96:97]
	v_fmac_f64_e32 v[8:9], v[124:125], v[90:91]
	v_fma_f64 v[150:151], v[122:123], v[90:91], -v[92:93]
	ds_load_b128 v[90:93], v2 offset:768
	ds_load_b128 v[122:125], v2 offset:784
	v_add_f64_e32 v[4:5], v[4:5], v[130:131]
	v_add_f64_e32 v[148:149], v[132:133], v[148:149]
	scratch_load_b128 v[130:133], off, off offset:352
	v_fmac_f64_e32 v[146:147], v[140:141], v[94:95]
	v_fma_f64 v[138:139], v[138:139], v[94:95], -v[96:97]
	scratch_load_b128 v[94:97], off, off offset:368
	s_wait_loadcnt_dscnt 0xc01
	v_mul_f64_e32 v[152:153], v[90:91], v[100:101]
	v_mul_f64_e32 v[100:101], v[92:93], v[100:101]
	v_add_f64_e32 v[4:5], v[4:5], v[150:151]
	v_add_f64_e32 v[8:9], v[148:149], v[8:9]
	s_wait_loadcnt_dscnt 0xb00
	v_mul_f64_e32 v[148:149], v[122:123], v[104:105]
	v_mul_f64_e32 v[104:105], v[124:125], v[104:105]
	v_fmac_f64_e32 v[152:153], v[92:93], v[98:99]
	v_fma_f64 v[150:151], v[90:91], v[98:99], -v[100:101]
	ds_load_b128 v[90:93], v2 offset:800
	ds_load_b128 v[98:101], v2 offset:816
	v_add_f64_e32 v[4:5], v[4:5], v[138:139]
	v_add_f64_e32 v[8:9], v[8:9], v[146:147]
	scratch_load_b128 v[138:141], off, off offset:384
	s_wait_loadcnt_dscnt 0xb01
	v_mul_f64_e32 v[146:147], v[90:91], v[108:109]
	v_mul_f64_e32 v[108:109], v[92:93], v[108:109]
	v_fmac_f64_e32 v[148:149], v[124:125], v[102:103]
	v_fma_f64 v[122:123], v[122:123], v[102:103], -v[104:105]
	scratch_load_b128 v[102:105], off, off offset:400
	v_add_f64_e32 v[4:5], v[4:5], v[150:151]
	v_add_f64_e32 v[8:9], v[8:9], v[152:153]
	s_wait_loadcnt_dscnt 0xb00
	v_mul_f64_e32 v[150:151], v[98:99], v[112:113]
	v_mul_f64_e32 v[112:113], v[100:101], v[112:113]
	v_fmac_f64_e32 v[146:147], v[92:93], v[106:107]
	v_fma_f64 v[152:153], v[90:91], v[106:107], -v[108:109]
	ds_load_b128 v[90:93], v2 offset:832
	ds_load_b128 v[106:109], v2 offset:848
	v_add_f64_e32 v[4:5], v[4:5], v[122:123]
	v_add_f64_e32 v[8:9], v[8:9], v[148:149]
	scratch_load_b128 v[122:125], off, off offset:416
	s_wait_loadcnt_dscnt 0xb01
	v_mul_f64_e32 v[148:149], v[90:91], v[116:117]
	v_mul_f64_e32 v[116:117], v[92:93], v[116:117]
	v_fmac_f64_e32 v[150:151], v[100:101], v[110:111]
	v_fma_f64 v[110:111], v[98:99], v[110:111], -v[112:113]
	scratch_load_b128 v[98:101], off, off offset:432
	v_add_f64_e32 v[4:5], v[4:5], v[152:153]
	v_add_f64_e32 v[8:9], v[8:9], v[146:147]
	s_wait_loadcnt_dscnt 0xb00
	v_mul_f64_e32 v[146:147], v[106:107], v[120:121]
	v_mul_f64_e32 v[120:121], v[108:109], v[120:121]
	v_fmac_f64_e32 v[148:149], v[92:93], v[114:115]
	v_fma_f64 v[152:153], v[90:91], v[114:115], -v[116:117]
	v_add_f64_e32 v[4:5], v[4:5], v[110:111]
	v_add_f64_e32 v[8:9], v[8:9], v[150:151]
	ds_load_b128 v[90:93], v2 offset:864
	ds_load_b128 v[110:113], v2 offset:880
	scratch_load_b128 v[114:117], off, off offset:448
	v_fmac_f64_e32 v[146:147], v[108:109], v[118:119]
	v_fma_f64 v[118:119], v[106:107], v[118:119], -v[120:121]
	scratch_load_b128 v[106:109], off, off offset:464
	s_wait_loadcnt_dscnt 0xc01
	v_mul_f64_e32 v[150:151], v[90:91], v[128:129]
	v_mul_f64_e32 v[128:129], v[92:93], v[128:129]
	v_add_f64_e32 v[4:5], v[4:5], v[152:153]
	v_add_f64_e32 v[8:9], v[8:9], v[148:149]
	s_wait_loadcnt_dscnt 0xa00
	v_mul_f64_e32 v[148:149], v[110:111], v[12:13]
	v_mul_f64_e32 v[12:13], v[112:113], v[12:13]
	v_fmac_f64_e32 v[150:151], v[92:93], v[126:127]
	v_fma_f64 v[152:153], v[90:91], v[126:127], -v[128:129]
	v_add_f64_e32 v[4:5], v[4:5], v[118:119]
	v_add_f64_e32 v[8:9], v[8:9], v[146:147]
	ds_load_b128 v[90:93], v2 offset:896
	ds_load_b128 v[118:121], v2 offset:912
	scratch_load_b128 v[126:129], off, off offset:480
	v_fmac_f64_e32 v[148:149], v[112:113], v[10:11]
	v_fma_f64 v[12:13], v[110:111], v[10:11], -v[12:13]
	s_wait_loadcnt_dscnt 0xa01
	v_mul_f64_e32 v[146:147], v[90:91], v[144:145]
	v_mul_f64_e32 v[144:145], v[92:93], v[144:145]
	v_add_f64_e32 v[4:5], v[4:5], v[152:153]
	v_add_f64_e32 v[110:111], v[8:9], v[150:151]
	scratch_load_b128 v[8:11], off, off offset:496
	s_wait_loadcnt_dscnt 0xa00
	v_mul_f64_e32 v[150:151], v[118:119], v[88:89]
	v_mul_f64_e32 v[152:153], v[120:121], v[88:89]
	v_fmac_f64_e32 v[146:147], v[92:93], v[142:143]
	v_fma_f64 v[92:93], v[90:91], v[142:143], -v[144:145]
	v_add_f64_e32 v[4:5], v[4:5], v[12:13]
	v_add_f64_e32 v[12:13], v[110:111], v[148:149]
	ds_load_b128 v[88:91], v2 offset:928
	ds_load_b128 v[110:113], v2 offset:944
	scratch_load_b128 v[142:145], off, off offset:512
	v_fmac_f64_e32 v[150:151], v[120:121], v[86:87]
	v_fma_f64 v[86:87], v[118:119], v[86:87], -v[152:153]
	scratch_load_b128 v[118:121], off, off offset:528
	s_wait_loadcnt_dscnt 0xb01
	v_mul_f64_e32 v[148:149], v[88:89], v[132:133]
	v_mul_f64_e32 v[132:133], v[90:91], v[132:133]
	v_add_f64_e32 v[4:5], v[4:5], v[92:93]
	v_add_f64_e32 v[12:13], v[12:13], v[146:147]
	s_wait_loadcnt_dscnt 0xa00
	v_mul_f64_e32 v[146:147], v[110:111], v[96:97]
	v_mul_f64_e32 v[96:97], v[112:113], v[96:97]
	v_fmac_f64_e32 v[148:149], v[90:91], v[130:131]
	v_fma_f64 v[152:153], v[88:89], v[130:131], -v[132:133]
	v_add_f64_e32 v[4:5], v[4:5], v[86:87]
	v_add_f64_e32 v[12:13], v[12:13], v[150:151]
	ds_load_b128 v[86:89], v2 offset:960
	ds_load_b128 v[90:93], v2 offset:976
	scratch_load_b128 v[130:133], off, off offset:544
	v_fmac_f64_e32 v[146:147], v[112:113], v[94:95]
	v_fma_f64 v[110:111], v[110:111], v[94:95], -v[96:97]
	scratch_load_b128 v[94:97], off, off offset:560
	s_wait_loadcnt_dscnt 0xb01
	v_mul_f64_e32 v[150:151], v[86:87], v[140:141]
	v_mul_f64_e32 v[140:141], v[88:89], v[140:141]
	v_add_f64_e32 v[4:5], v[4:5], v[152:153]
	v_add_f64_e32 v[12:13], v[12:13], v[148:149]
	s_wait_loadcnt_dscnt 0xa00
	v_mul_f64_e32 v[148:149], v[90:91], v[104:105]
	v_mul_f64_e32 v[104:105], v[92:93], v[104:105]
	v_fmac_f64_e32 v[150:151], v[88:89], v[138:139]
	v_fma_f64 v[138:139], v[86:87], v[138:139], -v[140:141]
	v_add_f64_e32 v[4:5], v[4:5], v[110:111]
	v_add_f64_e32 v[12:13], v[12:13], v[146:147]
	ds_load_b128 v[86:89], v2 offset:992
	ds_load_b128 v[110:113], v2 offset:1008
	v_fmac_f64_e32 v[148:149], v[92:93], v[102:103]
	v_fma_f64 v[90:91], v[90:91], v[102:103], -v[104:105]
	s_wait_loadcnt_dscnt 0x901
	v_mul_f64_e32 v[140:141], v[86:87], v[124:125]
	v_mul_f64_e32 v[124:125], v[88:89], v[124:125]
	s_wait_loadcnt_dscnt 0x800
	v_mul_f64_e32 v[102:103], v[110:111], v[100:101]
	v_mul_f64_e32 v[100:101], v[112:113], v[100:101]
	v_add_f64_e32 v[4:5], v[4:5], v[138:139]
	v_add_f64_e32 v[12:13], v[12:13], v[150:151]
	v_fmac_f64_e32 v[140:141], v[88:89], v[122:123]
	v_fma_f64 v[104:105], v[86:87], v[122:123], -v[124:125]
	v_fmac_f64_e32 v[102:103], v[112:113], v[98:99]
	v_fma_f64 v[98:99], v[110:111], v[98:99], -v[100:101]
	v_add_f64_e32 v[4:5], v[4:5], v[90:91]
	v_add_f64_e32 v[12:13], v[12:13], v[148:149]
	ds_load_b128 v[86:89], v2 offset:1024
	ds_load_b128 v[90:93], v2 offset:1040
	s_wait_loadcnt_dscnt 0x701
	v_mul_f64_e32 v[122:123], v[86:87], v[116:117]
	v_mul_f64_e32 v[116:117], v[88:89], v[116:117]
	v_add_f64_e32 v[4:5], v[4:5], v[104:105]
	v_add_f64_e32 v[12:13], v[12:13], v[140:141]
	s_wait_loadcnt_dscnt 0x600
	v_mul_f64_e32 v[104:105], v[90:91], v[108:109]
	v_mul_f64_e32 v[108:109], v[92:93], v[108:109]
	v_fmac_f64_e32 v[122:123], v[88:89], v[114:115]
	v_fma_f64 v[110:111], v[86:87], v[114:115], -v[116:117]
	v_add_f64_e32 v[4:5], v[4:5], v[98:99]
	v_add_f64_e32 v[12:13], v[12:13], v[102:103]
	ds_load_b128 v[86:89], v2 offset:1056
	ds_load_b128 v[98:101], v2 offset:1072
	v_fmac_f64_e32 v[104:105], v[92:93], v[106:107]
	v_fma_f64 v[90:91], v[90:91], v[106:107], -v[108:109]
	s_wait_loadcnt_dscnt 0x501
	v_mul_f64_e32 v[102:103], v[86:87], v[128:129]
	v_mul_f64_e32 v[112:113], v[88:89], v[128:129]
	v_add_f64_e32 v[4:5], v[4:5], v[110:111]
	v_add_f64_e32 v[12:13], v[12:13], v[122:123]
	s_wait_loadcnt_dscnt 0x400
	v_mul_f64_e32 v[92:93], v[98:99], v[10:11]
	v_mul_f64_e32 v[106:107], v[100:101], v[10:11]
	v_fmac_f64_e32 v[102:103], v[88:89], v[126:127]
	v_fma_f64 v[108:109], v[86:87], v[126:127], -v[112:113]
	v_add_f64_e32 v[4:5], v[4:5], v[90:91]
	v_add_f64_e32 v[90:91], v[12:13], v[104:105]
	ds_load_b128 v[10:13], v2 offset:1088
	ds_load_b128 v[86:89], v2 offset:1104
	v_fmac_f64_e32 v[92:93], v[100:101], v[8:9]
	v_fma_f64 v[8:9], v[98:99], v[8:9], -v[106:107]
	s_wait_loadcnt_dscnt 0x301
	v_mul_f64_e32 v[104:105], v[10:11], v[144:145]
	v_mul_f64_e32 v[110:111], v[12:13], v[144:145]
	s_wait_loadcnt_dscnt 0x200
	v_mul_f64_e32 v[98:99], v[86:87], v[120:121]
	v_mul_f64_e32 v[100:101], v[88:89], v[120:121]
	v_add_f64_e32 v[4:5], v[4:5], v[108:109]
	v_add_f64_e32 v[90:91], v[90:91], v[102:103]
	v_fmac_f64_e32 v[104:105], v[12:13], v[142:143]
	v_fma_f64 v[12:13], v[10:11], v[142:143], -v[110:111]
	v_fmac_f64_e32 v[98:99], v[88:89], v[118:119]
	v_fma_f64 v[86:87], v[86:87], v[118:119], -v[100:101]
	v_add_f64_e32 v[102:103], v[4:5], v[8:9]
	v_add_f64_e32 v[90:91], v[90:91], v[92:93]
	ds_load_b128 v[8:11], v2 offset:1120
	ds_load_b128 v[2:5], v2 offset:1136
	s_wait_loadcnt_dscnt 0x101
	v_mul_f64_e32 v[92:93], v[8:9], v[132:133]
	v_mul_f64_e32 v[106:107], v[10:11], v[132:133]
	v_add_f64_e32 v[12:13], v[102:103], v[12:13]
	v_add_f64_e32 v[88:89], v[90:91], v[104:105]
	s_wait_loadcnt_dscnt 0x0
	v_mul_f64_e32 v[90:91], v[2:3], v[96:97]
	v_mul_f64_e32 v[96:97], v[4:5], v[96:97]
	v_fmac_f64_e32 v[92:93], v[10:11], v[130:131]
	v_fma_f64 v[8:9], v[8:9], v[130:131], -v[106:107]
	v_add_f64_e32 v[10:11], v[12:13], v[86:87]
	v_add_f64_e32 v[12:13], v[88:89], v[98:99]
	v_fmac_f64_e32 v[90:91], v[4:5], v[94:95]
	v_fma_f64 v[2:3], v[2:3], v[94:95], -v[96:97]
	s_delay_alu instid0(VALU_DEP_4) | instskip(NEXT) | instid1(VALU_DEP_4)
	v_add_f64_e32 v[4:5], v[10:11], v[8:9]
	v_add_f64_e32 v[8:9], v[12:13], v[92:93]
	s_delay_alu instid0(VALU_DEP_2) | instskip(NEXT) | instid1(VALU_DEP_2)
	v_add_f64_e32 v[2:3], v[4:5], v[2:3]
	v_add_f64_e32 v[4:5], v[8:9], v[90:91]
	s_delay_alu instid0(VALU_DEP_2) | instskip(NEXT) | instid1(VALU_DEP_2)
	v_add_f64_e64 v[2:3], v[134:135], -v[2:3]
	v_add_f64_e64 v[4:5], v[136:137], -v[4:5]
	scratch_store_b128 off, v[2:5], off offset:112
	s_wait_xcnt 0x0
	v_cmpx_lt_u32_e32 6, v1
	s_cbranch_execz .LBB35_217
; %bb.216:
	scratch_load_b128 v[2:5], off, s41
	v_mov_b32_e32 v8, 0
	s_delay_alu instid0(VALU_DEP_1)
	v_dual_mov_b32 v9, v8 :: v_dual_mov_b32 v10, v8
	v_mov_b32_e32 v11, v8
	scratch_store_b128 off, v[8:11], off offset:96
	s_wait_loadcnt 0x0
	ds_store_b128 v6, v[2:5]
.LBB35_217:
	s_wait_xcnt 0x0
	s_or_b32 exec_lo, exec_lo, s2
	s_wait_storecnt_dscnt 0x0
	s_barrier_signal -1
	s_barrier_wait -1
	s_clause 0x9
	scratch_load_b128 v[8:11], off, off offset:112
	scratch_load_b128 v[86:89], off, off offset:128
	;; [unrolled: 1-line block ×10, first 2 shown]
	v_mov_b32_e32 v2, 0
	s_mov_b32 s2, exec_lo
	ds_load_b128 v[122:125], v2 offset:688
	s_clause 0x2
	scratch_load_b128 v[126:129], off, off offset:272
	scratch_load_b128 v[130:133], off, off offset:96
	;; [unrolled: 1-line block ×3, first 2 shown]
	s_wait_loadcnt_dscnt 0xc00
	v_mul_f64_e32 v[4:5], v[124:125], v[10:11]
	v_mul_f64_e32 v[146:147], v[122:123], v[10:11]
	ds_load_b128 v[134:137], v2 offset:704
	scratch_load_b128 v[10:13], off, off offset:288
	ds_load_b128 v[142:145], v2 offset:736
	v_fma_f64 v[4:5], v[122:123], v[8:9], -v[4:5]
	v_fmac_f64_e32 v[146:147], v[124:125], v[8:9]
	ds_load_b128 v[122:125], v2 offset:720
	s_wait_loadcnt_dscnt 0xc02
	v_mul_f64_e32 v[148:149], v[134:135], v[88:89]
	v_mul_f64_e32 v[88:89], v[136:137], v[88:89]
	s_wait_loadcnt_dscnt 0xb00
	v_mul_f64_e32 v[8:9], v[122:123], v[92:93]
	v_mul_f64_e32 v[92:93], v[124:125], v[92:93]
	v_add_f64_e32 v[4:5], 0, v[4:5]
	v_fmac_f64_e32 v[148:149], v[136:137], v[86:87]
	v_fma_f64 v[134:135], v[134:135], v[86:87], -v[88:89]
	v_add_f64_e32 v[136:137], 0, v[146:147]
	scratch_load_b128 v[86:89], off, off offset:320
	v_fmac_f64_e32 v[8:9], v[124:125], v[90:91]
	v_fma_f64 v[150:151], v[122:123], v[90:91], -v[92:93]
	ds_load_b128 v[90:93], v2 offset:752
	s_wait_loadcnt 0xb
	v_mul_f64_e32 v[146:147], v[142:143], v[96:97]
	v_mul_f64_e32 v[96:97], v[144:145], v[96:97]
	scratch_load_b128 v[122:125], off, off offset:336
	v_add_f64_e32 v[4:5], v[4:5], v[134:135]
	v_add_f64_e32 v[148:149], v[136:137], v[148:149]
	ds_load_b128 v[134:137], v2 offset:768
	s_wait_loadcnt_dscnt 0xb01
	v_mul_f64_e32 v[152:153], v[90:91], v[100:101]
	v_mul_f64_e32 v[100:101], v[92:93], v[100:101]
	v_fmac_f64_e32 v[146:147], v[144:145], v[94:95]
	v_fma_f64 v[142:143], v[142:143], v[94:95], -v[96:97]
	scratch_load_b128 v[94:97], off, off offset:352
	v_add_f64_e32 v[4:5], v[4:5], v[150:151]
	v_add_f64_e32 v[8:9], v[148:149], v[8:9]
	v_fmac_f64_e32 v[152:153], v[92:93], v[98:99]
	v_fma_f64 v[150:151], v[90:91], v[98:99], -v[100:101]
	ds_load_b128 v[90:93], v2 offset:784
	s_wait_loadcnt_dscnt 0xb01
	v_mul_f64_e32 v[148:149], v[134:135], v[104:105]
	v_mul_f64_e32 v[104:105], v[136:137], v[104:105]
	scratch_load_b128 v[98:101], off, off offset:368
	v_add_f64_e32 v[4:5], v[4:5], v[142:143]
	v_add_f64_e32 v[8:9], v[8:9], v[146:147]
	s_wait_loadcnt_dscnt 0xb00
	v_mul_f64_e32 v[146:147], v[90:91], v[108:109]
	v_mul_f64_e32 v[108:109], v[92:93], v[108:109]
	ds_load_b128 v[142:145], v2 offset:800
	v_fmac_f64_e32 v[148:149], v[136:137], v[102:103]
	v_fma_f64 v[134:135], v[134:135], v[102:103], -v[104:105]
	scratch_load_b128 v[102:105], off, off offset:384
	v_add_f64_e32 v[4:5], v[4:5], v[150:151]
	v_add_f64_e32 v[8:9], v[8:9], v[152:153]
	v_fmac_f64_e32 v[146:147], v[92:93], v[106:107]
	v_fma_f64 v[152:153], v[90:91], v[106:107], -v[108:109]
	ds_load_b128 v[90:93], v2 offset:816
	s_wait_loadcnt_dscnt 0xb01
	v_mul_f64_e32 v[150:151], v[142:143], v[112:113]
	v_mul_f64_e32 v[112:113], v[144:145], v[112:113]
	scratch_load_b128 v[106:109], off, off offset:400
	v_add_f64_e32 v[4:5], v[4:5], v[134:135]
	v_add_f64_e32 v[8:9], v[8:9], v[148:149]
	s_wait_loadcnt_dscnt 0xb00
	v_mul_f64_e32 v[148:149], v[90:91], v[116:117]
	v_mul_f64_e32 v[116:117], v[92:93], v[116:117]
	ds_load_b128 v[134:137], v2 offset:832
	;; [unrolled: 18-line block ×3, first 2 shown]
	v_fmac_f64_e32 v[146:147], v[136:137], v[118:119]
	v_fma_f64 v[134:135], v[134:135], v[118:119], -v[120:121]
	scratch_load_b128 v[118:121], off, off offset:448
	v_add_f64_e32 v[4:5], v[4:5], v[152:153]
	v_add_f64_e32 v[8:9], v[8:9], v[148:149]
	v_fmac_f64_e32 v[150:151], v[92:93], v[126:127]
	v_fma_f64 v[152:153], v[90:91], v[126:127], -v[128:129]
	ds_load_b128 v[90:93], v2 offset:880
	s_wait_loadcnt_dscnt 0x901
	v_mul_f64_e32 v[148:149], v[142:143], v[12:13]
	v_mul_f64_e32 v[12:13], v[144:145], v[12:13]
	scratch_load_b128 v[126:129], off, off offset:464
	v_add_f64_e32 v[4:5], v[4:5], v[134:135]
	v_add_f64_e32 v[8:9], v[8:9], v[146:147]
	s_wait_dscnt 0x0
	v_mul_f64_e32 v[146:147], v[90:91], v[140:141]
	v_mul_f64_e32 v[140:141], v[92:93], v[140:141]
	ds_load_b128 v[134:137], v2 offset:896
	v_fmac_f64_e32 v[148:149], v[144:145], v[10:11]
	v_fma_f64 v[12:13], v[142:143], v[10:11], -v[12:13]
	v_add_f64_e32 v[4:5], v[4:5], v[152:153]
	v_add_f64_e32 v[142:143], v[8:9], v[150:151]
	scratch_load_b128 v[8:11], off, off offset:480
	v_fmac_f64_e32 v[146:147], v[92:93], v[138:139]
	v_fma_f64 v[92:93], v[90:91], v[138:139], -v[140:141]
	scratch_load_b128 v[138:141], off, off offset:496
	v_add_f64_e32 v[4:5], v[4:5], v[12:13]
	v_add_f64_e32 v[12:13], v[142:143], v[148:149]
	ds_load_b128 v[142:145], v2 offset:928
	s_wait_loadcnt_dscnt 0xb01
	v_mul_f64_e32 v[150:151], v[134:135], v[88:89]
	v_mul_f64_e32 v[152:153], v[136:137], v[88:89]
	ds_load_b128 v[88:91], v2 offset:912
	s_wait_loadcnt_dscnt 0xa00
	v_mul_f64_e32 v[148:149], v[88:89], v[124:125]
	v_mul_f64_e32 v[124:125], v[90:91], v[124:125]
	v_add_f64_e32 v[4:5], v[4:5], v[92:93]
	v_add_f64_e32 v[12:13], v[12:13], v[146:147]
	s_wait_loadcnt 0x9
	v_mul_f64_e32 v[146:147], v[142:143], v[96:97]
	v_fmac_f64_e32 v[150:151], v[136:137], v[86:87]
	v_fma_f64 v[86:87], v[134:135], v[86:87], -v[152:153]
	scratch_load_b128 v[134:137], off, off offset:512
	v_mul_f64_e32 v[96:97], v[144:145], v[96:97]
	v_fmac_f64_e32 v[148:149], v[90:91], v[122:123]
	v_fma_f64 v[152:153], v[88:89], v[122:123], -v[124:125]
	scratch_load_b128 v[90:93], off, off offset:528
	ds_load_b128 v[122:125], v2 offset:960
	v_fmac_f64_e32 v[146:147], v[144:145], v[94:95]
	v_add_f64_e32 v[12:13], v[12:13], v[150:151]
	v_add_f64_e32 v[4:5], v[4:5], v[86:87]
	ds_load_b128 v[86:89], v2 offset:944
	v_fma_f64 v[142:143], v[142:143], v[94:95], -v[96:97]
	scratch_load_b128 v[94:97], off, off offset:544
	s_wait_loadcnt_dscnt 0xb00
	v_mul_f64_e32 v[150:151], v[86:87], v[100:101]
	v_mul_f64_e32 v[100:101], v[88:89], v[100:101]
	v_add_f64_e32 v[12:13], v[12:13], v[148:149]
	v_add_f64_e32 v[4:5], v[4:5], v[152:153]
	s_wait_loadcnt 0xa
	v_mul_f64_e32 v[148:149], v[122:123], v[104:105]
	v_mul_f64_e32 v[104:105], v[124:125], v[104:105]
	v_fmac_f64_e32 v[150:151], v[88:89], v[98:99]
	v_fma_f64 v[152:153], v[86:87], v[98:99], -v[100:101]
	ds_load_b128 v[86:89], v2 offset:976
	scratch_load_b128 v[98:101], off, off offset:560
	v_add_f64_e32 v[12:13], v[12:13], v[146:147]
	v_add_f64_e32 v[4:5], v[4:5], v[142:143]
	ds_load_b128 v[142:145], v2 offset:992
	v_fmac_f64_e32 v[148:149], v[124:125], v[102:103]
	v_fma_f64 v[102:103], v[122:123], v[102:103], -v[104:105]
	s_wait_loadcnt_dscnt 0xa01
	v_mul_f64_e32 v[146:147], v[86:87], v[108:109]
	v_mul_f64_e32 v[108:109], v[88:89], v[108:109]
	s_wait_loadcnt_dscnt 0x900
	v_mul_f64_e32 v[122:123], v[142:143], v[112:113]
	v_mul_f64_e32 v[112:113], v[144:145], v[112:113]
	v_add_f64_e32 v[12:13], v[12:13], v[150:151]
	v_add_f64_e32 v[4:5], v[4:5], v[152:153]
	v_fmac_f64_e32 v[146:147], v[88:89], v[106:107]
	v_fma_f64 v[106:107], v[86:87], v[106:107], -v[108:109]
	v_fmac_f64_e32 v[122:123], v[144:145], v[110:111]
	v_fma_f64 v[110:111], v[142:143], v[110:111], -v[112:113]
	v_add_f64_e32 v[12:13], v[12:13], v[148:149]
	v_add_f64_e32 v[4:5], v[4:5], v[102:103]
	ds_load_b128 v[86:89], v2 offset:1008
	ds_load_b128 v[102:105], v2 offset:1024
	s_wait_loadcnt_dscnt 0x801
	v_mul_f64_e32 v[124:125], v[86:87], v[116:117]
	v_mul_f64_e32 v[108:109], v[88:89], v[116:117]
	s_wait_loadcnt_dscnt 0x700
	v_mul_f64_e32 v[112:113], v[102:103], v[120:121]
	v_mul_f64_e32 v[116:117], v[104:105], v[120:121]
	v_add_f64_e32 v[12:13], v[12:13], v[146:147]
	v_add_f64_e32 v[4:5], v[4:5], v[106:107]
	v_fmac_f64_e32 v[124:125], v[88:89], v[114:115]
	v_fma_f64 v[114:115], v[86:87], v[114:115], -v[108:109]
	ds_load_b128 v[86:89], v2 offset:1040
	ds_load_b128 v[106:109], v2 offset:1056
	v_fmac_f64_e32 v[112:113], v[104:105], v[118:119]
	v_fma_f64 v[102:103], v[102:103], v[118:119], -v[116:117]
	v_add_f64_e32 v[12:13], v[12:13], v[122:123]
	v_add_f64_e32 v[4:5], v[4:5], v[110:111]
	s_wait_loadcnt_dscnt 0x601
	v_mul_f64_e32 v[110:111], v[86:87], v[128:129]
	v_mul_f64_e32 v[120:121], v[88:89], v[128:129]
	s_wait_loadcnt_dscnt 0x500
	v_mul_f64_e32 v[104:105], v[106:107], v[10:11]
	v_add_f64_e32 v[12:13], v[12:13], v[124:125]
	v_add_f64_e32 v[4:5], v[4:5], v[114:115]
	v_mul_f64_e32 v[114:115], v[108:109], v[10:11]
	v_fmac_f64_e32 v[110:111], v[88:89], v[126:127]
	v_fma_f64 v[116:117], v[86:87], v[126:127], -v[120:121]
	v_fmac_f64_e32 v[104:105], v[108:109], v[8:9]
	v_add_f64_e32 v[4:5], v[4:5], v[102:103]
	v_add_f64_e32 v[102:103], v[12:13], v[112:113]
	ds_load_b128 v[10:13], v2 offset:1072
	ds_load_b128 v[86:89], v2 offset:1088
	v_fma_f64 v[8:9], v[106:107], v[8:9], -v[114:115]
	s_wait_loadcnt_dscnt 0x401
	v_mul_f64_e32 v[112:113], v[10:11], v[140:141]
	v_mul_f64_e32 v[118:119], v[12:13], v[140:141]
	v_add_f64_e32 v[4:5], v[4:5], v[116:117]
	v_add_f64_e32 v[102:103], v[102:103], v[110:111]
	s_wait_loadcnt_dscnt 0x300
	v_mul_f64_e32 v[106:107], v[86:87], v[136:137]
	v_mul_f64_e32 v[108:109], v[88:89], v[136:137]
	v_fmac_f64_e32 v[112:113], v[12:13], v[138:139]
	v_fma_f64 v[12:13], v[10:11], v[138:139], -v[118:119]
	v_add_f64_e32 v[4:5], v[4:5], v[8:9]
	v_add_f64_e32 v[110:111], v[102:103], v[104:105]
	ds_load_b128 v[8:11], v2 offset:1104
	ds_load_b128 v[102:105], v2 offset:1120
	v_fmac_f64_e32 v[106:107], v[88:89], v[134:135]
	v_fma_f64 v[86:87], v[86:87], v[134:135], -v[108:109]
	s_wait_loadcnt_dscnt 0x201
	v_mul_f64_e32 v[114:115], v[8:9], v[92:93]
	v_mul_f64_e32 v[92:93], v[10:11], v[92:93]
	s_wait_loadcnt_dscnt 0x100
	v_mul_f64_e32 v[88:89], v[102:103], v[96:97]
	v_mul_f64_e32 v[96:97], v[104:105], v[96:97]
	v_add_f64_e32 v[4:5], v[4:5], v[12:13]
	v_add_f64_e32 v[12:13], v[110:111], v[112:113]
	v_fmac_f64_e32 v[114:115], v[10:11], v[90:91]
	v_fma_f64 v[90:91], v[8:9], v[90:91], -v[92:93]
	ds_load_b128 v[8:11], v2 offset:1136
	v_fmac_f64_e32 v[88:89], v[104:105], v[94:95]
	v_fma_f64 v[94:95], v[102:103], v[94:95], -v[96:97]
	v_add_f64_e32 v[4:5], v[4:5], v[86:87]
	v_add_f64_e32 v[12:13], v[12:13], v[106:107]
	s_wait_loadcnt_dscnt 0x0
	v_mul_f64_e32 v[86:87], v[8:9], v[100:101]
	v_mul_f64_e32 v[92:93], v[10:11], v[100:101]
	s_delay_alu instid0(VALU_DEP_4) | instskip(NEXT) | instid1(VALU_DEP_4)
	v_add_f64_e32 v[4:5], v[4:5], v[90:91]
	v_add_f64_e32 v[12:13], v[12:13], v[114:115]
	s_delay_alu instid0(VALU_DEP_4) | instskip(NEXT) | instid1(VALU_DEP_4)
	v_fmac_f64_e32 v[86:87], v[10:11], v[98:99]
	v_fma_f64 v[8:9], v[8:9], v[98:99], -v[92:93]
	s_delay_alu instid0(VALU_DEP_4) | instskip(NEXT) | instid1(VALU_DEP_4)
	v_add_f64_e32 v[4:5], v[4:5], v[94:95]
	v_add_f64_e32 v[10:11], v[12:13], v[88:89]
	s_delay_alu instid0(VALU_DEP_2) | instskip(NEXT) | instid1(VALU_DEP_2)
	v_add_f64_e32 v[4:5], v[4:5], v[8:9]
	v_add_f64_e32 v[10:11], v[10:11], v[86:87]
	s_delay_alu instid0(VALU_DEP_2) | instskip(NEXT) | instid1(VALU_DEP_2)
	v_add_f64_e64 v[8:9], v[130:131], -v[4:5]
	v_add_f64_e64 v[10:11], v[132:133], -v[10:11]
	scratch_store_b128 off, v[8:11], off offset:96
	s_wait_xcnt 0x0
	v_cmpx_lt_u32_e32 5, v1
	s_cbranch_execz .LBB35_219
; %bb.218:
	scratch_load_b128 v[8:11], off, s39
	v_dual_mov_b32 v3, v2 :: v_dual_mov_b32 v4, v2
	v_mov_b32_e32 v5, v2
	scratch_store_b128 off, v[2:5], off offset:80
	s_wait_loadcnt 0x0
	ds_store_b128 v6, v[8:11]
.LBB35_219:
	s_wait_xcnt 0x0
	s_or_b32 exec_lo, exec_lo, s2
	s_wait_storecnt_dscnt 0x0
	s_barrier_signal -1
	s_barrier_wait -1
	s_clause 0x9
	scratch_load_b128 v[8:11], off, off offset:96
	scratch_load_b128 v[86:89], off, off offset:112
	;; [unrolled: 1-line block ×10, first 2 shown]
	ds_load_b128 v[122:125], v2 offset:672
	ds_load_b128 v[130:133], v2 offset:688
	s_clause 0x1
	scratch_load_b128 v[126:129], off, off offset:256
	scratch_load_b128 v[134:137], off, off offset:80
	s_mov_b32 s2, exec_lo
	s_wait_loadcnt_dscnt 0xb01
	v_mul_f64_e32 v[4:5], v[124:125], v[10:11]
	v_mul_f64_e32 v[146:147], v[122:123], v[10:11]
	scratch_load_b128 v[10:13], off, off offset:272
	s_wait_loadcnt_dscnt 0xb00
	v_mul_f64_e32 v[148:149], v[130:131], v[88:89]
	v_mul_f64_e32 v[88:89], v[132:133], v[88:89]
	v_fma_f64 v[4:5], v[122:123], v[8:9], -v[4:5]
	v_fmac_f64_e32 v[146:147], v[124:125], v[8:9]
	ds_load_b128 v[122:125], v2 offset:704
	ds_load_b128 v[138:141], v2 offset:720
	scratch_load_b128 v[142:145], off, off offset:288
	v_fmac_f64_e32 v[148:149], v[132:133], v[86:87]
	v_fma_f64 v[130:131], v[130:131], v[86:87], -v[88:89]
	scratch_load_b128 v[86:89], off, off offset:304
	s_wait_loadcnt_dscnt 0xc01
	v_mul_f64_e32 v[8:9], v[122:123], v[92:93]
	v_mul_f64_e32 v[92:93], v[124:125], v[92:93]
	v_add_f64_e32 v[4:5], 0, v[4:5]
	v_add_f64_e32 v[132:133], 0, v[146:147]
	s_wait_loadcnt_dscnt 0xb00
	v_mul_f64_e32 v[146:147], v[138:139], v[96:97]
	v_mul_f64_e32 v[96:97], v[140:141], v[96:97]
	v_fmac_f64_e32 v[8:9], v[124:125], v[90:91]
	v_fma_f64 v[150:151], v[122:123], v[90:91], -v[92:93]
	ds_load_b128 v[90:93], v2 offset:736
	ds_load_b128 v[122:125], v2 offset:752
	v_add_f64_e32 v[4:5], v[4:5], v[130:131]
	v_add_f64_e32 v[148:149], v[132:133], v[148:149]
	scratch_load_b128 v[130:133], off, off offset:320
	v_fmac_f64_e32 v[146:147], v[140:141], v[94:95]
	v_fma_f64 v[138:139], v[138:139], v[94:95], -v[96:97]
	scratch_load_b128 v[94:97], off, off offset:336
	s_wait_loadcnt_dscnt 0xc01
	v_mul_f64_e32 v[152:153], v[90:91], v[100:101]
	v_mul_f64_e32 v[100:101], v[92:93], v[100:101]
	v_add_f64_e32 v[4:5], v[4:5], v[150:151]
	v_add_f64_e32 v[8:9], v[148:149], v[8:9]
	s_wait_loadcnt_dscnt 0xb00
	v_mul_f64_e32 v[148:149], v[122:123], v[104:105]
	v_mul_f64_e32 v[104:105], v[124:125], v[104:105]
	v_fmac_f64_e32 v[152:153], v[92:93], v[98:99]
	v_fma_f64 v[150:151], v[90:91], v[98:99], -v[100:101]
	ds_load_b128 v[90:93], v2 offset:768
	ds_load_b128 v[98:101], v2 offset:784
	v_add_f64_e32 v[4:5], v[4:5], v[138:139]
	v_add_f64_e32 v[8:9], v[8:9], v[146:147]
	scratch_load_b128 v[138:141], off, off offset:352
	s_wait_loadcnt_dscnt 0xb01
	v_mul_f64_e32 v[146:147], v[90:91], v[108:109]
	v_mul_f64_e32 v[108:109], v[92:93], v[108:109]
	v_fmac_f64_e32 v[148:149], v[124:125], v[102:103]
	v_fma_f64 v[122:123], v[122:123], v[102:103], -v[104:105]
	scratch_load_b128 v[102:105], off, off offset:368
	v_add_f64_e32 v[4:5], v[4:5], v[150:151]
	v_add_f64_e32 v[8:9], v[8:9], v[152:153]
	s_wait_loadcnt_dscnt 0xb00
	v_mul_f64_e32 v[150:151], v[98:99], v[112:113]
	v_mul_f64_e32 v[112:113], v[100:101], v[112:113]
	v_fmac_f64_e32 v[146:147], v[92:93], v[106:107]
	v_fma_f64 v[152:153], v[90:91], v[106:107], -v[108:109]
	ds_load_b128 v[90:93], v2 offset:800
	ds_load_b128 v[106:109], v2 offset:816
	v_add_f64_e32 v[4:5], v[4:5], v[122:123]
	v_add_f64_e32 v[8:9], v[8:9], v[148:149]
	scratch_load_b128 v[122:125], off, off offset:384
	s_wait_loadcnt_dscnt 0xb01
	v_mul_f64_e32 v[148:149], v[90:91], v[116:117]
	v_mul_f64_e32 v[116:117], v[92:93], v[116:117]
	v_fmac_f64_e32 v[150:151], v[100:101], v[110:111]
	v_fma_f64 v[110:111], v[98:99], v[110:111], -v[112:113]
	scratch_load_b128 v[98:101], off, off offset:400
	v_add_f64_e32 v[4:5], v[4:5], v[152:153]
	v_add_f64_e32 v[8:9], v[8:9], v[146:147]
	s_wait_loadcnt_dscnt 0xb00
	v_mul_f64_e32 v[146:147], v[106:107], v[120:121]
	v_mul_f64_e32 v[120:121], v[108:109], v[120:121]
	v_fmac_f64_e32 v[148:149], v[92:93], v[114:115]
	v_fma_f64 v[152:153], v[90:91], v[114:115], -v[116:117]
	v_add_f64_e32 v[4:5], v[4:5], v[110:111]
	v_add_f64_e32 v[8:9], v[8:9], v[150:151]
	ds_load_b128 v[90:93], v2 offset:832
	ds_load_b128 v[110:113], v2 offset:848
	scratch_load_b128 v[114:117], off, off offset:416
	v_fmac_f64_e32 v[146:147], v[108:109], v[118:119]
	v_fma_f64 v[118:119], v[106:107], v[118:119], -v[120:121]
	scratch_load_b128 v[106:109], off, off offset:432
	s_wait_loadcnt_dscnt 0xc01
	v_mul_f64_e32 v[150:151], v[90:91], v[128:129]
	v_mul_f64_e32 v[128:129], v[92:93], v[128:129]
	v_add_f64_e32 v[4:5], v[4:5], v[152:153]
	v_add_f64_e32 v[8:9], v[8:9], v[148:149]
	s_wait_loadcnt_dscnt 0xa00
	v_mul_f64_e32 v[148:149], v[110:111], v[12:13]
	v_mul_f64_e32 v[12:13], v[112:113], v[12:13]
	v_fmac_f64_e32 v[150:151], v[92:93], v[126:127]
	v_fma_f64 v[152:153], v[90:91], v[126:127], -v[128:129]
	v_add_f64_e32 v[4:5], v[4:5], v[118:119]
	v_add_f64_e32 v[8:9], v[8:9], v[146:147]
	ds_load_b128 v[90:93], v2 offset:864
	ds_load_b128 v[118:121], v2 offset:880
	scratch_load_b128 v[126:129], off, off offset:448
	v_fmac_f64_e32 v[148:149], v[112:113], v[10:11]
	v_fma_f64 v[12:13], v[110:111], v[10:11], -v[12:13]
	s_wait_loadcnt_dscnt 0xa01
	v_mul_f64_e32 v[146:147], v[90:91], v[144:145]
	v_mul_f64_e32 v[144:145], v[92:93], v[144:145]
	v_add_f64_e32 v[4:5], v[4:5], v[152:153]
	v_add_f64_e32 v[110:111], v[8:9], v[150:151]
	scratch_load_b128 v[8:11], off, off offset:464
	s_wait_loadcnt_dscnt 0xa00
	v_mul_f64_e32 v[150:151], v[118:119], v[88:89]
	v_mul_f64_e32 v[152:153], v[120:121], v[88:89]
	v_fmac_f64_e32 v[146:147], v[92:93], v[142:143]
	v_fma_f64 v[92:93], v[90:91], v[142:143], -v[144:145]
	v_add_f64_e32 v[4:5], v[4:5], v[12:13]
	v_add_f64_e32 v[12:13], v[110:111], v[148:149]
	ds_load_b128 v[88:91], v2 offset:896
	ds_load_b128 v[110:113], v2 offset:912
	scratch_load_b128 v[142:145], off, off offset:480
	v_fmac_f64_e32 v[150:151], v[120:121], v[86:87]
	v_fma_f64 v[86:87], v[118:119], v[86:87], -v[152:153]
	scratch_load_b128 v[118:121], off, off offset:496
	s_wait_loadcnt_dscnt 0xb01
	v_mul_f64_e32 v[148:149], v[88:89], v[132:133]
	v_mul_f64_e32 v[132:133], v[90:91], v[132:133]
	v_add_f64_e32 v[4:5], v[4:5], v[92:93]
	v_add_f64_e32 v[12:13], v[12:13], v[146:147]
	s_wait_loadcnt_dscnt 0xa00
	v_mul_f64_e32 v[146:147], v[110:111], v[96:97]
	v_mul_f64_e32 v[96:97], v[112:113], v[96:97]
	v_fmac_f64_e32 v[148:149], v[90:91], v[130:131]
	v_fma_f64 v[152:153], v[88:89], v[130:131], -v[132:133]
	v_add_f64_e32 v[4:5], v[4:5], v[86:87]
	v_add_f64_e32 v[12:13], v[12:13], v[150:151]
	ds_load_b128 v[86:89], v2 offset:928
	ds_load_b128 v[90:93], v2 offset:944
	scratch_load_b128 v[130:133], off, off offset:512
	v_fmac_f64_e32 v[146:147], v[112:113], v[94:95]
	v_fma_f64 v[110:111], v[110:111], v[94:95], -v[96:97]
	scratch_load_b128 v[94:97], off, off offset:528
	s_wait_loadcnt_dscnt 0xb01
	v_mul_f64_e32 v[150:151], v[86:87], v[140:141]
	v_mul_f64_e32 v[140:141], v[88:89], v[140:141]
	v_add_f64_e32 v[4:5], v[4:5], v[152:153]
	v_add_f64_e32 v[12:13], v[12:13], v[148:149]
	s_wait_loadcnt_dscnt 0xa00
	v_mul_f64_e32 v[148:149], v[90:91], v[104:105]
	v_mul_f64_e32 v[104:105], v[92:93], v[104:105]
	v_fmac_f64_e32 v[150:151], v[88:89], v[138:139]
	v_fma_f64 v[152:153], v[86:87], v[138:139], -v[140:141]
	v_add_f64_e32 v[4:5], v[4:5], v[110:111]
	v_add_f64_e32 v[12:13], v[12:13], v[146:147]
	ds_load_b128 v[86:89], v2 offset:960
	ds_load_b128 v[110:113], v2 offset:976
	scratch_load_b128 v[138:141], off, off offset:544
	v_fmac_f64_e32 v[148:149], v[92:93], v[102:103]
	v_fma_f64 v[102:103], v[90:91], v[102:103], -v[104:105]
	scratch_load_b128 v[90:93], off, off offset:560
	s_wait_loadcnt_dscnt 0xb01
	v_mul_f64_e32 v[146:147], v[86:87], v[124:125]
	v_mul_f64_e32 v[124:125], v[88:89], v[124:125]
	s_wait_loadcnt_dscnt 0xa00
	v_mul_f64_e32 v[104:105], v[110:111], v[100:101]
	v_add_f64_e32 v[4:5], v[4:5], v[152:153]
	v_add_f64_e32 v[12:13], v[12:13], v[150:151]
	v_mul_f64_e32 v[150:151], v[112:113], v[100:101]
	v_fmac_f64_e32 v[146:147], v[88:89], v[122:123]
	v_fma_f64 v[122:123], v[86:87], v[122:123], -v[124:125]
	v_fmac_f64_e32 v[104:105], v[112:113], v[98:99]
	v_add_f64_e32 v[4:5], v[4:5], v[102:103]
	v_add_f64_e32 v[12:13], v[12:13], v[148:149]
	ds_load_b128 v[86:89], v2 offset:992
	ds_load_b128 v[100:103], v2 offset:1008
	v_fma_f64 v[98:99], v[110:111], v[98:99], -v[150:151]
	s_wait_loadcnt_dscnt 0x901
	v_mul_f64_e32 v[124:125], v[86:87], v[116:117]
	v_mul_f64_e32 v[116:117], v[88:89], v[116:117]
	s_wait_loadcnt_dscnt 0x800
	v_mul_f64_e32 v[112:113], v[100:101], v[108:109]
	v_add_f64_e32 v[4:5], v[4:5], v[122:123]
	v_add_f64_e32 v[12:13], v[12:13], v[146:147]
	v_mul_f64_e32 v[122:123], v[102:103], v[108:109]
	v_fmac_f64_e32 v[124:125], v[88:89], v[114:115]
	v_fma_f64 v[114:115], v[86:87], v[114:115], -v[116:117]
	ds_load_b128 v[86:89], v2 offset:1024
	ds_load_b128 v[108:111], v2 offset:1040
	v_fmac_f64_e32 v[112:113], v[102:103], v[106:107]
	v_add_f64_e32 v[4:5], v[4:5], v[98:99]
	v_add_f64_e32 v[12:13], v[12:13], v[104:105]
	v_fma_f64 v[100:101], v[100:101], v[106:107], -v[122:123]
	s_wait_loadcnt_dscnt 0x701
	v_mul_f64_e32 v[98:99], v[86:87], v[128:129]
	v_mul_f64_e32 v[104:105], v[88:89], v[128:129]
	v_add_f64_e32 v[4:5], v[4:5], v[114:115]
	v_add_f64_e32 v[12:13], v[12:13], v[124:125]
	s_wait_loadcnt_dscnt 0x600
	v_mul_f64_e32 v[102:103], v[108:109], v[10:11]
	v_mul_f64_e32 v[106:107], v[110:111], v[10:11]
	v_fmac_f64_e32 v[98:99], v[88:89], v[126:127]
	v_fma_f64 v[104:105], v[86:87], v[126:127], -v[104:105]
	v_add_f64_e32 v[4:5], v[4:5], v[100:101]
	v_add_f64_e32 v[100:101], v[12:13], v[112:113]
	ds_load_b128 v[10:13], v2 offset:1056
	ds_load_b128 v[86:89], v2 offset:1072
	v_fmac_f64_e32 v[102:103], v[110:111], v[8:9]
	v_fma_f64 v[8:9], v[108:109], v[8:9], -v[106:107]
	s_wait_loadcnt_dscnt 0x501
	v_mul_f64_e32 v[112:113], v[10:11], v[144:145]
	v_mul_f64_e32 v[114:115], v[12:13], v[144:145]
	s_wait_loadcnt_dscnt 0x400
	v_mul_f64_e32 v[106:107], v[88:89], v[120:121]
	v_add_f64_e32 v[4:5], v[4:5], v[104:105]
	v_add_f64_e32 v[98:99], v[100:101], v[98:99]
	v_mul_f64_e32 v[104:105], v[86:87], v[120:121]
	v_fmac_f64_e32 v[112:113], v[12:13], v[142:143]
	v_fma_f64 v[12:13], v[10:11], v[142:143], -v[114:115]
	v_fma_f64 v[86:87], v[86:87], v[118:119], -v[106:107]
	v_add_f64_e32 v[4:5], v[4:5], v[8:9]
	v_add_f64_e32 v[102:103], v[98:99], v[102:103]
	ds_load_b128 v[8:11], v2 offset:1088
	ds_load_b128 v[98:101], v2 offset:1104
	v_fmac_f64_e32 v[104:105], v[88:89], v[118:119]
	s_wait_loadcnt_dscnt 0x301
	v_mul_f64_e32 v[108:109], v[8:9], v[132:133]
	v_mul_f64_e32 v[110:111], v[10:11], v[132:133]
	s_wait_loadcnt_dscnt 0x200
	v_mul_f64_e32 v[88:89], v[98:99], v[96:97]
	v_mul_f64_e32 v[96:97], v[100:101], v[96:97]
	v_add_f64_e32 v[4:5], v[4:5], v[12:13]
	v_add_f64_e32 v[12:13], v[102:103], v[112:113]
	v_fmac_f64_e32 v[108:109], v[10:11], v[130:131]
	v_fma_f64 v[102:103], v[8:9], v[130:131], -v[110:111]
	v_fmac_f64_e32 v[88:89], v[100:101], v[94:95]
	v_fma_f64 v[94:95], v[98:99], v[94:95], -v[96:97]
	v_add_f64_e32 v[86:87], v[4:5], v[86:87]
	v_add_f64_e32 v[12:13], v[12:13], v[104:105]
	ds_load_b128 v[8:11], v2 offset:1120
	ds_load_b128 v[2:5], v2 offset:1136
	s_wait_loadcnt_dscnt 0x101
	v_mul_f64_e32 v[104:105], v[8:9], v[140:141]
	v_mul_f64_e32 v[106:107], v[10:11], v[140:141]
	s_wait_loadcnt_dscnt 0x0
	v_mul_f64_e32 v[96:97], v[2:3], v[92:93]
	v_mul_f64_e32 v[92:93], v[4:5], v[92:93]
	v_add_f64_e32 v[86:87], v[86:87], v[102:103]
	v_add_f64_e32 v[12:13], v[12:13], v[108:109]
	v_fmac_f64_e32 v[104:105], v[10:11], v[138:139]
	v_fma_f64 v[8:9], v[8:9], v[138:139], -v[106:107]
	v_fmac_f64_e32 v[96:97], v[4:5], v[90:91]
	v_fma_f64 v[2:3], v[2:3], v[90:91], -v[92:93]
	v_add_f64_e32 v[10:11], v[86:87], v[94:95]
	v_add_f64_e32 v[12:13], v[12:13], v[88:89]
	s_delay_alu instid0(VALU_DEP_2) | instskip(NEXT) | instid1(VALU_DEP_2)
	v_add_f64_e32 v[4:5], v[10:11], v[8:9]
	v_add_f64_e32 v[8:9], v[12:13], v[104:105]
	s_delay_alu instid0(VALU_DEP_2) | instskip(NEXT) | instid1(VALU_DEP_2)
	;; [unrolled: 3-line block ×3, first 2 shown]
	v_add_f64_e64 v[2:3], v[134:135], -v[2:3]
	v_add_f64_e64 v[4:5], v[136:137], -v[4:5]
	scratch_store_b128 off, v[2:5], off offset:80
	s_wait_xcnt 0x0
	v_cmpx_lt_u32_e32 4, v1
	s_cbranch_execz .LBB35_221
; %bb.220:
	scratch_load_b128 v[2:5], off, s35
	v_mov_b32_e32 v8, 0
	s_delay_alu instid0(VALU_DEP_1)
	v_dual_mov_b32 v9, v8 :: v_dual_mov_b32 v10, v8
	v_mov_b32_e32 v11, v8
	scratch_store_b128 off, v[8:11], off offset:64
	s_wait_loadcnt 0x0
	ds_store_b128 v6, v[2:5]
.LBB35_221:
	s_wait_xcnt 0x0
	s_or_b32 exec_lo, exec_lo, s2
	s_wait_storecnt_dscnt 0x0
	s_barrier_signal -1
	s_barrier_wait -1
	s_clause 0x9
	scratch_load_b128 v[8:11], off, off offset:80
	scratch_load_b128 v[86:89], off, off offset:96
	;; [unrolled: 1-line block ×10, first 2 shown]
	v_mov_b32_e32 v2, 0
	s_mov_b32 s2, exec_lo
	ds_load_b128 v[122:125], v2 offset:656
	s_clause 0x2
	scratch_load_b128 v[126:129], off, off offset:240
	scratch_load_b128 v[130:133], off, off offset:64
	;; [unrolled: 1-line block ×3, first 2 shown]
	s_wait_loadcnt_dscnt 0xc00
	v_mul_f64_e32 v[4:5], v[124:125], v[10:11]
	v_mul_f64_e32 v[146:147], v[122:123], v[10:11]
	ds_load_b128 v[134:137], v2 offset:672
	scratch_load_b128 v[10:13], off, off offset:256
	ds_load_b128 v[142:145], v2 offset:704
	v_fma_f64 v[4:5], v[122:123], v[8:9], -v[4:5]
	v_fmac_f64_e32 v[146:147], v[124:125], v[8:9]
	ds_load_b128 v[122:125], v2 offset:688
	s_wait_loadcnt_dscnt 0xc02
	v_mul_f64_e32 v[148:149], v[134:135], v[88:89]
	v_mul_f64_e32 v[88:89], v[136:137], v[88:89]
	s_wait_loadcnt_dscnt 0xb00
	v_mul_f64_e32 v[8:9], v[122:123], v[92:93]
	v_mul_f64_e32 v[92:93], v[124:125], v[92:93]
	v_add_f64_e32 v[4:5], 0, v[4:5]
	v_fmac_f64_e32 v[148:149], v[136:137], v[86:87]
	v_fma_f64 v[134:135], v[134:135], v[86:87], -v[88:89]
	v_add_f64_e32 v[136:137], 0, v[146:147]
	scratch_load_b128 v[86:89], off, off offset:288
	v_fmac_f64_e32 v[8:9], v[124:125], v[90:91]
	v_fma_f64 v[150:151], v[122:123], v[90:91], -v[92:93]
	ds_load_b128 v[90:93], v2 offset:720
	s_wait_loadcnt 0xb
	v_mul_f64_e32 v[146:147], v[142:143], v[96:97]
	v_mul_f64_e32 v[96:97], v[144:145], v[96:97]
	scratch_load_b128 v[122:125], off, off offset:304
	v_add_f64_e32 v[4:5], v[4:5], v[134:135]
	v_add_f64_e32 v[148:149], v[136:137], v[148:149]
	ds_load_b128 v[134:137], v2 offset:736
	s_wait_loadcnt_dscnt 0xb01
	v_mul_f64_e32 v[152:153], v[90:91], v[100:101]
	v_mul_f64_e32 v[100:101], v[92:93], v[100:101]
	v_fmac_f64_e32 v[146:147], v[144:145], v[94:95]
	v_fma_f64 v[142:143], v[142:143], v[94:95], -v[96:97]
	scratch_load_b128 v[94:97], off, off offset:320
	v_add_f64_e32 v[4:5], v[4:5], v[150:151]
	v_add_f64_e32 v[8:9], v[148:149], v[8:9]
	v_fmac_f64_e32 v[152:153], v[92:93], v[98:99]
	v_fma_f64 v[150:151], v[90:91], v[98:99], -v[100:101]
	ds_load_b128 v[90:93], v2 offset:752
	s_wait_loadcnt_dscnt 0xb01
	v_mul_f64_e32 v[148:149], v[134:135], v[104:105]
	v_mul_f64_e32 v[104:105], v[136:137], v[104:105]
	scratch_load_b128 v[98:101], off, off offset:336
	v_add_f64_e32 v[4:5], v[4:5], v[142:143]
	v_add_f64_e32 v[8:9], v[8:9], v[146:147]
	s_wait_loadcnt_dscnt 0xb00
	v_mul_f64_e32 v[146:147], v[90:91], v[108:109]
	v_mul_f64_e32 v[108:109], v[92:93], v[108:109]
	ds_load_b128 v[142:145], v2 offset:768
	v_fmac_f64_e32 v[148:149], v[136:137], v[102:103]
	v_fma_f64 v[134:135], v[134:135], v[102:103], -v[104:105]
	scratch_load_b128 v[102:105], off, off offset:352
	v_add_f64_e32 v[4:5], v[4:5], v[150:151]
	v_add_f64_e32 v[8:9], v[8:9], v[152:153]
	v_fmac_f64_e32 v[146:147], v[92:93], v[106:107]
	v_fma_f64 v[152:153], v[90:91], v[106:107], -v[108:109]
	ds_load_b128 v[90:93], v2 offset:784
	s_wait_loadcnt_dscnt 0xb01
	v_mul_f64_e32 v[150:151], v[142:143], v[112:113]
	v_mul_f64_e32 v[112:113], v[144:145], v[112:113]
	scratch_load_b128 v[106:109], off, off offset:368
	v_add_f64_e32 v[4:5], v[4:5], v[134:135]
	v_add_f64_e32 v[8:9], v[8:9], v[148:149]
	s_wait_loadcnt_dscnt 0xb00
	v_mul_f64_e32 v[148:149], v[90:91], v[116:117]
	v_mul_f64_e32 v[116:117], v[92:93], v[116:117]
	ds_load_b128 v[134:137], v2 offset:800
	;; [unrolled: 18-line block ×3, first 2 shown]
	v_fmac_f64_e32 v[146:147], v[136:137], v[118:119]
	v_fma_f64 v[134:135], v[134:135], v[118:119], -v[120:121]
	scratch_load_b128 v[118:121], off, off offset:416
	v_add_f64_e32 v[4:5], v[4:5], v[152:153]
	v_add_f64_e32 v[8:9], v[8:9], v[148:149]
	v_fmac_f64_e32 v[150:151], v[92:93], v[126:127]
	v_fma_f64 v[152:153], v[90:91], v[126:127], -v[128:129]
	ds_load_b128 v[90:93], v2 offset:848
	s_wait_loadcnt_dscnt 0x901
	v_mul_f64_e32 v[148:149], v[142:143], v[12:13]
	v_mul_f64_e32 v[12:13], v[144:145], v[12:13]
	scratch_load_b128 v[126:129], off, off offset:432
	v_add_f64_e32 v[4:5], v[4:5], v[134:135]
	v_add_f64_e32 v[8:9], v[8:9], v[146:147]
	s_wait_dscnt 0x0
	v_mul_f64_e32 v[146:147], v[90:91], v[140:141]
	v_mul_f64_e32 v[140:141], v[92:93], v[140:141]
	ds_load_b128 v[134:137], v2 offset:864
	v_fmac_f64_e32 v[148:149], v[144:145], v[10:11]
	v_fma_f64 v[12:13], v[142:143], v[10:11], -v[12:13]
	v_add_f64_e32 v[4:5], v[4:5], v[152:153]
	v_add_f64_e32 v[142:143], v[8:9], v[150:151]
	scratch_load_b128 v[8:11], off, off offset:448
	v_fmac_f64_e32 v[146:147], v[92:93], v[138:139]
	v_fma_f64 v[92:93], v[90:91], v[138:139], -v[140:141]
	scratch_load_b128 v[138:141], off, off offset:464
	v_add_f64_e32 v[4:5], v[4:5], v[12:13]
	v_add_f64_e32 v[12:13], v[142:143], v[148:149]
	ds_load_b128 v[142:145], v2 offset:896
	s_wait_loadcnt_dscnt 0xb01
	v_mul_f64_e32 v[150:151], v[134:135], v[88:89]
	v_mul_f64_e32 v[152:153], v[136:137], v[88:89]
	ds_load_b128 v[88:91], v2 offset:880
	s_wait_loadcnt_dscnt 0xa00
	v_mul_f64_e32 v[148:149], v[88:89], v[124:125]
	v_mul_f64_e32 v[124:125], v[90:91], v[124:125]
	v_add_f64_e32 v[4:5], v[4:5], v[92:93]
	v_add_f64_e32 v[12:13], v[12:13], v[146:147]
	s_wait_loadcnt 0x9
	v_mul_f64_e32 v[146:147], v[142:143], v[96:97]
	v_fmac_f64_e32 v[150:151], v[136:137], v[86:87]
	v_fma_f64 v[86:87], v[134:135], v[86:87], -v[152:153]
	scratch_load_b128 v[134:137], off, off offset:480
	v_mul_f64_e32 v[96:97], v[144:145], v[96:97]
	v_fmac_f64_e32 v[148:149], v[90:91], v[122:123]
	v_fma_f64 v[152:153], v[88:89], v[122:123], -v[124:125]
	scratch_load_b128 v[90:93], off, off offset:496
	ds_load_b128 v[122:125], v2 offset:928
	v_fmac_f64_e32 v[146:147], v[144:145], v[94:95]
	v_add_f64_e32 v[12:13], v[12:13], v[150:151]
	v_add_f64_e32 v[4:5], v[4:5], v[86:87]
	ds_load_b128 v[86:89], v2 offset:912
	v_fma_f64 v[142:143], v[142:143], v[94:95], -v[96:97]
	scratch_load_b128 v[94:97], off, off offset:512
	s_wait_loadcnt_dscnt 0xb00
	v_mul_f64_e32 v[150:151], v[86:87], v[100:101]
	v_mul_f64_e32 v[100:101], v[88:89], v[100:101]
	v_add_f64_e32 v[12:13], v[12:13], v[148:149]
	v_add_f64_e32 v[4:5], v[4:5], v[152:153]
	s_wait_loadcnt 0xa
	v_mul_f64_e32 v[148:149], v[122:123], v[104:105]
	v_mul_f64_e32 v[104:105], v[124:125], v[104:105]
	v_fmac_f64_e32 v[150:151], v[88:89], v[98:99]
	v_fma_f64 v[152:153], v[86:87], v[98:99], -v[100:101]
	ds_load_b128 v[86:89], v2 offset:944
	scratch_load_b128 v[98:101], off, off offset:528
	v_add_f64_e32 v[12:13], v[12:13], v[146:147]
	v_add_f64_e32 v[4:5], v[4:5], v[142:143]
	ds_load_b128 v[142:145], v2 offset:960
	v_fmac_f64_e32 v[148:149], v[124:125], v[102:103]
	v_fma_f64 v[122:123], v[122:123], v[102:103], -v[104:105]
	scratch_load_b128 v[102:105], off, off offset:544
	s_wait_loadcnt_dscnt 0xb01
	v_mul_f64_e32 v[146:147], v[86:87], v[108:109]
	v_mul_f64_e32 v[108:109], v[88:89], v[108:109]
	v_add_f64_e32 v[12:13], v[12:13], v[150:151]
	v_add_f64_e32 v[4:5], v[4:5], v[152:153]
	s_wait_loadcnt_dscnt 0xa00
	v_mul_f64_e32 v[150:151], v[142:143], v[112:113]
	v_mul_f64_e32 v[112:113], v[144:145], v[112:113]
	v_fmac_f64_e32 v[146:147], v[88:89], v[106:107]
	v_fma_f64 v[152:153], v[86:87], v[106:107], -v[108:109]
	ds_load_b128 v[86:89], v2 offset:976
	scratch_load_b128 v[106:109], off, off offset:560
	v_add_f64_e32 v[12:13], v[12:13], v[148:149]
	v_add_f64_e32 v[4:5], v[4:5], v[122:123]
	ds_load_b128 v[122:125], v2 offset:992
	s_wait_loadcnt_dscnt 0xa01
	v_mul_f64_e32 v[148:149], v[86:87], v[116:117]
	v_mul_f64_e32 v[116:117], v[88:89], v[116:117]
	v_fmac_f64_e32 v[150:151], v[144:145], v[110:111]
	v_fma_f64 v[110:111], v[142:143], v[110:111], -v[112:113]
	s_wait_loadcnt_dscnt 0x900
	v_mul_f64_e32 v[142:143], v[122:123], v[120:121]
	v_mul_f64_e32 v[120:121], v[124:125], v[120:121]
	v_add_f64_e32 v[12:13], v[12:13], v[146:147]
	v_add_f64_e32 v[4:5], v[4:5], v[152:153]
	v_fmac_f64_e32 v[148:149], v[88:89], v[114:115]
	v_fma_f64 v[114:115], v[86:87], v[114:115], -v[116:117]
	v_fmac_f64_e32 v[142:143], v[124:125], v[118:119]
	v_fma_f64 v[118:119], v[122:123], v[118:119], -v[120:121]
	v_add_f64_e32 v[12:13], v[12:13], v[150:151]
	v_add_f64_e32 v[4:5], v[4:5], v[110:111]
	ds_load_b128 v[86:89], v2 offset:1008
	ds_load_b128 v[110:113], v2 offset:1024
	s_wait_loadcnt_dscnt 0x801
	v_mul_f64_e32 v[116:117], v[86:87], v[128:129]
	v_mul_f64_e32 v[128:129], v[88:89], v[128:129]
	s_wait_loadcnt_dscnt 0x700
	v_mul_f64_e32 v[120:121], v[112:113], v[10:11]
	v_add_f64_e32 v[12:13], v[12:13], v[148:149]
	v_add_f64_e32 v[4:5], v[4:5], v[114:115]
	v_mul_f64_e32 v[114:115], v[110:111], v[10:11]
	v_fmac_f64_e32 v[116:117], v[88:89], v[126:127]
	v_fma_f64 v[122:123], v[86:87], v[126:127], -v[128:129]
	s_delay_alu instid0(VALU_DEP_4)
	v_add_f64_e32 v[4:5], v[4:5], v[118:119]
	v_add_f64_e32 v[118:119], v[12:13], v[142:143]
	ds_load_b128 v[10:13], v2 offset:1040
	ds_load_b128 v[86:89], v2 offset:1056
	v_fmac_f64_e32 v[114:115], v[112:113], v[8:9]
	v_fma_f64 v[8:9], v[110:111], v[8:9], -v[120:121]
	s_wait_loadcnt_dscnt 0x601
	v_mul_f64_e32 v[124:125], v[10:11], v[140:141]
	v_mul_f64_e32 v[126:127], v[12:13], v[140:141]
	v_add_f64_e32 v[4:5], v[4:5], v[122:123]
	v_add_f64_e32 v[110:111], v[118:119], v[116:117]
	s_wait_loadcnt_dscnt 0x500
	v_mul_f64_e32 v[116:117], v[86:87], v[136:137]
	v_mul_f64_e32 v[118:119], v[88:89], v[136:137]
	v_fmac_f64_e32 v[124:125], v[12:13], v[138:139]
	v_fma_f64 v[12:13], v[10:11], v[138:139], -v[126:127]
	v_add_f64_e32 v[4:5], v[4:5], v[8:9]
	v_add_f64_e32 v[114:115], v[110:111], v[114:115]
	ds_load_b128 v[8:11], v2 offset:1072
	ds_load_b128 v[110:113], v2 offset:1088
	v_fmac_f64_e32 v[116:117], v[88:89], v[134:135]
	v_fma_f64 v[86:87], v[86:87], v[134:135], -v[118:119]
	s_wait_loadcnt_dscnt 0x401
	v_mul_f64_e32 v[120:121], v[8:9], v[92:93]
	v_mul_f64_e32 v[92:93], v[10:11], v[92:93]
	v_add_f64_e32 v[4:5], v[4:5], v[12:13]
	v_add_f64_e32 v[12:13], v[114:115], v[124:125]
	s_wait_loadcnt_dscnt 0x300
	v_mul_f64_e32 v[114:115], v[110:111], v[96:97]
	v_mul_f64_e32 v[96:97], v[112:113], v[96:97]
	v_fmac_f64_e32 v[120:121], v[10:11], v[90:91]
	v_fma_f64 v[90:91], v[8:9], v[90:91], -v[92:93]
	v_add_f64_e32 v[4:5], v[4:5], v[86:87]
	v_add_f64_e32 v[12:13], v[12:13], v[116:117]
	ds_load_b128 v[8:11], v2 offset:1104
	ds_load_b128 v[86:89], v2 offset:1120
	v_fmac_f64_e32 v[114:115], v[112:113], v[94:95]
	v_fma_f64 v[94:95], v[110:111], v[94:95], -v[96:97]
	s_wait_loadcnt_dscnt 0x201
	v_mul_f64_e32 v[92:93], v[8:9], v[100:101]
	v_mul_f64_e32 v[100:101], v[10:11], v[100:101]
	s_wait_loadcnt_dscnt 0x100
	v_mul_f64_e32 v[96:97], v[88:89], v[104:105]
	v_add_f64_e32 v[4:5], v[4:5], v[90:91]
	v_add_f64_e32 v[12:13], v[12:13], v[120:121]
	v_mul_f64_e32 v[90:91], v[86:87], v[104:105]
	v_fmac_f64_e32 v[92:93], v[10:11], v[98:99]
	v_fma_f64 v[98:99], v[8:9], v[98:99], -v[100:101]
	ds_load_b128 v[8:11], v2 offset:1136
	v_fma_f64 v[86:87], v[86:87], v[102:103], -v[96:97]
	v_add_f64_e32 v[4:5], v[4:5], v[94:95]
	v_add_f64_e32 v[12:13], v[12:13], v[114:115]
	v_fmac_f64_e32 v[90:91], v[88:89], v[102:103]
	s_wait_loadcnt_dscnt 0x0
	v_mul_f64_e32 v[94:95], v[8:9], v[108:109]
	v_mul_f64_e32 v[100:101], v[10:11], v[108:109]
	v_add_f64_e32 v[4:5], v[4:5], v[98:99]
	v_add_f64_e32 v[12:13], v[12:13], v[92:93]
	s_delay_alu instid0(VALU_DEP_4) | instskip(NEXT) | instid1(VALU_DEP_4)
	v_fmac_f64_e32 v[94:95], v[10:11], v[106:107]
	v_fma_f64 v[8:9], v[8:9], v[106:107], -v[100:101]
	s_delay_alu instid0(VALU_DEP_4) | instskip(NEXT) | instid1(VALU_DEP_4)
	v_add_f64_e32 v[4:5], v[4:5], v[86:87]
	v_add_f64_e32 v[10:11], v[12:13], v[90:91]
	s_delay_alu instid0(VALU_DEP_2) | instskip(NEXT) | instid1(VALU_DEP_2)
	v_add_f64_e32 v[4:5], v[4:5], v[8:9]
	v_add_f64_e32 v[10:11], v[10:11], v[94:95]
	s_delay_alu instid0(VALU_DEP_2) | instskip(NEXT) | instid1(VALU_DEP_2)
	v_add_f64_e64 v[8:9], v[130:131], -v[4:5]
	v_add_f64_e64 v[10:11], v[132:133], -v[10:11]
	scratch_store_b128 off, v[8:11], off offset:64
	s_wait_xcnt 0x0
	v_cmpx_lt_u32_e32 3, v1
	s_cbranch_execz .LBB35_223
; %bb.222:
	scratch_load_b128 v[8:11], off, s34
	v_dual_mov_b32 v3, v2 :: v_dual_mov_b32 v4, v2
	v_mov_b32_e32 v5, v2
	scratch_store_b128 off, v[2:5], off offset:48
	s_wait_loadcnt 0x0
	ds_store_b128 v6, v[8:11]
.LBB35_223:
	s_wait_xcnt 0x0
	s_or_b32 exec_lo, exec_lo, s2
	s_wait_storecnt_dscnt 0x0
	s_barrier_signal -1
	s_barrier_wait -1
	s_clause 0x9
	scratch_load_b128 v[8:11], off, off offset:64
	scratch_load_b128 v[86:89], off, off offset:80
	;; [unrolled: 1-line block ×10, first 2 shown]
	ds_load_b128 v[122:125], v2 offset:640
	ds_load_b128 v[130:133], v2 offset:656
	s_clause 0x1
	scratch_load_b128 v[126:129], off, off offset:224
	scratch_load_b128 v[134:137], off, off offset:48
	s_mov_b32 s2, exec_lo
	s_wait_loadcnt_dscnt 0xb01
	v_mul_f64_e32 v[4:5], v[124:125], v[10:11]
	v_mul_f64_e32 v[146:147], v[122:123], v[10:11]
	scratch_load_b128 v[10:13], off, off offset:240
	s_wait_loadcnt_dscnt 0xb00
	v_mul_f64_e32 v[148:149], v[130:131], v[88:89]
	v_mul_f64_e32 v[88:89], v[132:133], v[88:89]
	v_fma_f64 v[4:5], v[122:123], v[8:9], -v[4:5]
	v_fmac_f64_e32 v[146:147], v[124:125], v[8:9]
	ds_load_b128 v[122:125], v2 offset:672
	ds_load_b128 v[138:141], v2 offset:688
	scratch_load_b128 v[142:145], off, off offset:256
	v_fmac_f64_e32 v[148:149], v[132:133], v[86:87]
	v_fma_f64 v[130:131], v[130:131], v[86:87], -v[88:89]
	scratch_load_b128 v[86:89], off, off offset:272
	s_wait_loadcnt_dscnt 0xc01
	v_mul_f64_e32 v[8:9], v[122:123], v[92:93]
	v_mul_f64_e32 v[92:93], v[124:125], v[92:93]
	v_add_f64_e32 v[4:5], 0, v[4:5]
	v_add_f64_e32 v[132:133], 0, v[146:147]
	s_wait_loadcnt_dscnt 0xb00
	v_mul_f64_e32 v[146:147], v[138:139], v[96:97]
	v_mul_f64_e32 v[96:97], v[140:141], v[96:97]
	v_fmac_f64_e32 v[8:9], v[124:125], v[90:91]
	v_fma_f64 v[150:151], v[122:123], v[90:91], -v[92:93]
	ds_load_b128 v[90:93], v2 offset:704
	ds_load_b128 v[122:125], v2 offset:720
	v_add_f64_e32 v[4:5], v[4:5], v[130:131]
	v_add_f64_e32 v[148:149], v[132:133], v[148:149]
	scratch_load_b128 v[130:133], off, off offset:288
	v_fmac_f64_e32 v[146:147], v[140:141], v[94:95]
	v_fma_f64 v[138:139], v[138:139], v[94:95], -v[96:97]
	scratch_load_b128 v[94:97], off, off offset:304
	s_wait_loadcnt_dscnt 0xc01
	v_mul_f64_e32 v[152:153], v[90:91], v[100:101]
	v_mul_f64_e32 v[100:101], v[92:93], v[100:101]
	v_add_f64_e32 v[4:5], v[4:5], v[150:151]
	v_add_f64_e32 v[8:9], v[148:149], v[8:9]
	s_wait_loadcnt_dscnt 0xb00
	v_mul_f64_e32 v[148:149], v[122:123], v[104:105]
	v_mul_f64_e32 v[104:105], v[124:125], v[104:105]
	v_fmac_f64_e32 v[152:153], v[92:93], v[98:99]
	v_fma_f64 v[150:151], v[90:91], v[98:99], -v[100:101]
	ds_load_b128 v[90:93], v2 offset:736
	ds_load_b128 v[98:101], v2 offset:752
	v_add_f64_e32 v[4:5], v[4:5], v[138:139]
	v_add_f64_e32 v[8:9], v[8:9], v[146:147]
	scratch_load_b128 v[138:141], off, off offset:320
	s_wait_loadcnt_dscnt 0xb01
	v_mul_f64_e32 v[146:147], v[90:91], v[108:109]
	v_mul_f64_e32 v[108:109], v[92:93], v[108:109]
	v_fmac_f64_e32 v[148:149], v[124:125], v[102:103]
	v_fma_f64 v[122:123], v[122:123], v[102:103], -v[104:105]
	scratch_load_b128 v[102:105], off, off offset:336
	v_add_f64_e32 v[4:5], v[4:5], v[150:151]
	v_add_f64_e32 v[8:9], v[8:9], v[152:153]
	s_wait_loadcnt_dscnt 0xb00
	v_mul_f64_e32 v[150:151], v[98:99], v[112:113]
	v_mul_f64_e32 v[112:113], v[100:101], v[112:113]
	v_fmac_f64_e32 v[146:147], v[92:93], v[106:107]
	v_fma_f64 v[152:153], v[90:91], v[106:107], -v[108:109]
	ds_load_b128 v[90:93], v2 offset:768
	ds_load_b128 v[106:109], v2 offset:784
	v_add_f64_e32 v[4:5], v[4:5], v[122:123]
	v_add_f64_e32 v[8:9], v[8:9], v[148:149]
	scratch_load_b128 v[122:125], off, off offset:352
	s_wait_loadcnt_dscnt 0xb01
	v_mul_f64_e32 v[148:149], v[90:91], v[116:117]
	v_mul_f64_e32 v[116:117], v[92:93], v[116:117]
	v_fmac_f64_e32 v[150:151], v[100:101], v[110:111]
	v_fma_f64 v[110:111], v[98:99], v[110:111], -v[112:113]
	scratch_load_b128 v[98:101], off, off offset:368
	v_add_f64_e32 v[4:5], v[4:5], v[152:153]
	v_add_f64_e32 v[8:9], v[8:9], v[146:147]
	s_wait_loadcnt_dscnt 0xb00
	v_mul_f64_e32 v[146:147], v[106:107], v[120:121]
	v_mul_f64_e32 v[120:121], v[108:109], v[120:121]
	v_fmac_f64_e32 v[148:149], v[92:93], v[114:115]
	v_fma_f64 v[152:153], v[90:91], v[114:115], -v[116:117]
	v_add_f64_e32 v[4:5], v[4:5], v[110:111]
	v_add_f64_e32 v[8:9], v[8:9], v[150:151]
	ds_load_b128 v[90:93], v2 offset:800
	ds_load_b128 v[110:113], v2 offset:816
	scratch_load_b128 v[114:117], off, off offset:384
	v_fmac_f64_e32 v[146:147], v[108:109], v[118:119]
	v_fma_f64 v[118:119], v[106:107], v[118:119], -v[120:121]
	scratch_load_b128 v[106:109], off, off offset:400
	s_wait_loadcnt_dscnt 0xc01
	v_mul_f64_e32 v[150:151], v[90:91], v[128:129]
	v_mul_f64_e32 v[128:129], v[92:93], v[128:129]
	v_add_f64_e32 v[4:5], v[4:5], v[152:153]
	v_add_f64_e32 v[8:9], v[8:9], v[148:149]
	s_wait_loadcnt_dscnt 0xa00
	v_mul_f64_e32 v[148:149], v[110:111], v[12:13]
	v_mul_f64_e32 v[12:13], v[112:113], v[12:13]
	v_fmac_f64_e32 v[150:151], v[92:93], v[126:127]
	v_fma_f64 v[152:153], v[90:91], v[126:127], -v[128:129]
	v_add_f64_e32 v[4:5], v[4:5], v[118:119]
	v_add_f64_e32 v[8:9], v[8:9], v[146:147]
	ds_load_b128 v[90:93], v2 offset:832
	ds_load_b128 v[118:121], v2 offset:848
	scratch_load_b128 v[126:129], off, off offset:416
	v_fmac_f64_e32 v[148:149], v[112:113], v[10:11]
	v_fma_f64 v[12:13], v[110:111], v[10:11], -v[12:13]
	s_wait_loadcnt_dscnt 0xa01
	v_mul_f64_e32 v[146:147], v[90:91], v[144:145]
	v_mul_f64_e32 v[144:145], v[92:93], v[144:145]
	v_add_f64_e32 v[4:5], v[4:5], v[152:153]
	v_add_f64_e32 v[110:111], v[8:9], v[150:151]
	scratch_load_b128 v[8:11], off, off offset:432
	s_wait_loadcnt_dscnt 0xa00
	v_mul_f64_e32 v[150:151], v[118:119], v[88:89]
	v_mul_f64_e32 v[152:153], v[120:121], v[88:89]
	v_fmac_f64_e32 v[146:147], v[92:93], v[142:143]
	v_fma_f64 v[92:93], v[90:91], v[142:143], -v[144:145]
	v_add_f64_e32 v[4:5], v[4:5], v[12:13]
	v_add_f64_e32 v[12:13], v[110:111], v[148:149]
	ds_load_b128 v[88:91], v2 offset:864
	ds_load_b128 v[110:113], v2 offset:880
	scratch_load_b128 v[142:145], off, off offset:448
	v_fmac_f64_e32 v[150:151], v[120:121], v[86:87]
	v_fma_f64 v[86:87], v[118:119], v[86:87], -v[152:153]
	scratch_load_b128 v[118:121], off, off offset:464
	s_wait_loadcnt_dscnt 0xb01
	v_mul_f64_e32 v[148:149], v[88:89], v[132:133]
	v_mul_f64_e32 v[132:133], v[90:91], v[132:133]
	v_add_f64_e32 v[4:5], v[4:5], v[92:93]
	v_add_f64_e32 v[12:13], v[12:13], v[146:147]
	s_wait_loadcnt_dscnt 0xa00
	v_mul_f64_e32 v[146:147], v[110:111], v[96:97]
	v_mul_f64_e32 v[96:97], v[112:113], v[96:97]
	v_fmac_f64_e32 v[148:149], v[90:91], v[130:131]
	v_fma_f64 v[152:153], v[88:89], v[130:131], -v[132:133]
	v_add_f64_e32 v[4:5], v[4:5], v[86:87]
	v_add_f64_e32 v[12:13], v[12:13], v[150:151]
	ds_load_b128 v[86:89], v2 offset:896
	ds_load_b128 v[90:93], v2 offset:912
	scratch_load_b128 v[130:133], off, off offset:480
	v_fmac_f64_e32 v[146:147], v[112:113], v[94:95]
	v_fma_f64 v[110:111], v[110:111], v[94:95], -v[96:97]
	scratch_load_b128 v[94:97], off, off offset:496
	s_wait_loadcnt_dscnt 0xb01
	v_mul_f64_e32 v[150:151], v[86:87], v[140:141]
	v_mul_f64_e32 v[140:141], v[88:89], v[140:141]
	v_add_f64_e32 v[4:5], v[4:5], v[152:153]
	v_add_f64_e32 v[12:13], v[12:13], v[148:149]
	s_wait_loadcnt_dscnt 0xa00
	v_mul_f64_e32 v[148:149], v[90:91], v[104:105]
	v_mul_f64_e32 v[104:105], v[92:93], v[104:105]
	v_fmac_f64_e32 v[150:151], v[88:89], v[138:139]
	v_fma_f64 v[152:153], v[86:87], v[138:139], -v[140:141]
	v_add_f64_e32 v[4:5], v[4:5], v[110:111]
	v_add_f64_e32 v[12:13], v[12:13], v[146:147]
	ds_load_b128 v[86:89], v2 offset:928
	ds_load_b128 v[110:113], v2 offset:944
	scratch_load_b128 v[138:141], off, off offset:512
	v_fmac_f64_e32 v[148:149], v[92:93], v[102:103]
	v_fma_f64 v[102:103], v[90:91], v[102:103], -v[104:105]
	scratch_load_b128 v[90:93], off, off offset:528
	s_wait_loadcnt_dscnt 0xb01
	v_mul_f64_e32 v[146:147], v[86:87], v[124:125]
	v_mul_f64_e32 v[124:125], v[88:89], v[124:125]
	s_wait_loadcnt_dscnt 0xa00
	v_mul_f64_e32 v[104:105], v[110:111], v[100:101]
	v_add_f64_e32 v[4:5], v[4:5], v[152:153]
	v_add_f64_e32 v[12:13], v[12:13], v[150:151]
	v_mul_f64_e32 v[150:151], v[112:113], v[100:101]
	v_fmac_f64_e32 v[146:147], v[88:89], v[122:123]
	v_fma_f64 v[152:153], v[86:87], v[122:123], -v[124:125]
	v_fmac_f64_e32 v[104:105], v[112:113], v[98:99]
	v_add_f64_e32 v[4:5], v[4:5], v[102:103]
	v_add_f64_e32 v[12:13], v[12:13], v[148:149]
	ds_load_b128 v[86:89], v2 offset:960
	ds_load_b128 v[100:103], v2 offset:976
	scratch_load_b128 v[122:125], off, off offset:544
	v_fma_f64 v[98:99], v[110:111], v[98:99], -v[150:151]
	scratch_load_b128 v[110:113], off, off offset:560
	s_wait_loadcnt_dscnt 0xb01
	v_mul_f64_e32 v[148:149], v[86:87], v[116:117]
	v_mul_f64_e32 v[116:117], v[88:89], v[116:117]
	v_add_f64_e32 v[4:5], v[4:5], v[152:153]
	v_add_f64_e32 v[12:13], v[12:13], v[146:147]
	s_wait_loadcnt_dscnt 0xa00
	v_mul_f64_e32 v[146:147], v[100:101], v[108:109]
	v_mul_f64_e32 v[108:109], v[102:103], v[108:109]
	v_fmac_f64_e32 v[148:149], v[88:89], v[114:115]
	v_fma_f64 v[150:151], v[86:87], v[114:115], -v[116:117]
	ds_load_b128 v[86:89], v2 offset:992
	ds_load_b128 v[114:117], v2 offset:1008
	v_add_f64_e32 v[4:5], v[4:5], v[98:99]
	v_add_f64_e32 v[12:13], v[12:13], v[104:105]
	v_fmac_f64_e32 v[146:147], v[102:103], v[106:107]
	v_fma_f64 v[100:101], v[100:101], v[106:107], -v[108:109]
	s_wait_loadcnt_dscnt 0x901
	v_mul_f64_e32 v[98:99], v[86:87], v[128:129]
	v_mul_f64_e32 v[104:105], v[88:89], v[128:129]
	v_add_f64_e32 v[4:5], v[4:5], v[150:151]
	v_add_f64_e32 v[12:13], v[12:13], v[148:149]
	s_wait_loadcnt_dscnt 0x800
	v_mul_f64_e32 v[102:103], v[114:115], v[10:11]
	v_mul_f64_e32 v[106:107], v[116:117], v[10:11]
	v_fmac_f64_e32 v[98:99], v[88:89], v[126:127]
	v_fma_f64 v[104:105], v[86:87], v[126:127], -v[104:105]
	v_add_f64_e32 v[4:5], v[4:5], v[100:101]
	v_add_f64_e32 v[100:101], v[12:13], v[146:147]
	ds_load_b128 v[10:13], v2 offset:1024
	ds_load_b128 v[86:89], v2 offset:1040
	v_fmac_f64_e32 v[102:103], v[116:117], v[8:9]
	v_fma_f64 v[8:9], v[114:115], v[8:9], -v[106:107]
	s_wait_loadcnt_dscnt 0x701
	v_mul_f64_e32 v[108:109], v[10:11], v[144:145]
	v_mul_f64_e32 v[126:127], v[12:13], v[144:145]
	s_wait_loadcnt_dscnt 0x600
	v_mul_f64_e32 v[106:107], v[88:89], v[120:121]
	v_add_f64_e32 v[4:5], v[4:5], v[104:105]
	v_add_f64_e32 v[98:99], v[100:101], v[98:99]
	v_mul_f64_e32 v[104:105], v[86:87], v[120:121]
	v_fmac_f64_e32 v[108:109], v[12:13], v[142:143]
	v_fma_f64 v[12:13], v[10:11], v[142:143], -v[126:127]
	v_fma_f64 v[86:87], v[86:87], v[118:119], -v[106:107]
	v_add_f64_e32 v[4:5], v[4:5], v[8:9]
	v_add_f64_e32 v[102:103], v[98:99], v[102:103]
	ds_load_b128 v[8:11], v2 offset:1056
	ds_load_b128 v[98:101], v2 offset:1072
	v_fmac_f64_e32 v[104:105], v[88:89], v[118:119]
	s_wait_loadcnt_dscnt 0x501
	v_mul_f64_e32 v[114:115], v[8:9], v[132:133]
	v_mul_f64_e32 v[116:117], v[10:11], v[132:133]
	v_add_f64_e32 v[4:5], v[4:5], v[12:13]
	v_add_f64_e32 v[12:13], v[102:103], v[108:109]
	s_wait_loadcnt_dscnt 0x400
	v_mul_f64_e32 v[102:103], v[98:99], v[96:97]
	v_mul_f64_e32 v[96:97], v[100:101], v[96:97]
	v_fmac_f64_e32 v[114:115], v[10:11], v[130:131]
	v_fma_f64 v[106:107], v[8:9], v[130:131], -v[116:117]
	v_add_f64_e32 v[4:5], v[4:5], v[86:87]
	v_add_f64_e32 v[12:13], v[12:13], v[104:105]
	ds_load_b128 v[8:11], v2 offset:1088
	ds_load_b128 v[86:89], v2 offset:1104
	v_fmac_f64_e32 v[102:103], v[100:101], v[94:95]
	v_fma_f64 v[94:95], v[98:99], v[94:95], -v[96:97]
	s_wait_loadcnt_dscnt 0x301
	v_mul_f64_e32 v[104:105], v[8:9], v[140:141]
	v_mul_f64_e32 v[108:109], v[10:11], v[140:141]
	s_wait_loadcnt_dscnt 0x200
	v_mul_f64_e32 v[96:97], v[86:87], v[92:93]
	v_mul_f64_e32 v[92:93], v[88:89], v[92:93]
	v_add_f64_e32 v[4:5], v[4:5], v[106:107]
	v_add_f64_e32 v[12:13], v[12:13], v[114:115]
	v_fmac_f64_e32 v[104:105], v[10:11], v[138:139]
	v_fma_f64 v[98:99], v[8:9], v[138:139], -v[108:109]
	v_fmac_f64_e32 v[96:97], v[88:89], v[90:91]
	v_fma_f64 v[86:87], v[86:87], v[90:91], -v[92:93]
	v_add_f64_e32 v[94:95], v[4:5], v[94:95]
	v_add_f64_e32 v[12:13], v[12:13], v[102:103]
	ds_load_b128 v[8:11], v2 offset:1120
	ds_load_b128 v[2:5], v2 offset:1136
	s_wait_loadcnt_dscnt 0x101
	v_mul_f64_e32 v[100:101], v[8:9], v[124:125]
	v_mul_f64_e32 v[102:103], v[10:11], v[124:125]
	s_wait_loadcnt_dscnt 0x0
	v_mul_f64_e32 v[90:91], v[2:3], v[112:113]
	v_mul_f64_e32 v[92:93], v[4:5], v[112:113]
	v_add_f64_e32 v[88:89], v[94:95], v[98:99]
	v_add_f64_e32 v[12:13], v[12:13], v[104:105]
	v_fmac_f64_e32 v[100:101], v[10:11], v[122:123]
	v_fma_f64 v[8:9], v[8:9], v[122:123], -v[102:103]
	v_fmac_f64_e32 v[90:91], v[4:5], v[110:111]
	v_fma_f64 v[2:3], v[2:3], v[110:111], -v[92:93]
	v_add_f64_e32 v[10:11], v[88:89], v[86:87]
	v_add_f64_e32 v[12:13], v[12:13], v[96:97]
	s_delay_alu instid0(VALU_DEP_2) | instskip(NEXT) | instid1(VALU_DEP_2)
	v_add_f64_e32 v[4:5], v[10:11], v[8:9]
	v_add_f64_e32 v[8:9], v[12:13], v[100:101]
	s_delay_alu instid0(VALU_DEP_2) | instskip(NEXT) | instid1(VALU_DEP_2)
	;; [unrolled: 3-line block ×3, first 2 shown]
	v_add_f64_e64 v[2:3], v[134:135], -v[2:3]
	v_add_f64_e64 v[4:5], v[136:137], -v[4:5]
	scratch_store_b128 off, v[2:5], off offset:48
	s_wait_xcnt 0x0
	v_cmpx_lt_u32_e32 2, v1
	s_cbranch_execz .LBB35_225
; %bb.224:
	scratch_load_b128 v[2:5], off, s31
	v_mov_b32_e32 v8, 0
	s_delay_alu instid0(VALU_DEP_1)
	v_dual_mov_b32 v9, v8 :: v_dual_mov_b32 v10, v8
	v_mov_b32_e32 v11, v8
	scratch_store_b128 off, v[8:11], off offset:32
	s_wait_loadcnt 0x0
	ds_store_b128 v6, v[2:5]
.LBB35_225:
	s_wait_xcnt 0x0
	s_or_b32 exec_lo, exec_lo, s2
	s_wait_storecnt_dscnt 0x0
	s_barrier_signal -1
	s_barrier_wait -1
	s_clause 0x9
	scratch_load_b128 v[8:11], off, off offset:48
	scratch_load_b128 v[86:89], off, off offset:64
	;; [unrolled: 1-line block ×10, first 2 shown]
	v_mov_b32_e32 v2, 0
	s_mov_b32 s2, exec_lo
	v_dual_ashrrev_i32 v21, 31, v20 :: v_dual_ashrrev_i32 v19, 31, v18
	v_ashrrev_i32_e32 v23, 31, v22
	ds_load_b128 v[122:125], v2 offset:624
	s_clause 0x2
	scratch_load_b128 v[126:129], off, off offset:208
	scratch_load_b128 v[130:133], off, off offset:32
	;; [unrolled: 1-line block ×3, first 2 shown]
	v_ashrrev_i32_e32 v27, 31, v26
	v_ashrrev_i32_e32 v31, 31, v30
	v_dual_ashrrev_i32 v35, 31, v34 :: v_dual_ashrrev_i32 v25, 31, v24
	v_dual_ashrrev_i32 v29, 31, v28 :: v_dual_ashrrev_i32 v39, 31, v38
	;; [unrolled: 1-line block ×4, first 2 shown]
	v_ashrrev_i32_e32 v51, 31, v50
	v_ashrrev_i32_e32 v55, 31, v54
	v_dual_ashrrev_i32 v59, 31, v58 :: v_dual_ashrrev_i32 v41, 31, v40
	v_dual_ashrrev_i32 v45, 31, v44 :: v_dual_ashrrev_i32 v63, 31, v62
	;; [unrolled: 1-line block ×7, first 2 shown]
	v_ashrrev_i32_e32 v69, 31, v68
	v_ashrrev_i32_e32 v73, 31, v72
	;; [unrolled: 1-line block ×4, first 2 shown]
	s_wait_loadcnt_dscnt 0xc00
	v_dual_mul_f64 v[4:5], v[124:125], v[10:11] :: v_dual_ashrrev_i32 v85, 31, v84
	v_mul_f64_e32 v[146:147], v[122:123], v[10:11]
	ds_load_b128 v[134:137], v2 offset:640
	scratch_load_b128 v[10:13], off, off offset:224
	ds_load_b128 v[142:145], v2 offset:672
	v_fma_f64 v[4:5], v[122:123], v[8:9], -v[4:5]
	v_fmac_f64_e32 v[146:147], v[124:125], v[8:9]
	ds_load_b128 v[122:125], v2 offset:656
	s_wait_loadcnt_dscnt 0xc02
	v_mul_f64_e32 v[148:149], v[134:135], v[88:89]
	v_mul_f64_e32 v[88:89], v[136:137], v[88:89]
	s_wait_loadcnt_dscnt 0xb00
	v_mul_f64_e32 v[8:9], v[122:123], v[92:93]
	v_mul_f64_e32 v[92:93], v[124:125], v[92:93]
	v_add_f64_e32 v[4:5], 0, v[4:5]
	v_fmac_f64_e32 v[148:149], v[136:137], v[86:87]
	v_fma_f64 v[134:135], v[134:135], v[86:87], -v[88:89]
	v_add_f64_e32 v[136:137], 0, v[146:147]
	scratch_load_b128 v[86:89], off, off offset:256
	v_fmac_f64_e32 v[8:9], v[124:125], v[90:91]
	v_fma_f64 v[150:151], v[122:123], v[90:91], -v[92:93]
	ds_load_b128 v[90:93], v2 offset:688
	s_wait_loadcnt 0xb
	v_mul_f64_e32 v[146:147], v[142:143], v[96:97]
	v_mul_f64_e32 v[96:97], v[144:145], v[96:97]
	scratch_load_b128 v[122:125], off, off offset:272
	v_add_f64_e32 v[4:5], v[4:5], v[134:135]
	v_add_f64_e32 v[148:149], v[136:137], v[148:149]
	ds_load_b128 v[134:137], v2 offset:704
	s_wait_loadcnt_dscnt 0xb01
	v_mul_f64_e32 v[152:153], v[90:91], v[100:101]
	v_mul_f64_e32 v[100:101], v[92:93], v[100:101]
	v_fmac_f64_e32 v[146:147], v[144:145], v[94:95]
	v_fma_f64 v[142:143], v[142:143], v[94:95], -v[96:97]
	scratch_load_b128 v[94:97], off, off offset:288
	v_add_f64_e32 v[4:5], v[4:5], v[150:151]
	v_add_f64_e32 v[8:9], v[148:149], v[8:9]
	v_fmac_f64_e32 v[152:153], v[92:93], v[98:99]
	v_fma_f64 v[150:151], v[90:91], v[98:99], -v[100:101]
	ds_load_b128 v[90:93], v2 offset:720
	s_wait_loadcnt_dscnt 0xb01
	v_mul_f64_e32 v[148:149], v[134:135], v[104:105]
	v_mul_f64_e32 v[104:105], v[136:137], v[104:105]
	scratch_load_b128 v[98:101], off, off offset:304
	v_add_f64_e32 v[4:5], v[4:5], v[142:143]
	v_add_f64_e32 v[8:9], v[8:9], v[146:147]
	s_wait_loadcnt_dscnt 0xb00
	v_mul_f64_e32 v[146:147], v[90:91], v[108:109]
	v_mul_f64_e32 v[108:109], v[92:93], v[108:109]
	ds_load_b128 v[142:145], v2 offset:736
	v_fmac_f64_e32 v[148:149], v[136:137], v[102:103]
	v_fma_f64 v[134:135], v[134:135], v[102:103], -v[104:105]
	scratch_load_b128 v[102:105], off, off offset:320
	v_add_f64_e32 v[4:5], v[4:5], v[150:151]
	v_add_f64_e32 v[8:9], v[8:9], v[152:153]
	v_fmac_f64_e32 v[146:147], v[92:93], v[106:107]
	v_fma_f64 v[152:153], v[90:91], v[106:107], -v[108:109]
	ds_load_b128 v[90:93], v2 offset:752
	s_wait_loadcnt_dscnt 0xb01
	v_mul_f64_e32 v[150:151], v[142:143], v[112:113]
	v_mul_f64_e32 v[112:113], v[144:145], v[112:113]
	scratch_load_b128 v[106:109], off, off offset:336
	v_add_f64_e32 v[4:5], v[4:5], v[134:135]
	v_add_f64_e32 v[8:9], v[8:9], v[148:149]
	s_wait_loadcnt_dscnt 0xb00
	v_mul_f64_e32 v[148:149], v[90:91], v[116:117]
	v_mul_f64_e32 v[116:117], v[92:93], v[116:117]
	ds_load_b128 v[134:137], v2 offset:768
	;; [unrolled: 18-line block ×3, first 2 shown]
	v_fmac_f64_e32 v[146:147], v[136:137], v[118:119]
	v_fma_f64 v[134:135], v[134:135], v[118:119], -v[120:121]
	scratch_load_b128 v[118:121], off, off offset:384
	v_add_f64_e32 v[4:5], v[4:5], v[152:153]
	v_add_f64_e32 v[8:9], v[8:9], v[148:149]
	v_fmac_f64_e32 v[150:151], v[92:93], v[126:127]
	v_fma_f64 v[152:153], v[90:91], v[126:127], -v[128:129]
	ds_load_b128 v[90:93], v2 offset:816
	s_wait_loadcnt_dscnt 0x901
	v_mul_f64_e32 v[148:149], v[142:143], v[12:13]
	v_mul_f64_e32 v[12:13], v[144:145], v[12:13]
	scratch_load_b128 v[126:129], off, off offset:400
	v_add_f64_e32 v[4:5], v[4:5], v[134:135]
	v_add_f64_e32 v[8:9], v[8:9], v[146:147]
	s_wait_dscnt 0x0
	v_mul_f64_e32 v[146:147], v[90:91], v[140:141]
	v_mul_f64_e32 v[140:141], v[92:93], v[140:141]
	ds_load_b128 v[134:137], v2 offset:832
	v_fmac_f64_e32 v[148:149], v[144:145], v[10:11]
	v_fma_f64 v[12:13], v[142:143], v[10:11], -v[12:13]
	v_add_f64_e32 v[4:5], v[4:5], v[152:153]
	v_add_f64_e32 v[142:143], v[8:9], v[150:151]
	scratch_load_b128 v[8:11], off, off offset:416
	v_fmac_f64_e32 v[146:147], v[92:93], v[138:139]
	v_fma_f64 v[92:93], v[90:91], v[138:139], -v[140:141]
	scratch_load_b128 v[138:141], off, off offset:432
	v_add_f64_e32 v[4:5], v[4:5], v[12:13]
	v_add_f64_e32 v[12:13], v[142:143], v[148:149]
	ds_load_b128 v[142:145], v2 offset:864
	s_wait_loadcnt_dscnt 0xb01
	v_mul_f64_e32 v[150:151], v[134:135], v[88:89]
	v_mul_f64_e32 v[152:153], v[136:137], v[88:89]
	ds_load_b128 v[88:91], v2 offset:848
	s_wait_loadcnt_dscnt 0xa00
	v_mul_f64_e32 v[148:149], v[88:89], v[124:125]
	v_mul_f64_e32 v[124:125], v[90:91], v[124:125]
	v_add_f64_e32 v[4:5], v[4:5], v[92:93]
	v_add_f64_e32 v[12:13], v[12:13], v[146:147]
	s_wait_loadcnt 0x9
	v_mul_f64_e32 v[146:147], v[142:143], v[96:97]
	v_fmac_f64_e32 v[150:151], v[136:137], v[86:87]
	v_fma_f64 v[86:87], v[134:135], v[86:87], -v[152:153]
	scratch_load_b128 v[134:137], off, off offset:448
	v_mul_f64_e32 v[96:97], v[144:145], v[96:97]
	v_fmac_f64_e32 v[148:149], v[90:91], v[122:123]
	v_fma_f64 v[152:153], v[88:89], v[122:123], -v[124:125]
	scratch_load_b128 v[90:93], off, off offset:464
	ds_load_b128 v[122:125], v2 offset:896
	v_fmac_f64_e32 v[146:147], v[144:145], v[94:95]
	v_add_f64_e32 v[12:13], v[12:13], v[150:151]
	v_add_f64_e32 v[4:5], v[4:5], v[86:87]
	ds_load_b128 v[86:89], v2 offset:880
	v_fma_f64 v[142:143], v[142:143], v[94:95], -v[96:97]
	scratch_load_b128 v[94:97], off, off offset:480
	s_wait_loadcnt_dscnt 0xb00
	v_mul_f64_e32 v[150:151], v[86:87], v[100:101]
	v_mul_f64_e32 v[100:101], v[88:89], v[100:101]
	v_add_f64_e32 v[12:13], v[12:13], v[148:149]
	v_add_f64_e32 v[4:5], v[4:5], v[152:153]
	s_wait_loadcnt 0xa
	v_mul_f64_e32 v[148:149], v[122:123], v[104:105]
	v_mul_f64_e32 v[104:105], v[124:125], v[104:105]
	v_fmac_f64_e32 v[150:151], v[88:89], v[98:99]
	v_fma_f64 v[152:153], v[86:87], v[98:99], -v[100:101]
	ds_load_b128 v[86:89], v2 offset:912
	scratch_load_b128 v[98:101], off, off offset:496
	v_add_f64_e32 v[12:13], v[12:13], v[146:147]
	v_add_f64_e32 v[4:5], v[4:5], v[142:143]
	ds_load_b128 v[142:145], v2 offset:928
	v_fmac_f64_e32 v[148:149], v[124:125], v[102:103]
	v_fma_f64 v[122:123], v[122:123], v[102:103], -v[104:105]
	scratch_load_b128 v[102:105], off, off offset:512
	s_wait_loadcnt_dscnt 0xb01
	v_mul_f64_e32 v[146:147], v[86:87], v[108:109]
	v_mul_f64_e32 v[108:109], v[88:89], v[108:109]
	v_add_f64_e32 v[12:13], v[12:13], v[150:151]
	v_add_f64_e32 v[4:5], v[4:5], v[152:153]
	s_wait_loadcnt_dscnt 0xa00
	v_mul_f64_e32 v[150:151], v[142:143], v[112:113]
	v_mul_f64_e32 v[112:113], v[144:145], v[112:113]
	v_fmac_f64_e32 v[146:147], v[88:89], v[106:107]
	v_fma_f64 v[152:153], v[86:87], v[106:107], -v[108:109]
	ds_load_b128 v[86:89], v2 offset:944
	scratch_load_b128 v[106:109], off, off offset:528
	v_add_f64_e32 v[12:13], v[12:13], v[148:149]
	v_add_f64_e32 v[4:5], v[4:5], v[122:123]
	ds_load_b128 v[122:125], v2 offset:960
	s_wait_loadcnt_dscnt 0xa01
	v_mul_f64_e32 v[148:149], v[86:87], v[116:117]
	v_mul_f64_e32 v[116:117], v[88:89], v[116:117]
	v_fmac_f64_e32 v[150:151], v[144:145], v[110:111]
	v_fma_f64 v[142:143], v[142:143], v[110:111], -v[112:113]
	scratch_load_b128 v[110:113], off, off offset:544
	v_add_f64_e32 v[12:13], v[12:13], v[146:147]
	v_add_f64_e32 v[4:5], v[4:5], v[152:153]
	s_wait_loadcnt_dscnt 0xa00
	v_mul_f64_e32 v[146:147], v[122:123], v[120:121]
	v_mul_f64_e32 v[120:121], v[124:125], v[120:121]
	v_fmac_f64_e32 v[148:149], v[88:89], v[114:115]
	v_fma_f64 v[152:153], v[86:87], v[114:115], -v[116:117]
	ds_load_b128 v[86:89], v2 offset:976
	scratch_load_b128 v[114:117], off, off offset:560
	v_add_f64_e32 v[12:13], v[12:13], v[150:151]
	v_add_f64_e32 v[4:5], v[4:5], v[142:143]
	ds_load_b128 v[142:145], v2 offset:992
	s_wait_loadcnt_dscnt 0xa01
	v_mul_f64_e32 v[150:151], v[86:87], v[128:129]
	v_mul_f64_e32 v[128:129], v[88:89], v[128:129]
	v_fmac_f64_e32 v[146:147], v[124:125], v[118:119]
	v_fma_f64 v[118:119], v[122:123], v[118:119], -v[120:121]
	s_wait_loadcnt_dscnt 0x900
	v_mul_f64_e32 v[120:121], v[142:143], v[10:11]
	v_add_f64_e32 v[12:13], v[12:13], v[148:149]
	v_add_f64_e32 v[4:5], v[4:5], v[152:153]
	v_mul_f64_e32 v[122:123], v[144:145], v[10:11]
	v_fmac_f64_e32 v[150:151], v[88:89], v[126:127]
	v_fma_f64 v[124:125], v[86:87], v[126:127], -v[128:129]
	v_fmac_f64_e32 v[120:121], v[144:145], v[8:9]
	v_add_f64_e32 v[4:5], v[4:5], v[118:119]
	v_add_f64_e32 v[118:119], v[12:13], v[146:147]
	ds_load_b128 v[10:13], v2 offset:1008
	ds_load_b128 v[86:89], v2 offset:1024
	v_fma_f64 v[8:9], v[142:143], v[8:9], -v[122:123]
	s_wait_loadcnt_dscnt 0x801
	v_mul_f64_e32 v[126:127], v[10:11], v[140:141]
	v_mul_f64_e32 v[128:129], v[12:13], v[140:141]
	v_add_f64_e32 v[4:5], v[4:5], v[124:125]
	v_add_f64_e32 v[118:119], v[118:119], v[150:151]
	s_wait_loadcnt_dscnt 0x700
	v_mul_f64_e32 v[122:123], v[86:87], v[136:137]
	v_mul_f64_e32 v[124:125], v[88:89], v[136:137]
	v_fmac_f64_e32 v[126:127], v[12:13], v[138:139]
	v_fma_f64 v[12:13], v[10:11], v[138:139], -v[128:129]
	v_add_f64_e32 v[4:5], v[4:5], v[8:9]
	v_add_f64_e32 v[128:129], v[118:119], v[120:121]
	ds_load_b128 v[8:11], v2 offset:1040
	ds_load_b128 v[118:121], v2 offset:1056
	v_fmac_f64_e32 v[122:123], v[88:89], v[134:135]
	v_fma_f64 v[86:87], v[86:87], v[134:135], -v[124:125]
	s_wait_loadcnt_dscnt 0x601
	v_mul_f64_e32 v[136:137], v[8:9], v[92:93]
	v_mul_f64_e32 v[92:93], v[10:11], v[92:93]
	s_wait_loadcnt_dscnt 0x500
	v_mul_f64_e32 v[124:125], v[118:119], v[96:97]
	v_mul_f64_e32 v[96:97], v[120:121], v[96:97]
	v_add_f64_e32 v[4:5], v[4:5], v[12:13]
	v_add_f64_e32 v[12:13], v[128:129], v[126:127]
	v_fmac_f64_e32 v[136:137], v[10:11], v[90:91]
	v_fma_f64 v[90:91], v[8:9], v[90:91], -v[92:93]
	v_fmac_f64_e32 v[124:125], v[120:121], v[94:95]
	v_fma_f64 v[94:95], v[118:119], v[94:95], -v[96:97]
	v_add_f64_e32 v[4:5], v[4:5], v[86:87]
	v_add_f64_e32 v[12:13], v[12:13], v[122:123]
	ds_load_b128 v[8:11], v2 offset:1072
	ds_load_b128 v[86:89], v2 offset:1088
	s_wait_loadcnt_dscnt 0x401
	v_mul_f64_e32 v[122:123], v[8:9], v[100:101]
	v_mul_f64_e32 v[92:93], v[10:11], v[100:101]
	s_wait_loadcnt_dscnt 0x300
	v_mul_f64_e32 v[96:97], v[86:87], v[104:105]
	v_mul_f64_e32 v[100:101], v[88:89], v[104:105]
	v_add_f64_e32 v[4:5], v[4:5], v[90:91]
	v_add_f64_e32 v[12:13], v[12:13], v[136:137]
	v_fmac_f64_e32 v[122:123], v[10:11], v[98:99]
	v_fma_f64 v[98:99], v[8:9], v[98:99], -v[92:93]
	ds_load_b128 v[8:11], v2 offset:1104
	ds_load_b128 v[90:93], v2 offset:1120
	v_fmac_f64_e32 v[96:97], v[88:89], v[102:103]
	v_fma_f64 v[86:87], v[86:87], v[102:103], -v[100:101]
	v_add_f64_e32 v[4:5], v[4:5], v[94:95]
	v_add_f64_e32 v[12:13], v[12:13], v[124:125]
	s_wait_loadcnt_dscnt 0x201
	v_mul_f64_e32 v[94:95], v[8:9], v[108:109]
	v_mul_f64_e32 v[104:105], v[10:11], v[108:109]
	s_wait_loadcnt_dscnt 0x100
	v_mul_f64_e32 v[88:89], v[90:91], v[112:113]
	v_add_f64_e32 v[4:5], v[4:5], v[98:99]
	v_add_f64_e32 v[12:13], v[12:13], v[122:123]
	v_mul_f64_e32 v[98:99], v[92:93], v[112:113]
	v_fmac_f64_e32 v[94:95], v[10:11], v[106:107]
	v_fma_f64 v[100:101], v[8:9], v[106:107], -v[104:105]
	ds_load_b128 v[8:11], v2 offset:1136
	v_fmac_f64_e32 v[88:89], v[92:93], v[110:111]
	v_add_f64_e32 v[4:5], v[4:5], v[86:87]
	v_add_f64_e32 v[12:13], v[12:13], v[96:97]
	s_wait_loadcnt_dscnt 0x0
	v_mul_f64_e32 v[86:87], v[8:9], v[116:117]
	v_mul_f64_e32 v[96:97], v[10:11], v[116:117]
	v_fma_f64 v[90:91], v[90:91], v[110:111], -v[98:99]
	v_add_f64_e32 v[4:5], v[4:5], v[100:101]
	v_add_f64_e32 v[12:13], v[12:13], v[94:95]
	v_fmac_f64_e32 v[86:87], v[10:11], v[114:115]
	v_fma_f64 v[8:9], v[8:9], v[114:115], -v[96:97]
	s_delay_alu instid0(VALU_DEP_4) | instskip(NEXT) | instid1(VALU_DEP_4)
	v_add_f64_e32 v[4:5], v[4:5], v[90:91]
	v_add_f64_e32 v[10:11], v[12:13], v[88:89]
	s_delay_alu instid0(VALU_DEP_2) | instskip(NEXT) | instid1(VALU_DEP_2)
	v_add_f64_e32 v[4:5], v[4:5], v[8:9]
	v_add_f64_e32 v[10:11], v[10:11], v[86:87]
	s_delay_alu instid0(VALU_DEP_2) | instskip(NEXT) | instid1(VALU_DEP_2)
	v_add_f64_e64 v[8:9], v[130:131], -v[4:5]
	v_add_f64_e64 v[10:11], v[132:133], -v[10:11]
	scratch_store_b128 off, v[8:11], off offset:32
	s_wait_xcnt 0x0
	v_cmpx_lt_u32_e32 1, v1
	s_cbranch_execz .LBB35_227
; %bb.226:
	scratch_load_b128 v[8:11], off, s36
	v_dual_mov_b32 v3, v2 :: v_dual_mov_b32 v4, v2
	v_mov_b32_e32 v5, v2
	scratch_store_b128 off, v[2:5], off offset:16
	s_wait_loadcnt 0x0
	ds_store_b128 v6, v[8:11]
.LBB35_227:
	s_wait_xcnt 0x0
	s_or_b32 exec_lo, exec_lo, s2
	s_wait_storecnt_dscnt 0x0
	s_barrier_signal -1
	s_barrier_wait -1
	s_clause 0x9
	scratch_load_b128 v[8:11], off, off offset:32
	scratch_load_b128 v[86:89], off, off offset:48
	;; [unrolled: 1-line block ×10, first 2 shown]
	ds_load_b128 v[122:125], v2 offset:608
	ds_load_b128 v[130:133], v2 offset:624
	s_clause 0x1
	scratch_load_b128 v[126:129], off, off offset:192
	scratch_load_b128 v[134:137], off, off offset:16
	s_mov_b32 s2, exec_lo
	s_wait_loadcnt_dscnt 0xb01
	v_mul_f64_e32 v[4:5], v[124:125], v[10:11]
	v_mul_f64_e32 v[146:147], v[122:123], v[10:11]
	scratch_load_b128 v[10:13], off, off offset:208
	s_wait_loadcnt_dscnt 0xb00
	v_mul_f64_e32 v[148:149], v[130:131], v[88:89]
	v_mul_f64_e32 v[88:89], v[132:133], v[88:89]
	v_fma_f64 v[4:5], v[122:123], v[8:9], -v[4:5]
	v_fmac_f64_e32 v[146:147], v[124:125], v[8:9]
	ds_load_b128 v[122:125], v2 offset:640
	ds_load_b128 v[138:141], v2 offset:656
	scratch_load_b128 v[142:145], off, off offset:224
	v_fmac_f64_e32 v[148:149], v[132:133], v[86:87]
	v_fma_f64 v[130:131], v[130:131], v[86:87], -v[88:89]
	scratch_load_b128 v[86:89], off, off offset:240
	s_wait_loadcnt_dscnt 0xc01
	v_mul_f64_e32 v[8:9], v[122:123], v[92:93]
	v_mul_f64_e32 v[92:93], v[124:125], v[92:93]
	v_add_f64_e32 v[4:5], 0, v[4:5]
	v_add_f64_e32 v[132:133], 0, v[146:147]
	s_wait_loadcnt_dscnt 0xb00
	v_mul_f64_e32 v[146:147], v[138:139], v[96:97]
	v_mul_f64_e32 v[96:97], v[140:141], v[96:97]
	v_fmac_f64_e32 v[8:9], v[124:125], v[90:91]
	v_fma_f64 v[150:151], v[122:123], v[90:91], -v[92:93]
	ds_load_b128 v[90:93], v2 offset:672
	ds_load_b128 v[122:125], v2 offset:688
	v_add_f64_e32 v[4:5], v[4:5], v[130:131]
	v_add_f64_e32 v[148:149], v[132:133], v[148:149]
	scratch_load_b128 v[130:133], off, off offset:256
	v_fmac_f64_e32 v[146:147], v[140:141], v[94:95]
	v_fma_f64 v[138:139], v[138:139], v[94:95], -v[96:97]
	scratch_load_b128 v[94:97], off, off offset:272
	s_wait_loadcnt_dscnt 0xc01
	v_mul_f64_e32 v[152:153], v[90:91], v[100:101]
	v_mul_f64_e32 v[100:101], v[92:93], v[100:101]
	v_add_f64_e32 v[4:5], v[4:5], v[150:151]
	v_add_f64_e32 v[8:9], v[148:149], v[8:9]
	s_wait_loadcnt_dscnt 0xb00
	v_mul_f64_e32 v[148:149], v[122:123], v[104:105]
	v_mul_f64_e32 v[104:105], v[124:125], v[104:105]
	v_fmac_f64_e32 v[152:153], v[92:93], v[98:99]
	v_fma_f64 v[150:151], v[90:91], v[98:99], -v[100:101]
	ds_load_b128 v[90:93], v2 offset:704
	ds_load_b128 v[98:101], v2 offset:720
	v_add_f64_e32 v[4:5], v[4:5], v[138:139]
	v_add_f64_e32 v[8:9], v[8:9], v[146:147]
	scratch_load_b128 v[138:141], off, off offset:288
	s_wait_loadcnt_dscnt 0xb01
	v_mul_f64_e32 v[146:147], v[90:91], v[108:109]
	v_mul_f64_e32 v[108:109], v[92:93], v[108:109]
	v_fmac_f64_e32 v[148:149], v[124:125], v[102:103]
	v_fma_f64 v[122:123], v[122:123], v[102:103], -v[104:105]
	scratch_load_b128 v[102:105], off, off offset:304
	v_add_f64_e32 v[4:5], v[4:5], v[150:151]
	v_add_f64_e32 v[8:9], v[8:9], v[152:153]
	s_wait_loadcnt_dscnt 0xb00
	v_mul_f64_e32 v[150:151], v[98:99], v[112:113]
	v_mul_f64_e32 v[112:113], v[100:101], v[112:113]
	v_fmac_f64_e32 v[146:147], v[92:93], v[106:107]
	v_fma_f64 v[152:153], v[90:91], v[106:107], -v[108:109]
	ds_load_b128 v[90:93], v2 offset:736
	ds_load_b128 v[106:109], v2 offset:752
	v_add_f64_e32 v[4:5], v[4:5], v[122:123]
	v_add_f64_e32 v[8:9], v[8:9], v[148:149]
	scratch_load_b128 v[122:125], off, off offset:320
	s_wait_loadcnt_dscnt 0xb01
	v_mul_f64_e32 v[148:149], v[90:91], v[116:117]
	v_mul_f64_e32 v[116:117], v[92:93], v[116:117]
	v_fmac_f64_e32 v[150:151], v[100:101], v[110:111]
	v_fma_f64 v[110:111], v[98:99], v[110:111], -v[112:113]
	scratch_load_b128 v[98:101], off, off offset:336
	v_add_f64_e32 v[4:5], v[4:5], v[152:153]
	v_add_f64_e32 v[8:9], v[8:9], v[146:147]
	s_wait_loadcnt_dscnt 0xb00
	v_mul_f64_e32 v[146:147], v[106:107], v[120:121]
	v_mul_f64_e32 v[120:121], v[108:109], v[120:121]
	v_fmac_f64_e32 v[148:149], v[92:93], v[114:115]
	v_fma_f64 v[152:153], v[90:91], v[114:115], -v[116:117]
	v_add_f64_e32 v[4:5], v[4:5], v[110:111]
	v_add_f64_e32 v[8:9], v[8:9], v[150:151]
	ds_load_b128 v[90:93], v2 offset:768
	ds_load_b128 v[110:113], v2 offset:784
	scratch_load_b128 v[114:117], off, off offset:352
	v_fmac_f64_e32 v[146:147], v[108:109], v[118:119]
	v_fma_f64 v[118:119], v[106:107], v[118:119], -v[120:121]
	scratch_load_b128 v[106:109], off, off offset:368
	s_wait_loadcnt_dscnt 0xc01
	v_mul_f64_e32 v[150:151], v[90:91], v[128:129]
	v_mul_f64_e32 v[128:129], v[92:93], v[128:129]
	v_add_f64_e32 v[4:5], v[4:5], v[152:153]
	v_add_f64_e32 v[8:9], v[8:9], v[148:149]
	s_wait_loadcnt_dscnt 0xa00
	v_mul_f64_e32 v[148:149], v[110:111], v[12:13]
	v_mul_f64_e32 v[12:13], v[112:113], v[12:13]
	v_fmac_f64_e32 v[150:151], v[92:93], v[126:127]
	v_fma_f64 v[152:153], v[90:91], v[126:127], -v[128:129]
	v_add_f64_e32 v[4:5], v[4:5], v[118:119]
	v_add_f64_e32 v[8:9], v[8:9], v[146:147]
	ds_load_b128 v[90:93], v2 offset:800
	ds_load_b128 v[118:121], v2 offset:816
	scratch_load_b128 v[126:129], off, off offset:384
	v_fmac_f64_e32 v[148:149], v[112:113], v[10:11]
	v_fma_f64 v[12:13], v[110:111], v[10:11], -v[12:13]
	s_wait_loadcnt_dscnt 0xa01
	v_mul_f64_e32 v[146:147], v[90:91], v[144:145]
	v_mul_f64_e32 v[144:145], v[92:93], v[144:145]
	v_add_f64_e32 v[4:5], v[4:5], v[152:153]
	v_add_f64_e32 v[110:111], v[8:9], v[150:151]
	scratch_load_b128 v[8:11], off, off offset:400
	s_wait_loadcnt_dscnt 0xa00
	v_mul_f64_e32 v[150:151], v[118:119], v[88:89]
	v_mul_f64_e32 v[152:153], v[120:121], v[88:89]
	v_fmac_f64_e32 v[146:147], v[92:93], v[142:143]
	v_fma_f64 v[92:93], v[90:91], v[142:143], -v[144:145]
	v_add_f64_e32 v[4:5], v[4:5], v[12:13]
	v_add_f64_e32 v[12:13], v[110:111], v[148:149]
	ds_load_b128 v[88:91], v2 offset:832
	ds_load_b128 v[110:113], v2 offset:848
	scratch_load_b128 v[142:145], off, off offset:416
	v_fmac_f64_e32 v[150:151], v[120:121], v[86:87]
	v_fma_f64 v[86:87], v[118:119], v[86:87], -v[152:153]
	scratch_load_b128 v[118:121], off, off offset:432
	s_wait_loadcnt_dscnt 0xb01
	v_mul_f64_e32 v[148:149], v[88:89], v[132:133]
	v_mul_f64_e32 v[132:133], v[90:91], v[132:133]
	v_add_f64_e32 v[4:5], v[4:5], v[92:93]
	v_add_f64_e32 v[12:13], v[12:13], v[146:147]
	s_wait_loadcnt_dscnt 0xa00
	v_mul_f64_e32 v[146:147], v[110:111], v[96:97]
	v_mul_f64_e32 v[96:97], v[112:113], v[96:97]
	v_fmac_f64_e32 v[148:149], v[90:91], v[130:131]
	v_fma_f64 v[152:153], v[88:89], v[130:131], -v[132:133]
	v_add_f64_e32 v[4:5], v[4:5], v[86:87]
	v_add_f64_e32 v[12:13], v[12:13], v[150:151]
	ds_load_b128 v[86:89], v2 offset:864
	ds_load_b128 v[90:93], v2 offset:880
	scratch_load_b128 v[130:133], off, off offset:448
	v_fmac_f64_e32 v[146:147], v[112:113], v[94:95]
	v_fma_f64 v[110:111], v[110:111], v[94:95], -v[96:97]
	scratch_load_b128 v[94:97], off, off offset:464
	s_wait_loadcnt_dscnt 0xb01
	v_mul_f64_e32 v[150:151], v[86:87], v[140:141]
	v_mul_f64_e32 v[140:141], v[88:89], v[140:141]
	v_add_f64_e32 v[4:5], v[4:5], v[152:153]
	v_add_f64_e32 v[12:13], v[12:13], v[148:149]
	s_wait_loadcnt_dscnt 0xa00
	v_mul_f64_e32 v[148:149], v[90:91], v[104:105]
	v_mul_f64_e32 v[104:105], v[92:93], v[104:105]
	v_fmac_f64_e32 v[150:151], v[88:89], v[138:139]
	v_fma_f64 v[152:153], v[86:87], v[138:139], -v[140:141]
	v_add_f64_e32 v[4:5], v[4:5], v[110:111]
	v_add_f64_e32 v[12:13], v[12:13], v[146:147]
	ds_load_b128 v[86:89], v2 offset:896
	ds_load_b128 v[110:113], v2 offset:912
	scratch_load_b128 v[138:141], off, off offset:480
	v_fmac_f64_e32 v[148:149], v[92:93], v[102:103]
	v_fma_f64 v[102:103], v[90:91], v[102:103], -v[104:105]
	scratch_load_b128 v[90:93], off, off offset:496
	s_wait_loadcnt_dscnt 0xb01
	v_mul_f64_e32 v[146:147], v[86:87], v[124:125]
	v_mul_f64_e32 v[124:125], v[88:89], v[124:125]
	s_wait_loadcnt_dscnt 0xa00
	v_mul_f64_e32 v[104:105], v[110:111], v[100:101]
	v_add_f64_e32 v[4:5], v[4:5], v[152:153]
	v_add_f64_e32 v[12:13], v[12:13], v[150:151]
	v_mul_f64_e32 v[150:151], v[112:113], v[100:101]
	v_fmac_f64_e32 v[146:147], v[88:89], v[122:123]
	v_fma_f64 v[152:153], v[86:87], v[122:123], -v[124:125]
	v_fmac_f64_e32 v[104:105], v[112:113], v[98:99]
	v_add_f64_e32 v[4:5], v[4:5], v[102:103]
	v_add_f64_e32 v[12:13], v[12:13], v[148:149]
	ds_load_b128 v[86:89], v2 offset:928
	ds_load_b128 v[100:103], v2 offset:944
	scratch_load_b128 v[122:125], off, off offset:512
	v_fma_f64 v[98:99], v[110:111], v[98:99], -v[150:151]
	scratch_load_b128 v[110:113], off, off offset:528
	s_wait_loadcnt_dscnt 0xb01
	v_mul_f64_e32 v[154:155], v[86:87], v[116:117]
	v_mul_f64_e32 v[116:117], v[88:89], v[116:117]
	s_wait_loadcnt_dscnt 0xa00
	v_mul_f64_e32 v[150:151], v[100:101], v[108:109]
	v_mul_f64_e32 v[108:109], v[102:103], v[108:109]
	v_add_f64_e32 v[4:5], v[4:5], v[152:153]
	v_add_f64_e32 v[12:13], v[12:13], v[146:147]
	v_fmac_f64_e32 v[154:155], v[88:89], v[114:115]
	v_fma_f64 v[152:153], v[86:87], v[114:115], -v[116:117]
	ds_load_b128 v[86:89], v2 offset:960
	ds_load_b128 v[114:117], v2 offset:976
	scratch_load_b128 v[146:149], off, off offset:544
	v_fmac_f64_e32 v[150:151], v[102:103], v[106:107]
	v_fma_f64 v[102:103], v[100:101], v[106:107], -v[108:109]
	v_add_f64_e32 v[4:5], v[4:5], v[98:99]
	v_add_f64_e32 v[12:13], v[12:13], v[104:105]
	scratch_load_b128 v[98:101], off, off offset:560
	s_wait_loadcnt_dscnt 0xb01
	v_mul_f64_e32 v[104:105], v[86:87], v[128:129]
	v_mul_f64_e32 v[128:129], v[88:89], v[128:129]
	v_add_f64_e32 v[4:5], v[4:5], v[152:153]
	v_add_f64_e32 v[12:13], v[12:13], v[154:155]
	s_wait_loadcnt_dscnt 0xa00
	v_mul_f64_e32 v[106:107], v[114:115], v[10:11]
	v_mul_f64_e32 v[108:109], v[116:117], v[10:11]
	v_fmac_f64_e32 v[104:105], v[88:89], v[126:127]
	v_fma_f64 v[126:127], v[86:87], v[126:127], -v[128:129]
	v_add_f64_e32 v[4:5], v[4:5], v[102:103]
	v_add_f64_e32 v[102:103], v[12:13], v[150:151]
	ds_load_b128 v[10:13], v2 offset:992
	ds_load_b128 v[86:89], v2 offset:1008
	v_fmac_f64_e32 v[106:107], v[116:117], v[8:9]
	v_fma_f64 v[8:9], v[114:115], v[8:9], -v[108:109]
	s_wait_loadcnt_dscnt 0x901
	v_mul_f64_e32 v[128:129], v[10:11], v[144:145]
	v_mul_f64_e32 v[144:145], v[12:13], v[144:145]
	s_wait_loadcnt_dscnt 0x800
	v_mul_f64_e32 v[108:109], v[86:87], v[120:121]
	v_mul_f64_e32 v[114:115], v[88:89], v[120:121]
	v_add_f64_e32 v[4:5], v[4:5], v[126:127]
	v_add_f64_e32 v[102:103], v[102:103], v[104:105]
	v_fmac_f64_e32 v[128:129], v[12:13], v[142:143]
	v_fma_f64 v[12:13], v[10:11], v[142:143], -v[144:145]
	v_fmac_f64_e32 v[108:109], v[88:89], v[118:119]
	v_fma_f64 v[86:87], v[86:87], v[118:119], -v[114:115]
	v_add_f64_e32 v[4:5], v[4:5], v[8:9]
	v_add_f64_e32 v[106:107], v[102:103], v[106:107]
	ds_load_b128 v[8:11], v2 offset:1024
	ds_load_b128 v[102:105], v2 offset:1040
	s_wait_loadcnt_dscnt 0x701
	v_mul_f64_e32 v[116:117], v[8:9], v[132:133]
	v_mul_f64_e32 v[120:121], v[10:11], v[132:133]
	v_add_f64_e32 v[4:5], v[4:5], v[12:13]
	v_add_f64_e32 v[12:13], v[106:107], v[128:129]
	s_wait_loadcnt_dscnt 0x600
	v_mul_f64_e32 v[106:107], v[102:103], v[96:97]
	v_mul_f64_e32 v[96:97], v[104:105], v[96:97]
	v_fmac_f64_e32 v[116:117], v[10:11], v[130:131]
	v_fma_f64 v[114:115], v[8:9], v[130:131], -v[120:121]
	v_add_f64_e32 v[4:5], v[4:5], v[86:87]
	v_add_f64_e32 v[12:13], v[12:13], v[108:109]
	ds_load_b128 v[8:11], v2 offset:1056
	ds_load_b128 v[86:89], v2 offset:1072
	v_fmac_f64_e32 v[106:107], v[104:105], v[94:95]
	v_fma_f64 v[94:95], v[102:103], v[94:95], -v[96:97]
	s_wait_loadcnt_dscnt 0x501
	v_mul_f64_e32 v[108:109], v[8:9], v[140:141]
	v_mul_f64_e32 v[118:119], v[10:11], v[140:141]
	s_wait_loadcnt_dscnt 0x400
	v_mul_f64_e32 v[96:97], v[86:87], v[92:93]
	v_mul_f64_e32 v[102:103], v[88:89], v[92:93]
	v_add_f64_e32 v[4:5], v[4:5], v[114:115]
	v_add_f64_e32 v[12:13], v[12:13], v[116:117]
	v_fmac_f64_e32 v[108:109], v[10:11], v[138:139]
	v_fma_f64 v[104:105], v[8:9], v[138:139], -v[118:119]
	v_fmac_f64_e32 v[96:97], v[88:89], v[90:91]
	v_fma_f64 v[86:87], v[86:87], v[90:91], -v[102:103]
	v_add_f64_e32 v[4:5], v[4:5], v[94:95]
	v_add_f64_e32 v[12:13], v[12:13], v[106:107]
	ds_load_b128 v[8:11], v2 offset:1088
	ds_load_b128 v[92:95], v2 offset:1104
	s_wait_loadcnt_dscnt 0x301
	v_mul_f64_e32 v[106:107], v[8:9], v[124:125]
	v_mul_f64_e32 v[114:115], v[10:11], v[124:125]
	s_wait_loadcnt_dscnt 0x200
	v_mul_f64_e32 v[88:89], v[92:93], v[112:113]
	v_mul_f64_e32 v[90:91], v[94:95], v[112:113]
	v_add_f64_e32 v[4:5], v[4:5], v[104:105]
	v_add_f64_e32 v[12:13], v[12:13], v[108:109]
	v_fmac_f64_e32 v[106:107], v[10:11], v[122:123]
	v_fma_f64 v[102:103], v[8:9], v[122:123], -v[114:115]
	v_fmac_f64_e32 v[88:89], v[94:95], v[110:111]
	v_fma_f64 v[90:91], v[92:93], v[110:111], -v[90:91]
	v_add_f64_e32 v[86:87], v[4:5], v[86:87]
	v_add_f64_e32 v[12:13], v[12:13], v[96:97]
	ds_load_b128 v[8:11], v2 offset:1120
	ds_load_b128 v[2:5], v2 offset:1136
	s_wait_loadcnt_dscnt 0x101
	v_mul_f64_e32 v[96:97], v[8:9], v[148:149]
	v_mul_f64_e32 v[104:105], v[10:11], v[148:149]
	s_wait_loadcnt_dscnt 0x0
	v_mul_f64_e32 v[92:93], v[2:3], v[100:101]
	v_mul_f64_e32 v[94:95], v[4:5], v[100:101]
	v_add_f64_e32 v[86:87], v[86:87], v[102:103]
	v_add_f64_e32 v[12:13], v[12:13], v[106:107]
	v_fmac_f64_e32 v[96:97], v[10:11], v[146:147]
	v_fma_f64 v[8:9], v[8:9], v[146:147], -v[104:105]
	v_fmac_f64_e32 v[92:93], v[4:5], v[98:99]
	v_fma_f64 v[2:3], v[2:3], v[98:99], -v[94:95]
	v_add_f64_e32 v[10:11], v[86:87], v[90:91]
	v_add_f64_e32 v[12:13], v[12:13], v[88:89]
	s_delay_alu instid0(VALU_DEP_2) | instskip(NEXT) | instid1(VALU_DEP_2)
	v_add_f64_e32 v[4:5], v[10:11], v[8:9]
	v_add_f64_e32 v[8:9], v[12:13], v[96:97]
	s_delay_alu instid0(VALU_DEP_2) | instskip(NEXT) | instid1(VALU_DEP_2)
	;; [unrolled: 3-line block ×3, first 2 shown]
	v_add_f64_e64 v[2:3], v[134:135], -v[2:3]
	v_add_f64_e64 v[4:5], v[136:137], -v[4:5]
	scratch_store_b128 off, v[2:5], off offset:16
	s_wait_xcnt 0x0
	v_cmpx_ne_u32_e32 0, v1
	s_cbranch_execz .LBB35_229
; %bb.228:
	scratch_load_b128 v[2:5], off, off
	v_mov_b32_e32 v8, 0
	s_delay_alu instid0(VALU_DEP_1)
	v_dual_mov_b32 v9, v8 :: v_dual_mov_b32 v10, v8
	v_mov_b32_e32 v11, v8
	scratch_store_b128 off, v[8:11], off
	s_wait_loadcnt 0x0
	ds_store_b128 v6, v[2:5]
.LBB35_229:
	s_wait_xcnt 0x0
	s_or_b32 exec_lo, exec_lo, s2
	s_wait_storecnt_dscnt 0x0
	s_barrier_signal -1
	s_barrier_wait -1
	s_clause 0x9
	scratch_load_b128 v[2:5], off, off offset:16
	scratch_load_b128 v[6:9], off, off offset:32
	scratch_load_b128 v[10:13], off, off offset:48
	scratch_load_b128 v[86:89], off, off offset:64
	scratch_load_b128 v[90:93], off, off offset:80
	scratch_load_b128 v[94:97], off, off offset:96
	scratch_load_b128 v[98:101], off, off offset:112
	scratch_load_b128 v[104:107], off, off offset:128
	scratch_load_b128 v[108:111], off, off offset:144
	scratch_load_b128 v[112:115], off, off offset:160
	v_mov_b32_e32 v102, 0
	s_and_b32 vcc_lo, exec_lo, s48
	ds_load_b128 v[116:119], v102 offset:592
	s_clause 0x2
	scratch_load_b128 v[120:123], off, off offset:176
	scratch_load_b128 v[124:127], off, off
	scratch_load_b128 v[132:135], off, off offset:192
	s_wait_loadcnt_dscnt 0xc00
	v_mul_f64_e32 v[136:137], v[118:119], v[4:5]
	v_mul_f64_e32 v[140:141], v[116:117], v[4:5]
	ds_load_b128 v[128:131], v102 offset:608
	v_fma_f64 v[144:145], v[116:117], v[2:3], -v[136:137]
	v_fmac_f64_e32 v[140:141], v[118:119], v[2:3]
	ds_load_b128 v[2:5], v102 offset:624
	s_wait_loadcnt_dscnt 0xb01
	v_mul_f64_e32 v[142:143], v[128:129], v[8:9]
	v_mul_f64_e32 v[8:9], v[130:131], v[8:9]
	scratch_load_b128 v[116:119], off, off offset:208
	ds_load_b128 v[136:139], v102 offset:640
	s_wait_loadcnt_dscnt 0xb01
	v_mul_f64_e32 v[146:147], v[2:3], v[12:13]
	v_mul_f64_e32 v[12:13], v[4:5], v[12:13]
	v_add_f64_e32 v[140:141], 0, v[140:141]
	v_fmac_f64_e32 v[142:143], v[130:131], v[6:7]
	v_fma_f64 v[128:129], v[128:129], v[6:7], -v[8:9]
	v_add_f64_e32 v[130:131], 0, v[144:145]
	scratch_load_b128 v[6:9], off, off offset:224
	v_fmac_f64_e32 v[146:147], v[4:5], v[10:11]
	v_fma_f64 v[148:149], v[2:3], v[10:11], -v[12:13]
	ds_load_b128 v[2:5], v102 offset:656
	s_wait_loadcnt_dscnt 0xb01
	v_mul_f64_e32 v[144:145], v[136:137], v[88:89]
	v_mul_f64_e32 v[88:89], v[138:139], v[88:89]
	scratch_load_b128 v[10:13], off, off offset:240
	v_add_f64_e32 v[140:141], v[140:141], v[142:143]
	v_add_f64_e32 v[150:151], v[130:131], v[128:129]
	ds_load_b128 v[128:131], v102 offset:672
	s_wait_loadcnt_dscnt 0xb01
	v_mul_f64_e32 v[142:143], v[2:3], v[92:93]
	v_mul_f64_e32 v[92:93], v[4:5], v[92:93]
	v_fmac_f64_e32 v[144:145], v[138:139], v[86:87]
	v_fma_f64 v[136:137], v[136:137], v[86:87], -v[88:89]
	scratch_load_b128 v[86:89], off, off offset:256
	v_add_f64_e32 v[140:141], v[140:141], v[146:147]
	v_add_f64_e32 v[138:139], v[150:151], v[148:149]
	v_fmac_f64_e32 v[142:143], v[4:5], v[90:91]
	v_fma_f64 v[148:149], v[2:3], v[90:91], -v[92:93]
	ds_load_b128 v[2:5], v102 offset:688
	s_wait_loadcnt_dscnt 0xb01
	v_mul_f64_e32 v[146:147], v[128:129], v[96:97]
	v_mul_f64_e32 v[96:97], v[130:131], v[96:97]
	scratch_load_b128 v[90:93], off, off offset:272
	v_add_f64_e32 v[140:141], v[140:141], v[144:145]
	s_wait_loadcnt_dscnt 0xb00
	v_mul_f64_e32 v[144:145], v[2:3], v[100:101]
	v_add_f64_e32 v[150:151], v[138:139], v[136:137]
	v_mul_f64_e32 v[100:101], v[4:5], v[100:101]
	ds_load_b128 v[136:139], v102 offset:704
	v_fmac_f64_e32 v[146:147], v[130:131], v[94:95]
	v_fma_f64 v[128:129], v[128:129], v[94:95], -v[96:97]
	scratch_load_b128 v[94:97], off, off offset:288
	v_add_f64_e32 v[140:141], v[140:141], v[142:143]
	v_fmac_f64_e32 v[144:145], v[4:5], v[98:99]
	v_add_f64_e32 v[130:131], v[150:151], v[148:149]
	v_fma_f64 v[148:149], v[2:3], v[98:99], -v[100:101]
	ds_load_b128 v[2:5], v102 offset:720
	s_wait_loadcnt_dscnt 0xb01
	v_mul_f64_e32 v[142:143], v[136:137], v[106:107]
	v_mul_f64_e32 v[106:107], v[138:139], v[106:107]
	scratch_load_b128 v[98:101], off, off offset:304
	v_add_f64_e32 v[140:141], v[140:141], v[146:147]
	s_wait_loadcnt_dscnt 0xb00
	v_mul_f64_e32 v[146:147], v[2:3], v[110:111]
	v_add_f64_e32 v[150:151], v[130:131], v[128:129]
	v_mul_f64_e32 v[110:111], v[4:5], v[110:111]
	ds_load_b128 v[128:131], v102 offset:736
	v_fmac_f64_e32 v[142:143], v[138:139], v[104:105]
	v_fma_f64 v[136:137], v[136:137], v[104:105], -v[106:107]
	scratch_load_b128 v[104:107], off, off offset:320
	v_add_f64_e32 v[140:141], v[140:141], v[144:145]
	v_fmac_f64_e32 v[146:147], v[4:5], v[108:109]
	v_add_f64_e32 v[138:139], v[150:151], v[148:149]
	;; [unrolled: 18-line block ×3, first 2 shown]
	v_fma_f64 v[148:149], v[2:3], v[120:121], -v[122:123]
	ds_load_b128 v[2:5], v102 offset:784
	s_wait_loadcnt_dscnt 0xa01
	v_mul_f64_e32 v[146:147], v[136:137], v[134:135]
	v_mul_f64_e32 v[134:135], v[138:139], v[134:135]
	scratch_load_b128 v[120:123], off, off offset:368
	v_add_f64_e32 v[140:141], v[140:141], v[144:145]
	v_add_f64_e32 v[150:151], v[130:131], v[128:129]
	s_wait_loadcnt_dscnt 0xa00
	v_mul_f64_e32 v[144:145], v[2:3], v[118:119]
	v_mul_f64_e32 v[118:119], v[4:5], v[118:119]
	v_fmac_f64_e32 v[146:147], v[138:139], v[132:133]
	v_fma_f64 v[136:137], v[136:137], v[132:133], -v[134:135]
	ds_load_b128 v[128:131], v102 offset:800
	scratch_load_b128 v[132:135], off, off offset:384
	v_add_f64_e32 v[140:141], v[140:141], v[142:143]
	v_add_f64_e32 v[138:139], v[150:151], v[148:149]
	v_fmac_f64_e32 v[144:145], v[4:5], v[116:117]
	v_fma_f64 v[148:149], v[2:3], v[116:117], -v[118:119]
	ds_load_b128 v[2:5], v102 offset:816
	s_wait_loadcnt_dscnt 0xa01
	v_mul_f64_e32 v[142:143], v[128:129], v[8:9]
	v_mul_f64_e32 v[8:9], v[130:131], v[8:9]
	scratch_load_b128 v[116:119], off, off offset:400
	v_add_f64_e32 v[140:141], v[140:141], v[146:147]
	s_wait_loadcnt_dscnt 0xa00
	v_mul_f64_e32 v[146:147], v[2:3], v[12:13]
	v_add_f64_e32 v[150:151], v[138:139], v[136:137]
	v_mul_f64_e32 v[12:13], v[4:5], v[12:13]
	ds_load_b128 v[136:139], v102 offset:832
	v_fmac_f64_e32 v[142:143], v[130:131], v[6:7]
	v_fma_f64 v[128:129], v[128:129], v[6:7], -v[8:9]
	scratch_load_b128 v[6:9], off, off offset:416
	v_add_f64_e32 v[140:141], v[140:141], v[144:145]
	v_fmac_f64_e32 v[146:147], v[4:5], v[10:11]
	v_add_f64_e32 v[130:131], v[150:151], v[148:149]
	v_fma_f64 v[148:149], v[2:3], v[10:11], -v[12:13]
	ds_load_b128 v[2:5], v102 offset:848
	s_wait_loadcnt_dscnt 0xa01
	v_mul_f64_e32 v[144:145], v[136:137], v[88:89]
	v_mul_f64_e32 v[88:89], v[138:139], v[88:89]
	scratch_load_b128 v[10:13], off, off offset:432
	v_add_f64_e32 v[140:141], v[140:141], v[142:143]
	s_wait_loadcnt_dscnt 0xa00
	v_mul_f64_e32 v[142:143], v[2:3], v[92:93]
	v_add_f64_e32 v[150:151], v[130:131], v[128:129]
	v_mul_f64_e32 v[92:93], v[4:5], v[92:93]
	ds_load_b128 v[128:131], v102 offset:864
	v_fmac_f64_e32 v[144:145], v[138:139], v[86:87]
	v_fma_f64 v[136:137], v[136:137], v[86:87], -v[88:89]
	scratch_load_b128 v[86:89], off, off offset:448
	v_add_f64_e32 v[140:141], v[140:141], v[146:147]
	v_fmac_f64_e32 v[142:143], v[4:5], v[90:91]
	v_add_f64_e32 v[138:139], v[150:151], v[148:149]
	;; [unrolled: 18-line block ×5, first 2 shown]
	v_fma_f64 v[148:149], v[2:3], v[120:121], -v[122:123]
	ds_load_b128 v[2:5], v102 offset:976
	s_wait_loadcnt_dscnt 0xa01
	v_mul_f64_e32 v[146:147], v[136:137], v[134:135]
	v_mul_f64_e32 v[134:135], v[138:139], v[134:135]
	scratch_load_b128 v[120:123], off, off offset:560
	v_add_f64_e32 v[140:141], v[140:141], v[144:145]
	s_wait_loadcnt_dscnt 0xa00
	v_mul_f64_e32 v[144:145], v[2:3], v[118:119]
	v_add_f64_e32 v[150:151], v[130:131], v[128:129]
	v_mul_f64_e32 v[118:119], v[4:5], v[118:119]
	ds_load_b128 v[128:131], v102 offset:992
	v_fmac_f64_e32 v[146:147], v[138:139], v[132:133]
	v_fma_f64 v[132:133], v[136:137], v[132:133], -v[134:135]
	s_wait_loadcnt_dscnt 0x900
	v_mul_f64_e32 v[138:139], v[128:129], v[8:9]
	v_mul_f64_e32 v[8:9], v[130:131], v[8:9]
	v_add_f64_e32 v[136:137], v[140:141], v[142:143]
	v_fmac_f64_e32 v[144:145], v[4:5], v[116:117]
	v_add_f64_e32 v[134:135], v[150:151], v[148:149]
	v_fma_f64 v[140:141], v[2:3], v[116:117], -v[118:119]
	ds_load_b128 v[2:5], v102 offset:1008
	ds_load_b128 v[116:119], v102 offset:1024
	v_fmac_f64_e32 v[138:139], v[130:131], v[6:7]
	v_fma_f64 v[6:7], v[128:129], v[6:7], -v[8:9]
	v_add_f64_e32 v[132:133], v[134:135], v[132:133]
	v_add_f64_e32 v[134:135], v[136:137], v[146:147]
	s_wait_loadcnt_dscnt 0x801
	v_mul_f64_e32 v[136:137], v[2:3], v[12:13]
	v_mul_f64_e32 v[12:13], v[4:5], v[12:13]
	s_wait_loadcnt_dscnt 0x700
	v_mul_f64_e32 v[130:131], v[116:117], v[88:89]
	v_mul_f64_e32 v[88:89], v[118:119], v[88:89]
	v_add_f64_e32 v[8:9], v[132:133], v[140:141]
	v_add_f64_e32 v[128:129], v[134:135], v[144:145]
	v_fmac_f64_e32 v[136:137], v[4:5], v[10:11]
	v_fma_f64 v[10:11], v[2:3], v[10:11], -v[12:13]
	v_fmac_f64_e32 v[130:131], v[118:119], v[86:87]
	v_fma_f64 v[86:87], v[116:117], v[86:87], -v[88:89]
	v_add_f64_e32 v[12:13], v[8:9], v[6:7]
	v_add_f64_e32 v[128:129], v[128:129], v[138:139]
	ds_load_b128 v[2:5], v102 offset:1040
	ds_load_b128 v[6:9], v102 offset:1056
	s_wait_loadcnt_dscnt 0x601
	v_mul_f64_e32 v[132:133], v[2:3], v[92:93]
	v_mul_f64_e32 v[92:93], v[4:5], v[92:93]
	s_wait_loadcnt_dscnt 0x500
	v_mul_f64_e32 v[88:89], v[6:7], v[96:97]
	v_mul_f64_e32 v[96:97], v[8:9], v[96:97]
	v_add_f64_e32 v[10:11], v[12:13], v[10:11]
	v_add_f64_e32 v[12:13], v[128:129], v[136:137]
	v_fmac_f64_e32 v[132:133], v[4:5], v[90:91]
	v_fma_f64 v[90:91], v[2:3], v[90:91], -v[92:93]
	v_fmac_f64_e32 v[88:89], v[8:9], v[94:95]
	v_fma_f64 v[6:7], v[6:7], v[94:95], -v[96:97]
	v_add_f64_e32 v[86:87], v[10:11], v[86:87]
	v_add_f64_e32 v[92:93], v[12:13], v[130:131]
	ds_load_b128 v[2:5], v102 offset:1072
	ds_load_b128 v[10:13], v102 offset:1088
	s_wait_loadcnt_dscnt 0x401
	v_mul_f64_e32 v[116:117], v[2:3], v[100:101]
	v_mul_f64_e32 v[100:101], v[4:5], v[100:101]
	v_add_f64_e32 v[8:9], v[86:87], v[90:91]
	v_add_f64_e32 v[86:87], v[92:93], v[132:133]
	s_wait_loadcnt_dscnt 0x300
	v_mul_f64_e32 v[90:91], v[10:11], v[106:107]
	v_mul_f64_e32 v[92:93], v[12:13], v[106:107]
	v_fmac_f64_e32 v[116:117], v[4:5], v[98:99]
	v_fma_f64 v[94:95], v[2:3], v[98:99], -v[100:101]
	v_lshl_add_u64 v[100:101], v[20:21], 4, s[4:5]
	v_lshl_add_u64 v[20:21], v[48:49], 4, s[4:5]
	;; [unrolled: 1-line block ×3, first 2 shown]
	v_add_f64_e32 v[96:97], v[8:9], v[6:7]
	v_add_f64_e32 v[86:87], v[86:87], v[88:89]
	ds_load_b128 v[2:5], v102 offset:1104
	ds_load_b128 v[6:9], v102 offset:1120
	v_fmac_f64_e32 v[90:91], v[12:13], v[104:105]
	v_fma_f64 v[10:11], v[10:11], v[104:105], -v[92:93]
	s_wait_loadcnt_dscnt 0x201
	v_mul_f64_e32 v[88:89], v[2:3], v[110:111]
	v_mul_f64_e32 v[98:99], v[4:5], v[110:111]
	s_wait_loadcnt_dscnt 0x100
	v_mul_f64_e32 v[92:93], v[6:7], v[114:115]
	v_add_f64_e32 v[12:13], v[96:97], v[94:95]
	v_add_f64_e32 v[86:87], v[86:87], v[116:117]
	v_mul_f64_e32 v[94:95], v[8:9], v[114:115]
	v_fmac_f64_e32 v[88:89], v[4:5], v[108:109]
	v_fma_f64 v[96:97], v[2:3], v[108:109], -v[98:99]
	ds_load_b128 v[2:5], v102 offset:1136
	v_fmac_f64_e32 v[92:93], v[8:9], v[112:113]
	v_lshl_add_u64 v[98:99], v[18:19], 4, s[4:5]
	v_lshl_add_u64 v[18:19], v[46:47], 4, s[4:5]
	;; [unrolled: 1-line block ×3, first 2 shown]
	v_add_f64_e32 v[10:11], v[12:13], v[10:11]
	v_add_f64_e32 v[12:13], v[86:87], v[90:91]
	v_fma_f64 v[6:7], v[6:7], v[112:113], -v[94:95]
	v_lshl_add_u64 v[94:95], v[28:29], 4, s[4:5]
	v_lshl_add_u64 v[28:29], v[56:57], 4, s[4:5]
	;; [unrolled: 1-line block ×3, first 2 shown]
	s_wait_loadcnt_dscnt 0x0
	v_mul_f64_e32 v[86:87], v[2:3], v[122:123]
	v_mul_f64_e32 v[90:91], v[4:5], v[122:123]
	v_add_f64_e32 v[8:9], v[10:11], v[96:97]
	v_add_f64_e32 v[10:11], v[12:13], v[88:89]
	v_lshl_add_u64 v[96:97], v[22:23], 4, s[4:5]
	v_lshl_add_u64 v[88:89], v[30:31], 4, s[4:5]
	;; [unrolled: 1-line block ×7, first 2 shown]
	v_fmac_f64_e32 v[86:87], v[4:5], v[120:121]
	v_fma_f64 v[2:3], v[2:3], v[120:121], -v[90:91]
	v_lshl_add_u64 v[90:91], v[24:25], 4, s[4:5]
	v_lshl_add_u64 v[24:25], v[52:53], 4, s[4:5]
	;; [unrolled: 1-line block ×3, first 2 shown]
	v_add_f64_e32 v[4:5], v[8:9], v[6:7]
	v_add_f64_e32 v[6:7], v[10:11], v[92:93]
	v_lshl_add_u64 v[92:93], v[26:27], 4, s[4:5]
	v_lshl_add_u64 v[8:9], v[40:41], 4, s[4:5]
	;; [unrolled: 1-line block ×7, first 2 shown]
	v_add_f64_e32 v[2:3], v[4:5], v[2:3]
	v_add_f64_e32 v[4:5], v[6:7], v[86:87]
	v_lshl_add_u64 v[86:87], v[32:33], 4, s[4:5]
	v_lshl_add_u64 v[6:7], v[38:39], 4, s[4:5]
	;; [unrolled: 1-line block ×4, first 2 shown]
	v_add_f64_e64 v[104:105], v[124:125], -v[2:3]
	v_add_f64_e64 v[106:107], v[126:127], -v[4:5]
	v_lshl_add_u64 v[2:3], v[34:35], 4, s[4:5]
	v_lshl_add_u64 v[4:5], v[36:37], 4, s[4:5]
	;; [unrolled: 1-line block ×4, first 2 shown]
	scratch_store_b128 off, v[104:107], off
	s_cbranch_vccz .LBB35_300
; %bb.230:
	global_load_b32 v58, v102, s[16:17] offset:136
	s_load_b64 s[2:3], s[0:1], 0x4
	v_bfe_u32 v59, v0, 10, 10
	v_bfe_u32 v0, v0, 20, 10
	s_wait_kmcnt 0x0
	s_lshr_b32 s0, s2, 16
	s_delay_alu instid0(VALU_DEP_2) | instskip(SKIP_1) | instid1(SALU_CYCLE_1)
	v_mul_u32_u24_e32 v59, s3, v59
	s_mul_i32 s0, s0, s3
	v_mul_u32_u24_e32 v1, s0, v1
	s_delay_alu instid0(VALU_DEP_1) | instskip(NEXT) | instid1(VALU_DEP_1)
	v_add3_u32 v0, v1, v59, v0
	v_lshl_add_u32 v0, v0, 4, 0x488
	s_wait_loadcnt 0x0
	v_cmp_ne_u32_e32 vcc_lo, 35, v58
	s_cbranch_vccz .LBB35_232
; %bb.231:
	v_lshlrev_b32_e32 v1, 4, v58
	s_clause 0x1
	scratch_load_b128 v[58:61], off, s15
	scratch_load_b128 v[62:65], v1, off offset:-16
	s_wait_loadcnt 0x1
	ds_store_2addr_b64 v0, v[58:59], v[60:61] offset1:1
	s_wait_loadcnt 0x0
	s_clause 0x1
	scratch_store_b128 off, v[62:65], s15
	scratch_store_b128 v1, v[58:61], off offset:-16
.LBB35_232:
	s_wait_xcnt 0x0
	v_mov_b32_e32 v1, 0
	global_load_b32 v58, v1, s[16:17] offset:132
	s_wait_loadcnt 0x0
	v_cmp_eq_u32_e32 vcc_lo, 34, v58
	s_cbranch_vccnz .LBB35_234
; %bb.233:
	v_lshlrev_b32_e32 v58, 4, v58
	s_delay_alu instid0(VALU_DEP_1)
	v_mov_b32_e32 v66, v58
	s_clause 0x1
	scratch_load_b128 v[58:61], off, s14
	scratch_load_b128 v[62:65], v66, off offset:-16
	s_wait_loadcnt 0x1
	ds_store_2addr_b64 v0, v[58:59], v[60:61] offset1:1
	s_wait_loadcnt 0x0
	s_clause 0x1
	scratch_store_b128 off, v[62:65], s14
	scratch_store_b128 v66, v[58:61], off offset:-16
.LBB35_234:
	global_load_b32 v1, v1, s[16:17] offset:128
	s_wait_loadcnt 0x0
	v_cmp_eq_u32_e32 vcc_lo, 33, v1
	s_cbranch_vccnz .LBB35_236
; %bb.235:
	s_wait_xcnt 0x0
	v_lshlrev_b32_e32 v1, 4, v1
	s_clause 0x1
	scratch_load_b128 v[58:61], off, s24
	scratch_load_b128 v[62:65], v1, off offset:-16
	s_wait_loadcnt 0x1
	ds_store_2addr_b64 v0, v[58:59], v[60:61] offset1:1
	s_wait_loadcnt 0x0
	s_clause 0x1
	scratch_store_b128 off, v[62:65], s24
	scratch_store_b128 v1, v[58:61], off offset:-16
.LBB35_236:
	s_wait_xcnt 0x0
	v_mov_b32_e32 v1, 0
	global_load_b32 v58, v1, s[16:17] offset:124
	s_wait_loadcnt 0x0
	v_cmp_eq_u32_e32 vcc_lo, 32, v58
	s_cbranch_vccnz .LBB35_238
; %bb.237:
	v_lshlrev_b32_e32 v58, 4, v58
	s_delay_alu instid0(VALU_DEP_1)
	v_mov_b32_e32 v66, v58
	s_clause 0x1
	scratch_load_b128 v[58:61], off, s21
	scratch_load_b128 v[62:65], v66, off offset:-16
	s_wait_loadcnt 0x1
	ds_store_2addr_b64 v0, v[58:59], v[60:61] offset1:1
	s_wait_loadcnt 0x0
	s_clause 0x1
	scratch_store_b128 off, v[62:65], s21
	scratch_store_b128 v66, v[58:61], off offset:-16
.LBB35_238:
	global_load_b32 v1, v1, s[16:17] offset:120
	s_wait_loadcnt 0x0
	v_cmp_eq_u32_e32 vcc_lo, 31, v1
	s_cbranch_vccnz .LBB35_240
; %bb.239:
	s_wait_xcnt 0x0
	v_lshlrev_b32_e32 v1, 4, v1
	s_clause 0x1
	scratch_load_b128 v[58:61], off, s28
	scratch_load_b128 v[62:65], v1, off offset:-16
	s_wait_loadcnt 0x1
	ds_store_2addr_b64 v0, v[58:59], v[60:61] offset1:1
	s_wait_loadcnt 0x0
	s_clause 0x1
	scratch_store_b128 off, v[62:65], s28
	scratch_store_b128 v1, v[58:61], off offset:-16
.LBB35_240:
	;; [unrolled: 37-line block ×16, first 2 shown]
	s_wait_xcnt 0x0
	v_mov_b32_e32 v1, 0
	global_load_b32 v58, v1, s[16:17] offset:4
	s_wait_loadcnt 0x0
	v_cmp_eq_u32_e32 vcc_lo, 2, v58
	s_cbranch_vccnz .LBB35_298
; %bb.297:
	v_lshlrev_b32_e32 v58, 4, v58
	s_delay_alu instid0(VALU_DEP_1)
	v_mov_b32_e32 v66, v58
	s_clause 0x1
	scratch_load_b128 v[58:61], off, s36
	scratch_load_b128 v[62:65], v66, off offset:-16
	s_wait_loadcnt 0x1
	ds_store_2addr_b64 v0, v[58:59], v[60:61] offset1:1
	s_wait_loadcnt 0x0
	s_clause 0x1
	scratch_store_b128 off, v[62:65], s36
	scratch_store_b128 v66, v[58:61], off offset:-16
.LBB35_298:
	global_load_b32 v1, v1, s[16:17]
	s_wait_loadcnt 0x0
	v_cmp_eq_u32_e32 vcc_lo, 1, v1
	s_cbranch_vccnz .LBB35_300
; %bb.299:
	s_wait_xcnt 0x0
	v_lshlrev_b32_e32 v1, 4, v1
	scratch_load_b128 v[58:61], off, off
	scratch_load_b128 v[62:65], v1, off offset:-16
	s_wait_loadcnt 0x1
	ds_store_2addr_b64 v0, v[58:59], v[60:61] offset1:1
	s_wait_loadcnt 0x0
	scratch_store_b128 off, v[62:65], off
	scratch_store_b128 v1, v[58:61], off offset:-16
.LBB35_300:
	scratch_load_b128 v[58:61], off, off
	s_clause 0x12
	scratch_load_b128 v[62:65], off, s36
	scratch_load_b128 v[66:69], off, s31
	;; [unrolled: 1-line block ×15, first 2 shown]
	; meta instruction
	; meta instruction
	;; [unrolled: 1-line block ×15, first 2 shown]
	scratch_load_b128 v[138:141], off, s27
	scratch_load_b128 v[142:145], off, s29
	;; [unrolled: 1-line block ×4, first 2 shown]
	s_wait_loadcnt 0x13
	global_store_b128 v[14:15], v[58:61], off
	s_clause 0x1
	scratch_load_b128 v[58:61], off, s23
	scratch_load_b128 v[154:157], off, s26
	s_wait_loadcnt 0x14
	global_store_b128 v[16:17], v[62:65], off
	s_clause 0x1
	scratch_load_b128 v[14:17], off, s20
	scratch_load_b128 v[62:65], off, s22
	s_wait_loadcnt 0x15
	global_store_b128 v[98:99], v[66:69], off
	s_wait_loadcnt 0x14
	global_store_b128 v[100:101], v[70:73], off
	s_clause 0x1
	scratch_load_b128 v[66:69], off, s12
	scratch_load_b128 v[70:73], off, s13
	s_wait_loadcnt 0x15
	global_store_b128 v[96:97], v[74:77], off
	s_clause 0x1
	scratch_load_b128 v[74:77], off, s10
	scratch_load_b128 v[96:99], off, s11
	;; [unrolled: 5-line block ×3, first 2 shown]
	s_wait_loadcnt 0x17
	global_store_b128 v[92:93], v[82:85], off
	s_wait_loadcnt 0x16
	global_store_b128 v[94:95], v[102:105], off
	s_clause 0x1
	scratch_load_b128 v[82:85], off, s25
	scratch_load_b128 v[90:93], off, s28
	s_wait_loadcnt 0x17
	global_store_b128 v[88:89], v[106:109], off
	s_clause 0x1
	scratch_load_b128 v[100:103], off, s21
	scratch_load_b128 v[104:107], off, s24
	;; [unrolled: 5-line block ×3, first 2 shown]
	s_wait_loadcnt 0x19
	global_store_b128 v[2:3], v[114:117], off
	s_wait_loadcnt 0x18
	global_store_b128 v[4:5], v[118:121], off
	s_wait_loadcnt 0x17
	global_store_b128 v[6:7], v[122:125], off
	s_wait_loadcnt 0x16
	global_store_b128 v[8:9], v[126:129], off
	s_wait_loadcnt 0x15
	global_store_b128 v[10:11], v[130:133], off
	s_wait_loadcnt 0x14
	global_store_b128 v[12:13], v[134:137], off
	s_wait_loadcnt 0x13
	global_store_b128 v[18:19], v[138:141], off
	s_wait_loadcnt 0x12
	global_store_b128 v[20:21], v[142:145], off
	s_wait_loadcnt 0x11
	global_store_b128 v[22:23], v[146:149], off
	s_wait_loadcnt 0xf
	global_store_b128 v[24:25], v[58:61], off
	s_wait_loadcnt 0xe
	global_store_b128 v[26:27], v[154:157], off
	s_wait_loadcnt 0xd
	global_store_b128 v[28:29], v[14:17], off
	s_wait_loadcnt 0xc
	global_store_b128 v[30:31], v[62:65], off
	s_wait_loadcnt 0xb
	global_store_b128 v[32:33], v[66:69], off
	s_wait_loadcnt 0xa
	global_store_b128 v[34:35], v[70:73], off
	s_wait_loadcnt 0x9
	global_store_b128 v[36:37], v[74:77], off
	s_wait_loadcnt 0x8
	global_store_b128 v[38:39], v[96:99], off
	s_wait_loadcnt 0x7
	global_store_b128 v[40:41], v[78:81], off
	s_wait_loadcnt 0x6
	global_store_b128 v[42:43], v[158:161], off
	s_wait_loadcnt 0x5
	global_store_b128 v[44:45], v[82:85], off
	s_wait_loadcnt 0x4
	global_store_b128 v[46:47], v[90:93], off
	s_wait_loadcnt 0x3
	global_store_b128 v[48:49], v[100:103], off
	s_wait_loadcnt 0x2
	global_store_b128 v[50:51], v[104:107], off
	s_wait_loadcnt 0x1
	global_store_b128 v[52:53], v[86:89], off
	s_wait_loadcnt 0x0
	s_clause 0x1
	global_store_b128 v[54:55], v[108:111], off
	global_store_b128 v[56:57], v[150:153], off
	s_sendmsg sendmsg(MSG_DEALLOC_VGPRS)
	s_endpgm
	.section	.rodata,"a",@progbits
	.p2align	6, 0x0
	.amdhsa_kernel _ZN9rocsolver6v33100L18getri_kernel_smallILi36E19rocblas_complex_numIdEPS3_EEvT1_iilPiilS6_bb
		.amdhsa_group_segment_fixed_size 2184
		.amdhsa_private_segment_fixed_size 592
		.amdhsa_kernarg_size 60
		.amdhsa_user_sgpr_count 4
		.amdhsa_user_sgpr_dispatch_ptr 1
		.amdhsa_user_sgpr_queue_ptr 0
		.amdhsa_user_sgpr_kernarg_segment_ptr 1
		.amdhsa_user_sgpr_dispatch_id 0
		.amdhsa_user_sgpr_kernarg_preload_length 0
		.amdhsa_user_sgpr_kernarg_preload_offset 0
		.amdhsa_user_sgpr_private_segment_size 0
		.amdhsa_wavefront_size32 1
		.amdhsa_uses_dynamic_stack 0
		.amdhsa_enable_private_segment 1
		.amdhsa_system_sgpr_workgroup_id_x 1
		.amdhsa_system_sgpr_workgroup_id_y 0
		.amdhsa_system_sgpr_workgroup_id_z 0
		.amdhsa_system_sgpr_workgroup_info 0
		.amdhsa_system_vgpr_workitem_id 2
		.amdhsa_next_free_vgpr 164
		.amdhsa_next_free_sgpr 63
		.amdhsa_named_barrier_count 0
		.amdhsa_reserve_vcc 1
		.amdhsa_float_round_mode_32 0
		.amdhsa_float_round_mode_16_64 0
		.amdhsa_float_denorm_mode_32 3
		.amdhsa_float_denorm_mode_16_64 3
		.amdhsa_fp16_overflow 0
		.amdhsa_memory_ordered 1
		.amdhsa_forward_progress 1
		.amdhsa_inst_pref_size 255
		.amdhsa_round_robin_scheduling 0
		.amdhsa_exception_fp_ieee_invalid_op 0
		.amdhsa_exception_fp_denorm_src 0
		.amdhsa_exception_fp_ieee_div_zero 0
		.amdhsa_exception_fp_ieee_overflow 0
		.amdhsa_exception_fp_ieee_underflow 0
		.amdhsa_exception_fp_ieee_inexact 0
		.amdhsa_exception_int_div_zero 0
	.end_amdhsa_kernel
	.section	.text._ZN9rocsolver6v33100L18getri_kernel_smallILi36E19rocblas_complex_numIdEPS3_EEvT1_iilPiilS6_bb,"axG",@progbits,_ZN9rocsolver6v33100L18getri_kernel_smallILi36E19rocblas_complex_numIdEPS3_EEvT1_iilPiilS6_bb,comdat
.Lfunc_end35:
	.size	_ZN9rocsolver6v33100L18getri_kernel_smallILi36E19rocblas_complex_numIdEPS3_EEvT1_iilPiilS6_bb, .Lfunc_end35-_ZN9rocsolver6v33100L18getri_kernel_smallILi36E19rocblas_complex_numIdEPS3_EEvT1_iilPiilS6_bb
                                        ; -- End function
	.set _ZN9rocsolver6v33100L18getri_kernel_smallILi36E19rocblas_complex_numIdEPS3_EEvT1_iilPiilS6_bb.num_vgpr, 164
	.set _ZN9rocsolver6v33100L18getri_kernel_smallILi36E19rocblas_complex_numIdEPS3_EEvT1_iilPiilS6_bb.num_agpr, 0
	.set _ZN9rocsolver6v33100L18getri_kernel_smallILi36E19rocblas_complex_numIdEPS3_EEvT1_iilPiilS6_bb.numbered_sgpr, 63
	.set _ZN9rocsolver6v33100L18getri_kernel_smallILi36E19rocblas_complex_numIdEPS3_EEvT1_iilPiilS6_bb.num_named_barrier, 0
	.set _ZN9rocsolver6v33100L18getri_kernel_smallILi36E19rocblas_complex_numIdEPS3_EEvT1_iilPiilS6_bb.private_seg_size, 592
	.set _ZN9rocsolver6v33100L18getri_kernel_smallILi36E19rocblas_complex_numIdEPS3_EEvT1_iilPiilS6_bb.uses_vcc, 1
	.set _ZN9rocsolver6v33100L18getri_kernel_smallILi36E19rocblas_complex_numIdEPS3_EEvT1_iilPiilS6_bb.uses_flat_scratch, 1
	.set _ZN9rocsolver6v33100L18getri_kernel_smallILi36E19rocblas_complex_numIdEPS3_EEvT1_iilPiilS6_bb.has_dyn_sized_stack, 0
	.set _ZN9rocsolver6v33100L18getri_kernel_smallILi36E19rocblas_complex_numIdEPS3_EEvT1_iilPiilS6_bb.has_recursion, 0
	.set _ZN9rocsolver6v33100L18getri_kernel_smallILi36E19rocblas_complex_numIdEPS3_EEvT1_iilPiilS6_bb.has_indirect_call, 0
	.section	.AMDGPU.csdata,"",@progbits
; Kernel info:
; codeLenInByte = 55336
; TotalNumSgprs: 65
; NumVgprs: 164
; ScratchSize: 592
; MemoryBound: 0
; FloatMode: 240
; IeeeMode: 1
; LDSByteSize: 2184 bytes/workgroup (compile time only)
; SGPRBlocks: 0
; VGPRBlocks: 10
; NumSGPRsForWavesPerEU: 65
; NumVGPRsForWavesPerEU: 164
; NamedBarCnt: 0
; Occupancy: 5
; WaveLimiterHint : 1
; COMPUTE_PGM_RSRC2:SCRATCH_EN: 1
; COMPUTE_PGM_RSRC2:USER_SGPR: 4
; COMPUTE_PGM_RSRC2:TRAP_HANDLER: 0
; COMPUTE_PGM_RSRC2:TGID_X_EN: 1
; COMPUTE_PGM_RSRC2:TGID_Y_EN: 0
; COMPUTE_PGM_RSRC2:TGID_Z_EN: 0
; COMPUTE_PGM_RSRC2:TIDIG_COMP_CNT: 2
	.section	.text._ZN9rocsolver6v33100L18getri_kernel_smallILi37E19rocblas_complex_numIdEPS3_EEvT1_iilPiilS6_bb,"axG",@progbits,_ZN9rocsolver6v33100L18getri_kernel_smallILi37E19rocblas_complex_numIdEPS3_EEvT1_iilPiilS6_bb,comdat
	.globl	_ZN9rocsolver6v33100L18getri_kernel_smallILi37E19rocblas_complex_numIdEPS3_EEvT1_iilPiilS6_bb ; -- Begin function _ZN9rocsolver6v33100L18getri_kernel_smallILi37E19rocblas_complex_numIdEPS3_EEvT1_iilPiilS6_bb
	.p2align	8
	.type	_ZN9rocsolver6v33100L18getri_kernel_smallILi37E19rocblas_complex_numIdEPS3_EEvT1_iilPiilS6_bb,@function
_ZN9rocsolver6v33100L18getri_kernel_smallILi37E19rocblas_complex_numIdEPS3_EEvT1_iilPiilS6_bb: ; @_ZN9rocsolver6v33100L18getri_kernel_smallILi37E19rocblas_complex_numIdEPS3_EEvT1_iilPiilS6_bb
; %bb.0:
	v_and_b32_e32 v1, 0x3ff, v0
	s_mov_b32 s4, exec_lo
	s_delay_alu instid0(VALU_DEP_1)
	v_cmpx_gt_u32_e32 37, v1
	s_cbranch_execz .LBB36_162
; %bb.1:
	s_clause 0x2
	s_load_b32 s8, s[2:3], 0x38
	s_load_b128 s[12:15], s[2:3], 0x10
	s_load_b128 s[4:7], s[2:3], 0x28
	s_getreg_b32 s11, hwreg(HW_REG_IB_STS2, 6, 4)
                                        ; implicit-def: $sgpr16_sgpr17
	s_wait_kmcnt 0x0
	s_bitcmp1_b32 s8, 8
	s_cselect_b32 s49, -1, 0
	s_bfe_u32 s9, ttmp6, 0x4000c
	s_and_b32 s10, ttmp6, 15
	s_add_co_i32 s9, s9, 1
	s_delay_alu instid0(SALU_CYCLE_1) | instskip(NEXT) | instid1(SALU_CYCLE_1)
	s_mul_i32 s9, ttmp9, s9
	s_add_co_i32 s10, s10, s9
	s_cmp_eq_u32 s11, 0
	s_cselect_b32 s18, ttmp9, s10
	s_bfe_u32 s8, s8, 0x10008
	s_ashr_i32 s19, s18, 31
	s_cmp_eq_u32 s8, 0
	s_cbranch_scc1 .LBB36_3
; %bb.2:
	s_load_b32 s8, s[2:3], 0x20
	s_mul_u64 s[4:5], s[4:5], s[18:19]
	s_delay_alu instid0(SALU_CYCLE_1) | instskip(NEXT) | instid1(SALU_CYCLE_1)
	s_lshl_b64 s[4:5], s[4:5], 2
	s_add_nc_u64 s[4:5], s[14:15], s[4:5]
	s_wait_kmcnt 0x0
	s_ashr_i32 s9, s8, 31
	s_delay_alu instid0(SALU_CYCLE_1) | instskip(NEXT) | instid1(SALU_CYCLE_1)
	s_lshl_b64 s[8:9], s[8:9], 2
	s_add_nc_u64 s[16:17], s[4:5], s[8:9]
.LBB36_3:
	s_clause 0x1
	s_load_b128 s[8:11], s[2:3], 0x0
	s_load_b32 s50, s[2:3], 0x38
	s_wait_xcnt 0x0
	s_mul_u64 s[2:3], s[12:13], s[18:19]
	s_movk_i32 s51, 0x170
	s_lshl_b64 s[2:3], s[2:3], 4
	s_movk_i32 s52, 0x180
	s_movk_i32 s53, 0x190
	;; [unrolled: 1-line block ×13, first 2 shown]
	s_mov_b32 s31, 16
	s_mov_b32 s26, 32
	s_wait_kmcnt 0x0
	v_add3_u32 v18, s11, s11, v1
	s_ashr_i32 s5, s10, 31
	s_mov_b32 s4, s10
	s_add_nc_u64 s[2:3], s[8:9], s[2:3]
	s_lshl_b64 s[4:5], s[4:5], 4
	v_add_nc_u32_e32 v20, s11, v18
	s_add_nc_u64 s[4:5], s[2:3], s[4:5]
	s_ashr_i32 s3, s11, 31
	s_mov_b32 s2, s11
	s_clause 0x1
	global_load_b128 v[2:5], v1, s[4:5] scale_offset
	global_load_b128 v[6:9], v18, s[4:5] scale_offset
	v_dual_add_nc_u32 v22, s11, v20 :: v_dual_lshlrev_b32 v88, 4, v1
	s_mov_b32 s28, 48
	s_mov_b32 s30, 64
	s_movk_i32 s40, 0x50
	s_delay_alu instid0(VALU_DEP_1) | instskip(SKIP_3) | instid1(VALU_DEP_1)
	v_dual_mov_b32 v89, 0 :: v_dual_add_nc_u32 v24, s11, v22
	s_movk_i32 s42, 0x60
	s_movk_i32 s45, 0x70
	s_movk_i32 s38, 0x80
	v_add_nc_u32_e32 v26, s11, v24
	v_add_nc_u64_e32 v[14:15], s[4:5], v[88:89]
	s_movk_i32 s39, 0x90
	s_movk_i32 s41, 0xa0
	;; [unrolled: 1-line block ×3, first 2 shown]
	v_add_nc_u32_e32 v28, s11, v26
	s_movk_i32 s46, 0xc0
	s_movk_i32 s47, 0xd0
	v_lshl_add_u64 v[16:17], s[2:3], 4, v[14:15]
	s_movk_i32 s48, 0xe0
	v_add_nc_u32_e32 v30, s11, v28
	s_clause 0x4
	global_load_b128 v[10:13], v20, s[4:5] scale_offset
	global_load_b128 v[78:81], v22, s[4:5] scale_offset
	global_load_b128 v[82:85], v[16:17], off
	global_load_b128 v[90:93], v24, s[4:5] scale_offset
	global_load_b128 v[94:97], v26, s[4:5] scale_offset
	s_movk_i32 s43, 0xf0
	s_movk_i32 s35, 0x100
	v_add_nc_u32_e32 v32, s11, v30
	s_movk_i32 s36, 0x110
	s_movk_i32 s37, 0x120
	;; [unrolled: 1-line block ×4, first 2 shown]
	v_add_nc_u32_e32 v34, s11, v32
	s_movk_i32 s27, 0x150
	s_movk_i32 s29, 0x160
	s_mov_b32 s24, s51
	s_mov_b32 s25, s52
	v_add_nc_u32_e32 v36, s11, v34
	s_clause 0x1
	global_load_b128 v[98:101], v28, s[4:5] scale_offset
	global_load_b128 v[102:105], v30, s[4:5] scale_offset
	s_mov_b32 s22, s53
	s_mov_b32 s23, s54
	;; [unrolled: 1-line block ×3, first 2 shown]
	v_add_nc_u32_e32 v38, s11, v36
	s_clause 0x2
	global_load_b128 v[106:109], v32, s[4:5] scale_offset
	global_load_b128 v[110:113], v34, s[4:5] scale_offset
	;; [unrolled: 1-line block ×3, first 2 shown]
	s_mov_b32 s20, s56
	s_mov_b32 s12, s58
	;; [unrolled: 1-line block ×3, first 2 shown]
	v_add_nc_u32_e32 v40, s11, v38
	s_mov_b32 s10, s60
	s_mov_b32 s8, s61
	;; [unrolled: 1-line block ×4, first 2 shown]
	v_add_nc_u32_e32 v42, s11, v40
	s_mov_b32 s15, s64
	s_bitcmp0_b32 s50, 0
	s_mov_b32 s3, -1
	s_delay_alu instid0(VALU_DEP_1) | instskip(NEXT) | instid1(VALU_DEP_1)
	v_add_nc_u32_e32 v44, s11, v42
	v_add_nc_u32_e32 v46, s11, v44
	s_clause 0x1
	global_load_b128 v[118:121], v38, s[4:5] scale_offset
	global_load_b128 v[122:125], v40, s[4:5] scale_offset
	v_add_nc_u32_e32 v48, s11, v46
	s_delay_alu instid0(VALU_DEP_1)
	v_add_nc_u32_e32 v50, s11, v48
	s_clause 0x3
	global_load_b128 v[126:129], v42, s[4:5] scale_offset
	global_load_b128 v[130:133], v44, s[4:5] scale_offset
	;; [unrolled: 1-line block ×4, first 2 shown]
	v_add_nc_u32_e32 v52, s11, v50
	s_delay_alu instid0(VALU_DEP_1) | instskip(NEXT) | instid1(VALU_DEP_1)
	v_add_nc_u32_e32 v54, s11, v52
	v_add_nc_u32_e32 v56, s11, v54
	s_delay_alu instid0(VALU_DEP_1) | instskip(NEXT) | instid1(VALU_DEP_1)
	v_add_nc_u32_e32 v58, s11, v56
	v_add_nc_u32_e32 v60, s11, v58
	s_delay_alu instid0(VALU_DEP_1)
	v_add_nc_u32_e32 v62, s11, v60
	s_clause 0x3
	global_load_b128 v[142:145], v50, s[4:5] scale_offset
	global_load_b128 v[146:149], v52, s[4:5] scale_offset
	;; [unrolled: 1-line block ×4, first 2 shown]
	s_wait_loadcnt 0x15
	scratch_store_b128 off, v[2:5], off
	s_wait_loadcnt 0x14
	scratch_store_b128 off, v[6:9], off offset:32
	v_add_nc_u32_e32 v64, s11, v62
	s_clause 0x1
	global_load_b128 v[2:5], v58, s[4:5] scale_offset
	global_load_b128 v[6:9], v60, s[4:5] scale_offset
	s_wait_loadcnt 0x15
	scratch_store_b128 off, v[10:13], off offset:48
	s_wait_loadcnt 0x14
	scratch_store_b128 off, v[78:81], off offset:64
	v_add_nc_u32_e32 v66, s11, v64
	s_delay_alu instid0(VALU_DEP_1) | instskip(NEXT) | instid1(VALU_DEP_1)
	v_add_nc_u32_e32 v68, s11, v66
	v_add_nc_u32_e32 v70, s11, v68
	s_clause 0x1
	global_load_b128 v[10:13], v62, s[4:5] scale_offset
	global_load_b128 v[158:161], v64, s[4:5] scale_offset
	s_wait_loadcnt 0x15
	scratch_store_b128 off, v[82:85], off offset:16
	s_wait_loadcnt 0x14
	scratch_store_b128 off, v[90:93], off offset:80
	;; [unrolled: 2-line block ×3, first 2 shown]
	v_add_nc_u32_e32 v72, s11, v70
	s_delay_alu instid0(VALU_DEP_1)
	v_add_nc_u32_e32 v74, s11, v72
	s_clause 0x1
	global_load_b128 v[90:93], v66, s[4:5] scale_offset
	global_load_b128 v[94:97], v68, s[4:5] scale_offset
	s_wait_loadcnt 0x14
	scratch_store_b128 off, v[98:101], off offset:112
	s_wait_loadcnt 0x13
	scratch_store_b128 off, v[102:105], off offset:128
	s_clause 0x1
	global_load_b128 v[98:101], v70, s[4:5] scale_offset
	global_load_b128 v[102:105], v72, s[4:5] scale_offset
	s_wait_loadcnt 0x14
	scratch_store_b128 off, v[106:109], off offset:144
	v_add_nc_u32_e32 v76, s11, v74
	s_wait_loadcnt 0x13
	scratch_store_b128 off, v[110:113], off offset:160
	s_wait_loadcnt 0x12
	scratch_store_b128 off, v[114:117], off offset:176
	v_add_nc_u32_e32 v78, s11, v76
	s_delay_alu instid0(VALU_DEP_1) | instskip(NEXT) | instid1(VALU_DEP_1)
	v_add_nc_u32_e32 v80, s11, v78
	v_add_nc_u32_e32 v82, s11, v80
	s_clause 0x1
	global_load_b128 v[106:109], v74, s[4:5] scale_offset
	global_load_b128 v[110:113], v76, s[4:5] scale_offset
	s_wait_loadcnt 0x13
	scratch_store_b128 off, v[118:121], off offset:192
	s_wait_loadcnt 0x12
	scratch_store_b128 off, v[122:125], off offset:208
	v_add_nc_u32_e32 v84, s11, v82
	s_delay_alu instid0(VALU_DEP_1)
	v_add_nc_u32_e32 v86, s11, v84
	s_clause 0x1
	global_load_b128 v[114:117], v78, s[4:5] scale_offset
	global_load_b128 v[118:121], v80, s[4:5] scale_offset
	s_wait_loadcnt 0x13
	scratch_store_b128 off, v[126:129], off offset:224
	s_wait_loadcnt 0x12
	scratch_store_b128 off, v[130:133], off offset:240
	s_clause 0x1
	global_load_b128 v[122:125], v82, s[4:5] scale_offset
	global_load_b128 v[126:129], v84, s[4:5] scale_offset
	s_mov_b32 s11, s57
	global_load_b128 v[130:133], v86, s[4:5] scale_offset
	s_wait_loadcnt 0x14
	scratch_store_b128 off, v[134:137], off offset:256
	s_wait_loadcnt 0x13
	scratch_store_b128 off, v[138:141], off offset:272
	;; [unrolled: 2-line block ×21, first 2 shown]
	s_cbranch_scc1 .LBB36_160
; %bb.4:
	v_cmp_eq_u32_e64 s2, 0, v1
	s_wait_xcnt 0x0
	s_and_saveexec_b32 s3, s2
; %bb.5:
	v_mov_b32_e32 v2, 0
	ds_store_b32 v2, v2 offset:1184
; %bb.6:
	s_or_b32 exec_lo, exec_lo, s3
	s_wait_storecnt_dscnt 0x0
	s_barrier_signal -1
	s_barrier_wait -1
	scratch_load_b128 v[2:5], v1, off scale_offset
	s_wait_loadcnt 0x0
	v_cmp_eq_f64_e32 vcc_lo, 0, v[2:3]
	v_cmp_eq_f64_e64 s3, 0, v[4:5]
	s_and_b32 s3, vcc_lo, s3
	s_delay_alu instid0(SALU_CYCLE_1)
	s_and_saveexec_b32 s50, s3
	s_cbranch_execz .LBB36_10
; %bb.7:
	v_mov_b32_e32 v2, 0
	s_mov_b32 s51, 0
	ds_load_b32 v3, v2 offset:1184
	s_wait_dscnt 0x0
	v_readfirstlane_b32 s3, v3
	v_add_nc_u32_e32 v3, 1, v1
	s_cmp_eq_u32 s3, 0
	s_delay_alu instid0(VALU_DEP_1) | instskip(SKIP_1) | instid1(SALU_CYCLE_1)
	v_cmp_gt_i32_e32 vcc_lo, s3, v3
	s_cselect_b32 s52, -1, 0
	s_or_b32 s52, s52, vcc_lo
	s_delay_alu instid0(SALU_CYCLE_1)
	s_and_b32 exec_lo, exec_lo, s52
	s_cbranch_execz .LBB36_10
; %bb.8:
	v_mov_b32_e32 v4, s3
.LBB36_9:                               ; =>This Inner Loop Header: Depth=1
	ds_cmpstore_rtn_b32 v4, v2, v3, v4 offset:1184
	s_wait_dscnt 0x0
	v_cmp_ne_u32_e32 vcc_lo, 0, v4
	v_cmp_le_i32_e64 s3, v4, v3
	s_and_b32 s3, vcc_lo, s3
	s_delay_alu instid0(SALU_CYCLE_1) | instskip(NEXT) | instid1(SALU_CYCLE_1)
	s_and_b32 s3, exec_lo, s3
	s_or_b32 s51, s3, s51
	s_delay_alu instid0(SALU_CYCLE_1)
	s_and_not1_b32 exec_lo, exec_lo, s51
	s_cbranch_execnz .LBB36_9
.LBB36_10:
	s_or_b32 exec_lo, exec_lo, s50
	v_mov_b32_e32 v2, 0
	s_barrier_signal -1
	s_barrier_wait -1
	ds_load_b32 v3, v2 offset:1184
	s_and_saveexec_b32 s3, s2
	s_cbranch_execz .LBB36_12
; %bb.11:
	s_lshl_b64 s[50:51], s[18:19], 2
	s_delay_alu instid0(SALU_CYCLE_1)
	s_add_nc_u64 s[50:51], s[6:7], s[50:51]
	s_wait_dscnt 0x0
	global_store_b32 v2, v3, s[50:51]
.LBB36_12:
	s_wait_xcnt 0x0
	s_or_b32 exec_lo, exec_lo, s3
	s_wait_dscnt 0x0
	v_cmp_ne_u32_e32 vcc_lo, 0, v3
	s_mov_b32 s3, 0
	s_cbranch_vccnz .LBB36_160
; %bb.13:
	v_lshl_add_u32 v19, v1, 4, 0
                                        ; implicit-def: $vgpr6_vgpr7
                                        ; implicit-def: $vgpr10_vgpr11
	scratch_load_b128 v[2:5], v19, off
	s_wait_loadcnt 0x0
	v_cmp_ngt_f64_e64 s3, |v[2:3]|, |v[4:5]|
	s_wait_xcnt 0x0
	s_and_saveexec_b32 s50, s3
	s_delay_alu instid0(SALU_CYCLE_1)
	s_xor_b32 s3, exec_lo, s50
	s_cbranch_execz .LBB36_15
; %bb.14:
	v_div_scale_f64 v[6:7], null, v[4:5], v[4:5], v[2:3]
	v_div_scale_f64 v[12:13], vcc_lo, v[2:3], v[4:5], v[2:3]
	s_delay_alu instid0(VALU_DEP_2) | instskip(SKIP_1) | instid1(TRANS32_DEP_1)
	v_rcp_f64_e32 v[8:9], v[6:7]
	v_nop
	v_fma_f64 v[10:11], -v[6:7], v[8:9], 1.0
	s_delay_alu instid0(VALU_DEP_1) | instskip(NEXT) | instid1(VALU_DEP_1)
	v_fmac_f64_e32 v[8:9], v[8:9], v[10:11]
	v_fma_f64 v[10:11], -v[6:7], v[8:9], 1.0
	s_delay_alu instid0(VALU_DEP_1) | instskip(NEXT) | instid1(VALU_DEP_1)
	v_fmac_f64_e32 v[8:9], v[8:9], v[10:11]
	v_mul_f64_e32 v[10:11], v[12:13], v[8:9]
	s_delay_alu instid0(VALU_DEP_1) | instskip(NEXT) | instid1(VALU_DEP_1)
	v_fma_f64 v[6:7], -v[6:7], v[10:11], v[12:13]
	v_div_fmas_f64 v[6:7], v[6:7], v[8:9], v[10:11]
	s_delay_alu instid0(VALU_DEP_1) | instskip(NEXT) | instid1(VALU_DEP_1)
	v_div_fixup_f64 v[6:7], v[6:7], v[4:5], v[2:3]
	v_fmac_f64_e32 v[4:5], v[2:3], v[6:7]
	s_delay_alu instid0(VALU_DEP_1) | instskip(SKIP_1) | instid1(VALU_DEP_2)
	v_div_scale_f64 v[2:3], null, v[4:5], v[4:5], 1.0
	v_div_scale_f64 v[12:13], vcc_lo, 1.0, v[4:5], 1.0
	v_rcp_f64_e32 v[8:9], v[2:3]
	v_nop
	s_delay_alu instid0(TRANS32_DEP_1) | instskip(NEXT) | instid1(VALU_DEP_1)
	v_fma_f64 v[10:11], -v[2:3], v[8:9], 1.0
	v_fmac_f64_e32 v[8:9], v[8:9], v[10:11]
	s_delay_alu instid0(VALU_DEP_1) | instskip(NEXT) | instid1(VALU_DEP_1)
	v_fma_f64 v[10:11], -v[2:3], v[8:9], 1.0
	v_fmac_f64_e32 v[8:9], v[8:9], v[10:11]
	s_delay_alu instid0(VALU_DEP_1) | instskip(NEXT) | instid1(VALU_DEP_1)
	v_mul_f64_e32 v[10:11], v[12:13], v[8:9]
	v_fma_f64 v[2:3], -v[2:3], v[10:11], v[12:13]
	s_delay_alu instid0(VALU_DEP_1) | instskip(NEXT) | instid1(VALU_DEP_1)
	v_div_fmas_f64 v[2:3], v[2:3], v[8:9], v[10:11]
	v_div_fixup_f64 v[8:9], v[2:3], v[4:5], 1.0
                                        ; implicit-def: $vgpr2_vgpr3
	s_delay_alu instid0(VALU_DEP_1) | instskip(SKIP_1) | instid1(VALU_DEP_2)
	v_mul_f64_e32 v[6:7], v[6:7], v[8:9]
	v_xor_b32_e32 v9, 0x80000000, v9
	v_xor_b32_e32 v11, 0x80000000, v7
	s_delay_alu instid0(VALU_DEP_3)
	v_mov_b32_e32 v10, v6
.LBB36_15:
	s_and_not1_saveexec_b32 s3, s3
	s_cbranch_execz .LBB36_17
; %bb.16:
	v_div_scale_f64 v[6:7], null, v[2:3], v[2:3], v[4:5]
	v_div_scale_f64 v[12:13], vcc_lo, v[4:5], v[2:3], v[4:5]
	s_delay_alu instid0(VALU_DEP_2) | instskip(SKIP_1) | instid1(TRANS32_DEP_1)
	v_rcp_f64_e32 v[8:9], v[6:7]
	v_nop
	v_fma_f64 v[10:11], -v[6:7], v[8:9], 1.0
	s_delay_alu instid0(VALU_DEP_1) | instskip(NEXT) | instid1(VALU_DEP_1)
	v_fmac_f64_e32 v[8:9], v[8:9], v[10:11]
	v_fma_f64 v[10:11], -v[6:7], v[8:9], 1.0
	s_delay_alu instid0(VALU_DEP_1) | instskip(NEXT) | instid1(VALU_DEP_1)
	v_fmac_f64_e32 v[8:9], v[8:9], v[10:11]
	v_mul_f64_e32 v[10:11], v[12:13], v[8:9]
	s_delay_alu instid0(VALU_DEP_1) | instskip(NEXT) | instid1(VALU_DEP_1)
	v_fma_f64 v[6:7], -v[6:7], v[10:11], v[12:13]
	v_div_fmas_f64 v[6:7], v[6:7], v[8:9], v[10:11]
	s_delay_alu instid0(VALU_DEP_1) | instskip(NEXT) | instid1(VALU_DEP_1)
	v_div_fixup_f64 v[8:9], v[6:7], v[2:3], v[4:5]
	v_fmac_f64_e32 v[2:3], v[4:5], v[8:9]
	s_delay_alu instid0(VALU_DEP_1) | instskip(NEXT) | instid1(VALU_DEP_1)
	v_div_scale_f64 v[4:5], null, v[2:3], v[2:3], 1.0
	v_rcp_f64_e32 v[6:7], v[4:5]
	v_nop
	s_delay_alu instid0(TRANS32_DEP_1) | instskip(NEXT) | instid1(VALU_DEP_1)
	v_fma_f64 v[10:11], -v[4:5], v[6:7], 1.0
	v_fmac_f64_e32 v[6:7], v[6:7], v[10:11]
	s_delay_alu instid0(VALU_DEP_1) | instskip(NEXT) | instid1(VALU_DEP_1)
	v_fma_f64 v[10:11], -v[4:5], v[6:7], 1.0
	v_fmac_f64_e32 v[6:7], v[6:7], v[10:11]
	v_div_scale_f64 v[10:11], vcc_lo, 1.0, v[2:3], 1.0
	s_delay_alu instid0(VALU_DEP_1) | instskip(NEXT) | instid1(VALU_DEP_1)
	v_mul_f64_e32 v[12:13], v[10:11], v[6:7]
	v_fma_f64 v[4:5], -v[4:5], v[12:13], v[10:11]
	s_delay_alu instid0(VALU_DEP_1) | instskip(NEXT) | instid1(VALU_DEP_1)
	v_div_fmas_f64 v[4:5], v[4:5], v[6:7], v[12:13]
	v_div_fixup_f64 v[6:7], v[4:5], v[2:3], 1.0
	s_delay_alu instid0(VALU_DEP_1)
	v_mul_f64_e64 v[8:9], v[8:9], -v[6:7]
	v_xor_b32_e32 v11, 0x80000000, v7
	v_mov_b32_e32 v10, v6
.LBB36_17:
	s_or_b32 exec_lo, exec_lo, s3
	s_clause 0x1
	scratch_store_b128 v19, v[6:9], off
	scratch_load_b128 v[2:5], off, s31
	v_xor_b32_e32 v13, 0x80000000, v9
	v_mov_b32_e32 v12, v8
	s_wait_xcnt 0x1
	v_add_nc_u32_e32 v6, 0x250, v88
	ds_store_b128 v88, v[10:13]
	s_wait_loadcnt 0x0
	ds_store_b128 v88, v[2:5] offset:592
	s_wait_storecnt_dscnt 0x0
	s_barrier_signal -1
	s_barrier_wait -1
	s_wait_xcnt 0x0
	s_and_saveexec_b32 s3, s2
	s_cbranch_execz .LBB36_19
; %bb.18:
	scratch_load_b128 v[2:5], v19, off
	ds_load_b128 v[8:11], v6
	v_mov_b32_e32 v7, 0
	ds_load_b128 v[90:93], v7 offset:16
	s_wait_loadcnt_dscnt 0x1
	v_mul_f64_e32 v[12:13], v[8:9], v[4:5]
	v_mul_f64_e32 v[4:5], v[10:11], v[4:5]
	s_delay_alu instid0(VALU_DEP_2) | instskip(NEXT) | instid1(VALU_DEP_2)
	v_fmac_f64_e32 v[12:13], v[10:11], v[2:3]
	v_fma_f64 v[2:3], v[8:9], v[2:3], -v[4:5]
	s_delay_alu instid0(VALU_DEP_2) | instskip(NEXT) | instid1(VALU_DEP_2)
	v_add_f64_e32 v[8:9], 0, v[12:13]
	v_add_f64_e32 v[2:3], 0, v[2:3]
	s_wait_dscnt 0x0
	s_delay_alu instid0(VALU_DEP_2) | instskip(NEXT) | instid1(VALU_DEP_2)
	v_mul_f64_e32 v[10:11], v[8:9], v[92:93]
	v_mul_f64_e32 v[4:5], v[2:3], v[92:93]
	s_delay_alu instid0(VALU_DEP_2) | instskip(NEXT) | instid1(VALU_DEP_2)
	v_fma_f64 v[2:3], v[2:3], v[90:91], -v[10:11]
	v_fmac_f64_e32 v[4:5], v[8:9], v[90:91]
	scratch_store_b128 off, v[2:5], off offset:16
.LBB36_19:
	s_wait_xcnt 0x0
	s_or_b32 exec_lo, exec_lo, s3
	s_wait_storecnt 0x0
	s_barrier_signal -1
	s_barrier_wait -1
	scratch_load_b128 v[2:5], off, s26
	s_mov_b32 s3, exec_lo
	s_wait_loadcnt 0x0
	ds_store_b128 v6, v[2:5]
	s_wait_dscnt 0x0
	s_barrier_signal -1
	s_barrier_wait -1
	v_cmpx_gt_u32_e32 2, v1
	s_cbranch_execz .LBB36_23
; %bb.20:
	scratch_load_b128 v[2:5], v19, off
	ds_load_b128 v[8:11], v6
	s_wait_loadcnt_dscnt 0x0
	v_mul_f64_e32 v[12:13], v[10:11], v[4:5]
	v_mul_f64_e32 v[90:91], v[8:9], v[4:5]
	s_delay_alu instid0(VALU_DEP_2) | instskip(NEXT) | instid1(VALU_DEP_2)
	v_fma_f64 v[4:5], v[8:9], v[2:3], -v[12:13]
	v_fmac_f64_e32 v[90:91], v[10:11], v[2:3]
	s_delay_alu instid0(VALU_DEP_2) | instskip(NEXT) | instid1(VALU_DEP_2)
	v_add_f64_e32 v[4:5], 0, v[4:5]
	v_add_f64_e32 v[2:3], 0, v[90:91]
	s_and_saveexec_b32 s50, s2
	s_cbranch_execz .LBB36_22
; %bb.21:
	scratch_load_b128 v[8:11], off, off offset:16
	v_mov_b32_e32 v7, 0
	ds_load_b128 v[90:93], v7 offset:608
	s_wait_loadcnt_dscnt 0x0
	v_mul_f64_e32 v[12:13], v[90:91], v[10:11]
	v_mul_f64_e32 v[10:11], v[92:93], v[10:11]
	s_delay_alu instid0(VALU_DEP_2) | instskip(NEXT) | instid1(VALU_DEP_2)
	v_fmac_f64_e32 v[12:13], v[92:93], v[8:9]
	v_fma_f64 v[8:9], v[90:91], v[8:9], -v[10:11]
	s_delay_alu instid0(VALU_DEP_2) | instskip(NEXT) | instid1(VALU_DEP_2)
	v_add_f64_e32 v[2:3], v[2:3], v[12:13]
	v_add_f64_e32 v[4:5], v[4:5], v[8:9]
.LBB36_22:
	s_or_b32 exec_lo, exec_lo, s50
	v_mov_b32_e32 v7, 0
	ds_load_b128 v[8:11], v7 offset:32
	s_wait_dscnt 0x0
	v_mul_f64_e32 v[90:91], v[2:3], v[10:11]
	v_mul_f64_e32 v[12:13], v[4:5], v[10:11]
	s_delay_alu instid0(VALU_DEP_2) | instskip(NEXT) | instid1(VALU_DEP_2)
	v_fma_f64 v[10:11], v[4:5], v[8:9], -v[90:91]
	v_fmac_f64_e32 v[12:13], v[2:3], v[8:9]
	scratch_store_b128 off, v[10:13], off offset:32
.LBB36_23:
	s_wait_xcnt 0x0
	s_or_b32 exec_lo, exec_lo, s3
	s_wait_storecnt 0x0
	s_barrier_signal -1
	s_barrier_wait -1
	scratch_load_b128 v[2:5], off, s28
	v_add_nc_u32_e32 v7, -1, v1
	s_mov_b32 s2, exec_lo
	s_wait_loadcnt 0x0
	ds_store_b128 v6, v[2:5]
	s_wait_dscnt 0x0
	s_barrier_signal -1
	s_barrier_wait -1
	v_cmpx_gt_u32_e32 3, v1
	s_cbranch_execz .LBB36_27
; %bb.24:
	v_dual_mov_b32 v10, v88 :: v_dual_add_nc_u32 v8, -1, v1
	v_mov_b64_e32 v[2:3], 0
	v_mov_b64_e32 v[4:5], 0
	v_add_nc_u32_e32 v9, 0x250, v88
	s_delay_alu instid0(VALU_DEP_4)
	v_or_b32_e32 v10, 8, v10
	s_mov_b32 s3, 0
.LBB36_25:                              ; =>This Inner Loop Header: Depth=1
	scratch_load_b128 v[90:93], v10, off offset:-8
	ds_load_b128 v[94:97], v9
	s_wait_xcnt 0x0
	v_dual_add_nc_u32 v9, 16, v9 :: v_dual_add_nc_u32 v10, 16, v10
	v_add_nc_u32_e32 v8, 1, v8
	s_delay_alu instid0(VALU_DEP_1) | instskip(SKIP_4) | instid1(VALU_DEP_2)
	v_cmp_lt_u32_e32 vcc_lo, 1, v8
	s_or_b32 s3, vcc_lo, s3
	s_wait_loadcnt_dscnt 0x0
	v_mul_f64_e32 v[12:13], v[96:97], v[92:93]
	v_mul_f64_e32 v[92:93], v[94:95], v[92:93]
	v_fma_f64 v[12:13], v[94:95], v[90:91], -v[12:13]
	s_delay_alu instid0(VALU_DEP_2) | instskip(NEXT) | instid1(VALU_DEP_2)
	v_fmac_f64_e32 v[92:93], v[96:97], v[90:91]
	v_add_f64_e32 v[4:5], v[4:5], v[12:13]
	s_delay_alu instid0(VALU_DEP_2)
	v_add_f64_e32 v[2:3], v[2:3], v[92:93]
	s_and_not1_b32 exec_lo, exec_lo, s3
	s_cbranch_execnz .LBB36_25
; %bb.26:
	s_or_b32 exec_lo, exec_lo, s3
	v_mov_b32_e32 v8, 0
	ds_load_b128 v[8:11], v8 offset:48
	s_wait_dscnt 0x0
	v_mul_f64_e32 v[90:91], v[2:3], v[10:11]
	v_mul_f64_e32 v[12:13], v[4:5], v[10:11]
	s_delay_alu instid0(VALU_DEP_2) | instskip(NEXT) | instid1(VALU_DEP_2)
	v_fma_f64 v[10:11], v[4:5], v[8:9], -v[90:91]
	v_fmac_f64_e32 v[12:13], v[2:3], v[8:9]
	scratch_store_b128 off, v[10:13], off offset:48
.LBB36_27:
	s_wait_xcnt 0x0
	s_or_b32 exec_lo, exec_lo, s2
	s_wait_storecnt 0x0
	s_barrier_signal -1
	s_barrier_wait -1
	scratch_load_b128 v[2:5], off, s30
	s_mov_b32 s2, exec_lo
	s_wait_loadcnt 0x0
	ds_store_b128 v6, v[2:5]
	s_wait_dscnt 0x0
	s_barrier_signal -1
	s_barrier_wait -1
	v_cmpx_gt_u32_e32 4, v1
	s_cbranch_execz .LBB36_31
; %bb.28:
	v_dual_mov_b32 v10, v88 :: v_dual_add_nc_u32 v8, -1, v1
	v_mov_b64_e32 v[2:3], 0
	v_mov_b64_e32 v[4:5], 0
	v_add_nc_u32_e32 v9, 0x250, v88
	s_delay_alu instid0(VALU_DEP_4)
	v_or_b32_e32 v10, 8, v10
	s_mov_b32 s3, 0
.LBB36_29:                              ; =>This Inner Loop Header: Depth=1
	scratch_load_b128 v[90:93], v10, off offset:-8
	ds_load_b128 v[94:97], v9
	s_wait_xcnt 0x0
	v_dual_add_nc_u32 v9, 16, v9 :: v_dual_add_nc_u32 v10, 16, v10
	v_add_nc_u32_e32 v8, 1, v8
	s_delay_alu instid0(VALU_DEP_1) | instskip(SKIP_4) | instid1(VALU_DEP_2)
	v_cmp_lt_u32_e32 vcc_lo, 2, v8
	s_or_b32 s3, vcc_lo, s3
	s_wait_loadcnt_dscnt 0x0
	v_mul_f64_e32 v[12:13], v[96:97], v[92:93]
	v_mul_f64_e32 v[92:93], v[94:95], v[92:93]
	v_fma_f64 v[12:13], v[94:95], v[90:91], -v[12:13]
	s_delay_alu instid0(VALU_DEP_2) | instskip(NEXT) | instid1(VALU_DEP_2)
	v_fmac_f64_e32 v[92:93], v[96:97], v[90:91]
	v_add_f64_e32 v[4:5], v[4:5], v[12:13]
	s_delay_alu instid0(VALU_DEP_2)
	v_add_f64_e32 v[2:3], v[2:3], v[92:93]
	s_and_not1_b32 exec_lo, exec_lo, s3
	s_cbranch_execnz .LBB36_29
; %bb.30:
	s_or_b32 exec_lo, exec_lo, s3
	v_mov_b32_e32 v8, 0
	ds_load_b128 v[8:11], v8 offset:64
	s_wait_dscnt 0x0
	v_mul_f64_e32 v[90:91], v[2:3], v[10:11]
	v_mul_f64_e32 v[12:13], v[4:5], v[10:11]
	s_delay_alu instid0(VALU_DEP_2) | instskip(NEXT) | instid1(VALU_DEP_2)
	v_fma_f64 v[10:11], v[4:5], v[8:9], -v[90:91]
	v_fmac_f64_e32 v[12:13], v[2:3], v[8:9]
	scratch_store_b128 off, v[10:13], off offset:64
.LBB36_31:
	s_wait_xcnt 0x0
	s_or_b32 exec_lo, exec_lo, s2
	s_wait_storecnt 0x0
	s_barrier_signal -1
	s_barrier_wait -1
	scratch_load_b128 v[2:5], off, s40
	;; [unrolled: 54-line block ×19, first 2 shown]
	s_mov_b32 s2, exec_lo
	s_wait_loadcnt 0x0
	ds_store_b128 v6, v[2:5]
	s_wait_dscnt 0x0
	s_barrier_signal -1
	s_barrier_wait -1
	v_cmpx_gt_u32_e32 22, v1
	s_cbranch_execz .LBB36_103
; %bb.100:
	v_dual_mov_b32 v10, v88 :: v_dual_add_nc_u32 v8, -1, v1
	v_mov_b64_e32 v[2:3], 0
	v_mov_b64_e32 v[4:5], 0
	v_add_nc_u32_e32 v9, 0x250, v88
	s_delay_alu instid0(VALU_DEP_4)
	v_or_b32_e32 v10, 8, v10
	s_mov_b32 s3, 0
.LBB36_101:                             ; =>This Inner Loop Header: Depth=1
	scratch_load_b128 v[90:93], v10, off offset:-8
	ds_load_b128 v[94:97], v9
	s_wait_xcnt 0x0
	v_dual_add_nc_u32 v9, 16, v9 :: v_dual_add_nc_u32 v10, 16, v10
	v_add_nc_u32_e32 v8, 1, v8
	s_delay_alu instid0(VALU_DEP_1) | instskip(SKIP_4) | instid1(VALU_DEP_2)
	v_cmp_lt_u32_e32 vcc_lo, 20, v8
	s_or_b32 s3, vcc_lo, s3
	s_wait_loadcnt_dscnt 0x0
	v_mul_f64_e32 v[12:13], v[96:97], v[92:93]
	v_mul_f64_e32 v[92:93], v[94:95], v[92:93]
	v_fma_f64 v[12:13], v[94:95], v[90:91], -v[12:13]
	s_delay_alu instid0(VALU_DEP_2) | instskip(NEXT) | instid1(VALU_DEP_2)
	v_fmac_f64_e32 v[92:93], v[96:97], v[90:91]
	v_add_f64_e32 v[4:5], v[4:5], v[12:13]
	s_delay_alu instid0(VALU_DEP_2)
	v_add_f64_e32 v[2:3], v[2:3], v[92:93]
	s_and_not1_b32 exec_lo, exec_lo, s3
	s_cbranch_execnz .LBB36_101
; %bb.102:
	s_or_b32 exec_lo, exec_lo, s3
	v_mov_b32_e32 v8, 0
	ds_load_b128 v[8:11], v8 offset:352
	s_wait_dscnt 0x0
	v_mul_f64_e32 v[90:91], v[2:3], v[10:11]
	v_mul_f64_e32 v[12:13], v[4:5], v[10:11]
	s_delay_alu instid0(VALU_DEP_2) | instskip(NEXT) | instid1(VALU_DEP_2)
	v_fma_f64 v[10:11], v[4:5], v[8:9], -v[90:91]
	v_fmac_f64_e32 v[12:13], v[2:3], v[8:9]
	scratch_store_b128 off, v[10:13], off offset:352
.LBB36_103:
	s_wait_xcnt 0x0
	s_or_b32 exec_lo, exec_lo, s2
	s_wait_storecnt 0x0
	s_barrier_signal -1
	s_barrier_wait -1
	scratch_load_b128 v[2:5], off, s24
	s_mov_b32 s2, exec_lo
	s_wait_loadcnt 0x0
	ds_store_b128 v6, v[2:5]
	s_wait_dscnt 0x0
	s_barrier_signal -1
	s_barrier_wait -1
	v_cmpx_gt_u32_e32 23, v1
	s_cbranch_execz .LBB36_107
; %bb.104:
	v_dual_mov_b32 v10, v88 :: v_dual_add_nc_u32 v8, -1, v1
	v_mov_b64_e32 v[2:3], 0
	v_mov_b64_e32 v[4:5], 0
	v_add_nc_u32_e32 v9, 0x250, v88
	s_delay_alu instid0(VALU_DEP_4)
	v_or_b32_e32 v10, 8, v10
	s_mov_b32 s3, 0
.LBB36_105:                             ; =>This Inner Loop Header: Depth=1
	scratch_load_b128 v[90:93], v10, off offset:-8
	ds_load_b128 v[94:97], v9
	s_wait_xcnt 0x0
	v_dual_add_nc_u32 v9, 16, v9 :: v_dual_add_nc_u32 v10, 16, v10
	v_add_nc_u32_e32 v8, 1, v8
	s_delay_alu instid0(VALU_DEP_1) | instskip(SKIP_4) | instid1(VALU_DEP_2)
	v_cmp_lt_u32_e32 vcc_lo, 21, v8
	s_or_b32 s3, vcc_lo, s3
	s_wait_loadcnt_dscnt 0x0
	v_mul_f64_e32 v[12:13], v[96:97], v[92:93]
	v_mul_f64_e32 v[92:93], v[94:95], v[92:93]
	v_fma_f64 v[12:13], v[94:95], v[90:91], -v[12:13]
	s_delay_alu instid0(VALU_DEP_2) | instskip(NEXT) | instid1(VALU_DEP_2)
	v_fmac_f64_e32 v[92:93], v[96:97], v[90:91]
	v_add_f64_e32 v[4:5], v[4:5], v[12:13]
	s_delay_alu instid0(VALU_DEP_2)
	v_add_f64_e32 v[2:3], v[2:3], v[92:93]
	s_and_not1_b32 exec_lo, exec_lo, s3
	s_cbranch_execnz .LBB36_105
; %bb.106:
	s_or_b32 exec_lo, exec_lo, s3
	v_mov_b32_e32 v8, 0
	ds_load_b128 v[8:11], v8 offset:368
	s_wait_dscnt 0x0
	v_mul_f64_e32 v[90:91], v[2:3], v[10:11]
	v_mul_f64_e32 v[12:13], v[4:5], v[10:11]
	s_delay_alu instid0(VALU_DEP_2) | instskip(NEXT) | instid1(VALU_DEP_2)
	v_fma_f64 v[10:11], v[4:5], v[8:9], -v[90:91]
	v_fmac_f64_e32 v[12:13], v[2:3], v[8:9]
	scratch_store_b128 off, v[10:13], off offset:368
.LBB36_107:
	s_wait_xcnt 0x0
	s_or_b32 exec_lo, exec_lo, s2
	s_wait_storecnt 0x0
	s_barrier_signal -1
	s_barrier_wait -1
	scratch_load_b128 v[2:5], off, s25
	;; [unrolled: 54-line block ×14, first 2 shown]
	s_mov_b32 s2, exec_lo
	s_wait_loadcnt 0x0
	ds_store_b128 v6, v[2:5]
	s_wait_dscnt 0x0
	s_barrier_signal -1
	s_barrier_wait -1
	v_cmpx_ne_u32_e32 36, v1
	s_cbranch_execz .LBB36_159
; %bb.156:
	v_mov_b32_e32 v8, v88
	v_mov_b64_e32 v[2:3], 0
	v_mov_b64_e32 v[4:5], 0
	s_mov_b32 s3, 0
	s_delay_alu instid0(VALU_DEP_3)
	v_or_b32_e32 v8, 8, v8
.LBB36_157:                             ; =>This Inner Loop Header: Depth=1
	scratch_load_b128 v[10:13], v8, off offset:-8
	ds_load_b128 v[88:91], v6
	v_dual_add_nc_u32 v7, 1, v7 :: v_dual_add_nc_u32 v6, 16, v6
	s_wait_xcnt 0x0
	v_add_nc_u32_e32 v8, 16, v8
	s_delay_alu instid0(VALU_DEP_2) | instskip(SKIP_4) | instid1(VALU_DEP_2)
	v_cmp_lt_u32_e32 vcc_lo, 34, v7
	s_or_b32 s3, vcc_lo, s3
	s_wait_loadcnt_dscnt 0x0
	v_mul_f64_e32 v[92:93], v[90:91], v[12:13]
	v_mul_f64_e32 v[12:13], v[88:89], v[12:13]
	v_fma_f64 v[88:89], v[88:89], v[10:11], -v[92:93]
	s_delay_alu instid0(VALU_DEP_2) | instskip(NEXT) | instid1(VALU_DEP_2)
	v_fmac_f64_e32 v[12:13], v[90:91], v[10:11]
	v_add_f64_e32 v[4:5], v[4:5], v[88:89]
	s_delay_alu instid0(VALU_DEP_2)
	v_add_f64_e32 v[2:3], v[2:3], v[12:13]
	s_and_not1_b32 exec_lo, exec_lo, s3
	s_cbranch_execnz .LBB36_157
; %bb.158:
	s_or_b32 exec_lo, exec_lo, s3
	v_mov_b32_e32 v6, 0
	ds_load_b128 v[6:9], v6 offset:576
	s_wait_dscnt 0x0
	v_mul_f64_e32 v[12:13], v[2:3], v[8:9]
	v_mul_f64_e32 v[10:11], v[4:5], v[8:9]
	s_delay_alu instid0(VALU_DEP_2) | instskip(NEXT) | instid1(VALU_DEP_2)
	v_fma_f64 v[8:9], v[4:5], v[6:7], -v[12:13]
	v_fmac_f64_e32 v[10:11], v[2:3], v[6:7]
	scratch_store_b128 off, v[8:11], off offset:576
.LBB36_159:
	s_wait_xcnt 0x0
	s_or_b32 exec_lo, exec_lo, s2
	s_mov_b32 s3, -1
	s_wait_storecnt 0x0
	s_barrier_signal -1
	s_barrier_wait -1
.LBB36_160:
	s_and_b32 vcc_lo, exec_lo, s3
	s_cbranch_vccz .LBB36_162
; %bb.161:
	s_wait_xcnt 0xe
	v_mov_b32_e32 v2, 0
	s_lshl_b64 s[2:3], s[18:19], 2
	s_delay_alu instid0(SALU_CYCLE_1)
	s_add_nc_u64 s[2:3], s[6:7], s[2:3]
	global_load_b32 v2, v2, s[2:3]
	s_wait_loadcnt 0x0
	v_cmp_ne_u32_e32 vcc_lo, 0, v2
	s_cbranch_vccz .LBB36_163
.LBB36_162:
	s_sendmsg sendmsg(MSG_DEALLOC_VGPRS)
	s_endpgm
.LBB36_163:
	s_wait_xcnt 0xe
	v_lshl_add_u32 v6, v1, 4, 0x250
	s_wait_xcnt 0x0
	s_mov_b32 s2, exec_lo
	v_cmpx_eq_u32_e32 36, v1
	s_cbranch_execz .LBB36_165
; %bb.164:
	scratch_load_b128 v[2:5], off, s13
	v_mov_b32_e32 v8, 0
	s_delay_alu instid0(VALU_DEP_1)
	v_dual_mov_b32 v9, v8 :: v_dual_mov_b32 v10, v8
	v_mov_b32_e32 v11, v8
	scratch_store_b128 off, v[8:11], off offset:560
	s_wait_loadcnt 0x0
	ds_store_b128 v6, v[2:5]
.LBB36_165:
	s_wait_xcnt 0x0
	s_or_b32 exec_lo, exec_lo, s2
	s_wait_storecnt_dscnt 0x0
	s_barrier_signal -1
	s_barrier_wait -1
	s_clause 0x1
	scratch_load_b128 v[8:11], off, off offset:576
	scratch_load_b128 v[88:91], off, off offset:560
	v_mov_b32_e32 v2, 0
	s_mov_b32 s2, exec_lo
	ds_load_b128 v[92:95], v2 offset:1168
	s_wait_loadcnt_dscnt 0x100
	v_mul_f64_e32 v[4:5], v[94:95], v[10:11]
	v_mul_f64_e32 v[10:11], v[92:93], v[10:11]
	s_delay_alu instid0(VALU_DEP_2) | instskip(NEXT) | instid1(VALU_DEP_2)
	v_fma_f64 v[4:5], v[92:93], v[8:9], -v[4:5]
	v_fmac_f64_e32 v[10:11], v[94:95], v[8:9]
	s_delay_alu instid0(VALU_DEP_2) | instskip(NEXT) | instid1(VALU_DEP_2)
	v_add_f64_e32 v[4:5], 0, v[4:5]
	v_add_f64_e32 v[10:11], 0, v[10:11]
	s_wait_loadcnt 0x0
	s_delay_alu instid0(VALU_DEP_2) | instskip(NEXT) | instid1(VALU_DEP_2)
	v_add_f64_e64 v[8:9], v[88:89], -v[4:5]
	v_add_f64_e64 v[10:11], v[90:91], -v[10:11]
	scratch_store_b128 off, v[8:11], off offset:560
	s_wait_xcnt 0x0
	v_cmpx_lt_u32_e32 34, v1
	s_cbranch_execz .LBB36_167
; %bb.166:
	scratch_load_b128 v[8:11], off, s21
	v_dual_mov_b32 v3, v2 :: v_dual_mov_b32 v4, v2
	v_mov_b32_e32 v5, v2
	scratch_store_b128 off, v[2:5], off offset:544
	s_wait_loadcnt 0x0
	ds_store_b128 v6, v[8:11]
.LBB36_167:
	s_wait_xcnt 0x0
	s_or_b32 exec_lo, exec_lo, s2
	s_wait_storecnt_dscnt 0x0
	s_barrier_signal -1
	s_barrier_wait -1
	s_clause 0x2
	scratch_load_b128 v[8:11], off, off offset:560
	scratch_load_b128 v[88:91], off, off offset:576
	;; [unrolled: 1-line block ×3, first 2 shown]
	ds_load_b128 v[96:99], v2 offset:1152
	ds_load_b128 v[2:5], v2 offset:1168
	s_mov_b32 s2, exec_lo
	s_wait_loadcnt_dscnt 0x201
	v_mul_f64_e32 v[12:13], v[98:99], v[10:11]
	v_mul_f64_e32 v[10:11], v[96:97], v[10:11]
	s_wait_loadcnt_dscnt 0x100
	v_mul_f64_e32 v[100:101], v[2:3], v[90:91]
	v_mul_f64_e32 v[90:91], v[4:5], v[90:91]
	s_delay_alu instid0(VALU_DEP_4) | instskip(NEXT) | instid1(VALU_DEP_4)
	v_fma_f64 v[12:13], v[96:97], v[8:9], -v[12:13]
	v_fmac_f64_e32 v[10:11], v[98:99], v[8:9]
	s_delay_alu instid0(VALU_DEP_4) | instskip(NEXT) | instid1(VALU_DEP_4)
	v_fmac_f64_e32 v[100:101], v[4:5], v[88:89]
	v_fma_f64 v[2:3], v[2:3], v[88:89], -v[90:91]
	s_delay_alu instid0(VALU_DEP_4) | instskip(NEXT) | instid1(VALU_DEP_4)
	v_add_f64_e32 v[4:5], 0, v[12:13]
	v_add_f64_e32 v[8:9], 0, v[10:11]
	s_delay_alu instid0(VALU_DEP_2) | instskip(NEXT) | instid1(VALU_DEP_2)
	v_add_f64_e32 v[2:3], v[4:5], v[2:3]
	v_add_f64_e32 v[4:5], v[8:9], v[100:101]
	s_wait_loadcnt 0x0
	s_delay_alu instid0(VALU_DEP_2) | instskip(NEXT) | instid1(VALU_DEP_2)
	v_add_f64_e64 v[2:3], v[92:93], -v[2:3]
	v_add_f64_e64 v[4:5], v[94:95], -v[4:5]
	scratch_store_b128 off, v[2:5], off offset:544
	s_wait_xcnt 0x0
	v_cmpx_lt_u32_e32 33, v1
	s_cbranch_execz .LBB36_169
; %bb.168:
	scratch_load_b128 v[2:5], off, s8
	v_mov_b32_e32 v8, 0
	s_delay_alu instid0(VALU_DEP_1)
	v_dual_mov_b32 v9, v8 :: v_dual_mov_b32 v10, v8
	v_mov_b32_e32 v11, v8
	scratch_store_b128 off, v[8:11], off offset:528
	s_wait_loadcnt 0x0
	ds_store_b128 v6, v[2:5]
.LBB36_169:
	s_wait_xcnt 0x0
	s_or_b32 exec_lo, exec_lo, s2
	s_wait_storecnt_dscnt 0x0
	s_barrier_signal -1
	s_barrier_wait -1
	s_clause 0x3
	scratch_load_b128 v[8:11], off, off offset:544
	scratch_load_b128 v[88:91], off, off offset:560
	;; [unrolled: 1-line block ×4, first 2 shown]
	v_mov_b32_e32 v2, 0
	ds_load_b128 v[100:103], v2 offset:1136
	ds_load_b128 v[104:107], v2 offset:1152
	s_mov_b32 s2, exec_lo
	s_wait_loadcnt_dscnt 0x301
	v_mul_f64_e32 v[4:5], v[102:103], v[10:11]
	v_mul_f64_e32 v[12:13], v[100:101], v[10:11]
	s_wait_loadcnt_dscnt 0x200
	v_mul_f64_e32 v[108:109], v[104:105], v[90:91]
	v_mul_f64_e32 v[90:91], v[106:107], v[90:91]
	s_delay_alu instid0(VALU_DEP_4) | instskip(NEXT) | instid1(VALU_DEP_4)
	v_fma_f64 v[4:5], v[100:101], v[8:9], -v[4:5]
	v_fmac_f64_e32 v[12:13], v[102:103], v[8:9]
	ds_load_b128 v[8:11], v2 offset:1168
	v_fmac_f64_e32 v[108:109], v[106:107], v[88:89]
	v_fma_f64 v[88:89], v[104:105], v[88:89], -v[90:91]
	s_wait_loadcnt_dscnt 0x100
	v_mul_f64_e32 v[100:101], v[8:9], v[94:95]
	v_mul_f64_e32 v[94:95], v[10:11], v[94:95]
	v_add_f64_e32 v[4:5], 0, v[4:5]
	v_add_f64_e32 v[12:13], 0, v[12:13]
	s_delay_alu instid0(VALU_DEP_4) | instskip(NEXT) | instid1(VALU_DEP_4)
	v_fmac_f64_e32 v[100:101], v[10:11], v[92:93]
	v_fma_f64 v[8:9], v[8:9], v[92:93], -v[94:95]
	s_delay_alu instid0(VALU_DEP_4) | instskip(NEXT) | instid1(VALU_DEP_4)
	v_add_f64_e32 v[4:5], v[4:5], v[88:89]
	v_add_f64_e32 v[10:11], v[12:13], v[108:109]
	s_delay_alu instid0(VALU_DEP_2) | instskip(NEXT) | instid1(VALU_DEP_2)
	v_add_f64_e32 v[4:5], v[4:5], v[8:9]
	v_add_f64_e32 v[10:11], v[10:11], v[100:101]
	s_wait_loadcnt 0x0
	s_delay_alu instid0(VALU_DEP_2) | instskip(NEXT) | instid1(VALU_DEP_2)
	v_add_f64_e64 v[8:9], v[96:97], -v[4:5]
	v_add_f64_e64 v[10:11], v[98:99], -v[10:11]
	scratch_store_b128 off, v[8:11], off offset:528
	s_wait_xcnt 0x0
	v_cmpx_lt_u32_e32 32, v1
	s_cbranch_execz .LBB36_171
; %bb.170:
	scratch_load_b128 v[8:11], off, s10
	v_dual_mov_b32 v3, v2 :: v_dual_mov_b32 v4, v2
	v_mov_b32_e32 v5, v2
	scratch_store_b128 off, v[2:5], off offset:512
	s_wait_loadcnt 0x0
	ds_store_b128 v6, v[8:11]
.LBB36_171:
	s_wait_xcnt 0x0
	s_or_b32 exec_lo, exec_lo, s2
	s_wait_storecnt_dscnt 0x0
	s_barrier_signal -1
	s_barrier_wait -1
	s_clause 0x4
	scratch_load_b128 v[8:11], off, off offset:528
	scratch_load_b128 v[88:91], off, off offset:544
	;; [unrolled: 1-line block ×5, first 2 shown]
	ds_load_b128 v[104:107], v2 offset:1120
	ds_load_b128 v[108:111], v2 offset:1136
	s_mov_b32 s2, exec_lo
	s_wait_loadcnt_dscnt 0x401
	v_mul_f64_e32 v[4:5], v[106:107], v[10:11]
	v_mul_f64_e32 v[12:13], v[104:105], v[10:11]
	s_wait_loadcnt_dscnt 0x300
	v_mul_f64_e32 v[112:113], v[108:109], v[90:91]
	v_mul_f64_e32 v[90:91], v[110:111], v[90:91]
	s_delay_alu instid0(VALU_DEP_4) | instskip(NEXT) | instid1(VALU_DEP_4)
	v_fma_f64 v[104:105], v[104:105], v[8:9], -v[4:5]
	v_fmac_f64_e32 v[12:13], v[106:107], v[8:9]
	ds_load_b128 v[8:11], v2 offset:1152
	ds_load_b128 v[2:5], v2 offset:1168
	v_fmac_f64_e32 v[112:113], v[110:111], v[88:89]
	v_fma_f64 v[88:89], v[108:109], v[88:89], -v[90:91]
	s_wait_loadcnt_dscnt 0x201
	v_mul_f64_e32 v[106:107], v[8:9], v[94:95]
	v_mul_f64_e32 v[94:95], v[10:11], v[94:95]
	v_add_f64_e32 v[90:91], 0, v[104:105]
	v_add_f64_e32 v[12:13], 0, v[12:13]
	s_wait_loadcnt_dscnt 0x100
	v_mul_f64_e32 v[104:105], v[2:3], v[98:99]
	v_mul_f64_e32 v[98:99], v[4:5], v[98:99]
	v_fmac_f64_e32 v[106:107], v[10:11], v[92:93]
	v_fma_f64 v[8:9], v[8:9], v[92:93], -v[94:95]
	v_add_f64_e32 v[10:11], v[90:91], v[88:89]
	v_add_f64_e32 v[12:13], v[12:13], v[112:113]
	v_fmac_f64_e32 v[104:105], v[4:5], v[96:97]
	v_fma_f64 v[2:3], v[2:3], v[96:97], -v[98:99]
	s_delay_alu instid0(VALU_DEP_4) | instskip(NEXT) | instid1(VALU_DEP_4)
	v_add_f64_e32 v[4:5], v[10:11], v[8:9]
	v_add_f64_e32 v[8:9], v[12:13], v[106:107]
	s_delay_alu instid0(VALU_DEP_2) | instskip(NEXT) | instid1(VALU_DEP_2)
	v_add_f64_e32 v[2:3], v[4:5], v[2:3]
	v_add_f64_e32 v[4:5], v[8:9], v[104:105]
	s_wait_loadcnt 0x0
	s_delay_alu instid0(VALU_DEP_2) | instskip(NEXT) | instid1(VALU_DEP_2)
	v_add_f64_e64 v[2:3], v[100:101], -v[2:3]
	v_add_f64_e64 v[4:5], v[102:103], -v[4:5]
	scratch_store_b128 off, v[2:5], off offset:512
	s_wait_xcnt 0x0
	v_cmpx_lt_u32_e32 31, v1
	s_cbranch_execz .LBB36_173
; %bb.172:
	scratch_load_b128 v[2:5], off, s9
	v_mov_b32_e32 v8, 0
	s_delay_alu instid0(VALU_DEP_1)
	v_dual_mov_b32 v9, v8 :: v_dual_mov_b32 v10, v8
	v_mov_b32_e32 v11, v8
	scratch_store_b128 off, v[8:11], off offset:496
	s_wait_loadcnt 0x0
	ds_store_b128 v6, v[2:5]
.LBB36_173:
	s_wait_xcnt 0x0
	s_or_b32 exec_lo, exec_lo, s2
	s_wait_storecnt_dscnt 0x0
	s_barrier_signal -1
	s_barrier_wait -1
	s_clause 0x5
	scratch_load_b128 v[8:11], off, off offset:512
	scratch_load_b128 v[88:91], off, off offset:528
	;; [unrolled: 1-line block ×6, first 2 shown]
	v_mov_b32_e32 v2, 0
	ds_load_b128 v[108:111], v2 offset:1104
	ds_load_b128 v[112:115], v2 offset:1120
	s_mov_b32 s2, exec_lo
	s_wait_loadcnt_dscnt 0x501
	v_mul_f64_e32 v[4:5], v[110:111], v[10:11]
	v_mul_f64_e32 v[12:13], v[108:109], v[10:11]
	s_wait_loadcnt_dscnt 0x400
	v_mul_f64_e32 v[116:117], v[112:113], v[90:91]
	v_mul_f64_e32 v[90:91], v[114:115], v[90:91]
	s_delay_alu instid0(VALU_DEP_4) | instskip(NEXT) | instid1(VALU_DEP_4)
	v_fma_f64 v[4:5], v[108:109], v[8:9], -v[4:5]
	v_fmac_f64_e32 v[12:13], v[110:111], v[8:9]
	ds_load_b128 v[8:11], v2 offset:1136
	ds_load_b128 v[108:111], v2 offset:1152
	v_fmac_f64_e32 v[116:117], v[114:115], v[88:89]
	v_fma_f64 v[88:89], v[112:113], v[88:89], -v[90:91]
	s_wait_loadcnt_dscnt 0x301
	v_mul_f64_e32 v[118:119], v[8:9], v[94:95]
	v_mul_f64_e32 v[94:95], v[10:11], v[94:95]
	s_wait_loadcnt_dscnt 0x200
	v_mul_f64_e32 v[90:91], v[108:109], v[98:99]
	v_mul_f64_e32 v[98:99], v[110:111], v[98:99]
	v_add_f64_e32 v[4:5], 0, v[4:5]
	v_add_f64_e32 v[12:13], 0, v[12:13]
	v_fmac_f64_e32 v[118:119], v[10:11], v[92:93]
	v_fma_f64 v[92:93], v[8:9], v[92:93], -v[94:95]
	ds_load_b128 v[8:11], v2 offset:1168
	v_fmac_f64_e32 v[90:91], v[110:111], v[96:97]
	v_fma_f64 v[96:97], v[108:109], v[96:97], -v[98:99]
	v_add_f64_e32 v[4:5], v[4:5], v[88:89]
	v_add_f64_e32 v[12:13], v[12:13], v[116:117]
	s_wait_loadcnt_dscnt 0x100
	v_mul_f64_e32 v[88:89], v[8:9], v[102:103]
	v_mul_f64_e32 v[94:95], v[10:11], v[102:103]
	s_delay_alu instid0(VALU_DEP_4) | instskip(NEXT) | instid1(VALU_DEP_4)
	v_add_f64_e32 v[4:5], v[4:5], v[92:93]
	v_add_f64_e32 v[12:13], v[12:13], v[118:119]
	s_delay_alu instid0(VALU_DEP_4) | instskip(NEXT) | instid1(VALU_DEP_4)
	v_fmac_f64_e32 v[88:89], v[10:11], v[100:101]
	v_fma_f64 v[8:9], v[8:9], v[100:101], -v[94:95]
	s_delay_alu instid0(VALU_DEP_4) | instskip(NEXT) | instid1(VALU_DEP_4)
	v_add_f64_e32 v[4:5], v[4:5], v[96:97]
	v_add_f64_e32 v[10:11], v[12:13], v[90:91]
	s_delay_alu instid0(VALU_DEP_2) | instskip(NEXT) | instid1(VALU_DEP_2)
	v_add_f64_e32 v[4:5], v[4:5], v[8:9]
	v_add_f64_e32 v[10:11], v[10:11], v[88:89]
	s_wait_loadcnt 0x0
	s_delay_alu instid0(VALU_DEP_2) | instskip(NEXT) | instid1(VALU_DEP_2)
	v_add_f64_e64 v[8:9], v[104:105], -v[4:5]
	v_add_f64_e64 v[10:11], v[106:107], -v[10:11]
	scratch_store_b128 off, v[8:11], off offset:496
	s_wait_xcnt 0x0
	v_cmpx_lt_u32_e32 30, v1
	s_cbranch_execz .LBB36_175
; %bb.174:
	scratch_load_b128 v[8:11], off, s12
	v_dual_mov_b32 v3, v2 :: v_dual_mov_b32 v4, v2
	v_mov_b32_e32 v5, v2
	scratch_store_b128 off, v[2:5], off offset:480
	s_wait_loadcnt 0x0
	ds_store_b128 v6, v[8:11]
.LBB36_175:
	s_wait_xcnt 0x0
	s_or_b32 exec_lo, exec_lo, s2
	s_wait_storecnt_dscnt 0x0
	s_barrier_signal -1
	s_barrier_wait -1
	s_clause 0x6
	scratch_load_b128 v[8:11], off, off offset:496
	scratch_load_b128 v[88:91], off, off offset:512
	;; [unrolled: 1-line block ×7, first 2 shown]
	ds_load_b128 v[112:115], v2 offset:1088
	ds_load_b128 v[116:119], v2 offset:1104
	s_mov_b32 s2, exec_lo
	s_wait_loadcnt_dscnt 0x601
	v_mul_f64_e32 v[4:5], v[114:115], v[10:11]
	v_mul_f64_e32 v[12:13], v[112:113], v[10:11]
	s_wait_loadcnt_dscnt 0x500
	v_mul_f64_e32 v[120:121], v[116:117], v[90:91]
	v_mul_f64_e32 v[90:91], v[118:119], v[90:91]
	s_delay_alu instid0(VALU_DEP_4) | instskip(NEXT) | instid1(VALU_DEP_4)
	v_fma_f64 v[4:5], v[112:113], v[8:9], -v[4:5]
	v_fmac_f64_e32 v[12:13], v[114:115], v[8:9]
	ds_load_b128 v[8:11], v2 offset:1120
	ds_load_b128 v[112:115], v2 offset:1136
	v_fmac_f64_e32 v[120:121], v[118:119], v[88:89]
	v_fma_f64 v[88:89], v[116:117], v[88:89], -v[90:91]
	s_wait_loadcnt_dscnt 0x401
	v_mul_f64_e32 v[122:123], v[8:9], v[94:95]
	v_mul_f64_e32 v[94:95], v[10:11], v[94:95]
	s_wait_loadcnt_dscnt 0x300
	v_mul_f64_e32 v[90:91], v[112:113], v[98:99]
	v_mul_f64_e32 v[98:99], v[114:115], v[98:99]
	v_add_f64_e32 v[4:5], 0, v[4:5]
	v_add_f64_e32 v[12:13], 0, v[12:13]
	v_fmac_f64_e32 v[122:123], v[10:11], v[92:93]
	v_fma_f64 v[92:93], v[8:9], v[92:93], -v[94:95]
	v_fmac_f64_e32 v[90:91], v[114:115], v[96:97]
	v_fma_f64 v[96:97], v[112:113], v[96:97], -v[98:99]
	v_add_f64_e32 v[88:89], v[4:5], v[88:89]
	v_add_f64_e32 v[12:13], v[12:13], v[120:121]
	ds_load_b128 v[8:11], v2 offset:1152
	ds_load_b128 v[2:5], v2 offset:1168
	s_wait_loadcnt_dscnt 0x201
	v_mul_f64_e32 v[94:95], v[8:9], v[102:103]
	v_mul_f64_e32 v[102:103], v[10:11], v[102:103]
	s_wait_loadcnt_dscnt 0x100
	v_mul_f64_e32 v[98:99], v[4:5], v[106:107]
	v_add_f64_e32 v[88:89], v[88:89], v[92:93]
	v_add_f64_e32 v[12:13], v[12:13], v[122:123]
	v_mul_f64_e32 v[92:93], v[2:3], v[106:107]
	v_fmac_f64_e32 v[94:95], v[10:11], v[100:101]
	v_fma_f64 v[8:9], v[8:9], v[100:101], -v[102:103]
	v_fma_f64 v[2:3], v[2:3], v[104:105], -v[98:99]
	v_add_f64_e32 v[10:11], v[88:89], v[96:97]
	v_add_f64_e32 v[12:13], v[12:13], v[90:91]
	v_fmac_f64_e32 v[92:93], v[4:5], v[104:105]
	s_delay_alu instid0(VALU_DEP_3) | instskip(NEXT) | instid1(VALU_DEP_3)
	v_add_f64_e32 v[4:5], v[10:11], v[8:9]
	v_add_f64_e32 v[8:9], v[12:13], v[94:95]
	s_delay_alu instid0(VALU_DEP_2) | instskip(NEXT) | instid1(VALU_DEP_2)
	v_add_f64_e32 v[2:3], v[4:5], v[2:3]
	v_add_f64_e32 v[4:5], v[8:9], v[92:93]
	s_wait_loadcnt 0x0
	s_delay_alu instid0(VALU_DEP_2) | instskip(NEXT) | instid1(VALU_DEP_2)
	v_add_f64_e64 v[2:3], v[108:109], -v[2:3]
	v_add_f64_e64 v[4:5], v[110:111], -v[4:5]
	scratch_store_b128 off, v[2:5], off offset:480
	s_wait_xcnt 0x0
	v_cmpx_lt_u32_e32 29, v1
	s_cbranch_execz .LBB36_177
; %bb.176:
	scratch_load_b128 v[2:5], off, s11
	v_mov_b32_e32 v8, 0
	s_delay_alu instid0(VALU_DEP_1)
	v_dual_mov_b32 v9, v8 :: v_dual_mov_b32 v10, v8
	v_mov_b32_e32 v11, v8
	scratch_store_b128 off, v[8:11], off offset:464
	s_wait_loadcnt 0x0
	ds_store_b128 v6, v[2:5]
.LBB36_177:
	s_wait_xcnt 0x0
	s_or_b32 exec_lo, exec_lo, s2
	s_wait_storecnt_dscnt 0x0
	s_barrier_signal -1
	s_barrier_wait -1
	s_clause 0x7
	scratch_load_b128 v[8:11], off, off offset:480
	scratch_load_b128 v[88:91], off, off offset:496
	;; [unrolled: 1-line block ×8, first 2 shown]
	v_mov_b32_e32 v2, 0
	ds_load_b128 v[116:119], v2 offset:1072
	ds_load_b128 v[120:123], v2 offset:1088
	s_mov_b32 s2, exec_lo
	s_wait_loadcnt_dscnt 0x701
	v_mul_f64_e32 v[4:5], v[118:119], v[10:11]
	v_mul_f64_e32 v[12:13], v[116:117], v[10:11]
	s_wait_loadcnt_dscnt 0x600
	v_mul_f64_e32 v[124:125], v[120:121], v[90:91]
	v_mul_f64_e32 v[90:91], v[122:123], v[90:91]
	s_delay_alu instid0(VALU_DEP_4) | instskip(NEXT) | instid1(VALU_DEP_4)
	v_fma_f64 v[4:5], v[116:117], v[8:9], -v[4:5]
	v_fmac_f64_e32 v[12:13], v[118:119], v[8:9]
	ds_load_b128 v[8:11], v2 offset:1104
	ds_load_b128 v[116:119], v2 offset:1120
	v_fmac_f64_e32 v[124:125], v[122:123], v[88:89]
	v_fma_f64 v[88:89], v[120:121], v[88:89], -v[90:91]
	s_wait_loadcnt_dscnt 0x501
	v_mul_f64_e32 v[126:127], v[8:9], v[94:95]
	v_mul_f64_e32 v[94:95], v[10:11], v[94:95]
	s_wait_loadcnt_dscnt 0x400
	v_mul_f64_e32 v[120:121], v[116:117], v[98:99]
	v_mul_f64_e32 v[98:99], v[118:119], v[98:99]
	v_add_f64_e32 v[4:5], 0, v[4:5]
	v_add_f64_e32 v[12:13], 0, v[12:13]
	v_fmac_f64_e32 v[126:127], v[10:11], v[92:93]
	v_fma_f64 v[92:93], v[8:9], v[92:93], -v[94:95]
	v_fmac_f64_e32 v[120:121], v[118:119], v[96:97]
	v_fma_f64 v[96:97], v[116:117], v[96:97], -v[98:99]
	v_add_f64_e32 v[4:5], v[4:5], v[88:89]
	v_add_f64_e32 v[12:13], v[12:13], v[124:125]
	ds_load_b128 v[8:11], v2 offset:1136
	ds_load_b128 v[88:91], v2 offset:1152
	s_wait_loadcnt_dscnt 0x301
	v_mul_f64_e32 v[94:95], v[8:9], v[102:103]
	v_mul_f64_e32 v[102:103], v[10:11], v[102:103]
	s_wait_loadcnt_dscnt 0x200
	v_mul_f64_e32 v[98:99], v[90:91], v[106:107]
	v_add_f64_e32 v[4:5], v[4:5], v[92:93]
	v_add_f64_e32 v[12:13], v[12:13], v[126:127]
	v_mul_f64_e32 v[92:93], v[88:89], v[106:107]
	v_fmac_f64_e32 v[94:95], v[10:11], v[100:101]
	v_fma_f64 v[100:101], v[8:9], v[100:101], -v[102:103]
	ds_load_b128 v[8:11], v2 offset:1168
	v_fma_f64 v[88:89], v[88:89], v[104:105], -v[98:99]
	v_add_f64_e32 v[4:5], v[4:5], v[96:97]
	v_add_f64_e32 v[12:13], v[12:13], v[120:121]
	v_fmac_f64_e32 v[92:93], v[90:91], v[104:105]
	s_wait_loadcnt_dscnt 0x100
	v_mul_f64_e32 v[96:97], v[8:9], v[110:111]
	v_mul_f64_e32 v[102:103], v[10:11], v[110:111]
	v_add_f64_e32 v[4:5], v[4:5], v[100:101]
	v_add_f64_e32 v[12:13], v[12:13], v[94:95]
	s_delay_alu instid0(VALU_DEP_4) | instskip(NEXT) | instid1(VALU_DEP_4)
	v_fmac_f64_e32 v[96:97], v[10:11], v[108:109]
	v_fma_f64 v[8:9], v[8:9], v[108:109], -v[102:103]
	s_delay_alu instid0(VALU_DEP_4) | instskip(NEXT) | instid1(VALU_DEP_4)
	v_add_f64_e32 v[4:5], v[4:5], v[88:89]
	v_add_f64_e32 v[10:11], v[12:13], v[92:93]
	s_delay_alu instid0(VALU_DEP_2) | instskip(NEXT) | instid1(VALU_DEP_2)
	v_add_f64_e32 v[4:5], v[4:5], v[8:9]
	v_add_f64_e32 v[10:11], v[10:11], v[96:97]
	s_wait_loadcnt 0x0
	s_delay_alu instid0(VALU_DEP_2) | instskip(NEXT) | instid1(VALU_DEP_2)
	v_add_f64_e64 v[8:9], v[112:113], -v[4:5]
	v_add_f64_e64 v[10:11], v[114:115], -v[10:11]
	scratch_store_b128 off, v[8:11], off offset:464
	s_wait_xcnt 0x0
	v_cmpx_lt_u32_e32 28, v1
	s_cbranch_execz .LBB36_179
; %bb.178:
	scratch_load_b128 v[8:11], off, s20
	v_dual_mov_b32 v3, v2 :: v_dual_mov_b32 v4, v2
	v_mov_b32_e32 v5, v2
	scratch_store_b128 off, v[2:5], off offset:448
	s_wait_loadcnt 0x0
	ds_store_b128 v6, v[8:11]
.LBB36_179:
	s_wait_xcnt 0x0
	s_or_b32 exec_lo, exec_lo, s2
	s_wait_storecnt_dscnt 0x0
	s_barrier_signal -1
	s_barrier_wait -1
	s_clause 0x7
	scratch_load_b128 v[8:11], off, off offset:464
	scratch_load_b128 v[88:91], off, off offset:480
	;; [unrolled: 1-line block ×8, first 2 shown]
	ds_load_b128 v[116:119], v2 offset:1056
	ds_load_b128 v[120:123], v2 offset:1072
	scratch_load_b128 v[124:127], off, off offset:448
	s_mov_b32 s2, exec_lo
	s_wait_loadcnt_dscnt 0x801
	v_mul_f64_e32 v[4:5], v[118:119], v[10:11]
	v_mul_f64_e32 v[12:13], v[116:117], v[10:11]
	s_wait_loadcnt_dscnt 0x700
	v_mul_f64_e32 v[128:129], v[120:121], v[90:91]
	v_mul_f64_e32 v[90:91], v[122:123], v[90:91]
	s_delay_alu instid0(VALU_DEP_4) | instskip(NEXT) | instid1(VALU_DEP_4)
	v_fma_f64 v[4:5], v[116:117], v[8:9], -v[4:5]
	v_fmac_f64_e32 v[12:13], v[118:119], v[8:9]
	ds_load_b128 v[8:11], v2 offset:1088
	ds_load_b128 v[116:119], v2 offset:1104
	v_fmac_f64_e32 v[128:129], v[122:123], v[88:89]
	v_fma_f64 v[88:89], v[120:121], v[88:89], -v[90:91]
	s_wait_loadcnt_dscnt 0x601
	v_mul_f64_e32 v[130:131], v[8:9], v[94:95]
	v_mul_f64_e32 v[94:95], v[10:11], v[94:95]
	s_wait_loadcnt_dscnt 0x500
	v_mul_f64_e32 v[120:121], v[116:117], v[98:99]
	v_mul_f64_e32 v[98:99], v[118:119], v[98:99]
	v_add_f64_e32 v[4:5], 0, v[4:5]
	v_add_f64_e32 v[12:13], 0, v[12:13]
	v_fmac_f64_e32 v[130:131], v[10:11], v[92:93]
	v_fma_f64 v[92:93], v[8:9], v[92:93], -v[94:95]
	v_fmac_f64_e32 v[120:121], v[118:119], v[96:97]
	v_fma_f64 v[96:97], v[116:117], v[96:97], -v[98:99]
	v_add_f64_e32 v[4:5], v[4:5], v[88:89]
	v_add_f64_e32 v[12:13], v[12:13], v[128:129]
	ds_load_b128 v[8:11], v2 offset:1120
	ds_load_b128 v[88:91], v2 offset:1136
	s_wait_loadcnt_dscnt 0x401
	v_mul_f64_e32 v[94:95], v[8:9], v[102:103]
	v_mul_f64_e32 v[102:103], v[10:11], v[102:103]
	s_wait_loadcnt_dscnt 0x300
	v_mul_f64_e32 v[98:99], v[90:91], v[106:107]
	v_add_f64_e32 v[4:5], v[4:5], v[92:93]
	v_add_f64_e32 v[12:13], v[12:13], v[130:131]
	v_mul_f64_e32 v[92:93], v[88:89], v[106:107]
	v_fmac_f64_e32 v[94:95], v[10:11], v[100:101]
	v_fma_f64 v[100:101], v[8:9], v[100:101], -v[102:103]
	v_fma_f64 v[88:89], v[88:89], v[104:105], -v[98:99]
	v_add_f64_e32 v[96:97], v[4:5], v[96:97]
	v_add_f64_e32 v[12:13], v[12:13], v[120:121]
	ds_load_b128 v[8:11], v2 offset:1152
	ds_load_b128 v[2:5], v2 offset:1168
	v_fmac_f64_e32 v[92:93], v[90:91], v[104:105]
	s_wait_loadcnt_dscnt 0x201
	v_mul_f64_e32 v[102:103], v[8:9], v[110:111]
	v_mul_f64_e32 v[106:107], v[10:11], v[110:111]
	v_add_f64_e32 v[90:91], v[96:97], v[100:101]
	v_add_f64_e32 v[12:13], v[12:13], v[94:95]
	s_wait_loadcnt_dscnt 0x100
	v_mul_f64_e32 v[94:95], v[2:3], v[114:115]
	v_mul_f64_e32 v[96:97], v[4:5], v[114:115]
	v_fmac_f64_e32 v[102:103], v[10:11], v[108:109]
	v_fma_f64 v[8:9], v[8:9], v[108:109], -v[106:107]
	v_add_f64_e32 v[10:11], v[90:91], v[88:89]
	v_add_f64_e32 v[12:13], v[12:13], v[92:93]
	v_fmac_f64_e32 v[94:95], v[4:5], v[112:113]
	v_fma_f64 v[2:3], v[2:3], v[112:113], -v[96:97]
	s_delay_alu instid0(VALU_DEP_4) | instskip(NEXT) | instid1(VALU_DEP_4)
	v_add_f64_e32 v[4:5], v[10:11], v[8:9]
	v_add_f64_e32 v[8:9], v[12:13], v[102:103]
	s_delay_alu instid0(VALU_DEP_2) | instskip(NEXT) | instid1(VALU_DEP_2)
	v_add_f64_e32 v[2:3], v[4:5], v[2:3]
	v_add_f64_e32 v[4:5], v[8:9], v[94:95]
	s_wait_loadcnt 0x0
	s_delay_alu instid0(VALU_DEP_2) | instskip(NEXT) | instid1(VALU_DEP_2)
	v_add_f64_e64 v[2:3], v[124:125], -v[2:3]
	v_add_f64_e64 v[4:5], v[126:127], -v[4:5]
	scratch_store_b128 off, v[2:5], off offset:448
	s_wait_xcnt 0x0
	v_cmpx_lt_u32_e32 27, v1
	s_cbranch_execz .LBB36_181
; %bb.180:
	scratch_load_b128 v[2:5], off, s14
	v_mov_b32_e32 v8, 0
	s_delay_alu instid0(VALU_DEP_1)
	v_dual_mov_b32 v9, v8 :: v_dual_mov_b32 v10, v8
	v_mov_b32_e32 v11, v8
	scratch_store_b128 off, v[8:11], off offset:432
	s_wait_loadcnt 0x0
	ds_store_b128 v6, v[2:5]
.LBB36_181:
	s_wait_xcnt 0x0
	s_or_b32 exec_lo, exec_lo, s2
	s_wait_storecnt_dscnt 0x0
	s_barrier_signal -1
	s_barrier_wait -1
	s_clause 0x8
	scratch_load_b128 v[8:11], off, off offset:448
	scratch_load_b128 v[88:91], off, off offset:464
	;; [unrolled: 1-line block ×9, first 2 shown]
	v_mov_b32_e32 v2, 0
	scratch_load_b128 v[124:127], off, off offset:432
	s_mov_b32 s2, exec_lo
	ds_load_b128 v[120:123], v2 offset:1040
	ds_load_b128 v[128:131], v2 offset:1056
	s_wait_loadcnt_dscnt 0x901
	v_mul_f64_e32 v[4:5], v[122:123], v[10:11]
	v_mul_f64_e32 v[12:13], v[120:121], v[10:11]
	s_wait_loadcnt_dscnt 0x800
	v_mul_f64_e32 v[132:133], v[128:129], v[90:91]
	v_mul_f64_e32 v[90:91], v[130:131], v[90:91]
	s_delay_alu instid0(VALU_DEP_4) | instskip(NEXT) | instid1(VALU_DEP_4)
	v_fma_f64 v[4:5], v[120:121], v[8:9], -v[4:5]
	v_fmac_f64_e32 v[12:13], v[122:123], v[8:9]
	ds_load_b128 v[8:11], v2 offset:1072
	ds_load_b128 v[120:123], v2 offset:1088
	v_fmac_f64_e32 v[132:133], v[130:131], v[88:89]
	v_fma_f64 v[88:89], v[128:129], v[88:89], -v[90:91]
	s_wait_loadcnt_dscnt 0x701
	v_mul_f64_e32 v[134:135], v[8:9], v[94:95]
	v_mul_f64_e32 v[94:95], v[10:11], v[94:95]
	s_wait_loadcnt_dscnt 0x600
	v_mul_f64_e32 v[128:129], v[120:121], v[98:99]
	v_mul_f64_e32 v[98:99], v[122:123], v[98:99]
	v_add_f64_e32 v[4:5], 0, v[4:5]
	v_add_f64_e32 v[12:13], 0, v[12:13]
	v_fmac_f64_e32 v[134:135], v[10:11], v[92:93]
	v_fma_f64 v[92:93], v[8:9], v[92:93], -v[94:95]
	v_fmac_f64_e32 v[128:129], v[122:123], v[96:97]
	v_fma_f64 v[96:97], v[120:121], v[96:97], -v[98:99]
	v_add_f64_e32 v[4:5], v[4:5], v[88:89]
	v_add_f64_e32 v[12:13], v[12:13], v[132:133]
	ds_load_b128 v[8:11], v2 offset:1104
	ds_load_b128 v[88:91], v2 offset:1120
	s_wait_loadcnt_dscnt 0x501
	v_mul_f64_e32 v[130:131], v[8:9], v[102:103]
	v_mul_f64_e32 v[94:95], v[10:11], v[102:103]
	s_wait_loadcnt_dscnt 0x400
	v_mul_f64_e32 v[98:99], v[88:89], v[106:107]
	v_mul_f64_e32 v[102:103], v[90:91], v[106:107]
	v_add_f64_e32 v[4:5], v[4:5], v[92:93]
	v_add_f64_e32 v[12:13], v[12:13], v[134:135]
	v_fmac_f64_e32 v[130:131], v[10:11], v[100:101]
	v_fma_f64 v[100:101], v[8:9], v[100:101], -v[94:95]
	ds_load_b128 v[8:11], v2 offset:1136
	ds_load_b128 v[92:95], v2 offset:1152
	v_fmac_f64_e32 v[98:99], v[90:91], v[104:105]
	v_fma_f64 v[88:89], v[88:89], v[104:105], -v[102:103]
	v_add_f64_e32 v[4:5], v[4:5], v[96:97]
	v_add_f64_e32 v[12:13], v[12:13], v[128:129]
	s_wait_loadcnt_dscnt 0x301
	v_mul_f64_e32 v[96:97], v[8:9], v[110:111]
	v_mul_f64_e32 v[106:107], v[10:11], v[110:111]
	s_wait_loadcnt_dscnt 0x200
	v_mul_f64_e32 v[90:91], v[92:93], v[114:115]
	v_add_f64_e32 v[4:5], v[4:5], v[100:101]
	v_add_f64_e32 v[12:13], v[12:13], v[130:131]
	v_mul_f64_e32 v[100:101], v[94:95], v[114:115]
	v_fmac_f64_e32 v[96:97], v[10:11], v[108:109]
	v_fma_f64 v[102:103], v[8:9], v[108:109], -v[106:107]
	ds_load_b128 v[8:11], v2 offset:1168
	v_fmac_f64_e32 v[90:91], v[94:95], v[112:113]
	v_add_f64_e32 v[4:5], v[4:5], v[88:89]
	v_add_f64_e32 v[12:13], v[12:13], v[98:99]
	s_wait_loadcnt_dscnt 0x100
	v_mul_f64_e32 v[88:89], v[8:9], v[118:119]
	v_mul_f64_e32 v[98:99], v[10:11], v[118:119]
	v_fma_f64 v[92:93], v[92:93], v[112:113], -v[100:101]
	v_add_f64_e32 v[4:5], v[4:5], v[102:103]
	v_add_f64_e32 v[12:13], v[12:13], v[96:97]
	v_fmac_f64_e32 v[88:89], v[10:11], v[116:117]
	v_fma_f64 v[8:9], v[8:9], v[116:117], -v[98:99]
	s_delay_alu instid0(VALU_DEP_4) | instskip(NEXT) | instid1(VALU_DEP_4)
	v_add_f64_e32 v[4:5], v[4:5], v[92:93]
	v_add_f64_e32 v[10:11], v[12:13], v[90:91]
	s_delay_alu instid0(VALU_DEP_2) | instskip(NEXT) | instid1(VALU_DEP_2)
	v_add_f64_e32 v[4:5], v[4:5], v[8:9]
	v_add_f64_e32 v[10:11], v[10:11], v[88:89]
	s_wait_loadcnt 0x0
	s_delay_alu instid0(VALU_DEP_2) | instskip(NEXT) | instid1(VALU_DEP_2)
	v_add_f64_e64 v[8:9], v[124:125], -v[4:5]
	v_add_f64_e64 v[10:11], v[126:127], -v[10:11]
	scratch_store_b128 off, v[8:11], off offset:432
	s_wait_xcnt 0x0
	v_cmpx_lt_u32_e32 26, v1
	s_cbranch_execz .LBB36_183
; %bb.182:
	scratch_load_b128 v[8:11], off, s23
	v_dual_mov_b32 v3, v2 :: v_dual_mov_b32 v4, v2
	v_mov_b32_e32 v5, v2
	scratch_store_b128 off, v[2:5], off offset:416
	s_wait_loadcnt 0x0
	ds_store_b128 v6, v[8:11]
.LBB36_183:
	s_wait_xcnt 0x0
	s_or_b32 exec_lo, exec_lo, s2
	s_wait_storecnt_dscnt 0x0
	s_barrier_signal -1
	s_barrier_wait -1
	s_clause 0x9
	scratch_load_b128 v[8:11], off, off offset:432
	scratch_load_b128 v[88:91], off, off offset:448
	;; [unrolled: 1-line block ×10, first 2 shown]
	ds_load_b128 v[124:127], v2 offset:1024
	ds_load_b128 v[128:131], v2 offset:1040
	scratch_load_b128 v[132:135], off, off offset:416
	s_mov_b32 s2, exec_lo
	s_wait_loadcnt_dscnt 0xa01
	v_mul_f64_e32 v[4:5], v[126:127], v[10:11]
	v_mul_f64_e32 v[12:13], v[124:125], v[10:11]
	s_wait_loadcnt_dscnt 0x900
	v_mul_f64_e32 v[136:137], v[128:129], v[90:91]
	v_mul_f64_e32 v[90:91], v[130:131], v[90:91]
	s_delay_alu instid0(VALU_DEP_4) | instskip(NEXT) | instid1(VALU_DEP_4)
	v_fma_f64 v[4:5], v[124:125], v[8:9], -v[4:5]
	v_fmac_f64_e32 v[12:13], v[126:127], v[8:9]
	ds_load_b128 v[8:11], v2 offset:1056
	ds_load_b128 v[124:127], v2 offset:1072
	v_fmac_f64_e32 v[136:137], v[130:131], v[88:89]
	v_fma_f64 v[88:89], v[128:129], v[88:89], -v[90:91]
	s_wait_loadcnt_dscnt 0x801
	v_mul_f64_e32 v[138:139], v[8:9], v[94:95]
	v_mul_f64_e32 v[94:95], v[10:11], v[94:95]
	s_wait_loadcnt_dscnt 0x700
	v_mul_f64_e32 v[128:129], v[124:125], v[98:99]
	v_mul_f64_e32 v[98:99], v[126:127], v[98:99]
	v_add_f64_e32 v[4:5], 0, v[4:5]
	v_add_f64_e32 v[12:13], 0, v[12:13]
	v_fmac_f64_e32 v[138:139], v[10:11], v[92:93]
	v_fma_f64 v[92:93], v[8:9], v[92:93], -v[94:95]
	v_fmac_f64_e32 v[128:129], v[126:127], v[96:97]
	v_fma_f64 v[96:97], v[124:125], v[96:97], -v[98:99]
	v_add_f64_e32 v[4:5], v[4:5], v[88:89]
	v_add_f64_e32 v[12:13], v[12:13], v[136:137]
	ds_load_b128 v[8:11], v2 offset:1088
	ds_load_b128 v[88:91], v2 offset:1104
	s_wait_loadcnt_dscnt 0x601
	v_mul_f64_e32 v[130:131], v[8:9], v[102:103]
	v_mul_f64_e32 v[94:95], v[10:11], v[102:103]
	s_wait_loadcnt_dscnt 0x500
	v_mul_f64_e32 v[98:99], v[88:89], v[106:107]
	v_mul_f64_e32 v[102:103], v[90:91], v[106:107]
	v_add_f64_e32 v[4:5], v[4:5], v[92:93]
	v_add_f64_e32 v[12:13], v[12:13], v[138:139]
	v_fmac_f64_e32 v[130:131], v[10:11], v[100:101]
	v_fma_f64 v[100:101], v[8:9], v[100:101], -v[94:95]
	ds_load_b128 v[8:11], v2 offset:1120
	ds_load_b128 v[92:95], v2 offset:1136
	v_fmac_f64_e32 v[98:99], v[90:91], v[104:105]
	v_fma_f64 v[88:89], v[88:89], v[104:105], -v[102:103]
	v_add_f64_e32 v[4:5], v[4:5], v[96:97]
	v_add_f64_e32 v[12:13], v[12:13], v[128:129]
	s_wait_loadcnt_dscnt 0x401
	v_mul_f64_e32 v[96:97], v[8:9], v[110:111]
	v_mul_f64_e32 v[106:107], v[10:11], v[110:111]
	s_wait_loadcnt_dscnt 0x300
	v_mul_f64_e32 v[90:91], v[92:93], v[114:115]
	v_add_f64_e32 v[4:5], v[4:5], v[100:101]
	v_add_f64_e32 v[12:13], v[12:13], v[130:131]
	v_mul_f64_e32 v[100:101], v[94:95], v[114:115]
	v_fmac_f64_e32 v[96:97], v[10:11], v[108:109]
	v_fma_f64 v[102:103], v[8:9], v[108:109], -v[106:107]
	v_fmac_f64_e32 v[90:91], v[94:95], v[112:113]
	v_add_f64_e32 v[88:89], v[4:5], v[88:89]
	v_add_f64_e32 v[12:13], v[12:13], v[98:99]
	ds_load_b128 v[8:11], v2 offset:1152
	ds_load_b128 v[2:5], v2 offset:1168
	v_fma_f64 v[92:93], v[92:93], v[112:113], -v[100:101]
	s_wait_loadcnt_dscnt 0x201
	v_mul_f64_e32 v[98:99], v[8:9], v[118:119]
	v_mul_f64_e32 v[104:105], v[10:11], v[118:119]
	s_wait_loadcnt_dscnt 0x100
	v_mul_f64_e32 v[94:95], v[2:3], v[122:123]
	v_add_f64_e32 v[88:89], v[88:89], v[102:103]
	v_add_f64_e32 v[12:13], v[12:13], v[96:97]
	v_mul_f64_e32 v[96:97], v[4:5], v[122:123]
	v_fmac_f64_e32 v[98:99], v[10:11], v[116:117]
	v_fma_f64 v[8:9], v[8:9], v[116:117], -v[104:105]
	v_fmac_f64_e32 v[94:95], v[4:5], v[120:121]
	v_add_f64_e32 v[10:11], v[88:89], v[92:93]
	v_add_f64_e32 v[12:13], v[12:13], v[90:91]
	v_fma_f64 v[2:3], v[2:3], v[120:121], -v[96:97]
	s_delay_alu instid0(VALU_DEP_3) | instskip(NEXT) | instid1(VALU_DEP_3)
	v_add_f64_e32 v[4:5], v[10:11], v[8:9]
	v_add_f64_e32 v[8:9], v[12:13], v[98:99]
	s_delay_alu instid0(VALU_DEP_2) | instskip(NEXT) | instid1(VALU_DEP_2)
	v_add_f64_e32 v[2:3], v[4:5], v[2:3]
	v_add_f64_e32 v[4:5], v[8:9], v[94:95]
	s_wait_loadcnt 0x0
	s_delay_alu instid0(VALU_DEP_2) | instskip(NEXT) | instid1(VALU_DEP_2)
	v_add_f64_e64 v[2:3], v[132:133], -v[2:3]
	v_add_f64_e64 v[4:5], v[134:135], -v[4:5]
	scratch_store_b128 off, v[2:5], off offset:416
	s_wait_xcnt 0x0
	v_cmpx_lt_u32_e32 25, v1
	s_cbranch_execz .LBB36_185
; %bb.184:
	scratch_load_b128 v[2:5], off, s22
	v_mov_b32_e32 v8, 0
	s_delay_alu instid0(VALU_DEP_1)
	v_dual_mov_b32 v9, v8 :: v_dual_mov_b32 v10, v8
	v_mov_b32_e32 v11, v8
	scratch_store_b128 off, v[8:11], off offset:400
	s_wait_loadcnt 0x0
	ds_store_b128 v6, v[2:5]
.LBB36_185:
	s_wait_xcnt 0x0
	s_or_b32 exec_lo, exec_lo, s2
	s_wait_storecnt_dscnt 0x0
	s_barrier_signal -1
	s_barrier_wait -1
	s_clause 0x9
	scratch_load_b128 v[8:11], off, off offset:416
	scratch_load_b128 v[88:91], off, off offset:432
	;; [unrolled: 1-line block ×10, first 2 shown]
	v_mov_b32_e32 v2, 0
	s_mov_b32 s2, exec_lo
	ds_load_b128 v[124:127], v2 offset:1008
	s_clause 0x1
	scratch_load_b128 v[128:131], off, off offset:576
	scratch_load_b128 v[132:135], off, off offset:400
	s_wait_loadcnt_dscnt 0xb00
	v_mul_f64_e32 v[4:5], v[126:127], v[10:11]
	v_mul_f64_e32 v[12:13], v[124:125], v[10:11]
	ds_load_b128 v[136:139], v2 offset:1024
	s_wait_loadcnt_dscnt 0xa00
	v_mul_f64_e32 v[140:141], v[136:137], v[90:91]
	v_mul_f64_e32 v[90:91], v[138:139], v[90:91]
	v_fma_f64 v[4:5], v[124:125], v[8:9], -v[4:5]
	v_fmac_f64_e32 v[12:13], v[126:127], v[8:9]
	ds_load_b128 v[8:11], v2 offset:1040
	ds_load_b128 v[124:127], v2 offset:1056
	s_wait_loadcnt_dscnt 0x901
	v_mul_f64_e32 v[142:143], v[8:9], v[94:95]
	v_mul_f64_e32 v[94:95], v[10:11], v[94:95]
	v_fmac_f64_e32 v[140:141], v[138:139], v[88:89]
	v_fma_f64 v[88:89], v[136:137], v[88:89], -v[90:91]
	s_wait_loadcnt_dscnt 0x800
	v_mul_f64_e32 v[136:137], v[124:125], v[98:99]
	v_mul_f64_e32 v[98:99], v[126:127], v[98:99]
	v_add_f64_e32 v[4:5], 0, v[4:5]
	v_add_f64_e32 v[12:13], 0, v[12:13]
	v_fmac_f64_e32 v[142:143], v[10:11], v[92:93]
	v_fma_f64 v[92:93], v[8:9], v[92:93], -v[94:95]
	v_fmac_f64_e32 v[136:137], v[126:127], v[96:97]
	v_fma_f64 v[96:97], v[124:125], v[96:97], -v[98:99]
	v_add_f64_e32 v[4:5], v[4:5], v[88:89]
	v_add_f64_e32 v[12:13], v[12:13], v[140:141]
	ds_load_b128 v[8:11], v2 offset:1072
	ds_load_b128 v[88:91], v2 offset:1088
	s_wait_loadcnt_dscnt 0x701
	v_mul_f64_e32 v[138:139], v[8:9], v[102:103]
	v_mul_f64_e32 v[94:95], v[10:11], v[102:103]
	s_wait_loadcnt_dscnt 0x600
	v_mul_f64_e32 v[98:99], v[88:89], v[106:107]
	v_mul_f64_e32 v[102:103], v[90:91], v[106:107]
	v_add_f64_e32 v[4:5], v[4:5], v[92:93]
	v_add_f64_e32 v[12:13], v[12:13], v[142:143]
	v_fmac_f64_e32 v[138:139], v[10:11], v[100:101]
	v_fma_f64 v[100:101], v[8:9], v[100:101], -v[94:95]
	ds_load_b128 v[8:11], v2 offset:1104
	ds_load_b128 v[92:95], v2 offset:1120
	v_fmac_f64_e32 v[98:99], v[90:91], v[104:105]
	v_fma_f64 v[88:89], v[88:89], v[104:105], -v[102:103]
	v_add_f64_e32 v[4:5], v[4:5], v[96:97]
	v_add_f64_e32 v[12:13], v[12:13], v[136:137]
	s_wait_loadcnt_dscnt 0x501
	v_mul_f64_e32 v[96:97], v[8:9], v[110:111]
	v_mul_f64_e32 v[106:107], v[10:11], v[110:111]
	s_wait_loadcnt_dscnt 0x400
	v_mul_f64_e32 v[102:103], v[94:95], v[114:115]
	v_add_f64_e32 v[4:5], v[4:5], v[100:101]
	v_add_f64_e32 v[12:13], v[12:13], v[138:139]
	v_mul_f64_e32 v[100:101], v[92:93], v[114:115]
	v_fmac_f64_e32 v[96:97], v[10:11], v[108:109]
	v_fma_f64 v[104:105], v[8:9], v[108:109], -v[106:107]
	v_fma_f64 v[92:93], v[92:93], v[112:113], -v[102:103]
	v_add_f64_e32 v[4:5], v[4:5], v[88:89]
	v_add_f64_e32 v[12:13], v[12:13], v[98:99]
	ds_load_b128 v[8:11], v2 offset:1136
	ds_load_b128 v[88:91], v2 offset:1152
	v_fmac_f64_e32 v[100:101], v[94:95], v[112:113]
	s_wait_loadcnt_dscnt 0x301
	v_mul_f64_e32 v[98:99], v[8:9], v[118:119]
	v_mul_f64_e32 v[106:107], v[10:11], v[118:119]
	s_wait_loadcnt_dscnt 0x200
	v_mul_f64_e32 v[94:95], v[88:89], v[122:123]
	v_add_f64_e32 v[4:5], v[4:5], v[104:105]
	v_add_f64_e32 v[12:13], v[12:13], v[96:97]
	v_mul_f64_e32 v[96:97], v[90:91], v[122:123]
	v_fmac_f64_e32 v[98:99], v[10:11], v[116:117]
	v_fma_f64 v[102:103], v[8:9], v[116:117], -v[106:107]
	ds_load_b128 v[8:11], v2 offset:1168
	v_fmac_f64_e32 v[94:95], v[90:91], v[120:121]
	v_add_f64_e32 v[4:5], v[4:5], v[92:93]
	v_add_f64_e32 v[12:13], v[12:13], v[100:101]
	v_fma_f64 v[88:89], v[88:89], v[120:121], -v[96:97]
	s_wait_loadcnt_dscnt 0x100
	v_mul_f64_e32 v[92:93], v[8:9], v[130:131]
	v_mul_f64_e32 v[100:101], v[10:11], v[130:131]
	v_add_f64_e32 v[4:5], v[4:5], v[102:103]
	v_add_f64_e32 v[12:13], v[12:13], v[98:99]
	s_delay_alu instid0(VALU_DEP_4) | instskip(NEXT) | instid1(VALU_DEP_4)
	v_fmac_f64_e32 v[92:93], v[10:11], v[128:129]
	v_fma_f64 v[8:9], v[8:9], v[128:129], -v[100:101]
	s_delay_alu instid0(VALU_DEP_4) | instskip(NEXT) | instid1(VALU_DEP_4)
	v_add_f64_e32 v[4:5], v[4:5], v[88:89]
	v_add_f64_e32 v[10:11], v[12:13], v[94:95]
	s_delay_alu instid0(VALU_DEP_2) | instskip(NEXT) | instid1(VALU_DEP_2)
	v_add_f64_e32 v[4:5], v[4:5], v[8:9]
	v_add_f64_e32 v[10:11], v[10:11], v[92:93]
	s_wait_loadcnt 0x0
	s_delay_alu instid0(VALU_DEP_2) | instskip(NEXT) | instid1(VALU_DEP_2)
	v_add_f64_e64 v[8:9], v[132:133], -v[4:5]
	v_add_f64_e64 v[10:11], v[134:135], -v[10:11]
	scratch_store_b128 off, v[8:11], off offset:400
	s_wait_xcnt 0x0
	v_cmpx_lt_u32_e32 24, v1
	s_cbranch_execz .LBB36_187
; %bb.186:
	scratch_load_b128 v[8:11], off, s25
	v_dual_mov_b32 v3, v2 :: v_dual_mov_b32 v4, v2
	v_mov_b32_e32 v5, v2
	scratch_store_b128 off, v[2:5], off offset:384
	s_wait_loadcnt 0x0
	ds_store_b128 v6, v[8:11]
.LBB36_187:
	s_wait_xcnt 0x0
	s_or_b32 exec_lo, exec_lo, s2
	s_wait_storecnt_dscnt 0x0
	s_barrier_signal -1
	s_barrier_wait -1
	s_clause 0x9
	scratch_load_b128 v[8:11], off, off offset:400
	scratch_load_b128 v[88:91], off, off offset:416
	;; [unrolled: 1-line block ×10, first 2 shown]
	ds_load_b128 v[124:127], v2 offset:992
	ds_load_b128 v[132:135], v2 offset:1008
	s_clause 0x1
	scratch_load_b128 v[128:131], off, off offset:560
	scratch_load_b128 v[136:139], off, off offset:384
	s_mov_b32 s2, exec_lo
	s_wait_loadcnt_dscnt 0xb01
	v_mul_f64_e32 v[4:5], v[126:127], v[10:11]
	v_mul_f64_e32 v[144:145], v[124:125], v[10:11]
	scratch_load_b128 v[10:13], off, off offset:576
	s_wait_loadcnt_dscnt 0xb00
	v_mul_f64_e32 v[146:147], v[132:133], v[90:91]
	v_mul_f64_e32 v[90:91], v[134:135], v[90:91]
	v_fma_f64 v[4:5], v[124:125], v[8:9], -v[4:5]
	v_fmac_f64_e32 v[144:145], v[126:127], v[8:9]
	ds_load_b128 v[124:127], v2 offset:1024
	ds_load_b128 v[140:143], v2 offset:1040
	v_fmac_f64_e32 v[146:147], v[134:135], v[88:89]
	v_fma_f64 v[88:89], v[132:133], v[88:89], -v[90:91]
	s_wait_loadcnt_dscnt 0xa01
	v_mul_f64_e32 v[8:9], v[124:125], v[94:95]
	v_mul_f64_e32 v[94:95], v[126:127], v[94:95]
	s_wait_loadcnt_dscnt 0x900
	v_mul_f64_e32 v[132:133], v[140:141], v[98:99]
	v_mul_f64_e32 v[98:99], v[142:143], v[98:99]
	v_add_f64_e32 v[4:5], 0, v[4:5]
	v_add_f64_e32 v[90:91], 0, v[144:145]
	v_fmac_f64_e32 v[8:9], v[126:127], v[92:93]
	v_fma_f64 v[124:125], v[124:125], v[92:93], -v[94:95]
	v_fmac_f64_e32 v[132:133], v[142:143], v[96:97]
	v_fma_f64 v[96:97], v[140:141], v[96:97], -v[98:99]
	v_add_f64_e32 v[4:5], v[4:5], v[88:89]
	v_add_f64_e32 v[126:127], v[90:91], v[146:147]
	ds_load_b128 v[88:91], v2 offset:1056
	ds_load_b128 v[92:95], v2 offset:1072
	s_wait_loadcnt_dscnt 0x801
	v_mul_f64_e32 v[134:135], v[88:89], v[102:103]
	v_mul_f64_e32 v[102:103], v[90:91], v[102:103]
	v_add_f64_e32 v[4:5], v[4:5], v[124:125]
	v_add_f64_e32 v[8:9], v[126:127], v[8:9]
	s_wait_loadcnt_dscnt 0x700
	v_mul_f64_e32 v[124:125], v[92:93], v[106:107]
	v_mul_f64_e32 v[106:107], v[94:95], v[106:107]
	v_fmac_f64_e32 v[134:135], v[90:91], v[100:101]
	v_fma_f64 v[100:101], v[88:89], v[100:101], -v[102:103]
	v_add_f64_e32 v[4:5], v[4:5], v[96:97]
	v_add_f64_e32 v[8:9], v[8:9], v[132:133]
	ds_load_b128 v[88:91], v2 offset:1088
	ds_load_b128 v[96:99], v2 offset:1104
	v_fmac_f64_e32 v[124:125], v[94:95], v[104:105]
	v_fma_f64 v[92:93], v[92:93], v[104:105], -v[106:107]
	s_wait_loadcnt_dscnt 0x601
	v_mul_f64_e32 v[102:103], v[88:89], v[110:111]
	v_mul_f64_e32 v[110:111], v[90:91], v[110:111]
	s_wait_loadcnt_dscnt 0x500
	v_mul_f64_e32 v[104:105], v[98:99], v[114:115]
	v_add_f64_e32 v[4:5], v[4:5], v[100:101]
	v_add_f64_e32 v[8:9], v[8:9], v[134:135]
	v_mul_f64_e32 v[100:101], v[96:97], v[114:115]
	v_fmac_f64_e32 v[102:103], v[90:91], v[108:109]
	v_fma_f64 v[106:107], v[88:89], v[108:109], -v[110:111]
	v_fma_f64 v[96:97], v[96:97], v[112:113], -v[104:105]
	v_add_f64_e32 v[4:5], v[4:5], v[92:93]
	v_add_f64_e32 v[8:9], v[8:9], v[124:125]
	ds_load_b128 v[88:91], v2 offset:1120
	ds_load_b128 v[92:95], v2 offset:1136
	v_fmac_f64_e32 v[100:101], v[98:99], v[112:113]
	s_wait_loadcnt_dscnt 0x401
	v_mul_f64_e32 v[108:109], v[88:89], v[118:119]
	v_mul_f64_e32 v[110:111], v[90:91], v[118:119]
	s_wait_loadcnt_dscnt 0x300
	v_mul_f64_e32 v[98:99], v[92:93], v[122:123]
	v_add_f64_e32 v[4:5], v[4:5], v[106:107]
	v_add_f64_e32 v[8:9], v[8:9], v[102:103]
	v_mul_f64_e32 v[102:103], v[94:95], v[122:123]
	v_fmac_f64_e32 v[108:109], v[90:91], v[116:117]
	v_fma_f64 v[104:105], v[88:89], v[116:117], -v[110:111]
	v_fmac_f64_e32 v[98:99], v[94:95], v[120:121]
	v_add_f64_e32 v[96:97], v[4:5], v[96:97]
	v_add_f64_e32 v[8:9], v[8:9], v[100:101]
	ds_load_b128 v[88:91], v2 offset:1152
	ds_load_b128 v[2:5], v2 offset:1168
	v_fma_f64 v[92:93], v[92:93], v[120:121], -v[102:103]
	s_wait_loadcnt_dscnt 0x201
	v_mul_f64_e32 v[100:101], v[88:89], v[130:131]
	v_mul_f64_e32 v[106:107], v[90:91], v[130:131]
	v_add_f64_e32 v[94:95], v[96:97], v[104:105]
	v_add_f64_e32 v[8:9], v[8:9], v[108:109]
	s_wait_loadcnt_dscnt 0x0
	v_mul_f64_e32 v[96:97], v[2:3], v[12:13]
	v_mul_f64_e32 v[12:13], v[4:5], v[12:13]
	v_fmac_f64_e32 v[100:101], v[90:91], v[128:129]
	v_fma_f64 v[88:89], v[88:89], v[128:129], -v[106:107]
	v_add_f64_e32 v[90:91], v[94:95], v[92:93]
	v_add_f64_e32 v[8:9], v[8:9], v[98:99]
	v_fmac_f64_e32 v[96:97], v[4:5], v[10:11]
	v_fma_f64 v[2:3], v[2:3], v[10:11], -v[12:13]
	s_delay_alu instid0(VALU_DEP_4) | instskip(NEXT) | instid1(VALU_DEP_4)
	v_add_f64_e32 v[4:5], v[90:91], v[88:89]
	v_add_f64_e32 v[8:9], v[8:9], v[100:101]
	s_delay_alu instid0(VALU_DEP_2) | instskip(NEXT) | instid1(VALU_DEP_2)
	v_add_f64_e32 v[2:3], v[4:5], v[2:3]
	v_add_f64_e32 v[4:5], v[8:9], v[96:97]
	s_delay_alu instid0(VALU_DEP_2) | instskip(NEXT) | instid1(VALU_DEP_2)
	v_add_f64_e64 v[2:3], v[136:137], -v[2:3]
	v_add_f64_e64 v[4:5], v[138:139], -v[4:5]
	scratch_store_b128 off, v[2:5], off offset:384
	s_wait_xcnt 0x0
	v_cmpx_lt_u32_e32 23, v1
	s_cbranch_execz .LBB36_189
; %bb.188:
	scratch_load_b128 v[2:5], off, s24
	v_mov_b32_e32 v8, 0
	s_delay_alu instid0(VALU_DEP_1)
	v_dual_mov_b32 v9, v8 :: v_dual_mov_b32 v10, v8
	v_mov_b32_e32 v11, v8
	scratch_store_b128 off, v[8:11], off offset:368
	s_wait_loadcnt 0x0
	ds_store_b128 v6, v[2:5]
.LBB36_189:
	s_wait_xcnt 0x0
	s_or_b32 exec_lo, exec_lo, s2
	s_wait_storecnt_dscnt 0x0
	s_barrier_signal -1
	s_barrier_wait -1
	s_clause 0x9
	scratch_load_b128 v[8:11], off, off offset:384
	scratch_load_b128 v[88:91], off, off offset:400
	;; [unrolled: 1-line block ×10, first 2 shown]
	v_mov_b32_e32 v2, 0
	s_mov_b32 s2, exec_lo
	ds_load_b128 v[124:127], v2 offset:976
	s_clause 0x2
	scratch_load_b128 v[128:131], off, off offset:544
	scratch_load_b128 v[132:135], off, off offset:368
	;; [unrolled: 1-line block ×3, first 2 shown]
	s_wait_loadcnt_dscnt 0xc00
	v_mul_f64_e32 v[4:5], v[126:127], v[10:11]
	v_mul_f64_e32 v[148:149], v[124:125], v[10:11]
	ds_load_b128 v[136:139], v2 offset:992
	scratch_load_b128 v[10:13], off, off offset:560
	ds_load_b128 v[144:147], v2 offset:1024
	v_fma_f64 v[4:5], v[124:125], v[8:9], -v[4:5]
	v_fmac_f64_e32 v[148:149], v[126:127], v[8:9]
	ds_load_b128 v[124:127], v2 offset:1008
	s_wait_loadcnt_dscnt 0xc02
	v_mul_f64_e32 v[150:151], v[136:137], v[90:91]
	v_mul_f64_e32 v[90:91], v[138:139], v[90:91]
	s_wait_loadcnt_dscnt 0xb00
	v_mul_f64_e32 v[8:9], v[124:125], v[94:95]
	v_mul_f64_e32 v[94:95], v[126:127], v[94:95]
	v_add_f64_e32 v[4:5], 0, v[4:5]
	v_fmac_f64_e32 v[150:151], v[138:139], v[88:89]
	v_fma_f64 v[88:89], v[136:137], v[88:89], -v[90:91]
	v_add_f64_e32 v[90:91], 0, v[148:149]
	s_wait_loadcnt 0xa
	v_mul_f64_e32 v[136:137], v[144:145], v[98:99]
	v_mul_f64_e32 v[98:99], v[146:147], v[98:99]
	v_fmac_f64_e32 v[8:9], v[126:127], v[92:93]
	v_fma_f64 v[124:125], v[124:125], v[92:93], -v[94:95]
	v_add_f64_e32 v[4:5], v[4:5], v[88:89]
	v_add_f64_e32 v[126:127], v[90:91], v[150:151]
	ds_load_b128 v[88:91], v2 offset:1040
	ds_load_b128 v[92:95], v2 offset:1056
	v_fmac_f64_e32 v[136:137], v[146:147], v[96:97]
	v_fma_f64 v[96:97], v[144:145], v[96:97], -v[98:99]
	s_wait_loadcnt_dscnt 0x901
	v_mul_f64_e32 v[138:139], v[88:89], v[102:103]
	v_mul_f64_e32 v[102:103], v[90:91], v[102:103]
	v_add_f64_e32 v[4:5], v[4:5], v[124:125]
	v_add_f64_e32 v[8:9], v[126:127], v[8:9]
	s_wait_loadcnt_dscnt 0x800
	v_mul_f64_e32 v[124:125], v[92:93], v[106:107]
	v_mul_f64_e32 v[106:107], v[94:95], v[106:107]
	v_fmac_f64_e32 v[138:139], v[90:91], v[100:101]
	v_fma_f64 v[100:101], v[88:89], v[100:101], -v[102:103]
	v_add_f64_e32 v[4:5], v[4:5], v[96:97]
	v_add_f64_e32 v[8:9], v[8:9], v[136:137]
	ds_load_b128 v[88:91], v2 offset:1072
	ds_load_b128 v[96:99], v2 offset:1088
	v_fmac_f64_e32 v[124:125], v[94:95], v[104:105]
	v_fma_f64 v[92:93], v[92:93], v[104:105], -v[106:107]
	s_wait_loadcnt_dscnt 0x701
	v_mul_f64_e32 v[102:103], v[88:89], v[110:111]
	v_mul_f64_e32 v[110:111], v[90:91], v[110:111]
	s_wait_loadcnt_dscnt 0x600
	v_mul_f64_e32 v[104:105], v[98:99], v[114:115]
	v_add_f64_e32 v[4:5], v[4:5], v[100:101]
	v_add_f64_e32 v[8:9], v[8:9], v[138:139]
	v_mul_f64_e32 v[100:101], v[96:97], v[114:115]
	v_fmac_f64_e32 v[102:103], v[90:91], v[108:109]
	v_fma_f64 v[106:107], v[88:89], v[108:109], -v[110:111]
	v_fma_f64 v[96:97], v[96:97], v[112:113], -v[104:105]
	v_add_f64_e32 v[4:5], v[4:5], v[92:93]
	v_add_f64_e32 v[8:9], v[8:9], v[124:125]
	ds_load_b128 v[88:91], v2 offset:1104
	ds_load_b128 v[92:95], v2 offset:1120
	v_fmac_f64_e32 v[100:101], v[98:99], v[112:113]
	s_wait_loadcnt_dscnt 0x501
	v_mul_f64_e32 v[108:109], v[88:89], v[118:119]
	v_mul_f64_e32 v[110:111], v[90:91], v[118:119]
	s_wait_loadcnt_dscnt 0x400
	v_mul_f64_e32 v[104:105], v[94:95], v[122:123]
	v_add_f64_e32 v[4:5], v[4:5], v[106:107]
	v_add_f64_e32 v[8:9], v[8:9], v[102:103]
	v_mul_f64_e32 v[102:103], v[92:93], v[122:123]
	v_fmac_f64_e32 v[108:109], v[90:91], v[116:117]
	v_fma_f64 v[106:107], v[88:89], v[116:117], -v[110:111]
	v_fma_f64 v[92:93], v[92:93], v[120:121], -v[104:105]
	v_add_f64_e32 v[4:5], v[4:5], v[96:97]
	v_add_f64_e32 v[8:9], v[8:9], v[100:101]
	ds_load_b128 v[88:91], v2 offset:1136
	ds_load_b128 v[96:99], v2 offset:1152
	v_fmac_f64_e32 v[102:103], v[94:95], v[120:121]
	s_wait_loadcnt_dscnt 0x301
	v_mul_f64_e32 v[100:101], v[88:89], v[130:131]
	v_mul_f64_e32 v[110:111], v[90:91], v[130:131]
	s_wait_loadcnt_dscnt 0x0
	v_mul_f64_e32 v[94:95], v[96:97], v[12:13]
	v_add_f64_e32 v[4:5], v[4:5], v[106:107]
	v_add_f64_e32 v[8:9], v[8:9], v[108:109]
	v_mul_f64_e32 v[12:13], v[98:99], v[12:13]
	v_fmac_f64_e32 v[100:101], v[90:91], v[128:129]
	v_fma_f64 v[104:105], v[88:89], v[128:129], -v[110:111]
	ds_load_b128 v[88:91], v2 offset:1168
	v_fmac_f64_e32 v[94:95], v[98:99], v[10:11]
	v_add_f64_e32 v[4:5], v[4:5], v[92:93]
	v_add_f64_e32 v[8:9], v[8:9], v[102:103]
	v_fma_f64 v[10:11], v[96:97], v[10:11], -v[12:13]
	s_wait_dscnt 0x0
	v_mul_f64_e32 v[92:93], v[88:89], v[142:143]
	v_mul_f64_e32 v[102:103], v[90:91], v[142:143]
	v_add_f64_e32 v[4:5], v[4:5], v[104:105]
	v_add_f64_e32 v[8:9], v[8:9], v[100:101]
	s_delay_alu instid0(VALU_DEP_4) | instskip(NEXT) | instid1(VALU_DEP_4)
	v_fmac_f64_e32 v[92:93], v[90:91], v[140:141]
	v_fma_f64 v[12:13], v[88:89], v[140:141], -v[102:103]
	s_delay_alu instid0(VALU_DEP_4) | instskip(NEXT) | instid1(VALU_DEP_4)
	v_add_f64_e32 v[4:5], v[4:5], v[10:11]
	v_add_f64_e32 v[8:9], v[8:9], v[94:95]
	s_delay_alu instid0(VALU_DEP_2) | instskip(NEXT) | instid1(VALU_DEP_2)
	v_add_f64_e32 v[4:5], v[4:5], v[12:13]
	v_add_f64_e32 v[10:11], v[8:9], v[92:93]
	s_delay_alu instid0(VALU_DEP_2) | instskip(NEXT) | instid1(VALU_DEP_2)
	v_add_f64_e64 v[8:9], v[132:133], -v[4:5]
	v_add_f64_e64 v[10:11], v[134:135], -v[10:11]
	scratch_store_b128 off, v[8:11], off offset:368
	s_wait_xcnt 0x0
	v_cmpx_lt_u32_e32 22, v1
	s_cbranch_execz .LBB36_191
; %bb.190:
	scratch_load_b128 v[8:11], off, s29
	v_dual_mov_b32 v3, v2 :: v_dual_mov_b32 v4, v2
	v_mov_b32_e32 v5, v2
	scratch_store_b128 off, v[2:5], off offset:352
	s_wait_loadcnt 0x0
	ds_store_b128 v6, v[8:11]
.LBB36_191:
	s_wait_xcnt 0x0
	s_or_b32 exec_lo, exec_lo, s2
	s_wait_storecnt_dscnt 0x0
	s_barrier_signal -1
	s_barrier_wait -1
	s_clause 0x9
	scratch_load_b128 v[8:11], off, off offset:368
	scratch_load_b128 v[88:91], off, off offset:384
	;; [unrolled: 1-line block ×10, first 2 shown]
	ds_load_b128 v[124:127], v2 offset:960
	ds_load_b128 v[132:135], v2 offset:976
	s_clause 0x1
	scratch_load_b128 v[128:131], off, off offset:528
	scratch_load_b128 v[136:139], off, off offset:352
	s_mov_b32 s2, exec_lo
	s_wait_loadcnt_dscnt 0xb01
	v_mul_f64_e32 v[4:5], v[126:127], v[10:11]
	v_mul_f64_e32 v[148:149], v[124:125], v[10:11]
	scratch_load_b128 v[10:13], off, off offset:544
	s_wait_loadcnt_dscnt 0xb00
	v_mul_f64_e32 v[150:151], v[132:133], v[90:91]
	v_mul_f64_e32 v[90:91], v[134:135], v[90:91]
	v_fma_f64 v[4:5], v[124:125], v[8:9], -v[4:5]
	v_fmac_f64_e32 v[148:149], v[126:127], v[8:9]
	ds_load_b128 v[124:127], v2 offset:992
	ds_load_b128 v[140:143], v2 offset:1008
	scratch_load_b128 v[144:147], off, off offset:560
	v_fmac_f64_e32 v[150:151], v[134:135], v[88:89]
	v_fma_f64 v[132:133], v[132:133], v[88:89], -v[90:91]
	scratch_load_b128 v[88:91], off, off offset:576
	s_wait_loadcnt_dscnt 0xc01
	v_mul_f64_e32 v[8:9], v[124:125], v[94:95]
	v_mul_f64_e32 v[94:95], v[126:127], v[94:95]
	v_add_f64_e32 v[4:5], 0, v[4:5]
	v_add_f64_e32 v[134:135], 0, v[148:149]
	s_wait_loadcnt_dscnt 0xb00
	v_mul_f64_e32 v[148:149], v[140:141], v[98:99]
	v_mul_f64_e32 v[98:99], v[142:143], v[98:99]
	v_fmac_f64_e32 v[8:9], v[126:127], v[92:93]
	v_fma_f64 v[152:153], v[124:125], v[92:93], -v[94:95]
	ds_load_b128 v[92:95], v2 offset:1024
	ds_load_b128 v[124:127], v2 offset:1040
	v_add_f64_e32 v[4:5], v[4:5], v[132:133]
	v_add_f64_e32 v[132:133], v[134:135], v[150:151]
	v_fmac_f64_e32 v[148:149], v[142:143], v[96:97]
	v_fma_f64 v[96:97], v[140:141], v[96:97], -v[98:99]
	s_wait_loadcnt_dscnt 0xa01
	v_mul_f64_e32 v[134:135], v[92:93], v[102:103]
	v_mul_f64_e32 v[102:103], v[94:95], v[102:103]
	v_add_f64_e32 v[4:5], v[4:5], v[152:153]
	v_add_f64_e32 v[8:9], v[132:133], v[8:9]
	s_wait_loadcnt_dscnt 0x900
	v_mul_f64_e32 v[132:133], v[124:125], v[106:107]
	v_mul_f64_e32 v[106:107], v[126:127], v[106:107]
	v_fmac_f64_e32 v[134:135], v[94:95], v[100:101]
	v_fma_f64 v[100:101], v[92:93], v[100:101], -v[102:103]
	v_add_f64_e32 v[4:5], v[4:5], v[96:97]
	v_add_f64_e32 v[8:9], v[8:9], v[148:149]
	ds_load_b128 v[92:95], v2 offset:1056
	ds_load_b128 v[96:99], v2 offset:1072
	v_fmac_f64_e32 v[132:133], v[126:127], v[104:105]
	v_fma_f64 v[104:105], v[124:125], v[104:105], -v[106:107]
	s_wait_loadcnt_dscnt 0x801
	v_mul_f64_e32 v[140:141], v[92:93], v[110:111]
	v_mul_f64_e32 v[102:103], v[94:95], v[110:111]
	s_wait_loadcnt_dscnt 0x700
	v_mul_f64_e32 v[106:107], v[96:97], v[114:115]
	v_mul_f64_e32 v[110:111], v[98:99], v[114:115]
	v_add_f64_e32 v[4:5], v[4:5], v[100:101]
	v_add_f64_e32 v[8:9], v[8:9], v[134:135]
	v_fmac_f64_e32 v[140:141], v[94:95], v[108:109]
	v_fma_f64 v[108:109], v[92:93], v[108:109], -v[102:103]
	ds_load_b128 v[92:95], v2 offset:1088
	ds_load_b128 v[100:103], v2 offset:1104
	v_fmac_f64_e32 v[106:107], v[98:99], v[112:113]
	v_fma_f64 v[96:97], v[96:97], v[112:113], -v[110:111]
	v_add_f64_e32 v[4:5], v[4:5], v[104:105]
	v_add_f64_e32 v[8:9], v[8:9], v[132:133]
	s_wait_loadcnt_dscnt 0x601
	v_mul_f64_e32 v[104:105], v[92:93], v[118:119]
	v_mul_f64_e32 v[114:115], v[94:95], v[118:119]
	s_wait_loadcnt_dscnt 0x500
	v_mul_f64_e32 v[110:111], v[102:103], v[122:123]
	v_add_f64_e32 v[4:5], v[4:5], v[108:109]
	v_add_f64_e32 v[8:9], v[8:9], v[140:141]
	v_mul_f64_e32 v[108:109], v[100:101], v[122:123]
	v_fmac_f64_e32 v[104:105], v[94:95], v[116:117]
	v_fma_f64 v[112:113], v[92:93], v[116:117], -v[114:115]
	v_fma_f64 v[100:101], v[100:101], v[120:121], -v[110:111]
	v_add_f64_e32 v[4:5], v[4:5], v[96:97]
	v_add_f64_e32 v[8:9], v[8:9], v[106:107]
	ds_load_b128 v[92:95], v2 offset:1120
	ds_load_b128 v[96:99], v2 offset:1136
	v_fmac_f64_e32 v[108:109], v[102:103], v[120:121]
	s_wait_loadcnt_dscnt 0x401
	v_mul_f64_e32 v[106:107], v[92:93], v[130:131]
	v_mul_f64_e32 v[114:115], v[94:95], v[130:131]
	v_add_f64_e32 v[4:5], v[4:5], v[112:113]
	v_add_f64_e32 v[8:9], v[8:9], v[104:105]
	s_wait_loadcnt_dscnt 0x200
	v_mul_f64_e32 v[102:103], v[96:97], v[12:13]
	v_mul_f64_e32 v[12:13], v[98:99], v[12:13]
	v_fmac_f64_e32 v[106:107], v[94:95], v[128:129]
	v_fma_f64 v[104:105], v[92:93], v[128:129], -v[114:115]
	v_add_f64_e32 v[100:101], v[4:5], v[100:101]
	v_add_f64_e32 v[8:9], v[8:9], v[108:109]
	ds_load_b128 v[92:95], v2 offset:1152
	ds_load_b128 v[2:5], v2 offset:1168
	v_fmac_f64_e32 v[102:103], v[98:99], v[10:11]
	v_fma_f64 v[10:11], v[96:97], v[10:11], -v[12:13]
	s_wait_loadcnt_dscnt 0x101
	v_mul_f64_e32 v[108:109], v[92:93], v[146:147]
	v_mul_f64_e32 v[110:111], v[94:95], v[146:147]
	s_wait_loadcnt_dscnt 0x0
	v_mul_f64_e32 v[96:97], v[2:3], v[90:91]
	v_mul_f64_e32 v[90:91], v[4:5], v[90:91]
	v_add_f64_e32 v[12:13], v[100:101], v[104:105]
	v_add_f64_e32 v[8:9], v[8:9], v[106:107]
	v_fmac_f64_e32 v[108:109], v[94:95], v[144:145]
	v_fma_f64 v[92:93], v[92:93], v[144:145], -v[110:111]
	v_fmac_f64_e32 v[96:97], v[4:5], v[88:89]
	v_fma_f64 v[2:3], v[2:3], v[88:89], -v[90:91]
	v_add_f64_e32 v[10:11], v[12:13], v[10:11]
	v_add_f64_e32 v[8:9], v[8:9], v[102:103]
	s_delay_alu instid0(VALU_DEP_2) | instskip(NEXT) | instid1(VALU_DEP_2)
	v_add_f64_e32 v[4:5], v[10:11], v[92:93]
	v_add_f64_e32 v[8:9], v[8:9], v[108:109]
	s_delay_alu instid0(VALU_DEP_2) | instskip(NEXT) | instid1(VALU_DEP_2)
	;; [unrolled: 3-line block ×3, first 2 shown]
	v_add_f64_e64 v[2:3], v[136:137], -v[2:3]
	v_add_f64_e64 v[4:5], v[138:139], -v[4:5]
	scratch_store_b128 off, v[2:5], off offset:352
	s_wait_xcnt 0x0
	v_cmpx_lt_u32_e32 21, v1
	s_cbranch_execz .LBB36_193
; %bb.192:
	scratch_load_b128 v[2:5], off, s27
	v_mov_b32_e32 v8, 0
	s_delay_alu instid0(VALU_DEP_1)
	v_dual_mov_b32 v9, v8 :: v_dual_mov_b32 v10, v8
	v_mov_b32_e32 v11, v8
	scratch_store_b128 off, v[8:11], off offset:336
	s_wait_loadcnt 0x0
	ds_store_b128 v6, v[2:5]
.LBB36_193:
	s_wait_xcnt 0x0
	s_or_b32 exec_lo, exec_lo, s2
	s_wait_storecnt_dscnt 0x0
	s_barrier_signal -1
	s_barrier_wait -1
	s_clause 0x9
	scratch_load_b128 v[8:11], off, off offset:352
	scratch_load_b128 v[88:91], off, off offset:368
	;; [unrolled: 1-line block ×10, first 2 shown]
	v_mov_b32_e32 v2, 0
	s_mov_b32 s2, exec_lo
	ds_load_b128 v[124:127], v2 offset:944
	s_clause 0x2
	scratch_load_b128 v[128:131], off, off offset:512
	scratch_load_b128 v[132:135], off, off offset:336
	;; [unrolled: 1-line block ×3, first 2 shown]
	s_wait_loadcnt_dscnt 0xc00
	v_mul_f64_e32 v[4:5], v[126:127], v[10:11]
	v_mul_f64_e32 v[148:149], v[124:125], v[10:11]
	ds_load_b128 v[136:139], v2 offset:960
	scratch_load_b128 v[10:13], off, off offset:528
	ds_load_b128 v[144:147], v2 offset:992
	v_fma_f64 v[4:5], v[124:125], v[8:9], -v[4:5]
	v_fmac_f64_e32 v[148:149], v[126:127], v[8:9]
	ds_load_b128 v[124:127], v2 offset:976
	s_wait_loadcnt_dscnt 0xc02
	v_mul_f64_e32 v[150:151], v[136:137], v[90:91]
	v_mul_f64_e32 v[90:91], v[138:139], v[90:91]
	s_wait_loadcnt_dscnt 0xb00
	v_mul_f64_e32 v[8:9], v[124:125], v[94:95]
	v_mul_f64_e32 v[94:95], v[126:127], v[94:95]
	v_add_f64_e32 v[4:5], 0, v[4:5]
	v_fmac_f64_e32 v[150:151], v[138:139], v[88:89]
	v_fma_f64 v[136:137], v[136:137], v[88:89], -v[90:91]
	v_add_f64_e32 v[138:139], 0, v[148:149]
	scratch_load_b128 v[88:91], off, off offset:560
	v_fmac_f64_e32 v[8:9], v[126:127], v[92:93]
	v_fma_f64 v[152:153], v[124:125], v[92:93], -v[94:95]
	ds_load_b128 v[92:95], v2 offset:1008
	s_wait_loadcnt 0xb
	v_mul_f64_e32 v[148:149], v[144:145], v[98:99]
	v_mul_f64_e32 v[98:99], v[146:147], v[98:99]
	scratch_load_b128 v[124:127], off, off offset:576
	v_add_f64_e32 v[4:5], v[4:5], v[136:137]
	v_add_f64_e32 v[150:151], v[138:139], v[150:151]
	ds_load_b128 v[136:139], v2 offset:1024
	s_wait_loadcnt_dscnt 0xb01
	v_mul_f64_e32 v[154:155], v[92:93], v[102:103]
	v_mul_f64_e32 v[102:103], v[94:95], v[102:103]
	v_fmac_f64_e32 v[148:149], v[146:147], v[96:97]
	v_fma_f64 v[96:97], v[144:145], v[96:97], -v[98:99]
	s_wait_loadcnt_dscnt 0xa00
	v_mul_f64_e32 v[144:145], v[136:137], v[106:107]
	v_mul_f64_e32 v[106:107], v[138:139], v[106:107]
	v_add_f64_e32 v[4:5], v[4:5], v[152:153]
	v_add_f64_e32 v[8:9], v[150:151], v[8:9]
	v_fmac_f64_e32 v[154:155], v[94:95], v[100:101]
	v_fma_f64 v[100:101], v[92:93], v[100:101], -v[102:103]
	v_fmac_f64_e32 v[144:145], v[138:139], v[104:105]
	v_fma_f64 v[104:105], v[136:137], v[104:105], -v[106:107]
	v_add_f64_e32 v[4:5], v[4:5], v[96:97]
	v_add_f64_e32 v[8:9], v[8:9], v[148:149]
	ds_load_b128 v[92:95], v2 offset:1040
	ds_load_b128 v[96:99], v2 offset:1056
	s_wait_loadcnt_dscnt 0x901
	v_mul_f64_e32 v[146:147], v[92:93], v[110:111]
	v_mul_f64_e32 v[102:103], v[94:95], v[110:111]
	s_wait_loadcnt_dscnt 0x800
	v_mul_f64_e32 v[106:107], v[96:97], v[114:115]
	v_mul_f64_e32 v[110:111], v[98:99], v[114:115]
	v_add_f64_e32 v[4:5], v[4:5], v[100:101]
	v_add_f64_e32 v[8:9], v[8:9], v[154:155]
	v_fmac_f64_e32 v[146:147], v[94:95], v[108:109]
	v_fma_f64 v[108:109], v[92:93], v[108:109], -v[102:103]
	ds_load_b128 v[92:95], v2 offset:1072
	ds_load_b128 v[100:103], v2 offset:1088
	v_fmac_f64_e32 v[106:107], v[98:99], v[112:113]
	v_fma_f64 v[96:97], v[96:97], v[112:113], -v[110:111]
	v_add_f64_e32 v[4:5], v[4:5], v[104:105]
	v_add_f64_e32 v[8:9], v[8:9], v[144:145]
	s_wait_loadcnt_dscnt 0x701
	v_mul_f64_e32 v[104:105], v[92:93], v[118:119]
	v_mul_f64_e32 v[114:115], v[94:95], v[118:119]
	s_wait_loadcnt_dscnt 0x600
	v_mul_f64_e32 v[110:111], v[102:103], v[122:123]
	v_add_f64_e32 v[4:5], v[4:5], v[108:109]
	v_add_f64_e32 v[8:9], v[8:9], v[146:147]
	v_mul_f64_e32 v[108:109], v[100:101], v[122:123]
	v_fmac_f64_e32 v[104:105], v[94:95], v[116:117]
	v_fma_f64 v[112:113], v[92:93], v[116:117], -v[114:115]
	v_fma_f64 v[100:101], v[100:101], v[120:121], -v[110:111]
	v_add_f64_e32 v[4:5], v[4:5], v[96:97]
	v_add_f64_e32 v[8:9], v[8:9], v[106:107]
	ds_load_b128 v[92:95], v2 offset:1104
	ds_load_b128 v[96:99], v2 offset:1120
	v_fmac_f64_e32 v[108:109], v[102:103], v[120:121]
	s_wait_loadcnt_dscnt 0x501
	v_mul_f64_e32 v[106:107], v[92:93], v[130:131]
	v_mul_f64_e32 v[114:115], v[94:95], v[130:131]
	v_add_f64_e32 v[4:5], v[4:5], v[112:113]
	v_add_f64_e32 v[8:9], v[8:9], v[104:105]
	s_wait_loadcnt_dscnt 0x200
	v_mul_f64_e32 v[104:105], v[96:97], v[12:13]
	v_mul_f64_e32 v[12:13], v[98:99], v[12:13]
	v_fmac_f64_e32 v[106:107], v[94:95], v[128:129]
	v_fma_f64 v[110:111], v[92:93], v[128:129], -v[114:115]
	v_add_f64_e32 v[4:5], v[4:5], v[100:101]
	v_add_f64_e32 v[8:9], v[8:9], v[108:109]
	ds_load_b128 v[92:95], v2 offset:1136
	ds_load_b128 v[100:103], v2 offset:1152
	v_fmac_f64_e32 v[104:105], v[98:99], v[10:11]
	v_fma_f64 v[10:11], v[96:97], v[10:11], -v[12:13]
	s_wait_dscnt 0x1
	v_mul_f64_e32 v[108:109], v[92:93], v[142:143]
	v_mul_f64_e32 v[112:113], v[94:95], v[142:143]
	v_add_f64_e32 v[4:5], v[4:5], v[110:111]
	v_add_f64_e32 v[8:9], v[8:9], v[106:107]
	s_wait_loadcnt_dscnt 0x100
	v_mul_f64_e32 v[12:13], v[100:101], v[90:91]
	v_mul_f64_e32 v[90:91], v[102:103], v[90:91]
	v_fmac_f64_e32 v[108:109], v[94:95], v[140:141]
	v_fma_f64 v[92:93], v[92:93], v[140:141], -v[112:113]
	v_add_f64_e32 v[4:5], v[4:5], v[10:11]
	v_add_f64_e32 v[94:95], v[8:9], v[104:105]
	ds_load_b128 v[8:11], v2 offset:1168
	v_fmac_f64_e32 v[12:13], v[102:103], v[88:89]
	v_fma_f64 v[88:89], v[100:101], v[88:89], -v[90:91]
	s_wait_loadcnt_dscnt 0x0
	v_mul_f64_e32 v[96:97], v[8:9], v[126:127]
	v_mul_f64_e32 v[98:99], v[10:11], v[126:127]
	v_add_f64_e32 v[4:5], v[4:5], v[92:93]
	v_add_f64_e32 v[90:91], v[94:95], v[108:109]
	s_delay_alu instid0(VALU_DEP_4) | instskip(NEXT) | instid1(VALU_DEP_4)
	v_fmac_f64_e32 v[96:97], v[10:11], v[124:125]
	v_fma_f64 v[8:9], v[8:9], v[124:125], -v[98:99]
	s_delay_alu instid0(VALU_DEP_4) | instskip(NEXT) | instid1(VALU_DEP_4)
	v_add_f64_e32 v[4:5], v[4:5], v[88:89]
	v_add_f64_e32 v[10:11], v[90:91], v[12:13]
	s_delay_alu instid0(VALU_DEP_2) | instskip(NEXT) | instid1(VALU_DEP_2)
	v_add_f64_e32 v[4:5], v[4:5], v[8:9]
	v_add_f64_e32 v[10:11], v[10:11], v[96:97]
	s_delay_alu instid0(VALU_DEP_2) | instskip(NEXT) | instid1(VALU_DEP_2)
	v_add_f64_e64 v[8:9], v[132:133], -v[4:5]
	v_add_f64_e64 v[10:11], v[134:135], -v[10:11]
	scratch_store_b128 off, v[8:11], off offset:336
	s_wait_xcnt 0x0
	v_cmpx_lt_u32_e32 20, v1
	s_cbranch_execz .LBB36_195
; %bb.194:
	scratch_load_b128 v[8:11], off, s34
	v_dual_mov_b32 v3, v2 :: v_dual_mov_b32 v4, v2
	v_mov_b32_e32 v5, v2
	scratch_store_b128 off, v[2:5], off offset:320
	s_wait_loadcnt 0x0
	ds_store_b128 v6, v[8:11]
.LBB36_195:
	s_wait_xcnt 0x0
	s_or_b32 exec_lo, exec_lo, s2
	s_wait_storecnt_dscnt 0x0
	s_barrier_signal -1
	s_barrier_wait -1
	s_clause 0x9
	scratch_load_b128 v[8:11], off, off offset:336
	scratch_load_b128 v[88:91], off, off offset:352
	;; [unrolled: 1-line block ×10, first 2 shown]
	ds_load_b128 v[124:127], v2 offset:928
	ds_load_b128 v[132:135], v2 offset:944
	s_clause 0x1
	scratch_load_b128 v[128:131], off, off offset:496
	scratch_load_b128 v[136:139], off, off offset:320
	s_mov_b32 s2, exec_lo
	s_wait_loadcnt_dscnt 0xb01
	v_mul_f64_e32 v[4:5], v[126:127], v[10:11]
	v_mul_f64_e32 v[148:149], v[124:125], v[10:11]
	scratch_load_b128 v[10:13], off, off offset:512
	s_wait_loadcnt_dscnt 0xb00
	v_mul_f64_e32 v[150:151], v[132:133], v[90:91]
	v_mul_f64_e32 v[90:91], v[134:135], v[90:91]
	v_fma_f64 v[4:5], v[124:125], v[8:9], -v[4:5]
	v_fmac_f64_e32 v[148:149], v[126:127], v[8:9]
	ds_load_b128 v[124:127], v2 offset:960
	ds_load_b128 v[140:143], v2 offset:976
	scratch_load_b128 v[144:147], off, off offset:528
	v_fmac_f64_e32 v[150:151], v[134:135], v[88:89]
	v_fma_f64 v[132:133], v[132:133], v[88:89], -v[90:91]
	scratch_load_b128 v[88:91], off, off offset:544
	s_wait_loadcnt_dscnt 0xc01
	v_mul_f64_e32 v[8:9], v[124:125], v[94:95]
	v_mul_f64_e32 v[94:95], v[126:127], v[94:95]
	v_add_f64_e32 v[4:5], 0, v[4:5]
	v_add_f64_e32 v[134:135], 0, v[148:149]
	s_wait_loadcnt_dscnt 0xb00
	v_mul_f64_e32 v[148:149], v[140:141], v[98:99]
	v_mul_f64_e32 v[98:99], v[142:143], v[98:99]
	v_fmac_f64_e32 v[8:9], v[126:127], v[92:93]
	v_fma_f64 v[152:153], v[124:125], v[92:93], -v[94:95]
	ds_load_b128 v[92:95], v2 offset:992
	ds_load_b128 v[124:127], v2 offset:1008
	v_add_f64_e32 v[4:5], v[4:5], v[132:133]
	v_add_f64_e32 v[150:151], v[134:135], v[150:151]
	scratch_load_b128 v[132:135], off, off offset:560
	v_fmac_f64_e32 v[148:149], v[142:143], v[96:97]
	v_fma_f64 v[140:141], v[140:141], v[96:97], -v[98:99]
	scratch_load_b128 v[96:99], off, off offset:576
	s_wait_loadcnt_dscnt 0xc01
	v_mul_f64_e32 v[154:155], v[92:93], v[102:103]
	v_mul_f64_e32 v[102:103], v[94:95], v[102:103]
	s_wait_loadcnt_dscnt 0xb00
	v_mul_f64_e32 v[142:143], v[124:125], v[106:107]
	v_mul_f64_e32 v[106:107], v[126:127], v[106:107]
	v_add_f64_e32 v[4:5], v[4:5], v[152:153]
	v_add_f64_e32 v[8:9], v[150:151], v[8:9]
	v_fmac_f64_e32 v[154:155], v[94:95], v[100:101]
	v_fma_f64 v[150:151], v[92:93], v[100:101], -v[102:103]
	ds_load_b128 v[92:95], v2 offset:1024
	ds_load_b128 v[100:103], v2 offset:1040
	v_fmac_f64_e32 v[142:143], v[126:127], v[104:105]
	v_fma_f64 v[104:105], v[124:125], v[104:105], -v[106:107]
	s_wait_loadcnt_dscnt 0x900
	v_mul_f64_e32 v[124:125], v[100:101], v[114:115]
	v_add_f64_e32 v[4:5], v[4:5], v[140:141]
	v_add_f64_e32 v[8:9], v[8:9], v[148:149]
	v_mul_f64_e32 v[140:141], v[92:93], v[110:111]
	v_mul_f64_e32 v[110:111], v[94:95], v[110:111]
	;; [unrolled: 1-line block ×3, first 2 shown]
	v_fmac_f64_e32 v[124:125], v[102:103], v[112:113]
	v_add_f64_e32 v[4:5], v[4:5], v[150:151]
	v_add_f64_e32 v[8:9], v[8:9], v[154:155]
	v_fmac_f64_e32 v[140:141], v[94:95], v[108:109]
	v_fma_f64 v[108:109], v[92:93], v[108:109], -v[110:111]
	v_fma_f64 v[100:101], v[100:101], v[112:113], -v[114:115]
	v_add_f64_e32 v[4:5], v[4:5], v[104:105]
	v_add_f64_e32 v[8:9], v[8:9], v[142:143]
	ds_load_b128 v[92:95], v2 offset:1056
	ds_load_b128 v[104:107], v2 offset:1072
	s_wait_loadcnt_dscnt 0x801
	v_mul_f64_e32 v[110:111], v[92:93], v[118:119]
	v_mul_f64_e32 v[118:119], v[94:95], v[118:119]
	s_wait_loadcnt_dscnt 0x700
	v_mul_f64_e32 v[112:113], v[106:107], v[122:123]
	v_add_f64_e32 v[4:5], v[4:5], v[108:109]
	v_add_f64_e32 v[8:9], v[8:9], v[140:141]
	v_mul_f64_e32 v[108:109], v[104:105], v[122:123]
	v_fmac_f64_e32 v[110:111], v[94:95], v[116:117]
	v_fma_f64 v[114:115], v[92:93], v[116:117], -v[118:119]
	v_fma_f64 v[104:105], v[104:105], v[120:121], -v[112:113]
	v_add_f64_e32 v[4:5], v[4:5], v[100:101]
	v_add_f64_e32 v[8:9], v[8:9], v[124:125]
	ds_load_b128 v[92:95], v2 offset:1088
	ds_load_b128 v[100:103], v2 offset:1104
	v_fmac_f64_e32 v[108:109], v[106:107], v[120:121]
	s_wait_loadcnt_dscnt 0x601
	v_mul_f64_e32 v[116:117], v[92:93], v[130:131]
	v_mul_f64_e32 v[118:119], v[94:95], v[130:131]
	v_add_f64_e32 v[4:5], v[4:5], v[114:115]
	v_add_f64_e32 v[8:9], v[8:9], v[110:111]
	s_wait_loadcnt_dscnt 0x400
	v_mul_f64_e32 v[110:111], v[100:101], v[12:13]
	v_mul_f64_e32 v[12:13], v[102:103], v[12:13]
	v_fmac_f64_e32 v[116:117], v[94:95], v[128:129]
	v_fma_f64 v[112:113], v[92:93], v[128:129], -v[118:119]
	v_add_f64_e32 v[4:5], v[4:5], v[104:105]
	v_add_f64_e32 v[8:9], v[8:9], v[108:109]
	ds_load_b128 v[92:95], v2 offset:1120
	ds_load_b128 v[104:107], v2 offset:1136
	v_fmac_f64_e32 v[110:111], v[102:103], v[10:11]
	v_fma_f64 v[10:11], v[100:101], v[10:11], -v[12:13]
	s_wait_loadcnt_dscnt 0x301
	v_mul_f64_e32 v[108:109], v[92:93], v[146:147]
	v_mul_f64_e32 v[114:115], v[94:95], v[146:147]
	s_wait_loadcnt_dscnt 0x200
	v_mul_f64_e32 v[12:13], v[104:105], v[90:91]
	v_mul_f64_e32 v[90:91], v[106:107], v[90:91]
	v_add_f64_e32 v[4:5], v[4:5], v[112:113]
	v_add_f64_e32 v[8:9], v[8:9], v[116:117]
	v_fmac_f64_e32 v[108:109], v[94:95], v[144:145]
	v_fma_f64 v[92:93], v[92:93], v[144:145], -v[114:115]
	v_fmac_f64_e32 v[12:13], v[106:107], v[88:89]
	v_fma_f64 v[88:89], v[104:105], v[88:89], -v[90:91]
	v_add_f64_e32 v[94:95], v[4:5], v[10:11]
	v_add_f64_e32 v[100:101], v[8:9], v[110:111]
	ds_load_b128 v[8:11], v2 offset:1152
	ds_load_b128 v[2:5], v2 offset:1168
	s_wait_loadcnt_dscnt 0x101
	v_mul_f64_e32 v[102:103], v[8:9], v[134:135]
	v_mul_f64_e32 v[110:111], v[10:11], v[134:135]
	v_add_f64_e32 v[90:91], v[94:95], v[92:93]
	v_add_f64_e32 v[92:93], v[100:101], v[108:109]
	s_wait_loadcnt_dscnt 0x0
	v_mul_f64_e32 v[94:95], v[2:3], v[98:99]
	v_mul_f64_e32 v[98:99], v[4:5], v[98:99]
	v_fmac_f64_e32 v[102:103], v[10:11], v[132:133]
	v_fma_f64 v[8:9], v[8:9], v[132:133], -v[110:111]
	v_add_f64_e32 v[10:11], v[90:91], v[88:89]
	v_add_f64_e32 v[12:13], v[92:93], v[12:13]
	v_fmac_f64_e32 v[94:95], v[4:5], v[96:97]
	v_fma_f64 v[2:3], v[2:3], v[96:97], -v[98:99]
	s_delay_alu instid0(VALU_DEP_4) | instskip(NEXT) | instid1(VALU_DEP_4)
	v_add_f64_e32 v[4:5], v[10:11], v[8:9]
	v_add_f64_e32 v[8:9], v[12:13], v[102:103]
	s_delay_alu instid0(VALU_DEP_2) | instskip(NEXT) | instid1(VALU_DEP_2)
	v_add_f64_e32 v[2:3], v[4:5], v[2:3]
	v_add_f64_e32 v[4:5], v[8:9], v[94:95]
	s_delay_alu instid0(VALU_DEP_2) | instskip(NEXT) | instid1(VALU_DEP_2)
	v_add_f64_e64 v[2:3], v[136:137], -v[2:3]
	v_add_f64_e64 v[4:5], v[138:139], -v[4:5]
	scratch_store_b128 off, v[2:5], off offset:320
	s_wait_xcnt 0x0
	v_cmpx_lt_u32_e32 19, v1
	s_cbranch_execz .LBB36_197
; %bb.196:
	scratch_load_b128 v[2:5], off, s33
	v_mov_b32_e32 v8, 0
	s_delay_alu instid0(VALU_DEP_1)
	v_dual_mov_b32 v9, v8 :: v_dual_mov_b32 v10, v8
	v_mov_b32_e32 v11, v8
	scratch_store_b128 off, v[8:11], off offset:304
	s_wait_loadcnt 0x0
	ds_store_b128 v6, v[2:5]
.LBB36_197:
	s_wait_xcnt 0x0
	s_or_b32 exec_lo, exec_lo, s2
	s_wait_storecnt_dscnt 0x0
	s_barrier_signal -1
	s_barrier_wait -1
	s_clause 0x9
	scratch_load_b128 v[8:11], off, off offset:320
	scratch_load_b128 v[88:91], off, off offset:336
	;; [unrolled: 1-line block ×10, first 2 shown]
	v_mov_b32_e32 v2, 0
	s_mov_b32 s2, exec_lo
	ds_load_b128 v[124:127], v2 offset:912
	s_clause 0x2
	scratch_load_b128 v[128:131], off, off offset:480
	scratch_load_b128 v[132:135], off, off offset:304
	;; [unrolled: 1-line block ×3, first 2 shown]
	s_wait_loadcnt_dscnt 0xc00
	v_mul_f64_e32 v[4:5], v[126:127], v[10:11]
	v_mul_f64_e32 v[148:149], v[124:125], v[10:11]
	ds_load_b128 v[136:139], v2 offset:928
	scratch_load_b128 v[10:13], off, off offset:496
	ds_load_b128 v[144:147], v2 offset:960
	v_fma_f64 v[4:5], v[124:125], v[8:9], -v[4:5]
	v_fmac_f64_e32 v[148:149], v[126:127], v[8:9]
	ds_load_b128 v[124:127], v2 offset:944
	s_wait_loadcnt_dscnt 0xc02
	v_mul_f64_e32 v[150:151], v[136:137], v[90:91]
	v_mul_f64_e32 v[90:91], v[138:139], v[90:91]
	s_wait_loadcnt_dscnt 0xb00
	v_mul_f64_e32 v[8:9], v[124:125], v[94:95]
	v_mul_f64_e32 v[94:95], v[126:127], v[94:95]
	v_add_f64_e32 v[4:5], 0, v[4:5]
	v_fmac_f64_e32 v[150:151], v[138:139], v[88:89]
	v_fma_f64 v[136:137], v[136:137], v[88:89], -v[90:91]
	v_add_f64_e32 v[138:139], 0, v[148:149]
	scratch_load_b128 v[88:91], off, off offset:528
	v_fmac_f64_e32 v[8:9], v[126:127], v[92:93]
	v_fma_f64 v[152:153], v[124:125], v[92:93], -v[94:95]
	ds_load_b128 v[92:95], v2 offset:976
	s_wait_loadcnt 0xb
	v_mul_f64_e32 v[148:149], v[144:145], v[98:99]
	v_mul_f64_e32 v[98:99], v[146:147], v[98:99]
	scratch_load_b128 v[124:127], off, off offset:544
	v_add_f64_e32 v[4:5], v[4:5], v[136:137]
	v_add_f64_e32 v[150:151], v[138:139], v[150:151]
	ds_load_b128 v[136:139], v2 offset:992
	s_wait_loadcnt_dscnt 0xb01
	v_mul_f64_e32 v[154:155], v[92:93], v[102:103]
	v_mul_f64_e32 v[102:103], v[94:95], v[102:103]
	v_fmac_f64_e32 v[148:149], v[146:147], v[96:97]
	v_fma_f64 v[144:145], v[144:145], v[96:97], -v[98:99]
	scratch_load_b128 v[96:99], off, off offset:560
	v_add_f64_e32 v[4:5], v[4:5], v[152:153]
	v_add_f64_e32 v[8:9], v[150:151], v[8:9]
	v_fmac_f64_e32 v[154:155], v[94:95], v[100:101]
	v_fma_f64 v[152:153], v[92:93], v[100:101], -v[102:103]
	ds_load_b128 v[92:95], v2 offset:1008
	s_wait_loadcnt_dscnt 0xb01
	v_mul_f64_e32 v[150:151], v[136:137], v[106:107]
	v_mul_f64_e32 v[106:107], v[138:139], v[106:107]
	scratch_load_b128 v[100:103], off, off offset:576
	v_add_f64_e32 v[4:5], v[4:5], v[144:145]
	v_add_f64_e32 v[8:9], v[8:9], v[148:149]
	s_wait_loadcnt_dscnt 0xb00
	v_mul_f64_e32 v[148:149], v[92:93], v[110:111]
	v_mul_f64_e32 v[110:111], v[94:95], v[110:111]
	ds_load_b128 v[144:147], v2 offset:1024
	v_fmac_f64_e32 v[150:151], v[138:139], v[104:105]
	v_fma_f64 v[104:105], v[136:137], v[104:105], -v[106:107]
	s_wait_loadcnt_dscnt 0xa00
	v_mul_f64_e32 v[136:137], v[144:145], v[114:115]
	v_mul_f64_e32 v[114:115], v[146:147], v[114:115]
	v_add_f64_e32 v[4:5], v[4:5], v[152:153]
	v_add_f64_e32 v[8:9], v[8:9], v[154:155]
	v_fmac_f64_e32 v[148:149], v[94:95], v[108:109]
	v_fma_f64 v[108:109], v[92:93], v[108:109], -v[110:111]
	v_fmac_f64_e32 v[136:137], v[146:147], v[112:113]
	v_fma_f64 v[112:113], v[144:145], v[112:113], -v[114:115]
	v_add_f64_e32 v[4:5], v[4:5], v[104:105]
	v_add_f64_e32 v[8:9], v[8:9], v[150:151]
	ds_load_b128 v[92:95], v2 offset:1040
	ds_load_b128 v[104:107], v2 offset:1056
	s_wait_loadcnt_dscnt 0x901
	v_mul_f64_e32 v[138:139], v[92:93], v[118:119]
	v_mul_f64_e32 v[110:111], v[94:95], v[118:119]
	s_wait_loadcnt_dscnt 0x800
	v_mul_f64_e32 v[114:115], v[104:105], v[122:123]
	v_mul_f64_e32 v[118:119], v[106:107], v[122:123]
	v_add_f64_e32 v[4:5], v[4:5], v[108:109]
	v_add_f64_e32 v[8:9], v[8:9], v[148:149]
	v_fmac_f64_e32 v[138:139], v[94:95], v[116:117]
	v_fma_f64 v[116:117], v[92:93], v[116:117], -v[110:111]
	ds_load_b128 v[92:95], v2 offset:1072
	ds_load_b128 v[108:111], v2 offset:1088
	v_fmac_f64_e32 v[114:115], v[106:107], v[120:121]
	v_fma_f64 v[104:105], v[104:105], v[120:121], -v[118:119]
	v_add_f64_e32 v[4:5], v[4:5], v[112:113]
	v_add_f64_e32 v[8:9], v[8:9], v[136:137]
	s_wait_loadcnt_dscnt 0x701
	v_mul_f64_e32 v[112:113], v[92:93], v[130:131]
	v_mul_f64_e32 v[122:123], v[94:95], v[130:131]
	s_delay_alu instid0(VALU_DEP_4) | instskip(NEXT) | instid1(VALU_DEP_4)
	v_add_f64_e32 v[4:5], v[4:5], v[116:117]
	v_add_f64_e32 v[8:9], v[8:9], v[138:139]
	s_wait_loadcnt_dscnt 0x400
	v_mul_f64_e32 v[116:117], v[108:109], v[12:13]
	v_mul_f64_e32 v[12:13], v[110:111], v[12:13]
	v_fmac_f64_e32 v[112:113], v[94:95], v[128:129]
	v_fma_f64 v[118:119], v[92:93], v[128:129], -v[122:123]
	v_add_f64_e32 v[4:5], v[4:5], v[104:105]
	v_add_f64_e32 v[8:9], v[8:9], v[114:115]
	ds_load_b128 v[92:95], v2 offset:1104
	ds_load_b128 v[104:107], v2 offset:1120
	v_fmac_f64_e32 v[116:117], v[110:111], v[10:11]
	v_fma_f64 v[10:11], v[108:109], v[10:11], -v[12:13]
	s_wait_dscnt 0x1
	v_mul_f64_e32 v[114:115], v[92:93], v[142:143]
	v_mul_f64_e32 v[120:121], v[94:95], v[142:143]
	v_add_f64_e32 v[4:5], v[4:5], v[118:119]
	v_add_f64_e32 v[8:9], v[8:9], v[112:113]
	s_wait_loadcnt_dscnt 0x300
	v_mul_f64_e32 v[12:13], v[104:105], v[90:91]
	v_mul_f64_e32 v[108:109], v[106:107], v[90:91]
	v_fmac_f64_e32 v[114:115], v[94:95], v[140:141]
	v_fma_f64 v[94:95], v[92:93], v[140:141], -v[120:121]
	v_add_f64_e32 v[4:5], v[4:5], v[10:11]
	v_add_f64_e32 v[110:111], v[8:9], v[116:117]
	ds_load_b128 v[8:11], v2 offset:1136
	ds_load_b128 v[90:93], v2 offset:1152
	v_fmac_f64_e32 v[12:13], v[106:107], v[88:89]
	v_fma_f64 v[88:89], v[104:105], v[88:89], -v[108:109]
	s_wait_loadcnt_dscnt 0x201
	v_mul_f64_e32 v[112:113], v[8:9], v[126:127]
	v_mul_f64_e32 v[116:117], v[10:11], v[126:127]
	s_wait_loadcnt_dscnt 0x100
	v_mul_f64_e32 v[104:105], v[90:91], v[98:99]
	v_mul_f64_e32 v[98:99], v[92:93], v[98:99]
	v_add_f64_e32 v[4:5], v[4:5], v[94:95]
	v_add_f64_e32 v[94:95], v[110:111], v[114:115]
	v_fmac_f64_e32 v[112:113], v[10:11], v[124:125]
	v_fma_f64 v[106:107], v[8:9], v[124:125], -v[116:117]
	ds_load_b128 v[8:11], v2 offset:1168
	v_fmac_f64_e32 v[104:105], v[92:93], v[96:97]
	v_fma_f64 v[90:91], v[90:91], v[96:97], -v[98:99]
	v_add_f64_e32 v[4:5], v[4:5], v[88:89]
	v_add_f64_e32 v[12:13], v[94:95], v[12:13]
	s_wait_loadcnt_dscnt 0x0
	v_mul_f64_e32 v[88:89], v[8:9], v[102:103]
	v_mul_f64_e32 v[94:95], v[10:11], v[102:103]
	s_delay_alu instid0(VALU_DEP_4) | instskip(NEXT) | instid1(VALU_DEP_4)
	v_add_f64_e32 v[4:5], v[4:5], v[106:107]
	v_add_f64_e32 v[12:13], v[12:13], v[112:113]
	s_delay_alu instid0(VALU_DEP_4) | instskip(NEXT) | instid1(VALU_DEP_4)
	v_fmac_f64_e32 v[88:89], v[10:11], v[100:101]
	v_fma_f64 v[8:9], v[8:9], v[100:101], -v[94:95]
	s_delay_alu instid0(VALU_DEP_4) | instskip(NEXT) | instid1(VALU_DEP_4)
	v_add_f64_e32 v[4:5], v[4:5], v[90:91]
	v_add_f64_e32 v[10:11], v[12:13], v[104:105]
	s_delay_alu instid0(VALU_DEP_2) | instskip(NEXT) | instid1(VALU_DEP_2)
	v_add_f64_e32 v[4:5], v[4:5], v[8:9]
	v_add_f64_e32 v[10:11], v[10:11], v[88:89]
	s_delay_alu instid0(VALU_DEP_2) | instskip(NEXT) | instid1(VALU_DEP_2)
	v_add_f64_e64 v[8:9], v[132:133], -v[4:5]
	v_add_f64_e64 v[10:11], v[134:135], -v[10:11]
	scratch_store_b128 off, v[8:11], off offset:304
	s_wait_xcnt 0x0
	v_cmpx_lt_u32_e32 18, v1
	s_cbranch_execz .LBB36_199
; %bb.198:
	scratch_load_b128 v[8:11], off, s37
	v_dual_mov_b32 v3, v2 :: v_dual_mov_b32 v4, v2
	v_mov_b32_e32 v5, v2
	scratch_store_b128 off, v[2:5], off offset:288
	s_wait_loadcnt 0x0
	ds_store_b128 v6, v[8:11]
.LBB36_199:
	s_wait_xcnt 0x0
	s_or_b32 exec_lo, exec_lo, s2
	s_wait_storecnt_dscnt 0x0
	s_barrier_signal -1
	s_barrier_wait -1
	s_clause 0x9
	scratch_load_b128 v[8:11], off, off offset:304
	scratch_load_b128 v[88:91], off, off offset:320
	scratch_load_b128 v[92:95], off, off offset:336
	scratch_load_b128 v[96:99], off, off offset:352
	scratch_load_b128 v[100:103], off, off offset:368
	scratch_load_b128 v[104:107], off, off offset:384
	scratch_load_b128 v[108:111], off, off offset:400
	scratch_load_b128 v[112:115], off, off offset:416
	scratch_load_b128 v[116:119], off, off offset:432
	scratch_load_b128 v[120:123], off, off offset:448
	ds_load_b128 v[124:127], v2 offset:896
	ds_load_b128 v[132:135], v2 offset:912
	s_clause 0x1
	scratch_load_b128 v[128:131], off, off offset:464
	scratch_load_b128 v[136:139], off, off offset:288
	s_mov_b32 s2, exec_lo
	s_wait_loadcnt_dscnt 0xb01
	v_mul_f64_e32 v[4:5], v[126:127], v[10:11]
	v_mul_f64_e32 v[148:149], v[124:125], v[10:11]
	scratch_load_b128 v[10:13], off, off offset:480
	s_wait_loadcnt_dscnt 0xb00
	v_mul_f64_e32 v[150:151], v[132:133], v[90:91]
	v_mul_f64_e32 v[90:91], v[134:135], v[90:91]
	v_fma_f64 v[4:5], v[124:125], v[8:9], -v[4:5]
	v_fmac_f64_e32 v[148:149], v[126:127], v[8:9]
	ds_load_b128 v[124:127], v2 offset:928
	ds_load_b128 v[140:143], v2 offset:944
	scratch_load_b128 v[144:147], off, off offset:496
	v_fmac_f64_e32 v[150:151], v[134:135], v[88:89]
	v_fma_f64 v[132:133], v[132:133], v[88:89], -v[90:91]
	scratch_load_b128 v[88:91], off, off offset:512
	s_wait_loadcnt_dscnt 0xc01
	v_mul_f64_e32 v[8:9], v[124:125], v[94:95]
	v_mul_f64_e32 v[94:95], v[126:127], v[94:95]
	v_add_f64_e32 v[4:5], 0, v[4:5]
	v_add_f64_e32 v[134:135], 0, v[148:149]
	s_wait_loadcnt_dscnt 0xb00
	v_mul_f64_e32 v[148:149], v[140:141], v[98:99]
	v_mul_f64_e32 v[98:99], v[142:143], v[98:99]
	v_fmac_f64_e32 v[8:9], v[126:127], v[92:93]
	v_fma_f64 v[152:153], v[124:125], v[92:93], -v[94:95]
	ds_load_b128 v[92:95], v2 offset:960
	ds_load_b128 v[124:127], v2 offset:976
	v_add_f64_e32 v[4:5], v[4:5], v[132:133]
	v_add_f64_e32 v[150:151], v[134:135], v[150:151]
	scratch_load_b128 v[132:135], off, off offset:528
	v_fmac_f64_e32 v[148:149], v[142:143], v[96:97]
	v_fma_f64 v[140:141], v[140:141], v[96:97], -v[98:99]
	scratch_load_b128 v[96:99], off, off offset:544
	s_wait_loadcnt_dscnt 0xc01
	v_mul_f64_e32 v[154:155], v[92:93], v[102:103]
	v_mul_f64_e32 v[102:103], v[94:95], v[102:103]
	v_add_f64_e32 v[4:5], v[4:5], v[152:153]
	v_add_f64_e32 v[8:9], v[150:151], v[8:9]
	s_wait_loadcnt_dscnt 0xb00
	v_mul_f64_e32 v[150:151], v[124:125], v[106:107]
	v_mul_f64_e32 v[106:107], v[126:127], v[106:107]
	v_fmac_f64_e32 v[154:155], v[94:95], v[100:101]
	v_fma_f64 v[152:153], v[92:93], v[100:101], -v[102:103]
	ds_load_b128 v[92:95], v2 offset:992
	ds_load_b128 v[100:103], v2 offset:1008
	v_add_f64_e32 v[4:5], v[4:5], v[140:141]
	v_add_f64_e32 v[8:9], v[8:9], v[148:149]
	scratch_load_b128 v[140:143], off, off offset:560
	s_wait_loadcnt_dscnt 0xb01
	v_mul_f64_e32 v[148:149], v[92:93], v[110:111]
	v_mul_f64_e32 v[110:111], v[94:95], v[110:111]
	v_fmac_f64_e32 v[150:151], v[126:127], v[104:105]
	v_fma_f64 v[124:125], v[124:125], v[104:105], -v[106:107]
	scratch_load_b128 v[104:107], off, off offset:576
	s_wait_loadcnt_dscnt 0xb00
	v_mul_f64_e32 v[126:127], v[100:101], v[114:115]
	v_mul_f64_e32 v[114:115], v[102:103], v[114:115]
	v_add_f64_e32 v[4:5], v[4:5], v[152:153]
	v_add_f64_e32 v[8:9], v[8:9], v[154:155]
	v_fmac_f64_e32 v[148:149], v[94:95], v[108:109]
	v_fma_f64 v[152:153], v[92:93], v[108:109], -v[110:111]
	ds_load_b128 v[92:95], v2 offset:1024
	ds_load_b128 v[108:111], v2 offset:1040
	v_fmac_f64_e32 v[126:127], v[102:103], v[112:113]
	v_fma_f64 v[100:101], v[100:101], v[112:113], -v[114:115]
	s_wait_loadcnt_dscnt 0x900
	v_mul_f64_e32 v[112:113], v[108:109], v[122:123]
	v_mul_f64_e32 v[114:115], v[110:111], v[122:123]
	v_add_f64_e32 v[4:5], v[4:5], v[124:125]
	v_add_f64_e32 v[8:9], v[8:9], v[150:151]
	v_mul_f64_e32 v[124:125], v[92:93], v[118:119]
	v_mul_f64_e32 v[118:119], v[94:95], v[118:119]
	v_fmac_f64_e32 v[112:113], v[110:111], v[120:121]
	v_fma_f64 v[108:109], v[108:109], v[120:121], -v[114:115]
	v_add_f64_e32 v[4:5], v[4:5], v[152:153]
	v_add_f64_e32 v[8:9], v[8:9], v[148:149]
	v_fmac_f64_e32 v[124:125], v[94:95], v[116:117]
	v_fma_f64 v[116:117], v[92:93], v[116:117], -v[118:119]
	s_delay_alu instid0(VALU_DEP_4) | instskip(NEXT) | instid1(VALU_DEP_4)
	v_add_f64_e32 v[4:5], v[4:5], v[100:101]
	v_add_f64_e32 v[8:9], v[8:9], v[126:127]
	ds_load_b128 v[92:95], v2 offset:1056
	ds_load_b128 v[100:103], v2 offset:1072
	s_wait_loadcnt_dscnt 0x801
	v_mul_f64_e32 v[118:119], v[92:93], v[130:131]
	v_mul_f64_e32 v[122:123], v[94:95], v[130:131]
	v_add_f64_e32 v[4:5], v[4:5], v[116:117]
	v_add_f64_e32 v[8:9], v[8:9], v[124:125]
	s_wait_loadcnt_dscnt 0x600
	v_mul_f64_e32 v[114:115], v[100:101], v[12:13]
	v_mul_f64_e32 v[12:13], v[102:103], v[12:13]
	v_fmac_f64_e32 v[118:119], v[94:95], v[128:129]
	v_fma_f64 v[116:117], v[92:93], v[128:129], -v[122:123]
	v_add_f64_e32 v[4:5], v[4:5], v[108:109]
	v_add_f64_e32 v[8:9], v[8:9], v[112:113]
	ds_load_b128 v[92:95], v2 offset:1088
	ds_load_b128 v[108:111], v2 offset:1104
	v_fmac_f64_e32 v[114:115], v[102:103], v[10:11]
	v_fma_f64 v[10:11], v[100:101], v[10:11], -v[12:13]
	s_wait_loadcnt_dscnt 0x501
	v_mul_f64_e32 v[112:113], v[92:93], v[146:147]
	v_mul_f64_e32 v[120:121], v[94:95], v[146:147]
	s_wait_loadcnt_dscnt 0x400
	v_mul_f64_e32 v[12:13], v[108:109], v[90:91]
	v_mul_f64_e32 v[100:101], v[110:111], v[90:91]
	v_add_f64_e32 v[4:5], v[4:5], v[116:117]
	v_add_f64_e32 v[8:9], v[8:9], v[118:119]
	v_fmac_f64_e32 v[112:113], v[94:95], v[144:145]
	v_fma_f64 v[94:95], v[92:93], v[144:145], -v[120:121]
	v_fmac_f64_e32 v[12:13], v[110:111], v[88:89]
	v_fma_f64 v[88:89], v[108:109], v[88:89], -v[100:101]
	v_add_f64_e32 v[4:5], v[4:5], v[10:11]
	v_add_f64_e32 v[102:103], v[8:9], v[114:115]
	ds_load_b128 v[8:11], v2 offset:1120
	ds_load_b128 v[90:93], v2 offset:1136
	s_wait_loadcnt_dscnt 0x301
	v_mul_f64_e32 v[114:115], v[8:9], v[134:135]
	v_mul_f64_e32 v[116:117], v[10:11], v[134:135]
	s_wait_loadcnt_dscnt 0x200
	v_mul_f64_e32 v[100:101], v[90:91], v[98:99]
	v_mul_f64_e32 v[98:99], v[92:93], v[98:99]
	v_add_f64_e32 v[4:5], v[4:5], v[94:95]
	v_add_f64_e32 v[94:95], v[102:103], v[112:113]
	v_fmac_f64_e32 v[114:115], v[10:11], v[132:133]
	v_fma_f64 v[102:103], v[8:9], v[132:133], -v[116:117]
	v_fmac_f64_e32 v[100:101], v[92:93], v[96:97]
	v_fma_f64 v[90:91], v[90:91], v[96:97], -v[98:99]
	v_add_f64_e32 v[88:89], v[4:5], v[88:89]
	v_add_f64_e32 v[12:13], v[94:95], v[12:13]
	ds_load_b128 v[8:11], v2 offset:1152
	ds_load_b128 v[2:5], v2 offset:1168
	s_wait_loadcnt_dscnt 0x101
	v_mul_f64_e32 v[94:95], v[8:9], v[142:143]
	v_mul_f64_e32 v[108:109], v[10:11], v[142:143]
	s_wait_loadcnt_dscnt 0x0
	v_mul_f64_e32 v[92:93], v[2:3], v[106:107]
	v_mul_f64_e32 v[96:97], v[4:5], v[106:107]
	v_add_f64_e32 v[88:89], v[88:89], v[102:103]
	v_add_f64_e32 v[12:13], v[12:13], v[114:115]
	v_fmac_f64_e32 v[94:95], v[10:11], v[140:141]
	v_fma_f64 v[8:9], v[8:9], v[140:141], -v[108:109]
	v_fmac_f64_e32 v[92:93], v[4:5], v[104:105]
	v_fma_f64 v[2:3], v[2:3], v[104:105], -v[96:97]
	v_add_f64_e32 v[10:11], v[88:89], v[90:91]
	v_add_f64_e32 v[12:13], v[12:13], v[100:101]
	s_delay_alu instid0(VALU_DEP_2) | instskip(NEXT) | instid1(VALU_DEP_2)
	v_add_f64_e32 v[4:5], v[10:11], v[8:9]
	v_add_f64_e32 v[8:9], v[12:13], v[94:95]
	s_delay_alu instid0(VALU_DEP_2) | instskip(NEXT) | instid1(VALU_DEP_2)
	;; [unrolled: 3-line block ×3, first 2 shown]
	v_add_f64_e64 v[2:3], v[136:137], -v[2:3]
	v_add_f64_e64 v[4:5], v[138:139], -v[4:5]
	scratch_store_b128 off, v[2:5], off offset:288
	s_wait_xcnt 0x0
	v_cmpx_lt_u32_e32 17, v1
	s_cbranch_execz .LBB36_201
; %bb.200:
	scratch_load_b128 v[2:5], off, s36
	v_mov_b32_e32 v8, 0
	s_delay_alu instid0(VALU_DEP_1)
	v_dual_mov_b32 v9, v8 :: v_dual_mov_b32 v10, v8
	v_mov_b32_e32 v11, v8
	scratch_store_b128 off, v[8:11], off offset:272
	s_wait_loadcnt 0x0
	ds_store_b128 v6, v[2:5]
.LBB36_201:
	s_wait_xcnt 0x0
	s_or_b32 exec_lo, exec_lo, s2
	s_wait_storecnt_dscnt 0x0
	s_barrier_signal -1
	s_barrier_wait -1
	s_clause 0x9
	scratch_load_b128 v[8:11], off, off offset:288
	scratch_load_b128 v[88:91], off, off offset:304
	;; [unrolled: 1-line block ×10, first 2 shown]
	v_mov_b32_e32 v2, 0
	s_mov_b32 s2, exec_lo
	ds_load_b128 v[124:127], v2 offset:880
	s_clause 0x2
	scratch_load_b128 v[128:131], off, off offset:448
	scratch_load_b128 v[132:135], off, off offset:272
	scratch_load_b128 v[140:143], off, off offset:480
	s_wait_loadcnt_dscnt 0xc00
	v_mul_f64_e32 v[4:5], v[126:127], v[10:11]
	v_mul_f64_e32 v[148:149], v[124:125], v[10:11]
	ds_load_b128 v[136:139], v2 offset:896
	scratch_load_b128 v[10:13], off, off offset:464
	ds_load_b128 v[144:147], v2 offset:928
	v_fma_f64 v[4:5], v[124:125], v[8:9], -v[4:5]
	v_fmac_f64_e32 v[148:149], v[126:127], v[8:9]
	ds_load_b128 v[124:127], v2 offset:912
	s_wait_loadcnt_dscnt 0xc02
	v_mul_f64_e32 v[150:151], v[136:137], v[90:91]
	v_mul_f64_e32 v[90:91], v[138:139], v[90:91]
	s_wait_loadcnt_dscnt 0xb00
	v_mul_f64_e32 v[8:9], v[124:125], v[94:95]
	v_mul_f64_e32 v[94:95], v[126:127], v[94:95]
	v_add_f64_e32 v[4:5], 0, v[4:5]
	v_fmac_f64_e32 v[150:151], v[138:139], v[88:89]
	v_fma_f64 v[136:137], v[136:137], v[88:89], -v[90:91]
	v_add_f64_e32 v[138:139], 0, v[148:149]
	scratch_load_b128 v[88:91], off, off offset:496
	v_fmac_f64_e32 v[8:9], v[126:127], v[92:93]
	v_fma_f64 v[152:153], v[124:125], v[92:93], -v[94:95]
	ds_load_b128 v[92:95], v2 offset:944
	s_wait_loadcnt 0xb
	v_mul_f64_e32 v[148:149], v[144:145], v[98:99]
	v_mul_f64_e32 v[98:99], v[146:147], v[98:99]
	scratch_load_b128 v[124:127], off, off offset:512
	v_add_f64_e32 v[4:5], v[4:5], v[136:137]
	v_add_f64_e32 v[150:151], v[138:139], v[150:151]
	ds_load_b128 v[136:139], v2 offset:960
	s_wait_loadcnt_dscnt 0xb01
	v_mul_f64_e32 v[154:155], v[92:93], v[102:103]
	v_mul_f64_e32 v[102:103], v[94:95], v[102:103]
	v_fmac_f64_e32 v[148:149], v[146:147], v[96:97]
	v_fma_f64 v[144:145], v[144:145], v[96:97], -v[98:99]
	scratch_load_b128 v[96:99], off, off offset:528
	v_add_f64_e32 v[4:5], v[4:5], v[152:153]
	v_add_f64_e32 v[8:9], v[150:151], v[8:9]
	v_fmac_f64_e32 v[154:155], v[94:95], v[100:101]
	v_fma_f64 v[152:153], v[92:93], v[100:101], -v[102:103]
	ds_load_b128 v[92:95], v2 offset:976
	s_wait_loadcnt_dscnt 0xb01
	v_mul_f64_e32 v[150:151], v[136:137], v[106:107]
	v_mul_f64_e32 v[106:107], v[138:139], v[106:107]
	scratch_load_b128 v[100:103], off, off offset:544
	v_add_f64_e32 v[4:5], v[4:5], v[144:145]
	v_add_f64_e32 v[8:9], v[8:9], v[148:149]
	s_wait_loadcnt_dscnt 0xb00
	v_mul_f64_e32 v[148:149], v[92:93], v[110:111]
	v_mul_f64_e32 v[110:111], v[94:95], v[110:111]
	ds_load_b128 v[144:147], v2 offset:992
	v_fmac_f64_e32 v[150:151], v[138:139], v[104:105]
	v_fma_f64 v[136:137], v[136:137], v[104:105], -v[106:107]
	scratch_load_b128 v[104:107], off, off offset:560
	v_add_f64_e32 v[4:5], v[4:5], v[152:153]
	v_add_f64_e32 v[8:9], v[8:9], v[154:155]
	v_fmac_f64_e32 v[148:149], v[94:95], v[108:109]
	v_fma_f64 v[154:155], v[92:93], v[108:109], -v[110:111]
	ds_load_b128 v[92:95], v2 offset:1008
	s_wait_loadcnt_dscnt 0xb01
	v_mul_f64_e32 v[152:153], v[144:145], v[114:115]
	v_mul_f64_e32 v[114:115], v[146:147], v[114:115]
	scratch_load_b128 v[108:111], off, off offset:576
	v_add_f64_e32 v[4:5], v[4:5], v[136:137]
	v_add_f64_e32 v[8:9], v[8:9], v[150:151]
	s_wait_loadcnt_dscnt 0xb00
	v_mul_f64_e32 v[150:151], v[92:93], v[118:119]
	v_mul_f64_e32 v[118:119], v[94:95], v[118:119]
	ds_load_b128 v[136:139], v2 offset:1024
	v_fmac_f64_e32 v[152:153], v[146:147], v[112:113]
	v_fma_f64 v[112:113], v[144:145], v[112:113], -v[114:115]
	s_wait_loadcnt_dscnt 0xa00
	v_mul_f64_e32 v[144:145], v[136:137], v[122:123]
	v_mul_f64_e32 v[122:123], v[138:139], v[122:123]
	v_add_f64_e32 v[4:5], v[4:5], v[154:155]
	v_add_f64_e32 v[8:9], v[8:9], v[148:149]
	v_fmac_f64_e32 v[150:151], v[94:95], v[116:117]
	v_fma_f64 v[116:117], v[92:93], v[116:117], -v[118:119]
	v_fmac_f64_e32 v[144:145], v[138:139], v[120:121]
	v_fma_f64 v[120:121], v[136:137], v[120:121], -v[122:123]
	v_add_f64_e32 v[4:5], v[4:5], v[112:113]
	v_add_f64_e32 v[8:9], v[8:9], v[152:153]
	ds_load_b128 v[92:95], v2 offset:1040
	ds_load_b128 v[112:115], v2 offset:1056
	s_wait_loadcnt_dscnt 0x901
	v_mul_f64_e32 v[146:147], v[92:93], v[130:131]
	v_mul_f64_e32 v[118:119], v[94:95], v[130:131]
	s_wait_loadcnt_dscnt 0x600
	v_mul_f64_e32 v[122:123], v[112:113], v[12:13]
	v_add_f64_e32 v[4:5], v[4:5], v[116:117]
	v_add_f64_e32 v[8:9], v[8:9], v[150:151]
	v_mul_f64_e32 v[12:13], v[114:115], v[12:13]
	v_fmac_f64_e32 v[146:147], v[94:95], v[128:129]
	v_fma_f64 v[128:129], v[92:93], v[128:129], -v[118:119]
	ds_load_b128 v[92:95], v2 offset:1072
	ds_load_b128 v[116:119], v2 offset:1088
	v_fmac_f64_e32 v[122:123], v[114:115], v[10:11]
	v_add_f64_e32 v[4:5], v[4:5], v[120:121]
	v_add_f64_e32 v[8:9], v[8:9], v[144:145]
	v_fma_f64 v[10:11], v[112:113], v[10:11], -v[12:13]
	s_wait_dscnt 0x1
	v_mul_f64_e32 v[120:121], v[92:93], v[142:143]
	v_mul_f64_e32 v[130:131], v[94:95], v[142:143]
	v_add_f64_e32 v[4:5], v[4:5], v[128:129]
	v_add_f64_e32 v[8:9], v[8:9], v[146:147]
	s_wait_loadcnt_dscnt 0x500
	v_mul_f64_e32 v[12:13], v[116:117], v[90:91]
	v_mul_f64_e32 v[112:113], v[118:119], v[90:91]
	v_fmac_f64_e32 v[120:121], v[94:95], v[140:141]
	v_fma_f64 v[94:95], v[92:93], v[140:141], -v[130:131]
	v_add_f64_e32 v[4:5], v[4:5], v[10:11]
	v_add_f64_e32 v[114:115], v[8:9], v[122:123]
	ds_load_b128 v[8:11], v2 offset:1104
	ds_load_b128 v[90:93], v2 offset:1120
	v_fmac_f64_e32 v[12:13], v[118:119], v[88:89]
	v_fma_f64 v[88:89], v[116:117], v[88:89], -v[112:113]
	s_wait_loadcnt_dscnt 0x401
	v_mul_f64_e32 v[122:123], v[8:9], v[126:127]
	v_mul_f64_e32 v[126:127], v[10:11], v[126:127]
	s_wait_loadcnt_dscnt 0x300
	v_mul_f64_e32 v[116:117], v[90:91], v[98:99]
	v_mul_f64_e32 v[98:99], v[92:93], v[98:99]
	v_add_f64_e32 v[4:5], v[4:5], v[94:95]
	v_add_f64_e32 v[94:95], v[114:115], v[120:121]
	v_fmac_f64_e32 v[122:123], v[10:11], v[124:125]
	v_fma_f64 v[118:119], v[8:9], v[124:125], -v[126:127]
	ds_load_b128 v[8:11], v2 offset:1136
	ds_load_b128 v[112:115], v2 offset:1152
	v_fmac_f64_e32 v[116:117], v[92:93], v[96:97]
	v_fma_f64 v[90:91], v[90:91], v[96:97], -v[98:99]
	v_add_f64_e32 v[4:5], v[4:5], v[88:89]
	v_add_f64_e32 v[12:13], v[94:95], v[12:13]
	s_wait_loadcnt_dscnt 0x201
	v_mul_f64_e32 v[88:89], v[8:9], v[102:103]
	v_mul_f64_e32 v[94:95], v[10:11], v[102:103]
	s_wait_loadcnt_dscnt 0x100
	v_mul_f64_e32 v[92:93], v[112:113], v[106:107]
	v_mul_f64_e32 v[96:97], v[114:115], v[106:107]
	v_add_f64_e32 v[4:5], v[4:5], v[118:119]
	v_add_f64_e32 v[12:13], v[12:13], v[122:123]
	v_fmac_f64_e32 v[88:89], v[10:11], v[100:101]
	v_fma_f64 v[94:95], v[8:9], v[100:101], -v[94:95]
	ds_load_b128 v[8:11], v2 offset:1168
	v_fmac_f64_e32 v[92:93], v[114:115], v[104:105]
	v_fma_f64 v[96:97], v[112:113], v[104:105], -v[96:97]
	s_wait_loadcnt_dscnt 0x0
	v_mul_f64_e32 v[98:99], v[10:11], v[110:111]
	v_add_f64_e32 v[4:5], v[4:5], v[90:91]
	v_add_f64_e32 v[12:13], v[12:13], v[116:117]
	v_mul_f64_e32 v[90:91], v[8:9], v[110:111]
	s_delay_alu instid0(VALU_DEP_4) | instskip(NEXT) | instid1(VALU_DEP_4)
	v_fma_f64 v[8:9], v[8:9], v[108:109], -v[98:99]
	v_add_f64_e32 v[4:5], v[4:5], v[94:95]
	s_delay_alu instid0(VALU_DEP_4) | instskip(NEXT) | instid1(VALU_DEP_4)
	v_add_f64_e32 v[12:13], v[12:13], v[88:89]
	v_fmac_f64_e32 v[90:91], v[10:11], v[108:109]
	s_delay_alu instid0(VALU_DEP_3) | instskip(NEXT) | instid1(VALU_DEP_3)
	v_add_f64_e32 v[4:5], v[4:5], v[96:97]
	v_add_f64_e32 v[10:11], v[12:13], v[92:93]
	s_delay_alu instid0(VALU_DEP_2) | instskip(NEXT) | instid1(VALU_DEP_2)
	v_add_f64_e32 v[4:5], v[4:5], v[8:9]
	v_add_f64_e32 v[10:11], v[10:11], v[90:91]
	s_delay_alu instid0(VALU_DEP_2) | instskip(NEXT) | instid1(VALU_DEP_2)
	v_add_f64_e64 v[8:9], v[132:133], -v[4:5]
	v_add_f64_e64 v[10:11], v[134:135], -v[10:11]
	scratch_store_b128 off, v[8:11], off offset:272
	s_wait_xcnt 0x0
	v_cmpx_lt_u32_e32 16, v1
	s_cbranch_execz .LBB36_203
; %bb.202:
	scratch_load_b128 v[8:11], off, s35
	v_dual_mov_b32 v3, v2 :: v_dual_mov_b32 v4, v2
	v_mov_b32_e32 v5, v2
	scratch_store_b128 off, v[2:5], off offset:256
	s_wait_loadcnt 0x0
	ds_store_b128 v6, v[8:11]
.LBB36_203:
	s_wait_xcnt 0x0
	s_or_b32 exec_lo, exec_lo, s2
	s_wait_storecnt_dscnt 0x0
	s_barrier_signal -1
	s_barrier_wait -1
	s_clause 0x9
	scratch_load_b128 v[8:11], off, off offset:272
	scratch_load_b128 v[88:91], off, off offset:288
	;; [unrolled: 1-line block ×10, first 2 shown]
	ds_load_b128 v[124:127], v2 offset:864
	ds_load_b128 v[132:135], v2 offset:880
	s_clause 0x1
	scratch_load_b128 v[128:131], off, off offset:432
	scratch_load_b128 v[136:139], off, off offset:256
	s_mov_b32 s2, exec_lo
	s_wait_loadcnt_dscnt 0xb01
	v_mul_f64_e32 v[4:5], v[126:127], v[10:11]
	v_mul_f64_e32 v[148:149], v[124:125], v[10:11]
	scratch_load_b128 v[10:13], off, off offset:448
	s_wait_loadcnt_dscnt 0xb00
	v_mul_f64_e32 v[150:151], v[132:133], v[90:91]
	v_mul_f64_e32 v[90:91], v[134:135], v[90:91]
	v_fma_f64 v[4:5], v[124:125], v[8:9], -v[4:5]
	v_fmac_f64_e32 v[148:149], v[126:127], v[8:9]
	ds_load_b128 v[124:127], v2 offset:896
	ds_load_b128 v[140:143], v2 offset:912
	scratch_load_b128 v[144:147], off, off offset:464
	v_fmac_f64_e32 v[150:151], v[134:135], v[88:89]
	v_fma_f64 v[132:133], v[132:133], v[88:89], -v[90:91]
	scratch_load_b128 v[88:91], off, off offset:480
	s_wait_loadcnt_dscnt 0xc01
	v_mul_f64_e32 v[8:9], v[124:125], v[94:95]
	v_mul_f64_e32 v[94:95], v[126:127], v[94:95]
	v_add_f64_e32 v[4:5], 0, v[4:5]
	v_add_f64_e32 v[134:135], 0, v[148:149]
	s_wait_loadcnt_dscnt 0xb00
	v_mul_f64_e32 v[148:149], v[140:141], v[98:99]
	v_mul_f64_e32 v[98:99], v[142:143], v[98:99]
	v_fmac_f64_e32 v[8:9], v[126:127], v[92:93]
	v_fma_f64 v[152:153], v[124:125], v[92:93], -v[94:95]
	ds_load_b128 v[92:95], v2 offset:928
	ds_load_b128 v[124:127], v2 offset:944
	v_add_f64_e32 v[4:5], v[4:5], v[132:133]
	v_add_f64_e32 v[150:151], v[134:135], v[150:151]
	scratch_load_b128 v[132:135], off, off offset:496
	v_fmac_f64_e32 v[148:149], v[142:143], v[96:97]
	v_fma_f64 v[140:141], v[140:141], v[96:97], -v[98:99]
	scratch_load_b128 v[96:99], off, off offset:512
	s_wait_loadcnt_dscnt 0xc01
	v_mul_f64_e32 v[154:155], v[92:93], v[102:103]
	v_mul_f64_e32 v[102:103], v[94:95], v[102:103]
	v_add_f64_e32 v[4:5], v[4:5], v[152:153]
	v_add_f64_e32 v[8:9], v[150:151], v[8:9]
	s_wait_loadcnt_dscnt 0xb00
	v_mul_f64_e32 v[150:151], v[124:125], v[106:107]
	v_mul_f64_e32 v[106:107], v[126:127], v[106:107]
	v_fmac_f64_e32 v[154:155], v[94:95], v[100:101]
	v_fma_f64 v[152:153], v[92:93], v[100:101], -v[102:103]
	ds_load_b128 v[92:95], v2 offset:960
	ds_load_b128 v[100:103], v2 offset:976
	v_add_f64_e32 v[4:5], v[4:5], v[140:141]
	v_add_f64_e32 v[8:9], v[8:9], v[148:149]
	scratch_load_b128 v[140:143], off, off offset:528
	s_wait_loadcnt_dscnt 0xb01
	v_mul_f64_e32 v[148:149], v[92:93], v[110:111]
	v_mul_f64_e32 v[110:111], v[94:95], v[110:111]
	v_fmac_f64_e32 v[150:151], v[126:127], v[104:105]
	v_fma_f64 v[124:125], v[124:125], v[104:105], -v[106:107]
	scratch_load_b128 v[104:107], off, off offset:544
	v_add_f64_e32 v[4:5], v[4:5], v[152:153]
	v_add_f64_e32 v[8:9], v[8:9], v[154:155]
	s_wait_loadcnt_dscnt 0xb00
	v_mul_f64_e32 v[152:153], v[100:101], v[114:115]
	v_mul_f64_e32 v[114:115], v[102:103], v[114:115]
	v_fmac_f64_e32 v[148:149], v[94:95], v[108:109]
	v_fma_f64 v[154:155], v[92:93], v[108:109], -v[110:111]
	ds_load_b128 v[92:95], v2 offset:992
	ds_load_b128 v[108:111], v2 offset:1008
	v_add_f64_e32 v[4:5], v[4:5], v[124:125]
	v_add_f64_e32 v[8:9], v[8:9], v[150:151]
	scratch_load_b128 v[124:127], off, off offset:560
	s_wait_loadcnt_dscnt 0xb01
	v_mul_f64_e32 v[150:151], v[92:93], v[118:119]
	v_mul_f64_e32 v[118:119], v[94:95], v[118:119]
	v_fmac_f64_e32 v[152:153], v[102:103], v[112:113]
	v_fma_f64 v[112:113], v[100:101], v[112:113], -v[114:115]
	scratch_load_b128 v[100:103], off, off offset:576
	v_add_f64_e32 v[4:5], v[4:5], v[154:155]
	v_add_f64_e32 v[8:9], v[8:9], v[148:149]
	s_wait_loadcnt_dscnt 0xb00
	v_mul_f64_e32 v[148:149], v[108:109], v[122:123]
	v_mul_f64_e32 v[122:123], v[110:111], v[122:123]
	v_fmac_f64_e32 v[150:151], v[94:95], v[116:117]
	v_fma_f64 v[116:117], v[92:93], v[116:117], -v[118:119]
	v_add_f64_e32 v[4:5], v[4:5], v[112:113]
	v_add_f64_e32 v[8:9], v[8:9], v[152:153]
	ds_load_b128 v[92:95], v2 offset:1024
	ds_load_b128 v[112:115], v2 offset:1040
	v_fmac_f64_e32 v[148:149], v[110:111], v[120:121]
	v_fma_f64 v[108:109], v[108:109], v[120:121], -v[122:123]
	s_wait_loadcnt_dscnt 0xa01
	v_mul_f64_e32 v[118:119], v[92:93], v[130:131]
	v_mul_f64_e32 v[130:131], v[94:95], v[130:131]
	v_add_f64_e32 v[4:5], v[4:5], v[116:117]
	v_add_f64_e32 v[8:9], v[8:9], v[150:151]
	s_wait_loadcnt_dscnt 0x800
	v_mul_f64_e32 v[116:117], v[112:113], v[12:13]
	v_mul_f64_e32 v[12:13], v[114:115], v[12:13]
	v_fmac_f64_e32 v[118:119], v[94:95], v[128:129]
	v_fma_f64 v[120:121], v[92:93], v[128:129], -v[130:131]
	v_add_f64_e32 v[4:5], v[4:5], v[108:109]
	v_add_f64_e32 v[8:9], v[8:9], v[148:149]
	ds_load_b128 v[92:95], v2 offset:1056
	ds_load_b128 v[108:111], v2 offset:1072
	v_fmac_f64_e32 v[116:117], v[114:115], v[10:11]
	v_fma_f64 v[10:11], v[112:113], v[10:11], -v[12:13]
	s_wait_loadcnt_dscnt 0x701
	v_mul_f64_e32 v[122:123], v[92:93], v[146:147]
	v_mul_f64_e32 v[128:129], v[94:95], v[146:147]
	s_wait_loadcnt_dscnt 0x600
	v_mul_f64_e32 v[12:13], v[108:109], v[90:91]
	v_mul_f64_e32 v[112:113], v[110:111], v[90:91]
	v_add_f64_e32 v[4:5], v[4:5], v[120:121]
	v_add_f64_e32 v[8:9], v[8:9], v[118:119]
	v_fmac_f64_e32 v[122:123], v[94:95], v[144:145]
	v_fma_f64 v[94:95], v[92:93], v[144:145], -v[128:129]
	v_fmac_f64_e32 v[12:13], v[110:111], v[88:89]
	v_fma_f64 v[88:89], v[108:109], v[88:89], -v[112:113]
	v_add_f64_e32 v[4:5], v[4:5], v[10:11]
	v_add_f64_e32 v[114:115], v[8:9], v[116:117]
	ds_load_b128 v[8:11], v2 offset:1088
	ds_load_b128 v[90:93], v2 offset:1104
	s_wait_loadcnt_dscnt 0x501
	v_mul_f64_e32 v[116:117], v[8:9], v[134:135]
	v_mul_f64_e32 v[118:119], v[10:11], v[134:135]
	s_wait_loadcnt_dscnt 0x400
	v_mul_f64_e32 v[112:113], v[90:91], v[98:99]
	v_mul_f64_e32 v[98:99], v[92:93], v[98:99]
	v_add_f64_e32 v[4:5], v[4:5], v[94:95]
	v_add_f64_e32 v[94:95], v[114:115], v[122:123]
	v_fmac_f64_e32 v[116:117], v[10:11], v[132:133]
	v_fma_f64 v[114:115], v[8:9], v[132:133], -v[118:119]
	ds_load_b128 v[8:11], v2 offset:1120
	ds_load_b128 v[108:111], v2 offset:1136
	v_fmac_f64_e32 v[112:113], v[92:93], v[96:97]
	v_fma_f64 v[90:91], v[90:91], v[96:97], -v[98:99]
	v_add_f64_e32 v[4:5], v[4:5], v[88:89]
	v_add_f64_e32 v[12:13], v[94:95], v[12:13]
	s_wait_loadcnt_dscnt 0x301
	v_mul_f64_e32 v[88:89], v[8:9], v[142:143]
	v_mul_f64_e32 v[94:95], v[10:11], v[142:143]
	s_wait_loadcnt_dscnt 0x200
	v_mul_f64_e32 v[92:93], v[108:109], v[106:107]
	v_mul_f64_e32 v[96:97], v[110:111], v[106:107]
	v_add_f64_e32 v[4:5], v[4:5], v[114:115]
	v_add_f64_e32 v[12:13], v[12:13], v[116:117]
	v_fmac_f64_e32 v[88:89], v[10:11], v[140:141]
	v_fma_f64 v[94:95], v[8:9], v[140:141], -v[94:95]
	v_fmac_f64_e32 v[92:93], v[110:111], v[104:105]
	v_fma_f64 v[96:97], v[108:109], v[104:105], -v[96:97]
	v_add_f64_e32 v[90:91], v[4:5], v[90:91]
	v_add_f64_e32 v[12:13], v[12:13], v[112:113]
	ds_load_b128 v[8:11], v2 offset:1152
	ds_load_b128 v[2:5], v2 offset:1168
	s_wait_loadcnt_dscnt 0x101
	v_mul_f64_e32 v[98:99], v[8:9], v[126:127]
	v_mul_f64_e32 v[106:107], v[10:11], v[126:127]
	v_add_f64_e32 v[90:91], v[90:91], v[94:95]
	v_add_f64_e32 v[12:13], v[12:13], v[88:89]
	s_wait_loadcnt_dscnt 0x0
	v_mul_f64_e32 v[88:89], v[2:3], v[102:103]
	v_mul_f64_e32 v[94:95], v[4:5], v[102:103]
	v_fmac_f64_e32 v[98:99], v[10:11], v[124:125]
	v_fma_f64 v[8:9], v[8:9], v[124:125], -v[106:107]
	v_add_f64_e32 v[10:11], v[90:91], v[96:97]
	v_add_f64_e32 v[12:13], v[12:13], v[92:93]
	v_fmac_f64_e32 v[88:89], v[4:5], v[100:101]
	v_fma_f64 v[2:3], v[2:3], v[100:101], -v[94:95]
	s_delay_alu instid0(VALU_DEP_4) | instskip(NEXT) | instid1(VALU_DEP_4)
	v_add_f64_e32 v[4:5], v[10:11], v[8:9]
	v_add_f64_e32 v[8:9], v[12:13], v[98:99]
	s_delay_alu instid0(VALU_DEP_2) | instskip(NEXT) | instid1(VALU_DEP_2)
	v_add_f64_e32 v[2:3], v[4:5], v[2:3]
	v_add_f64_e32 v[4:5], v[8:9], v[88:89]
	s_delay_alu instid0(VALU_DEP_2) | instskip(NEXT) | instid1(VALU_DEP_2)
	v_add_f64_e64 v[2:3], v[136:137], -v[2:3]
	v_add_f64_e64 v[4:5], v[138:139], -v[4:5]
	scratch_store_b128 off, v[2:5], off offset:256
	s_wait_xcnt 0x0
	v_cmpx_lt_u32_e32 15, v1
	s_cbranch_execz .LBB36_205
; %bb.204:
	scratch_load_b128 v[2:5], off, s43
	v_mov_b32_e32 v8, 0
	s_delay_alu instid0(VALU_DEP_1)
	v_dual_mov_b32 v9, v8 :: v_dual_mov_b32 v10, v8
	v_mov_b32_e32 v11, v8
	scratch_store_b128 off, v[8:11], off offset:240
	s_wait_loadcnt 0x0
	ds_store_b128 v6, v[2:5]
.LBB36_205:
	s_wait_xcnt 0x0
	s_or_b32 exec_lo, exec_lo, s2
	s_wait_storecnt_dscnt 0x0
	s_barrier_signal -1
	s_barrier_wait -1
	s_clause 0x9
	scratch_load_b128 v[8:11], off, off offset:256
	scratch_load_b128 v[88:91], off, off offset:272
	;; [unrolled: 1-line block ×10, first 2 shown]
	v_mov_b32_e32 v2, 0
	s_mov_b32 s2, exec_lo
	ds_load_b128 v[124:127], v2 offset:848
	s_clause 0x2
	scratch_load_b128 v[128:131], off, off offset:416
	scratch_load_b128 v[132:135], off, off offset:240
	;; [unrolled: 1-line block ×3, first 2 shown]
	s_wait_loadcnt_dscnt 0xc00
	v_mul_f64_e32 v[4:5], v[126:127], v[10:11]
	v_mul_f64_e32 v[148:149], v[124:125], v[10:11]
	ds_load_b128 v[136:139], v2 offset:864
	scratch_load_b128 v[10:13], off, off offset:432
	ds_load_b128 v[144:147], v2 offset:896
	v_fma_f64 v[4:5], v[124:125], v[8:9], -v[4:5]
	v_fmac_f64_e32 v[148:149], v[126:127], v[8:9]
	ds_load_b128 v[124:127], v2 offset:880
	s_wait_loadcnt_dscnt 0xc02
	v_mul_f64_e32 v[150:151], v[136:137], v[90:91]
	v_mul_f64_e32 v[90:91], v[138:139], v[90:91]
	s_wait_loadcnt_dscnt 0xb00
	v_mul_f64_e32 v[8:9], v[124:125], v[94:95]
	v_mul_f64_e32 v[94:95], v[126:127], v[94:95]
	v_add_f64_e32 v[4:5], 0, v[4:5]
	v_fmac_f64_e32 v[150:151], v[138:139], v[88:89]
	v_fma_f64 v[136:137], v[136:137], v[88:89], -v[90:91]
	v_add_f64_e32 v[138:139], 0, v[148:149]
	scratch_load_b128 v[88:91], off, off offset:464
	v_fmac_f64_e32 v[8:9], v[126:127], v[92:93]
	v_fma_f64 v[152:153], v[124:125], v[92:93], -v[94:95]
	ds_load_b128 v[92:95], v2 offset:912
	s_wait_loadcnt 0xb
	v_mul_f64_e32 v[148:149], v[144:145], v[98:99]
	v_mul_f64_e32 v[98:99], v[146:147], v[98:99]
	scratch_load_b128 v[124:127], off, off offset:480
	v_add_f64_e32 v[4:5], v[4:5], v[136:137]
	v_add_f64_e32 v[150:151], v[138:139], v[150:151]
	ds_load_b128 v[136:139], v2 offset:928
	s_wait_loadcnt_dscnt 0xb01
	v_mul_f64_e32 v[154:155], v[92:93], v[102:103]
	v_mul_f64_e32 v[102:103], v[94:95], v[102:103]
	v_fmac_f64_e32 v[148:149], v[146:147], v[96:97]
	v_fma_f64 v[144:145], v[144:145], v[96:97], -v[98:99]
	scratch_load_b128 v[96:99], off, off offset:496
	v_add_f64_e32 v[4:5], v[4:5], v[152:153]
	v_add_f64_e32 v[8:9], v[150:151], v[8:9]
	v_fmac_f64_e32 v[154:155], v[94:95], v[100:101]
	v_fma_f64 v[152:153], v[92:93], v[100:101], -v[102:103]
	ds_load_b128 v[92:95], v2 offset:944
	s_wait_loadcnt_dscnt 0xb01
	v_mul_f64_e32 v[150:151], v[136:137], v[106:107]
	v_mul_f64_e32 v[106:107], v[138:139], v[106:107]
	scratch_load_b128 v[100:103], off, off offset:512
	v_add_f64_e32 v[4:5], v[4:5], v[144:145]
	v_add_f64_e32 v[8:9], v[8:9], v[148:149]
	s_wait_loadcnt_dscnt 0xb00
	v_mul_f64_e32 v[148:149], v[92:93], v[110:111]
	v_mul_f64_e32 v[110:111], v[94:95], v[110:111]
	ds_load_b128 v[144:147], v2 offset:960
	v_fmac_f64_e32 v[150:151], v[138:139], v[104:105]
	v_fma_f64 v[136:137], v[136:137], v[104:105], -v[106:107]
	scratch_load_b128 v[104:107], off, off offset:528
	v_add_f64_e32 v[4:5], v[4:5], v[152:153]
	v_add_f64_e32 v[8:9], v[8:9], v[154:155]
	v_fmac_f64_e32 v[148:149], v[94:95], v[108:109]
	v_fma_f64 v[154:155], v[92:93], v[108:109], -v[110:111]
	ds_load_b128 v[92:95], v2 offset:976
	s_wait_loadcnt_dscnt 0xb01
	v_mul_f64_e32 v[152:153], v[144:145], v[114:115]
	v_mul_f64_e32 v[114:115], v[146:147], v[114:115]
	scratch_load_b128 v[108:111], off, off offset:544
	v_add_f64_e32 v[4:5], v[4:5], v[136:137]
	v_add_f64_e32 v[8:9], v[8:9], v[150:151]
	s_wait_loadcnt_dscnt 0xb00
	v_mul_f64_e32 v[150:151], v[92:93], v[118:119]
	v_mul_f64_e32 v[118:119], v[94:95], v[118:119]
	ds_load_b128 v[136:139], v2 offset:992
	;; [unrolled: 18-line block ×3, first 2 shown]
	v_fmac_f64_e32 v[148:149], v[138:139], v[120:121]
	v_fma_f64 v[120:121], v[136:137], v[120:121], -v[122:123]
	s_wait_loadcnt_dscnt 0x800
	v_mul_f64_e32 v[136:137], v[144:145], v[12:13]
	v_add_f64_e32 v[4:5], v[4:5], v[154:155]
	v_add_f64_e32 v[8:9], v[8:9], v[150:151]
	v_mul_f64_e32 v[12:13], v[146:147], v[12:13]
	v_fmac_f64_e32 v[152:153], v[94:95], v[128:129]
	v_fma_f64 v[128:129], v[92:93], v[128:129], -v[130:131]
	v_fmac_f64_e32 v[136:137], v[146:147], v[10:11]
	v_add_f64_e32 v[4:5], v[4:5], v[120:121]
	v_add_f64_e32 v[8:9], v[8:9], v[148:149]
	ds_load_b128 v[92:95], v2 offset:1040
	ds_load_b128 v[120:123], v2 offset:1056
	v_fma_f64 v[10:11], v[144:145], v[10:11], -v[12:13]
	s_wait_dscnt 0x1
	v_mul_f64_e32 v[130:131], v[92:93], v[142:143]
	v_mul_f64_e32 v[138:139], v[94:95], v[142:143]
	v_add_f64_e32 v[4:5], v[4:5], v[128:129]
	v_add_f64_e32 v[8:9], v[8:9], v[152:153]
	s_wait_loadcnt_dscnt 0x700
	v_mul_f64_e32 v[12:13], v[120:121], v[90:91]
	v_mul_f64_e32 v[128:129], v[122:123], v[90:91]
	v_fmac_f64_e32 v[130:131], v[94:95], v[140:141]
	v_fma_f64 v[94:95], v[92:93], v[140:141], -v[138:139]
	v_add_f64_e32 v[4:5], v[4:5], v[10:11]
	v_add_f64_e32 v[136:137], v[8:9], v[136:137]
	ds_load_b128 v[8:11], v2 offset:1072
	ds_load_b128 v[90:93], v2 offset:1088
	v_fmac_f64_e32 v[12:13], v[122:123], v[88:89]
	v_fma_f64 v[88:89], v[120:121], v[88:89], -v[128:129]
	s_wait_loadcnt_dscnt 0x601
	v_mul_f64_e32 v[138:139], v[8:9], v[126:127]
	v_mul_f64_e32 v[126:127], v[10:11], v[126:127]
	s_wait_loadcnt_dscnt 0x500
	v_mul_f64_e32 v[128:129], v[90:91], v[98:99]
	v_mul_f64_e32 v[98:99], v[92:93], v[98:99]
	v_add_f64_e32 v[4:5], v[4:5], v[94:95]
	v_add_f64_e32 v[94:95], v[136:137], v[130:131]
	v_fmac_f64_e32 v[138:139], v[10:11], v[124:125]
	v_fma_f64 v[124:125], v[8:9], v[124:125], -v[126:127]
	ds_load_b128 v[8:11], v2 offset:1104
	ds_load_b128 v[120:123], v2 offset:1120
	v_fmac_f64_e32 v[128:129], v[92:93], v[96:97]
	v_fma_f64 v[90:91], v[90:91], v[96:97], -v[98:99]
	v_add_f64_e32 v[4:5], v[4:5], v[88:89]
	v_add_f64_e32 v[12:13], v[94:95], v[12:13]
	s_wait_loadcnt_dscnt 0x401
	v_mul_f64_e32 v[94:95], v[8:9], v[102:103]
	v_mul_f64_e32 v[88:89], v[10:11], v[102:103]
	s_wait_loadcnt_dscnt 0x300
	v_mul_f64_e32 v[92:93], v[120:121], v[106:107]
	v_mul_f64_e32 v[96:97], v[122:123], v[106:107]
	v_add_f64_e32 v[4:5], v[4:5], v[124:125]
	v_add_f64_e32 v[12:13], v[12:13], v[138:139]
	v_fmac_f64_e32 v[94:95], v[10:11], v[100:101]
	v_fma_f64 v[98:99], v[8:9], v[100:101], -v[88:89]
	v_fmac_f64_e32 v[92:93], v[122:123], v[104:105]
	v_fma_f64 v[96:97], v[120:121], v[104:105], -v[96:97]
	v_add_f64_e32 v[4:5], v[4:5], v[90:91]
	v_add_f64_e32 v[12:13], v[12:13], v[128:129]
	ds_load_b128 v[8:11], v2 offset:1136
	ds_load_b128 v[88:91], v2 offset:1152
	s_wait_loadcnt_dscnt 0x201
	v_mul_f64_e32 v[100:101], v[8:9], v[110:111]
	v_mul_f64_e32 v[102:103], v[10:11], v[110:111]
	v_add_f64_e32 v[4:5], v[4:5], v[98:99]
	v_add_f64_e32 v[12:13], v[12:13], v[94:95]
	s_wait_loadcnt_dscnt 0x100
	v_mul_f64_e32 v[94:95], v[88:89], v[114:115]
	v_mul_f64_e32 v[98:99], v[90:91], v[114:115]
	v_fmac_f64_e32 v[100:101], v[10:11], v[108:109]
	v_fma_f64 v[102:103], v[8:9], v[108:109], -v[102:103]
	ds_load_b128 v[8:11], v2 offset:1168
	v_add_f64_e32 v[4:5], v[4:5], v[96:97]
	v_add_f64_e32 v[12:13], v[12:13], v[92:93]
	v_fmac_f64_e32 v[94:95], v[90:91], v[112:113]
	v_fma_f64 v[88:89], v[88:89], v[112:113], -v[98:99]
	s_wait_loadcnt_dscnt 0x0
	v_mul_f64_e32 v[92:93], v[8:9], v[118:119]
	v_mul_f64_e32 v[96:97], v[10:11], v[118:119]
	v_add_f64_e32 v[4:5], v[4:5], v[102:103]
	v_add_f64_e32 v[12:13], v[12:13], v[100:101]
	s_delay_alu instid0(VALU_DEP_4) | instskip(NEXT) | instid1(VALU_DEP_4)
	v_fmac_f64_e32 v[92:93], v[10:11], v[116:117]
	v_fma_f64 v[8:9], v[8:9], v[116:117], -v[96:97]
	s_delay_alu instid0(VALU_DEP_4) | instskip(NEXT) | instid1(VALU_DEP_4)
	v_add_f64_e32 v[4:5], v[4:5], v[88:89]
	v_add_f64_e32 v[10:11], v[12:13], v[94:95]
	s_delay_alu instid0(VALU_DEP_2) | instskip(NEXT) | instid1(VALU_DEP_2)
	v_add_f64_e32 v[4:5], v[4:5], v[8:9]
	v_add_f64_e32 v[10:11], v[10:11], v[92:93]
	s_delay_alu instid0(VALU_DEP_2) | instskip(NEXT) | instid1(VALU_DEP_2)
	v_add_f64_e64 v[8:9], v[132:133], -v[4:5]
	v_add_f64_e64 v[10:11], v[134:135], -v[10:11]
	scratch_store_b128 off, v[8:11], off offset:240
	s_wait_xcnt 0x0
	v_cmpx_lt_u32_e32 14, v1
	s_cbranch_execz .LBB36_207
; %bb.206:
	scratch_load_b128 v[8:11], off, s48
	v_dual_mov_b32 v3, v2 :: v_dual_mov_b32 v4, v2
	v_mov_b32_e32 v5, v2
	scratch_store_b128 off, v[2:5], off offset:224
	s_wait_loadcnt 0x0
	ds_store_b128 v6, v[8:11]
.LBB36_207:
	s_wait_xcnt 0x0
	s_or_b32 exec_lo, exec_lo, s2
	s_wait_storecnt_dscnt 0x0
	s_barrier_signal -1
	s_barrier_wait -1
	s_clause 0x9
	scratch_load_b128 v[8:11], off, off offset:240
	scratch_load_b128 v[88:91], off, off offset:256
	;; [unrolled: 1-line block ×10, first 2 shown]
	ds_load_b128 v[124:127], v2 offset:832
	ds_load_b128 v[132:135], v2 offset:848
	s_clause 0x1
	scratch_load_b128 v[128:131], off, off offset:400
	scratch_load_b128 v[136:139], off, off offset:224
	s_mov_b32 s2, exec_lo
	s_wait_loadcnt_dscnt 0xb01
	v_mul_f64_e32 v[4:5], v[126:127], v[10:11]
	v_mul_f64_e32 v[148:149], v[124:125], v[10:11]
	scratch_load_b128 v[10:13], off, off offset:416
	s_wait_loadcnt_dscnt 0xb00
	v_mul_f64_e32 v[150:151], v[132:133], v[90:91]
	v_mul_f64_e32 v[90:91], v[134:135], v[90:91]
	v_fma_f64 v[4:5], v[124:125], v[8:9], -v[4:5]
	v_fmac_f64_e32 v[148:149], v[126:127], v[8:9]
	ds_load_b128 v[124:127], v2 offset:864
	ds_load_b128 v[140:143], v2 offset:880
	scratch_load_b128 v[144:147], off, off offset:432
	v_fmac_f64_e32 v[150:151], v[134:135], v[88:89]
	v_fma_f64 v[132:133], v[132:133], v[88:89], -v[90:91]
	scratch_load_b128 v[88:91], off, off offset:448
	s_wait_loadcnt_dscnt 0xc01
	v_mul_f64_e32 v[8:9], v[124:125], v[94:95]
	v_mul_f64_e32 v[94:95], v[126:127], v[94:95]
	v_add_f64_e32 v[4:5], 0, v[4:5]
	v_add_f64_e32 v[134:135], 0, v[148:149]
	s_wait_loadcnt_dscnt 0xb00
	v_mul_f64_e32 v[148:149], v[140:141], v[98:99]
	v_mul_f64_e32 v[98:99], v[142:143], v[98:99]
	v_fmac_f64_e32 v[8:9], v[126:127], v[92:93]
	v_fma_f64 v[152:153], v[124:125], v[92:93], -v[94:95]
	ds_load_b128 v[92:95], v2 offset:896
	ds_load_b128 v[124:127], v2 offset:912
	v_add_f64_e32 v[4:5], v[4:5], v[132:133]
	v_add_f64_e32 v[150:151], v[134:135], v[150:151]
	scratch_load_b128 v[132:135], off, off offset:464
	v_fmac_f64_e32 v[148:149], v[142:143], v[96:97]
	v_fma_f64 v[140:141], v[140:141], v[96:97], -v[98:99]
	scratch_load_b128 v[96:99], off, off offset:480
	s_wait_loadcnt_dscnt 0xc01
	v_mul_f64_e32 v[154:155], v[92:93], v[102:103]
	v_mul_f64_e32 v[102:103], v[94:95], v[102:103]
	v_add_f64_e32 v[4:5], v[4:5], v[152:153]
	v_add_f64_e32 v[8:9], v[150:151], v[8:9]
	s_wait_loadcnt_dscnt 0xb00
	v_mul_f64_e32 v[150:151], v[124:125], v[106:107]
	v_mul_f64_e32 v[106:107], v[126:127], v[106:107]
	v_fmac_f64_e32 v[154:155], v[94:95], v[100:101]
	v_fma_f64 v[152:153], v[92:93], v[100:101], -v[102:103]
	ds_load_b128 v[92:95], v2 offset:928
	ds_load_b128 v[100:103], v2 offset:944
	v_add_f64_e32 v[4:5], v[4:5], v[140:141]
	v_add_f64_e32 v[8:9], v[8:9], v[148:149]
	scratch_load_b128 v[140:143], off, off offset:496
	s_wait_loadcnt_dscnt 0xb01
	v_mul_f64_e32 v[148:149], v[92:93], v[110:111]
	v_mul_f64_e32 v[110:111], v[94:95], v[110:111]
	v_fmac_f64_e32 v[150:151], v[126:127], v[104:105]
	v_fma_f64 v[124:125], v[124:125], v[104:105], -v[106:107]
	scratch_load_b128 v[104:107], off, off offset:512
	v_add_f64_e32 v[4:5], v[4:5], v[152:153]
	v_add_f64_e32 v[8:9], v[8:9], v[154:155]
	s_wait_loadcnt_dscnt 0xb00
	v_mul_f64_e32 v[152:153], v[100:101], v[114:115]
	v_mul_f64_e32 v[114:115], v[102:103], v[114:115]
	v_fmac_f64_e32 v[148:149], v[94:95], v[108:109]
	v_fma_f64 v[154:155], v[92:93], v[108:109], -v[110:111]
	ds_load_b128 v[92:95], v2 offset:960
	ds_load_b128 v[108:111], v2 offset:976
	v_add_f64_e32 v[4:5], v[4:5], v[124:125]
	v_add_f64_e32 v[8:9], v[8:9], v[150:151]
	scratch_load_b128 v[124:127], off, off offset:528
	s_wait_loadcnt_dscnt 0xb01
	v_mul_f64_e32 v[150:151], v[92:93], v[118:119]
	v_mul_f64_e32 v[118:119], v[94:95], v[118:119]
	v_fmac_f64_e32 v[152:153], v[102:103], v[112:113]
	v_fma_f64 v[112:113], v[100:101], v[112:113], -v[114:115]
	scratch_load_b128 v[100:103], off, off offset:544
	v_add_f64_e32 v[4:5], v[4:5], v[154:155]
	v_add_f64_e32 v[8:9], v[8:9], v[148:149]
	s_wait_loadcnt_dscnt 0xb00
	v_mul_f64_e32 v[148:149], v[108:109], v[122:123]
	v_mul_f64_e32 v[122:123], v[110:111], v[122:123]
	v_fmac_f64_e32 v[150:151], v[94:95], v[116:117]
	v_fma_f64 v[154:155], v[92:93], v[116:117], -v[118:119]
	v_add_f64_e32 v[4:5], v[4:5], v[112:113]
	v_add_f64_e32 v[8:9], v[8:9], v[152:153]
	ds_load_b128 v[92:95], v2 offset:992
	ds_load_b128 v[112:115], v2 offset:1008
	scratch_load_b128 v[116:119], off, off offset:560
	v_fmac_f64_e32 v[148:149], v[110:111], v[120:121]
	v_fma_f64 v[120:121], v[108:109], v[120:121], -v[122:123]
	scratch_load_b128 v[108:111], off, off offset:576
	s_wait_loadcnt_dscnt 0xc01
	v_mul_f64_e32 v[152:153], v[92:93], v[130:131]
	v_mul_f64_e32 v[130:131], v[94:95], v[130:131]
	v_add_f64_e32 v[4:5], v[4:5], v[154:155]
	v_add_f64_e32 v[8:9], v[8:9], v[150:151]
	s_wait_loadcnt_dscnt 0xa00
	v_mul_f64_e32 v[150:151], v[112:113], v[12:13]
	v_mul_f64_e32 v[12:13], v[114:115], v[12:13]
	v_fmac_f64_e32 v[152:153], v[94:95], v[128:129]
	v_fma_f64 v[128:129], v[92:93], v[128:129], -v[130:131]
	v_add_f64_e32 v[4:5], v[4:5], v[120:121]
	v_add_f64_e32 v[8:9], v[8:9], v[148:149]
	ds_load_b128 v[92:95], v2 offset:1024
	ds_load_b128 v[120:123], v2 offset:1040
	v_fmac_f64_e32 v[150:151], v[114:115], v[10:11]
	v_fma_f64 v[10:11], v[112:113], v[10:11], -v[12:13]
	s_wait_loadcnt_dscnt 0x901
	v_mul_f64_e32 v[130:131], v[92:93], v[146:147]
	v_mul_f64_e32 v[146:147], v[94:95], v[146:147]
	s_wait_loadcnt_dscnt 0x800
	v_mul_f64_e32 v[12:13], v[120:121], v[90:91]
	v_mul_f64_e32 v[112:113], v[122:123], v[90:91]
	v_add_f64_e32 v[4:5], v[4:5], v[128:129]
	v_add_f64_e32 v[8:9], v[8:9], v[152:153]
	v_fmac_f64_e32 v[130:131], v[94:95], v[144:145]
	v_fma_f64 v[94:95], v[92:93], v[144:145], -v[146:147]
	v_fmac_f64_e32 v[12:13], v[122:123], v[88:89]
	v_fma_f64 v[88:89], v[120:121], v[88:89], -v[112:113]
	v_add_f64_e32 v[4:5], v[4:5], v[10:11]
	v_add_f64_e32 v[114:115], v[8:9], v[150:151]
	ds_load_b128 v[8:11], v2 offset:1056
	ds_load_b128 v[90:93], v2 offset:1072
	s_wait_loadcnt_dscnt 0x701
	v_mul_f64_e32 v[128:129], v[8:9], v[134:135]
	v_mul_f64_e32 v[134:135], v[10:11], v[134:135]
	s_wait_loadcnt_dscnt 0x600
	v_mul_f64_e32 v[120:121], v[90:91], v[98:99]
	v_mul_f64_e32 v[98:99], v[92:93], v[98:99]
	v_add_f64_e32 v[4:5], v[4:5], v[94:95]
	v_add_f64_e32 v[94:95], v[114:115], v[130:131]
	v_fmac_f64_e32 v[128:129], v[10:11], v[132:133]
	v_fma_f64 v[122:123], v[8:9], v[132:133], -v[134:135]
	ds_load_b128 v[8:11], v2 offset:1088
	ds_load_b128 v[112:115], v2 offset:1104
	v_fmac_f64_e32 v[120:121], v[92:93], v[96:97]
	v_fma_f64 v[90:91], v[90:91], v[96:97], -v[98:99]
	v_add_f64_e32 v[4:5], v[4:5], v[88:89]
	v_add_f64_e32 v[12:13], v[94:95], v[12:13]
	s_wait_loadcnt_dscnt 0x501
	v_mul_f64_e32 v[94:95], v[8:9], v[142:143]
	v_mul_f64_e32 v[88:89], v[10:11], v[142:143]
	s_wait_loadcnt_dscnt 0x400
	v_mul_f64_e32 v[92:93], v[112:113], v[106:107]
	v_mul_f64_e32 v[96:97], v[114:115], v[106:107]
	v_add_f64_e32 v[4:5], v[4:5], v[122:123]
	v_add_f64_e32 v[12:13], v[12:13], v[128:129]
	v_fmac_f64_e32 v[94:95], v[10:11], v[140:141]
	v_fma_f64 v[98:99], v[8:9], v[140:141], -v[88:89]
	v_fmac_f64_e32 v[92:93], v[114:115], v[104:105]
	v_fma_f64 v[96:97], v[112:113], v[104:105], -v[96:97]
	v_add_f64_e32 v[4:5], v[4:5], v[90:91]
	v_add_f64_e32 v[12:13], v[12:13], v[120:121]
	ds_load_b128 v[8:11], v2 offset:1120
	ds_load_b128 v[88:91], v2 offset:1136
	s_wait_loadcnt_dscnt 0x301
	v_mul_f64_e32 v[106:107], v[8:9], v[126:127]
	v_mul_f64_e32 v[120:121], v[10:11], v[126:127]
	v_add_f64_e32 v[4:5], v[4:5], v[98:99]
	v_add_f64_e32 v[12:13], v[12:13], v[94:95]
	s_wait_loadcnt_dscnt 0x200
	v_mul_f64_e32 v[94:95], v[88:89], v[102:103]
	v_mul_f64_e32 v[98:99], v[90:91], v[102:103]
	v_fmac_f64_e32 v[106:107], v[10:11], v[124:125]
	v_fma_f64 v[102:103], v[8:9], v[124:125], -v[120:121]
	v_add_f64_e32 v[96:97], v[4:5], v[96:97]
	v_add_f64_e32 v[12:13], v[12:13], v[92:93]
	ds_load_b128 v[8:11], v2 offset:1152
	ds_load_b128 v[2:5], v2 offset:1168
	v_fmac_f64_e32 v[94:95], v[90:91], v[100:101]
	v_fma_f64 v[88:89], v[88:89], v[100:101], -v[98:99]
	s_wait_loadcnt_dscnt 0x101
	v_mul_f64_e32 v[92:93], v[8:9], v[118:119]
	v_mul_f64_e32 v[104:105], v[10:11], v[118:119]
	s_wait_loadcnt_dscnt 0x0
	v_mul_f64_e32 v[98:99], v[4:5], v[110:111]
	v_add_f64_e32 v[90:91], v[96:97], v[102:103]
	v_add_f64_e32 v[12:13], v[12:13], v[106:107]
	v_mul_f64_e32 v[96:97], v[2:3], v[110:111]
	v_fmac_f64_e32 v[92:93], v[10:11], v[116:117]
	v_fma_f64 v[8:9], v[8:9], v[116:117], -v[104:105]
	v_fma_f64 v[2:3], v[2:3], v[108:109], -v[98:99]
	v_add_f64_e32 v[10:11], v[90:91], v[88:89]
	v_add_f64_e32 v[12:13], v[12:13], v[94:95]
	v_fmac_f64_e32 v[96:97], v[4:5], v[108:109]
	s_delay_alu instid0(VALU_DEP_3) | instskip(NEXT) | instid1(VALU_DEP_3)
	v_add_f64_e32 v[4:5], v[10:11], v[8:9]
	v_add_f64_e32 v[8:9], v[12:13], v[92:93]
	s_delay_alu instid0(VALU_DEP_2) | instskip(NEXT) | instid1(VALU_DEP_2)
	v_add_f64_e32 v[2:3], v[4:5], v[2:3]
	v_add_f64_e32 v[4:5], v[8:9], v[96:97]
	s_delay_alu instid0(VALU_DEP_2) | instskip(NEXT) | instid1(VALU_DEP_2)
	v_add_f64_e64 v[2:3], v[136:137], -v[2:3]
	v_add_f64_e64 v[4:5], v[138:139], -v[4:5]
	scratch_store_b128 off, v[2:5], off offset:224
	s_wait_xcnt 0x0
	v_cmpx_lt_u32_e32 13, v1
	s_cbranch_execz .LBB36_209
; %bb.208:
	scratch_load_b128 v[2:5], off, s47
	v_mov_b32_e32 v8, 0
	s_delay_alu instid0(VALU_DEP_1)
	v_dual_mov_b32 v9, v8 :: v_dual_mov_b32 v10, v8
	v_mov_b32_e32 v11, v8
	scratch_store_b128 off, v[8:11], off offset:208
	s_wait_loadcnt 0x0
	ds_store_b128 v6, v[2:5]
.LBB36_209:
	s_wait_xcnt 0x0
	s_or_b32 exec_lo, exec_lo, s2
	s_wait_storecnt_dscnt 0x0
	s_barrier_signal -1
	s_barrier_wait -1
	s_clause 0x9
	scratch_load_b128 v[8:11], off, off offset:224
	scratch_load_b128 v[88:91], off, off offset:240
	;; [unrolled: 1-line block ×10, first 2 shown]
	v_mov_b32_e32 v2, 0
	s_mov_b32 s2, exec_lo
	ds_load_b128 v[124:127], v2 offset:816
	s_clause 0x2
	scratch_load_b128 v[128:131], off, off offset:384
	scratch_load_b128 v[132:135], off, off offset:208
	;; [unrolled: 1-line block ×3, first 2 shown]
	s_wait_loadcnt_dscnt 0xc00
	v_mul_f64_e32 v[4:5], v[126:127], v[10:11]
	v_mul_f64_e32 v[148:149], v[124:125], v[10:11]
	ds_load_b128 v[136:139], v2 offset:832
	scratch_load_b128 v[10:13], off, off offset:400
	ds_load_b128 v[144:147], v2 offset:864
	v_fma_f64 v[4:5], v[124:125], v[8:9], -v[4:5]
	v_fmac_f64_e32 v[148:149], v[126:127], v[8:9]
	ds_load_b128 v[124:127], v2 offset:848
	s_wait_loadcnt_dscnt 0xc02
	v_mul_f64_e32 v[150:151], v[136:137], v[90:91]
	v_mul_f64_e32 v[90:91], v[138:139], v[90:91]
	s_wait_loadcnt_dscnt 0xb00
	v_mul_f64_e32 v[8:9], v[124:125], v[94:95]
	v_mul_f64_e32 v[94:95], v[126:127], v[94:95]
	v_add_f64_e32 v[4:5], 0, v[4:5]
	v_fmac_f64_e32 v[150:151], v[138:139], v[88:89]
	v_fma_f64 v[136:137], v[136:137], v[88:89], -v[90:91]
	v_add_f64_e32 v[138:139], 0, v[148:149]
	scratch_load_b128 v[88:91], off, off offset:432
	v_fmac_f64_e32 v[8:9], v[126:127], v[92:93]
	v_fma_f64 v[152:153], v[124:125], v[92:93], -v[94:95]
	ds_load_b128 v[92:95], v2 offset:880
	s_wait_loadcnt 0xb
	v_mul_f64_e32 v[148:149], v[144:145], v[98:99]
	v_mul_f64_e32 v[98:99], v[146:147], v[98:99]
	scratch_load_b128 v[124:127], off, off offset:448
	v_add_f64_e32 v[4:5], v[4:5], v[136:137]
	v_add_f64_e32 v[150:151], v[138:139], v[150:151]
	ds_load_b128 v[136:139], v2 offset:896
	s_wait_loadcnt_dscnt 0xb01
	v_mul_f64_e32 v[154:155], v[92:93], v[102:103]
	v_mul_f64_e32 v[102:103], v[94:95], v[102:103]
	v_fmac_f64_e32 v[148:149], v[146:147], v[96:97]
	v_fma_f64 v[144:145], v[144:145], v[96:97], -v[98:99]
	scratch_load_b128 v[96:99], off, off offset:464
	v_add_f64_e32 v[4:5], v[4:5], v[152:153]
	v_add_f64_e32 v[8:9], v[150:151], v[8:9]
	v_fmac_f64_e32 v[154:155], v[94:95], v[100:101]
	v_fma_f64 v[152:153], v[92:93], v[100:101], -v[102:103]
	ds_load_b128 v[92:95], v2 offset:912
	s_wait_loadcnt_dscnt 0xb01
	v_mul_f64_e32 v[150:151], v[136:137], v[106:107]
	v_mul_f64_e32 v[106:107], v[138:139], v[106:107]
	scratch_load_b128 v[100:103], off, off offset:480
	v_add_f64_e32 v[4:5], v[4:5], v[144:145]
	v_add_f64_e32 v[8:9], v[8:9], v[148:149]
	s_wait_loadcnt_dscnt 0xb00
	v_mul_f64_e32 v[148:149], v[92:93], v[110:111]
	v_mul_f64_e32 v[110:111], v[94:95], v[110:111]
	ds_load_b128 v[144:147], v2 offset:928
	v_fmac_f64_e32 v[150:151], v[138:139], v[104:105]
	v_fma_f64 v[136:137], v[136:137], v[104:105], -v[106:107]
	scratch_load_b128 v[104:107], off, off offset:496
	v_add_f64_e32 v[4:5], v[4:5], v[152:153]
	v_add_f64_e32 v[8:9], v[8:9], v[154:155]
	v_fmac_f64_e32 v[148:149], v[94:95], v[108:109]
	v_fma_f64 v[154:155], v[92:93], v[108:109], -v[110:111]
	ds_load_b128 v[92:95], v2 offset:944
	s_wait_loadcnt_dscnt 0xb01
	v_mul_f64_e32 v[152:153], v[144:145], v[114:115]
	v_mul_f64_e32 v[114:115], v[146:147], v[114:115]
	scratch_load_b128 v[108:111], off, off offset:512
	v_add_f64_e32 v[4:5], v[4:5], v[136:137]
	v_add_f64_e32 v[8:9], v[8:9], v[150:151]
	s_wait_loadcnt_dscnt 0xb00
	v_mul_f64_e32 v[150:151], v[92:93], v[118:119]
	v_mul_f64_e32 v[118:119], v[94:95], v[118:119]
	ds_load_b128 v[136:139], v2 offset:960
	v_fmac_f64_e32 v[152:153], v[146:147], v[112:113]
	v_fma_f64 v[144:145], v[144:145], v[112:113], -v[114:115]
	scratch_load_b128 v[112:115], off, off offset:528
	v_add_f64_e32 v[4:5], v[4:5], v[154:155]
	v_add_f64_e32 v[8:9], v[8:9], v[148:149]
	v_fmac_f64_e32 v[150:151], v[94:95], v[116:117]
	v_fma_f64 v[154:155], v[92:93], v[116:117], -v[118:119]
	ds_load_b128 v[92:95], v2 offset:976
	s_wait_loadcnt_dscnt 0xb01
	v_mul_f64_e32 v[148:149], v[136:137], v[122:123]
	v_mul_f64_e32 v[122:123], v[138:139], v[122:123]
	scratch_load_b128 v[116:119], off, off offset:544
	v_add_f64_e32 v[4:5], v[4:5], v[144:145]
	v_add_f64_e32 v[8:9], v[8:9], v[152:153]
	s_wait_loadcnt_dscnt 0xb00
	v_mul_f64_e32 v[152:153], v[92:93], v[130:131]
	v_mul_f64_e32 v[130:131], v[94:95], v[130:131]
	ds_load_b128 v[144:147], v2 offset:992
	v_fmac_f64_e32 v[148:149], v[138:139], v[120:121]
	v_fma_f64 v[136:137], v[136:137], v[120:121], -v[122:123]
	scratch_load_b128 v[120:123], off, off offset:560
	v_add_f64_e32 v[4:5], v[4:5], v[154:155]
	v_add_f64_e32 v[8:9], v[8:9], v[150:151]
	v_fmac_f64_e32 v[152:153], v[94:95], v[128:129]
	v_fma_f64 v[154:155], v[92:93], v[128:129], -v[130:131]
	ds_load_b128 v[92:95], v2 offset:1008
	s_wait_loadcnt_dscnt 0x901
	v_mul_f64_e32 v[150:151], v[144:145], v[12:13]
	v_mul_f64_e32 v[12:13], v[146:147], v[12:13]
	scratch_load_b128 v[128:131], off, off offset:576
	v_add_f64_e32 v[4:5], v[4:5], v[136:137]
	v_add_f64_e32 v[8:9], v[8:9], v[148:149]
	s_wait_dscnt 0x0
	v_mul_f64_e32 v[148:149], v[92:93], v[142:143]
	v_mul_f64_e32 v[142:143], v[94:95], v[142:143]
	ds_load_b128 v[136:139], v2 offset:1024
	v_fmac_f64_e32 v[150:151], v[146:147], v[10:11]
	v_fma_f64 v[10:11], v[144:145], v[10:11], -v[12:13]
	v_add_f64_e32 v[4:5], v[4:5], v[154:155]
	v_add_f64_e32 v[8:9], v[8:9], v[152:153]
	s_wait_loadcnt_dscnt 0x900
	v_mul_f64_e32 v[12:13], v[136:137], v[90:91]
	v_mul_f64_e32 v[144:145], v[138:139], v[90:91]
	v_fmac_f64_e32 v[148:149], v[94:95], v[140:141]
	v_fma_f64 v[94:95], v[92:93], v[140:141], -v[142:143]
	v_add_f64_e32 v[4:5], v[4:5], v[10:11]
	v_add_f64_e32 v[140:141], v[8:9], v[150:151]
	ds_load_b128 v[8:11], v2 offset:1040
	ds_load_b128 v[90:93], v2 offset:1056
	v_fmac_f64_e32 v[12:13], v[138:139], v[88:89]
	v_fma_f64 v[88:89], v[136:137], v[88:89], -v[144:145]
	s_wait_loadcnt_dscnt 0x801
	v_mul_f64_e32 v[142:143], v[8:9], v[126:127]
	v_mul_f64_e32 v[126:127], v[10:11], v[126:127]
	s_wait_loadcnt_dscnt 0x700
	v_mul_f64_e32 v[136:137], v[90:91], v[98:99]
	v_mul_f64_e32 v[98:99], v[92:93], v[98:99]
	v_add_f64_e32 v[4:5], v[4:5], v[94:95]
	v_add_f64_e32 v[94:95], v[140:141], v[148:149]
	v_fmac_f64_e32 v[142:143], v[10:11], v[124:125]
	v_fma_f64 v[138:139], v[8:9], v[124:125], -v[126:127]
	ds_load_b128 v[8:11], v2 offset:1072
	ds_load_b128 v[124:127], v2 offset:1088
	v_fmac_f64_e32 v[136:137], v[92:93], v[96:97]
	v_fma_f64 v[90:91], v[90:91], v[96:97], -v[98:99]
	v_add_f64_e32 v[4:5], v[4:5], v[88:89]
	v_add_f64_e32 v[12:13], v[94:95], v[12:13]
	s_wait_loadcnt_dscnt 0x601
	v_mul_f64_e32 v[94:95], v[8:9], v[102:103]
	v_mul_f64_e32 v[88:89], v[10:11], v[102:103]
	s_wait_loadcnt_dscnt 0x500
	v_mul_f64_e32 v[92:93], v[124:125], v[106:107]
	v_mul_f64_e32 v[96:97], v[126:127], v[106:107]
	v_add_f64_e32 v[4:5], v[4:5], v[138:139]
	v_add_f64_e32 v[12:13], v[12:13], v[142:143]
	v_fmac_f64_e32 v[94:95], v[10:11], v[100:101]
	v_fma_f64 v[98:99], v[8:9], v[100:101], -v[88:89]
	v_fmac_f64_e32 v[92:93], v[126:127], v[104:105]
	v_fma_f64 v[96:97], v[124:125], v[104:105], -v[96:97]
	v_add_f64_e32 v[4:5], v[4:5], v[90:91]
	v_add_f64_e32 v[12:13], v[12:13], v[136:137]
	ds_load_b128 v[8:11], v2 offset:1104
	ds_load_b128 v[88:91], v2 offset:1120
	s_wait_loadcnt_dscnt 0x401
	v_mul_f64_e32 v[100:101], v[8:9], v[110:111]
	v_mul_f64_e32 v[102:103], v[10:11], v[110:111]
	s_wait_loadcnt_dscnt 0x300
	v_mul_f64_e32 v[104:105], v[90:91], v[114:115]
	v_add_f64_e32 v[4:5], v[4:5], v[98:99]
	v_add_f64_e32 v[12:13], v[12:13], v[94:95]
	v_mul_f64_e32 v[98:99], v[88:89], v[114:115]
	v_fmac_f64_e32 v[100:101], v[10:11], v[108:109]
	v_fma_f64 v[102:103], v[8:9], v[108:109], -v[102:103]
	v_fma_f64 v[88:89], v[88:89], v[112:113], -v[104:105]
	v_add_f64_e32 v[4:5], v[4:5], v[96:97]
	v_add_f64_e32 v[12:13], v[12:13], v[92:93]
	ds_load_b128 v[8:11], v2 offset:1136
	ds_load_b128 v[92:95], v2 offset:1152
	v_fmac_f64_e32 v[98:99], v[90:91], v[112:113]
	s_wait_loadcnt_dscnt 0x201
	v_mul_f64_e32 v[96:97], v[8:9], v[118:119]
	v_mul_f64_e32 v[106:107], v[10:11], v[118:119]
	s_wait_loadcnt_dscnt 0x100
	v_mul_f64_e32 v[90:91], v[92:93], v[122:123]
	v_add_f64_e32 v[4:5], v[4:5], v[102:103]
	v_add_f64_e32 v[12:13], v[12:13], v[100:101]
	v_mul_f64_e32 v[100:101], v[94:95], v[122:123]
	v_fmac_f64_e32 v[96:97], v[10:11], v[116:117]
	v_fma_f64 v[102:103], v[8:9], v[116:117], -v[106:107]
	ds_load_b128 v[8:11], v2 offset:1168
	v_fmac_f64_e32 v[90:91], v[94:95], v[120:121]
	v_add_f64_e32 v[4:5], v[4:5], v[88:89]
	v_add_f64_e32 v[12:13], v[12:13], v[98:99]
	v_fma_f64 v[92:93], v[92:93], v[120:121], -v[100:101]
	s_wait_loadcnt_dscnt 0x0
	v_mul_f64_e32 v[88:89], v[8:9], v[130:131]
	v_mul_f64_e32 v[98:99], v[10:11], v[130:131]
	v_add_f64_e32 v[4:5], v[4:5], v[102:103]
	v_add_f64_e32 v[12:13], v[12:13], v[96:97]
	s_delay_alu instid0(VALU_DEP_4) | instskip(NEXT) | instid1(VALU_DEP_4)
	v_fmac_f64_e32 v[88:89], v[10:11], v[128:129]
	v_fma_f64 v[8:9], v[8:9], v[128:129], -v[98:99]
	s_delay_alu instid0(VALU_DEP_4) | instskip(NEXT) | instid1(VALU_DEP_4)
	v_add_f64_e32 v[4:5], v[4:5], v[92:93]
	v_add_f64_e32 v[10:11], v[12:13], v[90:91]
	s_delay_alu instid0(VALU_DEP_2) | instskip(NEXT) | instid1(VALU_DEP_2)
	v_add_f64_e32 v[4:5], v[4:5], v[8:9]
	v_add_f64_e32 v[10:11], v[10:11], v[88:89]
	s_delay_alu instid0(VALU_DEP_2) | instskip(NEXT) | instid1(VALU_DEP_2)
	v_add_f64_e64 v[8:9], v[132:133], -v[4:5]
	v_add_f64_e64 v[10:11], v[134:135], -v[10:11]
	scratch_store_b128 off, v[8:11], off offset:208
	s_wait_xcnt 0x0
	v_cmpx_lt_u32_e32 12, v1
	s_cbranch_execz .LBB36_211
; %bb.210:
	scratch_load_b128 v[8:11], off, s46
	v_dual_mov_b32 v3, v2 :: v_dual_mov_b32 v4, v2
	v_mov_b32_e32 v5, v2
	scratch_store_b128 off, v[2:5], off offset:192
	s_wait_loadcnt 0x0
	ds_store_b128 v6, v[8:11]
.LBB36_211:
	s_wait_xcnt 0x0
	s_or_b32 exec_lo, exec_lo, s2
	s_wait_storecnt_dscnt 0x0
	s_barrier_signal -1
	s_barrier_wait -1
	s_clause 0x9
	scratch_load_b128 v[8:11], off, off offset:208
	scratch_load_b128 v[88:91], off, off offset:224
	;; [unrolled: 1-line block ×10, first 2 shown]
	ds_load_b128 v[124:127], v2 offset:800
	ds_load_b128 v[132:135], v2 offset:816
	s_clause 0x1
	scratch_load_b128 v[128:131], off, off offset:368
	scratch_load_b128 v[136:139], off, off offset:192
	s_mov_b32 s2, exec_lo
	s_wait_loadcnt_dscnt 0xb01
	v_mul_f64_e32 v[4:5], v[126:127], v[10:11]
	v_mul_f64_e32 v[148:149], v[124:125], v[10:11]
	scratch_load_b128 v[10:13], off, off offset:384
	s_wait_loadcnt_dscnt 0xb00
	v_mul_f64_e32 v[150:151], v[132:133], v[90:91]
	v_mul_f64_e32 v[90:91], v[134:135], v[90:91]
	v_fma_f64 v[4:5], v[124:125], v[8:9], -v[4:5]
	v_fmac_f64_e32 v[148:149], v[126:127], v[8:9]
	ds_load_b128 v[124:127], v2 offset:832
	ds_load_b128 v[140:143], v2 offset:848
	scratch_load_b128 v[144:147], off, off offset:400
	v_fmac_f64_e32 v[150:151], v[134:135], v[88:89]
	v_fma_f64 v[132:133], v[132:133], v[88:89], -v[90:91]
	scratch_load_b128 v[88:91], off, off offset:416
	s_wait_loadcnt_dscnt 0xc01
	v_mul_f64_e32 v[8:9], v[124:125], v[94:95]
	v_mul_f64_e32 v[94:95], v[126:127], v[94:95]
	v_add_f64_e32 v[4:5], 0, v[4:5]
	v_add_f64_e32 v[134:135], 0, v[148:149]
	s_wait_loadcnt_dscnt 0xb00
	v_mul_f64_e32 v[148:149], v[140:141], v[98:99]
	v_mul_f64_e32 v[98:99], v[142:143], v[98:99]
	v_fmac_f64_e32 v[8:9], v[126:127], v[92:93]
	v_fma_f64 v[152:153], v[124:125], v[92:93], -v[94:95]
	ds_load_b128 v[92:95], v2 offset:864
	ds_load_b128 v[124:127], v2 offset:880
	v_add_f64_e32 v[4:5], v[4:5], v[132:133]
	v_add_f64_e32 v[150:151], v[134:135], v[150:151]
	scratch_load_b128 v[132:135], off, off offset:432
	v_fmac_f64_e32 v[148:149], v[142:143], v[96:97]
	v_fma_f64 v[140:141], v[140:141], v[96:97], -v[98:99]
	scratch_load_b128 v[96:99], off, off offset:448
	s_wait_loadcnt_dscnt 0xc01
	v_mul_f64_e32 v[154:155], v[92:93], v[102:103]
	v_mul_f64_e32 v[102:103], v[94:95], v[102:103]
	v_add_f64_e32 v[4:5], v[4:5], v[152:153]
	v_add_f64_e32 v[8:9], v[150:151], v[8:9]
	s_wait_loadcnt_dscnt 0xb00
	v_mul_f64_e32 v[150:151], v[124:125], v[106:107]
	v_mul_f64_e32 v[106:107], v[126:127], v[106:107]
	v_fmac_f64_e32 v[154:155], v[94:95], v[100:101]
	v_fma_f64 v[152:153], v[92:93], v[100:101], -v[102:103]
	ds_load_b128 v[92:95], v2 offset:896
	ds_load_b128 v[100:103], v2 offset:912
	v_add_f64_e32 v[4:5], v[4:5], v[140:141]
	v_add_f64_e32 v[8:9], v[8:9], v[148:149]
	scratch_load_b128 v[140:143], off, off offset:464
	s_wait_loadcnt_dscnt 0xb01
	v_mul_f64_e32 v[148:149], v[92:93], v[110:111]
	v_mul_f64_e32 v[110:111], v[94:95], v[110:111]
	v_fmac_f64_e32 v[150:151], v[126:127], v[104:105]
	v_fma_f64 v[124:125], v[124:125], v[104:105], -v[106:107]
	scratch_load_b128 v[104:107], off, off offset:480
	v_add_f64_e32 v[4:5], v[4:5], v[152:153]
	v_add_f64_e32 v[8:9], v[8:9], v[154:155]
	s_wait_loadcnt_dscnt 0xb00
	v_mul_f64_e32 v[152:153], v[100:101], v[114:115]
	v_mul_f64_e32 v[114:115], v[102:103], v[114:115]
	v_fmac_f64_e32 v[148:149], v[94:95], v[108:109]
	v_fma_f64 v[154:155], v[92:93], v[108:109], -v[110:111]
	ds_load_b128 v[92:95], v2 offset:928
	ds_load_b128 v[108:111], v2 offset:944
	v_add_f64_e32 v[4:5], v[4:5], v[124:125]
	v_add_f64_e32 v[8:9], v[8:9], v[150:151]
	scratch_load_b128 v[124:127], off, off offset:496
	s_wait_loadcnt_dscnt 0xb01
	v_mul_f64_e32 v[150:151], v[92:93], v[118:119]
	v_mul_f64_e32 v[118:119], v[94:95], v[118:119]
	v_fmac_f64_e32 v[152:153], v[102:103], v[112:113]
	v_fma_f64 v[112:113], v[100:101], v[112:113], -v[114:115]
	scratch_load_b128 v[100:103], off, off offset:512
	v_add_f64_e32 v[4:5], v[4:5], v[154:155]
	v_add_f64_e32 v[8:9], v[8:9], v[148:149]
	s_wait_loadcnt_dscnt 0xb00
	v_mul_f64_e32 v[148:149], v[108:109], v[122:123]
	v_mul_f64_e32 v[122:123], v[110:111], v[122:123]
	v_fmac_f64_e32 v[150:151], v[94:95], v[116:117]
	v_fma_f64 v[154:155], v[92:93], v[116:117], -v[118:119]
	v_add_f64_e32 v[4:5], v[4:5], v[112:113]
	v_add_f64_e32 v[8:9], v[8:9], v[152:153]
	ds_load_b128 v[92:95], v2 offset:960
	ds_load_b128 v[112:115], v2 offset:976
	scratch_load_b128 v[116:119], off, off offset:528
	v_fmac_f64_e32 v[148:149], v[110:111], v[120:121]
	v_fma_f64 v[120:121], v[108:109], v[120:121], -v[122:123]
	scratch_load_b128 v[108:111], off, off offset:544
	s_wait_loadcnt_dscnt 0xc01
	v_mul_f64_e32 v[152:153], v[92:93], v[130:131]
	v_mul_f64_e32 v[130:131], v[94:95], v[130:131]
	v_add_f64_e32 v[4:5], v[4:5], v[154:155]
	v_add_f64_e32 v[8:9], v[8:9], v[150:151]
	s_wait_loadcnt_dscnt 0xa00
	v_mul_f64_e32 v[150:151], v[112:113], v[12:13]
	v_mul_f64_e32 v[12:13], v[114:115], v[12:13]
	v_fmac_f64_e32 v[152:153], v[94:95], v[128:129]
	v_fma_f64 v[154:155], v[92:93], v[128:129], -v[130:131]
	v_add_f64_e32 v[4:5], v[4:5], v[120:121]
	v_add_f64_e32 v[8:9], v[8:9], v[148:149]
	ds_load_b128 v[92:95], v2 offset:992
	ds_load_b128 v[120:123], v2 offset:1008
	scratch_load_b128 v[128:131], off, off offset:560
	v_fmac_f64_e32 v[150:151], v[114:115], v[10:11]
	v_fma_f64 v[12:13], v[112:113], v[10:11], -v[12:13]
	s_wait_loadcnt_dscnt 0xa01
	v_mul_f64_e32 v[148:149], v[92:93], v[146:147]
	v_mul_f64_e32 v[146:147], v[94:95], v[146:147]
	v_add_f64_e32 v[4:5], v[4:5], v[154:155]
	v_add_f64_e32 v[112:113], v[8:9], v[152:153]
	scratch_load_b128 v[8:11], off, off offset:576
	s_wait_loadcnt_dscnt 0xa00
	v_mul_f64_e32 v[152:153], v[120:121], v[90:91]
	v_mul_f64_e32 v[154:155], v[122:123], v[90:91]
	v_fmac_f64_e32 v[148:149], v[94:95], v[144:145]
	v_fma_f64 v[94:95], v[92:93], v[144:145], -v[146:147]
	v_add_f64_e32 v[4:5], v[4:5], v[12:13]
	v_add_f64_e32 v[12:13], v[112:113], v[150:151]
	ds_load_b128 v[90:93], v2 offset:1024
	ds_load_b128 v[112:115], v2 offset:1040
	v_fmac_f64_e32 v[152:153], v[122:123], v[88:89]
	v_fma_f64 v[88:89], v[120:121], v[88:89], -v[154:155]
	s_wait_loadcnt_dscnt 0x901
	v_mul_f64_e32 v[144:145], v[90:91], v[134:135]
	v_mul_f64_e32 v[134:135], v[92:93], v[134:135]
	s_wait_loadcnt_dscnt 0x800
	v_mul_f64_e32 v[120:121], v[112:113], v[98:99]
	v_mul_f64_e32 v[98:99], v[114:115], v[98:99]
	v_add_f64_e32 v[4:5], v[4:5], v[94:95]
	v_add_f64_e32 v[12:13], v[12:13], v[148:149]
	v_fmac_f64_e32 v[144:145], v[92:93], v[132:133]
	v_fma_f64 v[122:123], v[90:91], v[132:133], -v[134:135]
	v_fmac_f64_e32 v[120:121], v[114:115], v[96:97]
	v_fma_f64 v[96:97], v[112:113], v[96:97], -v[98:99]
	v_add_f64_e32 v[4:5], v[4:5], v[88:89]
	v_add_f64_e32 v[12:13], v[12:13], v[152:153]
	ds_load_b128 v[88:91], v2 offset:1056
	ds_load_b128 v[92:95], v2 offset:1072
	s_wait_loadcnt_dscnt 0x701
	v_mul_f64_e32 v[132:133], v[88:89], v[142:143]
	v_mul_f64_e32 v[134:135], v[90:91], v[142:143]
	s_wait_loadcnt_dscnt 0x600
	v_mul_f64_e32 v[112:113], v[92:93], v[106:107]
	v_mul_f64_e32 v[106:107], v[94:95], v[106:107]
	v_add_f64_e32 v[4:5], v[4:5], v[122:123]
	v_add_f64_e32 v[12:13], v[12:13], v[144:145]
	v_fmac_f64_e32 v[132:133], v[90:91], v[140:141]
	v_fma_f64 v[114:115], v[88:89], v[140:141], -v[134:135]
	v_fmac_f64_e32 v[112:113], v[94:95], v[104:105]
	v_fma_f64 v[92:93], v[92:93], v[104:105], -v[106:107]
	v_add_f64_e32 v[4:5], v[4:5], v[96:97]
	v_add_f64_e32 v[12:13], v[12:13], v[120:121]
	ds_load_b128 v[88:91], v2 offset:1088
	ds_load_b128 v[96:99], v2 offset:1104
	s_wait_loadcnt_dscnt 0x501
	v_mul_f64_e32 v[120:121], v[88:89], v[126:127]
	v_mul_f64_e32 v[122:123], v[90:91], v[126:127]
	s_wait_loadcnt_dscnt 0x400
	v_mul_f64_e32 v[104:105], v[96:97], v[102:103]
	v_mul_f64_e32 v[102:103], v[98:99], v[102:103]
	v_add_f64_e32 v[4:5], v[4:5], v[114:115]
	v_add_f64_e32 v[12:13], v[12:13], v[132:133]
	v_fmac_f64_e32 v[120:121], v[90:91], v[124:125]
	v_fma_f64 v[106:107], v[88:89], v[124:125], -v[122:123]
	v_fmac_f64_e32 v[104:105], v[98:99], v[100:101]
	v_fma_f64 v[96:97], v[96:97], v[100:101], -v[102:103]
	v_add_f64_e32 v[4:5], v[4:5], v[92:93]
	v_add_f64_e32 v[12:13], v[12:13], v[112:113]
	ds_load_b128 v[88:91], v2 offset:1120
	ds_load_b128 v[92:95], v2 offset:1136
	s_wait_loadcnt_dscnt 0x301
	v_mul_f64_e32 v[112:113], v[88:89], v[118:119]
	v_mul_f64_e32 v[114:115], v[90:91], v[118:119]
	s_wait_loadcnt_dscnt 0x200
	v_mul_f64_e32 v[98:99], v[92:93], v[110:111]
	v_mul_f64_e32 v[100:101], v[94:95], v[110:111]
	v_add_f64_e32 v[4:5], v[4:5], v[106:107]
	v_add_f64_e32 v[12:13], v[12:13], v[120:121]
	v_fmac_f64_e32 v[112:113], v[90:91], v[116:117]
	v_fma_f64 v[102:103], v[88:89], v[116:117], -v[114:115]
	v_fmac_f64_e32 v[98:99], v[94:95], v[108:109]
	v_fma_f64 v[92:93], v[92:93], v[108:109], -v[100:101]
	v_add_f64_e32 v[96:97], v[4:5], v[96:97]
	v_add_f64_e32 v[12:13], v[12:13], v[104:105]
	ds_load_b128 v[88:91], v2 offset:1152
	ds_load_b128 v[2:5], v2 offset:1168
	s_wait_loadcnt_dscnt 0x101
	v_mul_f64_e32 v[104:105], v[88:89], v[130:131]
	v_mul_f64_e32 v[106:107], v[90:91], v[130:131]
	v_add_f64_e32 v[94:95], v[96:97], v[102:103]
	v_add_f64_e32 v[12:13], v[12:13], v[112:113]
	s_wait_loadcnt_dscnt 0x0
	v_mul_f64_e32 v[96:97], v[2:3], v[10:11]
	v_mul_f64_e32 v[10:11], v[4:5], v[10:11]
	v_fmac_f64_e32 v[104:105], v[90:91], v[128:129]
	v_fma_f64 v[88:89], v[88:89], v[128:129], -v[106:107]
	v_add_f64_e32 v[90:91], v[94:95], v[92:93]
	v_add_f64_e32 v[12:13], v[12:13], v[98:99]
	v_fmac_f64_e32 v[96:97], v[4:5], v[8:9]
	v_fma_f64 v[2:3], v[2:3], v[8:9], -v[10:11]
	s_delay_alu instid0(VALU_DEP_4) | instskip(NEXT) | instid1(VALU_DEP_4)
	v_add_f64_e32 v[4:5], v[90:91], v[88:89]
	v_add_f64_e32 v[8:9], v[12:13], v[104:105]
	s_delay_alu instid0(VALU_DEP_2) | instskip(NEXT) | instid1(VALU_DEP_2)
	v_add_f64_e32 v[2:3], v[4:5], v[2:3]
	v_add_f64_e32 v[4:5], v[8:9], v[96:97]
	s_delay_alu instid0(VALU_DEP_2) | instskip(NEXT) | instid1(VALU_DEP_2)
	v_add_f64_e64 v[2:3], v[136:137], -v[2:3]
	v_add_f64_e64 v[4:5], v[138:139], -v[4:5]
	scratch_store_b128 off, v[2:5], off offset:192
	s_wait_xcnt 0x0
	v_cmpx_lt_u32_e32 11, v1
	s_cbranch_execz .LBB36_213
; %bb.212:
	scratch_load_b128 v[2:5], off, s44
	v_mov_b32_e32 v8, 0
	s_delay_alu instid0(VALU_DEP_1)
	v_dual_mov_b32 v9, v8 :: v_dual_mov_b32 v10, v8
	v_mov_b32_e32 v11, v8
	scratch_store_b128 off, v[8:11], off offset:176
	s_wait_loadcnt 0x0
	ds_store_b128 v6, v[2:5]
.LBB36_213:
	s_wait_xcnt 0x0
	s_or_b32 exec_lo, exec_lo, s2
	s_wait_storecnt_dscnt 0x0
	s_barrier_signal -1
	s_barrier_wait -1
	s_clause 0x9
	scratch_load_b128 v[8:11], off, off offset:192
	scratch_load_b128 v[88:91], off, off offset:208
	;; [unrolled: 1-line block ×10, first 2 shown]
	v_mov_b32_e32 v2, 0
	s_mov_b32 s2, exec_lo
	ds_load_b128 v[124:127], v2 offset:784
	s_clause 0x2
	scratch_load_b128 v[128:131], off, off offset:352
	scratch_load_b128 v[132:135], off, off offset:176
	;; [unrolled: 1-line block ×3, first 2 shown]
	s_wait_loadcnt_dscnt 0xc00
	v_mul_f64_e32 v[4:5], v[126:127], v[10:11]
	v_mul_f64_e32 v[148:149], v[124:125], v[10:11]
	ds_load_b128 v[136:139], v2 offset:800
	scratch_load_b128 v[10:13], off, off offset:368
	ds_load_b128 v[144:147], v2 offset:832
	v_fma_f64 v[4:5], v[124:125], v[8:9], -v[4:5]
	v_fmac_f64_e32 v[148:149], v[126:127], v[8:9]
	ds_load_b128 v[124:127], v2 offset:816
	s_wait_loadcnt_dscnt 0xc02
	v_mul_f64_e32 v[150:151], v[136:137], v[90:91]
	v_mul_f64_e32 v[90:91], v[138:139], v[90:91]
	s_wait_loadcnt_dscnt 0xb00
	v_mul_f64_e32 v[8:9], v[124:125], v[94:95]
	v_mul_f64_e32 v[94:95], v[126:127], v[94:95]
	v_add_f64_e32 v[4:5], 0, v[4:5]
	v_fmac_f64_e32 v[150:151], v[138:139], v[88:89]
	v_fma_f64 v[136:137], v[136:137], v[88:89], -v[90:91]
	v_add_f64_e32 v[138:139], 0, v[148:149]
	scratch_load_b128 v[88:91], off, off offset:400
	v_fmac_f64_e32 v[8:9], v[126:127], v[92:93]
	v_fma_f64 v[152:153], v[124:125], v[92:93], -v[94:95]
	ds_load_b128 v[92:95], v2 offset:848
	s_wait_loadcnt 0xb
	v_mul_f64_e32 v[148:149], v[144:145], v[98:99]
	v_mul_f64_e32 v[98:99], v[146:147], v[98:99]
	scratch_load_b128 v[124:127], off, off offset:416
	v_add_f64_e32 v[4:5], v[4:5], v[136:137]
	v_add_f64_e32 v[150:151], v[138:139], v[150:151]
	ds_load_b128 v[136:139], v2 offset:864
	s_wait_loadcnt_dscnt 0xb01
	v_mul_f64_e32 v[154:155], v[92:93], v[102:103]
	v_mul_f64_e32 v[102:103], v[94:95], v[102:103]
	v_fmac_f64_e32 v[148:149], v[146:147], v[96:97]
	v_fma_f64 v[144:145], v[144:145], v[96:97], -v[98:99]
	scratch_load_b128 v[96:99], off, off offset:432
	v_add_f64_e32 v[4:5], v[4:5], v[152:153]
	v_add_f64_e32 v[8:9], v[150:151], v[8:9]
	v_fmac_f64_e32 v[154:155], v[94:95], v[100:101]
	v_fma_f64 v[152:153], v[92:93], v[100:101], -v[102:103]
	ds_load_b128 v[92:95], v2 offset:880
	s_wait_loadcnt_dscnt 0xb01
	v_mul_f64_e32 v[150:151], v[136:137], v[106:107]
	v_mul_f64_e32 v[106:107], v[138:139], v[106:107]
	scratch_load_b128 v[100:103], off, off offset:448
	v_add_f64_e32 v[4:5], v[4:5], v[144:145]
	v_add_f64_e32 v[8:9], v[8:9], v[148:149]
	s_wait_loadcnt_dscnt 0xb00
	v_mul_f64_e32 v[148:149], v[92:93], v[110:111]
	v_mul_f64_e32 v[110:111], v[94:95], v[110:111]
	ds_load_b128 v[144:147], v2 offset:896
	v_fmac_f64_e32 v[150:151], v[138:139], v[104:105]
	v_fma_f64 v[136:137], v[136:137], v[104:105], -v[106:107]
	scratch_load_b128 v[104:107], off, off offset:464
	v_add_f64_e32 v[4:5], v[4:5], v[152:153]
	v_add_f64_e32 v[8:9], v[8:9], v[154:155]
	v_fmac_f64_e32 v[148:149], v[94:95], v[108:109]
	v_fma_f64 v[154:155], v[92:93], v[108:109], -v[110:111]
	ds_load_b128 v[92:95], v2 offset:912
	s_wait_loadcnt_dscnt 0xb01
	v_mul_f64_e32 v[152:153], v[144:145], v[114:115]
	v_mul_f64_e32 v[114:115], v[146:147], v[114:115]
	scratch_load_b128 v[108:111], off, off offset:480
	v_add_f64_e32 v[4:5], v[4:5], v[136:137]
	v_add_f64_e32 v[8:9], v[8:9], v[150:151]
	s_wait_loadcnt_dscnt 0xb00
	v_mul_f64_e32 v[150:151], v[92:93], v[118:119]
	v_mul_f64_e32 v[118:119], v[94:95], v[118:119]
	ds_load_b128 v[136:139], v2 offset:928
	v_fmac_f64_e32 v[152:153], v[146:147], v[112:113]
	v_fma_f64 v[144:145], v[144:145], v[112:113], -v[114:115]
	scratch_load_b128 v[112:115], off, off offset:496
	v_add_f64_e32 v[4:5], v[4:5], v[154:155]
	v_add_f64_e32 v[8:9], v[8:9], v[148:149]
	v_fmac_f64_e32 v[150:151], v[94:95], v[116:117]
	v_fma_f64 v[154:155], v[92:93], v[116:117], -v[118:119]
	ds_load_b128 v[92:95], v2 offset:944
	s_wait_loadcnt_dscnt 0xb01
	v_mul_f64_e32 v[148:149], v[136:137], v[122:123]
	v_mul_f64_e32 v[122:123], v[138:139], v[122:123]
	scratch_load_b128 v[116:119], off, off offset:512
	v_add_f64_e32 v[4:5], v[4:5], v[144:145]
	v_add_f64_e32 v[8:9], v[8:9], v[152:153]
	s_wait_loadcnt_dscnt 0xb00
	v_mul_f64_e32 v[152:153], v[92:93], v[130:131]
	v_mul_f64_e32 v[130:131], v[94:95], v[130:131]
	ds_load_b128 v[144:147], v2 offset:960
	v_fmac_f64_e32 v[148:149], v[138:139], v[120:121]
	v_fma_f64 v[136:137], v[136:137], v[120:121], -v[122:123]
	scratch_load_b128 v[120:123], off, off offset:528
	v_add_f64_e32 v[4:5], v[4:5], v[154:155]
	v_add_f64_e32 v[8:9], v[8:9], v[150:151]
	v_fmac_f64_e32 v[152:153], v[94:95], v[128:129]
	v_fma_f64 v[154:155], v[92:93], v[128:129], -v[130:131]
	ds_load_b128 v[92:95], v2 offset:976
	s_wait_loadcnt_dscnt 0x901
	v_mul_f64_e32 v[150:151], v[144:145], v[12:13]
	v_mul_f64_e32 v[12:13], v[146:147], v[12:13]
	scratch_load_b128 v[128:131], off, off offset:544
	v_add_f64_e32 v[4:5], v[4:5], v[136:137]
	v_add_f64_e32 v[8:9], v[8:9], v[148:149]
	s_wait_dscnt 0x0
	v_mul_f64_e32 v[148:149], v[92:93], v[142:143]
	v_mul_f64_e32 v[142:143], v[94:95], v[142:143]
	ds_load_b128 v[136:139], v2 offset:992
	v_fmac_f64_e32 v[150:151], v[146:147], v[10:11]
	v_fma_f64 v[12:13], v[144:145], v[10:11], -v[12:13]
	v_add_f64_e32 v[4:5], v[4:5], v[154:155]
	v_add_f64_e32 v[144:145], v[8:9], v[152:153]
	scratch_load_b128 v[8:11], off, off offset:560
	v_fmac_f64_e32 v[148:149], v[94:95], v[140:141]
	v_fma_f64 v[94:95], v[92:93], v[140:141], -v[142:143]
	scratch_load_b128 v[140:143], off, off offset:576
	v_add_f64_e32 v[4:5], v[4:5], v[12:13]
	v_add_f64_e32 v[12:13], v[144:145], v[150:151]
	ds_load_b128 v[144:147], v2 offset:1024
	s_wait_loadcnt_dscnt 0xb01
	v_mul_f64_e32 v[152:153], v[136:137], v[90:91]
	v_mul_f64_e32 v[154:155], v[138:139], v[90:91]
	ds_load_b128 v[90:93], v2 offset:1008
	s_wait_loadcnt_dscnt 0xa00
	v_mul_f64_e32 v[150:151], v[90:91], v[126:127]
	v_mul_f64_e32 v[126:127], v[92:93], v[126:127]
	v_add_f64_e32 v[4:5], v[4:5], v[94:95]
	v_add_f64_e32 v[12:13], v[12:13], v[148:149]
	v_fmac_f64_e32 v[152:153], v[138:139], v[88:89]
	v_fma_f64 v[88:89], v[136:137], v[88:89], -v[154:155]
	s_wait_loadcnt 0x9
	v_mul_f64_e32 v[136:137], v[144:145], v[98:99]
	v_mul_f64_e32 v[98:99], v[146:147], v[98:99]
	v_fmac_f64_e32 v[150:151], v[92:93], v[124:125]
	v_fma_f64 v[124:125], v[90:91], v[124:125], -v[126:127]
	v_add_f64_e32 v[12:13], v[12:13], v[152:153]
	v_add_f64_e32 v[4:5], v[4:5], v[88:89]
	ds_load_b128 v[88:91], v2 offset:1040
	ds_load_b128 v[92:95], v2 offset:1056
	v_fmac_f64_e32 v[136:137], v[146:147], v[96:97]
	v_fma_f64 v[96:97], v[144:145], v[96:97], -v[98:99]
	s_wait_loadcnt_dscnt 0x801
	v_mul_f64_e32 v[126:127], v[88:89], v[102:103]
	v_mul_f64_e32 v[102:103], v[90:91], v[102:103]
	v_add_f64_e32 v[12:13], v[12:13], v[150:151]
	v_add_f64_e32 v[4:5], v[4:5], v[124:125]
	s_wait_loadcnt_dscnt 0x700
	v_mul_f64_e32 v[124:125], v[92:93], v[106:107]
	v_mul_f64_e32 v[106:107], v[94:95], v[106:107]
	v_fmac_f64_e32 v[126:127], v[90:91], v[100:101]
	v_fma_f64 v[100:101], v[88:89], v[100:101], -v[102:103]
	v_add_f64_e32 v[12:13], v[12:13], v[136:137]
	v_add_f64_e32 v[4:5], v[4:5], v[96:97]
	ds_load_b128 v[88:91], v2 offset:1072
	ds_load_b128 v[96:99], v2 offset:1088
	v_fmac_f64_e32 v[124:125], v[94:95], v[104:105]
	v_fma_f64 v[92:93], v[92:93], v[104:105], -v[106:107]
	s_wait_loadcnt_dscnt 0x601
	v_mul_f64_e32 v[102:103], v[88:89], v[110:111]
	v_mul_f64_e32 v[110:111], v[90:91], v[110:111]
	s_wait_loadcnt_dscnt 0x500
	v_mul_f64_e32 v[104:105], v[98:99], v[114:115]
	v_add_f64_e32 v[12:13], v[12:13], v[126:127]
	v_add_f64_e32 v[4:5], v[4:5], v[100:101]
	v_mul_f64_e32 v[100:101], v[96:97], v[114:115]
	v_fmac_f64_e32 v[102:103], v[90:91], v[108:109]
	v_fma_f64 v[106:107], v[88:89], v[108:109], -v[110:111]
	v_fma_f64 v[96:97], v[96:97], v[112:113], -v[104:105]
	v_add_f64_e32 v[12:13], v[12:13], v[124:125]
	v_add_f64_e32 v[4:5], v[4:5], v[92:93]
	ds_load_b128 v[88:91], v2 offset:1104
	ds_load_b128 v[92:95], v2 offset:1120
	v_fmac_f64_e32 v[100:101], v[98:99], v[112:113]
	s_wait_loadcnt_dscnt 0x401
	v_mul_f64_e32 v[108:109], v[88:89], v[118:119]
	v_mul_f64_e32 v[110:111], v[90:91], v[118:119]
	s_wait_loadcnt_dscnt 0x300
	v_mul_f64_e32 v[104:105], v[94:95], v[122:123]
	v_add_f64_e32 v[12:13], v[12:13], v[102:103]
	v_add_f64_e32 v[4:5], v[4:5], v[106:107]
	v_mul_f64_e32 v[102:103], v[92:93], v[122:123]
	v_fmac_f64_e32 v[108:109], v[90:91], v[116:117]
	v_fma_f64 v[106:107], v[88:89], v[116:117], -v[110:111]
	v_fma_f64 v[92:93], v[92:93], v[120:121], -v[104:105]
	v_add_f64_e32 v[12:13], v[12:13], v[100:101]
	v_add_f64_e32 v[4:5], v[4:5], v[96:97]
	ds_load_b128 v[88:91], v2 offset:1136
	ds_load_b128 v[96:99], v2 offset:1152
	v_fmac_f64_e32 v[102:103], v[94:95], v[120:121]
	s_wait_loadcnt_dscnt 0x201
	v_mul_f64_e32 v[100:101], v[88:89], v[130:131]
	v_mul_f64_e32 v[110:111], v[90:91], v[130:131]
	s_wait_loadcnt_dscnt 0x100
	v_mul_f64_e32 v[94:95], v[96:97], v[10:11]
	v_add_f64_e32 v[12:13], v[12:13], v[108:109]
	v_add_f64_e32 v[4:5], v[4:5], v[106:107]
	v_mul_f64_e32 v[104:105], v[98:99], v[10:11]
	v_fmac_f64_e32 v[100:101], v[90:91], v[128:129]
	v_fma_f64 v[88:89], v[88:89], v[128:129], -v[110:111]
	v_fmac_f64_e32 v[94:95], v[98:99], v[8:9]
	v_add_f64_e32 v[90:91], v[12:13], v[102:103]
	v_add_f64_e32 v[4:5], v[4:5], v[92:93]
	ds_load_b128 v[10:13], v2 offset:1168
	v_fma_f64 v[8:9], v[96:97], v[8:9], -v[104:105]
	s_wait_loadcnt_dscnt 0x0
	v_mul_f64_e32 v[92:93], v[10:11], v[142:143]
	v_mul_f64_e32 v[102:103], v[12:13], v[142:143]
	v_add_f64_e32 v[4:5], v[4:5], v[88:89]
	v_add_f64_e32 v[88:89], v[90:91], v[100:101]
	s_delay_alu instid0(VALU_DEP_4) | instskip(NEXT) | instid1(VALU_DEP_4)
	v_fmac_f64_e32 v[92:93], v[12:13], v[140:141]
	v_fma_f64 v[10:11], v[10:11], v[140:141], -v[102:103]
	s_delay_alu instid0(VALU_DEP_4) | instskip(NEXT) | instid1(VALU_DEP_4)
	v_add_f64_e32 v[4:5], v[4:5], v[8:9]
	v_add_f64_e32 v[8:9], v[88:89], v[94:95]
	s_delay_alu instid0(VALU_DEP_2) | instskip(NEXT) | instid1(VALU_DEP_2)
	v_add_f64_e32 v[4:5], v[4:5], v[10:11]
	v_add_f64_e32 v[10:11], v[8:9], v[92:93]
	s_delay_alu instid0(VALU_DEP_2) | instskip(NEXT) | instid1(VALU_DEP_2)
	v_add_f64_e64 v[8:9], v[132:133], -v[4:5]
	v_add_f64_e64 v[10:11], v[134:135], -v[10:11]
	scratch_store_b128 off, v[8:11], off offset:176
	s_wait_xcnt 0x0
	v_cmpx_lt_u32_e32 10, v1
	s_cbranch_execz .LBB36_215
; %bb.214:
	scratch_load_b128 v[8:11], off, s41
	v_dual_mov_b32 v3, v2 :: v_dual_mov_b32 v4, v2
	v_mov_b32_e32 v5, v2
	scratch_store_b128 off, v[2:5], off offset:160
	s_wait_loadcnt 0x0
	ds_store_b128 v6, v[8:11]
.LBB36_215:
	s_wait_xcnt 0x0
	s_or_b32 exec_lo, exec_lo, s2
	s_wait_storecnt_dscnt 0x0
	s_barrier_signal -1
	s_barrier_wait -1
	s_clause 0x9
	scratch_load_b128 v[8:11], off, off offset:176
	scratch_load_b128 v[88:91], off, off offset:192
	;; [unrolled: 1-line block ×10, first 2 shown]
	ds_load_b128 v[124:127], v2 offset:768
	ds_load_b128 v[132:135], v2 offset:784
	s_clause 0x1
	scratch_load_b128 v[128:131], off, off offset:336
	scratch_load_b128 v[136:139], off, off offset:160
	s_mov_b32 s2, exec_lo
	s_wait_loadcnt_dscnt 0xb01
	v_mul_f64_e32 v[4:5], v[126:127], v[10:11]
	v_mul_f64_e32 v[148:149], v[124:125], v[10:11]
	scratch_load_b128 v[10:13], off, off offset:352
	s_wait_loadcnt_dscnt 0xb00
	v_mul_f64_e32 v[150:151], v[132:133], v[90:91]
	v_mul_f64_e32 v[90:91], v[134:135], v[90:91]
	v_fma_f64 v[4:5], v[124:125], v[8:9], -v[4:5]
	v_fmac_f64_e32 v[148:149], v[126:127], v[8:9]
	ds_load_b128 v[124:127], v2 offset:800
	ds_load_b128 v[140:143], v2 offset:816
	scratch_load_b128 v[144:147], off, off offset:368
	v_fmac_f64_e32 v[150:151], v[134:135], v[88:89]
	v_fma_f64 v[132:133], v[132:133], v[88:89], -v[90:91]
	scratch_load_b128 v[88:91], off, off offset:384
	s_wait_loadcnt_dscnt 0xc01
	v_mul_f64_e32 v[8:9], v[124:125], v[94:95]
	v_mul_f64_e32 v[94:95], v[126:127], v[94:95]
	v_add_f64_e32 v[4:5], 0, v[4:5]
	v_add_f64_e32 v[134:135], 0, v[148:149]
	s_wait_loadcnt_dscnt 0xb00
	v_mul_f64_e32 v[148:149], v[140:141], v[98:99]
	v_mul_f64_e32 v[98:99], v[142:143], v[98:99]
	v_fmac_f64_e32 v[8:9], v[126:127], v[92:93]
	v_fma_f64 v[152:153], v[124:125], v[92:93], -v[94:95]
	ds_load_b128 v[92:95], v2 offset:832
	ds_load_b128 v[124:127], v2 offset:848
	v_add_f64_e32 v[4:5], v[4:5], v[132:133]
	v_add_f64_e32 v[150:151], v[134:135], v[150:151]
	scratch_load_b128 v[132:135], off, off offset:400
	v_fmac_f64_e32 v[148:149], v[142:143], v[96:97]
	v_fma_f64 v[140:141], v[140:141], v[96:97], -v[98:99]
	scratch_load_b128 v[96:99], off, off offset:416
	s_wait_loadcnt_dscnt 0xc01
	v_mul_f64_e32 v[154:155], v[92:93], v[102:103]
	v_mul_f64_e32 v[102:103], v[94:95], v[102:103]
	v_add_f64_e32 v[4:5], v[4:5], v[152:153]
	v_add_f64_e32 v[8:9], v[150:151], v[8:9]
	s_wait_loadcnt_dscnt 0xb00
	v_mul_f64_e32 v[150:151], v[124:125], v[106:107]
	v_mul_f64_e32 v[106:107], v[126:127], v[106:107]
	v_fmac_f64_e32 v[154:155], v[94:95], v[100:101]
	v_fma_f64 v[152:153], v[92:93], v[100:101], -v[102:103]
	ds_load_b128 v[92:95], v2 offset:864
	ds_load_b128 v[100:103], v2 offset:880
	v_add_f64_e32 v[4:5], v[4:5], v[140:141]
	v_add_f64_e32 v[8:9], v[8:9], v[148:149]
	scratch_load_b128 v[140:143], off, off offset:432
	s_wait_loadcnt_dscnt 0xb01
	v_mul_f64_e32 v[148:149], v[92:93], v[110:111]
	v_mul_f64_e32 v[110:111], v[94:95], v[110:111]
	v_fmac_f64_e32 v[150:151], v[126:127], v[104:105]
	v_fma_f64 v[124:125], v[124:125], v[104:105], -v[106:107]
	scratch_load_b128 v[104:107], off, off offset:448
	v_add_f64_e32 v[4:5], v[4:5], v[152:153]
	v_add_f64_e32 v[8:9], v[8:9], v[154:155]
	s_wait_loadcnt_dscnt 0xb00
	v_mul_f64_e32 v[152:153], v[100:101], v[114:115]
	v_mul_f64_e32 v[114:115], v[102:103], v[114:115]
	v_fmac_f64_e32 v[148:149], v[94:95], v[108:109]
	v_fma_f64 v[154:155], v[92:93], v[108:109], -v[110:111]
	ds_load_b128 v[92:95], v2 offset:896
	ds_load_b128 v[108:111], v2 offset:912
	v_add_f64_e32 v[4:5], v[4:5], v[124:125]
	v_add_f64_e32 v[8:9], v[8:9], v[150:151]
	scratch_load_b128 v[124:127], off, off offset:464
	s_wait_loadcnt_dscnt 0xb01
	v_mul_f64_e32 v[150:151], v[92:93], v[118:119]
	v_mul_f64_e32 v[118:119], v[94:95], v[118:119]
	v_fmac_f64_e32 v[152:153], v[102:103], v[112:113]
	v_fma_f64 v[112:113], v[100:101], v[112:113], -v[114:115]
	scratch_load_b128 v[100:103], off, off offset:480
	v_add_f64_e32 v[4:5], v[4:5], v[154:155]
	v_add_f64_e32 v[8:9], v[8:9], v[148:149]
	s_wait_loadcnt_dscnt 0xb00
	v_mul_f64_e32 v[148:149], v[108:109], v[122:123]
	v_mul_f64_e32 v[122:123], v[110:111], v[122:123]
	v_fmac_f64_e32 v[150:151], v[94:95], v[116:117]
	v_fma_f64 v[154:155], v[92:93], v[116:117], -v[118:119]
	v_add_f64_e32 v[4:5], v[4:5], v[112:113]
	v_add_f64_e32 v[8:9], v[8:9], v[152:153]
	ds_load_b128 v[92:95], v2 offset:928
	ds_load_b128 v[112:115], v2 offset:944
	scratch_load_b128 v[116:119], off, off offset:496
	v_fmac_f64_e32 v[148:149], v[110:111], v[120:121]
	v_fma_f64 v[120:121], v[108:109], v[120:121], -v[122:123]
	scratch_load_b128 v[108:111], off, off offset:512
	s_wait_loadcnt_dscnt 0xc01
	v_mul_f64_e32 v[152:153], v[92:93], v[130:131]
	v_mul_f64_e32 v[130:131], v[94:95], v[130:131]
	v_add_f64_e32 v[4:5], v[4:5], v[154:155]
	v_add_f64_e32 v[8:9], v[8:9], v[150:151]
	s_wait_loadcnt_dscnt 0xa00
	v_mul_f64_e32 v[150:151], v[112:113], v[12:13]
	v_mul_f64_e32 v[12:13], v[114:115], v[12:13]
	v_fmac_f64_e32 v[152:153], v[94:95], v[128:129]
	v_fma_f64 v[154:155], v[92:93], v[128:129], -v[130:131]
	v_add_f64_e32 v[4:5], v[4:5], v[120:121]
	v_add_f64_e32 v[8:9], v[8:9], v[148:149]
	ds_load_b128 v[92:95], v2 offset:960
	ds_load_b128 v[120:123], v2 offset:976
	scratch_load_b128 v[128:131], off, off offset:528
	v_fmac_f64_e32 v[150:151], v[114:115], v[10:11]
	v_fma_f64 v[12:13], v[112:113], v[10:11], -v[12:13]
	s_wait_loadcnt_dscnt 0xa01
	v_mul_f64_e32 v[148:149], v[92:93], v[146:147]
	v_mul_f64_e32 v[146:147], v[94:95], v[146:147]
	v_add_f64_e32 v[4:5], v[4:5], v[154:155]
	v_add_f64_e32 v[112:113], v[8:9], v[152:153]
	scratch_load_b128 v[8:11], off, off offset:544
	s_wait_loadcnt_dscnt 0xa00
	v_mul_f64_e32 v[152:153], v[120:121], v[90:91]
	v_mul_f64_e32 v[154:155], v[122:123], v[90:91]
	v_fmac_f64_e32 v[148:149], v[94:95], v[144:145]
	v_fma_f64 v[94:95], v[92:93], v[144:145], -v[146:147]
	v_add_f64_e32 v[4:5], v[4:5], v[12:13]
	v_add_f64_e32 v[12:13], v[112:113], v[150:151]
	ds_load_b128 v[90:93], v2 offset:992
	ds_load_b128 v[112:115], v2 offset:1008
	scratch_load_b128 v[144:147], off, off offset:560
	v_fmac_f64_e32 v[152:153], v[122:123], v[88:89]
	v_fma_f64 v[88:89], v[120:121], v[88:89], -v[154:155]
	scratch_load_b128 v[120:123], off, off offset:576
	s_wait_loadcnt_dscnt 0xb01
	v_mul_f64_e32 v[150:151], v[90:91], v[134:135]
	v_mul_f64_e32 v[134:135], v[92:93], v[134:135]
	v_add_f64_e32 v[4:5], v[4:5], v[94:95]
	v_add_f64_e32 v[12:13], v[12:13], v[148:149]
	s_wait_loadcnt_dscnt 0xa00
	v_mul_f64_e32 v[148:149], v[112:113], v[98:99]
	v_mul_f64_e32 v[98:99], v[114:115], v[98:99]
	v_fmac_f64_e32 v[150:151], v[92:93], v[132:133]
	v_fma_f64 v[132:133], v[90:91], v[132:133], -v[134:135]
	v_add_f64_e32 v[4:5], v[4:5], v[88:89]
	v_add_f64_e32 v[12:13], v[12:13], v[152:153]
	ds_load_b128 v[88:91], v2 offset:1024
	ds_load_b128 v[92:95], v2 offset:1040
	v_fmac_f64_e32 v[148:149], v[114:115], v[96:97]
	v_fma_f64 v[96:97], v[112:113], v[96:97], -v[98:99]
	s_wait_loadcnt_dscnt 0x901
	v_mul_f64_e32 v[134:135], v[88:89], v[142:143]
	v_mul_f64_e32 v[142:143], v[90:91], v[142:143]
	s_wait_loadcnt_dscnt 0x800
	v_mul_f64_e32 v[112:113], v[92:93], v[106:107]
	v_mul_f64_e32 v[106:107], v[94:95], v[106:107]
	v_add_f64_e32 v[4:5], v[4:5], v[132:133]
	v_add_f64_e32 v[12:13], v[12:13], v[150:151]
	v_fmac_f64_e32 v[134:135], v[90:91], v[140:141]
	v_fma_f64 v[114:115], v[88:89], v[140:141], -v[142:143]
	v_fmac_f64_e32 v[112:113], v[94:95], v[104:105]
	v_fma_f64 v[92:93], v[92:93], v[104:105], -v[106:107]
	v_add_f64_e32 v[4:5], v[4:5], v[96:97]
	v_add_f64_e32 v[12:13], v[12:13], v[148:149]
	ds_load_b128 v[88:91], v2 offset:1056
	ds_load_b128 v[96:99], v2 offset:1072
	s_wait_loadcnt_dscnt 0x701
	v_mul_f64_e32 v[132:133], v[88:89], v[126:127]
	v_mul_f64_e32 v[126:127], v[90:91], v[126:127]
	s_wait_loadcnt_dscnt 0x600
	v_mul_f64_e32 v[104:105], v[96:97], v[102:103]
	v_mul_f64_e32 v[102:103], v[98:99], v[102:103]
	v_add_f64_e32 v[4:5], v[4:5], v[114:115]
	v_add_f64_e32 v[12:13], v[12:13], v[134:135]
	v_fmac_f64_e32 v[132:133], v[90:91], v[124:125]
	v_fma_f64 v[106:107], v[88:89], v[124:125], -v[126:127]
	v_fmac_f64_e32 v[104:105], v[98:99], v[100:101]
	v_fma_f64 v[96:97], v[96:97], v[100:101], -v[102:103]
	v_add_f64_e32 v[4:5], v[4:5], v[92:93]
	v_add_f64_e32 v[12:13], v[12:13], v[112:113]
	ds_load_b128 v[88:91], v2 offset:1088
	ds_load_b128 v[92:95], v2 offset:1104
	;; [unrolled: 16-line block ×3, first 2 shown]
	s_wait_loadcnt_dscnt 0x301
	v_mul_f64_e32 v[104:105], v[88:89], v[130:131]
	v_mul_f64_e32 v[110:111], v[90:91], v[130:131]
	v_add_f64_e32 v[4:5], v[4:5], v[106:107]
	v_add_f64_e32 v[12:13], v[12:13], v[112:113]
	s_wait_loadcnt_dscnt 0x200
	v_mul_f64_e32 v[94:95], v[96:97], v[10:11]
	v_mul_f64_e32 v[102:103], v[98:99], v[10:11]
	v_fmac_f64_e32 v[104:105], v[90:91], v[128:129]
	v_fma_f64 v[88:89], v[88:89], v[128:129], -v[110:111]
	v_add_f64_e32 v[90:91], v[4:5], v[92:93]
	v_add_f64_e32 v[92:93], v[12:13], v[100:101]
	ds_load_b128 v[10:13], v2 offset:1152
	ds_load_b128 v[2:5], v2 offset:1168
	v_fmac_f64_e32 v[94:95], v[98:99], v[8:9]
	v_fma_f64 v[8:9], v[96:97], v[8:9], -v[102:103]
	s_wait_loadcnt_dscnt 0x101
	v_mul_f64_e32 v[100:101], v[10:11], v[146:147]
	v_mul_f64_e32 v[106:107], v[12:13], v[146:147]
	s_wait_loadcnt_dscnt 0x0
	v_mul_f64_e32 v[96:97], v[4:5], v[122:123]
	v_add_f64_e32 v[88:89], v[90:91], v[88:89]
	v_add_f64_e32 v[90:91], v[92:93], v[104:105]
	v_mul_f64_e32 v[92:93], v[2:3], v[122:123]
	v_fmac_f64_e32 v[100:101], v[12:13], v[144:145]
	v_fma_f64 v[10:11], v[10:11], v[144:145], -v[106:107]
	v_fma_f64 v[2:3], v[2:3], v[120:121], -v[96:97]
	v_add_f64_e32 v[8:9], v[88:89], v[8:9]
	v_add_f64_e32 v[12:13], v[90:91], v[94:95]
	v_fmac_f64_e32 v[92:93], v[4:5], v[120:121]
	s_delay_alu instid0(VALU_DEP_3) | instskip(NEXT) | instid1(VALU_DEP_3)
	v_add_f64_e32 v[4:5], v[8:9], v[10:11]
	v_add_f64_e32 v[8:9], v[12:13], v[100:101]
	s_delay_alu instid0(VALU_DEP_2) | instskip(NEXT) | instid1(VALU_DEP_2)
	v_add_f64_e32 v[2:3], v[4:5], v[2:3]
	v_add_f64_e32 v[4:5], v[8:9], v[92:93]
	s_delay_alu instid0(VALU_DEP_2) | instskip(NEXT) | instid1(VALU_DEP_2)
	v_add_f64_e64 v[2:3], v[136:137], -v[2:3]
	v_add_f64_e64 v[4:5], v[138:139], -v[4:5]
	scratch_store_b128 off, v[2:5], off offset:160
	s_wait_xcnt 0x0
	v_cmpx_lt_u32_e32 9, v1
	s_cbranch_execz .LBB36_217
; %bb.216:
	scratch_load_b128 v[2:5], off, s39
	v_mov_b32_e32 v8, 0
	s_delay_alu instid0(VALU_DEP_1)
	v_dual_mov_b32 v9, v8 :: v_dual_mov_b32 v10, v8
	v_mov_b32_e32 v11, v8
	scratch_store_b128 off, v[8:11], off offset:144
	s_wait_loadcnt 0x0
	ds_store_b128 v6, v[2:5]
.LBB36_217:
	s_wait_xcnt 0x0
	s_or_b32 exec_lo, exec_lo, s2
	s_wait_storecnt_dscnt 0x0
	s_barrier_signal -1
	s_barrier_wait -1
	s_clause 0x9
	scratch_load_b128 v[8:11], off, off offset:160
	scratch_load_b128 v[88:91], off, off offset:176
	;; [unrolled: 1-line block ×10, first 2 shown]
	v_mov_b32_e32 v2, 0
	s_mov_b32 s2, exec_lo
	ds_load_b128 v[124:127], v2 offset:752
	s_clause 0x2
	scratch_load_b128 v[128:131], off, off offset:320
	scratch_load_b128 v[132:135], off, off offset:144
	;; [unrolled: 1-line block ×3, first 2 shown]
	s_wait_loadcnt_dscnt 0xc00
	v_mul_f64_e32 v[4:5], v[126:127], v[10:11]
	v_mul_f64_e32 v[148:149], v[124:125], v[10:11]
	ds_load_b128 v[136:139], v2 offset:768
	scratch_load_b128 v[10:13], off, off offset:336
	ds_load_b128 v[144:147], v2 offset:800
	v_fma_f64 v[4:5], v[124:125], v[8:9], -v[4:5]
	v_fmac_f64_e32 v[148:149], v[126:127], v[8:9]
	ds_load_b128 v[124:127], v2 offset:784
	s_wait_loadcnt_dscnt 0xc02
	v_mul_f64_e32 v[150:151], v[136:137], v[90:91]
	v_mul_f64_e32 v[90:91], v[138:139], v[90:91]
	s_wait_loadcnt_dscnt 0xb00
	v_mul_f64_e32 v[8:9], v[124:125], v[94:95]
	v_mul_f64_e32 v[94:95], v[126:127], v[94:95]
	v_add_f64_e32 v[4:5], 0, v[4:5]
	v_fmac_f64_e32 v[150:151], v[138:139], v[88:89]
	v_fma_f64 v[136:137], v[136:137], v[88:89], -v[90:91]
	v_add_f64_e32 v[138:139], 0, v[148:149]
	scratch_load_b128 v[88:91], off, off offset:368
	v_fmac_f64_e32 v[8:9], v[126:127], v[92:93]
	v_fma_f64 v[152:153], v[124:125], v[92:93], -v[94:95]
	ds_load_b128 v[92:95], v2 offset:816
	s_wait_loadcnt 0xb
	v_mul_f64_e32 v[148:149], v[144:145], v[98:99]
	v_mul_f64_e32 v[98:99], v[146:147], v[98:99]
	scratch_load_b128 v[124:127], off, off offset:384
	v_add_f64_e32 v[4:5], v[4:5], v[136:137]
	v_add_f64_e32 v[150:151], v[138:139], v[150:151]
	ds_load_b128 v[136:139], v2 offset:832
	s_wait_loadcnt_dscnt 0xb01
	v_mul_f64_e32 v[154:155], v[92:93], v[102:103]
	v_mul_f64_e32 v[102:103], v[94:95], v[102:103]
	v_fmac_f64_e32 v[148:149], v[146:147], v[96:97]
	v_fma_f64 v[144:145], v[144:145], v[96:97], -v[98:99]
	scratch_load_b128 v[96:99], off, off offset:400
	v_add_f64_e32 v[4:5], v[4:5], v[152:153]
	v_add_f64_e32 v[8:9], v[150:151], v[8:9]
	v_fmac_f64_e32 v[154:155], v[94:95], v[100:101]
	v_fma_f64 v[152:153], v[92:93], v[100:101], -v[102:103]
	ds_load_b128 v[92:95], v2 offset:848
	s_wait_loadcnt_dscnt 0xb01
	v_mul_f64_e32 v[150:151], v[136:137], v[106:107]
	v_mul_f64_e32 v[106:107], v[138:139], v[106:107]
	scratch_load_b128 v[100:103], off, off offset:416
	v_add_f64_e32 v[4:5], v[4:5], v[144:145]
	v_add_f64_e32 v[8:9], v[8:9], v[148:149]
	s_wait_loadcnt_dscnt 0xb00
	v_mul_f64_e32 v[148:149], v[92:93], v[110:111]
	v_mul_f64_e32 v[110:111], v[94:95], v[110:111]
	ds_load_b128 v[144:147], v2 offset:864
	v_fmac_f64_e32 v[150:151], v[138:139], v[104:105]
	v_fma_f64 v[136:137], v[136:137], v[104:105], -v[106:107]
	scratch_load_b128 v[104:107], off, off offset:432
	v_add_f64_e32 v[4:5], v[4:5], v[152:153]
	v_add_f64_e32 v[8:9], v[8:9], v[154:155]
	v_fmac_f64_e32 v[148:149], v[94:95], v[108:109]
	v_fma_f64 v[154:155], v[92:93], v[108:109], -v[110:111]
	ds_load_b128 v[92:95], v2 offset:880
	s_wait_loadcnt_dscnt 0xb01
	v_mul_f64_e32 v[152:153], v[144:145], v[114:115]
	v_mul_f64_e32 v[114:115], v[146:147], v[114:115]
	scratch_load_b128 v[108:111], off, off offset:448
	v_add_f64_e32 v[4:5], v[4:5], v[136:137]
	v_add_f64_e32 v[8:9], v[8:9], v[150:151]
	s_wait_loadcnt_dscnt 0xb00
	v_mul_f64_e32 v[150:151], v[92:93], v[118:119]
	v_mul_f64_e32 v[118:119], v[94:95], v[118:119]
	ds_load_b128 v[136:139], v2 offset:896
	;; [unrolled: 18-line block ×3, first 2 shown]
	v_fmac_f64_e32 v[148:149], v[138:139], v[120:121]
	v_fma_f64 v[136:137], v[136:137], v[120:121], -v[122:123]
	scratch_load_b128 v[120:123], off, off offset:496
	v_add_f64_e32 v[4:5], v[4:5], v[154:155]
	v_add_f64_e32 v[8:9], v[8:9], v[150:151]
	v_fmac_f64_e32 v[152:153], v[94:95], v[128:129]
	v_fma_f64 v[154:155], v[92:93], v[128:129], -v[130:131]
	ds_load_b128 v[92:95], v2 offset:944
	s_wait_loadcnt_dscnt 0x901
	v_mul_f64_e32 v[150:151], v[144:145], v[12:13]
	v_mul_f64_e32 v[12:13], v[146:147], v[12:13]
	scratch_load_b128 v[128:131], off, off offset:512
	v_add_f64_e32 v[4:5], v[4:5], v[136:137]
	v_add_f64_e32 v[8:9], v[8:9], v[148:149]
	s_wait_dscnt 0x0
	v_mul_f64_e32 v[148:149], v[92:93], v[142:143]
	v_mul_f64_e32 v[142:143], v[94:95], v[142:143]
	ds_load_b128 v[136:139], v2 offset:960
	v_fmac_f64_e32 v[150:151], v[146:147], v[10:11]
	v_fma_f64 v[12:13], v[144:145], v[10:11], -v[12:13]
	v_add_f64_e32 v[4:5], v[4:5], v[154:155]
	v_add_f64_e32 v[144:145], v[8:9], v[152:153]
	scratch_load_b128 v[8:11], off, off offset:528
	v_fmac_f64_e32 v[148:149], v[94:95], v[140:141]
	v_fma_f64 v[94:95], v[92:93], v[140:141], -v[142:143]
	scratch_load_b128 v[140:143], off, off offset:544
	v_add_f64_e32 v[4:5], v[4:5], v[12:13]
	v_add_f64_e32 v[12:13], v[144:145], v[150:151]
	ds_load_b128 v[144:147], v2 offset:992
	s_wait_loadcnt_dscnt 0xb01
	v_mul_f64_e32 v[152:153], v[136:137], v[90:91]
	v_mul_f64_e32 v[154:155], v[138:139], v[90:91]
	ds_load_b128 v[90:93], v2 offset:976
	s_wait_loadcnt_dscnt 0xa00
	v_mul_f64_e32 v[150:151], v[90:91], v[126:127]
	v_mul_f64_e32 v[126:127], v[92:93], v[126:127]
	v_add_f64_e32 v[4:5], v[4:5], v[94:95]
	v_add_f64_e32 v[12:13], v[12:13], v[148:149]
	s_wait_loadcnt 0x9
	v_mul_f64_e32 v[148:149], v[144:145], v[98:99]
	v_fmac_f64_e32 v[152:153], v[138:139], v[88:89]
	v_fma_f64 v[88:89], v[136:137], v[88:89], -v[154:155]
	scratch_load_b128 v[136:139], off, off offset:560
	v_mul_f64_e32 v[98:99], v[146:147], v[98:99]
	v_fmac_f64_e32 v[150:151], v[92:93], v[124:125]
	v_fma_f64 v[154:155], v[90:91], v[124:125], -v[126:127]
	scratch_load_b128 v[92:95], off, off offset:576
	ds_load_b128 v[124:127], v2 offset:1024
	v_fmac_f64_e32 v[148:149], v[146:147], v[96:97]
	v_add_f64_e32 v[12:13], v[12:13], v[152:153]
	v_add_f64_e32 v[4:5], v[4:5], v[88:89]
	ds_load_b128 v[88:91], v2 offset:1008
	v_fma_f64 v[96:97], v[144:145], v[96:97], -v[98:99]
	s_wait_loadcnt_dscnt 0x901
	v_mul_f64_e32 v[144:145], v[124:125], v[106:107]
	v_mul_f64_e32 v[106:107], v[126:127], v[106:107]
	s_wait_dscnt 0x0
	v_mul_f64_e32 v[152:153], v[88:89], v[102:103]
	v_mul_f64_e32 v[102:103], v[90:91], v[102:103]
	v_add_f64_e32 v[12:13], v[12:13], v[150:151]
	v_add_f64_e32 v[4:5], v[4:5], v[154:155]
	v_fmac_f64_e32 v[144:145], v[126:127], v[104:105]
	v_fma_f64 v[104:105], v[124:125], v[104:105], -v[106:107]
	v_fmac_f64_e32 v[152:153], v[90:91], v[100:101]
	v_fma_f64 v[100:101], v[88:89], v[100:101], -v[102:103]
	v_add_f64_e32 v[12:13], v[12:13], v[148:149]
	v_add_f64_e32 v[4:5], v[4:5], v[96:97]
	ds_load_b128 v[88:91], v2 offset:1040
	ds_load_b128 v[96:99], v2 offset:1056
	s_wait_loadcnt_dscnt 0x801
	v_mul_f64_e32 v[146:147], v[88:89], v[110:111]
	v_mul_f64_e32 v[102:103], v[90:91], v[110:111]
	s_wait_loadcnt_dscnt 0x700
	v_mul_f64_e32 v[106:107], v[96:97], v[114:115]
	v_mul_f64_e32 v[110:111], v[98:99], v[114:115]
	v_add_f64_e32 v[12:13], v[12:13], v[152:153]
	v_add_f64_e32 v[4:5], v[4:5], v[100:101]
	v_fmac_f64_e32 v[146:147], v[90:91], v[108:109]
	v_fma_f64 v[108:109], v[88:89], v[108:109], -v[102:103]
	ds_load_b128 v[88:91], v2 offset:1072
	ds_load_b128 v[100:103], v2 offset:1088
	v_fmac_f64_e32 v[106:107], v[98:99], v[112:113]
	v_fma_f64 v[96:97], v[96:97], v[112:113], -v[110:111]
	v_add_f64_e32 v[12:13], v[12:13], v[144:145]
	v_add_f64_e32 v[4:5], v[4:5], v[104:105]
	s_wait_loadcnt_dscnt 0x601
	v_mul_f64_e32 v[104:105], v[88:89], v[118:119]
	v_mul_f64_e32 v[114:115], v[90:91], v[118:119]
	s_wait_loadcnt_dscnt 0x500
	v_mul_f64_e32 v[110:111], v[102:103], v[122:123]
	v_add_f64_e32 v[12:13], v[12:13], v[146:147]
	v_add_f64_e32 v[4:5], v[4:5], v[108:109]
	v_mul_f64_e32 v[108:109], v[100:101], v[122:123]
	v_fmac_f64_e32 v[104:105], v[90:91], v[116:117]
	v_fma_f64 v[112:113], v[88:89], v[116:117], -v[114:115]
	v_fma_f64 v[100:101], v[100:101], v[120:121], -v[110:111]
	v_add_f64_e32 v[12:13], v[12:13], v[106:107]
	v_add_f64_e32 v[4:5], v[4:5], v[96:97]
	ds_load_b128 v[88:91], v2 offset:1104
	ds_load_b128 v[96:99], v2 offset:1120
	v_fmac_f64_e32 v[108:109], v[102:103], v[120:121]
	s_wait_loadcnt_dscnt 0x401
	v_mul_f64_e32 v[106:107], v[88:89], v[130:131]
	v_mul_f64_e32 v[114:115], v[90:91], v[130:131]
	s_wait_loadcnt_dscnt 0x300
	v_mul_f64_e32 v[102:103], v[96:97], v[10:11]
	v_add_f64_e32 v[12:13], v[12:13], v[104:105]
	v_add_f64_e32 v[4:5], v[4:5], v[112:113]
	v_mul_f64_e32 v[104:105], v[98:99], v[10:11]
	v_fmac_f64_e32 v[106:107], v[90:91], v[128:129]
	v_fma_f64 v[110:111], v[88:89], v[128:129], -v[114:115]
	v_fmac_f64_e32 v[102:103], v[98:99], v[8:9]
	v_add_f64_e32 v[4:5], v[4:5], v[100:101]
	v_add_f64_e32 v[100:101], v[12:13], v[108:109]
	ds_load_b128 v[10:13], v2 offset:1136
	ds_load_b128 v[88:91], v2 offset:1152
	v_fma_f64 v[8:9], v[96:97], v[8:9], -v[104:105]
	s_wait_loadcnt_dscnt 0x201
	v_mul_f64_e32 v[108:109], v[10:11], v[142:143]
	v_mul_f64_e32 v[112:113], v[12:13], v[142:143]
	v_add_f64_e32 v[4:5], v[4:5], v[110:111]
	v_add_f64_e32 v[96:97], v[100:101], v[106:107]
	s_wait_loadcnt_dscnt 0x100
	v_mul_f64_e32 v[98:99], v[88:89], v[138:139]
	v_mul_f64_e32 v[100:101], v[90:91], v[138:139]
	v_fmac_f64_e32 v[108:109], v[12:13], v[140:141]
	v_fma_f64 v[12:13], v[10:11], v[140:141], -v[112:113]
	v_add_f64_e32 v[4:5], v[4:5], v[8:9]
	v_add_f64_e32 v[96:97], v[96:97], v[102:103]
	ds_load_b128 v[8:11], v2 offset:1168
	v_fmac_f64_e32 v[98:99], v[90:91], v[136:137]
	v_fma_f64 v[88:89], v[88:89], v[136:137], -v[100:101]
	s_wait_loadcnt_dscnt 0x0
	v_mul_f64_e32 v[102:103], v[8:9], v[94:95]
	v_mul_f64_e32 v[94:95], v[10:11], v[94:95]
	v_add_f64_e32 v[4:5], v[4:5], v[12:13]
	v_add_f64_e32 v[12:13], v[96:97], v[108:109]
	s_delay_alu instid0(VALU_DEP_4) | instskip(NEXT) | instid1(VALU_DEP_4)
	v_fmac_f64_e32 v[102:103], v[10:11], v[92:93]
	v_fma_f64 v[8:9], v[8:9], v[92:93], -v[94:95]
	s_delay_alu instid0(VALU_DEP_4) | instskip(NEXT) | instid1(VALU_DEP_4)
	v_add_f64_e32 v[4:5], v[4:5], v[88:89]
	v_add_f64_e32 v[10:11], v[12:13], v[98:99]
	s_delay_alu instid0(VALU_DEP_2) | instskip(NEXT) | instid1(VALU_DEP_2)
	v_add_f64_e32 v[4:5], v[4:5], v[8:9]
	v_add_f64_e32 v[10:11], v[10:11], v[102:103]
	s_delay_alu instid0(VALU_DEP_2) | instskip(NEXT) | instid1(VALU_DEP_2)
	v_add_f64_e64 v[8:9], v[132:133], -v[4:5]
	v_add_f64_e64 v[10:11], v[134:135], -v[10:11]
	scratch_store_b128 off, v[8:11], off offset:144
	s_wait_xcnt 0x0
	v_cmpx_lt_u32_e32 8, v1
	s_cbranch_execz .LBB36_219
; %bb.218:
	scratch_load_b128 v[8:11], off, s38
	v_dual_mov_b32 v3, v2 :: v_dual_mov_b32 v4, v2
	v_mov_b32_e32 v5, v2
	scratch_store_b128 off, v[2:5], off offset:128
	s_wait_loadcnt 0x0
	ds_store_b128 v6, v[8:11]
.LBB36_219:
	s_wait_xcnt 0x0
	s_or_b32 exec_lo, exec_lo, s2
	s_wait_storecnt_dscnt 0x0
	s_barrier_signal -1
	s_barrier_wait -1
	s_clause 0x9
	scratch_load_b128 v[8:11], off, off offset:144
	scratch_load_b128 v[88:91], off, off offset:160
	;; [unrolled: 1-line block ×10, first 2 shown]
	ds_load_b128 v[124:127], v2 offset:736
	ds_load_b128 v[132:135], v2 offset:752
	s_clause 0x1
	scratch_load_b128 v[128:131], off, off offset:304
	scratch_load_b128 v[136:139], off, off offset:128
	s_mov_b32 s2, exec_lo
	s_wait_loadcnt_dscnt 0xb01
	v_mul_f64_e32 v[4:5], v[126:127], v[10:11]
	v_mul_f64_e32 v[148:149], v[124:125], v[10:11]
	scratch_load_b128 v[10:13], off, off offset:320
	s_wait_loadcnt_dscnt 0xb00
	v_mul_f64_e32 v[150:151], v[132:133], v[90:91]
	v_mul_f64_e32 v[90:91], v[134:135], v[90:91]
	v_fma_f64 v[4:5], v[124:125], v[8:9], -v[4:5]
	v_fmac_f64_e32 v[148:149], v[126:127], v[8:9]
	ds_load_b128 v[124:127], v2 offset:768
	ds_load_b128 v[140:143], v2 offset:784
	scratch_load_b128 v[144:147], off, off offset:336
	v_fmac_f64_e32 v[150:151], v[134:135], v[88:89]
	v_fma_f64 v[132:133], v[132:133], v[88:89], -v[90:91]
	scratch_load_b128 v[88:91], off, off offset:352
	s_wait_loadcnt_dscnt 0xc01
	v_mul_f64_e32 v[8:9], v[124:125], v[94:95]
	v_mul_f64_e32 v[94:95], v[126:127], v[94:95]
	v_add_f64_e32 v[4:5], 0, v[4:5]
	v_add_f64_e32 v[134:135], 0, v[148:149]
	s_wait_loadcnt_dscnt 0xb00
	v_mul_f64_e32 v[148:149], v[140:141], v[98:99]
	v_mul_f64_e32 v[98:99], v[142:143], v[98:99]
	v_fmac_f64_e32 v[8:9], v[126:127], v[92:93]
	v_fma_f64 v[152:153], v[124:125], v[92:93], -v[94:95]
	ds_load_b128 v[92:95], v2 offset:800
	ds_load_b128 v[124:127], v2 offset:816
	v_add_f64_e32 v[4:5], v[4:5], v[132:133]
	v_add_f64_e32 v[150:151], v[134:135], v[150:151]
	scratch_load_b128 v[132:135], off, off offset:368
	v_fmac_f64_e32 v[148:149], v[142:143], v[96:97]
	v_fma_f64 v[140:141], v[140:141], v[96:97], -v[98:99]
	scratch_load_b128 v[96:99], off, off offset:384
	s_wait_loadcnt_dscnt 0xc01
	v_mul_f64_e32 v[154:155], v[92:93], v[102:103]
	v_mul_f64_e32 v[102:103], v[94:95], v[102:103]
	v_add_f64_e32 v[4:5], v[4:5], v[152:153]
	v_add_f64_e32 v[8:9], v[150:151], v[8:9]
	s_wait_loadcnt_dscnt 0xb00
	v_mul_f64_e32 v[150:151], v[124:125], v[106:107]
	v_mul_f64_e32 v[106:107], v[126:127], v[106:107]
	v_fmac_f64_e32 v[154:155], v[94:95], v[100:101]
	v_fma_f64 v[152:153], v[92:93], v[100:101], -v[102:103]
	ds_load_b128 v[92:95], v2 offset:832
	ds_load_b128 v[100:103], v2 offset:848
	v_add_f64_e32 v[4:5], v[4:5], v[140:141]
	v_add_f64_e32 v[8:9], v[8:9], v[148:149]
	scratch_load_b128 v[140:143], off, off offset:400
	s_wait_loadcnt_dscnt 0xb01
	v_mul_f64_e32 v[148:149], v[92:93], v[110:111]
	v_mul_f64_e32 v[110:111], v[94:95], v[110:111]
	v_fmac_f64_e32 v[150:151], v[126:127], v[104:105]
	v_fma_f64 v[124:125], v[124:125], v[104:105], -v[106:107]
	scratch_load_b128 v[104:107], off, off offset:416
	v_add_f64_e32 v[4:5], v[4:5], v[152:153]
	v_add_f64_e32 v[8:9], v[8:9], v[154:155]
	s_wait_loadcnt_dscnt 0xb00
	v_mul_f64_e32 v[152:153], v[100:101], v[114:115]
	v_mul_f64_e32 v[114:115], v[102:103], v[114:115]
	v_fmac_f64_e32 v[148:149], v[94:95], v[108:109]
	v_fma_f64 v[154:155], v[92:93], v[108:109], -v[110:111]
	ds_load_b128 v[92:95], v2 offset:864
	ds_load_b128 v[108:111], v2 offset:880
	v_add_f64_e32 v[4:5], v[4:5], v[124:125]
	v_add_f64_e32 v[8:9], v[8:9], v[150:151]
	scratch_load_b128 v[124:127], off, off offset:432
	s_wait_loadcnt_dscnt 0xb01
	v_mul_f64_e32 v[150:151], v[92:93], v[118:119]
	v_mul_f64_e32 v[118:119], v[94:95], v[118:119]
	v_fmac_f64_e32 v[152:153], v[102:103], v[112:113]
	v_fma_f64 v[112:113], v[100:101], v[112:113], -v[114:115]
	scratch_load_b128 v[100:103], off, off offset:448
	v_add_f64_e32 v[4:5], v[4:5], v[154:155]
	v_add_f64_e32 v[8:9], v[8:9], v[148:149]
	s_wait_loadcnt_dscnt 0xb00
	v_mul_f64_e32 v[148:149], v[108:109], v[122:123]
	v_mul_f64_e32 v[122:123], v[110:111], v[122:123]
	v_fmac_f64_e32 v[150:151], v[94:95], v[116:117]
	v_fma_f64 v[154:155], v[92:93], v[116:117], -v[118:119]
	v_add_f64_e32 v[4:5], v[4:5], v[112:113]
	v_add_f64_e32 v[8:9], v[8:9], v[152:153]
	ds_load_b128 v[92:95], v2 offset:896
	ds_load_b128 v[112:115], v2 offset:912
	scratch_load_b128 v[116:119], off, off offset:464
	v_fmac_f64_e32 v[148:149], v[110:111], v[120:121]
	v_fma_f64 v[120:121], v[108:109], v[120:121], -v[122:123]
	scratch_load_b128 v[108:111], off, off offset:480
	s_wait_loadcnt_dscnt 0xc01
	v_mul_f64_e32 v[152:153], v[92:93], v[130:131]
	v_mul_f64_e32 v[130:131], v[94:95], v[130:131]
	v_add_f64_e32 v[4:5], v[4:5], v[154:155]
	v_add_f64_e32 v[8:9], v[8:9], v[150:151]
	s_wait_loadcnt_dscnt 0xa00
	v_mul_f64_e32 v[150:151], v[112:113], v[12:13]
	v_mul_f64_e32 v[12:13], v[114:115], v[12:13]
	v_fmac_f64_e32 v[152:153], v[94:95], v[128:129]
	v_fma_f64 v[154:155], v[92:93], v[128:129], -v[130:131]
	v_add_f64_e32 v[4:5], v[4:5], v[120:121]
	v_add_f64_e32 v[8:9], v[8:9], v[148:149]
	ds_load_b128 v[92:95], v2 offset:928
	ds_load_b128 v[120:123], v2 offset:944
	scratch_load_b128 v[128:131], off, off offset:496
	v_fmac_f64_e32 v[150:151], v[114:115], v[10:11]
	v_fma_f64 v[12:13], v[112:113], v[10:11], -v[12:13]
	s_wait_loadcnt_dscnt 0xa01
	v_mul_f64_e32 v[148:149], v[92:93], v[146:147]
	v_mul_f64_e32 v[146:147], v[94:95], v[146:147]
	v_add_f64_e32 v[4:5], v[4:5], v[154:155]
	v_add_f64_e32 v[112:113], v[8:9], v[152:153]
	scratch_load_b128 v[8:11], off, off offset:512
	s_wait_loadcnt_dscnt 0xa00
	v_mul_f64_e32 v[152:153], v[120:121], v[90:91]
	v_mul_f64_e32 v[154:155], v[122:123], v[90:91]
	v_fmac_f64_e32 v[148:149], v[94:95], v[144:145]
	v_fma_f64 v[94:95], v[92:93], v[144:145], -v[146:147]
	v_add_f64_e32 v[4:5], v[4:5], v[12:13]
	v_add_f64_e32 v[12:13], v[112:113], v[150:151]
	ds_load_b128 v[90:93], v2 offset:960
	ds_load_b128 v[112:115], v2 offset:976
	scratch_load_b128 v[144:147], off, off offset:528
	v_fmac_f64_e32 v[152:153], v[122:123], v[88:89]
	v_fma_f64 v[88:89], v[120:121], v[88:89], -v[154:155]
	scratch_load_b128 v[120:123], off, off offset:544
	s_wait_loadcnt_dscnt 0xb01
	v_mul_f64_e32 v[150:151], v[90:91], v[134:135]
	v_mul_f64_e32 v[134:135], v[92:93], v[134:135]
	v_add_f64_e32 v[4:5], v[4:5], v[94:95]
	v_add_f64_e32 v[12:13], v[12:13], v[148:149]
	s_wait_loadcnt_dscnt 0xa00
	v_mul_f64_e32 v[148:149], v[112:113], v[98:99]
	v_mul_f64_e32 v[98:99], v[114:115], v[98:99]
	v_fmac_f64_e32 v[150:151], v[92:93], v[132:133]
	v_fma_f64 v[154:155], v[90:91], v[132:133], -v[134:135]
	v_add_f64_e32 v[4:5], v[4:5], v[88:89]
	v_add_f64_e32 v[12:13], v[12:13], v[152:153]
	ds_load_b128 v[88:91], v2 offset:992
	ds_load_b128 v[92:95], v2 offset:1008
	scratch_load_b128 v[132:135], off, off offset:560
	v_fmac_f64_e32 v[148:149], v[114:115], v[96:97]
	v_fma_f64 v[112:113], v[112:113], v[96:97], -v[98:99]
	scratch_load_b128 v[96:99], off, off offset:576
	s_wait_loadcnt_dscnt 0xb01
	v_mul_f64_e32 v[152:153], v[88:89], v[142:143]
	v_mul_f64_e32 v[142:143], v[90:91], v[142:143]
	v_add_f64_e32 v[4:5], v[4:5], v[154:155]
	v_add_f64_e32 v[12:13], v[12:13], v[150:151]
	s_wait_loadcnt_dscnt 0xa00
	v_mul_f64_e32 v[150:151], v[92:93], v[106:107]
	v_mul_f64_e32 v[106:107], v[94:95], v[106:107]
	v_fmac_f64_e32 v[152:153], v[90:91], v[140:141]
	v_fma_f64 v[140:141], v[88:89], v[140:141], -v[142:143]
	v_add_f64_e32 v[4:5], v[4:5], v[112:113]
	v_add_f64_e32 v[12:13], v[12:13], v[148:149]
	ds_load_b128 v[88:91], v2 offset:1024
	ds_load_b128 v[112:115], v2 offset:1040
	v_fmac_f64_e32 v[150:151], v[94:95], v[104:105]
	v_fma_f64 v[92:93], v[92:93], v[104:105], -v[106:107]
	s_wait_loadcnt_dscnt 0x901
	v_mul_f64_e32 v[142:143], v[88:89], v[126:127]
	v_mul_f64_e32 v[126:127], v[90:91], v[126:127]
	s_wait_loadcnt_dscnt 0x800
	v_mul_f64_e32 v[104:105], v[112:113], v[102:103]
	v_mul_f64_e32 v[102:103], v[114:115], v[102:103]
	v_add_f64_e32 v[4:5], v[4:5], v[140:141]
	v_add_f64_e32 v[12:13], v[12:13], v[152:153]
	v_fmac_f64_e32 v[142:143], v[90:91], v[124:125]
	v_fma_f64 v[106:107], v[88:89], v[124:125], -v[126:127]
	v_fmac_f64_e32 v[104:105], v[114:115], v[100:101]
	v_fma_f64 v[100:101], v[112:113], v[100:101], -v[102:103]
	v_add_f64_e32 v[4:5], v[4:5], v[92:93]
	v_add_f64_e32 v[12:13], v[12:13], v[150:151]
	ds_load_b128 v[88:91], v2 offset:1056
	ds_load_b128 v[92:95], v2 offset:1072
	s_wait_loadcnt_dscnt 0x701
	v_mul_f64_e32 v[124:125], v[88:89], v[118:119]
	v_mul_f64_e32 v[118:119], v[90:91], v[118:119]
	v_add_f64_e32 v[4:5], v[4:5], v[106:107]
	v_add_f64_e32 v[12:13], v[12:13], v[142:143]
	s_wait_loadcnt_dscnt 0x600
	v_mul_f64_e32 v[106:107], v[92:93], v[110:111]
	v_mul_f64_e32 v[110:111], v[94:95], v[110:111]
	v_fmac_f64_e32 v[124:125], v[90:91], v[116:117]
	v_fma_f64 v[112:113], v[88:89], v[116:117], -v[118:119]
	v_add_f64_e32 v[4:5], v[4:5], v[100:101]
	v_add_f64_e32 v[12:13], v[12:13], v[104:105]
	ds_load_b128 v[88:91], v2 offset:1088
	ds_load_b128 v[100:103], v2 offset:1104
	v_fmac_f64_e32 v[106:107], v[94:95], v[108:109]
	v_fma_f64 v[92:93], v[92:93], v[108:109], -v[110:111]
	s_wait_loadcnt_dscnt 0x501
	v_mul_f64_e32 v[104:105], v[88:89], v[130:131]
	v_mul_f64_e32 v[114:115], v[90:91], v[130:131]
	v_add_f64_e32 v[4:5], v[4:5], v[112:113]
	v_add_f64_e32 v[12:13], v[12:13], v[124:125]
	s_wait_loadcnt_dscnt 0x400
	v_mul_f64_e32 v[94:95], v[100:101], v[10:11]
	v_mul_f64_e32 v[108:109], v[102:103], v[10:11]
	v_fmac_f64_e32 v[104:105], v[90:91], v[128:129]
	v_fma_f64 v[110:111], v[88:89], v[128:129], -v[114:115]
	v_add_f64_e32 v[4:5], v[4:5], v[92:93]
	v_add_f64_e32 v[92:93], v[12:13], v[106:107]
	ds_load_b128 v[10:13], v2 offset:1120
	ds_load_b128 v[88:91], v2 offset:1136
	v_fmac_f64_e32 v[94:95], v[102:103], v[8:9]
	v_fma_f64 v[8:9], v[100:101], v[8:9], -v[108:109]
	s_wait_loadcnt_dscnt 0x301
	v_mul_f64_e32 v[106:107], v[10:11], v[146:147]
	v_mul_f64_e32 v[112:113], v[12:13], v[146:147]
	s_wait_loadcnt_dscnt 0x200
	v_mul_f64_e32 v[100:101], v[88:89], v[122:123]
	v_mul_f64_e32 v[102:103], v[90:91], v[122:123]
	v_add_f64_e32 v[4:5], v[4:5], v[110:111]
	v_add_f64_e32 v[92:93], v[92:93], v[104:105]
	v_fmac_f64_e32 v[106:107], v[12:13], v[144:145]
	v_fma_f64 v[12:13], v[10:11], v[144:145], -v[112:113]
	v_fmac_f64_e32 v[100:101], v[90:91], v[120:121]
	v_fma_f64 v[88:89], v[88:89], v[120:121], -v[102:103]
	v_add_f64_e32 v[104:105], v[4:5], v[8:9]
	v_add_f64_e32 v[92:93], v[92:93], v[94:95]
	ds_load_b128 v[8:11], v2 offset:1152
	ds_load_b128 v[2:5], v2 offset:1168
	s_wait_loadcnt_dscnt 0x101
	v_mul_f64_e32 v[94:95], v[8:9], v[134:135]
	v_mul_f64_e32 v[108:109], v[10:11], v[134:135]
	v_add_f64_e32 v[12:13], v[104:105], v[12:13]
	v_add_f64_e32 v[90:91], v[92:93], v[106:107]
	s_wait_loadcnt_dscnt 0x0
	v_mul_f64_e32 v[92:93], v[2:3], v[98:99]
	v_mul_f64_e32 v[98:99], v[4:5], v[98:99]
	v_fmac_f64_e32 v[94:95], v[10:11], v[132:133]
	v_fma_f64 v[8:9], v[8:9], v[132:133], -v[108:109]
	v_add_f64_e32 v[10:11], v[12:13], v[88:89]
	v_add_f64_e32 v[12:13], v[90:91], v[100:101]
	v_fmac_f64_e32 v[92:93], v[4:5], v[96:97]
	v_fma_f64 v[2:3], v[2:3], v[96:97], -v[98:99]
	s_delay_alu instid0(VALU_DEP_4) | instskip(NEXT) | instid1(VALU_DEP_4)
	v_add_f64_e32 v[4:5], v[10:11], v[8:9]
	v_add_f64_e32 v[8:9], v[12:13], v[94:95]
	s_delay_alu instid0(VALU_DEP_2) | instskip(NEXT) | instid1(VALU_DEP_2)
	v_add_f64_e32 v[2:3], v[4:5], v[2:3]
	v_add_f64_e32 v[4:5], v[8:9], v[92:93]
	s_delay_alu instid0(VALU_DEP_2) | instskip(NEXT) | instid1(VALU_DEP_2)
	v_add_f64_e64 v[2:3], v[136:137], -v[2:3]
	v_add_f64_e64 v[4:5], v[138:139], -v[4:5]
	scratch_store_b128 off, v[2:5], off offset:128
	s_wait_xcnt 0x0
	v_cmpx_lt_u32_e32 7, v1
	s_cbranch_execz .LBB36_221
; %bb.220:
	scratch_load_b128 v[2:5], off, s45
	v_mov_b32_e32 v8, 0
	s_delay_alu instid0(VALU_DEP_1)
	v_dual_mov_b32 v9, v8 :: v_dual_mov_b32 v10, v8
	v_mov_b32_e32 v11, v8
	scratch_store_b128 off, v[8:11], off offset:112
	s_wait_loadcnt 0x0
	ds_store_b128 v6, v[2:5]
.LBB36_221:
	s_wait_xcnt 0x0
	s_or_b32 exec_lo, exec_lo, s2
	s_wait_storecnt_dscnt 0x0
	s_barrier_signal -1
	s_barrier_wait -1
	s_clause 0x9
	scratch_load_b128 v[8:11], off, off offset:128
	scratch_load_b128 v[88:91], off, off offset:144
	;; [unrolled: 1-line block ×10, first 2 shown]
	v_mov_b32_e32 v2, 0
	s_mov_b32 s2, exec_lo
	ds_load_b128 v[124:127], v2 offset:720
	s_clause 0x2
	scratch_load_b128 v[128:131], off, off offset:288
	scratch_load_b128 v[132:135], off, off offset:112
	;; [unrolled: 1-line block ×3, first 2 shown]
	s_wait_loadcnt_dscnt 0xc00
	v_mul_f64_e32 v[4:5], v[126:127], v[10:11]
	v_mul_f64_e32 v[148:149], v[124:125], v[10:11]
	ds_load_b128 v[136:139], v2 offset:736
	scratch_load_b128 v[10:13], off, off offset:304
	ds_load_b128 v[144:147], v2 offset:768
	v_fma_f64 v[4:5], v[124:125], v[8:9], -v[4:5]
	v_fmac_f64_e32 v[148:149], v[126:127], v[8:9]
	ds_load_b128 v[124:127], v2 offset:752
	s_wait_loadcnt_dscnt 0xc02
	v_mul_f64_e32 v[150:151], v[136:137], v[90:91]
	v_mul_f64_e32 v[90:91], v[138:139], v[90:91]
	s_wait_loadcnt_dscnt 0xb00
	v_mul_f64_e32 v[8:9], v[124:125], v[94:95]
	v_mul_f64_e32 v[94:95], v[126:127], v[94:95]
	v_add_f64_e32 v[4:5], 0, v[4:5]
	v_fmac_f64_e32 v[150:151], v[138:139], v[88:89]
	v_fma_f64 v[136:137], v[136:137], v[88:89], -v[90:91]
	v_add_f64_e32 v[138:139], 0, v[148:149]
	scratch_load_b128 v[88:91], off, off offset:336
	v_fmac_f64_e32 v[8:9], v[126:127], v[92:93]
	v_fma_f64 v[152:153], v[124:125], v[92:93], -v[94:95]
	ds_load_b128 v[92:95], v2 offset:784
	s_wait_loadcnt 0xb
	v_mul_f64_e32 v[148:149], v[144:145], v[98:99]
	v_mul_f64_e32 v[98:99], v[146:147], v[98:99]
	scratch_load_b128 v[124:127], off, off offset:352
	v_add_f64_e32 v[4:5], v[4:5], v[136:137]
	v_add_f64_e32 v[150:151], v[138:139], v[150:151]
	ds_load_b128 v[136:139], v2 offset:800
	s_wait_loadcnt_dscnt 0xb01
	v_mul_f64_e32 v[154:155], v[92:93], v[102:103]
	v_mul_f64_e32 v[102:103], v[94:95], v[102:103]
	v_fmac_f64_e32 v[148:149], v[146:147], v[96:97]
	v_fma_f64 v[144:145], v[144:145], v[96:97], -v[98:99]
	scratch_load_b128 v[96:99], off, off offset:368
	v_add_f64_e32 v[4:5], v[4:5], v[152:153]
	v_add_f64_e32 v[8:9], v[150:151], v[8:9]
	v_fmac_f64_e32 v[154:155], v[94:95], v[100:101]
	v_fma_f64 v[152:153], v[92:93], v[100:101], -v[102:103]
	ds_load_b128 v[92:95], v2 offset:816
	s_wait_loadcnt_dscnt 0xb01
	v_mul_f64_e32 v[150:151], v[136:137], v[106:107]
	v_mul_f64_e32 v[106:107], v[138:139], v[106:107]
	scratch_load_b128 v[100:103], off, off offset:384
	v_add_f64_e32 v[4:5], v[4:5], v[144:145]
	v_add_f64_e32 v[8:9], v[8:9], v[148:149]
	s_wait_loadcnt_dscnt 0xb00
	v_mul_f64_e32 v[148:149], v[92:93], v[110:111]
	v_mul_f64_e32 v[110:111], v[94:95], v[110:111]
	ds_load_b128 v[144:147], v2 offset:832
	v_fmac_f64_e32 v[150:151], v[138:139], v[104:105]
	v_fma_f64 v[136:137], v[136:137], v[104:105], -v[106:107]
	scratch_load_b128 v[104:107], off, off offset:400
	v_add_f64_e32 v[4:5], v[4:5], v[152:153]
	v_add_f64_e32 v[8:9], v[8:9], v[154:155]
	v_fmac_f64_e32 v[148:149], v[94:95], v[108:109]
	v_fma_f64 v[154:155], v[92:93], v[108:109], -v[110:111]
	ds_load_b128 v[92:95], v2 offset:848
	s_wait_loadcnt_dscnt 0xb01
	v_mul_f64_e32 v[152:153], v[144:145], v[114:115]
	v_mul_f64_e32 v[114:115], v[146:147], v[114:115]
	scratch_load_b128 v[108:111], off, off offset:416
	v_add_f64_e32 v[4:5], v[4:5], v[136:137]
	v_add_f64_e32 v[8:9], v[8:9], v[150:151]
	s_wait_loadcnt_dscnt 0xb00
	v_mul_f64_e32 v[150:151], v[92:93], v[118:119]
	v_mul_f64_e32 v[118:119], v[94:95], v[118:119]
	ds_load_b128 v[136:139], v2 offset:864
	;; [unrolled: 18-line block ×3, first 2 shown]
	v_fmac_f64_e32 v[148:149], v[138:139], v[120:121]
	v_fma_f64 v[136:137], v[136:137], v[120:121], -v[122:123]
	scratch_load_b128 v[120:123], off, off offset:464
	v_add_f64_e32 v[4:5], v[4:5], v[154:155]
	v_add_f64_e32 v[8:9], v[8:9], v[150:151]
	v_fmac_f64_e32 v[152:153], v[94:95], v[128:129]
	v_fma_f64 v[154:155], v[92:93], v[128:129], -v[130:131]
	ds_load_b128 v[92:95], v2 offset:912
	s_wait_loadcnt_dscnt 0x901
	v_mul_f64_e32 v[150:151], v[144:145], v[12:13]
	v_mul_f64_e32 v[12:13], v[146:147], v[12:13]
	scratch_load_b128 v[128:131], off, off offset:480
	v_add_f64_e32 v[4:5], v[4:5], v[136:137]
	v_add_f64_e32 v[8:9], v[8:9], v[148:149]
	s_wait_dscnt 0x0
	v_mul_f64_e32 v[148:149], v[92:93], v[142:143]
	v_mul_f64_e32 v[142:143], v[94:95], v[142:143]
	ds_load_b128 v[136:139], v2 offset:928
	v_fmac_f64_e32 v[150:151], v[146:147], v[10:11]
	v_fma_f64 v[12:13], v[144:145], v[10:11], -v[12:13]
	v_add_f64_e32 v[4:5], v[4:5], v[154:155]
	v_add_f64_e32 v[144:145], v[8:9], v[152:153]
	scratch_load_b128 v[8:11], off, off offset:496
	v_fmac_f64_e32 v[148:149], v[94:95], v[140:141]
	v_fma_f64 v[94:95], v[92:93], v[140:141], -v[142:143]
	scratch_load_b128 v[140:143], off, off offset:512
	v_add_f64_e32 v[4:5], v[4:5], v[12:13]
	v_add_f64_e32 v[12:13], v[144:145], v[150:151]
	ds_load_b128 v[144:147], v2 offset:960
	s_wait_loadcnt_dscnt 0xb01
	v_mul_f64_e32 v[152:153], v[136:137], v[90:91]
	v_mul_f64_e32 v[154:155], v[138:139], v[90:91]
	ds_load_b128 v[90:93], v2 offset:944
	s_wait_loadcnt_dscnt 0xa00
	v_mul_f64_e32 v[150:151], v[90:91], v[126:127]
	v_mul_f64_e32 v[126:127], v[92:93], v[126:127]
	v_add_f64_e32 v[4:5], v[4:5], v[94:95]
	v_add_f64_e32 v[12:13], v[12:13], v[148:149]
	s_wait_loadcnt 0x9
	v_mul_f64_e32 v[148:149], v[144:145], v[98:99]
	v_fmac_f64_e32 v[152:153], v[138:139], v[88:89]
	v_fma_f64 v[88:89], v[136:137], v[88:89], -v[154:155]
	scratch_load_b128 v[136:139], off, off offset:528
	v_mul_f64_e32 v[98:99], v[146:147], v[98:99]
	v_fmac_f64_e32 v[150:151], v[92:93], v[124:125]
	v_fma_f64 v[154:155], v[90:91], v[124:125], -v[126:127]
	scratch_load_b128 v[92:95], off, off offset:544
	ds_load_b128 v[124:127], v2 offset:992
	v_fmac_f64_e32 v[148:149], v[146:147], v[96:97]
	v_add_f64_e32 v[12:13], v[12:13], v[152:153]
	v_add_f64_e32 v[4:5], v[4:5], v[88:89]
	ds_load_b128 v[88:91], v2 offset:976
	v_fma_f64 v[144:145], v[144:145], v[96:97], -v[98:99]
	scratch_load_b128 v[96:99], off, off offset:560
	s_wait_loadcnt_dscnt 0xb00
	v_mul_f64_e32 v[152:153], v[88:89], v[102:103]
	v_mul_f64_e32 v[102:103], v[90:91], v[102:103]
	v_add_f64_e32 v[12:13], v[12:13], v[150:151]
	v_add_f64_e32 v[4:5], v[4:5], v[154:155]
	s_wait_loadcnt 0xa
	v_mul_f64_e32 v[150:151], v[124:125], v[106:107]
	v_mul_f64_e32 v[106:107], v[126:127], v[106:107]
	v_fmac_f64_e32 v[152:153], v[90:91], v[100:101]
	v_fma_f64 v[154:155], v[88:89], v[100:101], -v[102:103]
	ds_load_b128 v[88:91], v2 offset:1008
	scratch_load_b128 v[100:103], off, off offset:576
	v_add_f64_e32 v[12:13], v[12:13], v[148:149]
	v_add_f64_e32 v[4:5], v[4:5], v[144:145]
	ds_load_b128 v[144:147], v2 offset:1024
	v_fmac_f64_e32 v[150:151], v[126:127], v[104:105]
	v_fma_f64 v[104:105], v[124:125], v[104:105], -v[106:107]
	s_wait_loadcnt_dscnt 0xa01
	v_mul_f64_e32 v[148:149], v[88:89], v[110:111]
	v_mul_f64_e32 v[110:111], v[90:91], v[110:111]
	s_wait_loadcnt_dscnt 0x900
	v_mul_f64_e32 v[124:125], v[144:145], v[114:115]
	v_mul_f64_e32 v[114:115], v[146:147], v[114:115]
	v_add_f64_e32 v[12:13], v[12:13], v[152:153]
	v_add_f64_e32 v[4:5], v[4:5], v[154:155]
	v_fmac_f64_e32 v[148:149], v[90:91], v[108:109]
	v_fma_f64 v[108:109], v[88:89], v[108:109], -v[110:111]
	v_fmac_f64_e32 v[124:125], v[146:147], v[112:113]
	v_fma_f64 v[112:113], v[144:145], v[112:113], -v[114:115]
	v_add_f64_e32 v[12:13], v[12:13], v[150:151]
	v_add_f64_e32 v[4:5], v[4:5], v[104:105]
	ds_load_b128 v[88:91], v2 offset:1040
	ds_load_b128 v[104:107], v2 offset:1056
	s_wait_loadcnt_dscnt 0x801
	v_mul_f64_e32 v[126:127], v[88:89], v[118:119]
	v_mul_f64_e32 v[110:111], v[90:91], v[118:119]
	s_wait_loadcnt_dscnt 0x700
	v_mul_f64_e32 v[114:115], v[104:105], v[122:123]
	v_mul_f64_e32 v[118:119], v[106:107], v[122:123]
	v_add_f64_e32 v[12:13], v[12:13], v[148:149]
	v_add_f64_e32 v[4:5], v[4:5], v[108:109]
	v_fmac_f64_e32 v[126:127], v[90:91], v[116:117]
	v_fma_f64 v[116:117], v[88:89], v[116:117], -v[110:111]
	ds_load_b128 v[88:91], v2 offset:1072
	ds_load_b128 v[108:111], v2 offset:1088
	v_fmac_f64_e32 v[114:115], v[106:107], v[120:121]
	v_fma_f64 v[104:105], v[104:105], v[120:121], -v[118:119]
	v_add_f64_e32 v[12:13], v[12:13], v[124:125]
	v_add_f64_e32 v[4:5], v[4:5], v[112:113]
	s_wait_loadcnt_dscnt 0x601
	v_mul_f64_e32 v[112:113], v[88:89], v[130:131]
	v_mul_f64_e32 v[122:123], v[90:91], v[130:131]
	s_wait_loadcnt_dscnt 0x500
	v_mul_f64_e32 v[106:107], v[108:109], v[10:11]
	v_add_f64_e32 v[12:13], v[12:13], v[126:127]
	v_add_f64_e32 v[4:5], v[4:5], v[116:117]
	v_mul_f64_e32 v[116:117], v[110:111], v[10:11]
	v_fmac_f64_e32 v[112:113], v[90:91], v[128:129]
	v_fma_f64 v[118:119], v[88:89], v[128:129], -v[122:123]
	v_fmac_f64_e32 v[106:107], v[110:111], v[8:9]
	v_add_f64_e32 v[4:5], v[4:5], v[104:105]
	v_add_f64_e32 v[104:105], v[12:13], v[114:115]
	ds_load_b128 v[10:13], v2 offset:1104
	ds_load_b128 v[88:91], v2 offset:1120
	v_fma_f64 v[8:9], v[108:109], v[8:9], -v[116:117]
	s_wait_loadcnt_dscnt 0x401
	v_mul_f64_e32 v[114:115], v[10:11], v[142:143]
	v_mul_f64_e32 v[120:121], v[12:13], v[142:143]
	v_add_f64_e32 v[4:5], v[4:5], v[118:119]
	v_add_f64_e32 v[104:105], v[104:105], v[112:113]
	s_wait_loadcnt_dscnt 0x300
	v_mul_f64_e32 v[108:109], v[88:89], v[138:139]
	v_mul_f64_e32 v[110:111], v[90:91], v[138:139]
	v_fmac_f64_e32 v[114:115], v[12:13], v[140:141]
	v_fma_f64 v[12:13], v[10:11], v[140:141], -v[120:121]
	v_add_f64_e32 v[4:5], v[4:5], v[8:9]
	v_add_f64_e32 v[112:113], v[104:105], v[106:107]
	ds_load_b128 v[8:11], v2 offset:1136
	ds_load_b128 v[104:107], v2 offset:1152
	v_fmac_f64_e32 v[108:109], v[90:91], v[136:137]
	v_fma_f64 v[88:89], v[88:89], v[136:137], -v[110:111]
	s_wait_loadcnt_dscnt 0x201
	v_mul_f64_e32 v[116:117], v[8:9], v[94:95]
	v_mul_f64_e32 v[94:95], v[10:11], v[94:95]
	s_wait_loadcnt_dscnt 0x100
	v_mul_f64_e32 v[90:91], v[104:105], v[98:99]
	v_mul_f64_e32 v[98:99], v[106:107], v[98:99]
	v_add_f64_e32 v[4:5], v[4:5], v[12:13]
	v_add_f64_e32 v[12:13], v[112:113], v[114:115]
	v_fmac_f64_e32 v[116:117], v[10:11], v[92:93]
	v_fma_f64 v[92:93], v[8:9], v[92:93], -v[94:95]
	ds_load_b128 v[8:11], v2 offset:1168
	v_fmac_f64_e32 v[90:91], v[106:107], v[96:97]
	v_fma_f64 v[96:97], v[104:105], v[96:97], -v[98:99]
	v_add_f64_e32 v[4:5], v[4:5], v[88:89]
	v_add_f64_e32 v[12:13], v[12:13], v[108:109]
	s_wait_loadcnt_dscnt 0x0
	v_mul_f64_e32 v[88:89], v[8:9], v[102:103]
	v_mul_f64_e32 v[94:95], v[10:11], v[102:103]
	s_delay_alu instid0(VALU_DEP_4) | instskip(NEXT) | instid1(VALU_DEP_4)
	v_add_f64_e32 v[4:5], v[4:5], v[92:93]
	v_add_f64_e32 v[12:13], v[12:13], v[116:117]
	s_delay_alu instid0(VALU_DEP_4) | instskip(NEXT) | instid1(VALU_DEP_4)
	v_fmac_f64_e32 v[88:89], v[10:11], v[100:101]
	v_fma_f64 v[8:9], v[8:9], v[100:101], -v[94:95]
	s_delay_alu instid0(VALU_DEP_4) | instskip(NEXT) | instid1(VALU_DEP_4)
	v_add_f64_e32 v[4:5], v[4:5], v[96:97]
	v_add_f64_e32 v[10:11], v[12:13], v[90:91]
	s_delay_alu instid0(VALU_DEP_2) | instskip(NEXT) | instid1(VALU_DEP_2)
	v_add_f64_e32 v[4:5], v[4:5], v[8:9]
	v_add_f64_e32 v[10:11], v[10:11], v[88:89]
	s_delay_alu instid0(VALU_DEP_2) | instskip(NEXT) | instid1(VALU_DEP_2)
	v_add_f64_e64 v[8:9], v[132:133], -v[4:5]
	v_add_f64_e64 v[10:11], v[134:135], -v[10:11]
	scratch_store_b128 off, v[8:11], off offset:112
	s_wait_xcnt 0x0
	v_cmpx_lt_u32_e32 6, v1
	s_cbranch_execz .LBB36_223
; %bb.222:
	scratch_load_b128 v[8:11], off, s42
	v_dual_mov_b32 v3, v2 :: v_dual_mov_b32 v4, v2
	v_mov_b32_e32 v5, v2
	scratch_store_b128 off, v[2:5], off offset:96
	s_wait_loadcnt 0x0
	ds_store_b128 v6, v[8:11]
.LBB36_223:
	s_wait_xcnt 0x0
	s_or_b32 exec_lo, exec_lo, s2
	s_wait_storecnt_dscnt 0x0
	s_barrier_signal -1
	s_barrier_wait -1
	s_clause 0x9
	scratch_load_b128 v[8:11], off, off offset:112
	scratch_load_b128 v[88:91], off, off offset:128
	;; [unrolled: 1-line block ×10, first 2 shown]
	ds_load_b128 v[124:127], v2 offset:704
	ds_load_b128 v[132:135], v2 offset:720
	s_clause 0x1
	scratch_load_b128 v[128:131], off, off offset:272
	scratch_load_b128 v[136:139], off, off offset:96
	s_mov_b32 s2, exec_lo
	s_wait_loadcnt_dscnt 0xb01
	v_mul_f64_e32 v[4:5], v[126:127], v[10:11]
	v_mul_f64_e32 v[148:149], v[124:125], v[10:11]
	scratch_load_b128 v[10:13], off, off offset:288
	s_wait_loadcnt_dscnt 0xb00
	v_mul_f64_e32 v[150:151], v[132:133], v[90:91]
	v_mul_f64_e32 v[90:91], v[134:135], v[90:91]
	v_fma_f64 v[4:5], v[124:125], v[8:9], -v[4:5]
	v_fmac_f64_e32 v[148:149], v[126:127], v[8:9]
	ds_load_b128 v[124:127], v2 offset:736
	ds_load_b128 v[140:143], v2 offset:752
	scratch_load_b128 v[144:147], off, off offset:304
	v_fmac_f64_e32 v[150:151], v[134:135], v[88:89]
	v_fma_f64 v[132:133], v[132:133], v[88:89], -v[90:91]
	scratch_load_b128 v[88:91], off, off offset:320
	s_wait_loadcnt_dscnt 0xc01
	v_mul_f64_e32 v[8:9], v[124:125], v[94:95]
	v_mul_f64_e32 v[94:95], v[126:127], v[94:95]
	v_add_f64_e32 v[4:5], 0, v[4:5]
	v_add_f64_e32 v[134:135], 0, v[148:149]
	s_wait_loadcnt_dscnt 0xb00
	v_mul_f64_e32 v[148:149], v[140:141], v[98:99]
	v_mul_f64_e32 v[98:99], v[142:143], v[98:99]
	v_fmac_f64_e32 v[8:9], v[126:127], v[92:93]
	v_fma_f64 v[152:153], v[124:125], v[92:93], -v[94:95]
	ds_load_b128 v[92:95], v2 offset:768
	ds_load_b128 v[124:127], v2 offset:784
	v_add_f64_e32 v[4:5], v[4:5], v[132:133]
	v_add_f64_e32 v[150:151], v[134:135], v[150:151]
	scratch_load_b128 v[132:135], off, off offset:336
	v_fmac_f64_e32 v[148:149], v[142:143], v[96:97]
	v_fma_f64 v[140:141], v[140:141], v[96:97], -v[98:99]
	scratch_load_b128 v[96:99], off, off offset:352
	s_wait_loadcnt_dscnt 0xc01
	v_mul_f64_e32 v[154:155], v[92:93], v[102:103]
	v_mul_f64_e32 v[102:103], v[94:95], v[102:103]
	v_add_f64_e32 v[4:5], v[4:5], v[152:153]
	v_add_f64_e32 v[8:9], v[150:151], v[8:9]
	s_wait_loadcnt_dscnt 0xb00
	v_mul_f64_e32 v[150:151], v[124:125], v[106:107]
	v_mul_f64_e32 v[106:107], v[126:127], v[106:107]
	v_fmac_f64_e32 v[154:155], v[94:95], v[100:101]
	v_fma_f64 v[152:153], v[92:93], v[100:101], -v[102:103]
	ds_load_b128 v[92:95], v2 offset:800
	ds_load_b128 v[100:103], v2 offset:816
	v_add_f64_e32 v[4:5], v[4:5], v[140:141]
	v_add_f64_e32 v[8:9], v[8:9], v[148:149]
	scratch_load_b128 v[140:143], off, off offset:368
	s_wait_loadcnt_dscnt 0xb01
	v_mul_f64_e32 v[148:149], v[92:93], v[110:111]
	v_mul_f64_e32 v[110:111], v[94:95], v[110:111]
	v_fmac_f64_e32 v[150:151], v[126:127], v[104:105]
	v_fma_f64 v[124:125], v[124:125], v[104:105], -v[106:107]
	scratch_load_b128 v[104:107], off, off offset:384
	v_add_f64_e32 v[4:5], v[4:5], v[152:153]
	v_add_f64_e32 v[8:9], v[8:9], v[154:155]
	s_wait_loadcnt_dscnt 0xb00
	v_mul_f64_e32 v[152:153], v[100:101], v[114:115]
	v_mul_f64_e32 v[114:115], v[102:103], v[114:115]
	v_fmac_f64_e32 v[148:149], v[94:95], v[108:109]
	v_fma_f64 v[154:155], v[92:93], v[108:109], -v[110:111]
	ds_load_b128 v[92:95], v2 offset:832
	ds_load_b128 v[108:111], v2 offset:848
	v_add_f64_e32 v[4:5], v[4:5], v[124:125]
	v_add_f64_e32 v[8:9], v[8:9], v[150:151]
	scratch_load_b128 v[124:127], off, off offset:400
	s_wait_loadcnt_dscnt 0xb01
	v_mul_f64_e32 v[150:151], v[92:93], v[118:119]
	v_mul_f64_e32 v[118:119], v[94:95], v[118:119]
	v_fmac_f64_e32 v[152:153], v[102:103], v[112:113]
	v_fma_f64 v[112:113], v[100:101], v[112:113], -v[114:115]
	scratch_load_b128 v[100:103], off, off offset:416
	v_add_f64_e32 v[4:5], v[4:5], v[154:155]
	v_add_f64_e32 v[8:9], v[8:9], v[148:149]
	s_wait_loadcnt_dscnt 0xb00
	v_mul_f64_e32 v[148:149], v[108:109], v[122:123]
	v_mul_f64_e32 v[122:123], v[110:111], v[122:123]
	v_fmac_f64_e32 v[150:151], v[94:95], v[116:117]
	v_fma_f64 v[154:155], v[92:93], v[116:117], -v[118:119]
	v_add_f64_e32 v[4:5], v[4:5], v[112:113]
	v_add_f64_e32 v[8:9], v[8:9], v[152:153]
	ds_load_b128 v[92:95], v2 offset:864
	ds_load_b128 v[112:115], v2 offset:880
	scratch_load_b128 v[116:119], off, off offset:432
	v_fmac_f64_e32 v[148:149], v[110:111], v[120:121]
	v_fma_f64 v[120:121], v[108:109], v[120:121], -v[122:123]
	scratch_load_b128 v[108:111], off, off offset:448
	s_wait_loadcnt_dscnt 0xc01
	v_mul_f64_e32 v[152:153], v[92:93], v[130:131]
	v_mul_f64_e32 v[130:131], v[94:95], v[130:131]
	v_add_f64_e32 v[4:5], v[4:5], v[154:155]
	v_add_f64_e32 v[8:9], v[8:9], v[150:151]
	s_wait_loadcnt_dscnt 0xa00
	v_mul_f64_e32 v[150:151], v[112:113], v[12:13]
	v_mul_f64_e32 v[12:13], v[114:115], v[12:13]
	v_fmac_f64_e32 v[152:153], v[94:95], v[128:129]
	v_fma_f64 v[154:155], v[92:93], v[128:129], -v[130:131]
	v_add_f64_e32 v[4:5], v[4:5], v[120:121]
	v_add_f64_e32 v[8:9], v[8:9], v[148:149]
	ds_load_b128 v[92:95], v2 offset:896
	ds_load_b128 v[120:123], v2 offset:912
	scratch_load_b128 v[128:131], off, off offset:464
	v_fmac_f64_e32 v[150:151], v[114:115], v[10:11]
	v_fma_f64 v[12:13], v[112:113], v[10:11], -v[12:13]
	s_wait_loadcnt_dscnt 0xa01
	v_mul_f64_e32 v[148:149], v[92:93], v[146:147]
	v_mul_f64_e32 v[146:147], v[94:95], v[146:147]
	v_add_f64_e32 v[4:5], v[4:5], v[154:155]
	v_add_f64_e32 v[112:113], v[8:9], v[152:153]
	scratch_load_b128 v[8:11], off, off offset:480
	s_wait_loadcnt_dscnt 0xa00
	v_mul_f64_e32 v[152:153], v[120:121], v[90:91]
	v_mul_f64_e32 v[154:155], v[122:123], v[90:91]
	v_fmac_f64_e32 v[148:149], v[94:95], v[144:145]
	v_fma_f64 v[94:95], v[92:93], v[144:145], -v[146:147]
	v_add_f64_e32 v[4:5], v[4:5], v[12:13]
	v_add_f64_e32 v[12:13], v[112:113], v[150:151]
	ds_load_b128 v[90:93], v2 offset:928
	ds_load_b128 v[112:115], v2 offset:944
	scratch_load_b128 v[144:147], off, off offset:496
	v_fmac_f64_e32 v[152:153], v[122:123], v[88:89]
	v_fma_f64 v[88:89], v[120:121], v[88:89], -v[154:155]
	scratch_load_b128 v[120:123], off, off offset:512
	s_wait_loadcnt_dscnt 0xb01
	v_mul_f64_e32 v[150:151], v[90:91], v[134:135]
	v_mul_f64_e32 v[134:135], v[92:93], v[134:135]
	v_add_f64_e32 v[4:5], v[4:5], v[94:95]
	v_add_f64_e32 v[12:13], v[12:13], v[148:149]
	s_wait_loadcnt_dscnt 0xa00
	v_mul_f64_e32 v[148:149], v[112:113], v[98:99]
	v_mul_f64_e32 v[98:99], v[114:115], v[98:99]
	v_fmac_f64_e32 v[150:151], v[92:93], v[132:133]
	v_fma_f64 v[154:155], v[90:91], v[132:133], -v[134:135]
	v_add_f64_e32 v[4:5], v[4:5], v[88:89]
	v_add_f64_e32 v[12:13], v[12:13], v[152:153]
	ds_load_b128 v[88:91], v2 offset:960
	ds_load_b128 v[92:95], v2 offset:976
	scratch_load_b128 v[132:135], off, off offset:528
	v_fmac_f64_e32 v[148:149], v[114:115], v[96:97]
	v_fma_f64 v[112:113], v[112:113], v[96:97], -v[98:99]
	scratch_load_b128 v[96:99], off, off offset:544
	s_wait_loadcnt_dscnt 0xb01
	v_mul_f64_e32 v[152:153], v[88:89], v[142:143]
	v_mul_f64_e32 v[142:143], v[90:91], v[142:143]
	v_add_f64_e32 v[4:5], v[4:5], v[154:155]
	v_add_f64_e32 v[12:13], v[12:13], v[150:151]
	s_wait_loadcnt_dscnt 0xa00
	v_mul_f64_e32 v[150:151], v[92:93], v[106:107]
	v_mul_f64_e32 v[106:107], v[94:95], v[106:107]
	v_fmac_f64_e32 v[152:153], v[90:91], v[140:141]
	v_fma_f64 v[154:155], v[88:89], v[140:141], -v[142:143]
	v_add_f64_e32 v[4:5], v[4:5], v[112:113]
	v_add_f64_e32 v[12:13], v[12:13], v[148:149]
	ds_load_b128 v[88:91], v2 offset:992
	ds_load_b128 v[112:115], v2 offset:1008
	scratch_load_b128 v[140:143], off, off offset:560
	v_fmac_f64_e32 v[150:151], v[94:95], v[104:105]
	v_fma_f64 v[104:105], v[92:93], v[104:105], -v[106:107]
	scratch_load_b128 v[92:95], off, off offset:576
	s_wait_loadcnt_dscnt 0xb01
	v_mul_f64_e32 v[148:149], v[88:89], v[126:127]
	v_mul_f64_e32 v[126:127], v[90:91], v[126:127]
	s_wait_loadcnt_dscnt 0xa00
	v_mul_f64_e32 v[106:107], v[112:113], v[102:103]
	v_add_f64_e32 v[4:5], v[4:5], v[154:155]
	v_add_f64_e32 v[12:13], v[12:13], v[152:153]
	v_mul_f64_e32 v[152:153], v[114:115], v[102:103]
	v_fmac_f64_e32 v[148:149], v[90:91], v[124:125]
	v_fma_f64 v[124:125], v[88:89], v[124:125], -v[126:127]
	v_fmac_f64_e32 v[106:107], v[114:115], v[100:101]
	v_add_f64_e32 v[4:5], v[4:5], v[104:105]
	v_add_f64_e32 v[12:13], v[12:13], v[150:151]
	ds_load_b128 v[88:91], v2 offset:1024
	ds_load_b128 v[102:105], v2 offset:1040
	v_fma_f64 v[100:101], v[112:113], v[100:101], -v[152:153]
	s_wait_loadcnt_dscnt 0x901
	v_mul_f64_e32 v[126:127], v[88:89], v[118:119]
	v_mul_f64_e32 v[118:119], v[90:91], v[118:119]
	s_wait_loadcnt_dscnt 0x800
	v_mul_f64_e32 v[114:115], v[102:103], v[110:111]
	v_add_f64_e32 v[4:5], v[4:5], v[124:125]
	v_add_f64_e32 v[12:13], v[12:13], v[148:149]
	v_mul_f64_e32 v[124:125], v[104:105], v[110:111]
	v_fmac_f64_e32 v[126:127], v[90:91], v[116:117]
	v_fma_f64 v[116:117], v[88:89], v[116:117], -v[118:119]
	ds_load_b128 v[88:91], v2 offset:1056
	ds_load_b128 v[110:113], v2 offset:1072
	v_fmac_f64_e32 v[114:115], v[104:105], v[108:109]
	v_add_f64_e32 v[4:5], v[4:5], v[100:101]
	v_add_f64_e32 v[12:13], v[12:13], v[106:107]
	v_fma_f64 v[102:103], v[102:103], v[108:109], -v[124:125]
	s_wait_loadcnt_dscnt 0x701
	v_mul_f64_e32 v[100:101], v[88:89], v[130:131]
	v_mul_f64_e32 v[106:107], v[90:91], v[130:131]
	v_add_f64_e32 v[4:5], v[4:5], v[116:117]
	v_add_f64_e32 v[12:13], v[12:13], v[126:127]
	s_wait_loadcnt_dscnt 0x600
	v_mul_f64_e32 v[104:105], v[110:111], v[10:11]
	v_mul_f64_e32 v[108:109], v[112:113], v[10:11]
	v_fmac_f64_e32 v[100:101], v[90:91], v[128:129]
	v_fma_f64 v[106:107], v[88:89], v[128:129], -v[106:107]
	v_add_f64_e32 v[4:5], v[4:5], v[102:103]
	v_add_f64_e32 v[102:103], v[12:13], v[114:115]
	ds_load_b128 v[10:13], v2 offset:1088
	ds_load_b128 v[88:91], v2 offset:1104
	v_fmac_f64_e32 v[104:105], v[112:113], v[8:9]
	v_fma_f64 v[8:9], v[110:111], v[8:9], -v[108:109]
	s_wait_loadcnt_dscnt 0x501
	v_mul_f64_e32 v[114:115], v[10:11], v[146:147]
	v_mul_f64_e32 v[116:117], v[12:13], v[146:147]
	s_wait_loadcnt_dscnt 0x400
	v_mul_f64_e32 v[108:109], v[90:91], v[122:123]
	v_add_f64_e32 v[4:5], v[4:5], v[106:107]
	v_add_f64_e32 v[100:101], v[102:103], v[100:101]
	v_mul_f64_e32 v[106:107], v[88:89], v[122:123]
	v_fmac_f64_e32 v[114:115], v[12:13], v[144:145]
	v_fma_f64 v[12:13], v[10:11], v[144:145], -v[116:117]
	v_fma_f64 v[88:89], v[88:89], v[120:121], -v[108:109]
	v_add_f64_e32 v[4:5], v[4:5], v[8:9]
	v_add_f64_e32 v[104:105], v[100:101], v[104:105]
	ds_load_b128 v[8:11], v2 offset:1120
	ds_load_b128 v[100:103], v2 offset:1136
	v_fmac_f64_e32 v[106:107], v[90:91], v[120:121]
	s_wait_loadcnt_dscnt 0x301
	v_mul_f64_e32 v[110:111], v[8:9], v[134:135]
	v_mul_f64_e32 v[112:113], v[10:11], v[134:135]
	s_wait_loadcnt_dscnt 0x200
	v_mul_f64_e32 v[90:91], v[100:101], v[98:99]
	v_mul_f64_e32 v[98:99], v[102:103], v[98:99]
	v_add_f64_e32 v[4:5], v[4:5], v[12:13]
	v_add_f64_e32 v[12:13], v[104:105], v[114:115]
	v_fmac_f64_e32 v[110:111], v[10:11], v[132:133]
	v_fma_f64 v[104:105], v[8:9], v[132:133], -v[112:113]
	v_fmac_f64_e32 v[90:91], v[102:103], v[96:97]
	v_fma_f64 v[96:97], v[100:101], v[96:97], -v[98:99]
	v_add_f64_e32 v[88:89], v[4:5], v[88:89]
	v_add_f64_e32 v[12:13], v[12:13], v[106:107]
	ds_load_b128 v[8:11], v2 offset:1152
	ds_load_b128 v[2:5], v2 offset:1168
	s_wait_loadcnt_dscnt 0x101
	v_mul_f64_e32 v[106:107], v[8:9], v[142:143]
	v_mul_f64_e32 v[108:109], v[10:11], v[142:143]
	s_wait_loadcnt_dscnt 0x0
	v_mul_f64_e32 v[98:99], v[2:3], v[94:95]
	v_mul_f64_e32 v[94:95], v[4:5], v[94:95]
	v_add_f64_e32 v[88:89], v[88:89], v[104:105]
	v_add_f64_e32 v[12:13], v[12:13], v[110:111]
	v_fmac_f64_e32 v[106:107], v[10:11], v[140:141]
	v_fma_f64 v[8:9], v[8:9], v[140:141], -v[108:109]
	v_fmac_f64_e32 v[98:99], v[4:5], v[92:93]
	v_fma_f64 v[2:3], v[2:3], v[92:93], -v[94:95]
	v_add_f64_e32 v[10:11], v[88:89], v[96:97]
	v_add_f64_e32 v[12:13], v[12:13], v[90:91]
	s_delay_alu instid0(VALU_DEP_2) | instskip(NEXT) | instid1(VALU_DEP_2)
	v_add_f64_e32 v[4:5], v[10:11], v[8:9]
	v_add_f64_e32 v[8:9], v[12:13], v[106:107]
	s_delay_alu instid0(VALU_DEP_2) | instskip(NEXT) | instid1(VALU_DEP_2)
	;; [unrolled: 3-line block ×3, first 2 shown]
	v_add_f64_e64 v[2:3], v[136:137], -v[2:3]
	v_add_f64_e64 v[4:5], v[138:139], -v[4:5]
	scratch_store_b128 off, v[2:5], off offset:96
	s_wait_xcnt 0x0
	v_cmpx_lt_u32_e32 5, v1
	s_cbranch_execz .LBB36_225
; %bb.224:
	scratch_load_b128 v[2:5], off, s40
	v_mov_b32_e32 v8, 0
	s_delay_alu instid0(VALU_DEP_1)
	v_dual_mov_b32 v9, v8 :: v_dual_mov_b32 v10, v8
	v_mov_b32_e32 v11, v8
	scratch_store_b128 off, v[8:11], off offset:80
	s_wait_loadcnt 0x0
	ds_store_b128 v6, v[2:5]
.LBB36_225:
	s_wait_xcnt 0x0
	s_or_b32 exec_lo, exec_lo, s2
	s_wait_storecnt_dscnt 0x0
	s_barrier_signal -1
	s_barrier_wait -1
	s_clause 0x9
	scratch_load_b128 v[8:11], off, off offset:96
	scratch_load_b128 v[88:91], off, off offset:112
	;; [unrolled: 1-line block ×10, first 2 shown]
	v_mov_b32_e32 v2, 0
	s_mov_b32 s2, exec_lo
	ds_load_b128 v[124:127], v2 offset:688
	s_clause 0x2
	scratch_load_b128 v[128:131], off, off offset:256
	scratch_load_b128 v[132:135], off, off offset:80
	;; [unrolled: 1-line block ×3, first 2 shown]
	s_wait_loadcnt_dscnt 0xc00
	v_mul_f64_e32 v[4:5], v[126:127], v[10:11]
	v_mul_f64_e32 v[148:149], v[124:125], v[10:11]
	ds_load_b128 v[136:139], v2 offset:704
	scratch_load_b128 v[10:13], off, off offset:272
	ds_load_b128 v[144:147], v2 offset:736
	v_fma_f64 v[4:5], v[124:125], v[8:9], -v[4:5]
	v_fmac_f64_e32 v[148:149], v[126:127], v[8:9]
	ds_load_b128 v[124:127], v2 offset:720
	s_wait_loadcnt_dscnt 0xc02
	v_mul_f64_e32 v[150:151], v[136:137], v[90:91]
	v_mul_f64_e32 v[90:91], v[138:139], v[90:91]
	s_wait_loadcnt_dscnt 0xb00
	v_mul_f64_e32 v[8:9], v[124:125], v[94:95]
	v_mul_f64_e32 v[94:95], v[126:127], v[94:95]
	v_add_f64_e32 v[4:5], 0, v[4:5]
	v_fmac_f64_e32 v[150:151], v[138:139], v[88:89]
	v_fma_f64 v[136:137], v[136:137], v[88:89], -v[90:91]
	v_add_f64_e32 v[138:139], 0, v[148:149]
	scratch_load_b128 v[88:91], off, off offset:304
	v_fmac_f64_e32 v[8:9], v[126:127], v[92:93]
	v_fma_f64 v[152:153], v[124:125], v[92:93], -v[94:95]
	ds_load_b128 v[92:95], v2 offset:752
	s_wait_loadcnt 0xb
	v_mul_f64_e32 v[148:149], v[144:145], v[98:99]
	v_mul_f64_e32 v[98:99], v[146:147], v[98:99]
	scratch_load_b128 v[124:127], off, off offset:320
	v_add_f64_e32 v[4:5], v[4:5], v[136:137]
	v_add_f64_e32 v[150:151], v[138:139], v[150:151]
	ds_load_b128 v[136:139], v2 offset:768
	s_wait_loadcnt_dscnt 0xb01
	v_mul_f64_e32 v[154:155], v[92:93], v[102:103]
	v_mul_f64_e32 v[102:103], v[94:95], v[102:103]
	v_fmac_f64_e32 v[148:149], v[146:147], v[96:97]
	v_fma_f64 v[144:145], v[144:145], v[96:97], -v[98:99]
	scratch_load_b128 v[96:99], off, off offset:336
	v_add_f64_e32 v[4:5], v[4:5], v[152:153]
	v_add_f64_e32 v[8:9], v[150:151], v[8:9]
	v_fmac_f64_e32 v[154:155], v[94:95], v[100:101]
	v_fma_f64 v[152:153], v[92:93], v[100:101], -v[102:103]
	ds_load_b128 v[92:95], v2 offset:784
	s_wait_loadcnt_dscnt 0xb01
	v_mul_f64_e32 v[150:151], v[136:137], v[106:107]
	v_mul_f64_e32 v[106:107], v[138:139], v[106:107]
	scratch_load_b128 v[100:103], off, off offset:352
	v_add_f64_e32 v[4:5], v[4:5], v[144:145]
	v_add_f64_e32 v[8:9], v[8:9], v[148:149]
	s_wait_loadcnt_dscnt 0xb00
	v_mul_f64_e32 v[148:149], v[92:93], v[110:111]
	v_mul_f64_e32 v[110:111], v[94:95], v[110:111]
	ds_load_b128 v[144:147], v2 offset:800
	v_fmac_f64_e32 v[150:151], v[138:139], v[104:105]
	v_fma_f64 v[136:137], v[136:137], v[104:105], -v[106:107]
	scratch_load_b128 v[104:107], off, off offset:368
	v_add_f64_e32 v[4:5], v[4:5], v[152:153]
	v_add_f64_e32 v[8:9], v[8:9], v[154:155]
	v_fmac_f64_e32 v[148:149], v[94:95], v[108:109]
	v_fma_f64 v[154:155], v[92:93], v[108:109], -v[110:111]
	ds_load_b128 v[92:95], v2 offset:816
	s_wait_loadcnt_dscnt 0xb01
	v_mul_f64_e32 v[152:153], v[144:145], v[114:115]
	v_mul_f64_e32 v[114:115], v[146:147], v[114:115]
	scratch_load_b128 v[108:111], off, off offset:384
	v_add_f64_e32 v[4:5], v[4:5], v[136:137]
	v_add_f64_e32 v[8:9], v[8:9], v[150:151]
	s_wait_loadcnt_dscnt 0xb00
	v_mul_f64_e32 v[150:151], v[92:93], v[118:119]
	v_mul_f64_e32 v[118:119], v[94:95], v[118:119]
	ds_load_b128 v[136:139], v2 offset:832
	v_fmac_f64_e32 v[152:153], v[146:147], v[112:113]
	v_fma_f64 v[144:145], v[144:145], v[112:113], -v[114:115]
	scratch_load_b128 v[112:115], off, off offset:400
	v_add_f64_e32 v[4:5], v[4:5], v[154:155]
	v_add_f64_e32 v[8:9], v[8:9], v[148:149]
	v_fmac_f64_e32 v[150:151], v[94:95], v[116:117]
	v_fma_f64 v[154:155], v[92:93], v[116:117], -v[118:119]
	ds_load_b128 v[92:95], v2 offset:848
	s_wait_loadcnt_dscnt 0xb01
	v_mul_f64_e32 v[148:149], v[136:137], v[122:123]
	v_mul_f64_e32 v[122:123], v[138:139], v[122:123]
	scratch_load_b128 v[116:119], off, off offset:416
	v_add_f64_e32 v[4:5], v[4:5], v[144:145]
	v_add_f64_e32 v[8:9], v[8:9], v[152:153]
	s_wait_loadcnt_dscnt 0xb00
	v_mul_f64_e32 v[152:153], v[92:93], v[130:131]
	v_mul_f64_e32 v[130:131], v[94:95], v[130:131]
	ds_load_b128 v[144:147], v2 offset:864
	v_fmac_f64_e32 v[148:149], v[138:139], v[120:121]
	v_fma_f64 v[136:137], v[136:137], v[120:121], -v[122:123]
	scratch_load_b128 v[120:123], off, off offset:432
	v_add_f64_e32 v[4:5], v[4:5], v[154:155]
	v_add_f64_e32 v[8:9], v[8:9], v[150:151]
	v_fmac_f64_e32 v[152:153], v[94:95], v[128:129]
	v_fma_f64 v[154:155], v[92:93], v[128:129], -v[130:131]
	ds_load_b128 v[92:95], v2 offset:880
	s_wait_loadcnt_dscnt 0x901
	v_mul_f64_e32 v[150:151], v[144:145], v[12:13]
	v_mul_f64_e32 v[12:13], v[146:147], v[12:13]
	scratch_load_b128 v[128:131], off, off offset:448
	v_add_f64_e32 v[4:5], v[4:5], v[136:137]
	v_add_f64_e32 v[8:9], v[8:9], v[148:149]
	s_wait_dscnt 0x0
	v_mul_f64_e32 v[148:149], v[92:93], v[142:143]
	v_mul_f64_e32 v[142:143], v[94:95], v[142:143]
	ds_load_b128 v[136:139], v2 offset:896
	v_fmac_f64_e32 v[150:151], v[146:147], v[10:11]
	v_fma_f64 v[12:13], v[144:145], v[10:11], -v[12:13]
	v_add_f64_e32 v[4:5], v[4:5], v[154:155]
	v_add_f64_e32 v[144:145], v[8:9], v[152:153]
	scratch_load_b128 v[8:11], off, off offset:464
	v_fmac_f64_e32 v[148:149], v[94:95], v[140:141]
	v_fma_f64 v[94:95], v[92:93], v[140:141], -v[142:143]
	scratch_load_b128 v[140:143], off, off offset:480
	v_add_f64_e32 v[4:5], v[4:5], v[12:13]
	v_add_f64_e32 v[12:13], v[144:145], v[150:151]
	ds_load_b128 v[144:147], v2 offset:928
	s_wait_loadcnt_dscnt 0xb01
	v_mul_f64_e32 v[152:153], v[136:137], v[90:91]
	v_mul_f64_e32 v[154:155], v[138:139], v[90:91]
	ds_load_b128 v[90:93], v2 offset:912
	s_wait_loadcnt_dscnt 0xa00
	v_mul_f64_e32 v[150:151], v[90:91], v[126:127]
	v_mul_f64_e32 v[126:127], v[92:93], v[126:127]
	v_add_f64_e32 v[4:5], v[4:5], v[94:95]
	v_add_f64_e32 v[12:13], v[12:13], v[148:149]
	s_wait_loadcnt 0x9
	v_mul_f64_e32 v[148:149], v[144:145], v[98:99]
	v_fmac_f64_e32 v[152:153], v[138:139], v[88:89]
	v_fma_f64 v[88:89], v[136:137], v[88:89], -v[154:155]
	scratch_load_b128 v[136:139], off, off offset:496
	v_mul_f64_e32 v[98:99], v[146:147], v[98:99]
	v_fmac_f64_e32 v[150:151], v[92:93], v[124:125]
	v_fma_f64 v[154:155], v[90:91], v[124:125], -v[126:127]
	scratch_load_b128 v[92:95], off, off offset:512
	ds_load_b128 v[124:127], v2 offset:960
	v_fmac_f64_e32 v[148:149], v[146:147], v[96:97]
	v_add_f64_e32 v[12:13], v[12:13], v[152:153]
	v_add_f64_e32 v[4:5], v[4:5], v[88:89]
	ds_load_b128 v[88:91], v2 offset:944
	v_fma_f64 v[144:145], v[144:145], v[96:97], -v[98:99]
	scratch_load_b128 v[96:99], off, off offset:528
	s_wait_loadcnt_dscnt 0xb00
	v_mul_f64_e32 v[152:153], v[88:89], v[102:103]
	v_mul_f64_e32 v[102:103], v[90:91], v[102:103]
	v_add_f64_e32 v[12:13], v[12:13], v[150:151]
	v_add_f64_e32 v[4:5], v[4:5], v[154:155]
	s_wait_loadcnt 0xa
	v_mul_f64_e32 v[150:151], v[124:125], v[106:107]
	v_mul_f64_e32 v[106:107], v[126:127], v[106:107]
	v_fmac_f64_e32 v[152:153], v[90:91], v[100:101]
	v_fma_f64 v[154:155], v[88:89], v[100:101], -v[102:103]
	ds_load_b128 v[88:91], v2 offset:976
	scratch_load_b128 v[100:103], off, off offset:544
	v_add_f64_e32 v[12:13], v[12:13], v[148:149]
	v_add_f64_e32 v[4:5], v[4:5], v[144:145]
	ds_load_b128 v[144:147], v2 offset:992
	v_fmac_f64_e32 v[150:151], v[126:127], v[104:105]
	v_fma_f64 v[124:125], v[124:125], v[104:105], -v[106:107]
	scratch_load_b128 v[104:107], off, off offset:560
	s_wait_loadcnt_dscnt 0xb01
	v_mul_f64_e32 v[148:149], v[88:89], v[110:111]
	v_mul_f64_e32 v[110:111], v[90:91], v[110:111]
	v_add_f64_e32 v[12:13], v[12:13], v[152:153]
	v_add_f64_e32 v[4:5], v[4:5], v[154:155]
	s_wait_loadcnt_dscnt 0xa00
	v_mul_f64_e32 v[152:153], v[144:145], v[114:115]
	v_mul_f64_e32 v[114:115], v[146:147], v[114:115]
	v_fmac_f64_e32 v[148:149], v[90:91], v[108:109]
	v_fma_f64 v[154:155], v[88:89], v[108:109], -v[110:111]
	ds_load_b128 v[88:91], v2 offset:1008
	scratch_load_b128 v[108:111], off, off offset:576
	v_add_f64_e32 v[12:13], v[12:13], v[150:151]
	v_add_f64_e32 v[4:5], v[4:5], v[124:125]
	ds_load_b128 v[124:127], v2 offset:1024
	s_wait_loadcnt_dscnt 0xa01
	v_mul_f64_e32 v[150:151], v[88:89], v[118:119]
	v_mul_f64_e32 v[118:119], v[90:91], v[118:119]
	v_fmac_f64_e32 v[152:153], v[146:147], v[112:113]
	v_fma_f64 v[112:113], v[144:145], v[112:113], -v[114:115]
	s_wait_loadcnt_dscnt 0x900
	v_mul_f64_e32 v[144:145], v[124:125], v[122:123]
	v_mul_f64_e32 v[122:123], v[126:127], v[122:123]
	v_add_f64_e32 v[12:13], v[12:13], v[148:149]
	v_add_f64_e32 v[4:5], v[4:5], v[154:155]
	v_fmac_f64_e32 v[150:151], v[90:91], v[116:117]
	v_fma_f64 v[116:117], v[88:89], v[116:117], -v[118:119]
	v_fmac_f64_e32 v[144:145], v[126:127], v[120:121]
	v_fma_f64 v[120:121], v[124:125], v[120:121], -v[122:123]
	v_add_f64_e32 v[12:13], v[12:13], v[152:153]
	v_add_f64_e32 v[4:5], v[4:5], v[112:113]
	ds_load_b128 v[88:91], v2 offset:1040
	ds_load_b128 v[112:115], v2 offset:1056
	s_wait_loadcnt_dscnt 0x801
	v_mul_f64_e32 v[118:119], v[88:89], v[130:131]
	v_mul_f64_e32 v[130:131], v[90:91], v[130:131]
	s_wait_loadcnt_dscnt 0x700
	v_mul_f64_e32 v[122:123], v[114:115], v[10:11]
	v_add_f64_e32 v[12:13], v[12:13], v[150:151]
	v_add_f64_e32 v[4:5], v[4:5], v[116:117]
	v_mul_f64_e32 v[116:117], v[112:113], v[10:11]
	v_fmac_f64_e32 v[118:119], v[90:91], v[128:129]
	v_fma_f64 v[124:125], v[88:89], v[128:129], -v[130:131]
	s_delay_alu instid0(VALU_DEP_4)
	v_add_f64_e32 v[4:5], v[4:5], v[120:121]
	v_add_f64_e32 v[120:121], v[12:13], v[144:145]
	ds_load_b128 v[10:13], v2 offset:1072
	ds_load_b128 v[88:91], v2 offset:1088
	v_fmac_f64_e32 v[116:117], v[114:115], v[8:9]
	v_fma_f64 v[8:9], v[112:113], v[8:9], -v[122:123]
	s_wait_loadcnt_dscnt 0x601
	v_mul_f64_e32 v[126:127], v[10:11], v[142:143]
	v_mul_f64_e32 v[128:129], v[12:13], v[142:143]
	v_add_f64_e32 v[4:5], v[4:5], v[124:125]
	v_add_f64_e32 v[112:113], v[120:121], v[118:119]
	s_wait_loadcnt_dscnt 0x500
	v_mul_f64_e32 v[118:119], v[88:89], v[138:139]
	v_mul_f64_e32 v[120:121], v[90:91], v[138:139]
	v_fmac_f64_e32 v[126:127], v[12:13], v[140:141]
	v_fma_f64 v[12:13], v[10:11], v[140:141], -v[128:129]
	v_add_f64_e32 v[4:5], v[4:5], v[8:9]
	v_add_f64_e32 v[116:117], v[112:113], v[116:117]
	ds_load_b128 v[8:11], v2 offset:1104
	ds_load_b128 v[112:115], v2 offset:1120
	v_fmac_f64_e32 v[118:119], v[90:91], v[136:137]
	v_fma_f64 v[88:89], v[88:89], v[136:137], -v[120:121]
	s_wait_loadcnt_dscnt 0x401
	v_mul_f64_e32 v[122:123], v[8:9], v[94:95]
	v_mul_f64_e32 v[94:95], v[10:11], v[94:95]
	v_add_f64_e32 v[4:5], v[4:5], v[12:13]
	v_add_f64_e32 v[12:13], v[116:117], v[126:127]
	s_wait_loadcnt_dscnt 0x300
	v_mul_f64_e32 v[116:117], v[112:113], v[98:99]
	v_mul_f64_e32 v[98:99], v[114:115], v[98:99]
	v_fmac_f64_e32 v[122:123], v[10:11], v[92:93]
	v_fma_f64 v[92:93], v[8:9], v[92:93], -v[94:95]
	v_add_f64_e32 v[4:5], v[4:5], v[88:89]
	v_add_f64_e32 v[12:13], v[12:13], v[118:119]
	ds_load_b128 v[8:11], v2 offset:1136
	ds_load_b128 v[88:91], v2 offset:1152
	v_fmac_f64_e32 v[116:117], v[114:115], v[96:97]
	v_fma_f64 v[96:97], v[112:113], v[96:97], -v[98:99]
	s_wait_loadcnt_dscnt 0x201
	v_mul_f64_e32 v[94:95], v[8:9], v[102:103]
	v_mul_f64_e32 v[102:103], v[10:11], v[102:103]
	s_wait_loadcnt_dscnt 0x100
	v_mul_f64_e32 v[98:99], v[90:91], v[106:107]
	v_add_f64_e32 v[4:5], v[4:5], v[92:93]
	v_add_f64_e32 v[12:13], v[12:13], v[122:123]
	v_mul_f64_e32 v[92:93], v[88:89], v[106:107]
	v_fmac_f64_e32 v[94:95], v[10:11], v[100:101]
	v_fma_f64 v[100:101], v[8:9], v[100:101], -v[102:103]
	ds_load_b128 v[8:11], v2 offset:1168
	v_fma_f64 v[88:89], v[88:89], v[104:105], -v[98:99]
	v_add_f64_e32 v[4:5], v[4:5], v[96:97]
	v_add_f64_e32 v[12:13], v[12:13], v[116:117]
	v_fmac_f64_e32 v[92:93], v[90:91], v[104:105]
	s_wait_loadcnt_dscnt 0x0
	v_mul_f64_e32 v[96:97], v[8:9], v[110:111]
	v_mul_f64_e32 v[102:103], v[10:11], v[110:111]
	v_add_f64_e32 v[4:5], v[4:5], v[100:101]
	v_add_f64_e32 v[12:13], v[12:13], v[94:95]
	s_delay_alu instid0(VALU_DEP_4) | instskip(NEXT) | instid1(VALU_DEP_4)
	v_fmac_f64_e32 v[96:97], v[10:11], v[108:109]
	v_fma_f64 v[8:9], v[8:9], v[108:109], -v[102:103]
	s_delay_alu instid0(VALU_DEP_4) | instskip(NEXT) | instid1(VALU_DEP_4)
	v_add_f64_e32 v[4:5], v[4:5], v[88:89]
	v_add_f64_e32 v[10:11], v[12:13], v[92:93]
	s_delay_alu instid0(VALU_DEP_2) | instskip(NEXT) | instid1(VALU_DEP_2)
	v_add_f64_e32 v[4:5], v[4:5], v[8:9]
	v_add_f64_e32 v[10:11], v[10:11], v[96:97]
	s_delay_alu instid0(VALU_DEP_2) | instskip(NEXT) | instid1(VALU_DEP_2)
	v_add_f64_e64 v[8:9], v[132:133], -v[4:5]
	v_add_f64_e64 v[10:11], v[134:135], -v[10:11]
	scratch_store_b128 off, v[8:11], off offset:80
	s_wait_xcnt 0x0
	v_cmpx_lt_u32_e32 4, v1
	s_cbranch_execz .LBB36_227
; %bb.226:
	scratch_load_b128 v[8:11], off, s30
	v_dual_mov_b32 v3, v2 :: v_dual_mov_b32 v4, v2
	v_mov_b32_e32 v5, v2
	scratch_store_b128 off, v[2:5], off offset:64
	s_wait_loadcnt 0x0
	ds_store_b128 v6, v[8:11]
.LBB36_227:
	s_wait_xcnt 0x0
	s_or_b32 exec_lo, exec_lo, s2
	s_wait_storecnt_dscnt 0x0
	s_barrier_signal -1
	s_barrier_wait -1
	s_clause 0x9
	scratch_load_b128 v[8:11], off, off offset:80
	scratch_load_b128 v[88:91], off, off offset:96
	scratch_load_b128 v[92:95], off, off offset:112
	scratch_load_b128 v[96:99], off, off offset:128
	scratch_load_b128 v[100:103], off, off offset:144
	scratch_load_b128 v[104:107], off, off offset:160
	scratch_load_b128 v[108:111], off, off offset:176
	scratch_load_b128 v[112:115], off, off offset:192
	scratch_load_b128 v[116:119], off, off offset:208
	scratch_load_b128 v[120:123], off, off offset:224
	ds_load_b128 v[124:127], v2 offset:672
	ds_load_b128 v[132:135], v2 offset:688
	s_clause 0x1
	scratch_load_b128 v[128:131], off, off offset:240
	scratch_load_b128 v[136:139], off, off offset:64
	s_mov_b32 s2, exec_lo
	s_wait_loadcnt_dscnt 0xb01
	v_mul_f64_e32 v[4:5], v[126:127], v[10:11]
	v_mul_f64_e32 v[148:149], v[124:125], v[10:11]
	scratch_load_b128 v[10:13], off, off offset:256
	s_wait_loadcnt_dscnt 0xb00
	v_mul_f64_e32 v[150:151], v[132:133], v[90:91]
	v_mul_f64_e32 v[90:91], v[134:135], v[90:91]
	v_fma_f64 v[4:5], v[124:125], v[8:9], -v[4:5]
	v_fmac_f64_e32 v[148:149], v[126:127], v[8:9]
	ds_load_b128 v[124:127], v2 offset:704
	ds_load_b128 v[140:143], v2 offset:720
	scratch_load_b128 v[144:147], off, off offset:272
	v_fmac_f64_e32 v[150:151], v[134:135], v[88:89]
	v_fma_f64 v[132:133], v[132:133], v[88:89], -v[90:91]
	scratch_load_b128 v[88:91], off, off offset:288
	s_wait_loadcnt_dscnt 0xc01
	v_mul_f64_e32 v[8:9], v[124:125], v[94:95]
	v_mul_f64_e32 v[94:95], v[126:127], v[94:95]
	v_add_f64_e32 v[4:5], 0, v[4:5]
	v_add_f64_e32 v[134:135], 0, v[148:149]
	s_wait_loadcnt_dscnt 0xb00
	v_mul_f64_e32 v[148:149], v[140:141], v[98:99]
	v_mul_f64_e32 v[98:99], v[142:143], v[98:99]
	v_fmac_f64_e32 v[8:9], v[126:127], v[92:93]
	v_fma_f64 v[152:153], v[124:125], v[92:93], -v[94:95]
	ds_load_b128 v[92:95], v2 offset:736
	ds_load_b128 v[124:127], v2 offset:752
	v_add_f64_e32 v[4:5], v[4:5], v[132:133]
	v_add_f64_e32 v[150:151], v[134:135], v[150:151]
	scratch_load_b128 v[132:135], off, off offset:304
	v_fmac_f64_e32 v[148:149], v[142:143], v[96:97]
	v_fma_f64 v[140:141], v[140:141], v[96:97], -v[98:99]
	scratch_load_b128 v[96:99], off, off offset:320
	s_wait_loadcnt_dscnt 0xc01
	v_mul_f64_e32 v[154:155], v[92:93], v[102:103]
	v_mul_f64_e32 v[102:103], v[94:95], v[102:103]
	v_add_f64_e32 v[4:5], v[4:5], v[152:153]
	v_add_f64_e32 v[8:9], v[150:151], v[8:9]
	s_wait_loadcnt_dscnt 0xb00
	v_mul_f64_e32 v[150:151], v[124:125], v[106:107]
	v_mul_f64_e32 v[106:107], v[126:127], v[106:107]
	v_fmac_f64_e32 v[154:155], v[94:95], v[100:101]
	v_fma_f64 v[152:153], v[92:93], v[100:101], -v[102:103]
	ds_load_b128 v[92:95], v2 offset:768
	ds_load_b128 v[100:103], v2 offset:784
	v_add_f64_e32 v[4:5], v[4:5], v[140:141]
	v_add_f64_e32 v[8:9], v[8:9], v[148:149]
	scratch_load_b128 v[140:143], off, off offset:336
	s_wait_loadcnt_dscnt 0xb01
	v_mul_f64_e32 v[148:149], v[92:93], v[110:111]
	v_mul_f64_e32 v[110:111], v[94:95], v[110:111]
	v_fmac_f64_e32 v[150:151], v[126:127], v[104:105]
	v_fma_f64 v[124:125], v[124:125], v[104:105], -v[106:107]
	scratch_load_b128 v[104:107], off, off offset:352
	v_add_f64_e32 v[4:5], v[4:5], v[152:153]
	v_add_f64_e32 v[8:9], v[8:9], v[154:155]
	s_wait_loadcnt_dscnt 0xb00
	v_mul_f64_e32 v[152:153], v[100:101], v[114:115]
	v_mul_f64_e32 v[114:115], v[102:103], v[114:115]
	v_fmac_f64_e32 v[148:149], v[94:95], v[108:109]
	v_fma_f64 v[154:155], v[92:93], v[108:109], -v[110:111]
	ds_load_b128 v[92:95], v2 offset:800
	ds_load_b128 v[108:111], v2 offset:816
	v_add_f64_e32 v[4:5], v[4:5], v[124:125]
	v_add_f64_e32 v[8:9], v[8:9], v[150:151]
	scratch_load_b128 v[124:127], off, off offset:368
	s_wait_loadcnt_dscnt 0xb01
	v_mul_f64_e32 v[150:151], v[92:93], v[118:119]
	v_mul_f64_e32 v[118:119], v[94:95], v[118:119]
	v_fmac_f64_e32 v[152:153], v[102:103], v[112:113]
	v_fma_f64 v[112:113], v[100:101], v[112:113], -v[114:115]
	scratch_load_b128 v[100:103], off, off offset:384
	v_add_f64_e32 v[4:5], v[4:5], v[154:155]
	v_add_f64_e32 v[8:9], v[8:9], v[148:149]
	s_wait_loadcnt_dscnt 0xb00
	v_mul_f64_e32 v[148:149], v[108:109], v[122:123]
	v_mul_f64_e32 v[122:123], v[110:111], v[122:123]
	v_fmac_f64_e32 v[150:151], v[94:95], v[116:117]
	v_fma_f64 v[154:155], v[92:93], v[116:117], -v[118:119]
	v_add_f64_e32 v[4:5], v[4:5], v[112:113]
	v_add_f64_e32 v[8:9], v[8:9], v[152:153]
	ds_load_b128 v[92:95], v2 offset:832
	ds_load_b128 v[112:115], v2 offset:848
	scratch_load_b128 v[116:119], off, off offset:400
	v_fmac_f64_e32 v[148:149], v[110:111], v[120:121]
	v_fma_f64 v[120:121], v[108:109], v[120:121], -v[122:123]
	scratch_load_b128 v[108:111], off, off offset:416
	s_wait_loadcnt_dscnt 0xc01
	v_mul_f64_e32 v[152:153], v[92:93], v[130:131]
	v_mul_f64_e32 v[130:131], v[94:95], v[130:131]
	v_add_f64_e32 v[4:5], v[4:5], v[154:155]
	v_add_f64_e32 v[8:9], v[8:9], v[150:151]
	s_wait_loadcnt_dscnt 0xa00
	v_mul_f64_e32 v[150:151], v[112:113], v[12:13]
	v_mul_f64_e32 v[12:13], v[114:115], v[12:13]
	v_fmac_f64_e32 v[152:153], v[94:95], v[128:129]
	v_fma_f64 v[154:155], v[92:93], v[128:129], -v[130:131]
	v_add_f64_e32 v[4:5], v[4:5], v[120:121]
	v_add_f64_e32 v[8:9], v[8:9], v[148:149]
	ds_load_b128 v[92:95], v2 offset:864
	ds_load_b128 v[120:123], v2 offset:880
	scratch_load_b128 v[128:131], off, off offset:432
	v_fmac_f64_e32 v[150:151], v[114:115], v[10:11]
	v_fma_f64 v[12:13], v[112:113], v[10:11], -v[12:13]
	s_wait_loadcnt_dscnt 0xa01
	v_mul_f64_e32 v[148:149], v[92:93], v[146:147]
	v_mul_f64_e32 v[146:147], v[94:95], v[146:147]
	v_add_f64_e32 v[4:5], v[4:5], v[154:155]
	v_add_f64_e32 v[112:113], v[8:9], v[152:153]
	scratch_load_b128 v[8:11], off, off offset:448
	s_wait_loadcnt_dscnt 0xa00
	v_mul_f64_e32 v[152:153], v[120:121], v[90:91]
	v_mul_f64_e32 v[154:155], v[122:123], v[90:91]
	v_fmac_f64_e32 v[148:149], v[94:95], v[144:145]
	v_fma_f64 v[94:95], v[92:93], v[144:145], -v[146:147]
	v_add_f64_e32 v[4:5], v[4:5], v[12:13]
	v_add_f64_e32 v[12:13], v[112:113], v[150:151]
	ds_load_b128 v[90:93], v2 offset:896
	ds_load_b128 v[112:115], v2 offset:912
	scratch_load_b128 v[144:147], off, off offset:464
	v_fmac_f64_e32 v[152:153], v[122:123], v[88:89]
	v_fma_f64 v[88:89], v[120:121], v[88:89], -v[154:155]
	scratch_load_b128 v[120:123], off, off offset:480
	s_wait_loadcnt_dscnt 0xb01
	v_mul_f64_e32 v[150:151], v[90:91], v[134:135]
	v_mul_f64_e32 v[134:135], v[92:93], v[134:135]
	v_add_f64_e32 v[4:5], v[4:5], v[94:95]
	v_add_f64_e32 v[12:13], v[12:13], v[148:149]
	s_wait_loadcnt_dscnt 0xa00
	v_mul_f64_e32 v[148:149], v[112:113], v[98:99]
	v_mul_f64_e32 v[98:99], v[114:115], v[98:99]
	v_fmac_f64_e32 v[150:151], v[92:93], v[132:133]
	v_fma_f64 v[154:155], v[90:91], v[132:133], -v[134:135]
	v_add_f64_e32 v[4:5], v[4:5], v[88:89]
	v_add_f64_e32 v[12:13], v[12:13], v[152:153]
	ds_load_b128 v[88:91], v2 offset:928
	ds_load_b128 v[92:95], v2 offset:944
	scratch_load_b128 v[132:135], off, off offset:496
	v_fmac_f64_e32 v[148:149], v[114:115], v[96:97]
	v_fma_f64 v[112:113], v[112:113], v[96:97], -v[98:99]
	scratch_load_b128 v[96:99], off, off offset:512
	s_wait_loadcnt_dscnt 0xb01
	v_mul_f64_e32 v[152:153], v[88:89], v[142:143]
	v_mul_f64_e32 v[142:143], v[90:91], v[142:143]
	v_add_f64_e32 v[4:5], v[4:5], v[154:155]
	v_add_f64_e32 v[12:13], v[12:13], v[150:151]
	s_wait_loadcnt_dscnt 0xa00
	v_mul_f64_e32 v[150:151], v[92:93], v[106:107]
	v_mul_f64_e32 v[106:107], v[94:95], v[106:107]
	v_fmac_f64_e32 v[152:153], v[90:91], v[140:141]
	v_fma_f64 v[154:155], v[88:89], v[140:141], -v[142:143]
	v_add_f64_e32 v[4:5], v[4:5], v[112:113]
	v_add_f64_e32 v[12:13], v[12:13], v[148:149]
	ds_load_b128 v[88:91], v2 offset:960
	ds_load_b128 v[112:115], v2 offset:976
	scratch_load_b128 v[140:143], off, off offset:528
	v_fmac_f64_e32 v[150:151], v[94:95], v[104:105]
	v_fma_f64 v[104:105], v[92:93], v[104:105], -v[106:107]
	scratch_load_b128 v[92:95], off, off offset:544
	s_wait_loadcnt_dscnt 0xb01
	v_mul_f64_e32 v[148:149], v[88:89], v[126:127]
	v_mul_f64_e32 v[126:127], v[90:91], v[126:127]
	s_wait_loadcnt_dscnt 0xa00
	v_mul_f64_e32 v[106:107], v[112:113], v[102:103]
	v_add_f64_e32 v[4:5], v[4:5], v[154:155]
	v_add_f64_e32 v[12:13], v[12:13], v[152:153]
	v_mul_f64_e32 v[152:153], v[114:115], v[102:103]
	v_fmac_f64_e32 v[148:149], v[90:91], v[124:125]
	v_fma_f64 v[154:155], v[88:89], v[124:125], -v[126:127]
	v_fmac_f64_e32 v[106:107], v[114:115], v[100:101]
	v_add_f64_e32 v[4:5], v[4:5], v[104:105]
	v_add_f64_e32 v[12:13], v[12:13], v[150:151]
	ds_load_b128 v[88:91], v2 offset:992
	ds_load_b128 v[102:105], v2 offset:1008
	scratch_load_b128 v[124:127], off, off offset:560
	v_fma_f64 v[100:101], v[112:113], v[100:101], -v[152:153]
	scratch_load_b128 v[112:115], off, off offset:576
	s_wait_loadcnt_dscnt 0xb01
	v_mul_f64_e32 v[150:151], v[88:89], v[118:119]
	v_mul_f64_e32 v[118:119], v[90:91], v[118:119]
	v_add_f64_e32 v[4:5], v[4:5], v[154:155]
	v_add_f64_e32 v[12:13], v[12:13], v[148:149]
	s_wait_loadcnt_dscnt 0xa00
	v_mul_f64_e32 v[148:149], v[102:103], v[110:111]
	v_mul_f64_e32 v[110:111], v[104:105], v[110:111]
	v_fmac_f64_e32 v[150:151], v[90:91], v[116:117]
	v_fma_f64 v[152:153], v[88:89], v[116:117], -v[118:119]
	ds_load_b128 v[88:91], v2 offset:1024
	ds_load_b128 v[116:119], v2 offset:1040
	v_add_f64_e32 v[4:5], v[4:5], v[100:101]
	v_add_f64_e32 v[12:13], v[12:13], v[106:107]
	v_fmac_f64_e32 v[148:149], v[104:105], v[108:109]
	v_fma_f64 v[102:103], v[102:103], v[108:109], -v[110:111]
	s_wait_loadcnt_dscnt 0x901
	v_mul_f64_e32 v[100:101], v[88:89], v[130:131]
	v_mul_f64_e32 v[106:107], v[90:91], v[130:131]
	v_add_f64_e32 v[4:5], v[4:5], v[152:153]
	v_add_f64_e32 v[12:13], v[12:13], v[150:151]
	s_wait_loadcnt_dscnt 0x800
	v_mul_f64_e32 v[104:105], v[116:117], v[10:11]
	v_mul_f64_e32 v[108:109], v[118:119], v[10:11]
	v_fmac_f64_e32 v[100:101], v[90:91], v[128:129]
	v_fma_f64 v[106:107], v[88:89], v[128:129], -v[106:107]
	v_add_f64_e32 v[4:5], v[4:5], v[102:103]
	v_add_f64_e32 v[102:103], v[12:13], v[148:149]
	ds_load_b128 v[10:13], v2 offset:1056
	ds_load_b128 v[88:91], v2 offset:1072
	v_fmac_f64_e32 v[104:105], v[118:119], v[8:9]
	v_fma_f64 v[8:9], v[116:117], v[8:9], -v[108:109]
	s_wait_loadcnt_dscnt 0x701
	v_mul_f64_e32 v[110:111], v[10:11], v[146:147]
	v_mul_f64_e32 v[128:129], v[12:13], v[146:147]
	s_wait_loadcnt_dscnt 0x600
	v_mul_f64_e32 v[108:109], v[90:91], v[122:123]
	v_add_f64_e32 v[4:5], v[4:5], v[106:107]
	v_add_f64_e32 v[100:101], v[102:103], v[100:101]
	v_mul_f64_e32 v[106:107], v[88:89], v[122:123]
	v_fmac_f64_e32 v[110:111], v[12:13], v[144:145]
	v_fma_f64 v[12:13], v[10:11], v[144:145], -v[128:129]
	v_fma_f64 v[88:89], v[88:89], v[120:121], -v[108:109]
	v_add_f64_e32 v[4:5], v[4:5], v[8:9]
	v_add_f64_e32 v[104:105], v[100:101], v[104:105]
	ds_load_b128 v[8:11], v2 offset:1088
	ds_load_b128 v[100:103], v2 offset:1104
	v_fmac_f64_e32 v[106:107], v[90:91], v[120:121]
	s_wait_loadcnt_dscnt 0x501
	v_mul_f64_e32 v[116:117], v[8:9], v[134:135]
	v_mul_f64_e32 v[118:119], v[10:11], v[134:135]
	v_add_f64_e32 v[4:5], v[4:5], v[12:13]
	v_add_f64_e32 v[12:13], v[104:105], v[110:111]
	s_wait_loadcnt_dscnt 0x400
	v_mul_f64_e32 v[104:105], v[100:101], v[98:99]
	v_mul_f64_e32 v[98:99], v[102:103], v[98:99]
	v_fmac_f64_e32 v[116:117], v[10:11], v[132:133]
	v_fma_f64 v[108:109], v[8:9], v[132:133], -v[118:119]
	v_add_f64_e32 v[4:5], v[4:5], v[88:89]
	v_add_f64_e32 v[12:13], v[12:13], v[106:107]
	ds_load_b128 v[8:11], v2 offset:1120
	ds_load_b128 v[88:91], v2 offset:1136
	v_fmac_f64_e32 v[104:105], v[102:103], v[96:97]
	v_fma_f64 v[96:97], v[100:101], v[96:97], -v[98:99]
	s_wait_loadcnt_dscnt 0x301
	v_mul_f64_e32 v[106:107], v[8:9], v[142:143]
	v_mul_f64_e32 v[110:111], v[10:11], v[142:143]
	s_wait_loadcnt_dscnt 0x200
	v_mul_f64_e32 v[98:99], v[88:89], v[94:95]
	v_mul_f64_e32 v[94:95], v[90:91], v[94:95]
	v_add_f64_e32 v[4:5], v[4:5], v[108:109]
	v_add_f64_e32 v[12:13], v[12:13], v[116:117]
	v_fmac_f64_e32 v[106:107], v[10:11], v[140:141]
	v_fma_f64 v[100:101], v[8:9], v[140:141], -v[110:111]
	v_fmac_f64_e32 v[98:99], v[90:91], v[92:93]
	v_fma_f64 v[88:89], v[88:89], v[92:93], -v[94:95]
	v_add_f64_e32 v[96:97], v[4:5], v[96:97]
	v_add_f64_e32 v[12:13], v[12:13], v[104:105]
	ds_load_b128 v[8:11], v2 offset:1152
	ds_load_b128 v[2:5], v2 offset:1168
	s_wait_loadcnt_dscnt 0x101
	v_mul_f64_e32 v[102:103], v[8:9], v[126:127]
	v_mul_f64_e32 v[104:105], v[10:11], v[126:127]
	s_wait_loadcnt_dscnt 0x0
	v_mul_f64_e32 v[92:93], v[2:3], v[114:115]
	v_mul_f64_e32 v[94:95], v[4:5], v[114:115]
	v_add_f64_e32 v[90:91], v[96:97], v[100:101]
	v_add_f64_e32 v[12:13], v[12:13], v[106:107]
	v_fmac_f64_e32 v[102:103], v[10:11], v[124:125]
	v_fma_f64 v[8:9], v[8:9], v[124:125], -v[104:105]
	v_fmac_f64_e32 v[92:93], v[4:5], v[112:113]
	v_fma_f64 v[2:3], v[2:3], v[112:113], -v[94:95]
	v_add_f64_e32 v[10:11], v[90:91], v[88:89]
	v_add_f64_e32 v[12:13], v[12:13], v[98:99]
	s_delay_alu instid0(VALU_DEP_2) | instskip(NEXT) | instid1(VALU_DEP_2)
	v_add_f64_e32 v[4:5], v[10:11], v[8:9]
	v_add_f64_e32 v[8:9], v[12:13], v[102:103]
	s_delay_alu instid0(VALU_DEP_2) | instskip(NEXT) | instid1(VALU_DEP_2)
	;; [unrolled: 3-line block ×3, first 2 shown]
	v_add_f64_e64 v[2:3], v[136:137], -v[2:3]
	v_add_f64_e64 v[4:5], v[138:139], -v[4:5]
	scratch_store_b128 off, v[2:5], off offset:64
	s_wait_xcnt 0x0
	v_cmpx_lt_u32_e32 3, v1
	s_cbranch_execz .LBB36_229
; %bb.228:
	scratch_load_b128 v[2:5], off, s28
	v_mov_b32_e32 v8, 0
	s_delay_alu instid0(VALU_DEP_1)
	v_dual_mov_b32 v9, v8 :: v_dual_mov_b32 v10, v8
	v_mov_b32_e32 v11, v8
	scratch_store_b128 off, v[8:11], off offset:48
	s_wait_loadcnt 0x0
	ds_store_b128 v6, v[2:5]
.LBB36_229:
	s_wait_xcnt 0x0
	s_or_b32 exec_lo, exec_lo, s2
	s_wait_storecnt_dscnt 0x0
	s_barrier_signal -1
	s_barrier_wait -1
	s_clause 0x9
	scratch_load_b128 v[8:11], off, off offset:64
	scratch_load_b128 v[88:91], off, off offset:80
	;; [unrolled: 1-line block ×10, first 2 shown]
	v_mov_b32_e32 v2, 0
	s_mov_b32 s2, exec_lo
	ds_load_b128 v[124:127], v2 offset:656
	s_clause 0x2
	scratch_load_b128 v[128:131], off, off offset:224
	scratch_load_b128 v[132:135], off, off offset:48
	;; [unrolled: 1-line block ×3, first 2 shown]
	s_wait_loadcnt_dscnt 0xc00
	v_mul_f64_e32 v[4:5], v[126:127], v[10:11]
	v_mul_f64_e32 v[148:149], v[124:125], v[10:11]
	ds_load_b128 v[136:139], v2 offset:672
	scratch_load_b128 v[10:13], off, off offset:240
	ds_load_b128 v[144:147], v2 offset:704
	v_fma_f64 v[4:5], v[124:125], v[8:9], -v[4:5]
	v_fmac_f64_e32 v[148:149], v[126:127], v[8:9]
	ds_load_b128 v[124:127], v2 offset:688
	s_wait_loadcnt_dscnt 0xc02
	v_mul_f64_e32 v[150:151], v[136:137], v[90:91]
	v_mul_f64_e32 v[90:91], v[138:139], v[90:91]
	s_wait_loadcnt_dscnt 0xb00
	v_mul_f64_e32 v[8:9], v[124:125], v[94:95]
	v_mul_f64_e32 v[94:95], v[126:127], v[94:95]
	v_add_f64_e32 v[4:5], 0, v[4:5]
	v_fmac_f64_e32 v[150:151], v[138:139], v[88:89]
	v_fma_f64 v[136:137], v[136:137], v[88:89], -v[90:91]
	v_add_f64_e32 v[138:139], 0, v[148:149]
	scratch_load_b128 v[88:91], off, off offset:272
	v_fmac_f64_e32 v[8:9], v[126:127], v[92:93]
	v_fma_f64 v[152:153], v[124:125], v[92:93], -v[94:95]
	ds_load_b128 v[92:95], v2 offset:720
	s_wait_loadcnt 0xb
	v_mul_f64_e32 v[148:149], v[144:145], v[98:99]
	v_mul_f64_e32 v[98:99], v[146:147], v[98:99]
	scratch_load_b128 v[124:127], off, off offset:288
	v_add_f64_e32 v[4:5], v[4:5], v[136:137]
	v_add_f64_e32 v[150:151], v[138:139], v[150:151]
	ds_load_b128 v[136:139], v2 offset:736
	s_wait_loadcnt_dscnt 0xb01
	v_mul_f64_e32 v[154:155], v[92:93], v[102:103]
	v_mul_f64_e32 v[102:103], v[94:95], v[102:103]
	v_fmac_f64_e32 v[148:149], v[146:147], v[96:97]
	v_fma_f64 v[144:145], v[144:145], v[96:97], -v[98:99]
	scratch_load_b128 v[96:99], off, off offset:304
	v_add_f64_e32 v[4:5], v[4:5], v[152:153]
	v_add_f64_e32 v[8:9], v[150:151], v[8:9]
	v_fmac_f64_e32 v[154:155], v[94:95], v[100:101]
	v_fma_f64 v[152:153], v[92:93], v[100:101], -v[102:103]
	ds_load_b128 v[92:95], v2 offset:752
	s_wait_loadcnt_dscnt 0xb01
	v_mul_f64_e32 v[150:151], v[136:137], v[106:107]
	v_mul_f64_e32 v[106:107], v[138:139], v[106:107]
	scratch_load_b128 v[100:103], off, off offset:320
	v_add_f64_e32 v[4:5], v[4:5], v[144:145]
	v_add_f64_e32 v[8:9], v[8:9], v[148:149]
	s_wait_loadcnt_dscnt 0xb00
	v_mul_f64_e32 v[148:149], v[92:93], v[110:111]
	v_mul_f64_e32 v[110:111], v[94:95], v[110:111]
	ds_load_b128 v[144:147], v2 offset:768
	v_fmac_f64_e32 v[150:151], v[138:139], v[104:105]
	v_fma_f64 v[136:137], v[136:137], v[104:105], -v[106:107]
	scratch_load_b128 v[104:107], off, off offset:336
	v_add_f64_e32 v[4:5], v[4:5], v[152:153]
	v_add_f64_e32 v[8:9], v[8:9], v[154:155]
	v_fmac_f64_e32 v[148:149], v[94:95], v[108:109]
	v_fma_f64 v[154:155], v[92:93], v[108:109], -v[110:111]
	ds_load_b128 v[92:95], v2 offset:784
	s_wait_loadcnt_dscnt 0xb01
	v_mul_f64_e32 v[152:153], v[144:145], v[114:115]
	v_mul_f64_e32 v[114:115], v[146:147], v[114:115]
	scratch_load_b128 v[108:111], off, off offset:352
	v_add_f64_e32 v[4:5], v[4:5], v[136:137]
	v_add_f64_e32 v[8:9], v[8:9], v[150:151]
	s_wait_loadcnt_dscnt 0xb00
	v_mul_f64_e32 v[150:151], v[92:93], v[118:119]
	v_mul_f64_e32 v[118:119], v[94:95], v[118:119]
	ds_load_b128 v[136:139], v2 offset:800
	v_fmac_f64_e32 v[152:153], v[146:147], v[112:113]
	v_fma_f64 v[144:145], v[144:145], v[112:113], -v[114:115]
	scratch_load_b128 v[112:115], off, off offset:368
	v_add_f64_e32 v[4:5], v[4:5], v[154:155]
	v_add_f64_e32 v[8:9], v[8:9], v[148:149]
	v_fmac_f64_e32 v[150:151], v[94:95], v[116:117]
	v_fma_f64 v[154:155], v[92:93], v[116:117], -v[118:119]
	ds_load_b128 v[92:95], v2 offset:816
	s_wait_loadcnt_dscnt 0xb01
	v_mul_f64_e32 v[148:149], v[136:137], v[122:123]
	v_mul_f64_e32 v[122:123], v[138:139], v[122:123]
	scratch_load_b128 v[116:119], off, off offset:384
	v_add_f64_e32 v[4:5], v[4:5], v[144:145]
	v_add_f64_e32 v[8:9], v[8:9], v[152:153]
	s_wait_loadcnt_dscnt 0xb00
	v_mul_f64_e32 v[152:153], v[92:93], v[130:131]
	v_mul_f64_e32 v[130:131], v[94:95], v[130:131]
	ds_load_b128 v[144:147], v2 offset:832
	v_fmac_f64_e32 v[148:149], v[138:139], v[120:121]
	v_fma_f64 v[136:137], v[136:137], v[120:121], -v[122:123]
	scratch_load_b128 v[120:123], off, off offset:400
	v_add_f64_e32 v[4:5], v[4:5], v[154:155]
	v_add_f64_e32 v[8:9], v[8:9], v[150:151]
	v_fmac_f64_e32 v[152:153], v[94:95], v[128:129]
	v_fma_f64 v[154:155], v[92:93], v[128:129], -v[130:131]
	ds_load_b128 v[92:95], v2 offset:848
	s_wait_loadcnt_dscnt 0x901
	v_mul_f64_e32 v[150:151], v[144:145], v[12:13]
	v_mul_f64_e32 v[12:13], v[146:147], v[12:13]
	scratch_load_b128 v[128:131], off, off offset:416
	v_add_f64_e32 v[4:5], v[4:5], v[136:137]
	v_add_f64_e32 v[8:9], v[8:9], v[148:149]
	s_wait_dscnt 0x0
	v_mul_f64_e32 v[148:149], v[92:93], v[142:143]
	v_mul_f64_e32 v[142:143], v[94:95], v[142:143]
	ds_load_b128 v[136:139], v2 offset:864
	v_fmac_f64_e32 v[150:151], v[146:147], v[10:11]
	v_fma_f64 v[12:13], v[144:145], v[10:11], -v[12:13]
	v_add_f64_e32 v[4:5], v[4:5], v[154:155]
	v_add_f64_e32 v[144:145], v[8:9], v[152:153]
	scratch_load_b128 v[8:11], off, off offset:432
	v_fmac_f64_e32 v[148:149], v[94:95], v[140:141]
	v_fma_f64 v[94:95], v[92:93], v[140:141], -v[142:143]
	scratch_load_b128 v[140:143], off, off offset:448
	v_add_f64_e32 v[4:5], v[4:5], v[12:13]
	v_add_f64_e32 v[12:13], v[144:145], v[150:151]
	ds_load_b128 v[144:147], v2 offset:896
	s_wait_loadcnt_dscnt 0xb01
	v_mul_f64_e32 v[152:153], v[136:137], v[90:91]
	v_mul_f64_e32 v[154:155], v[138:139], v[90:91]
	ds_load_b128 v[90:93], v2 offset:880
	s_wait_loadcnt_dscnt 0xa00
	v_mul_f64_e32 v[150:151], v[90:91], v[126:127]
	v_mul_f64_e32 v[126:127], v[92:93], v[126:127]
	v_add_f64_e32 v[4:5], v[4:5], v[94:95]
	v_add_f64_e32 v[12:13], v[12:13], v[148:149]
	s_wait_loadcnt 0x9
	v_mul_f64_e32 v[148:149], v[144:145], v[98:99]
	v_fmac_f64_e32 v[152:153], v[138:139], v[88:89]
	v_fma_f64 v[88:89], v[136:137], v[88:89], -v[154:155]
	scratch_load_b128 v[136:139], off, off offset:464
	v_mul_f64_e32 v[98:99], v[146:147], v[98:99]
	v_fmac_f64_e32 v[150:151], v[92:93], v[124:125]
	v_fma_f64 v[154:155], v[90:91], v[124:125], -v[126:127]
	scratch_load_b128 v[92:95], off, off offset:480
	ds_load_b128 v[124:127], v2 offset:928
	v_fmac_f64_e32 v[148:149], v[146:147], v[96:97]
	v_add_f64_e32 v[12:13], v[12:13], v[152:153]
	v_add_f64_e32 v[4:5], v[4:5], v[88:89]
	ds_load_b128 v[88:91], v2 offset:912
	v_fma_f64 v[144:145], v[144:145], v[96:97], -v[98:99]
	scratch_load_b128 v[96:99], off, off offset:496
	s_wait_loadcnt_dscnt 0xb00
	v_mul_f64_e32 v[152:153], v[88:89], v[102:103]
	v_mul_f64_e32 v[102:103], v[90:91], v[102:103]
	v_add_f64_e32 v[12:13], v[12:13], v[150:151]
	v_add_f64_e32 v[4:5], v[4:5], v[154:155]
	s_wait_loadcnt 0xa
	v_mul_f64_e32 v[150:151], v[124:125], v[106:107]
	v_mul_f64_e32 v[106:107], v[126:127], v[106:107]
	v_fmac_f64_e32 v[152:153], v[90:91], v[100:101]
	v_fma_f64 v[154:155], v[88:89], v[100:101], -v[102:103]
	ds_load_b128 v[88:91], v2 offset:944
	scratch_load_b128 v[100:103], off, off offset:512
	v_add_f64_e32 v[12:13], v[12:13], v[148:149]
	v_add_f64_e32 v[4:5], v[4:5], v[144:145]
	ds_load_b128 v[144:147], v2 offset:960
	v_fmac_f64_e32 v[150:151], v[126:127], v[104:105]
	v_fma_f64 v[124:125], v[124:125], v[104:105], -v[106:107]
	scratch_load_b128 v[104:107], off, off offset:528
	s_wait_loadcnt_dscnt 0xb01
	v_mul_f64_e32 v[148:149], v[88:89], v[110:111]
	v_mul_f64_e32 v[110:111], v[90:91], v[110:111]
	v_add_f64_e32 v[12:13], v[12:13], v[152:153]
	v_add_f64_e32 v[4:5], v[4:5], v[154:155]
	s_wait_loadcnt_dscnt 0xa00
	v_mul_f64_e32 v[152:153], v[144:145], v[114:115]
	v_mul_f64_e32 v[114:115], v[146:147], v[114:115]
	v_fmac_f64_e32 v[148:149], v[90:91], v[108:109]
	v_fma_f64 v[154:155], v[88:89], v[108:109], -v[110:111]
	ds_load_b128 v[88:91], v2 offset:976
	scratch_load_b128 v[108:111], off, off offset:544
	v_add_f64_e32 v[12:13], v[12:13], v[150:151]
	v_add_f64_e32 v[4:5], v[4:5], v[124:125]
	ds_load_b128 v[124:127], v2 offset:992
	s_wait_loadcnt_dscnt 0xa01
	v_mul_f64_e32 v[150:151], v[88:89], v[118:119]
	v_mul_f64_e32 v[118:119], v[90:91], v[118:119]
	v_fmac_f64_e32 v[152:153], v[146:147], v[112:113]
	v_fma_f64 v[144:145], v[144:145], v[112:113], -v[114:115]
	scratch_load_b128 v[112:115], off, off offset:560
	v_add_f64_e32 v[12:13], v[12:13], v[148:149]
	v_add_f64_e32 v[4:5], v[4:5], v[154:155]
	s_wait_loadcnt_dscnt 0xa00
	v_mul_f64_e32 v[148:149], v[124:125], v[122:123]
	v_mul_f64_e32 v[122:123], v[126:127], v[122:123]
	v_fmac_f64_e32 v[150:151], v[90:91], v[116:117]
	v_fma_f64 v[154:155], v[88:89], v[116:117], -v[118:119]
	ds_load_b128 v[88:91], v2 offset:1008
	scratch_load_b128 v[116:119], off, off offset:576
	v_add_f64_e32 v[12:13], v[12:13], v[152:153]
	v_add_f64_e32 v[4:5], v[4:5], v[144:145]
	ds_load_b128 v[144:147], v2 offset:1024
	s_wait_loadcnt_dscnt 0xa01
	v_mul_f64_e32 v[152:153], v[88:89], v[130:131]
	v_mul_f64_e32 v[130:131], v[90:91], v[130:131]
	v_fmac_f64_e32 v[148:149], v[126:127], v[120:121]
	v_fma_f64 v[120:121], v[124:125], v[120:121], -v[122:123]
	s_wait_loadcnt_dscnt 0x900
	v_mul_f64_e32 v[122:123], v[144:145], v[10:11]
	v_add_f64_e32 v[12:13], v[12:13], v[150:151]
	v_add_f64_e32 v[4:5], v[4:5], v[154:155]
	v_mul_f64_e32 v[124:125], v[146:147], v[10:11]
	v_fmac_f64_e32 v[152:153], v[90:91], v[128:129]
	v_fma_f64 v[126:127], v[88:89], v[128:129], -v[130:131]
	v_fmac_f64_e32 v[122:123], v[146:147], v[8:9]
	v_add_f64_e32 v[4:5], v[4:5], v[120:121]
	v_add_f64_e32 v[120:121], v[12:13], v[148:149]
	ds_load_b128 v[10:13], v2 offset:1040
	ds_load_b128 v[88:91], v2 offset:1056
	v_fma_f64 v[8:9], v[144:145], v[8:9], -v[124:125]
	s_wait_loadcnt_dscnt 0x801
	v_mul_f64_e32 v[128:129], v[10:11], v[142:143]
	v_mul_f64_e32 v[130:131], v[12:13], v[142:143]
	v_add_f64_e32 v[4:5], v[4:5], v[126:127]
	v_add_f64_e32 v[120:121], v[120:121], v[152:153]
	s_wait_loadcnt_dscnt 0x700
	v_mul_f64_e32 v[124:125], v[88:89], v[138:139]
	v_mul_f64_e32 v[126:127], v[90:91], v[138:139]
	v_fmac_f64_e32 v[128:129], v[12:13], v[140:141]
	v_fma_f64 v[12:13], v[10:11], v[140:141], -v[130:131]
	v_add_f64_e32 v[4:5], v[4:5], v[8:9]
	v_add_f64_e32 v[130:131], v[120:121], v[122:123]
	ds_load_b128 v[8:11], v2 offset:1072
	ds_load_b128 v[120:123], v2 offset:1088
	v_fmac_f64_e32 v[124:125], v[90:91], v[136:137]
	v_fma_f64 v[88:89], v[88:89], v[136:137], -v[126:127]
	s_wait_loadcnt_dscnt 0x601
	v_mul_f64_e32 v[138:139], v[8:9], v[94:95]
	v_mul_f64_e32 v[94:95], v[10:11], v[94:95]
	s_wait_loadcnt_dscnt 0x500
	v_mul_f64_e32 v[126:127], v[120:121], v[98:99]
	v_mul_f64_e32 v[98:99], v[122:123], v[98:99]
	v_add_f64_e32 v[4:5], v[4:5], v[12:13]
	v_add_f64_e32 v[12:13], v[130:131], v[128:129]
	v_fmac_f64_e32 v[138:139], v[10:11], v[92:93]
	v_fma_f64 v[92:93], v[8:9], v[92:93], -v[94:95]
	v_fmac_f64_e32 v[126:127], v[122:123], v[96:97]
	v_fma_f64 v[96:97], v[120:121], v[96:97], -v[98:99]
	v_add_f64_e32 v[4:5], v[4:5], v[88:89]
	v_add_f64_e32 v[12:13], v[12:13], v[124:125]
	ds_load_b128 v[8:11], v2 offset:1104
	ds_load_b128 v[88:91], v2 offset:1120
	s_wait_loadcnt_dscnt 0x401
	v_mul_f64_e32 v[124:125], v[8:9], v[102:103]
	v_mul_f64_e32 v[94:95], v[10:11], v[102:103]
	s_wait_loadcnt_dscnt 0x300
	v_mul_f64_e32 v[98:99], v[88:89], v[106:107]
	v_mul_f64_e32 v[102:103], v[90:91], v[106:107]
	v_add_f64_e32 v[4:5], v[4:5], v[92:93]
	v_add_f64_e32 v[12:13], v[12:13], v[138:139]
	v_fmac_f64_e32 v[124:125], v[10:11], v[100:101]
	v_fma_f64 v[100:101], v[8:9], v[100:101], -v[94:95]
	ds_load_b128 v[8:11], v2 offset:1136
	ds_load_b128 v[92:95], v2 offset:1152
	v_fmac_f64_e32 v[98:99], v[90:91], v[104:105]
	v_fma_f64 v[88:89], v[88:89], v[104:105], -v[102:103]
	v_add_f64_e32 v[4:5], v[4:5], v[96:97]
	v_add_f64_e32 v[12:13], v[12:13], v[126:127]
	s_wait_loadcnt_dscnt 0x201
	v_mul_f64_e32 v[96:97], v[8:9], v[110:111]
	v_mul_f64_e32 v[106:107], v[10:11], v[110:111]
	s_wait_loadcnt_dscnt 0x100
	v_mul_f64_e32 v[90:91], v[92:93], v[114:115]
	v_add_f64_e32 v[4:5], v[4:5], v[100:101]
	v_add_f64_e32 v[12:13], v[12:13], v[124:125]
	v_mul_f64_e32 v[100:101], v[94:95], v[114:115]
	v_fmac_f64_e32 v[96:97], v[10:11], v[108:109]
	v_fma_f64 v[102:103], v[8:9], v[108:109], -v[106:107]
	ds_load_b128 v[8:11], v2 offset:1168
	v_fmac_f64_e32 v[90:91], v[94:95], v[112:113]
	v_add_f64_e32 v[4:5], v[4:5], v[88:89]
	v_add_f64_e32 v[12:13], v[12:13], v[98:99]
	s_wait_loadcnt_dscnt 0x0
	v_mul_f64_e32 v[88:89], v[8:9], v[118:119]
	v_mul_f64_e32 v[98:99], v[10:11], v[118:119]
	v_fma_f64 v[92:93], v[92:93], v[112:113], -v[100:101]
	v_add_f64_e32 v[4:5], v[4:5], v[102:103]
	v_add_f64_e32 v[12:13], v[12:13], v[96:97]
	v_fmac_f64_e32 v[88:89], v[10:11], v[116:117]
	v_fma_f64 v[8:9], v[8:9], v[116:117], -v[98:99]
	s_delay_alu instid0(VALU_DEP_4) | instskip(NEXT) | instid1(VALU_DEP_4)
	v_add_f64_e32 v[4:5], v[4:5], v[92:93]
	v_add_f64_e32 v[10:11], v[12:13], v[90:91]
	s_delay_alu instid0(VALU_DEP_2) | instskip(NEXT) | instid1(VALU_DEP_2)
	v_add_f64_e32 v[4:5], v[4:5], v[8:9]
	v_add_f64_e32 v[10:11], v[10:11], v[88:89]
	s_delay_alu instid0(VALU_DEP_2) | instskip(NEXT) | instid1(VALU_DEP_2)
	v_add_f64_e64 v[8:9], v[132:133], -v[4:5]
	v_add_f64_e64 v[10:11], v[134:135], -v[10:11]
	scratch_store_b128 off, v[8:11], off offset:48
	s_wait_xcnt 0x0
	v_cmpx_lt_u32_e32 2, v1
	s_cbranch_execz .LBB36_231
; %bb.230:
	scratch_load_b128 v[8:11], off, s26
	v_dual_mov_b32 v3, v2 :: v_dual_mov_b32 v4, v2
	v_mov_b32_e32 v5, v2
	scratch_store_b128 off, v[2:5], off offset:32
	s_wait_loadcnt 0x0
	ds_store_b128 v6, v[8:11]
.LBB36_231:
	s_wait_xcnt 0x0
	s_or_b32 exec_lo, exec_lo, s2
	s_wait_storecnt_dscnt 0x0
	s_barrier_signal -1
	s_barrier_wait -1
	s_clause 0x9
	scratch_load_b128 v[8:11], off, off offset:48
	scratch_load_b128 v[88:91], off, off offset:64
	;; [unrolled: 1-line block ×10, first 2 shown]
	ds_load_b128 v[124:127], v2 offset:640
	ds_load_b128 v[132:135], v2 offset:656
	s_clause 0x1
	scratch_load_b128 v[128:131], off, off offset:208
	scratch_load_b128 v[136:139], off, off offset:32
	s_mov_b32 s2, exec_lo
	v_ashrrev_i32_e32 v21, 31, v20
	v_ashrrev_i32_e32 v25, 31, v24
	scratch_load_b128 v[140:143], off, off offset:240
	v_ashrrev_i32_e32 v29, 31, v28
	v_ashrrev_i32_e32 v33, 31, v32
	ds_load_b128 v[144:147], v2 offset:688
	v_ashrrev_i32_e32 v19, 31, v18
	v_dual_ashrrev_i32 v23, 31, v22 :: v_dual_ashrrev_i32 v37, 31, v36
	v_dual_ashrrev_i32 v41, 31, v40 :: v_dual_ashrrev_i32 v27, 31, v26
	;; [unrolled: 1-line block ×9, first 2 shown]
	v_ashrrev_i32_e32 v59, 31, v58
	v_ashrrev_i32_e32 v63, 31, v62
	v_dual_ashrrev_i32 v67, 31, v66 :: v_dual_ashrrev_i32 v73, 31, v72
	v_dual_ashrrev_i32 v77, 31, v76 :: v_dual_ashrrev_i32 v71, 31, v70
	;; [unrolled: 1-line block ×4, first 2 shown]
	v_ashrrev_i32_e32 v83, 31, v82
	v_ashrrev_i32_e32 v87, 31, v86
	s_wait_loadcnt_dscnt 0xc02
	v_mul_f64_e32 v[4:5], v[126:127], v[10:11]
	v_mul_f64_e32 v[148:149], v[124:125], v[10:11]
	scratch_load_b128 v[10:13], off, off offset:224
	s_wait_loadcnt_dscnt 0xc01
	v_mul_f64_e32 v[150:151], v[132:133], v[90:91]
	v_mul_f64_e32 v[90:91], v[134:135], v[90:91]
	v_fma_f64 v[4:5], v[124:125], v[8:9], -v[4:5]
	v_fmac_f64_e32 v[148:149], v[126:127], v[8:9]
	ds_load_b128 v[124:127], v2 offset:672
	v_fmac_f64_e32 v[150:151], v[134:135], v[88:89]
	v_fma_f64 v[132:133], v[132:133], v[88:89], -v[90:91]
	scratch_load_b128 v[88:91], off, off offset:256
	s_wait_loadcnt_dscnt 0xc00
	v_mul_f64_e32 v[8:9], v[124:125], v[94:95]
	v_mul_f64_e32 v[94:95], v[126:127], v[94:95]
	v_add_f64_e32 v[4:5], 0, v[4:5]
	v_add_f64_e32 v[134:135], 0, v[148:149]
	s_wait_loadcnt 0xb
	v_mul_f64_e32 v[148:149], v[144:145], v[98:99]
	v_mul_f64_e32 v[98:99], v[146:147], v[98:99]
	v_fmac_f64_e32 v[8:9], v[126:127], v[92:93]
	v_fma_f64 v[152:153], v[124:125], v[92:93], -v[94:95]
	ds_load_b128 v[92:95], v2 offset:704
	scratch_load_b128 v[124:127], off, off offset:272
	v_add_f64_e32 v[4:5], v[4:5], v[132:133]
	v_add_f64_e32 v[150:151], v[134:135], v[150:151]
	ds_load_b128 v[132:135], v2 offset:720
	v_fmac_f64_e32 v[148:149], v[146:147], v[96:97]
	v_fma_f64 v[144:145], v[144:145], v[96:97], -v[98:99]
	scratch_load_b128 v[96:99], off, off offset:288
	s_wait_loadcnt_dscnt 0xc01
	v_mul_f64_e32 v[154:155], v[92:93], v[102:103]
	v_mul_f64_e32 v[102:103], v[94:95], v[102:103]
	v_add_f64_e32 v[4:5], v[4:5], v[152:153]
	v_add_f64_e32 v[8:9], v[150:151], v[8:9]
	s_wait_loadcnt_dscnt 0xb00
	v_mul_f64_e32 v[150:151], v[132:133], v[106:107]
	v_mul_f64_e32 v[106:107], v[134:135], v[106:107]
	v_fmac_f64_e32 v[154:155], v[94:95], v[100:101]
	v_fma_f64 v[152:153], v[92:93], v[100:101], -v[102:103]
	ds_load_b128 v[92:95], v2 offset:736
	scratch_load_b128 v[100:103], off, off offset:304
	v_add_f64_e32 v[4:5], v[4:5], v[144:145]
	v_add_f64_e32 v[8:9], v[8:9], v[148:149]
	ds_load_b128 v[144:147], v2 offset:752
	s_wait_loadcnt_dscnt 0xb01
	v_mul_f64_e32 v[148:149], v[92:93], v[110:111]
	v_mul_f64_e32 v[110:111], v[94:95], v[110:111]
	v_fmac_f64_e32 v[150:151], v[134:135], v[104:105]
	v_fma_f64 v[132:133], v[132:133], v[104:105], -v[106:107]
	scratch_load_b128 v[104:107], off, off offset:320
	v_add_f64_e32 v[4:5], v[4:5], v[152:153]
	v_add_f64_e32 v[8:9], v[8:9], v[154:155]
	s_wait_loadcnt_dscnt 0xb00
	v_mul_f64_e32 v[152:153], v[144:145], v[114:115]
	v_mul_f64_e32 v[114:115], v[146:147], v[114:115]
	v_fmac_f64_e32 v[148:149], v[94:95], v[108:109]
	v_fma_f64 v[154:155], v[92:93], v[108:109], -v[110:111]
	ds_load_b128 v[92:95], v2 offset:768
	scratch_load_b128 v[108:111], off, off offset:336
	v_add_f64_e32 v[4:5], v[4:5], v[132:133]
	v_add_f64_e32 v[8:9], v[8:9], v[150:151]
	ds_load_b128 v[132:135], v2 offset:784
	s_wait_loadcnt_dscnt 0xb01
	v_mul_f64_e32 v[150:151], v[92:93], v[118:119]
	v_mul_f64_e32 v[118:119], v[94:95], v[118:119]
	v_fmac_f64_e32 v[152:153], v[146:147], v[112:113]
	v_fma_f64 v[144:145], v[144:145], v[112:113], -v[114:115]
	scratch_load_b128 v[112:115], off, off offset:352
	;; [unrolled: 18-line block ×3, first 2 shown]
	v_add_f64_e32 v[4:5], v[4:5], v[154:155]
	v_add_f64_e32 v[8:9], v[8:9], v[150:151]
	s_wait_loadcnt_dscnt 0x900
	v_mul_f64_e32 v[150:151], v[144:145], v[12:13]
	v_mul_f64_e32 v[12:13], v[146:147], v[12:13]
	v_fmac_f64_e32 v[152:153], v[94:95], v[128:129]
	v_fma_f64 v[154:155], v[92:93], v[128:129], -v[130:131]
	ds_load_b128 v[92:95], v2 offset:832
	scratch_load_b128 v[128:131], off, off offset:400
	v_add_f64_e32 v[4:5], v[4:5], v[132:133]
	v_add_f64_e32 v[8:9], v[8:9], v[148:149]
	ds_load_b128 v[132:135], v2 offset:848
	s_wait_dscnt 0x1
	v_mul_f64_e32 v[148:149], v[92:93], v[142:143]
	v_mul_f64_e32 v[142:143], v[94:95], v[142:143]
	v_fmac_f64_e32 v[150:151], v[146:147], v[10:11]
	v_fma_f64 v[12:13], v[144:145], v[10:11], -v[12:13]
	v_add_f64_e32 v[4:5], v[4:5], v[154:155]
	v_add_f64_e32 v[144:145], v[8:9], v[152:153]
	scratch_load_b128 v[8:11], off, off offset:416
	s_wait_loadcnt_dscnt 0xa00
	v_mul_f64_e32 v[152:153], v[132:133], v[90:91]
	v_mul_f64_e32 v[154:155], v[134:135], v[90:91]
	v_fmac_f64_e32 v[148:149], v[94:95], v[140:141]
	v_fma_f64 v[94:95], v[92:93], v[140:141], -v[142:143]
	ds_load_b128 v[90:93], v2 offset:864
	scratch_load_b128 v[140:143], off, off offset:432
	v_add_f64_e32 v[4:5], v[4:5], v[12:13]
	v_add_f64_e32 v[12:13], v[144:145], v[150:151]
	ds_load_b128 v[144:147], v2 offset:880
	s_wait_loadcnt_dscnt 0xa01
	v_mul_f64_e32 v[150:151], v[90:91], v[126:127]
	v_mul_f64_e32 v[126:127], v[92:93], v[126:127]
	v_fmac_f64_e32 v[152:153], v[134:135], v[88:89]
	v_fma_f64 v[88:89], v[132:133], v[88:89], -v[154:155]
	scratch_load_b128 v[132:135], off, off offset:448
	v_add_f64_e32 v[4:5], v[4:5], v[94:95]
	v_add_f64_e32 v[12:13], v[12:13], v[148:149]
	s_wait_loadcnt_dscnt 0xa00
	v_mul_f64_e32 v[148:149], v[144:145], v[98:99]
	v_mul_f64_e32 v[98:99], v[146:147], v[98:99]
	v_fmac_f64_e32 v[150:151], v[92:93], v[124:125]
	v_fma_f64 v[154:155], v[90:91], v[124:125], -v[126:127]
	scratch_load_b128 v[92:95], off, off offset:464
	ds_load_b128 v[124:127], v2 offset:912
	v_add_f64_e32 v[4:5], v[4:5], v[88:89]
	v_add_f64_e32 v[12:13], v[12:13], v[152:153]
	ds_load_b128 v[88:91], v2 offset:896
	v_fmac_f64_e32 v[148:149], v[146:147], v[96:97]
	v_fma_f64 v[144:145], v[144:145], v[96:97], -v[98:99]
	scratch_load_b128 v[96:99], off, off offset:480
	s_wait_loadcnt_dscnt 0xb00
	v_mul_f64_e32 v[152:153], v[88:89], v[102:103]
	v_mul_f64_e32 v[102:103], v[90:91], v[102:103]
	v_add_f64_e32 v[4:5], v[4:5], v[154:155]
	v_add_f64_e32 v[12:13], v[12:13], v[150:151]
	s_wait_loadcnt 0xa
	v_mul_f64_e32 v[150:151], v[124:125], v[106:107]
	v_mul_f64_e32 v[106:107], v[126:127], v[106:107]
	v_fmac_f64_e32 v[152:153], v[90:91], v[100:101]
	v_fma_f64 v[154:155], v[88:89], v[100:101], -v[102:103]
	ds_load_b128 v[88:91], v2 offset:928
	scratch_load_b128 v[100:103], off, off offset:496
	v_add_f64_e32 v[4:5], v[4:5], v[144:145]
	v_add_f64_e32 v[12:13], v[12:13], v[148:149]
	ds_load_b128 v[144:147], v2 offset:944
	v_fmac_f64_e32 v[150:151], v[126:127], v[104:105]
	v_fma_f64 v[124:125], v[124:125], v[104:105], -v[106:107]
	scratch_load_b128 v[104:107], off, off offset:512
	s_wait_loadcnt_dscnt 0xb01
	v_mul_f64_e32 v[148:149], v[88:89], v[110:111]
	v_mul_f64_e32 v[110:111], v[90:91], v[110:111]
	v_add_f64_e32 v[4:5], v[4:5], v[154:155]
	v_add_f64_e32 v[12:13], v[12:13], v[152:153]
	s_wait_loadcnt_dscnt 0xa00
	v_mul_f64_e32 v[152:153], v[144:145], v[114:115]
	v_mul_f64_e32 v[114:115], v[146:147], v[114:115]
	v_fmac_f64_e32 v[148:149], v[90:91], v[108:109]
	v_fma_f64 v[154:155], v[88:89], v[108:109], -v[110:111]
	ds_load_b128 v[88:91], v2 offset:960
	scratch_load_b128 v[108:111], off, off offset:528
	v_add_f64_e32 v[4:5], v[4:5], v[124:125]
	v_add_f64_e32 v[12:13], v[12:13], v[150:151]
	ds_load_b128 v[124:127], v2 offset:976
	s_wait_loadcnt_dscnt 0xa01
	v_mul_f64_e32 v[150:151], v[88:89], v[118:119]
	v_mul_f64_e32 v[118:119], v[90:91], v[118:119]
	v_fmac_f64_e32 v[152:153], v[146:147], v[112:113]
	v_fma_f64 v[144:145], v[144:145], v[112:113], -v[114:115]
	scratch_load_b128 v[112:115], off, off offset:544
	v_add_f64_e32 v[4:5], v[4:5], v[154:155]
	v_add_f64_e32 v[12:13], v[12:13], v[148:149]
	s_wait_loadcnt_dscnt 0xa00
	v_mul_f64_e32 v[148:149], v[124:125], v[122:123]
	v_mul_f64_e32 v[122:123], v[126:127], v[122:123]
	v_fmac_f64_e32 v[150:151], v[90:91], v[116:117]
	v_fma_f64 v[154:155], v[88:89], v[116:117], -v[118:119]
	ds_load_b128 v[88:91], v2 offset:992
	scratch_load_b128 v[116:119], off, off offset:560
	v_add_f64_e32 v[4:5], v[4:5], v[144:145]
	v_add_f64_e32 v[12:13], v[12:13], v[152:153]
	ds_load_b128 v[144:147], v2 offset:1008
	s_wait_loadcnt_dscnt 0xa01
	v_mul_f64_e32 v[152:153], v[88:89], v[130:131]
	v_mul_f64_e32 v[130:131], v[90:91], v[130:131]
	v_fmac_f64_e32 v[148:149], v[126:127], v[120:121]
	v_fma_f64 v[124:125], v[124:125], v[120:121], -v[122:123]
	scratch_load_b128 v[120:123], off, off offset:576
	v_add_f64_e32 v[4:5], v[4:5], v[154:155]
	v_add_f64_e32 v[12:13], v[12:13], v[150:151]
	s_wait_loadcnt_dscnt 0xa00
	v_mul_f64_e32 v[126:127], v[144:145], v[10:11]
	v_mul_f64_e32 v[150:151], v[146:147], v[10:11]
	v_fmac_f64_e32 v[152:153], v[90:91], v[128:129]
	v_fma_f64 v[128:129], v[88:89], v[128:129], -v[130:131]
	v_add_f64_e32 v[4:5], v[4:5], v[124:125]
	v_add_f64_e32 v[124:125], v[12:13], v[148:149]
	ds_load_b128 v[10:13], v2 offset:1024
	ds_load_b128 v[88:91], v2 offset:1040
	v_fmac_f64_e32 v[126:127], v[146:147], v[8:9]
	v_fma_f64 v[8:9], v[144:145], v[8:9], -v[150:151]
	s_wait_loadcnt_dscnt 0x901
	v_mul_f64_e32 v[130:131], v[10:11], v[142:143]
	v_mul_f64_e32 v[142:143], v[12:13], v[142:143]
	v_add_f64_e32 v[4:5], v[4:5], v[128:129]
	v_add_f64_e32 v[124:125], v[124:125], v[152:153]
	s_wait_loadcnt_dscnt 0x800
	v_mul_f64_e32 v[128:129], v[88:89], v[134:135]
	v_mul_f64_e32 v[134:135], v[90:91], v[134:135]
	v_fmac_f64_e32 v[130:131], v[12:13], v[140:141]
	v_fma_f64 v[12:13], v[10:11], v[140:141], -v[142:143]
	v_add_f64_e32 v[4:5], v[4:5], v[8:9]
	v_add_f64_e32 v[140:141], v[124:125], v[126:127]
	ds_load_b128 v[8:11], v2 offset:1056
	ds_load_b128 v[124:127], v2 offset:1072
	v_fmac_f64_e32 v[128:129], v[90:91], v[132:133]
	v_fma_f64 v[88:89], v[88:89], v[132:133], -v[134:135]
	s_wait_loadcnt_dscnt 0x701
	v_mul_f64_e32 v[142:143], v[8:9], v[94:95]
	v_mul_f64_e32 v[94:95], v[10:11], v[94:95]
	;; [unrolled: 16-line block ×3, first 2 shown]
	s_wait_loadcnt_dscnt 0x400
	v_mul_f64_e32 v[98:99], v[88:89], v[106:107]
	v_mul_f64_e32 v[102:103], v[90:91], v[106:107]
	v_add_f64_e32 v[4:5], v[4:5], v[92:93]
	v_add_f64_e32 v[12:13], v[12:13], v[142:143]
	v_fmac_f64_e32 v[128:129], v[10:11], v[100:101]
	v_fma_f64 v[100:101], v[8:9], v[100:101], -v[94:95]
	ds_load_b128 v[8:11], v2 offset:1120
	ds_load_b128 v[92:95], v2 offset:1136
	v_fmac_f64_e32 v[98:99], v[90:91], v[104:105]
	v_fma_f64 v[88:89], v[88:89], v[104:105], -v[102:103]
	v_add_f64_e32 v[4:5], v[4:5], v[96:97]
	v_add_f64_e32 v[12:13], v[12:13], v[130:131]
	s_wait_loadcnt_dscnt 0x301
	v_mul_f64_e32 v[96:97], v[8:9], v[110:111]
	v_mul_f64_e32 v[106:107], v[10:11], v[110:111]
	s_wait_loadcnt_dscnt 0x200
	v_mul_f64_e32 v[90:91], v[92:93], v[114:115]
	v_add_f64_e32 v[4:5], v[4:5], v[100:101]
	v_add_f64_e32 v[12:13], v[12:13], v[128:129]
	v_mul_f64_e32 v[100:101], v[94:95], v[114:115]
	v_fmac_f64_e32 v[96:97], v[10:11], v[108:109]
	v_fma_f64 v[102:103], v[8:9], v[108:109], -v[106:107]
	v_fmac_f64_e32 v[90:91], v[94:95], v[112:113]
	v_add_f64_e32 v[88:89], v[4:5], v[88:89]
	v_add_f64_e32 v[12:13], v[12:13], v[98:99]
	ds_load_b128 v[8:11], v2 offset:1152
	ds_load_b128 v[2:5], v2 offset:1168
	v_fma_f64 v[92:93], v[92:93], v[112:113], -v[100:101]
	s_wait_loadcnt_dscnt 0x101
	v_mul_f64_e32 v[98:99], v[8:9], v[118:119]
	v_mul_f64_e32 v[104:105], v[10:11], v[118:119]
	s_wait_loadcnt_dscnt 0x0
	v_mul_f64_e32 v[94:95], v[2:3], v[122:123]
	v_add_f64_e32 v[88:89], v[88:89], v[102:103]
	v_add_f64_e32 v[12:13], v[12:13], v[96:97]
	v_mul_f64_e32 v[96:97], v[4:5], v[122:123]
	v_fmac_f64_e32 v[98:99], v[10:11], v[116:117]
	v_fma_f64 v[8:9], v[8:9], v[116:117], -v[104:105]
	v_fmac_f64_e32 v[94:95], v[4:5], v[120:121]
	v_add_f64_e32 v[10:11], v[88:89], v[92:93]
	v_add_f64_e32 v[12:13], v[12:13], v[90:91]
	v_fma_f64 v[2:3], v[2:3], v[120:121], -v[96:97]
	s_delay_alu instid0(VALU_DEP_3) | instskip(NEXT) | instid1(VALU_DEP_3)
	v_add_f64_e32 v[4:5], v[10:11], v[8:9]
	v_add_f64_e32 v[8:9], v[12:13], v[98:99]
	s_delay_alu instid0(VALU_DEP_2) | instskip(NEXT) | instid1(VALU_DEP_2)
	v_add_f64_e32 v[2:3], v[4:5], v[2:3]
	v_add_f64_e32 v[4:5], v[8:9], v[94:95]
	s_delay_alu instid0(VALU_DEP_2) | instskip(NEXT) | instid1(VALU_DEP_2)
	v_add_f64_e64 v[2:3], v[136:137], -v[2:3]
	v_add_f64_e64 v[4:5], v[138:139], -v[4:5]
	scratch_store_b128 off, v[2:5], off offset:32
	s_wait_xcnt 0x0
	v_cmpx_lt_u32_e32 1, v1
	s_cbranch_execz .LBB36_233
; %bb.232:
	scratch_load_b128 v[2:5], off, s31
	v_mov_b32_e32 v8, 0
	s_delay_alu instid0(VALU_DEP_1)
	v_dual_mov_b32 v9, v8 :: v_dual_mov_b32 v10, v8
	v_mov_b32_e32 v11, v8
	scratch_store_b128 off, v[8:11], off offset:16
	s_wait_loadcnt 0x0
	ds_store_b128 v6, v[2:5]
.LBB36_233:
	s_wait_xcnt 0x0
	s_or_b32 exec_lo, exec_lo, s2
	s_wait_storecnt_dscnt 0x0
	s_barrier_signal -1
	s_barrier_wait -1
	s_clause 0x9
	scratch_load_b128 v[8:11], off, off offset:32
	scratch_load_b128 v[88:91], off, off offset:48
	;; [unrolled: 1-line block ×10, first 2 shown]
	v_mov_b32_e32 v2, 0
	s_mov_b32 s2, exec_lo
	ds_load_b128 v[124:127], v2 offset:624
	s_clause 0x2
	scratch_load_b128 v[128:131], off, off offset:192
	scratch_load_b128 v[132:135], off, off offset:16
	;; [unrolled: 1-line block ×3, first 2 shown]
	s_wait_loadcnt_dscnt 0xc00
	v_mul_f64_e32 v[4:5], v[126:127], v[10:11]
	v_mul_f64_e32 v[148:149], v[124:125], v[10:11]
	ds_load_b128 v[136:139], v2 offset:640
	scratch_load_b128 v[10:13], off, off offset:208
	ds_load_b128 v[144:147], v2 offset:672
	v_fma_f64 v[4:5], v[124:125], v[8:9], -v[4:5]
	v_fmac_f64_e32 v[148:149], v[126:127], v[8:9]
	ds_load_b128 v[124:127], v2 offset:656
	s_wait_loadcnt_dscnt 0xc02
	v_mul_f64_e32 v[150:151], v[136:137], v[90:91]
	v_mul_f64_e32 v[90:91], v[138:139], v[90:91]
	s_wait_loadcnt_dscnt 0xb00
	v_mul_f64_e32 v[8:9], v[124:125], v[94:95]
	v_mul_f64_e32 v[94:95], v[126:127], v[94:95]
	v_add_f64_e32 v[4:5], 0, v[4:5]
	v_fmac_f64_e32 v[150:151], v[138:139], v[88:89]
	v_fma_f64 v[136:137], v[136:137], v[88:89], -v[90:91]
	v_add_f64_e32 v[138:139], 0, v[148:149]
	scratch_load_b128 v[88:91], off, off offset:240
	v_fmac_f64_e32 v[8:9], v[126:127], v[92:93]
	v_fma_f64 v[152:153], v[124:125], v[92:93], -v[94:95]
	ds_load_b128 v[92:95], v2 offset:688
	s_wait_loadcnt 0xb
	v_mul_f64_e32 v[148:149], v[144:145], v[98:99]
	v_mul_f64_e32 v[98:99], v[146:147], v[98:99]
	scratch_load_b128 v[124:127], off, off offset:256
	v_add_f64_e32 v[4:5], v[4:5], v[136:137]
	v_add_f64_e32 v[150:151], v[138:139], v[150:151]
	ds_load_b128 v[136:139], v2 offset:704
	s_wait_loadcnt_dscnt 0xb01
	v_mul_f64_e32 v[154:155], v[92:93], v[102:103]
	v_mul_f64_e32 v[102:103], v[94:95], v[102:103]
	v_fmac_f64_e32 v[148:149], v[146:147], v[96:97]
	v_fma_f64 v[144:145], v[144:145], v[96:97], -v[98:99]
	scratch_load_b128 v[96:99], off, off offset:272
	v_add_f64_e32 v[4:5], v[4:5], v[152:153]
	v_add_f64_e32 v[8:9], v[150:151], v[8:9]
	v_fmac_f64_e32 v[154:155], v[94:95], v[100:101]
	v_fma_f64 v[152:153], v[92:93], v[100:101], -v[102:103]
	ds_load_b128 v[92:95], v2 offset:720
	s_wait_loadcnt_dscnt 0xb01
	v_mul_f64_e32 v[150:151], v[136:137], v[106:107]
	v_mul_f64_e32 v[106:107], v[138:139], v[106:107]
	scratch_load_b128 v[100:103], off, off offset:288
	v_add_f64_e32 v[4:5], v[4:5], v[144:145]
	v_add_f64_e32 v[8:9], v[8:9], v[148:149]
	s_wait_loadcnt_dscnt 0xb00
	v_mul_f64_e32 v[148:149], v[92:93], v[110:111]
	v_mul_f64_e32 v[110:111], v[94:95], v[110:111]
	ds_load_b128 v[144:147], v2 offset:736
	v_fmac_f64_e32 v[150:151], v[138:139], v[104:105]
	v_fma_f64 v[136:137], v[136:137], v[104:105], -v[106:107]
	scratch_load_b128 v[104:107], off, off offset:304
	v_add_f64_e32 v[4:5], v[4:5], v[152:153]
	v_add_f64_e32 v[8:9], v[8:9], v[154:155]
	v_fmac_f64_e32 v[148:149], v[94:95], v[108:109]
	v_fma_f64 v[154:155], v[92:93], v[108:109], -v[110:111]
	ds_load_b128 v[92:95], v2 offset:752
	s_wait_loadcnt_dscnt 0xb01
	v_mul_f64_e32 v[152:153], v[144:145], v[114:115]
	v_mul_f64_e32 v[114:115], v[146:147], v[114:115]
	scratch_load_b128 v[108:111], off, off offset:320
	v_add_f64_e32 v[4:5], v[4:5], v[136:137]
	v_add_f64_e32 v[8:9], v[8:9], v[150:151]
	s_wait_loadcnt_dscnt 0xb00
	v_mul_f64_e32 v[150:151], v[92:93], v[118:119]
	v_mul_f64_e32 v[118:119], v[94:95], v[118:119]
	ds_load_b128 v[136:139], v2 offset:768
	;; [unrolled: 18-line block ×3, first 2 shown]
	v_fmac_f64_e32 v[148:149], v[138:139], v[120:121]
	v_fma_f64 v[136:137], v[136:137], v[120:121], -v[122:123]
	scratch_load_b128 v[120:123], off, off offset:368
	v_add_f64_e32 v[4:5], v[4:5], v[154:155]
	v_add_f64_e32 v[8:9], v[8:9], v[150:151]
	v_fmac_f64_e32 v[152:153], v[94:95], v[128:129]
	v_fma_f64 v[154:155], v[92:93], v[128:129], -v[130:131]
	ds_load_b128 v[92:95], v2 offset:816
	s_wait_loadcnt_dscnt 0x901
	v_mul_f64_e32 v[150:151], v[144:145], v[12:13]
	v_mul_f64_e32 v[12:13], v[146:147], v[12:13]
	scratch_load_b128 v[128:131], off, off offset:384
	v_add_f64_e32 v[4:5], v[4:5], v[136:137]
	v_add_f64_e32 v[8:9], v[8:9], v[148:149]
	s_wait_dscnt 0x0
	v_mul_f64_e32 v[148:149], v[92:93], v[142:143]
	v_mul_f64_e32 v[142:143], v[94:95], v[142:143]
	ds_load_b128 v[136:139], v2 offset:832
	v_fmac_f64_e32 v[150:151], v[146:147], v[10:11]
	v_fma_f64 v[12:13], v[144:145], v[10:11], -v[12:13]
	v_add_f64_e32 v[4:5], v[4:5], v[154:155]
	v_add_f64_e32 v[144:145], v[8:9], v[152:153]
	scratch_load_b128 v[8:11], off, off offset:400
	v_fmac_f64_e32 v[148:149], v[94:95], v[140:141]
	v_fma_f64 v[94:95], v[92:93], v[140:141], -v[142:143]
	scratch_load_b128 v[140:143], off, off offset:416
	v_add_f64_e32 v[4:5], v[4:5], v[12:13]
	v_add_f64_e32 v[12:13], v[144:145], v[150:151]
	ds_load_b128 v[144:147], v2 offset:864
	s_wait_loadcnt_dscnt 0xb01
	v_mul_f64_e32 v[152:153], v[136:137], v[90:91]
	v_mul_f64_e32 v[154:155], v[138:139], v[90:91]
	ds_load_b128 v[90:93], v2 offset:848
	s_wait_loadcnt_dscnt 0xa00
	v_mul_f64_e32 v[150:151], v[90:91], v[126:127]
	v_mul_f64_e32 v[126:127], v[92:93], v[126:127]
	v_add_f64_e32 v[4:5], v[4:5], v[94:95]
	v_add_f64_e32 v[12:13], v[12:13], v[148:149]
	s_wait_loadcnt 0x9
	v_mul_f64_e32 v[148:149], v[144:145], v[98:99]
	v_fmac_f64_e32 v[152:153], v[138:139], v[88:89]
	v_fma_f64 v[88:89], v[136:137], v[88:89], -v[154:155]
	scratch_load_b128 v[136:139], off, off offset:432
	v_mul_f64_e32 v[98:99], v[146:147], v[98:99]
	v_fmac_f64_e32 v[150:151], v[92:93], v[124:125]
	v_fma_f64 v[154:155], v[90:91], v[124:125], -v[126:127]
	scratch_load_b128 v[92:95], off, off offset:448
	ds_load_b128 v[124:127], v2 offset:896
	v_fmac_f64_e32 v[148:149], v[146:147], v[96:97]
	v_add_f64_e32 v[12:13], v[12:13], v[152:153]
	v_add_f64_e32 v[4:5], v[4:5], v[88:89]
	ds_load_b128 v[88:91], v2 offset:880
	v_fma_f64 v[144:145], v[144:145], v[96:97], -v[98:99]
	scratch_load_b128 v[96:99], off, off offset:464
	s_wait_loadcnt_dscnt 0xb00
	v_mul_f64_e32 v[152:153], v[88:89], v[102:103]
	v_mul_f64_e32 v[102:103], v[90:91], v[102:103]
	v_add_f64_e32 v[12:13], v[12:13], v[150:151]
	v_add_f64_e32 v[4:5], v[4:5], v[154:155]
	s_wait_loadcnt 0xa
	v_mul_f64_e32 v[150:151], v[124:125], v[106:107]
	v_mul_f64_e32 v[106:107], v[126:127], v[106:107]
	v_fmac_f64_e32 v[152:153], v[90:91], v[100:101]
	v_fma_f64 v[154:155], v[88:89], v[100:101], -v[102:103]
	ds_load_b128 v[88:91], v2 offset:912
	scratch_load_b128 v[100:103], off, off offset:480
	v_add_f64_e32 v[12:13], v[12:13], v[148:149]
	v_add_f64_e32 v[4:5], v[4:5], v[144:145]
	ds_load_b128 v[144:147], v2 offset:928
	v_fmac_f64_e32 v[150:151], v[126:127], v[104:105]
	v_fma_f64 v[124:125], v[124:125], v[104:105], -v[106:107]
	scratch_load_b128 v[104:107], off, off offset:496
	s_wait_loadcnt_dscnt 0xb01
	v_mul_f64_e32 v[148:149], v[88:89], v[110:111]
	v_mul_f64_e32 v[110:111], v[90:91], v[110:111]
	v_add_f64_e32 v[12:13], v[12:13], v[152:153]
	v_add_f64_e32 v[4:5], v[4:5], v[154:155]
	s_wait_loadcnt_dscnt 0xa00
	v_mul_f64_e32 v[152:153], v[144:145], v[114:115]
	v_mul_f64_e32 v[114:115], v[146:147], v[114:115]
	v_fmac_f64_e32 v[148:149], v[90:91], v[108:109]
	v_fma_f64 v[154:155], v[88:89], v[108:109], -v[110:111]
	ds_load_b128 v[88:91], v2 offset:944
	scratch_load_b128 v[108:111], off, off offset:512
	v_add_f64_e32 v[12:13], v[12:13], v[150:151]
	v_add_f64_e32 v[4:5], v[4:5], v[124:125]
	ds_load_b128 v[124:127], v2 offset:960
	s_wait_loadcnt_dscnt 0xa01
	v_mul_f64_e32 v[150:151], v[88:89], v[118:119]
	v_mul_f64_e32 v[118:119], v[90:91], v[118:119]
	v_fmac_f64_e32 v[152:153], v[146:147], v[112:113]
	v_fma_f64 v[144:145], v[144:145], v[112:113], -v[114:115]
	scratch_load_b128 v[112:115], off, off offset:528
	v_add_f64_e32 v[12:13], v[12:13], v[148:149]
	v_add_f64_e32 v[4:5], v[4:5], v[154:155]
	s_wait_loadcnt_dscnt 0xa00
	v_mul_f64_e32 v[148:149], v[124:125], v[122:123]
	v_mul_f64_e32 v[122:123], v[126:127], v[122:123]
	v_fmac_f64_e32 v[150:151], v[90:91], v[116:117]
	v_fma_f64 v[154:155], v[88:89], v[116:117], -v[118:119]
	ds_load_b128 v[88:91], v2 offset:976
	scratch_load_b128 v[116:119], off, off offset:544
	v_add_f64_e32 v[12:13], v[12:13], v[152:153]
	v_add_f64_e32 v[4:5], v[4:5], v[144:145]
	ds_load_b128 v[144:147], v2 offset:992
	s_wait_loadcnt_dscnt 0xa01
	v_mul_f64_e32 v[152:153], v[88:89], v[130:131]
	v_mul_f64_e32 v[130:131], v[90:91], v[130:131]
	v_fmac_f64_e32 v[148:149], v[126:127], v[120:121]
	v_fma_f64 v[124:125], v[124:125], v[120:121], -v[122:123]
	scratch_load_b128 v[120:123], off, off offset:560
	v_add_f64_e32 v[12:13], v[12:13], v[150:151]
	v_add_f64_e32 v[4:5], v[4:5], v[154:155]
	s_wait_loadcnt_dscnt 0xa00
	v_mul_f64_e32 v[150:151], v[144:145], v[10:11]
	v_mul_f64_e32 v[154:155], v[146:147], v[10:11]
	v_fmac_f64_e32 v[152:153], v[90:91], v[128:129]
	v_fma_f64 v[128:129], v[88:89], v[128:129], -v[130:131]
	scratch_load_b128 v[88:91], off, off offset:576
	v_add_f64_e32 v[130:131], v[12:13], v[148:149]
	v_add_f64_e32 v[4:5], v[4:5], v[124:125]
	ds_load_b128 v[10:13], v2 offset:1008
	ds_load_b128 v[124:127], v2 offset:1024
	v_fmac_f64_e32 v[150:151], v[146:147], v[8:9]
	v_fma_f64 v[8:9], v[144:145], v[8:9], -v[154:155]
	s_wait_loadcnt_dscnt 0xa01
	v_mul_f64_e32 v[148:149], v[10:11], v[142:143]
	v_mul_f64_e32 v[142:143], v[12:13], v[142:143]
	v_add_f64_e32 v[4:5], v[4:5], v[128:129]
	v_add_f64_e32 v[128:129], v[130:131], v[152:153]
	s_wait_loadcnt_dscnt 0x900
	v_mul_f64_e32 v[144:145], v[124:125], v[138:139]
	v_mul_f64_e32 v[138:139], v[126:127], v[138:139]
	v_fmac_f64_e32 v[148:149], v[12:13], v[140:141]
	v_fma_f64 v[12:13], v[10:11], v[140:141], -v[142:143]
	v_add_f64_e32 v[4:5], v[4:5], v[8:9]
	v_add_f64_e32 v[140:141], v[128:129], v[150:151]
	ds_load_b128 v[8:11], v2 offset:1040
	ds_load_b128 v[128:131], v2 offset:1056
	v_fmac_f64_e32 v[144:145], v[126:127], v[136:137]
	v_fma_f64 v[124:125], v[124:125], v[136:137], -v[138:139]
	s_wait_loadcnt_dscnt 0x801
	v_mul_f64_e32 v[142:143], v[8:9], v[94:95]
	v_mul_f64_e32 v[94:95], v[10:11], v[94:95]
	s_wait_loadcnt_dscnt 0x700
	v_mul_f64_e32 v[126:127], v[128:129], v[98:99]
	v_mul_f64_e32 v[98:99], v[130:131], v[98:99]
	v_add_f64_e32 v[4:5], v[4:5], v[12:13]
	v_add_f64_e32 v[12:13], v[140:141], v[148:149]
	v_fmac_f64_e32 v[142:143], v[10:11], v[92:93]
	v_fma_f64 v[136:137], v[8:9], v[92:93], -v[94:95]
	ds_load_b128 v[8:11], v2 offset:1072
	ds_load_b128 v[92:95], v2 offset:1088
	v_fmac_f64_e32 v[126:127], v[130:131], v[96:97]
	v_fma_f64 v[96:97], v[128:129], v[96:97], -v[98:99]
	v_add_f64_e32 v[4:5], v[4:5], v[124:125]
	v_add_f64_e32 v[12:13], v[12:13], v[144:145]
	s_wait_loadcnt_dscnt 0x601
	v_mul_f64_e32 v[124:125], v[8:9], v[102:103]
	v_mul_f64_e32 v[102:103], v[10:11], v[102:103]
	s_wait_loadcnt_dscnt 0x500
	v_mul_f64_e32 v[128:129], v[92:93], v[106:107]
	v_mul_f64_e32 v[106:107], v[94:95], v[106:107]
	v_add_f64_e32 v[4:5], v[4:5], v[136:137]
	v_add_f64_e32 v[12:13], v[12:13], v[142:143]
	v_fmac_f64_e32 v[124:125], v[10:11], v[100:101]
	v_fma_f64 v[100:101], v[8:9], v[100:101], -v[102:103]
	v_fmac_f64_e32 v[128:129], v[94:95], v[104:105]
	v_fma_f64 v[92:93], v[92:93], v[104:105], -v[106:107]
	v_add_f64_e32 v[4:5], v[4:5], v[96:97]
	v_add_f64_e32 v[12:13], v[12:13], v[126:127]
	ds_load_b128 v[8:11], v2 offset:1104
	ds_load_b128 v[96:99], v2 offset:1120
	s_wait_loadcnt_dscnt 0x401
	v_mul_f64_e32 v[102:103], v[8:9], v[110:111]
	v_mul_f64_e32 v[110:111], v[10:11], v[110:111]
	s_wait_loadcnt_dscnt 0x300
	v_mul_f64_e32 v[104:105], v[98:99], v[114:115]
	v_add_f64_e32 v[4:5], v[4:5], v[100:101]
	v_add_f64_e32 v[12:13], v[12:13], v[124:125]
	v_mul_f64_e32 v[100:101], v[96:97], v[114:115]
	v_fmac_f64_e32 v[102:103], v[10:11], v[108:109]
	v_fma_f64 v[106:107], v[8:9], v[108:109], -v[110:111]
	v_fma_f64 v[96:97], v[96:97], v[112:113], -v[104:105]
	v_add_f64_e32 v[4:5], v[4:5], v[92:93]
	v_add_f64_e32 v[12:13], v[12:13], v[128:129]
	ds_load_b128 v[8:11], v2 offset:1136
	ds_load_b128 v[92:95], v2 offset:1152
	v_fmac_f64_e32 v[100:101], v[98:99], v[112:113]
	s_wait_loadcnt_dscnt 0x201
	v_mul_f64_e32 v[108:109], v[8:9], v[118:119]
	v_mul_f64_e32 v[110:111], v[10:11], v[118:119]
	s_wait_loadcnt_dscnt 0x100
	v_mul_f64_e32 v[98:99], v[92:93], v[122:123]
	v_add_f64_e32 v[4:5], v[4:5], v[106:107]
	v_add_f64_e32 v[12:13], v[12:13], v[102:103]
	v_mul_f64_e32 v[102:103], v[94:95], v[122:123]
	v_fmac_f64_e32 v[108:109], v[10:11], v[116:117]
	v_fma_f64 v[104:105], v[8:9], v[116:117], -v[110:111]
	ds_load_b128 v[8:11], v2 offset:1168
	v_fmac_f64_e32 v[98:99], v[94:95], v[120:121]
	v_add_f64_e32 v[4:5], v[4:5], v[96:97]
	v_add_f64_e32 v[12:13], v[12:13], v[100:101]
	v_fma_f64 v[92:93], v[92:93], v[120:121], -v[102:103]
	s_wait_loadcnt_dscnt 0x0
	v_mul_f64_e32 v[96:97], v[8:9], v[90:91]
	v_mul_f64_e32 v[90:91], v[10:11], v[90:91]
	v_add_f64_e32 v[4:5], v[4:5], v[104:105]
	v_add_f64_e32 v[12:13], v[12:13], v[108:109]
	s_delay_alu instid0(VALU_DEP_4) | instskip(NEXT) | instid1(VALU_DEP_4)
	v_fmac_f64_e32 v[96:97], v[10:11], v[88:89]
	v_fma_f64 v[8:9], v[8:9], v[88:89], -v[90:91]
	s_delay_alu instid0(VALU_DEP_4) | instskip(NEXT) | instid1(VALU_DEP_4)
	v_add_f64_e32 v[4:5], v[4:5], v[92:93]
	v_add_f64_e32 v[10:11], v[12:13], v[98:99]
	s_delay_alu instid0(VALU_DEP_2) | instskip(NEXT) | instid1(VALU_DEP_2)
	v_add_f64_e32 v[4:5], v[4:5], v[8:9]
	v_add_f64_e32 v[10:11], v[10:11], v[96:97]
	s_delay_alu instid0(VALU_DEP_2) | instskip(NEXT) | instid1(VALU_DEP_2)
	v_add_f64_e64 v[8:9], v[132:133], -v[4:5]
	v_add_f64_e64 v[10:11], v[134:135], -v[10:11]
	scratch_store_b128 off, v[8:11], off offset:16
	s_wait_xcnt 0x0
	v_cmpx_ne_u32_e32 0, v1
	s_cbranch_execz .LBB36_235
; %bb.234:
	scratch_load_b128 v[8:11], off, off
	v_dual_mov_b32 v3, v2 :: v_dual_mov_b32 v4, v2
	v_mov_b32_e32 v5, v2
	scratch_store_b128 off, v[2:5], off
	s_wait_loadcnt 0x0
	ds_store_b128 v6, v[8:11]
.LBB36_235:
	s_wait_xcnt 0x0
	s_or_b32 exec_lo, exec_lo, s2
	s_wait_storecnt_dscnt 0x0
	s_barrier_signal -1
	s_barrier_wait -1
	s_clause 0x9
	scratch_load_b128 v[4:7], off, off offset:16
	scratch_load_b128 v[8:11], off, off offset:32
	;; [unrolled: 1-line block ×10, first 2 shown]
	ds_load_b128 v[120:123], v2 offset:608
	ds_load_b128 v[128:131], v2 offset:624
	s_clause 0x2
	scratch_load_b128 v[124:127], off, off offset:176
	scratch_load_b128 v[132:135], off, off
	scratch_load_b128 v[136:139], off, off offset:192
	s_and_b32 vcc_lo, exec_lo, s49
	s_wait_loadcnt_dscnt 0xc01
	v_mul_f64_e32 v[12:13], v[122:123], v[6:7]
	v_mul_f64_e32 v[140:141], v[120:121], v[6:7]
	s_wait_loadcnt_dscnt 0xb00
	v_mul_f64_e32 v[142:143], v[128:129], v[10:11]
	v_mul_f64_e32 v[144:145], v[130:131], v[10:11]
	s_delay_alu instid0(VALU_DEP_4) | instskip(NEXT) | instid1(VALU_DEP_4)
	v_fma_f64 v[146:147], v[120:121], v[4:5], -v[12:13]
	v_fmac_f64_e32 v[140:141], v[122:123], v[4:5]
	ds_load_b128 v[4:7], v2 offset:640
	ds_load_b128 v[10:13], v2 offset:656
	scratch_load_b128 v[120:123], off, off offset:208
	v_fmac_f64_e32 v[142:143], v[130:131], v[8:9]
	v_fma_f64 v[8:9], v[128:129], v[8:9], -v[144:145]
	scratch_load_b128 v[128:131], off, off offset:224
	s_wait_loadcnt_dscnt 0xc01
	v_mul_f64_e32 v[148:149], v[4:5], v[90:91]
	v_mul_f64_e32 v[90:91], v[6:7], v[90:91]
	v_add_f64_e32 v[144:145], 0, v[146:147]
	v_add_f64_e32 v[140:141], 0, v[140:141]
	s_wait_loadcnt_dscnt 0xb00
	v_mul_f64_e32 v[146:147], v[10:11], v[94:95]
	v_mul_f64_e32 v[94:95], v[12:13], v[94:95]
	v_fmac_f64_e32 v[148:149], v[6:7], v[88:89]
	v_fma_f64 v[150:151], v[4:5], v[88:89], -v[90:91]
	ds_load_b128 v[4:7], v2 offset:672
	ds_load_b128 v[88:91], v2 offset:688
	v_add_f64_e32 v[8:9], v[144:145], v[8:9]
	v_add_f64_e32 v[144:145], v[140:141], v[142:143]
	scratch_load_b128 v[140:143], off, off offset:240
	v_fmac_f64_e32 v[146:147], v[12:13], v[92:93]
	v_fma_f64 v[12:13], v[10:11], v[92:93], -v[94:95]
	s_wait_loadcnt_dscnt 0xb01
	v_mul_f64_e32 v[152:153], v[4:5], v[98:99]
	v_mul_f64_e32 v[98:99], v[6:7], v[98:99]
	v_add_f64_e32 v[92:93], v[8:9], v[150:151]
	v_add_f64_e32 v[94:95], v[144:145], v[148:149]
	scratch_load_b128 v[8:11], off, off offset:256
	s_wait_loadcnt_dscnt 0xb00
	v_mul_f64_e32 v[144:145], v[88:89], v[102:103]
	v_mul_f64_e32 v[102:103], v[90:91], v[102:103]
	v_fmac_f64_e32 v[152:153], v[6:7], v[96:97]
	v_fma_f64 v[148:149], v[4:5], v[96:97], -v[98:99]
	v_add_f64_e32 v[12:13], v[92:93], v[12:13]
	v_add_f64_e32 v[146:147], v[94:95], v[146:147]
	ds_load_b128 v[4:7], v2 offset:704
	ds_load_b128 v[92:95], v2 offset:720
	scratch_load_b128 v[96:99], off, off offset:272
	v_fmac_f64_e32 v[144:145], v[90:91], v[100:101]
	v_fma_f64 v[100:101], v[88:89], v[100:101], -v[102:103]
	scratch_load_b128 v[88:91], off, off offset:288
	s_wait_loadcnt_dscnt 0xc01
	v_mul_f64_e32 v[150:151], v[4:5], v[106:107]
	v_mul_f64_e32 v[106:107], v[6:7], v[106:107]
	v_add_f64_e32 v[12:13], v[12:13], v[148:149]
	v_add_f64_e32 v[102:103], v[146:147], v[152:153]
	s_wait_loadcnt_dscnt 0xb00
	v_mul_f64_e32 v[146:147], v[92:93], v[110:111]
	v_mul_f64_e32 v[110:111], v[94:95], v[110:111]
	v_fmac_f64_e32 v[150:151], v[6:7], v[104:105]
	v_fma_f64 v[148:149], v[4:5], v[104:105], -v[106:107]
	v_add_f64_e32 v[12:13], v[12:13], v[100:101]
	v_add_f64_e32 v[144:145], v[102:103], v[144:145]
	ds_load_b128 v[4:7], v2 offset:736
	ds_load_b128 v[100:103], v2 offset:752
	scratch_load_b128 v[104:107], off, off offset:304
	v_fmac_f64_e32 v[146:147], v[94:95], v[108:109]
	v_fma_f64 v[108:109], v[92:93], v[108:109], -v[110:111]
	scratch_load_b128 v[92:95], off, off offset:320
	s_wait_loadcnt_dscnt 0xc01
	v_mul_f64_e32 v[152:153], v[4:5], v[114:115]
	v_mul_f64_e32 v[114:115], v[6:7], v[114:115]
	v_add_f64_e32 v[12:13], v[12:13], v[148:149]
	v_add_f64_e32 v[110:111], v[144:145], v[150:151]
	;; [unrolled: 18-line block ×4, first 2 shown]
	s_wait_loadcnt_dscnt 0xa00
	v_mul_f64_e32 v[144:145], v[116:117], v[130:131]
	v_mul_f64_e32 v[130:131], v[118:119], v[130:131]
	v_fmac_f64_e32 v[152:153], v[6:7], v[120:121]
	v_fma_f64 v[148:149], v[4:5], v[120:121], -v[122:123]
	ds_load_b128 v[4:7], v2 offset:832
	ds_load_b128 v[120:123], v2 offset:848
	v_add_f64_e32 v[12:13], v[12:13], v[136:137]
	v_add_f64_e32 v[146:147], v[138:139], v[146:147]
	scratch_load_b128 v[136:139], off, off offset:400
	v_fmac_f64_e32 v[144:145], v[118:119], v[128:129]
	v_fma_f64 v[128:129], v[116:117], v[128:129], -v[130:131]
	scratch_load_b128 v[116:119], off, off offset:416
	s_wait_loadcnt_dscnt 0xb01
	v_mul_f64_e32 v[150:151], v[4:5], v[142:143]
	v_mul_f64_e32 v[142:143], v[6:7], v[142:143]
	v_add_f64_e32 v[12:13], v[12:13], v[148:149]
	v_add_f64_e32 v[130:131], v[146:147], v[152:153]
	s_wait_loadcnt_dscnt 0xa00
	v_mul_f64_e32 v[146:147], v[120:121], v[10:11]
	v_mul_f64_e32 v[148:149], v[122:123], v[10:11]
	v_fmac_f64_e32 v[150:151], v[6:7], v[140:141]
	v_fma_f64 v[140:141], v[4:5], v[140:141], -v[142:143]
	v_add_f64_e32 v[142:143], v[12:13], v[128:129]
	v_add_f64_e32 v[144:145], v[130:131], v[144:145]
	ds_load_b128 v[4:7], v2 offset:864
	ds_load_b128 v[10:13], v2 offset:880
	scratch_load_b128 v[128:131], off, off offset:432
	v_fmac_f64_e32 v[146:147], v[122:123], v[8:9]
	v_fma_f64 v[8:9], v[120:121], v[8:9], -v[148:149]
	scratch_load_b128 v[120:123], off, off offset:448
	s_wait_loadcnt_dscnt 0xb01
	v_mul_f64_e32 v[152:153], v[4:5], v[98:99]
	v_mul_f64_e32 v[98:99], v[6:7], v[98:99]
	v_add_f64_e32 v[140:141], v[142:143], v[140:141]
	v_add_f64_e32 v[142:143], v[144:145], v[150:151]
	s_wait_loadcnt_dscnt 0xa00
	v_mul_f64_e32 v[144:145], v[10:11], v[90:91]
	v_mul_f64_e32 v[90:91], v[12:13], v[90:91]
	v_fmac_f64_e32 v[152:153], v[6:7], v[96:97]
	v_fma_f64 v[148:149], v[4:5], v[96:97], -v[98:99]
	ds_load_b128 v[4:7], v2 offset:896
	ds_load_b128 v[96:99], v2 offset:912
	v_add_f64_e32 v[8:9], v[140:141], v[8:9]
	v_add_f64_e32 v[146:147], v[142:143], v[146:147]
	scratch_load_b128 v[140:143], off, off offset:464
	v_fmac_f64_e32 v[144:145], v[12:13], v[88:89]
	v_fma_f64 v[12:13], v[10:11], v[88:89], -v[90:91]
	s_wait_loadcnt_dscnt 0xa01
	v_mul_f64_e32 v[150:151], v[4:5], v[106:107]
	v_mul_f64_e32 v[106:107], v[6:7], v[106:107]
	v_add_f64_e32 v[88:89], v[8:9], v[148:149]
	v_add_f64_e32 v[90:91], v[146:147], v[152:153]
	scratch_load_b128 v[8:11], off, off offset:480
	s_wait_loadcnt_dscnt 0xa00
	v_mul_f64_e32 v[146:147], v[96:97], v[94:95]
	v_mul_f64_e32 v[94:95], v[98:99], v[94:95]
	v_fmac_f64_e32 v[150:151], v[6:7], v[104:105]
	v_fma_f64 v[148:149], v[4:5], v[104:105], -v[106:107]
	v_add_f64_e32 v[12:13], v[88:89], v[12:13]
	v_add_f64_e32 v[144:145], v[90:91], v[144:145]
	ds_load_b128 v[4:7], v2 offset:928
	ds_load_b128 v[88:91], v2 offset:944
	scratch_load_b128 v[104:107], off, off offset:496
	v_fmac_f64_e32 v[146:147], v[98:99], v[92:93]
	v_fma_f64 v[96:97], v[96:97], v[92:93], -v[94:95]
	scratch_load_b128 v[92:95], off, off offset:512
	s_wait_loadcnt_dscnt 0xb01
	v_mul_f64_e32 v[152:153], v[4:5], v[114:115]
	v_mul_f64_e32 v[114:115], v[6:7], v[114:115]
	v_add_f64_e32 v[12:13], v[12:13], v[148:149]
	v_add_f64_e32 v[98:99], v[144:145], v[150:151]
	s_wait_loadcnt_dscnt 0xa00
	v_mul_f64_e32 v[144:145], v[88:89], v[102:103]
	v_mul_f64_e32 v[102:103], v[90:91], v[102:103]
	v_fmac_f64_e32 v[152:153], v[6:7], v[112:113]
	v_fma_f64 v[148:149], v[4:5], v[112:113], -v[114:115]
	v_add_f64_e32 v[12:13], v[12:13], v[96:97]
	v_add_f64_e32 v[146:147], v[98:99], v[146:147]
	ds_load_b128 v[4:7], v2 offset:960
	ds_load_b128 v[96:99], v2 offset:976
	scratch_load_b128 v[112:115], off, off offset:528
	v_fmac_f64_e32 v[144:145], v[90:91], v[100:101]
	v_fma_f64 v[100:101], v[88:89], v[100:101], -v[102:103]
	scratch_load_b128 v[88:91], off, off offset:544
	s_wait_loadcnt_dscnt 0xb01
	v_mul_f64_e32 v[150:151], v[4:5], v[126:127]
	v_mul_f64_e32 v[126:127], v[6:7], v[126:127]
	v_add_f64_e32 v[12:13], v[12:13], v[148:149]
	v_add_f64_e32 v[102:103], v[146:147], v[152:153]
	;; [unrolled: 18-line block ×3, first 2 shown]
	s_wait_loadcnt_dscnt 0xa00
	v_mul_f64_e32 v[144:145], v[100:101], v[118:119]
	v_mul_f64_e32 v[118:119], v[102:103], v[118:119]
	v_fmac_f64_e32 v[152:153], v[6:7], v[136:137]
	v_fma_f64 v[136:137], v[4:5], v[136:137], -v[138:139]
	v_add_f64_e32 v[12:13], v[12:13], v[108:109]
	v_add_f64_e32 v[138:139], v[110:111], v[146:147]
	ds_load_b128 v[4:7], v2 offset:1024
	ds_load_b128 v[108:111], v2 offset:1040
	v_fmac_f64_e32 v[144:145], v[102:103], v[116:117]
	v_fma_f64 v[100:101], v[100:101], v[116:117], -v[118:119]
	s_wait_loadcnt_dscnt 0x901
	v_mul_f64_e32 v[146:147], v[4:5], v[130:131]
	v_mul_f64_e32 v[130:131], v[6:7], v[130:131]
	s_wait_loadcnt_dscnt 0x800
	v_mul_f64_e32 v[116:117], v[108:109], v[122:123]
	v_mul_f64_e32 v[118:119], v[110:111], v[122:123]
	v_add_f64_e32 v[12:13], v[12:13], v[136:137]
	v_add_f64_e32 v[102:103], v[138:139], v[152:153]
	v_fmac_f64_e32 v[146:147], v[6:7], v[128:129]
	v_fma_f64 v[122:123], v[4:5], v[128:129], -v[130:131]
	v_fmac_f64_e32 v[116:117], v[110:111], v[120:121]
	v_fma_f64 v[108:109], v[108:109], v[120:121], -v[118:119]
	v_add_f64_e32 v[12:13], v[12:13], v[100:101]
	v_add_f64_e32 v[128:129], v[102:103], v[144:145]
	ds_load_b128 v[4:7], v2 offset:1056
	ds_load_b128 v[100:103], v2 offset:1072
	s_wait_loadcnt_dscnt 0x701
	v_mul_f64_e32 v[130:131], v[4:5], v[142:143]
	v_mul_f64_e32 v[136:137], v[6:7], v[142:143]
	v_add_f64_e32 v[12:13], v[12:13], v[122:123]
	v_add_f64_e32 v[110:111], v[128:129], v[146:147]
	s_wait_loadcnt_dscnt 0x600
	v_mul_f64_e32 v[118:119], v[100:101], v[10:11]
	v_mul_f64_e32 v[120:121], v[102:103], v[10:11]
	v_fmac_f64_e32 v[130:131], v[6:7], v[140:141]
	v_fma_f64 v[122:123], v[4:5], v[140:141], -v[136:137]
	v_add_f64_e32 v[108:109], v[12:13], v[108:109]
	v_add_f64_e32 v[110:111], v[110:111], v[116:117]
	ds_load_b128 v[4:7], v2 offset:1088
	ds_load_b128 v[10:13], v2 offset:1104
	v_fmac_f64_e32 v[118:119], v[102:103], v[8:9]
	v_fma_f64 v[8:9], v[100:101], v[8:9], -v[120:121]
	s_wait_loadcnt_dscnt 0x501
	v_mul_f64_e32 v[116:117], v[4:5], v[106:107]
	v_mul_f64_e32 v[106:107], v[6:7], v[106:107]
	v_add_f64_e32 v[100:101], v[108:109], v[122:123]
	v_add_f64_e32 v[102:103], v[110:111], v[130:131]
	s_wait_loadcnt_dscnt 0x400
	v_mul_f64_e32 v[108:109], v[10:11], v[94:95]
	v_mul_f64_e32 v[94:95], v[12:13], v[94:95]
	v_fmac_f64_e32 v[116:117], v[6:7], v[104:105]
	v_fma_f64 v[104:105], v[4:5], v[104:105], -v[106:107]
	v_add_f64_e32 v[8:9], v[100:101], v[8:9]
	v_add_f64_e32 v[106:107], v[102:103], v[118:119]
	ds_load_b128 v[4:7], v2 offset:1120
	ds_load_b128 v[100:103], v2 offset:1136
	v_fmac_f64_e32 v[108:109], v[12:13], v[92:93]
	v_fma_f64 v[10:11], v[10:11], v[92:93], -v[94:95]
	s_wait_loadcnt_dscnt 0x301
	v_mul_f64_e32 v[110:111], v[4:5], v[114:115]
	v_mul_f64_e32 v[114:115], v[6:7], v[114:115]
	s_wait_loadcnt_dscnt 0x200
	v_mul_f64_e32 v[92:93], v[100:101], v[90:91]
	v_mul_f64_e32 v[90:91], v[102:103], v[90:91]
	v_add_f64_e32 v[8:9], v[8:9], v[104:105]
	v_add_f64_e32 v[12:13], v[106:107], v[116:117]
	v_fmac_f64_e32 v[110:111], v[6:7], v[112:113]
	v_fma_f64 v[94:95], v[4:5], v[112:113], -v[114:115]
	v_fmac_f64_e32 v[92:93], v[102:103], v[88:89]
	v_fma_f64 v[88:89], v[100:101], v[88:89], -v[90:91]
	v_lshl_add_u64 v[100:101], v[20:21], 4, s[4:5]
	v_lshl_add_u64 v[102:103], v[22:23], 4, s[4:5]
	;; [unrolled: 1-line block ×6, first 2 shown]
	v_add_f64_e32 v[104:105], v[8:9], v[10:11]
	v_add_f64_e32 v[12:13], v[12:13], v[108:109]
	ds_load_b128 v[4:7], v2 offset:1152
	ds_load_b128 v[8:11], v2 offset:1168
	s_wait_loadcnt_dscnt 0x101
	v_mul_f64_e32 v[2:3], v[4:5], v[126:127]
	v_mul_f64_e32 v[106:107], v[6:7], v[126:127]
	v_add_f64_e32 v[90:91], v[104:105], v[94:95]
	v_add_f64_e32 v[12:13], v[12:13], v[110:111]
	s_wait_loadcnt_dscnt 0x0
	v_mul_f64_e32 v[94:95], v[8:9], v[98:99]
	v_mul_f64_e32 v[98:99], v[10:11], v[98:99]
	v_lshl_add_u64 v[104:105], v[18:19], 4, s[4:5]
	v_lshl_add_u64 v[18:19], v[48:49], 4, s[4:5]
	;; [unrolled: 1-line block ×3, first 2 shown]
	v_fmac_f64_e32 v[2:3], v[6:7], v[124:125]
	v_fma_f64 v[4:5], v[4:5], v[124:125], -v[106:107]
	v_add_f64_e32 v[6:7], v[90:91], v[88:89]
	v_add_f64_e32 v[12:13], v[12:13], v[92:93]
	v_fmac_f64_e32 v[94:95], v[10:11], v[96:97]
	v_fma_f64 v[8:9], v[8:9], v[96:97], -v[98:99]
	v_lshl_add_u64 v[98:99], v[24:25], 4, s[4:5]
	v_lshl_add_u64 v[92:93], v[26:27], 4, s[4:5]
	;; [unrolled: 1-line block ×14, first 2 shown]
	v_add_f64_e32 v[4:5], v[6:7], v[4:5]
	v_add_f64_e32 v[2:3], v[12:13], v[2:3]
	v_lshl_add_u64 v[6:7], v[40:41], 4, s[4:5]
	v_lshl_add_u64 v[12:13], v[46:47], 4, s[4:5]
	;; [unrolled: 1-line block ×4, first 2 shown]
	v_add_f64_e32 v[4:5], v[4:5], v[8:9]
	v_add_f64_e32 v[2:3], v[2:3], v[94:95]
	v_lshl_add_u64 v[94:95], v[28:29], 4, s[4:5]
	v_lshl_add_u64 v[8:9], v[42:43], 4, s[4:5]
	;; [unrolled: 1-line block ×4, first 2 shown]
	v_add_f64_e64 v[106:107], v[132:133], -v[4:5]
	v_add_f64_e64 v[108:109], v[134:135], -v[2:3]
	v_lshl_add_u64 v[2:3], v[36:37], 4, s[4:5]
	v_lshl_add_u64 v[4:5], v[38:39], 4, s[4:5]
	;; [unrolled: 1-line block ×4, first 2 shown]
	scratch_store_b128 off, v[106:109], off
	s_cbranch_vccz .LBB36_308
; %bb.236:
	v_mov_b32_e32 v58, 0
	s_load_b64 s[2:3], s[0:1], 0x4
	v_bfe_u32 v60, v0, 10, 10
	v_bfe_u32 v0, v0, 20, 10
	global_load_b32 v59, v58, s[16:17] offset:140
	s_wait_kmcnt 0x0
	s_lshr_b32 s0, s2, 16
	v_mul_u32_u24_e32 v60, s3, v60
	s_mul_i32 s0, s0, s3
	s_delay_alu instid0(SALU_CYCLE_1) | instskip(NEXT) | instid1(VALU_DEP_1)
	v_mul_u32_u24_e32 v1, s0, v1
	v_add3_u32 v0, v1, v60, v0
	s_delay_alu instid0(VALU_DEP_1)
	v_lshl_add_u32 v0, v0, 4, 0x4a8
	s_wait_loadcnt 0x0
	v_cmp_ne_u32_e32 vcc_lo, 36, v59
	s_cbranch_vccz .LBB36_238
; %bb.237:
	v_lshlrev_b32_e32 v1, 4, v59
	s_clause 0x1
	scratch_load_b128 v[60:63], off, s13
	scratch_load_b128 v[64:67], v1, off offset:-16
	s_wait_loadcnt 0x1
	ds_store_2addr_b64 v0, v[60:61], v[62:63] offset1:1
	s_wait_loadcnt 0x0
	s_clause 0x1
	scratch_store_b128 off, v[64:67], s13
	scratch_store_b128 v1, v[60:63], off offset:-16
.LBB36_238:
	global_load_b32 v1, v58, s[16:17] offset:136
	s_wait_loadcnt 0x0
	v_cmp_eq_u32_e32 vcc_lo, 35, v1
	s_cbranch_vccnz .LBB36_240
; %bb.239:
	v_lshlrev_b32_e32 v1, 4, v1
	s_clause 0x1
	scratch_load_b128 v[58:61], off, s21
	scratch_load_b128 v[62:65], v1, off offset:-16
	s_wait_loadcnt 0x1
	ds_store_2addr_b64 v0, v[58:59], v[60:61] offset1:1
	s_wait_loadcnt 0x0
	s_clause 0x1
	scratch_store_b128 off, v[62:65], s21
	scratch_store_b128 v1, v[58:61], off offset:-16
.LBB36_240:
	s_wait_xcnt 0x0
	v_mov_b32_e32 v1, 0
	global_load_b32 v58, v1, s[16:17] offset:132
	s_wait_loadcnt 0x0
	v_cmp_eq_u32_e32 vcc_lo, 34, v58
	s_cbranch_vccnz .LBB36_242
; %bb.241:
	v_lshlrev_b32_e32 v58, 4, v58
	s_delay_alu instid0(VALU_DEP_1)
	v_mov_b32_e32 v66, v58
	s_clause 0x1
	scratch_load_b128 v[58:61], off, s8
	scratch_load_b128 v[62:65], v66, off offset:-16
	s_wait_loadcnt 0x1
	ds_store_2addr_b64 v0, v[58:59], v[60:61] offset1:1
	s_wait_loadcnt 0x0
	s_clause 0x1
	scratch_store_b128 off, v[62:65], s8
	scratch_store_b128 v66, v[58:61], off offset:-16
.LBB36_242:
	global_load_b32 v1, v1, s[16:17] offset:128
	s_wait_loadcnt 0x0
	v_cmp_eq_u32_e32 vcc_lo, 33, v1
	s_cbranch_vccnz .LBB36_244
; %bb.243:
	s_wait_xcnt 0x0
	v_lshlrev_b32_e32 v1, 4, v1
	s_clause 0x1
	scratch_load_b128 v[58:61], off, s10
	scratch_load_b128 v[62:65], v1, off offset:-16
	s_wait_loadcnt 0x1
	ds_store_2addr_b64 v0, v[58:59], v[60:61] offset1:1
	s_wait_loadcnt 0x0
	s_clause 0x1
	scratch_store_b128 off, v[62:65], s10
	scratch_store_b128 v1, v[58:61], off offset:-16
.LBB36_244:
	s_wait_xcnt 0x0
	v_mov_b32_e32 v1, 0
	global_load_b32 v58, v1, s[16:17] offset:124
	s_wait_loadcnt 0x0
	v_cmp_eq_u32_e32 vcc_lo, 32, v58
	s_cbranch_vccnz .LBB36_246
; %bb.245:
	v_lshlrev_b32_e32 v58, 4, v58
	s_delay_alu instid0(VALU_DEP_1)
	v_mov_b32_e32 v66, v58
	s_clause 0x1
	scratch_load_b128 v[58:61], off, s9
	scratch_load_b128 v[62:65], v66, off offset:-16
	s_wait_loadcnt 0x1
	ds_store_2addr_b64 v0, v[58:59], v[60:61] offset1:1
	s_wait_loadcnt 0x0
	s_clause 0x1
	scratch_store_b128 off, v[62:65], s9
	scratch_store_b128 v66, v[58:61], off offset:-16
.LBB36_246:
	global_load_b32 v1, v1, s[16:17] offset:120
	s_wait_loadcnt 0x0
	v_cmp_eq_u32_e32 vcc_lo, 31, v1
	s_cbranch_vccnz .LBB36_248
; %bb.247:
	s_wait_xcnt 0x0
	v_lshlrev_b32_e32 v1, 4, v1
	s_clause 0x1
	scratch_load_b128 v[58:61], off, s12
	scratch_load_b128 v[62:65], v1, off offset:-16
	s_wait_loadcnt 0x1
	ds_store_2addr_b64 v0, v[58:59], v[60:61] offset1:1
	s_wait_loadcnt 0x0
	s_clause 0x1
	scratch_store_b128 off, v[62:65], s12
	scratch_store_b128 v1, v[58:61], off offset:-16
.LBB36_248:
	;; [unrolled: 37-line block ×16, first 2 shown]
	s_wait_xcnt 0x0
	v_mov_b32_e32 v1, 0
	global_load_b32 v58, v1, s[16:17] offset:4
	s_wait_loadcnt 0x0
	v_cmp_eq_u32_e32 vcc_lo, 2, v58
	s_cbranch_vccnz .LBB36_306
; %bb.305:
	v_lshlrev_b32_e32 v58, 4, v58
	s_delay_alu instid0(VALU_DEP_1)
	v_mov_b32_e32 v66, v58
	s_clause 0x1
	scratch_load_b128 v[58:61], off, s31
	scratch_load_b128 v[62:65], v66, off offset:-16
	s_wait_loadcnt 0x1
	ds_store_2addr_b64 v0, v[58:59], v[60:61] offset1:1
	s_wait_loadcnt 0x0
	s_clause 0x1
	scratch_store_b128 off, v[62:65], s31
	scratch_store_b128 v66, v[58:61], off offset:-16
.LBB36_306:
	global_load_b32 v1, v1, s[16:17]
	s_wait_loadcnt 0x0
	v_cmp_eq_u32_e32 vcc_lo, 1, v1
	s_cbranch_vccnz .LBB36_308
; %bb.307:
	s_wait_xcnt 0x0
	v_lshlrev_b32_e32 v1, 4, v1
	scratch_load_b128 v[58:61], off, off
	scratch_load_b128 v[62:65], v1, off offset:-16
	s_wait_loadcnt 0x1
	ds_store_2addr_b64 v0, v[58:59], v[60:61] offset1:1
	s_wait_loadcnt 0x0
	scratch_store_b128 off, v[62:65], off
	scratch_store_b128 v1, v[58:61], off offset:-16
.LBB36_308:
	scratch_load_b128 v[58:61], off, off
	s_clause 0x11
	scratch_load_b128 v[62:65], off, s31
	scratch_load_b128 v[66:69], off, s26
	;; [unrolled: 1-line block ×15, first 2 shown]
	; meta instruction
	; meta instruction
	;; [unrolled: 1-line block ×15, first 2 shown]
	scratch_load_b128 v[142:145], off, s35
	scratch_load_b128 v[146:149], off, s36
	;; [unrolled: 1-line block ×3, first 2 shown]
	s_wait_loadcnt 0x12
	global_store_b128 v[14:15], v[58:61], off
	s_clause 0x1
	scratch_load_b128 v[58:61], off, s33
	scratch_load_b128 v[154:157], off, s34
	s_wait_loadcnt 0x13
	global_store_b128 v[16:17], v[62:65], off
	s_clause 0x1
	scratch_load_b128 v[14:17], off, s27
	scratch_load_b128 v[62:65], off, s29
	s_wait_loadcnt 0x14
	global_store_b128 v[104:105], v[66:69], off
	s_clause 0x1
	scratch_load_b128 v[66:69], off, s24
	scratch_load_b128 v[158:161], off, s25
	s_wait_loadcnt 0x15
	global_store_b128 v[100:101], v[70:73], off
	s_wait_loadcnt 0x14
	global_store_b128 v[102:103], v[74:77], off
	s_clause 0x1
	scratch_load_b128 v[70:73], off, s22
	scratch_load_b128 v[74:77], off, s23
	s_wait_loadcnt 0x15
	global_store_b128 v[98:99], v[78:81], off
	s_clause 0x1
	scratch_load_b128 v[78:81], off, s14
	scratch_load_b128 v[98:101], off, s20
	s_wait_loadcnt 0x16
	global_store_b128 v[92:93], v[82:85], off
	s_clause 0x1
	scratch_load_b128 v[82:85], off, s11
	scratch_load_b128 v[102:105], off, s12
	s_wait_loadcnt 0x17
	global_store_b128 v[94:95], v[106:109], off
	s_wait_loadcnt 0x16
	global_store_b128 v[96:97], v[110:113], off
	s_clause 0x1
	scratch_load_b128 v[92:95], off, s9
	scratch_load_b128 v[106:109], off, s10
	s_wait_loadcnt 0x17
	global_store_b128 v[90:91], v[114:117], off
	s_clause 0x1
	scratch_load_b128 v[110:113], off, s8
	scratch_load_b128 v[114:117], off, s21
	s_wait_loadcnt 0x18
	global_store_b128 v[88:89], v[118:121], off
	s_clause 0x1
	scratch_load_b128 v[86:89], off, s13
	scratch_load_b128 v[118:121], off, s15
	s_wait_loadcnt 0x19
	global_store_b128 v[2:3], v[122:125], off
	s_wait_loadcnt 0x18
	global_store_b128 v[4:5], v[126:129], off
	s_wait_loadcnt 0x17
	global_store_b128 v[6:7], v[130:133], off
	;; [unrolled: 2-line block ×25, first 2 shown]
	s_sendmsg sendmsg(MSG_DEALLOC_VGPRS)
	s_endpgm
	.section	.rodata,"a",@progbits
	.p2align	6, 0x0
	.amdhsa_kernel _ZN9rocsolver6v33100L18getri_kernel_smallILi37E19rocblas_complex_numIdEPS3_EEvT1_iilPiilS6_bb
		.amdhsa_group_segment_fixed_size 2216
		.amdhsa_private_segment_fixed_size 608
		.amdhsa_kernarg_size 60
		.amdhsa_user_sgpr_count 4
		.amdhsa_user_sgpr_dispatch_ptr 1
		.amdhsa_user_sgpr_queue_ptr 0
		.amdhsa_user_sgpr_kernarg_segment_ptr 1
		.amdhsa_user_sgpr_dispatch_id 0
		.amdhsa_user_sgpr_kernarg_preload_length 0
		.amdhsa_user_sgpr_kernarg_preload_offset 0
		.amdhsa_user_sgpr_private_segment_size 0
		.amdhsa_wavefront_size32 1
		.amdhsa_uses_dynamic_stack 0
		.amdhsa_enable_private_segment 1
		.amdhsa_system_sgpr_workgroup_id_x 1
		.amdhsa_system_sgpr_workgroup_id_y 0
		.amdhsa_system_sgpr_workgroup_id_z 0
		.amdhsa_system_sgpr_workgroup_info 0
		.amdhsa_system_vgpr_workitem_id 2
		.amdhsa_next_free_vgpr 162
		.amdhsa_next_free_sgpr 65
		.amdhsa_named_barrier_count 0
		.amdhsa_reserve_vcc 1
		.amdhsa_float_round_mode_32 0
		.amdhsa_float_round_mode_16_64 0
		.amdhsa_float_denorm_mode_32 3
		.amdhsa_float_denorm_mode_16_64 3
		.amdhsa_fp16_overflow 0
		.amdhsa_memory_ordered 1
		.amdhsa_forward_progress 1
		.amdhsa_inst_pref_size 255
		.amdhsa_round_robin_scheduling 0
		.amdhsa_exception_fp_ieee_invalid_op 0
		.amdhsa_exception_fp_denorm_src 0
		.amdhsa_exception_fp_ieee_div_zero 0
		.amdhsa_exception_fp_ieee_overflow 0
		.amdhsa_exception_fp_ieee_underflow 0
		.amdhsa_exception_fp_ieee_inexact 0
		.amdhsa_exception_int_div_zero 0
	.end_amdhsa_kernel
	.section	.text._ZN9rocsolver6v33100L18getri_kernel_smallILi37E19rocblas_complex_numIdEPS3_EEvT1_iilPiilS6_bb,"axG",@progbits,_ZN9rocsolver6v33100L18getri_kernel_smallILi37E19rocblas_complex_numIdEPS3_EEvT1_iilPiilS6_bb,comdat
.Lfunc_end36:
	.size	_ZN9rocsolver6v33100L18getri_kernel_smallILi37E19rocblas_complex_numIdEPS3_EEvT1_iilPiilS6_bb, .Lfunc_end36-_ZN9rocsolver6v33100L18getri_kernel_smallILi37E19rocblas_complex_numIdEPS3_EEvT1_iilPiilS6_bb
                                        ; -- End function
	.set _ZN9rocsolver6v33100L18getri_kernel_smallILi37E19rocblas_complex_numIdEPS3_EEvT1_iilPiilS6_bb.num_vgpr, 162
	.set _ZN9rocsolver6v33100L18getri_kernel_smallILi37E19rocblas_complex_numIdEPS3_EEvT1_iilPiilS6_bb.num_agpr, 0
	.set _ZN9rocsolver6v33100L18getri_kernel_smallILi37E19rocblas_complex_numIdEPS3_EEvT1_iilPiilS6_bb.numbered_sgpr, 65
	.set _ZN9rocsolver6v33100L18getri_kernel_smallILi37E19rocblas_complex_numIdEPS3_EEvT1_iilPiilS6_bb.num_named_barrier, 0
	.set _ZN9rocsolver6v33100L18getri_kernel_smallILi37E19rocblas_complex_numIdEPS3_EEvT1_iilPiilS6_bb.private_seg_size, 608
	.set _ZN9rocsolver6v33100L18getri_kernel_smallILi37E19rocblas_complex_numIdEPS3_EEvT1_iilPiilS6_bb.uses_vcc, 1
	.set _ZN9rocsolver6v33100L18getri_kernel_smallILi37E19rocblas_complex_numIdEPS3_EEvT1_iilPiilS6_bb.uses_flat_scratch, 1
	.set _ZN9rocsolver6v33100L18getri_kernel_smallILi37E19rocblas_complex_numIdEPS3_EEvT1_iilPiilS6_bb.has_dyn_sized_stack, 0
	.set _ZN9rocsolver6v33100L18getri_kernel_smallILi37E19rocblas_complex_numIdEPS3_EEvT1_iilPiilS6_bb.has_recursion, 0
	.set _ZN9rocsolver6v33100L18getri_kernel_smallILi37E19rocblas_complex_numIdEPS3_EEvT1_iilPiilS6_bb.has_indirect_call, 0
	.section	.AMDGPU.csdata,"",@progbits
; Kernel info:
; codeLenInByte = 57796
; TotalNumSgprs: 67
; NumVgprs: 162
; ScratchSize: 608
; MemoryBound: 0
; FloatMode: 240
; IeeeMode: 1
; LDSByteSize: 2216 bytes/workgroup (compile time only)
; SGPRBlocks: 0
; VGPRBlocks: 10
; NumSGPRsForWavesPerEU: 67
; NumVGPRsForWavesPerEU: 162
; NamedBarCnt: 0
; Occupancy: 5
; WaveLimiterHint : 1
; COMPUTE_PGM_RSRC2:SCRATCH_EN: 1
; COMPUTE_PGM_RSRC2:USER_SGPR: 4
; COMPUTE_PGM_RSRC2:TRAP_HANDLER: 0
; COMPUTE_PGM_RSRC2:TGID_X_EN: 1
; COMPUTE_PGM_RSRC2:TGID_Y_EN: 0
; COMPUTE_PGM_RSRC2:TGID_Z_EN: 0
; COMPUTE_PGM_RSRC2:TIDIG_COMP_CNT: 2
	.section	.text._ZN9rocsolver6v33100L18getri_kernel_smallILi38E19rocblas_complex_numIdEPS3_EEvT1_iilPiilS6_bb,"axG",@progbits,_ZN9rocsolver6v33100L18getri_kernel_smallILi38E19rocblas_complex_numIdEPS3_EEvT1_iilPiilS6_bb,comdat
	.globl	_ZN9rocsolver6v33100L18getri_kernel_smallILi38E19rocblas_complex_numIdEPS3_EEvT1_iilPiilS6_bb ; -- Begin function _ZN9rocsolver6v33100L18getri_kernel_smallILi38E19rocblas_complex_numIdEPS3_EEvT1_iilPiilS6_bb
	.p2align	8
	.type	_ZN9rocsolver6v33100L18getri_kernel_smallILi38E19rocblas_complex_numIdEPS3_EEvT1_iilPiilS6_bb,@function
_ZN9rocsolver6v33100L18getri_kernel_smallILi38E19rocblas_complex_numIdEPS3_EEvT1_iilPiilS6_bb: ; @_ZN9rocsolver6v33100L18getri_kernel_smallILi38E19rocblas_complex_numIdEPS3_EEvT1_iilPiilS6_bb
; %bb.0:
	v_and_b32_e32 v1, 0x3ff, v0
	s_mov_b32 s4, exec_lo
	s_delay_alu instid0(VALU_DEP_1)
	v_cmpx_gt_u32_e32 38, v1
	s_cbranch_execz .LBB37_166
; %bb.1:
	s_clause 0x2
	s_load_b32 s8, s[2:3], 0x38
	s_load_b128 s[12:15], s[2:3], 0x10
	s_load_b128 s[4:7], s[2:3], 0x28
	s_getreg_b32 s11, hwreg(HW_REG_IB_STS2, 6, 4)
                                        ; implicit-def: $sgpr16_sgpr17
	s_wait_kmcnt 0x0
	s_bitcmp1_b32 s8, 8
	s_cselect_b32 s50, -1, 0
	s_bfe_u32 s9, ttmp6, 0x4000c
	s_and_b32 s10, ttmp6, 15
	s_add_co_i32 s9, s9, 1
	s_delay_alu instid0(SALU_CYCLE_1) | instskip(NEXT) | instid1(SALU_CYCLE_1)
	s_mul_i32 s9, ttmp9, s9
	s_add_co_i32 s10, s10, s9
	s_cmp_eq_u32 s11, 0
	s_cselect_b32 s18, ttmp9, s10
	s_bfe_u32 s8, s8, 0x10008
	s_ashr_i32 s19, s18, 31
	s_cmp_eq_u32 s8, 0
	s_cbranch_scc1 .LBB37_3
; %bb.2:
	s_load_b32 s8, s[2:3], 0x20
	s_mul_u64 s[4:5], s[4:5], s[18:19]
	s_delay_alu instid0(SALU_CYCLE_1) | instskip(NEXT) | instid1(SALU_CYCLE_1)
	s_lshl_b64 s[4:5], s[4:5], 2
	s_add_nc_u64 s[4:5], s[14:15], s[4:5]
	s_wait_kmcnt 0x0
	s_ashr_i32 s9, s8, 31
	s_delay_alu instid0(SALU_CYCLE_1) | instskip(NEXT) | instid1(SALU_CYCLE_1)
	s_lshl_b64 s[8:9], s[8:9], 2
	s_add_nc_u64 s[16:17], s[4:5], s[8:9]
.LBB37_3:
	s_clause 0x1
	s_load_b128 s[8:11], s[2:3], 0x0
	s_load_b32 s51, s[2:3], 0x38
	s_wait_xcnt 0x0
	s_mul_u64 s[2:3], s[12:13], s[18:19]
	s_movk_i32 s26, 0x150
	s_lshl_b64 s[2:3], s[2:3], 4
	s_movk_i32 s27, 0x160
	s_movk_i32 s34, 0x170
	;; [unrolled: 1-line block ×15, first 2 shown]
	s_wait_kmcnt 0x0
	v_add3_u32 v18, s11, s11, v1
	s_ashr_i32 s5, s10, 31
	s_mov_b32 s4, s10
	s_add_nc_u64 s[2:3], s[8:9], s[2:3]
	s_lshl_b64 s[4:5], s[4:5], 4
	v_add_nc_u32_e32 v20, s11, v18
	s_add_nc_u64 s[4:5], s[2:3], s[4:5]
	s_ashr_i32 s3, s11, 31
	s_mov_b32 s2, s11
	s_clause 0x1
	global_load_b128 v[2:5], v1, s[4:5] scale_offset
	global_load_b128 v[6:9], v18, s[4:5] scale_offset
	v_dual_add_nc_u32 v22, s11, v20 :: v_dual_lshlrev_b32 v90, 4, v1
	s_movk_i32 s65, 0x250
	s_mov_b32 s38, 16
	s_mov_b32 s35, 32
	s_delay_alu instid0(VALU_DEP_1) | instskip(SKIP_3) | instid1(VALU_DEP_1)
	v_dual_mov_b32 v91, 0 :: v_dual_add_nc_u32 v24, s11, v22
	s_mov_b32 s36, 48
	s_mov_b32 s37, 64
	s_movk_i32 s41, 0x50
	v_add_nc_u32_e32 v26, s11, v24
	v_add_nc_u64_e32 v[14:15], s[4:5], v[90:91]
	s_movk_i32 s43, 0x60
	s_movk_i32 s46, 0x70
	s_movk_i32 s39, 0x80
	v_add_nc_u32_e32 v28, s11, v26
	s_movk_i32 s40, 0x90
	s_movk_i32 s42, 0xa0
	v_lshl_add_u64 v[16:17], s[2:3], 4, v[14:15]
	s_movk_i32 s45, 0xb0
	v_add_nc_u32_e32 v30, s11, v28
	s_clause 0x4
	global_load_b128 v[10:13], v20, s[4:5] scale_offset
	global_load_b128 v[78:81], v22, s[4:5] scale_offset
	global_load_b128 v[82:85], v[16:17], off
	global_load_b128 v[86:89], v24, s[4:5] scale_offset
	global_load_b128 v[92:95], v26, s[4:5] scale_offset
	s_movk_i32 s47, 0xc0
	s_movk_i32 s48, 0xd0
	v_add_nc_u32_e32 v32, s11, v30
	s_movk_i32 s49, 0xe0
	s_movk_i32 s44, 0xf0
	s_movk_i32 s30, 0x100
	s_movk_i32 s31, 0x110
	v_add_nc_u32_e32 v34, s11, v32
	s_movk_i32 s33, 0x120
	s_movk_i32 s28, 0x130
	;; [unrolled: 1-line block ×3, first 2 shown]
	s_mov_b32 s24, s26
	v_add_nc_u32_e32 v36, s11, v34
	s_clause 0x1
	global_load_b128 v[96:99], v28, s[4:5] scale_offset
	global_load_b128 v[100:103], v30, s[4:5] scale_offset
	s_mov_b32 s26, s27
	s_mov_b32 s20, s34
	;; [unrolled: 1-line block ×3, first 2 shown]
	v_add_nc_u32_e32 v38, s11, v36
	s_clause 0x2
	global_load_b128 v[104:107], v32, s[4:5] scale_offset
	global_load_b128 v[108:111], v34, s[4:5] scale_offset
	;; [unrolled: 1-line block ×3, first 2 shown]
	s_mov_b32 s12, s53
	s_mov_b32 s14, s54
	s_mov_b32 s10, s55
	v_add_nc_u32_e32 v40, s11, v38
	s_mov_b32 s8, s57
	s_mov_b32 s9, s58
	s_mov_b32 s25, s59
	s_mov_b32 s27, s60
	v_add_nc_u32_e32 v42, s11, v40
	s_mov_b32 s21, s61
	;; [unrolled: 5-line block ×3, first 2 shown]
	s_bitcmp0_b32 s51, 0
	s_mov_b32 s3, -1
	s_delay_alu instid0(VALU_DEP_1) | instskip(SKIP_4) | instid1(VALU_DEP_1)
	v_add_nc_u32_e32 v46, s11, v44
	s_clause 0x1
	global_load_b128 v[116:119], v38, s[4:5] scale_offset
	global_load_b128 v[120:123], v40, s[4:5] scale_offset
	v_add_nc_u32_e32 v48, s11, v46
	v_add_nc_u32_e32 v50, s11, v48
	s_clause 0x4
	global_load_b128 v[124:127], v42, s[4:5] scale_offset
	global_load_b128 v[128:131], v44, s[4:5] scale_offset
	;; [unrolled: 1-line block ×5, first 2 shown]
	v_add_nc_u32_e32 v52, s11, v50
	s_delay_alu instid0(VALU_DEP_1) | instskip(NEXT) | instid1(VALU_DEP_1)
	v_add_nc_u32_e32 v54, s11, v52
	v_add_nc_u32_e32 v56, s11, v54
	s_delay_alu instid0(VALU_DEP_1) | instskip(NEXT) | instid1(VALU_DEP_1)
	v_add_nc_u32_e32 v58, s11, v56
	v_add_nc_u32_e32 v60, s11, v58
	s_delay_alu instid0(VALU_DEP_1)
	v_add_nc_u32_e32 v62, s11, v60
	s_clause 0x2
	global_load_b128 v[144:147], v52, s[4:5] scale_offset
	global_load_b128 v[148:151], v54, s[4:5] scale_offset
	;; [unrolled: 1-line block ×3, first 2 shown]
	s_wait_loadcnt 0x15
	scratch_store_b128 off, v[2:5], off
	s_wait_loadcnt 0x14
	scratch_store_b128 off, v[6:9], off offset:32
	v_add_nc_u32_e32 v64, s11, v62
	s_clause 0x1
	global_load_b128 v[2:5], v58, s[4:5] scale_offset
	global_load_b128 v[6:9], v60, s[4:5] scale_offset
	s_wait_loadcnt 0x15
	scratch_store_b128 off, v[10:13], off offset:48
	s_wait_loadcnt 0x14
	scratch_store_b128 off, v[78:81], off offset:64
	v_add_nc_u32_e32 v66, s11, v64
	s_delay_alu instid0(VALU_DEP_1) | instskip(NEXT) | instid1(VALU_DEP_1)
	v_add_nc_u32_e32 v68, s11, v66
	v_add_nc_u32_e32 v70, s11, v68
	s_clause 0x1
	global_load_b128 v[10:13], v62, s[4:5] scale_offset
	global_load_b128 v[156:159], v64, s[4:5] scale_offset
	s_wait_loadcnt 0x15
	scratch_store_b128 off, v[82:85], off offset:16
	s_wait_loadcnt 0x14
	scratch_store_b128 off, v[86:89], off offset:80
	;; [unrolled: 2-line block ×3, first 2 shown]
	v_add_nc_u32_e32 v72, s11, v70
	s_delay_alu instid0(VALU_DEP_1)
	v_add_nc_u32_e32 v74, s11, v72
	s_clause 0x1
	global_load_b128 v[92:95], v66, s[4:5] scale_offset
	global_load_b128 v[160:163], v68, s[4:5] scale_offset
	s_wait_loadcnt 0x14
	scratch_store_b128 off, v[96:99], off offset:112
	s_wait_loadcnt 0x13
	scratch_store_b128 off, v[100:103], off offset:128
	s_clause 0x1
	global_load_b128 v[96:99], v70, s[4:5] scale_offset
	global_load_b128 v[100:103], v72, s[4:5] scale_offset
	s_wait_loadcnt 0x14
	scratch_store_b128 off, v[104:107], off offset:144
	v_add_nc_u32_e32 v76, s11, v74
	s_wait_loadcnt 0x13
	scratch_store_b128 off, v[108:111], off offset:160
	s_wait_loadcnt 0x12
	scratch_store_b128 off, v[112:115], off offset:176
	v_add_nc_u32_e32 v78, s11, v76
	s_delay_alu instid0(VALU_DEP_1) | instskip(NEXT) | instid1(VALU_DEP_1)
	v_add_nc_u32_e32 v80, s11, v78
	v_add_nc_u32_e32 v82, s11, v80
	s_clause 0x1
	global_load_b128 v[104:107], v74, s[4:5] scale_offset
	global_load_b128 v[108:111], v76, s[4:5] scale_offset
	s_wait_loadcnt 0x13
	scratch_store_b128 off, v[116:119], off offset:192
	s_wait_loadcnt 0x12
	scratch_store_b128 off, v[120:123], off offset:208
	v_add_nc_u32_e32 v84, s11, v82
	s_delay_alu instid0(VALU_DEP_1)
	v_add_nc_u32_e32 v86, s11, v84
	s_clause 0x1
	global_load_b128 v[112:115], v78, s[4:5] scale_offset
	global_load_b128 v[116:119], v80, s[4:5] scale_offset
	s_wait_loadcnt 0x13
	scratch_store_b128 off, v[124:127], off offset:224
	s_wait_loadcnt 0x12
	scratch_store_b128 off, v[128:131], off offset:240
	s_clause 0x1
	global_load_b128 v[120:123], v82, s[4:5] scale_offset
	global_load_b128 v[124:127], v84, s[4:5] scale_offset
	s_wait_loadcnt 0x13
	scratch_store_b128 off, v[132:135], off offset:256
	v_add_nc_u32_e32 v88, s11, v86
	s_wait_loadcnt 0x12
	scratch_store_b128 off, v[136:139], off offset:272
	s_wait_loadcnt 0x11
	scratch_store_b128 off, v[140:143], off offset:288
	s_clause 0x1
	global_load_b128 v[128:131], v86, s[4:5] scale_offset
	global_load_b128 v[132:135], v88, s[4:5] scale_offset
	s_mov_b32 s11, s56
	s_wait_loadcnt 0x12
	scratch_store_b128 off, v[144:147], off offset:304
	s_wait_loadcnt 0x11
	scratch_store_b128 off, v[148:151], off offset:320
	;; [unrolled: 2-line block ×19, first 2 shown]
	s_cbranch_scc1 .LBB37_164
; %bb.4:
	v_cmp_eq_u32_e64 s2, 0, v1
	s_wait_xcnt 0x0
	s_and_saveexec_b32 s3, s2
; %bb.5:
	v_mov_b32_e32 v2, 0
	ds_store_b32 v2, v2 offset:1216
; %bb.6:
	s_or_b32 exec_lo, exec_lo, s3
	s_wait_storecnt_dscnt 0x0
	s_barrier_signal -1
	s_barrier_wait -1
	scratch_load_b128 v[2:5], v1, off scale_offset
	s_wait_loadcnt 0x0
	v_cmp_eq_f64_e32 vcc_lo, 0, v[2:3]
	v_cmp_eq_f64_e64 s3, 0, v[4:5]
	s_and_b32 s3, vcc_lo, s3
	s_delay_alu instid0(SALU_CYCLE_1)
	s_and_saveexec_b32 s51, s3
	s_cbranch_execz .LBB37_10
; %bb.7:
	v_mov_b32_e32 v2, 0
	s_mov_b32 s52, 0
	ds_load_b32 v3, v2 offset:1216
	s_wait_dscnt 0x0
	v_readfirstlane_b32 s3, v3
	v_add_nc_u32_e32 v3, 1, v1
	s_cmp_eq_u32 s3, 0
	s_delay_alu instid0(VALU_DEP_1) | instskip(SKIP_1) | instid1(SALU_CYCLE_1)
	v_cmp_gt_i32_e32 vcc_lo, s3, v3
	s_cselect_b32 s53, -1, 0
	s_or_b32 s53, s53, vcc_lo
	s_delay_alu instid0(SALU_CYCLE_1)
	s_and_b32 exec_lo, exec_lo, s53
	s_cbranch_execz .LBB37_10
; %bb.8:
	v_mov_b32_e32 v4, s3
.LBB37_9:                               ; =>This Inner Loop Header: Depth=1
	ds_cmpstore_rtn_b32 v4, v2, v3, v4 offset:1216
	s_wait_dscnt 0x0
	v_cmp_ne_u32_e32 vcc_lo, 0, v4
	v_cmp_le_i32_e64 s3, v4, v3
	s_and_b32 s3, vcc_lo, s3
	s_delay_alu instid0(SALU_CYCLE_1) | instskip(NEXT) | instid1(SALU_CYCLE_1)
	s_and_b32 s3, exec_lo, s3
	s_or_b32 s52, s3, s52
	s_delay_alu instid0(SALU_CYCLE_1)
	s_and_not1_b32 exec_lo, exec_lo, s52
	s_cbranch_execnz .LBB37_9
.LBB37_10:
	s_or_b32 exec_lo, exec_lo, s51
	v_mov_b32_e32 v2, 0
	s_barrier_signal -1
	s_barrier_wait -1
	ds_load_b32 v3, v2 offset:1216
	s_and_saveexec_b32 s3, s2
	s_cbranch_execz .LBB37_12
; %bb.11:
	s_lshl_b64 s[52:53], s[18:19], 2
	s_delay_alu instid0(SALU_CYCLE_1)
	s_add_nc_u64 s[52:53], s[6:7], s[52:53]
	s_wait_dscnt 0x0
	global_store_b32 v2, v3, s[52:53]
.LBB37_12:
	s_wait_xcnt 0x0
	s_or_b32 exec_lo, exec_lo, s3
	s_wait_dscnt 0x0
	v_cmp_ne_u32_e32 vcc_lo, 0, v3
	s_mov_b32 s3, 0
	s_cbranch_vccnz .LBB37_164
; %bb.13:
	v_lshl_add_u32 v19, v1, 4, 0
                                        ; implicit-def: $vgpr6_vgpr7
                                        ; implicit-def: $vgpr10_vgpr11
	scratch_load_b128 v[2:5], v19, off
	s_wait_loadcnt 0x0
	v_cmp_ngt_f64_e64 s3, |v[2:3]|, |v[4:5]|
	s_wait_xcnt 0x0
	s_and_saveexec_b32 s51, s3
	s_delay_alu instid0(SALU_CYCLE_1)
	s_xor_b32 s3, exec_lo, s51
	s_cbranch_execz .LBB37_15
; %bb.14:
	v_div_scale_f64 v[6:7], null, v[4:5], v[4:5], v[2:3]
	v_div_scale_f64 v[12:13], vcc_lo, v[2:3], v[4:5], v[2:3]
	s_delay_alu instid0(VALU_DEP_2) | instskip(SKIP_1) | instid1(TRANS32_DEP_1)
	v_rcp_f64_e32 v[8:9], v[6:7]
	v_nop
	v_fma_f64 v[10:11], -v[6:7], v[8:9], 1.0
	s_delay_alu instid0(VALU_DEP_1) | instskip(NEXT) | instid1(VALU_DEP_1)
	v_fmac_f64_e32 v[8:9], v[8:9], v[10:11]
	v_fma_f64 v[10:11], -v[6:7], v[8:9], 1.0
	s_delay_alu instid0(VALU_DEP_1) | instskip(NEXT) | instid1(VALU_DEP_1)
	v_fmac_f64_e32 v[8:9], v[8:9], v[10:11]
	v_mul_f64_e32 v[10:11], v[12:13], v[8:9]
	s_delay_alu instid0(VALU_DEP_1) | instskip(NEXT) | instid1(VALU_DEP_1)
	v_fma_f64 v[6:7], -v[6:7], v[10:11], v[12:13]
	v_div_fmas_f64 v[6:7], v[6:7], v[8:9], v[10:11]
	s_delay_alu instid0(VALU_DEP_1) | instskip(NEXT) | instid1(VALU_DEP_1)
	v_div_fixup_f64 v[6:7], v[6:7], v[4:5], v[2:3]
	v_fmac_f64_e32 v[4:5], v[2:3], v[6:7]
	s_delay_alu instid0(VALU_DEP_1) | instskip(SKIP_1) | instid1(VALU_DEP_2)
	v_div_scale_f64 v[2:3], null, v[4:5], v[4:5], 1.0
	v_div_scale_f64 v[12:13], vcc_lo, 1.0, v[4:5], 1.0
	v_rcp_f64_e32 v[8:9], v[2:3]
	v_nop
	s_delay_alu instid0(TRANS32_DEP_1) | instskip(NEXT) | instid1(VALU_DEP_1)
	v_fma_f64 v[10:11], -v[2:3], v[8:9], 1.0
	v_fmac_f64_e32 v[8:9], v[8:9], v[10:11]
	s_delay_alu instid0(VALU_DEP_1) | instskip(NEXT) | instid1(VALU_DEP_1)
	v_fma_f64 v[10:11], -v[2:3], v[8:9], 1.0
	v_fmac_f64_e32 v[8:9], v[8:9], v[10:11]
	s_delay_alu instid0(VALU_DEP_1) | instskip(NEXT) | instid1(VALU_DEP_1)
	v_mul_f64_e32 v[10:11], v[12:13], v[8:9]
	v_fma_f64 v[2:3], -v[2:3], v[10:11], v[12:13]
	s_delay_alu instid0(VALU_DEP_1) | instskip(NEXT) | instid1(VALU_DEP_1)
	v_div_fmas_f64 v[2:3], v[2:3], v[8:9], v[10:11]
	v_div_fixup_f64 v[8:9], v[2:3], v[4:5], 1.0
                                        ; implicit-def: $vgpr2_vgpr3
	s_delay_alu instid0(VALU_DEP_1) | instskip(SKIP_1) | instid1(VALU_DEP_2)
	v_mul_f64_e32 v[6:7], v[6:7], v[8:9]
	v_xor_b32_e32 v9, 0x80000000, v9
	v_xor_b32_e32 v11, 0x80000000, v7
	s_delay_alu instid0(VALU_DEP_3)
	v_mov_b32_e32 v10, v6
.LBB37_15:
	s_and_not1_saveexec_b32 s3, s3
	s_cbranch_execz .LBB37_17
; %bb.16:
	v_div_scale_f64 v[6:7], null, v[2:3], v[2:3], v[4:5]
	v_div_scale_f64 v[12:13], vcc_lo, v[4:5], v[2:3], v[4:5]
	s_delay_alu instid0(VALU_DEP_2) | instskip(SKIP_1) | instid1(TRANS32_DEP_1)
	v_rcp_f64_e32 v[8:9], v[6:7]
	v_nop
	v_fma_f64 v[10:11], -v[6:7], v[8:9], 1.0
	s_delay_alu instid0(VALU_DEP_1) | instskip(NEXT) | instid1(VALU_DEP_1)
	v_fmac_f64_e32 v[8:9], v[8:9], v[10:11]
	v_fma_f64 v[10:11], -v[6:7], v[8:9], 1.0
	s_delay_alu instid0(VALU_DEP_1) | instskip(NEXT) | instid1(VALU_DEP_1)
	v_fmac_f64_e32 v[8:9], v[8:9], v[10:11]
	v_mul_f64_e32 v[10:11], v[12:13], v[8:9]
	s_delay_alu instid0(VALU_DEP_1) | instskip(NEXT) | instid1(VALU_DEP_1)
	v_fma_f64 v[6:7], -v[6:7], v[10:11], v[12:13]
	v_div_fmas_f64 v[6:7], v[6:7], v[8:9], v[10:11]
	s_delay_alu instid0(VALU_DEP_1) | instskip(NEXT) | instid1(VALU_DEP_1)
	v_div_fixup_f64 v[8:9], v[6:7], v[2:3], v[4:5]
	v_fmac_f64_e32 v[2:3], v[4:5], v[8:9]
	s_delay_alu instid0(VALU_DEP_1) | instskip(NEXT) | instid1(VALU_DEP_1)
	v_div_scale_f64 v[4:5], null, v[2:3], v[2:3], 1.0
	v_rcp_f64_e32 v[6:7], v[4:5]
	v_nop
	s_delay_alu instid0(TRANS32_DEP_1) | instskip(NEXT) | instid1(VALU_DEP_1)
	v_fma_f64 v[10:11], -v[4:5], v[6:7], 1.0
	v_fmac_f64_e32 v[6:7], v[6:7], v[10:11]
	s_delay_alu instid0(VALU_DEP_1) | instskip(NEXT) | instid1(VALU_DEP_1)
	v_fma_f64 v[10:11], -v[4:5], v[6:7], 1.0
	v_fmac_f64_e32 v[6:7], v[6:7], v[10:11]
	v_div_scale_f64 v[10:11], vcc_lo, 1.0, v[2:3], 1.0
	s_delay_alu instid0(VALU_DEP_1) | instskip(NEXT) | instid1(VALU_DEP_1)
	v_mul_f64_e32 v[12:13], v[10:11], v[6:7]
	v_fma_f64 v[4:5], -v[4:5], v[12:13], v[10:11]
	s_delay_alu instid0(VALU_DEP_1) | instskip(NEXT) | instid1(VALU_DEP_1)
	v_div_fmas_f64 v[4:5], v[4:5], v[6:7], v[12:13]
	v_div_fixup_f64 v[6:7], v[4:5], v[2:3], 1.0
	s_delay_alu instid0(VALU_DEP_1)
	v_mul_f64_e64 v[8:9], v[8:9], -v[6:7]
	v_xor_b32_e32 v11, 0x80000000, v7
	v_mov_b32_e32 v10, v6
.LBB37_17:
	s_or_b32 exec_lo, exec_lo, s3
	s_clause 0x1
	scratch_store_b128 v19, v[6:9], off
	scratch_load_b128 v[2:5], off, s38
	v_xor_b32_e32 v13, 0x80000000, v9
	v_mov_b32_e32 v12, v8
	s_wait_xcnt 0x1
	v_add_nc_u32_e32 v6, 0x260, v90
	ds_store_b128 v90, v[10:13]
	s_wait_loadcnt 0x0
	ds_store_b128 v90, v[2:5] offset:608
	s_wait_storecnt_dscnt 0x0
	s_barrier_signal -1
	s_barrier_wait -1
	s_wait_xcnt 0x0
	s_and_saveexec_b32 s3, s2
	s_cbranch_execz .LBB37_19
; %bb.18:
	scratch_load_b128 v[2:5], v19, off
	ds_load_b128 v[8:11], v6
	v_mov_b32_e32 v7, 0
	ds_load_b128 v[92:95], v7 offset:16
	s_wait_loadcnt_dscnt 0x1
	v_mul_f64_e32 v[12:13], v[8:9], v[4:5]
	v_mul_f64_e32 v[4:5], v[10:11], v[4:5]
	s_delay_alu instid0(VALU_DEP_2) | instskip(NEXT) | instid1(VALU_DEP_2)
	v_fmac_f64_e32 v[12:13], v[10:11], v[2:3]
	v_fma_f64 v[2:3], v[8:9], v[2:3], -v[4:5]
	s_delay_alu instid0(VALU_DEP_2) | instskip(NEXT) | instid1(VALU_DEP_2)
	v_add_f64_e32 v[8:9], 0, v[12:13]
	v_add_f64_e32 v[2:3], 0, v[2:3]
	s_wait_dscnt 0x0
	s_delay_alu instid0(VALU_DEP_2) | instskip(NEXT) | instid1(VALU_DEP_2)
	v_mul_f64_e32 v[10:11], v[8:9], v[94:95]
	v_mul_f64_e32 v[4:5], v[2:3], v[94:95]
	s_delay_alu instid0(VALU_DEP_2) | instskip(NEXT) | instid1(VALU_DEP_2)
	v_fma_f64 v[2:3], v[2:3], v[92:93], -v[10:11]
	v_fmac_f64_e32 v[4:5], v[8:9], v[92:93]
	scratch_store_b128 off, v[2:5], off offset:16
.LBB37_19:
	s_wait_xcnt 0x0
	s_or_b32 exec_lo, exec_lo, s3
	s_wait_storecnt 0x0
	s_barrier_signal -1
	s_barrier_wait -1
	scratch_load_b128 v[2:5], off, s35
	s_mov_b32 s3, exec_lo
	s_wait_loadcnt 0x0
	ds_store_b128 v6, v[2:5]
	s_wait_dscnt 0x0
	s_barrier_signal -1
	s_barrier_wait -1
	v_cmpx_gt_u32_e32 2, v1
	s_cbranch_execz .LBB37_23
; %bb.20:
	scratch_load_b128 v[2:5], v19, off
	ds_load_b128 v[8:11], v6
	s_wait_loadcnt_dscnt 0x0
	v_mul_f64_e32 v[12:13], v[10:11], v[4:5]
	v_mul_f64_e32 v[92:93], v[8:9], v[4:5]
	s_delay_alu instid0(VALU_DEP_2) | instskip(NEXT) | instid1(VALU_DEP_2)
	v_fma_f64 v[4:5], v[8:9], v[2:3], -v[12:13]
	v_fmac_f64_e32 v[92:93], v[10:11], v[2:3]
	s_delay_alu instid0(VALU_DEP_2) | instskip(NEXT) | instid1(VALU_DEP_2)
	v_add_f64_e32 v[4:5], 0, v[4:5]
	v_add_f64_e32 v[2:3], 0, v[92:93]
	s_and_saveexec_b32 s51, s2
	s_cbranch_execz .LBB37_22
; %bb.21:
	scratch_load_b128 v[8:11], off, off offset:16
	v_mov_b32_e32 v7, 0
	ds_load_b128 v[92:95], v7 offset:624
	s_wait_loadcnt_dscnt 0x0
	v_mul_f64_e32 v[12:13], v[92:93], v[10:11]
	v_mul_f64_e32 v[10:11], v[94:95], v[10:11]
	s_delay_alu instid0(VALU_DEP_2) | instskip(NEXT) | instid1(VALU_DEP_2)
	v_fmac_f64_e32 v[12:13], v[94:95], v[8:9]
	v_fma_f64 v[8:9], v[92:93], v[8:9], -v[10:11]
	s_delay_alu instid0(VALU_DEP_2) | instskip(NEXT) | instid1(VALU_DEP_2)
	v_add_f64_e32 v[2:3], v[2:3], v[12:13]
	v_add_f64_e32 v[4:5], v[4:5], v[8:9]
.LBB37_22:
	s_or_b32 exec_lo, exec_lo, s51
	v_mov_b32_e32 v7, 0
	ds_load_b128 v[8:11], v7 offset:32
	s_wait_dscnt 0x0
	v_mul_f64_e32 v[92:93], v[2:3], v[10:11]
	v_mul_f64_e32 v[12:13], v[4:5], v[10:11]
	s_delay_alu instid0(VALU_DEP_2) | instskip(NEXT) | instid1(VALU_DEP_2)
	v_fma_f64 v[10:11], v[4:5], v[8:9], -v[92:93]
	v_fmac_f64_e32 v[12:13], v[2:3], v[8:9]
	scratch_store_b128 off, v[10:13], off offset:32
.LBB37_23:
	s_wait_xcnt 0x0
	s_or_b32 exec_lo, exec_lo, s3
	s_wait_storecnt 0x0
	s_barrier_signal -1
	s_barrier_wait -1
	scratch_load_b128 v[2:5], off, s36
	v_add_nc_u32_e32 v7, -1, v1
	s_mov_b32 s2, exec_lo
	s_wait_loadcnt 0x0
	ds_store_b128 v6, v[2:5]
	s_wait_dscnt 0x0
	s_barrier_signal -1
	s_barrier_wait -1
	v_cmpx_gt_u32_e32 3, v1
	s_cbranch_execz .LBB37_27
; %bb.24:
	v_dual_mov_b32 v10, v90 :: v_dual_add_nc_u32 v8, -1, v1
	v_mov_b64_e32 v[2:3], 0
	v_mov_b64_e32 v[4:5], 0
	v_add_nc_u32_e32 v9, 0x260, v90
	s_delay_alu instid0(VALU_DEP_4)
	v_or_b32_e32 v10, 8, v10
	s_mov_b32 s3, 0
.LBB37_25:                              ; =>This Inner Loop Header: Depth=1
	scratch_load_b128 v[92:95], v10, off offset:-8
	ds_load_b128 v[96:99], v9
	v_dual_add_nc_u32 v8, 1, v8 :: v_dual_add_nc_u32 v9, 16, v9
	s_wait_xcnt 0x0
	v_add_nc_u32_e32 v10, 16, v10
	s_delay_alu instid0(VALU_DEP_2) | instskip(SKIP_4) | instid1(VALU_DEP_2)
	v_cmp_lt_u32_e32 vcc_lo, 1, v8
	s_or_b32 s3, vcc_lo, s3
	s_wait_loadcnt_dscnt 0x0
	v_mul_f64_e32 v[12:13], v[98:99], v[94:95]
	v_mul_f64_e32 v[94:95], v[96:97], v[94:95]
	v_fma_f64 v[12:13], v[96:97], v[92:93], -v[12:13]
	s_delay_alu instid0(VALU_DEP_2) | instskip(NEXT) | instid1(VALU_DEP_2)
	v_fmac_f64_e32 v[94:95], v[98:99], v[92:93]
	v_add_f64_e32 v[4:5], v[4:5], v[12:13]
	s_delay_alu instid0(VALU_DEP_2)
	v_add_f64_e32 v[2:3], v[2:3], v[94:95]
	s_and_not1_b32 exec_lo, exec_lo, s3
	s_cbranch_execnz .LBB37_25
; %bb.26:
	s_or_b32 exec_lo, exec_lo, s3
	v_mov_b32_e32 v8, 0
	ds_load_b128 v[8:11], v8 offset:48
	s_wait_dscnt 0x0
	v_mul_f64_e32 v[92:93], v[2:3], v[10:11]
	v_mul_f64_e32 v[12:13], v[4:5], v[10:11]
	s_delay_alu instid0(VALU_DEP_2) | instskip(NEXT) | instid1(VALU_DEP_2)
	v_fma_f64 v[10:11], v[4:5], v[8:9], -v[92:93]
	v_fmac_f64_e32 v[12:13], v[2:3], v[8:9]
	scratch_store_b128 off, v[10:13], off offset:48
.LBB37_27:
	s_wait_xcnt 0x0
	s_or_b32 exec_lo, exec_lo, s2
	s_wait_storecnt 0x0
	s_barrier_signal -1
	s_barrier_wait -1
	scratch_load_b128 v[2:5], off, s37
	s_mov_b32 s2, exec_lo
	s_wait_loadcnt 0x0
	ds_store_b128 v6, v[2:5]
	s_wait_dscnt 0x0
	s_barrier_signal -1
	s_barrier_wait -1
	v_cmpx_gt_u32_e32 4, v1
	s_cbranch_execz .LBB37_31
; %bb.28:
	v_dual_mov_b32 v10, v90 :: v_dual_add_nc_u32 v8, -1, v1
	v_mov_b64_e32 v[2:3], 0
	v_mov_b64_e32 v[4:5], 0
	v_add_nc_u32_e32 v9, 0x260, v90
	s_delay_alu instid0(VALU_DEP_4)
	v_or_b32_e32 v10, 8, v10
	s_mov_b32 s3, 0
.LBB37_29:                              ; =>This Inner Loop Header: Depth=1
	scratch_load_b128 v[92:95], v10, off offset:-8
	ds_load_b128 v[96:99], v9
	v_dual_add_nc_u32 v8, 1, v8 :: v_dual_add_nc_u32 v9, 16, v9
	s_wait_xcnt 0x0
	v_add_nc_u32_e32 v10, 16, v10
	s_delay_alu instid0(VALU_DEP_2) | instskip(SKIP_4) | instid1(VALU_DEP_2)
	v_cmp_lt_u32_e32 vcc_lo, 2, v8
	s_or_b32 s3, vcc_lo, s3
	s_wait_loadcnt_dscnt 0x0
	v_mul_f64_e32 v[12:13], v[98:99], v[94:95]
	v_mul_f64_e32 v[94:95], v[96:97], v[94:95]
	v_fma_f64 v[12:13], v[96:97], v[92:93], -v[12:13]
	s_delay_alu instid0(VALU_DEP_2) | instskip(NEXT) | instid1(VALU_DEP_2)
	v_fmac_f64_e32 v[94:95], v[98:99], v[92:93]
	v_add_f64_e32 v[4:5], v[4:5], v[12:13]
	s_delay_alu instid0(VALU_DEP_2)
	v_add_f64_e32 v[2:3], v[2:3], v[94:95]
	s_and_not1_b32 exec_lo, exec_lo, s3
	s_cbranch_execnz .LBB37_29
; %bb.30:
	s_or_b32 exec_lo, exec_lo, s3
	v_mov_b32_e32 v8, 0
	ds_load_b128 v[8:11], v8 offset:64
	s_wait_dscnt 0x0
	v_mul_f64_e32 v[92:93], v[2:3], v[10:11]
	v_mul_f64_e32 v[12:13], v[4:5], v[10:11]
	s_delay_alu instid0(VALU_DEP_2) | instskip(NEXT) | instid1(VALU_DEP_2)
	v_fma_f64 v[10:11], v[4:5], v[8:9], -v[92:93]
	v_fmac_f64_e32 v[12:13], v[2:3], v[8:9]
	scratch_store_b128 off, v[10:13], off offset:64
.LBB37_31:
	s_wait_xcnt 0x0
	s_or_b32 exec_lo, exec_lo, s2
	s_wait_storecnt 0x0
	s_barrier_signal -1
	s_barrier_wait -1
	scratch_load_b128 v[2:5], off, s41
	;; [unrolled: 54-line block ×19, first 2 shown]
	s_mov_b32 s2, exec_lo
	s_wait_loadcnt 0x0
	ds_store_b128 v6, v[2:5]
	s_wait_dscnt 0x0
	s_barrier_signal -1
	s_barrier_wait -1
	v_cmpx_gt_u32_e32 22, v1
	s_cbranch_execz .LBB37_103
; %bb.100:
	v_dual_mov_b32 v10, v90 :: v_dual_add_nc_u32 v8, -1, v1
	v_mov_b64_e32 v[2:3], 0
	v_mov_b64_e32 v[4:5], 0
	v_add_nc_u32_e32 v9, 0x260, v90
	s_delay_alu instid0(VALU_DEP_4)
	v_or_b32_e32 v10, 8, v10
	s_mov_b32 s3, 0
.LBB37_101:                             ; =>This Inner Loop Header: Depth=1
	scratch_load_b128 v[92:95], v10, off offset:-8
	ds_load_b128 v[96:99], v9
	v_dual_add_nc_u32 v8, 1, v8 :: v_dual_add_nc_u32 v9, 16, v9
	s_wait_xcnt 0x0
	v_add_nc_u32_e32 v10, 16, v10
	s_delay_alu instid0(VALU_DEP_2) | instskip(SKIP_4) | instid1(VALU_DEP_2)
	v_cmp_lt_u32_e32 vcc_lo, 20, v8
	s_or_b32 s3, vcc_lo, s3
	s_wait_loadcnt_dscnt 0x0
	v_mul_f64_e32 v[12:13], v[98:99], v[94:95]
	v_mul_f64_e32 v[94:95], v[96:97], v[94:95]
	v_fma_f64 v[12:13], v[96:97], v[92:93], -v[12:13]
	s_delay_alu instid0(VALU_DEP_2) | instskip(NEXT) | instid1(VALU_DEP_2)
	v_fmac_f64_e32 v[94:95], v[98:99], v[92:93]
	v_add_f64_e32 v[4:5], v[4:5], v[12:13]
	s_delay_alu instid0(VALU_DEP_2)
	v_add_f64_e32 v[2:3], v[2:3], v[94:95]
	s_and_not1_b32 exec_lo, exec_lo, s3
	s_cbranch_execnz .LBB37_101
; %bb.102:
	s_or_b32 exec_lo, exec_lo, s3
	v_mov_b32_e32 v8, 0
	ds_load_b128 v[8:11], v8 offset:352
	s_wait_dscnt 0x0
	v_mul_f64_e32 v[92:93], v[2:3], v[10:11]
	v_mul_f64_e32 v[12:13], v[4:5], v[10:11]
	s_delay_alu instid0(VALU_DEP_2) | instskip(NEXT) | instid1(VALU_DEP_2)
	v_fma_f64 v[10:11], v[4:5], v[8:9], -v[92:93]
	v_fmac_f64_e32 v[12:13], v[2:3], v[8:9]
	scratch_store_b128 off, v[10:13], off offset:352
.LBB37_103:
	s_wait_xcnt 0x0
	s_or_b32 exec_lo, exec_lo, s2
	s_wait_storecnt 0x0
	s_barrier_signal -1
	s_barrier_wait -1
	scratch_load_b128 v[2:5], off, s20
	s_mov_b32 s2, exec_lo
	s_wait_loadcnt 0x0
	ds_store_b128 v6, v[2:5]
	s_wait_dscnt 0x0
	s_barrier_signal -1
	s_barrier_wait -1
	v_cmpx_gt_u32_e32 23, v1
	s_cbranch_execz .LBB37_107
; %bb.104:
	v_dual_mov_b32 v10, v90 :: v_dual_add_nc_u32 v8, -1, v1
	v_mov_b64_e32 v[2:3], 0
	v_mov_b64_e32 v[4:5], 0
	v_add_nc_u32_e32 v9, 0x260, v90
	s_delay_alu instid0(VALU_DEP_4)
	v_or_b32_e32 v10, 8, v10
	s_mov_b32 s3, 0
.LBB37_105:                             ; =>This Inner Loop Header: Depth=1
	scratch_load_b128 v[92:95], v10, off offset:-8
	ds_load_b128 v[96:99], v9
	v_dual_add_nc_u32 v8, 1, v8 :: v_dual_add_nc_u32 v9, 16, v9
	s_wait_xcnt 0x0
	v_add_nc_u32_e32 v10, 16, v10
	s_delay_alu instid0(VALU_DEP_2) | instskip(SKIP_4) | instid1(VALU_DEP_2)
	v_cmp_lt_u32_e32 vcc_lo, 21, v8
	s_or_b32 s3, vcc_lo, s3
	s_wait_loadcnt_dscnt 0x0
	v_mul_f64_e32 v[12:13], v[98:99], v[94:95]
	v_mul_f64_e32 v[94:95], v[96:97], v[94:95]
	v_fma_f64 v[12:13], v[96:97], v[92:93], -v[12:13]
	s_delay_alu instid0(VALU_DEP_2) | instskip(NEXT) | instid1(VALU_DEP_2)
	v_fmac_f64_e32 v[94:95], v[98:99], v[92:93]
	v_add_f64_e32 v[4:5], v[4:5], v[12:13]
	s_delay_alu instid0(VALU_DEP_2)
	v_add_f64_e32 v[2:3], v[2:3], v[94:95]
	s_and_not1_b32 exec_lo, exec_lo, s3
	s_cbranch_execnz .LBB37_105
; %bb.106:
	s_or_b32 exec_lo, exec_lo, s3
	v_mov_b32_e32 v8, 0
	ds_load_b128 v[8:11], v8 offset:368
	s_wait_dscnt 0x0
	v_mul_f64_e32 v[92:93], v[2:3], v[10:11]
	v_mul_f64_e32 v[12:13], v[4:5], v[10:11]
	s_delay_alu instid0(VALU_DEP_2) | instskip(NEXT) | instid1(VALU_DEP_2)
	v_fma_f64 v[10:11], v[4:5], v[8:9], -v[92:93]
	v_fmac_f64_e32 v[12:13], v[2:3], v[8:9]
	scratch_store_b128 off, v[10:13], off offset:368
.LBB37_107:
	s_wait_xcnt 0x0
	s_or_b32 exec_lo, exec_lo, s2
	s_wait_storecnt 0x0
	s_barrier_signal -1
	s_barrier_wait -1
	scratch_load_b128 v[2:5], off, s23
	;; [unrolled: 54-line block ×15, first 2 shown]
	s_mov_b32 s2, exec_lo
	s_wait_loadcnt 0x0
	ds_store_b128 v6, v[2:5]
	s_wait_dscnt 0x0
	s_barrier_signal -1
	s_barrier_wait -1
	v_cmpx_ne_u32_e32 37, v1
	s_cbranch_execz .LBB37_163
; %bb.160:
	v_mov_b32_e32 v8, v90
	v_mov_b64_e32 v[2:3], 0
	v_mov_b64_e32 v[4:5], 0
	s_mov_b32 s3, 0
	s_delay_alu instid0(VALU_DEP_3)
	v_or_b32_e32 v8, 8, v8
.LBB37_161:                             ; =>This Inner Loop Header: Depth=1
	scratch_load_b128 v[10:13], v8, off offset:-8
	ds_load_b128 v[90:93], v6
	v_dual_add_nc_u32 v7, 1, v7 :: v_dual_add_nc_u32 v6, 16, v6
	s_wait_xcnt 0x0
	v_add_nc_u32_e32 v8, 16, v8
	s_delay_alu instid0(VALU_DEP_2) | instskip(SKIP_4) | instid1(VALU_DEP_2)
	v_cmp_lt_u32_e32 vcc_lo, 35, v7
	s_or_b32 s3, vcc_lo, s3
	s_wait_loadcnt_dscnt 0x0
	v_mul_f64_e32 v[94:95], v[92:93], v[12:13]
	v_mul_f64_e32 v[12:13], v[90:91], v[12:13]
	v_fma_f64 v[90:91], v[90:91], v[10:11], -v[94:95]
	s_delay_alu instid0(VALU_DEP_2) | instskip(NEXT) | instid1(VALU_DEP_2)
	v_fmac_f64_e32 v[12:13], v[92:93], v[10:11]
	v_add_f64_e32 v[4:5], v[4:5], v[90:91]
	s_delay_alu instid0(VALU_DEP_2)
	v_add_f64_e32 v[2:3], v[2:3], v[12:13]
	s_and_not1_b32 exec_lo, exec_lo, s3
	s_cbranch_execnz .LBB37_161
; %bb.162:
	s_or_b32 exec_lo, exec_lo, s3
	v_mov_b32_e32 v6, 0
	ds_load_b128 v[6:9], v6 offset:592
	s_wait_dscnt 0x0
	v_mul_f64_e32 v[12:13], v[2:3], v[8:9]
	v_mul_f64_e32 v[10:11], v[4:5], v[8:9]
	s_delay_alu instid0(VALU_DEP_2) | instskip(NEXT) | instid1(VALU_DEP_2)
	v_fma_f64 v[8:9], v[4:5], v[6:7], -v[12:13]
	v_fmac_f64_e32 v[10:11], v[2:3], v[6:7]
	scratch_store_b128 off, v[8:11], off offset:592
.LBB37_163:
	s_wait_xcnt 0x0
	s_or_b32 exec_lo, exec_lo, s2
	s_mov_b32 s3, -1
	s_wait_storecnt 0x0
	s_barrier_signal -1
	s_barrier_wait -1
.LBB37_164:
	s_and_b32 vcc_lo, exec_lo, s3
	s_cbranch_vccz .LBB37_166
; %bb.165:
	s_wait_xcnt 0xf
	v_mov_b32_e32 v2, 0
	s_lshl_b64 s[2:3], s[18:19], 2
	s_delay_alu instid0(SALU_CYCLE_1)
	s_add_nc_u64 s[2:3], s[6:7], s[2:3]
	global_load_b32 v2, v2, s[2:3]
	s_wait_loadcnt 0x0
	v_cmp_ne_u32_e32 vcc_lo, 0, v2
	s_cbranch_vccz .LBB37_167
.LBB37_166:
	s_sendmsg sendmsg(MSG_DEALLOC_VGPRS)
	s_endpgm
.LBB37_167:
	s_wait_xcnt 0xf
	v_lshl_add_u32 v6, v1, 4, 0x260
	s_wait_xcnt 0x0
	s_mov_b32 s2, exec_lo
	v_cmpx_eq_u32_e32 37, v1
	s_cbranch_execz .LBB37_169
; %bb.168:
	scratch_load_b128 v[2:5], off, s15
	v_mov_b32_e32 v8, 0
	s_delay_alu instid0(VALU_DEP_1)
	v_dual_mov_b32 v9, v8 :: v_dual_mov_b32 v10, v8
	v_mov_b32_e32 v11, v8
	scratch_store_b128 off, v[8:11], off offset:576
	s_wait_loadcnt 0x0
	ds_store_b128 v6, v[2:5]
.LBB37_169:
	s_wait_xcnt 0x0
	s_or_b32 exec_lo, exec_lo, s2
	s_wait_storecnt_dscnt 0x0
	s_barrier_signal -1
	s_barrier_wait -1
	s_clause 0x1
	scratch_load_b128 v[8:11], off, off offset:592
	scratch_load_b128 v[90:93], off, off offset:576
	v_mov_b32_e32 v2, 0
	s_mov_b32 s2, exec_lo
	ds_load_b128 v[94:97], v2 offset:1200
	s_wait_loadcnt_dscnt 0x100
	v_mul_f64_e32 v[4:5], v[96:97], v[10:11]
	v_mul_f64_e32 v[10:11], v[94:95], v[10:11]
	s_delay_alu instid0(VALU_DEP_2) | instskip(NEXT) | instid1(VALU_DEP_2)
	v_fma_f64 v[4:5], v[94:95], v[8:9], -v[4:5]
	v_fmac_f64_e32 v[10:11], v[96:97], v[8:9]
	s_delay_alu instid0(VALU_DEP_2) | instskip(NEXT) | instid1(VALU_DEP_2)
	v_add_f64_e32 v[4:5], 0, v[4:5]
	v_add_f64_e32 v[10:11], 0, v[10:11]
	s_wait_loadcnt 0x0
	s_delay_alu instid0(VALU_DEP_2) | instskip(NEXT) | instid1(VALU_DEP_2)
	v_add_f64_e64 v[8:9], v[90:91], -v[4:5]
	v_add_f64_e64 v[10:11], v[92:93], -v[10:11]
	scratch_store_b128 off, v[8:11], off offset:576
	s_wait_xcnt 0x0
	v_cmpx_lt_u32_e32 35, v1
	s_cbranch_execz .LBB37_171
; %bb.170:
	scratch_load_b128 v[8:11], off, s13
	v_dual_mov_b32 v3, v2 :: v_dual_mov_b32 v4, v2
	v_mov_b32_e32 v5, v2
	scratch_store_b128 off, v[2:5], off offset:560
	s_wait_loadcnt 0x0
	ds_store_b128 v6, v[8:11]
.LBB37_171:
	s_wait_xcnt 0x0
	s_or_b32 exec_lo, exec_lo, s2
	s_wait_storecnt_dscnt 0x0
	s_barrier_signal -1
	s_barrier_wait -1
	s_clause 0x2
	scratch_load_b128 v[8:11], off, off offset:576
	scratch_load_b128 v[90:93], off, off offset:592
	;; [unrolled: 1-line block ×3, first 2 shown]
	ds_load_b128 v[98:101], v2 offset:1184
	ds_load_b128 v[2:5], v2 offset:1200
	s_mov_b32 s2, exec_lo
	s_wait_loadcnt_dscnt 0x201
	v_mul_f64_e32 v[12:13], v[100:101], v[10:11]
	v_mul_f64_e32 v[10:11], v[98:99], v[10:11]
	s_wait_loadcnt_dscnt 0x100
	v_mul_f64_e32 v[102:103], v[2:3], v[92:93]
	v_mul_f64_e32 v[92:93], v[4:5], v[92:93]
	s_delay_alu instid0(VALU_DEP_4) | instskip(NEXT) | instid1(VALU_DEP_4)
	v_fma_f64 v[12:13], v[98:99], v[8:9], -v[12:13]
	v_fmac_f64_e32 v[10:11], v[100:101], v[8:9]
	s_delay_alu instid0(VALU_DEP_4) | instskip(NEXT) | instid1(VALU_DEP_4)
	v_fmac_f64_e32 v[102:103], v[4:5], v[90:91]
	v_fma_f64 v[2:3], v[2:3], v[90:91], -v[92:93]
	s_delay_alu instid0(VALU_DEP_4) | instskip(NEXT) | instid1(VALU_DEP_4)
	v_add_f64_e32 v[4:5], 0, v[12:13]
	v_add_f64_e32 v[8:9], 0, v[10:11]
	s_delay_alu instid0(VALU_DEP_2) | instskip(NEXT) | instid1(VALU_DEP_2)
	v_add_f64_e32 v[2:3], v[4:5], v[2:3]
	v_add_f64_e32 v[4:5], v[8:9], v[102:103]
	s_wait_loadcnt 0x0
	s_delay_alu instid0(VALU_DEP_2) | instskip(NEXT) | instid1(VALU_DEP_2)
	v_add_f64_e64 v[2:3], v[94:95], -v[2:3]
	v_add_f64_e64 v[4:5], v[96:97], -v[4:5]
	scratch_store_b128 off, v[2:5], off offset:560
	s_wait_xcnt 0x0
	v_cmpx_lt_u32_e32 34, v1
	s_cbranch_execz .LBB37_173
; %bb.172:
	scratch_load_b128 v[2:5], off, s22
	v_mov_b32_e32 v8, 0
	s_delay_alu instid0(VALU_DEP_1)
	v_dual_mov_b32 v9, v8 :: v_dual_mov_b32 v10, v8
	v_mov_b32_e32 v11, v8
	scratch_store_b128 off, v[8:11], off offset:544
	s_wait_loadcnt 0x0
	ds_store_b128 v6, v[2:5]
.LBB37_173:
	s_wait_xcnt 0x0
	s_or_b32 exec_lo, exec_lo, s2
	s_wait_storecnt_dscnt 0x0
	s_barrier_signal -1
	s_barrier_wait -1
	s_clause 0x3
	scratch_load_b128 v[8:11], off, off offset:560
	scratch_load_b128 v[90:93], off, off offset:576
	;; [unrolled: 1-line block ×4, first 2 shown]
	v_mov_b32_e32 v2, 0
	ds_load_b128 v[102:105], v2 offset:1168
	ds_load_b128 v[106:109], v2 offset:1184
	s_mov_b32 s2, exec_lo
	s_wait_loadcnt_dscnt 0x301
	v_mul_f64_e32 v[4:5], v[104:105], v[10:11]
	v_mul_f64_e32 v[12:13], v[102:103], v[10:11]
	s_wait_loadcnt_dscnt 0x200
	v_mul_f64_e32 v[110:111], v[106:107], v[92:93]
	v_mul_f64_e32 v[92:93], v[108:109], v[92:93]
	s_delay_alu instid0(VALU_DEP_4) | instskip(NEXT) | instid1(VALU_DEP_4)
	v_fma_f64 v[4:5], v[102:103], v[8:9], -v[4:5]
	v_fmac_f64_e32 v[12:13], v[104:105], v[8:9]
	ds_load_b128 v[8:11], v2 offset:1200
	v_fmac_f64_e32 v[110:111], v[108:109], v[90:91]
	v_fma_f64 v[90:91], v[106:107], v[90:91], -v[92:93]
	s_wait_loadcnt_dscnt 0x100
	v_mul_f64_e32 v[102:103], v[8:9], v[96:97]
	v_mul_f64_e32 v[96:97], v[10:11], v[96:97]
	v_add_f64_e32 v[4:5], 0, v[4:5]
	v_add_f64_e32 v[12:13], 0, v[12:13]
	s_delay_alu instid0(VALU_DEP_4) | instskip(NEXT) | instid1(VALU_DEP_4)
	v_fmac_f64_e32 v[102:103], v[10:11], v[94:95]
	v_fma_f64 v[8:9], v[8:9], v[94:95], -v[96:97]
	s_delay_alu instid0(VALU_DEP_4) | instskip(NEXT) | instid1(VALU_DEP_4)
	v_add_f64_e32 v[4:5], v[4:5], v[90:91]
	v_add_f64_e32 v[10:11], v[12:13], v[110:111]
	s_delay_alu instid0(VALU_DEP_2) | instskip(NEXT) | instid1(VALU_DEP_2)
	v_add_f64_e32 v[4:5], v[4:5], v[8:9]
	v_add_f64_e32 v[10:11], v[10:11], v[102:103]
	s_wait_loadcnt 0x0
	s_delay_alu instid0(VALU_DEP_2) | instskip(NEXT) | instid1(VALU_DEP_2)
	v_add_f64_e64 v[8:9], v[98:99], -v[4:5]
	v_add_f64_e64 v[10:11], v[100:101], -v[10:11]
	scratch_store_b128 off, v[8:11], off offset:544
	s_wait_xcnt 0x0
	v_cmpx_lt_u32_e32 33, v1
	s_cbranch_execz .LBB37_175
; %bb.174:
	scratch_load_b128 v[8:11], off, s21
	v_dual_mov_b32 v3, v2 :: v_dual_mov_b32 v4, v2
	v_mov_b32_e32 v5, v2
	scratch_store_b128 off, v[2:5], off offset:528
	s_wait_loadcnt 0x0
	ds_store_b128 v6, v[8:11]
.LBB37_175:
	s_wait_xcnt 0x0
	s_or_b32 exec_lo, exec_lo, s2
	s_wait_storecnt_dscnt 0x0
	s_barrier_signal -1
	s_barrier_wait -1
	s_clause 0x4
	scratch_load_b128 v[8:11], off, off offset:544
	scratch_load_b128 v[90:93], off, off offset:560
	;; [unrolled: 1-line block ×5, first 2 shown]
	ds_load_b128 v[106:109], v2 offset:1152
	ds_load_b128 v[110:113], v2 offset:1168
	s_mov_b32 s2, exec_lo
	s_wait_loadcnt_dscnt 0x401
	v_mul_f64_e32 v[4:5], v[108:109], v[10:11]
	v_mul_f64_e32 v[12:13], v[106:107], v[10:11]
	s_wait_loadcnt_dscnt 0x300
	v_mul_f64_e32 v[114:115], v[110:111], v[92:93]
	v_mul_f64_e32 v[92:93], v[112:113], v[92:93]
	s_delay_alu instid0(VALU_DEP_4) | instskip(NEXT) | instid1(VALU_DEP_4)
	v_fma_f64 v[106:107], v[106:107], v[8:9], -v[4:5]
	v_fmac_f64_e32 v[12:13], v[108:109], v[8:9]
	ds_load_b128 v[8:11], v2 offset:1184
	ds_load_b128 v[2:5], v2 offset:1200
	v_fmac_f64_e32 v[114:115], v[112:113], v[90:91]
	v_fma_f64 v[90:91], v[110:111], v[90:91], -v[92:93]
	s_wait_loadcnt_dscnt 0x201
	v_mul_f64_e32 v[108:109], v[8:9], v[96:97]
	v_mul_f64_e32 v[96:97], v[10:11], v[96:97]
	v_add_f64_e32 v[92:93], 0, v[106:107]
	v_add_f64_e32 v[12:13], 0, v[12:13]
	s_wait_loadcnt_dscnt 0x100
	v_mul_f64_e32 v[106:107], v[2:3], v[100:101]
	v_mul_f64_e32 v[100:101], v[4:5], v[100:101]
	v_fmac_f64_e32 v[108:109], v[10:11], v[94:95]
	v_fma_f64 v[8:9], v[8:9], v[94:95], -v[96:97]
	v_add_f64_e32 v[10:11], v[92:93], v[90:91]
	v_add_f64_e32 v[12:13], v[12:13], v[114:115]
	v_fmac_f64_e32 v[106:107], v[4:5], v[98:99]
	v_fma_f64 v[2:3], v[2:3], v[98:99], -v[100:101]
	s_delay_alu instid0(VALU_DEP_4) | instskip(NEXT) | instid1(VALU_DEP_4)
	v_add_f64_e32 v[4:5], v[10:11], v[8:9]
	v_add_f64_e32 v[8:9], v[12:13], v[108:109]
	s_delay_alu instid0(VALU_DEP_2) | instskip(NEXT) | instid1(VALU_DEP_2)
	v_add_f64_e32 v[2:3], v[4:5], v[2:3]
	v_add_f64_e32 v[4:5], v[8:9], v[106:107]
	s_wait_loadcnt 0x0
	s_delay_alu instid0(VALU_DEP_2) | instskip(NEXT) | instid1(VALU_DEP_2)
	v_add_f64_e64 v[2:3], v[102:103], -v[2:3]
	v_add_f64_e64 v[4:5], v[104:105], -v[4:5]
	scratch_store_b128 off, v[2:5], off offset:528
	s_wait_xcnt 0x0
	v_cmpx_lt_u32_e32 32, v1
	s_cbranch_execz .LBB37_177
; %bb.176:
	scratch_load_b128 v[2:5], off, s27
	v_mov_b32_e32 v8, 0
	s_delay_alu instid0(VALU_DEP_1)
	v_dual_mov_b32 v9, v8 :: v_dual_mov_b32 v10, v8
	v_mov_b32_e32 v11, v8
	scratch_store_b128 off, v[8:11], off offset:512
	s_wait_loadcnt 0x0
	ds_store_b128 v6, v[2:5]
.LBB37_177:
	s_wait_xcnt 0x0
	s_or_b32 exec_lo, exec_lo, s2
	s_wait_storecnt_dscnt 0x0
	s_barrier_signal -1
	s_barrier_wait -1
	s_clause 0x5
	scratch_load_b128 v[8:11], off, off offset:528
	scratch_load_b128 v[90:93], off, off offset:544
	;; [unrolled: 1-line block ×6, first 2 shown]
	v_mov_b32_e32 v2, 0
	ds_load_b128 v[110:113], v2 offset:1136
	ds_load_b128 v[114:117], v2 offset:1152
	s_mov_b32 s2, exec_lo
	s_wait_loadcnt_dscnt 0x501
	v_mul_f64_e32 v[4:5], v[112:113], v[10:11]
	v_mul_f64_e32 v[12:13], v[110:111], v[10:11]
	s_wait_loadcnt_dscnt 0x400
	v_mul_f64_e32 v[118:119], v[114:115], v[92:93]
	v_mul_f64_e32 v[92:93], v[116:117], v[92:93]
	s_delay_alu instid0(VALU_DEP_4) | instskip(NEXT) | instid1(VALU_DEP_4)
	v_fma_f64 v[4:5], v[110:111], v[8:9], -v[4:5]
	v_fmac_f64_e32 v[12:13], v[112:113], v[8:9]
	ds_load_b128 v[8:11], v2 offset:1168
	ds_load_b128 v[110:113], v2 offset:1184
	v_fmac_f64_e32 v[118:119], v[116:117], v[90:91]
	v_fma_f64 v[90:91], v[114:115], v[90:91], -v[92:93]
	s_wait_loadcnt_dscnt 0x301
	v_mul_f64_e32 v[120:121], v[8:9], v[96:97]
	v_mul_f64_e32 v[96:97], v[10:11], v[96:97]
	s_wait_loadcnt_dscnt 0x200
	v_mul_f64_e32 v[92:93], v[110:111], v[100:101]
	v_mul_f64_e32 v[100:101], v[112:113], v[100:101]
	v_add_f64_e32 v[4:5], 0, v[4:5]
	v_add_f64_e32 v[12:13], 0, v[12:13]
	v_fmac_f64_e32 v[120:121], v[10:11], v[94:95]
	v_fma_f64 v[94:95], v[8:9], v[94:95], -v[96:97]
	ds_load_b128 v[8:11], v2 offset:1200
	v_fmac_f64_e32 v[92:93], v[112:113], v[98:99]
	v_fma_f64 v[98:99], v[110:111], v[98:99], -v[100:101]
	v_add_f64_e32 v[4:5], v[4:5], v[90:91]
	v_add_f64_e32 v[12:13], v[12:13], v[118:119]
	s_wait_loadcnt_dscnt 0x100
	v_mul_f64_e32 v[90:91], v[8:9], v[104:105]
	v_mul_f64_e32 v[96:97], v[10:11], v[104:105]
	s_delay_alu instid0(VALU_DEP_4) | instskip(NEXT) | instid1(VALU_DEP_4)
	v_add_f64_e32 v[4:5], v[4:5], v[94:95]
	v_add_f64_e32 v[12:13], v[12:13], v[120:121]
	s_delay_alu instid0(VALU_DEP_4) | instskip(NEXT) | instid1(VALU_DEP_4)
	v_fmac_f64_e32 v[90:91], v[10:11], v[102:103]
	v_fma_f64 v[8:9], v[8:9], v[102:103], -v[96:97]
	s_delay_alu instid0(VALU_DEP_4) | instskip(NEXT) | instid1(VALU_DEP_4)
	v_add_f64_e32 v[4:5], v[4:5], v[98:99]
	v_add_f64_e32 v[10:11], v[12:13], v[92:93]
	s_delay_alu instid0(VALU_DEP_2) | instskip(NEXT) | instid1(VALU_DEP_2)
	v_add_f64_e32 v[4:5], v[4:5], v[8:9]
	v_add_f64_e32 v[10:11], v[10:11], v[90:91]
	s_wait_loadcnt 0x0
	s_delay_alu instid0(VALU_DEP_2) | instskip(NEXT) | instid1(VALU_DEP_2)
	v_add_f64_e64 v[8:9], v[106:107], -v[4:5]
	v_add_f64_e64 v[10:11], v[108:109], -v[10:11]
	scratch_store_b128 off, v[8:11], off offset:512
	s_wait_xcnt 0x0
	v_cmpx_lt_u32_e32 31, v1
	s_cbranch_execz .LBB37_179
; %bb.178:
	scratch_load_b128 v[8:11], off, s25
	v_dual_mov_b32 v3, v2 :: v_dual_mov_b32 v4, v2
	v_mov_b32_e32 v5, v2
	scratch_store_b128 off, v[2:5], off offset:496
	s_wait_loadcnt 0x0
	ds_store_b128 v6, v[8:11]
.LBB37_179:
	s_wait_xcnt 0x0
	s_or_b32 exec_lo, exec_lo, s2
	s_wait_storecnt_dscnt 0x0
	s_barrier_signal -1
	s_barrier_wait -1
	s_clause 0x6
	scratch_load_b128 v[8:11], off, off offset:512
	scratch_load_b128 v[90:93], off, off offset:528
	;; [unrolled: 1-line block ×7, first 2 shown]
	ds_load_b128 v[114:117], v2 offset:1120
	ds_load_b128 v[118:121], v2 offset:1136
	s_mov_b32 s2, exec_lo
	s_wait_loadcnt_dscnt 0x601
	v_mul_f64_e32 v[4:5], v[116:117], v[10:11]
	v_mul_f64_e32 v[12:13], v[114:115], v[10:11]
	s_wait_loadcnt_dscnt 0x500
	v_mul_f64_e32 v[122:123], v[118:119], v[92:93]
	v_mul_f64_e32 v[92:93], v[120:121], v[92:93]
	s_delay_alu instid0(VALU_DEP_4) | instskip(NEXT) | instid1(VALU_DEP_4)
	v_fma_f64 v[4:5], v[114:115], v[8:9], -v[4:5]
	v_fmac_f64_e32 v[12:13], v[116:117], v[8:9]
	ds_load_b128 v[8:11], v2 offset:1152
	ds_load_b128 v[114:117], v2 offset:1168
	v_fmac_f64_e32 v[122:123], v[120:121], v[90:91]
	v_fma_f64 v[90:91], v[118:119], v[90:91], -v[92:93]
	s_wait_loadcnt_dscnt 0x401
	v_mul_f64_e32 v[124:125], v[8:9], v[96:97]
	v_mul_f64_e32 v[96:97], v[10:11], v[96:97]
	s_wait_loadcnt_dscnt 0x300
	v_mul_f64_e32 v[92:93], v[114:115], v[100:101]
	v_mul_f64_e32 v[100:101], v[116:117], v[100:101]
	v_add_f64_e32 v[4:5], 0, v[4:5]
	v_add_f64_e32 v[12:13], 0, v[12:13]
	v_fmac_f64_e32 v[124:125], v[10:11], v[94:95]
	v_fma_f64 v[94:95], v[8:9], v[94:95], -v[96:97]
	v_fmac_f64_e32 v[92:93], v[116:117], v[98:99]
	v_fma_f64 v[98:99], v[114:115], v[98:99], -v[100:101]
	v_add_f64_e32 v[90:91], v[4:5], v[90:91]
	v_add_f64_e32 v[12:13], v[12:13], v[122:123]
	ds_load_b128 v[8:11], v2 offset:1184
	ds_load_b128 v[2:5], v2 offset:1200
	s_wait_loadcnt_dscnt 0x201
	v_mul_f64_e32 v[96:97], v[8:9], v[104:105]
	v_mul_f64_e32 v[104:105], v[10:11], v[104:105]
	s_wait_loadcnt_dscnt 0x100
	v_mul_f64_e32 v[100:101], v[4:5], v[108:109]
	v_add_f64_e32 v[90:91], v[90:91], v[94:95]
	v_add_f64_e32 v[12:13], v[12:13], v[124:125]
	v_mul_f64_e32 v[94:95], v[2:3], v[108:109]
	v_fmac_f64_e32 v[96:97], v[10:11], v[102:103]
	v_fma_f64 v[8:9], v[8:9], v[102:103], -v[104:105]
	v_fma_f64 v[2:3], v[2:3], v[106:107], -v[100:101]
	v_add_f64_e32 v[10:11], v[90:91], v[98:99]
	v_add_f64_e32 v[12:13], v[12:13], v[92:93]
	v_fmac_f64_e32 v[94:95], v[4:5], v[106:107]
	s_delay_alu instid0(VALU_DEP_3) | instskip(NEXT) | instid1(VALU_DEP_3)
	v_add_f64_e32 v[4:5], v[10:11], v[8:9]
	v_add_f64_e32 v[8:9], v[12:13], v[96:97]
	s_delay_alu instid0(VALU_DEP_2) | instskip(NEXT) | instid1(VALU_DEP_2)
	v_add_f64_e32 v[2:3], v[4:5], v[2:3]
	v_add_f64_e32 v[4:5], v[8:9], v[94:95]
	s_wait_loadcnt 0x0
	s_delay_alu instid0(VALU_DEP_2) | instskip(NEXT) | instid1(VALU_DEP_2)
	v_add_f64_e64 v[2:3], v[110:111], -v[2:3]
	v_add_f64_e64 v[4:5], v[112:113], -v[4:5]
	scratch_store_b128 off, v[2:5], off offset:496
	s_wait_xcnt 0x0
	v_cmpx_lt_u32_e32 30, v1
	s_cbranch_execz .LBB37_181
; %bb.180:
	scratch_load_b128 v[2:5], off, s9
	v_mov_b32_e32 v8, 0
	s_delay_alu instid0(VALU_DEP_1)
	v_dual_mov_b32 v9, v8 :: v_dual_mov_b32 v10, v8
	v_mov_b32_e32 v11, v8
	scratch_store_b128 off, v[8:11], off offset:480
	s_wait_loadcnt 0x0
	ds_store_b128 v6, v[2:5]
.LBB37_181:
	s_wait_xcnt 0x0
	s_or_b32 exec_lo, exec_lo, s2
	s_wait_storecnt_dscnt 0x0
	s_barrier_signal -1
	s_barrier_wait -1
	s_clause 0x7
	scratch_load_b128 v[8:11], off, off offset:496
	scratch_load_b128 v[90:93], off, off offset:512
	;; [unrolled: 1-line block ×8, first 2 shown]
	v_mov_b32_e32 v2, 0
	ds_load_b128 v[118:121], v2 offset:1104
	ds_load_b128 v[122:125], v2 offset:1120
	s_mov_b32 s2, exec_lo
	s_wait_loadcnt_dscnt 0x701
	v_mul_f64_e32 v[4:5], v[120:121], v[10:11]
	v_mul_f64_e32 v[12:13], v[118:119], v[10:11]
	s_wait_loadcnt_dscnt 0x600
	v_mul_f64_e32 v[126:127], v[122:123], v[92:93]
	v_mul_f64_e32 v[92:93], v[124:125], v[92:93]
	s_delay_alu instid0(VALU_DEP_4) | instskip(NEXT) | instid1(VALU_DEP_4)
	v_fma_f64 v[4:5], v[118:119], v[8:9], -v[4:5]
	v_fmac_f64_e32 v[12:13], v[120:121], v[8:9]
	ds_load_b128 v[8:11], v2 offset:1136
	ds_load_b128 v[118:121], v2 offset:1152
	v_fmac_f64_e32 v[126:127], v[124:125], v[90:91]
	v_fma_f64 v[90:91], v[122:123], v[90:91], -v[92:93]
	s_wait_loadcnt_dscnt 0x501
	v_mul_f64_e32 v[128:129], v[8:9], v[96:97]
	v_mul_f64_e32 v[96:97], v[10:11], v[96:97]
	s_wait_loadcnt_dscnt 0x400
	v_mul_f64_e32 v[122:123], v[118:119], v[100:101]
	v_mul_f64_e32 v[100:101], v[120:121], v[100:101]
	v_add_f64_e32 v[4:5], 0, v[4:5]
	v_add_f64_e32 v[12:13], 0, v[12:13]
	v_fmac_f64_e32 v[128:129], v[10:11], v[94:95]
	v_fma_f64 v[94:95], v[8:9], v[94:95], -v[96:97]
	v_fmac_f64_e32 v[122:123], v[120:121], v[98:99]
	v_fma_f64 v[98:99], v[118:119], v[98:99], -v[100:101]
	v_add_f64_e32 v[4:5], v[4:5], v[90:91]
	v_add_f64_e32 v[12:13], v[12:13], v[126:127]
	ds_load_b128 v[8:11], v2 offset:1168
	ds_load_b128 v[90:93], v2 offset:1184
	s_wait_loadcnt_dscnt 0x301
	v_mul_f64_e32 v[96:97], v[8:9], v[104:105]
	v_mul_f64_e32 v[104:105], v[10:11], v[104:105]
	s_wait_loadcnt_dscnt 0x200
	v_mul_f64_e32 v[100:101], v[92:93], v[108:109]
	v_add_f64_e32 v[4:5], v[4:5], v[94:95]
	v_add_f64_e32 v[12:13], v[12:13], v[128:129]
	v_mul_f64_e32 v[94:95], v[90:91], v[108:109]
	v_fmac_f64_e32 v[96:97], v[10:11], v[102:103]
	v_fma_f64 v[102:103], v[8:9], v[102:103], -v[104:105]
	ds_load_b128 v[8:11], v2 offset:1200
	v_fma_f64 v[90:91], v[90:91], v[106:107], -v[100:101]
	v_add_f64_e32 v[4:5], v[4:5], v[98:99]
	v_add_f64_e32 v[12:13], v[12:13], v[122:123]
	v_fmac_f64_e32 v[94:95], v[92:93], v[106:107]
	s_wait_loadcnt_dscnt 0x100
	v_mul_f64_e32 v[98:99], v[8:9], v[112:113]
	v_mul_f64_e32 v[104:105], v[10:11], v[112:113]
	v_add_f64_e32 v[4:5], v[4:5], v[102:103]
	v_add_f64_e32 v[12:13], v[12:13], v[96:97]
	s_delay_alu instid0(VALU_DEP_4) | instskip(NEXT) | instid1(VALU_DEP_4)
	v_fmac_f64_e32 v[98:99], v[10:11], v[110:111]
	v_fma_f64 v[8:9], v[8:9], v[110:111], -v[104:105]
	s_delay_alu instid0(VALU_DEP_4) | instskip(NEXT) | instid1(VALU_DEP_4)
	v_add_f64_e32 v[4:5], v[4:5], v[90:91]
	v_add_f64_e32 v[10:11], v[12:13], v[94:95]
	s_delay_alu instid0(VALU_DEP_2) | instskip(NEXT) | instid1(VALU_DEP_2)
	v_add_f64_e32 v[4:5], v[4:5], v[8:9]
	v_add_f64_e32 v[10:11], v[10:11], v[98:99]
	s_wait_loadcnt 0x0
	s_delay_alu instid0(VALU_DEP_2) | instskip(NEXT) | instid1(VALU_DEP_2)
	v_add_f64_e64 v[8:9], v[114:115], -v[4:5]
	v_add_f64_e64 v[10:11], v[116:117], -v[10:11]
	scratch_store_b128 off, v[8:11], off offset:480
	s_wait_xcnt 0x0
	v_cmpx_lt_u32_e32 29, v1
	s_cbranch_execz .LBB37_183
; %bb.182:
	scratch_load_b128 v[8:11], off, s8
	v_dual_mov_b32 v3, v2 :: v_dual_mov_b32 v4, v2
	v_mov_b32_e32 v5, v2
	scratch_store_b128 off, v[2:5], off offset:464
	s_wait_loadcnt 0x0
	ds_store_b128 v6, v[8:11]
.LBB37_183:
	s_wait_xcnt 0x0
	s_or_b32 exec_lo, exec_lo, s2
	s_wait_storecnt_dscnt 0x0
	s_barrier_signal -1
	s_barrier_wait -1
	s_clause 0x7
	scratch_load_b128 v[8:11], off, off offset:480
	scratch_load_b128 v[90:93], off, off offset:496
	;; [unrolled: 1-line block ×8, first 2 shown]
	ds_load_b128 v[118:121], v2 offset:1088
	ds_load_b128 v[122:125], v2 offset:1104
	scratch_load_b128 v[126:129], off, off offset:464
	s_mov_b32 s2, exec_lo
	s_wait_loadcnt_dscnt 0x801
	v_mul_f64_e32 v[4:5], v[120:121], v[10:11]
	v_mul_f64_e32 v[12:13], v[118:119], v[10:11]
	s_wait_loadcnt_dscnt 0x700
	v_mul_f64_e32 v[130:131], v[122:123], v[92:93]
	v_mul_f64_e32 v[92:93], v[124:125], v[92:93]
	s_delay_alu instid0(VALU_DEP_4) | instskip(NEXT) | instid1(VALU_DEP_4)
	v_fma_f64 v[4:5], v[118:119], v[8:9], -v[4:5]
	v_fmac_f64_e32 v[12:13], v[120:121], v[8:9]
	ds_load_b128 v[8:11], v2 offset:1120
	ds_load_b128 v[118:121], v2 offset:1136
	v_fmac_f64_e32 v[130:131], v[124:125], v[90:91]
	v_fma_f64 v[90:91], v[122:123], v[90:91], -v[92:93]
	s_wait_loadcnt_dscnt 0x601
	v_mul_f64_e32 v[132:133], v[8:9], v[96:97]
	v_mul_f64_e32 v[96:97], v[10:11], v[96:97]
	s_wait_loadcnt_dscnt 0x500
	v_mul_f64_e32 v[122:123], v[118:119], v[100:101]
	v_mul_f64_e32 v[100:101], v[120:121], v[100:101]
	v_add_f64_e32 v[4:5], 0, v[4:5]
	v_add_f64_e32 v[12:13], 0, v[12:13]
	v_fmac_f64_e32 v[132:133], v[10:11], v[94:95]
	v_fma_f64 v[94:95], v[8:9], v[94:95], -v[96:97]
	v_fmac_f64_e32 v[122:123], v[120:121], v[98:99]
	v_fma_f64 v[98:99], v[118:119], v[98:99], -v[100:101]
	v_add_f64_e32 v[4:5], v[4:5], v[90:91]
	v_add_f64_e32 v[12:13], v[12:13], v[130:131]
	ds_load_b128 v[8:11], v2 offset:1152
	ds_load_b128 v[90:93], v2 offset:1168
	s_wait_loadcnt_dscnt 0x401
	v_mul_f64_e32 v[96:97], v[8:9], v[104:105]
	v_mul_f64_e32 v[104:105], v[10:11], v[104:105]
	s_wait_loadcnt_dscnt 0x300
	v_mul_f64_e32 v[100:101], v[92:93], v[108:109]
	v_add_f64_e32 v[4:5], v[4:5], v[94:95]
	v_add_f64_e32 v[12:13], v[12:13], v[132:133]
	v_mul_f64_e32 v[94:95], v[90:91], v[108:109]
	v_fmac_f64_e32 v[96:97], v[10:11], v[102:103]
	v_fma_f64 v[102:103], v[8:9], v[102:103], -v[104:105]
	v_fma_f64 v[90:91], v[90:91], v[106:107], -v[100:101]
	v_add_f64_e32 v[98:99], v[4:5], v[98:99]
	v_add_f64_e32 v[12:13], v[12:13], v[122:123]
	ds_load_b128 v[8:11], v2 offset:1184
	ds_load_b128 v[2:5], v2 offset:1200
	v_fmac_f64_e32 v[94:95], v[92:93], v[106:107]
	s_wait_loadcnt_dscnt 0x201
	v_mul_f64_e32 v[104:105], v[8:9], v[112:113]
	v_mul_f64_e32 v[108:109], v[10:11], v[112:113]
	v_add_f64_e32 v[92:93], v[98:99], v[102:103]
	v_add_f64_e32 v[12:13], v[12:13], v[96:97]
	s_wait_loadcnt_dscnt 0x100
	v_mul_f64_e32 v[96:97], v[2:3], v[116:117]
	v_mul_f64_e32 v[98:99], v[4:5], v[116:117]
	v_fmac_f64_e32 v[104:105], v[10:11], v[110:111]
	v_fma_f64 v[8:9], v[8:9], v[110:111], -v[108:109]
	v_add_f64_e32 v[10:11], v[92:93], v[90:91]
	v_add_f64_e32 v[12:13], v[12:13], v[94:95]
	v_fmac_f64_e32 v[96:97], v[4:5], v[114:115]
	v_fma_f64 v[2:3], v[2:3], v[114:115], -v[98:99]
	s_delay_alu instid0(VALU_DEP_4) | instskip(NEXT) | instid1(VALU_DEP_4)
	v_add_f64_e32 v[4:5], v[10:11], v[8:9]
	v_add_f64_e32 v[8:9], v[12:13], v[104:105]
	s_delay_alu instid0(VALU_DEP_2) | instskip(NEXT) | instid1(VALU_DEP_2)
	v_add_f64_e32 v[2:3], v[4:5], v[2:3]
	v_add_f64_e32 v[4:5], v[8:9], v[96:97]
	s_wait_loadcnt 0x0
	s_delay_alu instid0(VALU_DEP_2) | instskip(NEXT) | instid1(VALU_DEP_2)
	v_add_f64_e64 v[2:3], v[126:127], -v[2:3]
	v_add_f64_e64 v[4:5], v[128:129], -v[4:5]
	scratch_store_b128 off, v[2:5], off offset:464
	s_wait_xcnt 0x0
	v_cmpx_lt_u32_e32 28, v1
	s_cbranch_execz .LBB37_185
; %bb.184:
	scratch_load_b128 v[2:5], off, s11
	v_mov_b32_e32 v8, 0
	s_delay_alu instid0(VALU_DEP_1)
	v_dual_mov_b32 v9, v8 :: v_dual_mov_b32 v10, v8
	v_mov_b32_e32 v11, v8
	scratch_store_b128 off, v[8:11], off offset:448
	s_wait_loadcnt 0x0
	ds_store_b128 v6, v[2:5]
.LBB37_185:
	s_wait_xcnt 0x0
	s_or_b32 exec_lo, exec_lo, s2
	s_wait_storecnt_dscnt 0x0
	s_barrier_signal -1
	s_barrier_wait -1
	s_clause 0x8
	scratch_load_b128 v[8:11], off, off offset:464
	scratch_load_b128 v[90:93], off, off offset:480
	;; [unrolled: 1-line block ×9, first 2 shown]
	v_mov_b32_e32 v2, 0
	scratch_load_b128 v[126:129], off, off offset:448
	s_mov_b32 s2, exec_lo
	ds_load_b128 v[122:125], v2 offset:1072
	ds_load_b128 v[130:133], v2 offset:1088
	s_wait_loadcnt_dscnt 0x901
	v_mul_f64_e32 v[4:5], v[124:125], v[10:11]
	v_mul_f64_e32 v[12:13], v[122:123], v[10:11]
	s_wait_loadcnt_dscnt 0x800
	v_mul_f64_e32 v[134:135], v[130:131], v[92:93]
	v_mul_f64_e32 v[92:93], v[132:133], v[92:93]
	s_delay_alu instid0(VALU_DEP_4) | instskip(NEXT) | instid1(VALU_DEP_4)
	v_fma_f64 v[4:5], v[122:123], v[8:9], -v[4:5]
	v_fmac_f64_e32 v[12:13], v[124:125], v[8:9]
	ds_load_b128 v[8:11], v2 offset:1104
	ds_load_b128 v[122:125], v2 offset:1120
	v_fmac_f64_e32 v[134:135], v[132:133], v[90:91]
	v_fma_f64 v[90:91], v[130:131], v[90:91], -v[92:93]
	s_wait_loadcnt_dscnt 0x701
	v_mul_f64_e32 v[136:137], v[8:9], v[96:97]
	v_mul_f64_e32 v[96:97], v[10:11], v[96:97]
	s_wait_loadcnt_dscnt 0x600
	v_mul_f64_e32 v[130:131], v[122:123], v[100:101]
	v_mul_f64_e32 v[100:101], v[124:125], v[100:101]
	v_add_f64_e32 v[4:5], 0, v[4:5]
	v_add_f64_e32 v[12:13], 0, v[12:13]
	v_fmac_f64_e32 v[136:137], v[10:11], v[94:95]
	v_fma_f64 v[94:95], v[8:9], v[94:95], -v[96:97]
	v_fmac_f64_e32 v[130:131], v[124:125], v[98:99]
	v_fma_f64 v[98:99], v[122:123], v[98:99], -v[100:101]
	v_add_f64_e32 v[4:5], v[4:5], v[90:91]
	v_add_f64_e32 v[12:13], v[12:13], v[134:135]
	ds_load_b128 v[8:11], v2 offset:1136
	ds_load_b128 v[90:93], v2 offset:1152
	s_wait_loadcnt_dscnt 0x501
	v_mul_f64_e32 v[132:133], v[8:9], v[104:105]
	v_mul_f64_e32 v[96:97], v[10:11], v[104:105]
	s_wait_loadcnt_dscnt 0x400
	v_mul_f64_e32 v[100:101], v[90:91], v[108:109]
	v_mul_f64_e32 v[104:105], v[92:93], v[108:109]
	v_add_f64_e32 v[4:5], v[4:5], v[94:95]
	v_add_f64_e32 v[12:13], v[12:13], v[136:137]
	v_fmac_f64_e32 v[132:133], v[10:11], v[102:103]
	v_fma_f64 v[102:103], v[8:9], v[102:103], -v[96:97]
	ds_load_b128 v[8:11], v2 offset:1168
	ds_load_b128 v[94:97], v2 offset:1184
	v_fmac_f64_e32 v[100:101], v[92:93], v[106:107]
	v_fma_f64 v[90:91], v[90:91], v[106:107], -v[104:105]
	v_add_f64_e32 v[4:5], v[4:5], v[98:99]
	v_add_f64_e32 v[12:13], v[12:13], v[130:131]
	s_wait_loadcnt_dscnt 0x301
	v_mul_f64_e32 v[98:99], v[8:9], v[112:113]
	v_mul_f64_e32 v[108:109], v[10:11], v[112:113]
	s_wait_loadcnt_dscnt 0x200
	v_mul_f64_e32 v[92:93], v[94:95], v[116:117]
	v_add_f64_e32 v[4:5], v[4:5], v[102:103]
	v_add_f64_e32 v[12:13], v[12:13], v[132:133]
	v_mul_f64_e32 v[102:103], v[96:97], v[116:117]
	v_fmac_f64_e32 v[98:99], v[10:11], v[110:111]
	v_fma_f64 v[104:105], v[8:9], v[110:111], -v[108:109]
	ds_load_b128 v[8:11], v2 offset:1200
	v_fmac_f64_e32 v[92:93], v[96:97], v[114:115]
	v_add_f64_e32 v[4:5], v[4:5], v[90:91]
	v_add_f64_e32 v[12:13], v[12:13], v[100:101]
	s_wait_loadcnt_dscnt 0x100
	v_mul_f64_e32 v[90:91], v[8:9], v[120:121]
	v_mul_f64_e32 v[100:101], v[10:11], v[120:121]
	v_fma_f64 v[94:95], v[94:95], v[114:115], -v[102:103]
	v_add_f64_e32 v[4:5], v[4:5], v[104:105]
	v_add_f64_e32 v[12:13], v[12:13], v[98:99]
	v_fmac_f64_e32 v[90:91], v[10:11], v[118:119]
	v_fma_f64 v[8:9], v[8:9], v[118:119], -v[100:101]
	s_delay_alu instid0(VALU_DEP_4) | instskip(NEXT) | instid1(VALU_DEP_4)
	v_add_f64_e32 v[4:5], v[4:5], v[94:95]
	v_add_f64_e32 v[10:11], v[12:13], v[92:93]
	s_delay_alu instid0(VALU_DEP_2) | instskip(NEXT) | instid1(VALU_DEP_2)
	v_add_f64_e32 v[4:5], v[4:5], v[8:9]
	v_add_f64_e32 v[10:11], v[10:11], v[90:91]
	s_wait_loadcnt 0x0
	s_delay_alu instid0(VALU_DEP_2) | instskip(NEXT) | instid1(VALU_DEP_2)
	v_add_f64_e64 v[8:9], v[126:127], -v[4:5]
	v_add_f64_e64 v[10:11], v[128:129], -v[10:11]
	scratch_store_b128 off, v[8:11], off offset:448
	s_wait_xcnt 0x0
	v_cmpx_lt_u32_e32 27, v1
	s_cbranch_execz .LBB37_187
; %bb.186:
	scratch_load_b128 v[8:11], off, s10
	v_dual_mov_b32 v3, v2 :: v_dual_mov_b32 v4, v2
	v_mov_b32_e32 v5, v2
	scratch_store_b128 off, v[2:5], off offset:432
	s_wait_loadcnt 0x0
	ds_store_b128 v6, v[8:11]
.LBB37_187:
	s_wait_xcnt 0x0
	s_or_b32 exec_lo, exec_lo, s2
	s_wait_storecnt_dscnt 0x0
	s_barrier_signal -1
	s_barrier_wait -1
	s_clause 0x9
	scratch_load_b128 v[8:11], off, off offset:448
	scratch_load_b128 v[90:93], off, off offset:464
	;; [unrolled: 1-line block ×10, first 2 shown]
	ds_load_b128 v[126:129], v2 offset:1056
	ds_load_b128 v[130:133], v2 offset:1072
	scratch_load_b128 v[134:137], off, off offset:432
	s_mov_b32 s2, exec_lo
	s_wait_loadcnt_dscnt 0xa01
	v_mul_f64_e32 v[4:5], v[128:129], v[10:11]
	v_mul_f64_e32 v[12:13], v[126:127], v[10:11]
	s_wait_loadcnt_dscnt 0x900
	v_mul_f64_e32 v[138:139], v[130:131], v[92:93]
	v_mul_f64_e32 v[92:93], v[132:133], v[92:93]
	s_delay_alu instid0(VALU_DEP_4) | instskip(NEXT) | instid1(VALU_DEP_4)
	v_fma_f64 v[4:5], v[126:127], v[8:9], -v[4:5]
	v_fmac_f64_e32 v[12:13], v[128:129], v[8:9]
	ds_load_b128 v[8:11], v2 offset:1088
	ds_load_b128 v[126:129], v2 offset:1104
	v_fmac_f64_e32 v[138:139], v[132:133], v[90:91]
	v_fma_f64 v[90:91], v[130:131], v[90:91], -v[92:93]
	s_wait_loadcnt_dscnt 0x801
	v_mul_f64_e32 v[140:141], v[8:9], v[96:97]
	v_mul_f64_e32 v[96:97], v[10:11], v[96:97]
	s_wait_loadcnt_dscnt 0x700
	v_mul_f64_e32 v[130:131], v[126:127], v[100:101]
	v_mul_f64_e32 v[100:101], v[128:129], v[100:101]
	v_add_f64_e32 v[4:5], 0, v[4:5]
	v_add_f64_e32 v[12:13], 0, v[12:13]
	v_fmac_f64_e32 v[140:141], v[10:11], v[94:95]
	v_fma_f64 v[94:95], v[8:9], v[94:95], -v[96:97]
	v_fmac_f64_e32 v[130:131], v[128:129], v[98:99]
	v_fma_f64 v[98:99], v[126:127], v[98:99], -v[100:101]
	v_add_f64_e32 v[4:5], v[4:5], v[90:91]
	v_add_f64_e32 v[12:13], v[12:13], v[138:139]
	ds_load_b128 v[8:11], v2 offset:1120
	ds_load_b128 v[90:93], v2 offset:1136
	s_wait_loadcnt_dscnt 0x601
	v_mul_f64_e32 v[132:133], v[8:9], v[104:105]
	v_mul_f64_e32 v[96:97], v[10:11], v[104:105]
	s_wait_loadcnt_dscnt 0x500
	v_mul_f64_e32 v[100:101], v[90:91], v[108:109]
	v_mul_f64_e32 v[104:105], v[92:93], v[108:109]
	v_add_f64_e32 v[4:5], v[4:5], v[94:95]
	v_add_f64_e32 v[12:13], v[12:13], v[140:141]
	v_fmac_f64_e32 v[132:133], v[10:11], v[102:103]
	v_fma_f64 v[102:103], v[8:9], v[102:103], -v[96:97]
	ds_load_b128 v[8:11], v2 offset:1152
	ds_load_b128 v[94:97], v2 offset:1168
	v_fmac_f64_e32 v[100:101], v[92:93], v[106:107]
	v_fma_f64 v[90:91], v[90:91], v[106:107], -v[104:105]
	v_add_f64_e32 v[4:5], v[4:5], v[98:99]
	v_add_f64_e32 v[12:13], v[12:13], v[130:131]
	s_wait_loadcnt_dscnt 0x401
	v_mul_f64_e32 v[98:99], v[8:9], v[112:113]
	v_mul_f64_e32 v[108:109], v[10:11], v[112:113]
	s_wait_loadcnt_dscnt 0x300
	v_mul_f64_e32 v[92:93], v[94:95], v[116:117]
	v_add_f64_e32 v[4:5], v[4:5], v[102:103]
	v_add_f64_e32 v[12:13], v[12:13], v[132:133]
	v_mul_f64_e32 v[102:103], v[96:97], v[116:117]
	v_fmac_f64_e32 v[98:99], v[10:11], v[110:111]
	v_fma_f64 v[104:105], v[8:9], v[110:111], -v[108:109]
	v_fmac_f64_e32 v[92:93], v[96:97], v[114:115]
	v_add_f64_e32 v[90:91], v[4:5], v[90:91]
	v_add_f64_e32 v[12:13], v[12:13], v[100:101]
	ds_load_b128 v[8:11], v2 offset:1184
	ds_load_b128 v[2:5], v2 offset:1200
	v_fma_f64 v[94:95], v[94:95], v[114:115], -v[102:103]
	s_wait_loadcnt_dscnt 0x201
	v_mul_f64_e32 v[100:101], v[8:9], v[120:121]
	v_mul_f64_e32 v[106:107], v[10:11], v[120:121]
	s_wait_loadcnt_dscnt 0x100
	v_mul_f64_e32 v[96:97], v[2:3], v[124:125]
	v_add_f64_e32 v[90:91], v[90:91], v[104:105]
	v_add_f64_e32 v[12:13], v[12:13], v[98:99]
	v_mul_f64_e32 v[98:99], v[4:5], v[124:125]
	v_fmac_f64_e32 v[100:101], v[10:11], v[118:119]
	v_fma_f64 v[8:9], v[8:9], v[118:119], -v[106:107]
	v_fmac_f64_e32 v[96:97], v[4:5], v[122:123]
	v_add_f64_e32 v[10:11], v[90:91], v[94:95]
	v_add_f64_e32 v[12:13], v[12:13], v[92:93]
	v_fma_f64 v[2:3], v[2:3], v[122:123], -v[98:99]
	s_delay_alu instid0(VALU_DEP_3) | instskip(NEXT) | instid1(VALU_DEP_3)
	v_add_f64_e32 v[4:5], v[10:11], v[8:9]
	v_add_f64_e32 v[8:9], v[12:13], v[100:101]
	s_delay_alu instid0(VALU_DEP_2) | instskip(NEXT) | instid1(VALU_DEP_2)
	v_add_f64_e32 v[2:3], v[4:5], v[2:3]
	v_add_f64_e32 v[4:5], v[8:9], v[96:97]
	s_wait_loadcnt 0x0
	s_delay_alu instid0(VALU_DEP_2) | instskip(NEXT) | instid1(VALU_DEP_2)
	v_add_f64_e64 v[2:3], v[134:135], -v[2:3]
	v_add_f64_e64 v[4:5], v[136:137], -v[4:5]
	scratch_store_b128 off, v[2:5], off offset:432
	s_wait_xcnt 0x0
	v_cmpx_lt_u32_e32 26, v1
	s_cbranch_execz .LBB37_189
; %bb.188:
	scratch_load_b128 v[2:5], off, s14
	v_mov_b32_e32 v8, 0
	s_delay_alu instid0(VALU_DEP_1)
	v_dual_mov_b32 v9, v8 :: v_dual_mov_b32 v10, v8
	v_mov_b32_e32 v11, v8
	scratch_store_b128 off, v[8:11], off offset:416
	s_wait_loadcnt 0x0
	ds_store_b128 v6, v[2:5]
.LBB37_189:
	s_wait_xcnt 0x0
	s_or_b32 exec_lo, exec_lo, s2
	s_wait_storecnt_dscnt 0x0
	s_barrier_signal -1
	s_barrier_wait -1
	s_clause 0x9
	scratch_load_b128 v[8:11], off, off offset:432
	scratch_load_b128 v[90:93], off, off offset:448
	;; [unrolled: 1-line block ×10, first 2 shown]
	v_mov_b32_e32 v2, 0
	s_mov_b32 s2, exec_lo
	ds_load_b128 v[126:129], v2 offset:1040
	s_clause 0x1
	scratch_load_b128 v[130:133], off, off offset:592
	scratch_load_b128 v[134:137], off, off offset:416
	s_wait_loadcnt_dscnt 0xb00
	v_mul_f64_e32 v[4:5], v[128:129], v[10:11]
	v_mul_f64_e32 v[12:13], v[126:127], v[10:11]
	ds_load_b128 v[138:141], v2 offset:1056
	s_wait_loadcnt_dscnt 0xa00
	v_mul_f64_e32 v[142:143], v[138:139], v[92:93]
	v_mul_f64_e32 v[92:93], v[140:141], v[92:93]
	v_fma_f64 v[4:5], v[126:127], v[8:9], -v[4:5]
	v_fmac_f64_e32 v[12:13], v[128:129], v[8:9]
	ds_load_b128 v[8:11], v2 offset:1072
	ds_load_b128 v[126:129], v2 offset:1088
	s_wait_loadcnt_dscnt 0x901
	v_mul_f64_e32 v[144:145], v[8:9], v[96:97]
	v_mul_f64_e32 v[96:97], v[10:11], v[96:97]
	v_fmac_f64_e32 v[142:143], v[140:141], v[90:91]
	v_fma_f64 v[90:91], v[138:139], v[90:91], -v[92:93]
	s_wait_loadcnt_dscnt 0x800
	v_mul_f64_e32 v[138:139], v[126:127], v[100:101]
	v_mul_f64_e32 v[100:101], v[128:129], v[100:101]
	v_add_f64_e32 v[4:5], 0, v[4:5]
	v_add_f64_e32 v[12:13], 0, v[12:13]
	v_fmac_f64_e32 v[144:145], v[10:11], v[94:95]
	v_fma_f64 v[94:95], v[8:9], v[94:95], -v[96:97]
	v_fmac_f64_e32 v[138:139], v[128:129], v[98:99]
	v_fma_f64 v[98:99], v[126:127], v[98:99], -v[100:101]
	v_add_f64_e32 v[4:5], v[4:5], v[90:91]
	v_add_f64_e32 v[12:13], v[12:13], v[142:143]
	ds_load_b128 v[8:11], v2 offset:1104
	ds_load_b128 v[90:93], v2 offset:1120
	s_wait_loadcnt_dscnt 0x701
	v_mul_f64_e32 v[140:141], v[8:9], v[104:105]
	v_mul_f64_e32 v[96:97], v[10:11], v[104:105]
	s_wait_loadcnt_dscnt 0x600
	v_mul_f64_e32 v[100:101], v[90:91], v[108:109]
	v_mul_f64_e32 v[104:105], v[92:93], v[108:109]
	v_add_f64_e32 v[4:5], v[4:5], v[94:95]
	v_add_f64_e32 v[12:13], v[12:13], v[144:145]
	v_fmac_f64_e32 v[140:141], v[10:11], v[102:103]
	v_fma_f64 v[102:103], v[8:9], v[102:103], -v[96:97]
	ds_load_b128 v[8:11], v2 offset:1136
	ds_load_b128 v[94:97], v2 offset:1152
	v_fmac_f64_e32 v[100:101], v[92:93], v[106:107]
	v_fma_f64 v[90:91], v[90:91], v[106:107], -v[104:105]
	v_add_f64_e32 v[4:5], v[4:5], v[98:99]
	v_add_f64_e32 v[12:13], v[12:13], v[138:139]
	s_wait_loadcnt_dscnt 0x501
	v_mul_f64_e32 v[98:99], v[8:9], v[112:113]
	v_mul_f64_e32 v[108:109], v[10:11], v[112:113]
	s_wait_loadcnt_dscnt 0x400
	v_mul_f64_e32 v[104:105], v[96:97], v[116:117]
	v_add_f64_e32 v[4:5], v[4:5], v[102:103]
	v_add_f64_e32 v[12:13], v[12:13], v[140:141]
	v_mul_f64_e32 v[102:103], v[94:95], v[116:117]
	v_fmac_f64_e32 v[98:99], v[10:11], v[110:111]
	v_fma_f64 v[106:107], v[8:9], v[110:111], -v[108:109]
	v_fma_f64 v[94:95], v[94:95], v[114:115], -v[104:105]
	v_add_f64_e32 v[4:5], v[4:5], v[90:91]
	v_add_f64_e32 v[12:13], v[12:13], v[100:101]
	ds_load_b128 v[8:11], v2 offset:1168
	ds_load_b128 v[90:93], v2 offset:1184
	v_fmac_f64_e32 v[102:103], v[96:97], v[114:115]
	s_wait_loadcnt_dscnt 0x301
	v_mul_f64_e32 v[100:101], v[8:9], v[120:121]
	v_mul_f64_e32 v[108:109], v[10:11], v[120:121]
	s_wait_loadcnt_dscnt 0x200
	v_mul_f64_e32 v[96:97], v[90:91], v[124:125]
	v_add_f64_e32 v[4:5], v[4:5], v[106:107]
	v_add_f64_e32 v[12:13], v[12:13], v[98:99]
	v_mul_f64_e32 v[98:99], v[92:93], v[124:125]
	v_fmac_f64_e32 v[100:101], v[10:11], v[118:119]
	v_fma_f64 v[104:105], v[8:9], v[118:119], -v[108:109]
	ds_load_b128 v[8:11], v2 offset:1200
	v_fmac_f64_e32 v[96:97], v[92:93], v[122:123]
	v_add_f64_e32 v[4:5], v[4:5], v[94:95]
	v_add_f64_e32 v[12:13], v[12:13], v[102:103]
	v_fma_f64 v[90:91], v[90:91], v[122:123], -v[98:99]
	s_wait_loadcnt_dscnt 0x100
	v_mul_f64_e32 v[94:95], v[8:9], v[132:133]
	v_mul_f64_e32 v[102:103], v[10:11], v[132:133]
	v_add_f64_e32 v[4:5], v[4:5], v[104:105]
	v_add_f64_e32 v[12:13], v[12:13], v[100:101]
	s_delay_alu instid0(VALU_DEP_4) | instskip(NEXT) | instid1(VALU_DEP_4)
	v_fmac_f64_e32 v[94:95], v[10:11], v[130:131]
	v_fma_f64 v[8:9], v[8:9], v[130:131], -v[102:103]
	s_delay_alu instid0(VALU_DEP_4) | instskip(NEXT) | instid1(VALU_DEP_4)
	v_add_f64_e32 v[4:5], v[4:5], v[90:91]
	v_add_f64_e32 v[10:11], v[12:13], v[96:97]
	s_delay_alu instid0(VALU_DEP_2) | instskip(NEXT) | instid1(VALU_DEP_2)
	v_add_f64_e32 v[4:5], v[4:5], v[8:9]
	v_add_f64_e32 v[10:11], v[10:11], v[94:95]
	s_wait_loadcnt 0x0
	s_delay_alu instid0(VALU_DEP_2) | instskip(NEXT) | instid1(VALU_DEP_2)
	v_add_f64_e64 v[8:9], v[134:135], -v[4:5]
	v_add_f64_e64 v[10:11], v[136:137], -v[10:11]
	scratch_store_b128 off, v[8:11], off offset:416
	s_wait_xcnt 0x0
	v_cmpx_lt_u32_e32 25, v1
	s_cbranch_execz .LBB37_191
; %bb.190:
	scratch_load_b128 v[8:11], off, s12
	v_dual_mov_b32 v3, v2 :: v_dual_mov_b32 v4, v2
	v_mov_b32_e32 v5, v2
	scratch_store_b128 off, v[2:5], off offset:400
	s_wait_loadcnt 0x0
	ds_store_b128 v6, v[8:11]
.LBB37_191:
	s_wait_xcnt 0x0
	s_or_b32 exec_lo, exec_lo, s2
	s_wait_storecnt_dscnt 0x0
	s_barrier_signal -1
	s_barrier_wait -1
	s_clause 0x9
	scratch_load_b128 v[8:11], off, off offset:416
	scratch_load_b128 v[90:93], off, off offset:432
	scratch_load_b128 v[94:97], off, off offset:448
	scratch_load_b128 v[98:101], off, off offset:464
	scratch_load_b128 v[102:105], off, off offset:480
	scratch_load_b128 v[106:109], off, off offset:496
	scratch_load_b128 v[110:113], off, off offset:512
	scratch_load_b128 v[114:117], off, off offset:528
	scratch_load_b128 v[118:121], off, off offset:544
	scratch_load_b128 v[122:125], off, off offset:560
	ds_load_b128 v[126:129], v2 offset:1024
	ds_load_b128 v[134:137], v2 offset:1040
	s_clause 0x1
	scratch_load_b128 v[130:133], off, off offset:576
	scratch_load_b128 v[138:141], off, off offset:400
	s_mov_b32 s2, exec_lo
	s_wait_loadcnt_dscnt 0xb01
	v_mul_f64_e32 v[4:5], v[128:129], v[10:11]
	v_mul_f64_e32 v[146:147], v[126:127], v[10:11]
	scratch_load_b128 v[10:13], off, off offset:592
	s_wait_loadcnt_dscnt 0xb00
	v_mul_f64_e32 v[148:149], v[134:135], v[92:93]
	v_mul_f64_e32 v[92:93], v[136:137], v[92:93]
	v_fma_f64 v[4:5], v[126:127], v[8:9], -v[4:5]
	v_fmac_f64_e32 v[146:147], v[128:129], v[8:9]
	ds_load_b128 v[126:129], v2 offset:1056
	ds_load_b128 v[142:145], v2 offset:1072
	v_fmac_f64_e32 v[148:149], v[136:137], v[90:91]
	v_fma_f64 v[90:91], v[134:135], v[90:91], -v[92:93]
	s_wait_loadcnt_dscnt 0xa01
	v_mul_f64_e32 v[8:9], v[126:127], v[96:97]
	v_mul_f64_e32 v[96:97], v[128:129], v[96:97]
	s_wait_loadcnt_dscnt 0x900
	v_mul_f64_e32 v[134:135], v[142:143], v[100:101]
	v_mul_f64_e32 v[100:101], v[144:145], v[100:101]
	v_add_f64_e32 v[4:5], 0, v[4:5]
	v_add_f64_e32 v[92:93], 0, v[146:147]
	v_fmac_f64_e32 v[8:9], v[128:129], v[94:95]
	v_fma_f64 v[126:127], v[126:127], v[94:95], -v[96:97]
	v_fmac_f64_e32 v[134:135], v[144:145], v[98:99]
	v_fma_f64 v[98:99], v[142:143], v[98:99], -v[100:101]
	v_add_f64_e32 v[4:5], v[4:5], v[90:91]
	v_add_f64_e32 v[128:129], v[92:93], v[148:149]
	ds_load_b128 v[90:93], v2 offset:1088
	ds_load_b128 v[94:97], v2 offset:1104
	s_wait_loadcnt_dscnt 0x801
	v_mul_f64_e32 v[136:137], v[90:91], v[104:105]
	v_mul_f64_e32 v[104:105], v[92:93], v[104:105]
	v_add_f64_e32 v[4:5], v[4:5], v[126:127]
	v_add_f64_e32 v[8:9], v[128:129], v[8:9]
	s_wait_loadcnt_dscnt 0x700
	v_mul_f64_e32 v[126:127], v[94:95], v[108:109]
	v_mul_f64_e32 v[108:109], v[96:97], v[108:109]
	v_fmac_f64_e32 v[136:137], v[92:93], v[102:103]
	v_fma_f64 v[102:103], v[90:91], v[102:103], -v[104:105]
	v_add_f64_e32 v[4:5], v[4:5], v[98:99]
	v_add_f64_e32 v[8:9], v[8:9], v[134:135]
	ds_load_b128 v[90:93], v2 offset:1120
	ds_load_b128 v[98:101], v2 offset:1136
	v_fmac_f64_e32 v[126:127], v[96:97], v[106:107]
	v_fma_f64 v[94:95], v[94:95], v[106:107], -v[108:109]
	s_wait_loadcnt_dscnt 0x601
	v_mul_f64_e32 v[104:105], v[90:91], v[112:113]
	v_mul_f64_e32 v[112:113], v[92:93], v[112:113]
	s_wait_loadcnt_dscnt 0x500
	v_mul_f64_e32 v[106:107], v[100:101], v[116:117]
	v_add_f64_e32 v[4:5], v[4:5], v[102:103]
	v_add_f64_e32 v[8:9], v[8:9], v[136:137]
	v_mul_f64_e32 v[102:103], v[98:99], v[116:117]
	v_fmac_f64_e32 v[104:105], v[92:93], v[110:111]
	v_fma_f64 v[108:109], v[90:91], v[110:111], -v[112:113]
	v_fma_f64 v[98:99], v[98:99], v[114:115], -v[106:107]
	v_add_f64_e32 v[4:5], v[4:5], v[94:95]
	v_add_f64_e32 v[8:9], v[8:9], v[126:127]
	ds_load_b128 v[90:93], v2 offset:1152
	ds_load_b128 v[94:97], v2 offset:1168
	v_fmac_f64_e32 v[102:103], v[100:101], v[114:115]
	s_wait_loadcnt_dscnt 0x401
	v_mul_f64_e32 v[110:111], v[90:91], v[120:121]
	v_mul_f64_e32 v[112:113], v[92:93], v[120:121]
	s_wait_loadcnt_dscnt 0x300
	v_mul_f64_e32 v[100:101], v[94:95], v[124:125]
	v_add_f64_e32 v[4:5], v[4:5], v[108:109]
	v_add_f64_e32 v[8:9], v[8:9], v[104:105]
	v_mul_f64_e32 v[104:105], v[96:97], v[124:125]
	v_fmac_f64_e32 v[110:111], v[92:93], v[118:119]
	v_fma_f64 v[106:107], v[90:91], v[118:119], -v[112:113]
	v_fmac_f64_e32 v[100:101], v[96:97], v[122:123]
	v_add_f64_e32 v[98:99], v[4:5], v[98:99]
	v_add_f64_e32 v[8:9], v[8:9], v[102:103]
	ds_load_b128 v[90:93], v2 offset:1184
	ds_load_b128 v[2:5], v2 offset:1200
	v_fma_f64 v[94:95], v[94:95], v[122:123], -v[104:105]
	s_wait_loadcnt_dscnt 0x201
	v_mul_f64_e32 v[102:103], v[90:91], v[132:133]
	v_mul_f64_e32 v[108:109], v[92:93], v[132:133]
	v_add_f64_e32 v[96:97], v[98:99], v[106:107]
	v_add_f64_e32 v[8:9], v[8:9], v[110:111]
	s_wait_loadcnt_dscnt 0x0
	v_mul_f64_e32 v[98:99], v[2:3], v[12:13]
	v_mul_f64_e32 v[12:13], v[4:5], v[12:13]
	v_fmac_f64_e32 v[102:103], v[92:93], v[130:131]
	v_fma_f64 v[90:91], v[90:91], v[130:131], -v[108:109]
	v_add_f64_e32 v[92:93], v[96:97], v[94:95]
	v_add_f64_e32 v[8:9], v[8:9], v[100:101]
	v_fmac_f64_e32 v[98:99], v[4:5], v[10:11]
	v_fma_f64 v[2:3], v[2:3], v[10:11], -v[12:13]
	s_delay_alu instid0(VALU_DEP_4) | instskip(NEXT) | instid1(VALU_DEP_4)
	v_add_f64_e32 v[4:5], v[92:93], v[90:91]
	v_add_f64_e32 v[8:9], v[8:9], v[102:103]
	s_delay_alu instid0(VALU_DEP_2) | instskip(NEXT) | instid1(VALU_DEP_2)
	v_add_f64_e32 v[2:3], v[4:5], v[2:3]
	v_add_f64_e32 v[4:5], v[8:9], v[98:99]
	s_delay_alu instid0(VALU_DEP_2) | instskip(NEXT) | instid1(VALU_DEP_2)
	v_add_f64_e64 v[2:3], v[138:139], -v[2:3]
	v_add_f64_e64 v[4:5], v[140:141], -v[4:5]
	scratch_store_b128 off, v[2:5], off offset:400
	s_wait_xcnt 0x0
	v_cmpx_lt_u32_e32 24, v1
	s_cbranch_execz .LBB37_193
; %bb.192:
	scratch_load_b128 v[2:5], off, s23
	v_mov_b32_e32 v8, 0
	s_delay_alu instid0(VALU_DEP_1)
	v_dual_mov_b32 v9, v8 :: v_dual_mov_b32 v10, v8
	v_mov_b32_e32 v11, v8
	scratch_store_b128 off, v[8:11], off offset:384
	s_wait_loadcnt 0x0
	ds_store_b128 v6, v[2:5]
.LBB37_193:
	s_wait_xcnt 0x0
	s_or_b32 exec_lo, exec_lo, s2
	s_wait_storecnt_dscnt 0x0
	s_barrier_signal -1
	s_barrier_wait -1
	s_clause 0x9
	scratch_load_b128 v[8:11], off, off offset:400
	scratch_load_b128 v[90:93], off, off offset:416
	;; [unrolled: 1-line block ×10, first 2 shown]
	v_mov_b32_e32 v2, 0
	s_mov_b32 s2, exec_lo
	ds_load_b128 v[126:129], v2 offset:1008
	s_clause 0x2
	scratch_load_b128 v[130:133], off, off offset:560
	scratch_load_b128 v[134:137], off, off offset:384
	;; [unrolled: 1-line block ×3, first 2 shown]
	s_wait_loadcnt_dscnt 0xc00
	v_mul_f64_e32 v[4:5], v[128:129], v[10:11]
	v_mul_f64_e32 v[150:151], v[126:127], v[10:11]
	ds_load_b128 v[138:141], v2 offset:1024
	scratch_load_b128 v[10:13], off, off offset:576
	ds_load_b128 v[146:149], v2 offset:1056
	v_fma_f64 v[4:5], v[126:127], v[8:9], -v[4:5]
	v_fmac_f64_e32 v[150:151], v[128:129], v[8:9]
	ds_load_b128 v[126:129], v2 offset:1040
	s_wait_loadcnt_dscnt 0xc02
	v_mul_f64_e32 v[152:153], v[138:139], v[92:93]
	v_mul_f64_e32 v[92:93], v[140:141], v[92:93]
	s_wait_loadcnt_dscnt 0xb00
	v_mul_f64_e32 v[8:9], v[126:127], v[96:97]
	v_mul_f64_e32 v[96:97], v[128:129], v[96:97]
	v_add_f64_e32 v[4:5], 0, v[4:5]
	v_fmac_f64_e32 v[152:153], v[140:141], v[90:91]
	v_fma_f64 v[90:91], v[138:139], v[90:91], -v[92:93]
	v_add_f64_e32 v[92:93], 0, v[150:151]
	s_wait_loadcnt 0xa
	v_mul_f64_e32 v[138:139], v[146:147], v[100:101]
	v_mul_f64_e32 v[100:101], v[148:149], v[100:101]
	v_fmac_f64_e32 v[8:9], v[128:129], v[94:95]
	v_fma_f64 v[126:127], v[126:127], v[94:95], -v[96:97]
	v_add_f64_e32 v[4:5], v[4:5], v[90:91]
	v_add_f64_e32 v[128:129], v[92:93], v[152:153]
	ds_load_b128 v[90:93], v2 offset:1072
	ds_load_b128 v[94:97], v2 offset:1088
	v_fmac_f64_e32 v[138:139], v[148:149], v[98:99]
	v_fma_f64 v[98:99], v[146:147], v[98:99], -v[100:101]
	s_wait_loadcnt_dscnt 0x901
	v_mul_f64_e32 v[140:141], v[90:91], v[104:105]
	v_mul_f64_e32 v[104:105], v[92:93], v[104:105]
	v_add_f64_e32 v[4:5], v[4:5], v[126:127]
	v_add_f64_e32 v[8:9], v[128:129], v[8:9]
	s_wait_loadcnt_dscnt 0x800
	v_mul_f64_e32 v[126:127], v[94:95], v[108:109]
	v_mul_f64_e32 v[108:109], v[96:97], v[108:109]
	v_fmac_f64_e32 v[140:141], v[92:93], v[102:103]
	v_fma_f64 v[102:103], v[90:91], v[102:103], -v[104:105]
	v_add_f64_e32 v[4:5], v[4:5], v[98:99]
	v_add_f64_e32 v[8:9], v[8:9], v[138:139]
	ds_load_b128 v[90:93], v2 offset:1104
	ds_load_b128 v[98:101], v2 offset:1120
	v_fmac_f64_e32 v[126:127], v[96:97], v[106:107]
	v_fma_f64 v[94:95], v[94:95], v[106:107], -v[108:109]
	s_wait_loadcnt_dscnt 0x701
	v_mul_f64_e32 v[104:105], v[90:91], v[112:113]
	v_mul_f64_e32 v[112:113], v[92:93], v[112:113]
	s_wait_loadcnt_dscnt 0x600
	v_mul_f64_e32 v[106:107], v[100:101], v[116:117]
	v_add_f64_e32 v[4:5], v[4:5], v[102:103]
	v_add_f64_e32 v[8:9], v[8:9], v[140:141]
	v_mul_f64_e32 v[102:103], v[98:99], v[116:117]
	v_fmac_f64_e32 v[104:105], v[92:93], v[110:111]
	v_fma_f64 v[108:109], v[90:91], v[110:111], -v[112:113]
	v_fma_f64 v[98:99], v[98:99], v[114:115], -v[106:107]
	v_add_f64_e32 v[4:5], v[4:5], v[94:95]
	v_add_f64_e32 v[8:9], v[8:9], v[126:127]
	ds_load_b128 v[90:93], v2 offset:1136
	ds_load_b128 v[94:97], v2 offset:1152
	v_fmac_f64_e32 v[102:103], v[100:101], v[114:115]
	s_wait_loadcnt_dscnt 0x501
	v_mul_f64_e32 v[110:111], v[90:91], v[120:121]
	v_mul_f64_e32 v[112:113], v[92:93], v[120:121]
	s_wait_loadcnt_dscnt 0x400
	v_mul_f64_e32 v[106:107], v[96:97], v[124:125]
	v_add_f64_e32 v[4:5], v[4:5], v[108:109]
	v_add_f64_e32 v[8:9], v[8:9], v[104:105]
	v_mul_f64_e32 v[104:105], v[94:95], v[124:125]
	v_fmac_f64_e32 v[110:111], v[92:93], v[118:119]
	v_fma_f64 v[108:109], v[90:91], v[118:119], -v[112:113]
	v_fma_f64 v[94:95], v[94:95], v[122:123], -v[106:107]
	v_add_f64_e32 v[4:5], v[4:5], v[98:99]
	v_add_f64_e32 v[8:9], v[8:9], v[102:103]
	ds_load_b128 v[90:93], v2 offset:1168
	ds_load_b128 v[98:101], v2 offset:1184
	v_fmac_f64_e32 v[104:105], v[96:97], v[122:123]
	s_wait_loadcnt_dscnt 0x301
	v_mul_f64_e32 v[102:103], v[90:91], v[132:133]
	v_mul_f64_e32 v[112:113], v[92:93], v[132:133]
	s_wait_loadcnt_dscnt 0x0
	v_mul_f64_e32 v[96:97], v[98:99], v[12:13]
	v_add_f64_e32 v[4:5], v[4:5], v[108:109]
	v_add_f64_e32 v[8:9], v[8:9], v[110:111]
	v_mul_f64_e32 v[12:13], v[100:101], v[12:13]
	v_fmac_f64_e32 v[102:103], v[92:93], v[130:131]
	v_fma_f64 v[106:107], v[90:91], v[130:131], -v[112:113]
	ds_load_b128 v[90:93], v2 offset:1200
	v_fmac_f64_e32 v[96:97], v[100:101], v[10:11]
	v_add_f64_e32 v[4:5], v[4:5], v[94:95]
	v_add_f64_e32 v[8:9], v[8:9], v[104:105]
	v_fma_f64 v[10:11], v[98:99], v[10:11], -v[12:13]
	s_wait_dscnt 0x0
	v_mul_f64_e32 v[94:95], v[90:91], v[144:145]
	v_mul_f64_e32 v[104:105], v[92:93], v[144:145]
	v_add_f64_e32 v[4:5], v[4:5], v[106:107]
	v_add_f64_e32 v[8:9], v[8:9], v[102:103]
	s_delay_alu instid0(VALU_DEP_4) | instskip(NEXT) | instid1(VALU_DEP_4)
	v_fmac_f64_e32 v[94:95], v[92:93], v[142:143]
	v_fma_f64 v[12:13], v[90:91], v[142:143], -v[104:105]
	s_delay_alu instid0(VALU_DEP_4) | instskip(NEXT) | instid1(VALU_DEP_4)
	v_add_f64_e32 v[4:5], v[4:5], v[10:11]
	v_add_f64_e32 v[8:9], v[8:9], v[96:97]
	s_delay_alu instid0(VALU_DEP_2) | instskip(NEXT) | instid1(VALU_DEP_2)
	v_add_f64_e32 v[4:5], v[4:5], v[12:13]
	v_add_f64_e32 v[10:11], v[8:9], v[94:95]
	s_delay_alu instid0(VALU_DEP_2) | instskip(NEXT) | instid1(VALU_DEP_2)
	v_add_f64_e64 v[8:9], v[134:135], -v[4:5]
	v_add_f64_e64 v[10:11], v[136:137], -v[10:11]
	scratch_store_b128 off, v[8:11], off offset:384
	s_wait_xcnt 0x0
	v_cmpx_lt_u32_e32 23, v1
	s_cbranch_execz .LBB37_195
; %bb.194:
	scratch_load_b128 v[8:11], off, s20
	v_dual_mov_b32 v3, v2 :: v_dual_mov_b32 v4, v2
	v_mov_b32_e32 v5, v2
	scratch_store_b128 off, v[2:5], off offset:368
	s_wait_loadcnt 0x0
	ds_store_b128 v6, v[8:11]
.LBB37_195:
	s_wait_xcnt 0x0
	s_or_b32 exec_lo, exec_lo, s2
	s_wait_storecnt_dscnt 0x0
	s_barrier_signal -1
	s_barrier_wait -1
	s_clause 0x9
	scratch_load_b128 v[8:11], off, off offset:384
	scratch_load_b128 v[90:93], off, off offset:400
	;; [unrolled: 1-line block ×10, first 2 shown]
	ds_load_b128 v[126:129], v2 offset:992
	ds_load_b128 v[134:137], v2 offset:1008
	s_clause 0x1
	scratch_load_b128 v[130:133], off, off offset:544
	scratch_load_b128 v[138:141], off, off offset:368
	s_mov_b32 s2, exec_lo
	s_wait_loadcnt_dscnt 0xb01
	v_mul_f64_e32 v[4:5], v[128:129], v[10:11]
	v_mul_f64_e32 v[150:151], v[126:127], v[10:11]
	scratch_load_b128 v[10:13], off, off offset:560
	s_wait_loadcnt_dscnt 0xb00
	v_mul_f64_e32 v[152:153], v[134:135], v[92:93]
	v_mul_f64_e32 v[92:93], v[136:137], v[92:93]
	v_fma_f64 v[4:5], v[126:127], v[8:9], -v[4:5]
	v_fmac_f64_e32 v[150:151], v[128:129], v[8:9]
	ds_load_b128 v[126:129], v2 offset:1024
	ds_load_b128 v[142:145], v2 offset:1040
	scratch_load_b128 v[146:149], off, off offset:576
	v_fmac_f64_e32 v[152:153], v[136:137], v[90:91]
	v_fma_f64 v[134:135], v[134:135], v[90:91], -v[92:93]
	scratch_load_b128 v[90:93], off, off offset:592
	s_wait_loadcnt_dscnt 0xc01
	v_mul_f64_e32 v[8:9], v[126:127], v[96:97]
	v_mul_f64_e32 v[96:97], v[128:129], v[96:97]
	v_add_f64_e32 v[4:5], 0, v[4:5]
	v_add_f64_e32 v[136:137], 0, v[150:151]
	s_wait_loadcnt_dscnt 0xb00
	v_mul_f64_e32 v[150:151], v[142:143], v[100:101]
	v_mul_f64_e32 v[100:101], v[144:145], v[100:101]
	v_fmac_f64_e32 v[8:9], v[128:129], v[94:95]
	v_fma_f64 v[154:155], v[126:127], v[94:95], -v[96:97]
	ds_load_b128 v[94:97], v2 offset:1056
	ds_load_b128 v[126:129], v2 offset:1072
	v_add_f64_e32 v[4:5], v[4:5], v[134:135]
	v_add_f64_e32 v[134:135], v[136:137], v[152:153]
	v_fmac_f64_e32 v[150:151], v[144:145], v[98:99]
	v_fma_f64 v[98:99], v[142:143], v[98:99], -v[100:101]
	s_wait_loadcnt_dscnt 0xa01
	v_mul_f64_e32 v[136:137], v[94:95], v[104:105]
	v_mul_f64_e32 v[104:105], v[96:97], v[104:105]
	v_add_f64_e32 v[4:5], v[4:5], v[154:155]
	v_add_f64_e32 v[8:9], v[134:135], v[8:9]
	s_wait_loadcnt_dscnt 0x900
	v_mul_f64_e32 v[134:135], v[126:127], v[108:109]
	v_mul_f64_e32 v[108:109], v[128:129], v[108:109]
	v_fmac_f64_e32 v[136:137], v[96:97], v[102:103]
	v_fma_f64 v[102:103], v[94:95], v[102:103], -v[104:105]
	v_add_f64_e32 v[4:5], v[4:5], v[98:99]
	v_add_f64_e32 v[8:9], v[8:9], v[150:151]
	ds_load_b128 v[94:97], v2 offset:1088
	ds_load_b128 v[98:101], v2 offset:1104
	v_fmac_f64_e32 v[134:135], v[128:129], v[106:107]
	v_fma_f64 v[106:107], v[126:127], v[106:107], -v[108:109]
	s_wait_loadcnt_dscnt 0x801
	v_mul_f64_e32 v[142:143], v[94:95], v[112:113]
	v_mul_f64_e32 v[104:105], v[96:97], v[112:113]
	s_wait_loadcnt_dscnt 0x700
	v_mul_f64_e32 v[108:109], v[98:99], v[116:117]
	v_mul_f64_e32 v[112:113], v[100:101], v[116:117]
	v_add_f64_e32 v[4:5], v[4:5], v[102:103]
	v_add_f64_e32 v[8:9], v[8:9], v[136:137]
	v_fmac_f64_e32 v[142:143], v[96:97], v[110:111]
	v_fma_f64 v[110:111], v[94:95], v[110:111], -v[104:105]
	ds_load_b128 v[94:97], v2 offset:1120
	ds_load_b128 v[102:105], v2 offset:1136
	v_fmac_f64_e32 v[108:109], v[100:101], v[114:115]
	v_fma_f64 v[98:99], v[98:99], v[114:115], -v[112:113]
	v_add_f64_e32 v[4:5], v[4:5], v[106:107]
	v_add_f64_e32 v[8:9], v[8:9], v[134:135]
	s_wait_loadcnt_dscnt 0x601
	v_mul_f64_e32 v[106:107], v[94:95], v[120:121]
	v_mul_f64_e32 v[116:117], v[96:97], v[120:121]
	s_wait_loadcnt_dscnt 0x500
	v_mul_f64_e32 v[112:113], v[104:105], v[124:125]
	v_add_f64_e32 v[4:5], v[4:5], v[110:111]
	v_add_f64_e32 v[8:9], v[8:9], v[142:143]
	v_mul_f64_e32 v[110:111], v[102:103], v[124:125]
	v_fmac_f64_e32 v[106:107], v[96:97], v[118:119]
	v_fma_f64 v[114:115], v[94:95], v[118:119], -v[116:117]
	v_fma_f64 v[102:103], v[102:103], v[122:123], -v[112:113]
	v_add_f64_e32 v[4:5], v[4:5], v[98:99]
	v_add_f64_e32 v[8:9], v[8:9], v[108:109]
	ds_load_b128 v[94:97], v2 offset:1152
	ds_load_b128 v[98:101], v2 offset:1168
	v_fmac_f64_e32 v[110:111], v[104:105], v[122:123]
	s_wait_loadcnt_dscnt 0x401
	v_mul_f64_e32 v[108:109], v[94:95], v[132:133]
	v_mul_f64_e32 v[116:117], v[96:97], v[132:133]
	v_add_f64_e32 v[4:5], v[4:5], v[114:115]
	v_add_f64_e32 v[8:9], v[8:9], v[106:107]
	s_wait_loadcnt_dscnt 0x200
	v_mul_f64_e32 v[104:105], v[98:99], v[12:13]
	v_mul_f64_e32 v[12:13], v[100:101], v[12:13]
	v_fmac_f64_e32 v[108:109], v[96:97], v[130:131]
	v_fma_f64 v[106:107], v[94:95], v[130:131], -v[116:117]
	v_add_f64_e32 v[102:103], v[4:5], v[102:103]
	v_add_f64_e32 v[8:9], v[8:9], v[110:111]
	ds_load_b128 v[94:97], v2 offset:1184
	ds_load_b128 v[2:5], v2 offset:1200
	v_fmac_f64_e32 v[104:105], v[100:101], v[10:11]
	v_fma_f64 v[10:11], v[98:99], v[10:11], -v[12:13]
	s_wait_loadcnt_dscnt 0x101
	v_mul_f64_e32 v[110:111], v[94:95], v[148:149]
	v_mul_f64_e32 v[112:113], v[96:97], v[148:149]
	s_wait_loadcnt_dscnt 0x0
	v_mul_f64_e32 v[98:99], v[2:3], v[92:93]
	v_mul_f64_e32 v[92:93], v[4:5], v[92:93]
	v_add_f64_e32 v[12:13], v[102:103], v[106:107]
	v_add_f64_e32 v[8:9], v[8:9], v[108:109]
	v_fmac_f64_e32 v[110:111], v[96:97], v[146:147]
	v_fma_f64 v[94:95], v[94:95], v[146:147], -v[112:113]
	v_fmac_f64_e32 v[98:99], v[4:5], v[90:91]
	v_fma_f64 v[2:3], v[2:3], v[90:91], -v[92:93]
	v_add_f64_e32 v[10:11], v[12:13], v[10:11]
	v_add_f64_e32 v[8:9], v[8:9], v[104:105]
	s_delay_alu instid0(VALU_DEP_2) | instskip(NEXT) | instid1(VALU_DEP_2)
	v_add_f64_e32 v[4:5], v[10:11], v[94:95]
	v_add_f64_e32 v[8:9], v[8:9], v[110:111]
	s_delay_alu instid0(VALU_DEP_2) | instskip(NEXT) | instid1(VALU_DEP_2)
	;; [unrolled: 3-line block ×3, first 2 shown]
	v_add_f64_e64 v[2:3], v[138:139], -v[2:3]
	v_add_f64_e64 v[4:5], v[140:141], -v[4:5]
	scratch_store_b128 off, v[2:5], off offset:368
	s_wait_xcnt 0x0
	v_cmpx_lt_u32_e32 22, v1
	s_cbranch_execz .LBB37_197
; %bb.196:
	scratch_load_b128 v[2:5], off, s26
	v_mov_b32_e32 v8, 0
	s_delay_alu instid0(VALU_DEP_1)
	v_dual_mov_b32 v9, v8 :: v_dual_mov_b32 v10, v8
	v_mov_b32_e32 v11, v8
	scratch_store_b128 off, v[8:11], off offset:352
	s_wait_loadcnt 0x0
	ds_store_b128 v6, v[2:5]
.LBB37_197:
	s_wait_xcnt 0x0
	s_or_b32 exec_lo, exec_lo, s2
	s_wait_storecnt_dscnt 0x0
	s_barrier_signal -1
	s_barrier_wait -1
	s_clause 0x9
	scratch_load_b128 v[8:11], off, off offset:368
	scratch_load_b128 v[90:93], off, off offset:384
	;; [unrolled: 1-line block ×10, first 2 shown]
	v_mov_b32_e32 v2, 0
	s_mov_b32 s2, exec_lo
	ds_load_b128 v[126:129], v2 offset:976
	s_clause 0x2
	scratch_load_b128 v[130:133], off, off offset:528
	scratch_load_b128 v[134:137], off, off offset:352
	;; [unrolled: 1-line block ×3, first 2 shown]
	s_wait_loadcnt_dscnt 0xc00
	v_mul_f64_e32 v[4:5], v[128:129], v[10:11]
	v_mul_f64_e32 v[150:151], v[126:127], v[10:11]
	ds_load_b128 v[138:141], v2 offset:992
	scratch_load_b128 v[10:13], off, off offset:544
	ds_load_b128 v[146:149], v2 offset:1024
	v_fma_f64 v[4:5], v[126:127], v[8:9], -v[4:5]
	v_fmac_f64_e32 v[150:151], v[128:129], v[8:9]
	ds_load_b128 v[126:129], v2 offset:1008
	s_wait_loadcnt_dscnt 0xc02
	v_mul_f64_e32 v[152:153], v[138:139], v[92:93]
	v_mul_f64_e32 v[92:93], v[140:141], v[92:93]
	s_wait_loadcnt_dscnt 0xb00
	v_mul_f64_e32 v[8:9], v[126:127], v[96:97]
	v_mul_f64_e32 v[96:97], v[128:129], v[96:97]
	v_add_f64_e32 v[4:5], 0, v[4:5]
	v_fmac_f64_e32 v[152:153], v[140:141], v[90:91]
	v_fma_f64 v[138:139], v[138:139], v[90:91], -v[92:93]
	v_add_f64_e32 v[140:141], 0, v[150:151]
	scratch_load_b128 v[90:93], off, off offset:576
	v_fmac_f64_e32 v[8:9], v[128:129], v[94:95]
	v_fma_f64 v[154:155], v[126:127], v[94:95], -v[96:97]
	ds_load_b128 v[94:97], v2 offset:1040
	s_wait_loadcnt 0xb
	v_mul_f64_e32 v[150:151], v[146:147], v[100:101]
	v_mul_f64_e32 v[100:101], v[148:149], v[100:101]
	scratch_load_b128 v[126:129], off, off offset:592
	v_add_f64_e32 v[4:5], v[4:5], v[138:139]
	v_add_f64_e32 v[152:153], v[140:141], v[152:153]
	ds_load_b128 v[138:141], v2 offset:1056
	s_wait_loadcnt_dscnt 0xb01
	v_mul_f64_e32 v[156:157], v[94:95], v[104:105]
	v_mul_f64_e32 v[104:105], v[96:97], v[104:105]
	v_fmac_f64_e32 v[150:151], v[148:149], v[98:99]
	v_fma_f64 v[98:99], v[146:147], v[98:99], -v[100:101]
	s_wait_loadcnt_dscnt 0xa00
	v_mul_f64_e32 v[146:147], v[138:139], v[108:109]
	v_mul_f64_e32 v[108:109], v[140:141], v[108:109]
	v_add_f64_e32 v[4:5], v[4:5], v[154:155]
	v_add_f64_e32 v[8:9], v[152:153], v[8:9]
	v_fmac_f64_e32 v[156:157], v[96:97], v[102:103]
	v_fma_f64 v[102:103], v[94:95], v[102:103], -v[104:105]
	v_fmac_f64_e32 v[146:147], v[140:141], v[106:107]
	v_fma_f64 v[106:107], v[138:139], v[106:107], -v[108:109]
	v_add_f64_e32 v[4:5], v[4:5], v[98:99]
	v_add_f64_e32 v[8:9], v[8:9], v[150:151]
	ds_load_b128 v[94:97], v2 offset:1072
	ds_load_b128 v[98:101], v2 offset:1088
	s_wait_loadcnt_dscnt 0x901
	v_mul_f64_e32 v[148:149], v[94:95], v[112:113]
	v_mul_f64_e32 v[104:105], v[96:97], v[112:113]
	s_wait_loadcnt_dscnt 0x800
	v_mul_f64_e32 v[108:109], v[98:99], v[116:117]
	v_mul_f64_e32 v[112:113], v[100:101], v[116:117]
	v_add_f64_e32 v[4:5], v[4:5], v[102:103]
	v_add_f64_e32 v[8:9], v[8:9], v[156:157]
	v_fmac_f64_e32 v[148:149], v[96:97], v[110:111]
	v_fma_f64 v[110:111], v[94:95], v[110:111], -v[104:105]
	ds_load_b128 v[94:97], v2 offset:1104
	ds_load_b128 v[102:105], v2 offset:1120
	v_fmac_f64_e32 v[108:109], v[100:101], v[114:115]
	v_fma_f64 v[98:99], v[98:99], v[114:115], -v[112:113]
	v_add_f64_e32 v[4:5], v[4:5], v[106:107]
	v_add_f64_e32 v[8:9], v[8:9], v[146:147]
	s_wait_loadcnt_dscnt 0x701
	v_mul_f64_e32 v[106:107], v[94:95], v[120:121]
	v_mul_f64_e32 v[116:117], v[96:97], v[120:121]
	s_wait_loadcnt_dscnt 0x600
	v_mul_f64_e32 v[112:113], v[104:105], v[124:125]
	v_add_f64_e32 v[4:5], v[4:5], v[110:111]
	v_add_f64_e32 v[8:9], v[8:9], v[148:149]
	v_mul_f64_e32 v[110:111], v[102:103], v[124:125]
	v_fmac_f64_e32 v[106:107], v[96:97], v[118:119]
	v_fma_f64 v[114:115], v[94:95], v[118:119], -v[116:117]
	v_fma_f64 v[102:103], v[102:103], v[122:123], -v[112:113]
	v_add_f64_e32 v[4:5], v[4:5], v[98:99]
	v_add_f64_e32 v[8:9], v[8:9], v[108:109]
	ds_load_b128 v[94:97], v2 offset:1136
	ds_load_b128 v[98:101], v2 offset:1152
	v_fmac_f64_e32 v[110:111], v[104:105], v[122:123]
	s_wait_loadcnt_dscnt 0x501
	v_mul_f64_e32 v[108:109], v[94:95], v[132:133]
	v_mul_f64_e32 v[116:117], v[96:97], v[132:133]
	v_add_f64_e32 v[4:5], v[4:5], v[114:115]
	v_add_f64_e32 v[8:9], v[8:9], v[106:107]
	s_wait_loadcnt_dscnt 0x200
	v_mul_f64_e32 v[106:107], v[98:99], v[12:13]
	v_mul_f64_e32 v[12:13], v[100:101], v[12:13]
	v_fmac_f64_e32 v[108:109], v[96:97], v[130:131]
	v_fma_f64 v[112:113], v[94:95], v[130:131], -v[116:117]
	v_add_f64_e32 v[4:5], v[4:5], v[102:103]
	v_add_f64_e32 v[8:9], v[8:9], v[110:111]
	ds_load_b128 v[94:97], v2 offset:1168
	ds_load_b128 v[102:105], v2 offset:1184
	v_fmac_f64_e32 v[106:107], v[100:101], v[10:11]
	v_fma_f64 v[10:11], v[98:99], v[10:11], -v[12:13]
	s_wait_dscnt 0x1
	v_mul_f64_e32 v[110:111], v[94:95], v[144:145]
	v_mul_f64_e32 v[114:115], v[96:97], v[144:145]
	v_add_f64_e32 v[4:5], v[4:5], v[112:113]
	v_add_f64_e32 v[8:9], v[8:9], v[108:109]
	s_wait_loadcnt_dscnt 0x100
	v_mul_f64_e32 v[12:13], v[102:103], v[92:93]
	v_mul_f64_e32 v[92:93], v[104:105], v[92:93]
	v_fmac_f64_e32 v[110:111], v[96:97], v[142:143]
	v_fma_f64 v[94:95], v[94:95], v[142:143], -v[114:115]
	v_add_f64_e32 v[4:5], v[4:5], v[10:11]
	v_add_f64_e32 v[96:97], v[8:9], v[106:107]
	ds_load_b128 v[8:11], v2 offset:1200
	v_fmac_f64_e32 v[12:13], v[104:105], v[90:91]
	v_fma_f64 v[90:91], v[102:103], v[90:91], -v[92:93]
	s_wait_loadcnt_dscnt 0x0
	v_mul_f64_e32 v[98:99], v[8:9], v[128:129]
	v_mul_f64_e32 v[100:101], v[10:11], v[128:129]
	v_add_f64_e32 v[4:5], v[4:5], v[94:95]
	v_add_f64_e32 v[92:93], v[96:97], v[110:111]
	s_delay_alu instid0(VALU_DEP_4) | instskip(NEXT) | instid1(VALU_DEP_4)
	v_fmac_f64_e32 v[98:99], v[10:11], v[126:127]
	v_fma_f64 v[8:9], v[8:9], v[126:127], -v[100:101]
	s_delay_alu instid0(VALU_DEP_4) | instskip(NEXT) | instid1(VALU_DEP_4)
	v_add_f64_e32 v[4:5], v[4:5], v[90:91]
	v_add_f64_e32 v[10:11], v[92:93], v[12:13]
	s_delay_alu instid0(VALU_DEP_2) | instskip(NEXT) | instid1(VALU_DEP_2)
	v_add_f64_e32 v[4:5], v[4:5], v[8:9]
	v_add_f64_e32 v[10:11], v[10:11], v[98:99]
	s_delay_alu instid0(VALU_DEP_2) | instskip(NEXT) | instid1(VALU_DEP_2)
	v_add_f64_e64 v[8:9], v[134:135], -v[4:5]
	v_add_f64_e64 v[10:11], v[136:137], -v[10:11]
	scratch_store_b128 off, v[8:11], off offset:352
	s_wait_xcnt 0x0
	v_cmpx_lt_u32_e32 21, v1
	s_cbranch_execz .LBB37_199
; %bb.198:
	scratch_load_b128 v[8:11], off, s24
	v_dual_mov_b32 v3, v2 :: v_dual_mov_b32 v4, v2
	v_mov_b32_e32 v5, v2
	scratch_store_b128 off, v[2:5], off offset:336
	s_wait_loadcnt 0x0
	ds_store_b128 v6, v[8:11]
.LBB37_199:
	s_wait_xcnt 0x0
	s_or_b32 exec_lo, exec_lo, s2
	s_wait_storecnt_dscnt 0x0
	s_barrier_signal -1
	s_barrier_wait -1
	s_clause 0x9
	scratch_load_b128 v[8:11], off, off offset:352
	scratch_load_b128 v[90:93], off, off offset:368
	;; [unrolled: 1-line block ×10, first 2 shown]
	ds_load_b128 v[126:129], v2 offset:960
	ds_load_b128 v[134:137], v2 offset:976
	s_clause 0x1
	scratch_load_b128 v[130:133], off, off offset:512
	scratch_load_b128 v[138:141], off, off offset:336
	s_mov_b32 s2, exec_lo
	s_wait_loadcnt_dscnt 0xb01
	v_mul_f64_e32 v[4:5], v[128:129], v[10:11]
	v_mul_f64_e32 v[150:151], v[126:127], v[10:11]
	scratch_load_b128 v[10:13], off, off offset:528
	s_wait_loadcnt_dscnt 0xb00
	v_mul_f64_e32 v[152:153], v[134:135], v[92:93]
	v_mul_f64_e32 v[92:93], v[136:137], v[92:93]
	v_fma_f64 v[4:5], v[126:127], v[8:9], -v[4:5]
	v_fmac_f64_e32 v[150:151], v[128:129], v[8:9]
	ds_load_b128 v[126:129], v2 offset:992
	ds_load_b128 v[142:145], v2 offset:1008
	scratch_load_b128 v[146:149], off, off offset:544
	v_fmac_f64_e32 v[152:153], v[136:137], v[90:91]
	v_fma_f64 v[134:135], v[134:135], v[90:91], -v[92:93]
	scratch_load_b128 v[90:93], off, off offset:560
	s_wait_loadcnt_dscnt 0xc01
	v_mul_f64_e32 v[8:9], v[126:127], v[96:97]
	v_mul_f64_e32 v[96:97], v[128:129], v[96:97]
	v_add_f64_e32 v[4:5], 0, v[4:5]
	v_add_f64_e32 v[136:137], 0, v[150:151]
	s_wait_loadcnt_dscnt 0xb00
	v_mul_f64_e32 v[150:151], v[142:143], v[100:101]
	v_mul_f64_e32 v[100:101], v[144:145], v[100:101]
	v_fmac_f64_e32 v[8:9], v[128:129], v[94:95]
	v_fma_f64 v[154:155], v[126:127], v[94:95], -v[96:97]
	ds_load_b128 v[94:97], v2 offset:1024
	ds_load_b128 v[126:129], v2 offset:1040
	v_add_f64_e32 v[4:5], v[4:5], v[134:135]
	v_add_f64_e32 v[152:153], v[136:137], v[152:153]
	scratch_load_b128 v[134:137], off, off offset:576
	v_fmac_f64_e32 v[150:151], v[144:145], v[98:99]
	v_fma_f64 v[142:143], v[142:143], v[98:99], -v[100:101]
	scratch_load_b128 v[98:101], off, off offset:592
	s_wait_loadcnt_dscnt 0xc01
	v_mul_f64_e32 v[156:157], v[94:95], v[104:105]
	v_mul_f64_e32 v[104:105], v[96:97], v[104:105]
	s_wait_loadcnt_dscnt 0xb00
	v_mul_f64_e32 v[144:145], v[126:127], v[108:109]
	v_mul_f64_e32 v[108:109], v[128:129], v[108:109]
	v_add_f64_e32 v[4:5], v[4:5], v[154:155]
	v_add_f64_e32 v[8:9], v[152:153], v[8:9]
	v_fmac_f64_e32 v[156:157], v[96:97], v[102:103]
	v_fma_f64 v[152:153], v[94:95], v[102:103], -v[104:105]
	ds_load_b128 v[94:97], v2 offset:1056
	ds_load_b128 v[102:105], v2 offset:1072
	v_fmac_f64_e32 v[144:145], v[128:129], v[106:107]
	v_fma_f64 v[106:107], v[126:127], v[106:107], -v[108:109]
	s_wait_loadcnt_dscnt 0x900
	v_mul_f64_e32 v[126:127], v[102:103], v[116:117]
	v_add_f64_e32 v[4:5], v[4:5], v[142:143]
	v_add_f64_e32 v[8:9], v[8:9], v[150:151]
	v_mul_f64_e32 v[142:143], v[94:95], v[112:113]
	v_mul_f64_e32 v[112:113], v[96:97], v[112:113]
	v_mul_f64_e32 v[116:117], v[104:105], v[116:117]
	v_fmac_f64_e32 v[126:127], v[104:105], v[114:115]
	v_add_f64_e32 v[4:5], v[4:5], v[152:153]
	v_add_f64_e32 v[8:9], v[8:9], v[156:157]
	v_fmac_f64_e32 v[142:143], v[96:97], v[110:111]
	v_fma_f64 v[110:111], v[94:95], v[110:111], -v[112:113]
	v_fma_f64 v[102:103], v[102:103], v[114:115], -v[116:117]
	v_add_f64_e32 v[4:5], v[4:5], v[106:107]
	v_add_f64_e32 v[8:9], v[8:9], v[144:145]
	ds_load_b128 v[94:97], v2 offset:1088
	ds_load_b128 v[106:109], v2 offset:1104
	s_wait_loadcnt_dscnt 0x801
	v_mul_f64_e32 v[112:113], v[94:95], v[120:121]
	v_mul_f64_e32 v[120:121], v[96:97], v[120:121]
	s_wait_loadcnt_dscnt 0x700
	v_mul_f64_e32 v[114:115], v[108:109], v[124:125]
	v_add_f64_e32 v[4:5], v[4:5], v[110:111]
	v_add_f64_e32 v[8:9], v[8:9], v[142:143]
	v_mul_f64_e32 v[110:111], v[106:107], v[124:125]
	v_fmac_f64_e32 v[112:113], v[96:97], v[118:119]
	v_fma_f64 v[116:117], v[94:95], v[118:119], -v[120:121]
	v_fma_f64 v[106:107], v[106:107], v[122:123], -v[114:115]
	v_add_f64_e32 v[4:5], v[4:5], v[102:103]
	v_add_f64_e32 v[8:9], v[8:9], v[126:127]
	ds_load_b128 v[94:97], v2 offset:1120
	ds_load_b128 v[102:105], v2 offset:1136
	v_fmac_f64_e32 v[110:111], v[108:109], v[122:123]
	s_wait_loadcnt_dscnt 0x601
	v_mul_f64_e32 v[118:119], v[94:95], v[132:133]
	v_mul_f64_e32 v[120:121], v[96:97], v[132:133]
	v_add_f64_e32 v[4:5], v[4:5], v[116:117]
	v_add_f64_e32 v[8:9], v[8:9], v[112:113]
	s_wait_loadcnt_dscnt 0x400
	v_mul_f64_e32 v[112:113], v[102:103], v[12:13]
	v_mul_f64_e32 v[12:13], v[104:105], v[12:13]
	v_fmac_f64_e32 v[118:119], v[96:97], v[130:131]
	v_fma_f64 v[114:115], v[94:95], v[130:131], -v[120:121]
	v_add_f64_e32 v[4:5], v[4:5], v[106:107]
	v_add_f64_e32 v[8:9], v[8:9], v[110:111]
	ds_load_b128 v[94:97], v2 offset:1152
	ds_load_b128 v[106:109], v2 offset:1168
	v_fmac_f64_e32 v[112:113], v[104:105], v[10:11]
	v_fma_f64 v[10:11], v[102:103], v[10:11], -v[12:13]
	s_wait_loadcnt_dscnt 0x301
	v_mul_f64_e32 v[110:111], v[94:95], v[148:149]
	v_mul_f64_e32 v[116:117], v[96:97], v[148:149]
	s_wait_loadcnt_dscnt 0x200
	v_mul_f64_e32 v[12:13], v[106:107], v[92:93]
	v_mul_f64_e32 v[92:93], v[108:109], v[92:93]
	v_add_f64_e32 v[4:5], v[4:5], v[114:115]
	v_add_f64_e32 v[8:9], v[8:9], v[118:119]
	v_fmac_f64_e32 v[110:111], v[96:97], v[146:147]
	v_fma_f64 v[94:95], v[94:95], v[146:147], -v[116:117]
	v_fmac_f64_e32 v[12:13], v[108:109], v[90:91]
	v_fma_f64 v[90:91], v[106:107], v[90:91], -v[92:93]
	v_add_f64_e32 v[96:97], v[4:5], v[10:11]
	v_add_f64_e32 v[102:103], v[8:9], v[112:113]
	ds_load_b128 v[8:11], v2 offset:1184
	ds_load_b128 v[2:5], v2 offset:1200
	s_wait_loadcnt_dscnt 0x101
	v_mul_f64_e32 v[104:105], v[8:9], v[136:137]
	v_mul_f64_e32 v[112:113], v[10:11], v[136:137]
	v_add_f64_e32 v[92:93], v[96:97], v[94:95]
	v_add_f64_e32 v[94:95], v[102:103], v[110:111]
	s_wait_loadcnt_dscnt 0x0
	v_mul_f64_e32 v[96:97], v[2:3], v[100:101]
	v_mul_f64_e32 v[100:101], v[4:5], v[100:101]
	v_fmac_f64_e32 v[104:105], v[10:11], v[134:135]
	v_fma_f64 v[8:9], v[8:9], v[134:135], -v[112:113]
	v_add_f64_e32 v[10:11], v[92:93], v[90:91]
	v_add_f64_e32 v[12:13], v[94:95], v[12:13]
	v_fmac_f64_e32 v[96:97], v[4:5], v[98:99]
	v_fma_f64 v[2:3], v[2:3], v[98:99], -v[100:101]
	s_delay_alu instid0(VALU_DEP_4) | instskip(NEXT) | instid1(VALU_DEP_4)
	v_add_f64_e32 v[4:5], v[10:11], v[8:9]
	v_add_f64_e32 v[8:9], v[12:13], v[104:105]
	s_delay_alu instid0(VALU_DEP_2) | instskip(NEXT) | instid1(VALU_DEP_2)
	v_add_f64_e32 v[2:3], v[4:5], v[2:3]
	v_add_f64_e32 v[4:5], v[8:9], v[96:97]
	s_delay_alu instid0(VALU_DEP_2) | instskip(NEXT) | instid1(VALU_DEP_2)
	v_add_f64_e64 v[2:3], v[138:139], -v[2:3]
	v_add_f64_e64 v[4:5], v[140:141], -v[4:5]
	scratch_store_b128 off, v[2:5], off offset:336
	s_wait_xcnt 0x0
	v_cmpx_lt_u32_e32 20, v1
	s_cbranch_execz .LBB37_201
; %bb.200:
	scratch_load_b128 v[2:5], off, s29
	v_mov_b32_e32 v8, 0
	s_delay_alu instid0(VALU_DEP_1)
	v_dual_mov_b32 v9, v8 :: v_dual_mov_b32 v10, v8
	v_mov_b32_e32 v11, v8
	scratch_store_b128 off, v[8:11], off offset:320
	s_wait_loadcnt 0x0
	ds_store_b128 v6, v[2:5]
.LBB37_201:
	s_wait_xcnt 0x0
	s_or_b32 exec_lo, exec_lo, s2
	s_wait_storecnt_dscnt 0x0
	s_barrier_signal -1
	s_barrier_wait -1
	s_clause 0x9
	scratch_load_b128 v[8:11], off, off offset:336
	scratch_load_b128 v[90:93], off, off offset:352
	;; [unrolled: 1-line block ×10, first 2 shown]
	v_mov_b32_e32 v2, 0
	s_mov_b32 s2, exec_lo
	ds_load_b128 v[126:129], v2 offset:944
	s_clause 0x2
	scratch_load_b128 v[130:133], off, off offset:496
	scratch_load_b128 v[134:137], off, off offset:320
	;; [unrolled: 1-line block ×3, first 2 shown]
	s_wait_loadcnt_dscnt 0xc00
	v_mul_f64_e32 v[4:5], v[128:129], v[10:11]
	v_mul_f64_e32 v[150:151], v[126:127], v[10:11]
	ds_load_b128 v[138:141], v2 offset:960
	scratch_load_b128 v[10:13], off, off offset:512
	ds_load_b128 v[146:149], v2 offset:992
	v_fma_f64 v[4:5], v[126:127], v[8:9], -v[4:5]
	v_fmac_f64_e32 v[150:151], v[128:129], v[8:9]
	ds_load_b128 v[126:129], v2 offset:976
	s_wait_loadcnt_dscnt 0xc02
	v_mul_f64_e32 v[152:153], v[138:139], v[92:93]
	v_mul_f64_e32 v[92:93], v[140:141], v[92:93]
	s_wait_loadcnt_dscnt 0xb00
	v_mul_f64_e32 v[8:9], v[126:127], v[96:97]
	v_mul_f64_e32 v[96:97], v[128:129], v[96:97]
	v_add_f64_e32 v[4:5], 0, v[4:5]
	v_fmac_f64_e32 v[152:153], v[140:141], v[90:91]
	v_fma_f64 v[138:139], v[138:139], v[90:91], -v[92:93]
	v_add_f64_e32 v[140:141], 0, v[150:151]
	scratch_load_b128 v[90:93], off, off offset:544
	v_fmac_f64_e32 v[8:9], v[128:129], v[94:95]
	v_fma_f64 v[154:155], v[126:127], v[94:95], -v[96:97]
	ds_load_b128 v[94:97], v2 offset:1008
	s_wait_loadcnt 0xb
	v_mul_f64_e32 v[150:151], v[146:147], v[100:101]
	v_mul_f64_e32 v[100:101], v[148:149], v[100:101]
	scratch_load_b128 v[126:129], off, off offset:560
	v_add_f64_e32 v[4:5], v[4:5], v[138:139]
	v_add_f64_e32 v[152:153], v[140:141], v[152:153]
	ds_load_b128 v[138:141], v2 offset:1024
	s_wait_loadcnt_dscnt 0xb01
	v_mul_f64_e32 v[156:157], v[94:95], v[104:105]
	v_mul_f64_e32 v[104:105], v[96:97], v[104:105]
	v_fmac_f64_e32 v[150:151], v[148:149], v[98:99]
	v_fma_f64 v[146:147], v[146:147], v[98:99], -v[100:101]
	scratch_load_b128 v[98:101], off, off offset:576
	v_add_f64_e32 v[4:5], v[4:5], v[154:155]
	v_add_f64_e32 v[8:9], v[152:153], v[8:9]
	v_fmac_f64_e32 v[156:157], v[96:97], v[102:103]
	v_fma_f64 v[154:155], v[94:95], v[102:103], -v[104:105]
	ds_load_b128 v[94:97], v2 offset:1040
	s_wait_loadcnt_dscnt 0xb01
	v_mul_f64_e32 v[152:153], v[138:139], v[108:109]
	v_mul_f64_e32 v[108:109], v[140:141], v[108:109]
	scratch_load_b128 v[102:105], off, off offset:592
	v_add_f64_e32 v[4:5], v[4:5], v[146:147]
	v_add_f64_e32 v[8:9], v[8:9], v[150:151]
	s_wait_loadcnt_dscnt 0xb00
	v_mul_f64_e32 v[150:151], v[94:95], v[112:113]
	v_mul_f64_e32 v[112:113], v[96:97], v[112:113]
	ds_load_b128 v[146:149], v2 offset:1056
	v_fmac_f64_e32 v[152:153], v[140:141], v[106:107]
	v_fma_f64 v[106:107], v[138:139], v[106:107], -v[108:109]
	s_wait_loadcnt_dscnt 0xa00
	v_mul_f64_e32 v[138:139], v[146:147], v[116:117]
	v_mul_f64_e32 v[116:117], v[148:149], v[116:117]
	v_add_f64_e32 v[4:5], v[4:5], v[154:155]
	v_add_f64_e32 v[8:9], v[8:9], v[156:157]
	v_fmac_f64_e32 v[150:151], v[96:97], v[110:111]
	v_fma_f64 v[110:111], v[94:95], v[110:111], -v[112:113]
	v_fmac_f64_e32 v[138:139], v[148:149], v[114:115]
	v_fma_f64 v[114:115], v[146:147], v[114:115], -v[116:117]
	v_add_f64_e32 v[4:5], v[4:5], v[106:107]
	v_add_f64_e32 v[8:9], v[8:9], v[152:153]
	ds_load_b128 v[94:97], v2 offset:1072
	ds_load_b128 v[106:109], v2 offset:1088
	s_wait_loadcnt_dscnt 0x901
	v_mul_f64_e32 v[140:141], v[94:95], v[120:121]
	v_mul_f64_e32 v[112:113], v[96:97], v[120:121]
	s_wait_loadcnt_dscnt 0x800
	v_mul_f64_e32 v[116:117], v[106:107], v[124:125]
	v_mul_f64_e32 v[120:121], v[108:109], v[124:125]
	v_add_f64_e32 v[4:5], v[4:5], v[110:111]
	v_add_f64_e32 v[8:9], v[8:9], v[150:151]
	v_fmac_f64_e32 v[140:141], v[96:97], v[118:119]
	v_fma_f64 v[118:119], v[94:95], v[118:119], -v[112:113]
	ds_load_b128 v[94:97], v2 offset:1104
	ds_load_b128 v[110:113], v2 offset:1120
	v_fmac_f64_e32 v[116:117], v[108:109], v[122:123]
	v_fma_f64 v[106:107], v[106:107], v[122:123], -v[120:121]
	v_add_f64_e32 v[4:5], v[4:5], v[114:115]
	v_add_f64_e32 v[8:9], v[8:9], v[138:139]
	s_wait_loadcnt_dscnt 0x701
	v_mul_f64_e32 v[114:115], v[94:95], v[132:133]
	v_mul_f64_e32 v[124:125], v[96:97], v[132:133]
	s_delay_alu instid0(VALU_DEP_4) | instskip(NEXT) | instid1(VALU_DEP_4)
	v_add_f64_e32 v[4:5], v[4:5], v[118:119]
	v_add_f64_e32 v[8:9], v[8:9], v[140:141]
	s_wait_loadcnt_dscnt 0x400
	v_mul_f64_e32 v[118:119], v[110:111], v[12:13]
	v_mul_f64_e32 v[12:13], v[112:113], v[12:13]
	v_fmac_f64_e32 v[114:115], v[96:97], v[130:131]
	v_fma_f64 v[120:121], v[94:95], v[130:131], -v[124:125]
	v_add_f64_e32 v[4:5], v[4:5], v[106:107]
	v_add_f64_e32 v[8:9], v[8:9], v[116:117]
	ds_load_b128 v[94:97], v2 offset:1136
	ds_load_b128 v[106:109], v2 offset:1152
	v_fmac_f64_e32 v[118:119], v[112:113], v[10:11]
	v_fma_f64 v[10:11], v[110:111], v[10:11], -v[12:13]
	s_wait_dscnt 0x1
	v_mul_f64_e32 v[116:117], v[94:95], v[144:145]
	v_mul_f64_e32 v[122:123], v[96:97], v[144:145]
	v_add_f64_e32 v[4:5], v[4:5], v[120:121]
	v_add_f64_e32 v[8:9], v[8:9], v[114:115]
	s_wait_loadcnt_dscnt 0x300
	v_mul_f64_e32 v[12:13], v[106:107], v[92:93]
	v_mul_f64_e32 v[110:111], v[108:109], v[92:93]
	v_fmac_f64_e32 v[116:117], v[96:97], v[142:143]
	v_fma_f64 v[96:97], v[94:95], v[142:143], -v[122:123]
	v_add_f64_e32 v[4:5], v[4:5], v[10:11]
	v_add_f64_e32 v[112:113], v[8:9], v[118:119]
	ds_load_b128 v[8:11], v2 offset:1168
	ds_load_b128 v[92:95], v2 offset:1184
	v_fmac_f64_e32 v[12:13], v[108:109], v[90:91]
	v_fma_f64 v[90:91], v[106:107], v[90:91], -v[110:111]
	s_wait_loadcnt_dscnt 0x201
	v_mul_f64_e32 v[114:115], v[8:9], v[128:129]
	v_mul_f64_e32 v[118:119], v[10:11], v[128:129]
	s_wait_loadcnt_dscnt 0x100
	v_mul_f64_e32 v[106:107], v[92:93], v[100:101]
	v_mul_f64_e32 v[100:101], v[94:95], v[100:101]
	v_add_f64_e32 v[4:5], v[4:5], v[96:97]
	v_add_f64_e32 v[96:97], v[112:113], v[116:117]
	v_fmac_f64_e32 v[114:115], v[10:11], v[126:127]
	v_fma_f64 v[108:109], v[8:9], v[126:127], -v[118:119]
	ds_load_b128 v[8:11], v2 offset:1200
	v_fmac_f64_e32 v[106:107], v[94:95], v[98:99]
	v_fma_f64 v[92:93], v[92:93], v[98:99], -v[100:101]
	v_add_f64_e32 v[4:5], v[4:5], v[90:91]
	v_add_f64_e32 v[12:13], v[96:97], v[12:13]
	s_wait_loadcnt_dscnt 0x0
	v_mul_f64_e32 v[90:91], v[8:9], v[104:105]
	v_mul_f64_e32 v[96:97], v[10:11], v[104:105]
	s_delay_alu instid0(VALU_DEP_4) | instskip(NEXT) | instid1(VALU_DEP_4)
	v_add_f64_e32 v[4:5], v[4:5], v[108:109]
	v_add_f64_e32 v[12:13], v[12:13], v[114:115]
	s_delay_alu instid0(VALU_DEP_4) | instskip(NEXT) | instid1(VALU_DEP_4)
	v_fmac_f64_e32 v[90:91], v[10:11], v[102:103]
	v_fma_f64 v[8:9], v[8:9], v[102:103], -v[96:97]
	s_delay_alu instid0(VALU_DEP_4) | instskip(NEXT) | instid1(VALU_DEP_4)
	v_add_f64_e32 v[4:5], v[4:5], v[92:93]
	v_add_f64_e32 v[10:11], v[12:13], v[106:107]
	s_delay_alu instid0(VALU_DEP_2) | instskip(NEXT) | instid1(VALU_DEP_2)
	v_add_f64_e32 v[4:5], v[4:5], v[8:9]
	v_add_f64_e32 v[10:11], v[10:11], v[90:91]
	s_delay_alu instid0(VALU_DEP_2) | instskip(NEXT) | instid1(VALU_DEP_2)
	v_add_f64_e64 v[8:9], v[134:135], -v[4:5]
	v_add_f64_e64 v[10:11], v[136:137], -v[10:11]
	scratch_store_b128 off, v[8:11], off offset:320
	s_wait_xcnt 0x0
	v_cmpx_lt_u32_e32 19, v1
	s_cbranch_execz .LBB37_203
; %bb.202:
	scratch_load_b128 v[8:11], off, s28
	v_dual_mov_b32 v3, v2 :: v_dual_mov_b32 v4, v2
	v_mov_b32_e32 v5, v2
	scratch_store_b128 off, v[2:5], off offset:304
	s_wait_loadcnt 0x0
	ds_store_b128 v6, v[8:11]
.LBB37_203:
	s_wait_xcnt 0x0
	s_or_b32 exec_lo, exec_lo, s2
	s_wait_storecnt_dscnt 0x0
	s_barrier_signal -1
	s_barrier_wait -1
	s_clause 0x9
	scratch_load_b128 v[8:11], off, off offset:320
	scratch_load_b128 v[90:93], off, off offset:336
	;; [unrolled: 1-line block ×10, first 2 shown]
	ds_load_b128 v[126:129], v2 offset:928
	ds_load_b128 v[134:137], v2 offset:944
	s_clause 0x1
	scratch_load_b128 v[130:133], off, off offset:480
	scratch_load_b128 v[138:141], off, off offset:304
	s_mov_b32 s2, exec_lo
	s_wait_loadcnt_dscnt 0xb01
	v_mul_f64_e32 v[4:5], v[128:129], v[10:11]
	v_mul_f64_e32 v[150:151], v[126:127], v[10:11]
	scratch_load_b128 v[10:13], off, off offset:496
	s_wait_loadcnt_dscnt 0xb00
	v_mul_f64_e32 v[152:153], v[134:135], v[92:93]
	v_mul_f64_e32 v[92:93], v[136:137], v[92:93]
	v_fma_f64 v[4:5], v[126:127], v[8:9], -v[4:5]
	v_fmac_f64_e32 v[150:151], v[128:129], v[8:9]
	ds_load_b128 v[126:129], v2 offset:960
	ds_load_b128 v[142:145], v2 offset:976
	scratch_load_b128 v[146:149], off, off offset:512
	v_fmac_f64_e32 v[152:153], v[136:137], v[90:91]
	v_fma_f64 v[134:135], v[134:135], v[90:91], -v[92:93]
	scratch_load_b128 v[90:93], off, off offset:528
	s_wait_loadcnt_dscnt 0xc01
	v_mul_f64_e32 v[8:9], v[126:127], v[96:97]
	v_mul_f64_e32 v[96:97], v[128:129], v[96:97]
	v_add_f64_e32 v[4:5], 0, v[4:5]
	v_add_f64_e32 v[136:137], 0, v[150:151]
	s_wait_loadcnt_dscnt 0xb00
	v_mul_f64_e32 v[150:151], v[142:143], v[100:101]
	v_mul_f64_e32 v[100:101], v[144:145], v[100:101]
	v_fmac_f64_e32 v[8:9], v[128:129], v[94:95]
	v_fma_f64 v[154:155], v[126:127], v[94:95], -v[96:97]
	ds_load_b128 v[94:97], v2 offset:992
	ds_load_b128 v[126:129], v2 offset:1008
	v_add_f64_e32 v[4:5], v[4:5], v[134:135]
	v_add_f64_e32 v[152:153], v[136:137], v[152:153]
	scratch_load_b128 v[134:137], off, off offset:544
	v_fmac_f64_e32 v[150:151], v[144:145], v[98:99]
	v_fma_f64 v[142:143], v[142:143], v[98:99], -v[100:101]
	scratch_load_b128 v[98:101], off, off offset:560
	s_wait_loadcnt_dscnt 0xc01
	v_mul_f64_e32 v[156:157], v[94:95], v[104:105]
	v_mul_f64_e32 v[104:105], v[96:97], v[104:105]
	v_add_f64_e32 v[4:5], v[4:5], v[154:155]
	v_add_f64_e32 v[8:9], v[152:153], v[8:9]
	s_wait_loadcnt_dscnt 0xb00
	v_mul_f64_e32 v[152:153], v[126:127], v[108:109]
	v_mul_f64_e32 v[108:109], v[128:129], v[108:109]
	v_fmac_f64_e32 v[156:157], v[96:97], v[102:103]
	v_fma_f64 v[154:155], v[94:95], v[102:103], -v[104:105]
	ds_load_b128 v[94:97], v2 offset:1024
	ds_load_b128 v[102:105], v2 offset:1040
	v_add_f64_e32 v[4:5], v[4:5], v[142:143]
	v_add_f64_e32 v[8:9], v[8:9], v[150:151]
	scratch_load_b128 v[142:145], off, off offset:576
	s_wait_loadcnt_dscnt 0xb01
	v_mul_f64_e32 v[150:151], v[94:95], v[112:113]
	v_mul_f64_e32 v[112:113], v[96:97], v[112:113]
	v_fmac_f64_e32 v[152:153], v[128:129], v[106:107]
	v_fma_f64 v[126:127], v[126:127], v[106:107], -v[108:109]
	scratch_load_b128 v[106:109], off, off offset:592
	s_wait_loadcnt_dscnt 0xb00
	v_mul_f64_e32 v[128:129], v[102:103], v[116:117]
	v_mul_f64_e32 v[116:117], v[104:105], v[116:117]
	v_add_f64_e32 v[4:5], v[4:5], v[154:155]
	v_add_f64_e32 v[8:9], v[8:9], v[156:157]
	v_fmac_f64_e32 v[150:151], v[96:97], v[110:111]
	v_fma_f64 v[154:155], v[94:95], v[110:111], -v[112:113]
	ds_load_b128 v[94:97], v2 offset:1056
	ds_load_b128 v[110:113], v2 offset:1072
	v_fmac_f64_e32 v[128:129], v[104:105], v[114:115]
	v_fma_f64 v[102:103], v[102:103], v[114:115], -v[116:117]
	s_wait_loadcnt_dscnt 0x900
	v_mul_f64_e32 v[114:115], v[110:111], v[124:125]
	v_mul_f64_e32 v[116:117], v[112:113], v[124:125]
	v_add_f64_e32 v[4:5], v[4:5], v[126:127]
	v_add_f64_e32 v[8:9], v[8:9], v[152:153]
	v_mul_f64_e32 v[126:127], v[94:95], v[120:121]
	v_mul_f64_e32 v[120:121], v[96:97], v[120:121]
	v_fmac_f64_e32 v[114:115], v[112:113], v[122:123]
	v_fma_f64 v[110:111], v[110:111], v[122:123], -v[116:117]
	v_add_f64_e32 v[4:5], v[4:5], v[154:155]
	v_add_f64_e32 v[8:9], v[8:9], v[150:151]
	v_fmac_f64_e32 v[126:127], v[96:97], v[118:119]
	v_fma_f64 v[118:119], v[94:95], v[118:119], -v[120:121]
	s_delay_alu instid0(VALU_DEP_4) | instskip(NEXT) | instid1(VALU_DEP_4)
	v_add_f64_e32 v[4:5], v[4:5], v[102:103]
	v_add_f64_e32 v[8:9], v[8:9], v[128:129]
	ds_load_b128 v[94:97], v2 offset:1088
	ds_load_b128 v[102:105], v2 offset:1104
	s_wait_loadcnt_dscnt 0x801
	v_mul_f64_e32 v[120:121], v[94:95], v[132:133]
	v_mul_f64_e32 v[124:125], v[96:97], v[132:133]
	v_add_f64_e32 v[4:5], v[4:5], v[118:119]
	v_add_f64_e32 v[8:9], v[8:9], v[126:127]
	s_wait_loadcnt_dscnt 0x600
	v_mul_f64_e32 v[116:117], v[102:103], v[12:13]
	v_mul_f64_e32 v[12:13], v[104:105], v[12:13]
	v_fmac_f64_e32 v[120:121], v[96:97], v[130:131]
	v_fma_f64 v[118:119], v[94:95], v[130:131], -v[124:125]
	v_add_f64_e32 v[4:5], v[4:5], v[110:111]
	v_add_f64_e32 v[8:9], v[8:9], v[114:115]
	ds_load_b128 v[94:97], v2 offset:1120
	ds_load_b128 v[110:113], v2 offset:1136
	v_fmac_f64_e32 v[116:117], v[104:105], v[10:11]
	v_fma_f64 v[10:11], v[102:103], v[10:11], -v[12:13]
	s_wait_loadcnt_dscnt 0x501
	v_mul_f64_e32 v[114:115], v[94:95], v[148:149]
	v_mul_f64_e32 v[122:123], v[96:97], v[148:149]
	s_wait_loadcnt_dscnt 0x400
	v_mul_f64_e32 v[12:13], v[110:111], v[92:93]
	v_mul_f64_e32 v[102:103], v[112:113], v[92:93]
	v_add_f64_e32 v[4:5], v[4:5], v[118:119]
	v_add_f64_e32 v[8:9], v[8:9], v[120:121]
	v_fmac_f64_e32 v[114:115], v[96:97], v[146:147]
	v_fma_f64 v[96:97], v[94:95], v[146:147], -v[122:123]
	v_fmac_f64_e32 v[12:13], v[112:113], v[90:91]
	v_fma_f64 v[90:91], v[110:111], v[90:91], -v[102:103]
	v_add_f64_e32 v[4:5], v[4:5], v[10:11]
	v_add_f64_e32 v[104:105], v[8:9], v[116:117]
	ds_load_b128 v[8:11], v2 offset:1152
	ds_load_b128 v[92:95], v2 offset:1168
	s_wait_loadcnt_dscnt 0x301
	v_mul_f64_e32 v[116:117], v[8:9], v[136:137]
	v_mul_f64_e32 v[118:119], v[10:11], v[136:137]
	s_wait_loadcnt_dscnt 0x200
	v_mul_f64_e32 v[102:103], v[92:93], v[100:101]
	v_mul_f64_e32 v[100:101], v[94:95], v[100:101]
	v_add_f64_e32 v[4:5], v[4:5], v[96:97]
	v_add_f64_e32 v[96:97], v[104:105], v[114:115]
	v_fmac_f64_e32 v[116:117], v[10:11], v[134:135]
	v_fma_f64 v[104:105], v[8:9], v[134:135], -v[118:119]
	v_fmac_f64_e32 v[102:103], v[94:95], v[98:99]
	v_fma_f64 v[92:93], v[92:93], v[98:99], -v[100:101]
	v_add_f64_e32 v[90:91], v[4:5], v[90:91]
	v_add_f64_e32 v[12:13], v[96:97], v[12:13]
	ds_load_b128 v[8:11], v2 offset:1184
	ds_load_b128 v[2:5], v2 offset:1200
	s_wait_loadcnt_dscnt 0x101
	v_mul_f64_e32 v[96:97], v[8:9], v[144:145]
	v_mul_f64_e32 v[110:111], v[10:11], v[144:145]
	s_wait_loadcnt_dscnt 0x0
	v_mul_f64_e32 v[94:95], v[2:3], v[108:109]
	v_mul_f64_e32 v[98:99], v[4:5], v[108:109]
	v_add_f64_e32 v[90:91], v[90:91], v[104:105]
	v_add_f64_e32 v[12:13], v[12:13], v[116:117]
	v_fmac_f64_e32 v[96:97], v[10:11], v[142:143]
	v_fma_f64 v[8:9], v[8:9], v[142:143], -v[110:111]
	v_fmac_f64_e32 v[94:95], v[4:5], v[106:107]
	v_fma_f64 v[2:3], v[2:3], v[106:107], -v[98:99]
	v_add_f64_e32 v[10:11], v[90:91], v[92:93]
	v_add_f64_e32 v[12:13], v[12:13], v[102:103]
	s_delay_alu instid0(VALU_DEP_2) | instskip(NEXT) | instid1(VALU_DEP_2)
	v_add_f64_e32 v[4:5], v[10:11], v[8:9]
	v_add_f64_e32 v[8:9], v[12:13], v[96:97]
	s_delay_alu instid0(VALU_DEP_2) | instskip(NEXT) | instid1(VALU_DEP_2)
	;; [unrolled: 3-line block ×3, first 2 shown]
	v_add_f64_e64 v[2:3], v[138:139], -v[2:3]
	v_add_f64_e64 v[4:5], v[140:141], -v[4:5]
	scratch_store_b128 off, v[2:5], off offset:304
	s_wait_xcnt 0x0
	v_cmpx_lt_u32_e32 18, v1
	s_cbranch_execz .LBB37_205
; %bb.204:
	scratch_load_b128 v[2:5], off, s33
	v_mov_b32_e32 v8, 0
	s_delay_alu instid0(VALU_DEP_1)
	v_dual_mov_b32 v9, v8 :: v_dual_mov_b32 v10, v8
	v_mov_b32_e32 v11, v8
	scratch_store_b128 off, v[8:11], off offset:288
	s_wait_loadcnt 0x0
	ds_store_b128 v6, v[2:5]
.LBB37_205:
	s_wait_xcnt 0x0
	s_or_b32 exec_lo, exec_lo, s2
	s_wait_storecnt_dscnt 0x0
	s_barrier_signal -1
	s_barrier_wait -1
	s_clause 0x9
	scratch_load_b128 v[8:11], off, off offset:304
	scratch_load_b128 v[90:93], off, off offset:320
	;; [unrolled: 1-line block ×10, first 2 shown]
	v_mov_b32_e32 v2, 0
	s_mov_b32 s2, exec_lo
	ds_load_b128 v[126:129], v2 offset:912
	s_clause 0x2
	scratch_load_b128 v[130:133], off, off offset:464
	scratch_load_b128 v[134:137], off, off offset:288
	;; [unrolled: 1-line block ×3, first 2 shown]
	s_wait_loadcnt_dscnt 0xc00
	v_mul_f64_e32 v[4:5], v[128:129], v[10:11]
	v_mul_f64_e32 v[150:151], v[126:127], v[10:11]
	ds_load_b128 v[138:141], v2 offset:928
	scratch_load_b128 v[10:13], off, off offset:480
	ds_load_b128 v[146:149], v2 offset:960
	v_fma_f64 v[4:5], v[126:127], v[8:9], -v[4:5]
	v_fmac_f64_e32 v[150:151], v[128:129], v[8:9]
	ds_load_b128 v[126:129], v2 offset:944
	s_wait_loadcnt_dscnt 0xc02
	v_mul_f64_e32 v[152:153], v[138:139], v[92:93]
	v_mul_f64_e32 v[92:93], v[140:141], v[92:93]
	s_wait_loadcnt_dscnt 0xb00
	v_mul_f64_e32 v[8:9], v[126:127], v[96:97]
	v_mul_f64_e32 v[96:97], v[128:129], v[96:97]
	v_add_f64_e32 v[4:5], 0, v[4:5]
	v_fmac_f64_e32 v[152:153], v[140:141], v[90:91]
	v_fma_f64 v[138:139], v[138:139], v[90:91], -v[92:93]
	v_add_f64_e32 v[140:141], 0, v[150:151]
	scratch_load_b128 v[90:93], off, off offset:512
	v_fmac_f64_e32 v[8:9], v[128:129], v[94:95]
	v_fma_f64 v[154:155], v[126:127], v[94:95], -v[96:97]
	ds_load_b128 v[94:97], v2 offset:976
	s_wait_loadcnt 0xb
	v_mul_f64_e32 v[150:151], v[146:147], v[100:101]
	v_mul_f64_e32 v[100:101], v[148:149], v[100:101]
	scratch_load_b128 v[126:129], off, off offset:528
	v_add_f64_e32 v[4:5], v[4:5], v[138:139]
	v_add_f64_e32 v[152:153], v[140:141], v[152:153]
	ds_load_b128 v[138:141], v2 offset:992
	s_wait_loadcnt_dscnt 0xb01
	v_mul_f64_e32 v[156:157], v[94:95], v[104:105]
	v_mul_f64_e32 v[104:105], v[96:97], v[104:105]
	v_fmac_f64_e32 v[150:151], v[148:149], v[98:99]
	v_fma_f64 v[146:147], v[146:147], v[98:99], -v[100:101]
	scratch_load_b128 v[98:101], off, off offset:544
	v_add_f64_e32 v[4:5], v[4:5], v[154:155]
	v_add_f64_e32 v[8:9], v[152:153], v[8:9]
	v_fmac_f64_e32 v[156:157], v[96:97], v[102:103]
	v_fma_f64 v[154:155], v[94:95], v[102:103], -v[104:105]
	ds_load_b128 v[94:97], v2 offset:1008
	s_wait_loadcnt_dscnt 0xb01
	v_mul_f64_e32 v[152:153], v[138:139], v[108:109]
	v_mul_f64_e32 v[108:109], v[140:141], v[108:109]
	scratch_load_b128 v[102:105], off, off offset:560
	v_add_f64_e32 v[4:5], v[4:5], v[146:147]
	v_add_f64_e32 v[8:9], v[8:9], v[150:151]
	s_wait_loadcnt_dscnt 0xb00
	v_mul_f64_e32 v[150:151], v[94:95], v[112:113]
	v_mul_f64_e32 v[112:113], v[96:97], v[112:113]
	ds_load_b128 v[146:149], v2 offset:1024
	v_fmac_f64_e32 v[152:153], v[140:141], v[106:107]
	v_fma_f64 v[138:139], v[138:139], v[106:107], -v[108:109]
	scratch_load_b128 v[106:109], off, off offset:576
	v_add_f64_e32 v[4:5], v[4:5], v[154:155]
	v_add_f64_e32 v[8:9], v[8:9], v[156:157]
	v_fmac_f64_e32 v[150:151], v[96:97], v[110:111]
	v_fma_f64 v[156:157], v[94:95], v[110:111], -v[112:113]
	ds_load_b128 v[94:97], v2 offset:1040
	s_wait_loadcnt_dscnt 0xb01
	v_mul_f64_e32 v[154:155], v[146:147], v[116:117]
	v_mul_f64_e32 v[116:117], v[148:149], v[116:117]
	scratch_load_b128 v[110:113], off, off offset:592
	v_add_f64_e32 v[4:5], v[4:5], v[138:139]
	v_add_f64_e32 v[8:9], v[8:9], v[152:153]
	s_wait_loadcnt_dscnt 0xb00
	v_mul_f64_e32 v[152:153], v[94:95], v[120:121]
	v_mul_f64_e32 v[120:121], v[96:97], v[120:121]
	ds_load_b128 v[138:141], v2 offset:1056
	v_fmac_f64_e32 v[154:155], v[148:149], v[114:115]
	v_fma_f64 v[114:115], v[146:147], v[114:115], -v[116:117]
	s_wait_loadcnt_dscnt 0xa00
	v_mul_f64_e32 v[146:147], v[138:139], v[124:125]
	v_mul_f64_e32 v[124:125], v[140:141], v[124:125]
	v_add_f64_e32 v[4:5], v[4:5], v[156:157]
	v_add_f64_e32 v[8:9], v[8:9], v[150:151]
	v_fmac_f64_e32 v[152:153], v[96:97], v[118:119]
	v_fma_f64 v[118:119], v[94:95], v[118:119], -v[120:121]
	v_fmac_f64_e32 v[146:147], v[140:141], v[122:123]
	v_fma_f64 v[122:123], v[138:139], v[122:123], -v[124:125]
	v_add_f64_e32 v[4:5], v[4:5], v[114:115]
	v_add_f64_e32 v[8:9], v[8:9], v[154:155]
	ds_load_b128 v[94:97], v2 offset:1072
	ds_load_b128 v[114:117], v2 offset:1088
	s_wait_loadcnt_dscnt 0x901
	v_mul_f64_e32 v[148:149], v[94:95], v[132:133]
	v_mul_f64_e32 v[120:121], v[96:97], v[132:133]
	s_wait_loadcnt_dscnt 0x600
	v_mul_f64_e32 v[124:125], v[114:115], v[12:13]
	v_add_f64_e32 v[4:5], v[4:5], v[118:119]
	v_add_f64_e32 v[8:9], v[8:9], v[152:153]
	v_mul_f64_e32 v[12:13], v[116:117], v[12:13]
	v_fmac_f64_e32 v[148:149], v[96:97], v[130:131]
	v_fma_f64 v[130:131], v[94:95], v[130:131], -v[120:121]
	ds_load_b128 v[94:97], v2 offset:1104
	ds_load_b128 v[118:121], v2 offset:1120
	v_fmac_f64_e32 v[124:125], v[116:117], v[10:11]
	v_add_f64_e32 v[4:5], v[4:5], v[122:123]
	v_add_f64_e32 v[8:9], v[8:9], v[146:147]
	v_fma_f64 v[10:11], v[114:115], v[10:11], -v[12:13]
	s_wait_dscnt 0x1
	v_mul_f64_e32 v[122:123], v[94:95], v[144:145]
	v_mul_f64_e32 v[132:133], v[96:97], v[144:145]
	v_add_f64_e32 v[4:5], v[4:5], v[130:131]
	v_add_f64_e32 v[8:9], v[8:9], v[148:149]
	s_wait_loadcnt_dscnt 0x500
	v_mul_f64_e32 v[12:13], v[118:119], v[92:93]
	v_mul_f64_e32 v[114:115], v[120:121], v[92:93]
	v_fmac_f64_e32 v[122:123], v[96:97], v[142:143]
	v_fma_f64 v[96:97], v[94:95], v[142:143], -v[132:133]
	v_add_f64_e32 v[4:5], v[4:5], v[10:11]
	v_add_f64_e32 v[116:117], v[8:9], v[124:125]
	ds_load_b128 v[8:11], v2 offset:1136
	ds_load_b128 v[92:95], v2 offset:1152
	v_fmac_f64_e32 v[12:13], v[120:121], v[90:91]
	v_fma_f64 v[90:91], v[118:119], v[90:91], -v[114:115]
	s_wait_loadcnt_dscnt 0x401
	v_mul_f64_e32 v[124:125], v[8:9], v[128:129]
	v_mul_f64_e32 v[128:129], v[10:11], v[128:129]
	s_wait_loadcnt_dscnt 0x300
	v_mul_f64_e32 v[118:119], v[92:93], v[100:101]
	v_mul_f64_e32 v[100:101], v[94:95], v[100:101]
	v_add_f64_e32 v[4:5], v[4:5], v[96:97]
	v_add_f64_e32 v[96:97], v[116:117], v[122:123]
	v_fmac_f64_e32 v[124:125], v[10:11], v[126:127]
	v_fma_f64 v[120:121], v[8:9], v[126:127], -v[128:129]
	ds_load_b128 v[8:11], v2 offset:1168
	ds_load_b128 v[114:117], v2 offset:1184
	v_fmac_f64_e32 v[118:119], v[94:95], v[98:99]
	v_fma_f64 v[92:93], v[92:93], v[98:99], -v[100:101]
	v_add_f64_e32 v[4:5], v[4:5], v[90:91]
	v_add_f64_e32 v[12:13], v[96:97], v[12:13]
	s_wait_loadcnt_dscnt 0x201
	v_mul_f64_e32 v[90:91], v[8:9], v[104:105]
	v_mul_f64_e32 v[96:97], v[10:11], v[104:105]
	s_wait_loadcnt_dscnt 0x100
	v_mul_f64_e32 v[94:95], v[114:115], v[108:109]
	v_mul_f64_e32 v[98:99], v[116:117], v[108:109]
	v_add_f64_e32 v[4:5], v[4:5], v[120:121]
	v_add_f64_e32 v[12:13], v[12:13], v[124:125]
	v_fmac_f64_e32 v[90:91], v[10:11], v[102:103]
	v_fma_f64 v[96:97], v[8:9], v[102:103], -v[96:97]
	ds_load_b128 v[8:11], v2 offset:1200
	v_fmac_f64_e32 v[94:95], v[116:117], v[106:107]
	v_fma_f64 v[98:99], v[114:115], v[106:107], -v[98:99]
	s_wait_loadcnt_dscnt 0x0
	v_mul_f64_e32 v[100:101], v[10:11], v[112:113]
	v_add_f64_e32 v[4:5], v[4:5], v[92:93]
	v_add_f64_e32 v[12:13], v[12:13], v[118:119]
	v_mul_f64_e32 v[92:93], v[8:9], v[112:113]
	s_delay_alu instid0(VALU_DEP_4) | instskip(NEXT) | instid1(VALU_DEP_4)
	v_fma_f64 v[8:9], v[8:9], v[110:111], -v[100:101]
	v_add_f64_e32 v[4:5], v[4:5], v[96:97]
	s_delay_alu instid0(VALU_DEP_4) | instskip(NEXT) | instid1(VALU_DEP_4)
	v_add_f64_e32 v[12:13], v[12:13], v[90:91]
	v_fmac_f64_e32 v[92:93], v[10:11], v[110:111]
	s_delay_alu instid0(VALU_DEP_3) | instskip(NEXT) | instid1(VALU_DEP_3)
	v_add_f64_e32 v[4:5], v[4:5], v[98:99]
	v_add_f64_e32 v[10:11], v[12:13], v[94:95]
	s_delay_alu instid0(VALU_DEP_2) | instskip(NEXT) | instid1(VALU_DEP_2)
	v_add_f64_e32 v[4:5], v[4:5], v[8:9]
	v_add_f64_e32 v[10:11], v[10:11], v[92:93]
	s_delay_alu instid0(VALU_DEP_2) | instskip(NEXT) | instid1(VALU_DEP_2)
	v_add_f64_e64 v[8:9], v[134:135], -v[4:5]
	v_add_f64_e64 v[10:11], v[136:137], -v[10:11]
	scratch_store_b128 off, v[8:11], off offset:288
	s_wait_xcnt 0x0
	v_cmpx_lt_u32_e32 17, v1
	s_cbranch_execz .LBB37_207
; %bb.206:
	scratch_load_b128 v[8:11], off, s31
	v_dual_mov_b32 v3, v2 :: v_dual_mov_b32 v4, v2
	v_mov_b32_e32 v5, v2
	scratch_store_b128 off, v[2:5], off offset:272
	s_wait_loadcnt 0x0
	ds_store_b128 v6, v[8:11]
.LBB37_207:
	s_wait_xcnt 0x0
	s_or_b32 exec_lo, exec_lo, s2
	s_wait_storecnt_dscnt 0x0
	s_barrier_signal -1
	s_barrier_wait -1
	s_clause 0x9
	scratch_load_b128 v[8:11], off, off offset:288
	scratch_load_b128 v[90:93], off, off offset:304
	scratch_load_b128 v[94:97], off, off offset:320
	scratch_load_b128 v[98:101], off, off offset:336
	scratch_load_b128 v[102:105], off, off offset:352
	scratch_load_b128 v[106:109], off, off offset:368
	scratch_load_b128 v[110:113], off, off offset:384
	scratch_load_b128 v[114:117], off, off offset:400
	scratch_load_b128 v[118:121], off, off offset:416
	scratch_load_b128 v[122:125], off, off offset:432
	ds_load_b128 v[126:129], v2 offset:896
	ds_load_b128 v[134:137], v2 offset:912
	s_clause 0x1
	scratch_load_b128 v[130:133], off, off offset:448
	scratch_load_b128 v[138:141], off, off offset:272
	s_mov_b32 s2, exec_lo
	s_wait_loadcnt_dscnt 0xb01
	v_mul_f64_e32 v[4:5], v[128:129], v[10:11]
	v_mul_f64_e32 v[150:151], v[126:127], v[10:11]
	scratch_load_b128 v[10:13], off, off offset:464
	s_wait_loadcnt_dscnt 0xb00
	v_mul_f64_e32 v[152:153], v[134:135], v[92:93]
	v_mul_f64_e32 v[92:93], v[136:137], v[92:93]
	v_fma_f64 v[4:5], v[126:127], v[8:9], -v[4:5]
	v_fmac_f64_e32 v[150:151], v[128:129], v[8:9]
	ds_load_b128 v[126:129], v2 offset:928
	ds_load_b128 v[142:145], v2 offset:944
	scratch_load_b128 v[146:149], off, off offset:480
	v_fmac_f64_e32 v[152:153], v[136:137], v[90:91]
	v_fma_f64 v[134:135], v[134:135], v[90:91], -v[92:93]
	scratch_load_b128 v[90:93], off, off offset:496
	s_wait_loadcnt_dscnt 0xc01
	v_mul_f64_e32 v[8:9], v[126:127], v[96:97]
	v_mul_f64_e32 v[96:97], v[128:129], v[96:97]
	v_add_f64_e32 v[4:5], 0, v[4:5]
	v_add_f64_e32 v[136:137], 0, v[150:151]
	s_wait_loadcnt_dscnt 0xb00
	v_mul_f64_e32 v[150:151], v[142:143], v[100:101]
	v_mul_f64_e32 v[100:101], v[144:145], v[100:101]
	v_fmac_f64_e32 v[8:9], v[128:129], v[94:95]
	v_fma_f64 v[154:155], v[126:127], v[94:95], -v[96:97]
	ds_load_b128 v[94:97], v2 offset:960
	ds_load_b128 v[126:129], v2 offset:976
	v_add_f64_e32 v[4:5], v[4:5], v[134:135]
	v_add_f64_e32 v[152:153], v[136:137], v[152:153]
	scratch_load_b128 v[134:137], off, off offset:512
	v_fmac_f64_e32 v[150:151], v[144:145], v[98:99]
	v_fma_f64 v[142:143], v[142:143], v[98:99], -v[100:101]
	scratch_load_b128 v[98:101], off, off offset:528
	s_wait_loadcnt_dscnt 0xc01
	v_mul_f64_e32 v[156:157], v[94:95], v[104:105]
	v_mul_f64_e32 v[104:105], v[96:97], v[104:105]
	v_add_f64_e32 v[4:5], v[4:5], v[154:155]
	v_add_f64_e32 v[8:9], v[152:153], v[8:9]
	s_wait_loadcnt_dscnt 0xb00
	v_mul_f64_e32 v[152:153], v[126:127], v[108:109]
	v_mul_f64_e32 v[108:109], v[128:129], v[108:109]
	v_fmac_f64_e32 v[156:157], v[96:97], v[102:103]
	v_fma_f64 v[154:155], v[94:95], v[102:103], -v[104:105]
	ds_load_b128 v[94:97], v2 offset:992
	ds_load_b128 v[102:105], v2 offset:1008
	v_add_f64_e32 v[4:5], v[4:5], v[142:143]
	v_add_f64_e32 v[8:9], v[8:9], v[150:151]
	scratch_load_b128 v[142:145], off, off offset:544
	s_wait_loadcnt_dscnt 0xb01
	v_mul_f64_e32 v[150:151], v[94:95], v[112:113]
	v_mul_f64_e32 v[112:113], v[96:97], v[112:113]
	v_fmac_f64_e32 v[152:153], v[128:129], v[106:107]
	v_fma_f64 v[126:127], v[126:127], v[106:107], -v[108:109]
	scratch_load_b128 v[106:109], off, off offset:560
	v_add_f64_e32 v[4:5], v[4:5], v[154:155]
	v_add_f64_e32 v[8:9], v[8:9], v[156:157]
	s_wait_loadcnt_dscnt 0xb00
	v_mul_f64_e32 v[154:155], v[102:103], v[116:117]
	v_mul_f64_e32 v[116:117], v[104:105], v[116:117]
	v_fmac_f64_e32 v[150:151], v[96:97], v[110:111]
	v_fma_f64 v[156:157], v[94:95], v[110:111], -v[112:113]
	ds_load_b128 v[94:97], v2 offset:1024
	ds_load_b128 v[110:113], v2 offset:1040
	v_add_f64_e32 v[4:5], v[4:5], v[126:127]
	v_add_f64_e32 v[8:9], v[8:9], v[152:153]
	scratch_load_b128 v[126:129], off, off offset:576
	s_wait_loadcnt_dscnt 0xb01
	v_mul_f64_e32 v[152:153], v[94:95], v[120:121]
	v_mul_f64_e32 v[120:121], v[96:97], v[120:121]
	v_fmac_f64_e32 v[154:155], v[104:105], v[114:115]
	v_fma_f64 v[114:115], v[102:103], v[114:115], -v[116:117]
	scratch_load_b128 v[102:105], off, off offset:592
	v_add_f64_e32 v[4:5], v[4:5], v[156:157]
	v_add_f64_e32 v[8:9], v[8:9], v[150:151]
	s_wait_loadcnt_dscnt 0xb00
	v_mul_f64_e32 v[150:151], v[110:111], v[124:125]
	v_mul_f64_e32 v[124:125], v[112:113], v[124:125]
	v_fmac_f64_e32 v[152:153], v[96:97], v[118:119]
	v_fma_f64 v[118:119], v[94:95], v[118:119], -v[120:121]
	v_add_f64_e32 v[4:5], v[4:5], v[114:115]
	v_add_f64_e32 v[8:9], v[8:9], v[154:155]
	ds_load_b128 v[94:97], v2 offset:1056
	ds_load_b128 v[114:117], v2 offset:1072
	v_fmac_f64_e32 v[150:151], v[112:113], v[122:123]
	v_fma_f64 v[110:111], v[110:111], v[122:123], -v[124:125]
	s_wait_loadcnt_dscnt 0xa01
	v_mul_f64_e32 v[120:121], v[94:95], v[132:133]
	v_mul_f64_e32 v[132:133], v[96:97], v[132:133]
	v_add_f64_e32 v[4:5], v[4:5], v[118:119]
	v_add_f64_e32 v[8:9], v[8:9], v[152:153]
	s_wait_loadcnt_dscnt 0x800
	v_mul_f64_e32 v[118:119], v[114:115], v[12:13]
	v_mul_f64_e32 v[12:13], v[116:117], v[12:13]
	v_fmac_f64_e32 v[120:121], v[96:97], v[130:131]
	v_fma_f64 v[122:123], v[94:95], v[130:131], -v[132:133]
	v_add_f64_e32 v[4:5], v[4:5], v[110:111]
	v_add_f64_e32 v[8:9], v[8:9], v[150:151]
	ds_load_b128 v[94:97], v2 offset:1088
	ds_load_b128 v[110:113], v2 offset:1104
	v_fmac_f64_e32 v[118:119], v[116:117], v[10:11]
	v_fma_f64 v[10:11], v[114:115], v[10:11], -v[12:13]
	s_wait_loadcnt_dscnt 0x701
	v_mul_f64_e32 v[124:125], v[94:95], v[148:149]
	v_mul_f64_e32 v[130:131], v[96:97], v[148:149]
	s_wait_loadcnt_dscnt 0x600
	v_mul_f64_e32 v[12:13], v[110:111], v[92:93]
	v_mul_f64_e32 v[114:115], v[112:113], v[92:93]
	v_add_f64_e32 v[4:5], v[4:5], v[122:123]
	v_add_f64_e32 v[8:9], v[8:9], v[120:121]
	v_fmac_f64_e32 v[124:125], v[96:97], v[146:147]
	v_fma_f64 v[96:97], v[94:95], v[146:147], -v[130:131]
	v_fmac_f64_e32 v[12:13], v[112:113], v[90:91]
	v_fma_f64 v[90:91], v[110:111], v[90:91], -v[114:115]
	v_add_f64_e32 v[4:5], v[4:5], v[10:11]
	v_add_f64_e32 v[116:117], v[8:9], v[118:119]
	ds_load_b128 v[8:11], v2 offset:1120
	ds_load_b128 v[92:95], v2 offset:1136
	s_wait_loadcnt_dscnt 0x501
	v_mul_f64_e32 v[118:119], v[8:9], v[136:137]
	v_mul_f64_e32 v[120:121], v[10:11], v[136:137]
	s_wait_loadcnt_dscnt 0x400
	v_mul_f64_e32 v[114:115], v[92:93], v[100:101]
	v_mul_f64_e32 v[100:101], v[94:95], v[100:101]
	v_add_f64_e32 v[4:5], v[4:5], v[96:97]
	v_add_f64_e32 v[96:97], v[116:117], v[124:125]
	v_fmac_f64_e32 v[118:119], v[10:11], v[134:135]
	v_fma_f64 v[116:117], v[8:9], v[134:135], -v[120:121]
	ds_load_b128 v[8:11], v2 offset:1152
	ds_load_b128 v[110:113], v2 offset:1168
	v_fmac_f64_e32 v[114:115], v[94:95], v[98:99]
	v_fma_f64 v[92:93], v[92:93], v[98:99], -v[100:101]
	v_add_f64_e32 v[4:5], v[4:5], v[90:91]
	v_add_f64_e32 v[12:13], v[96:97], v[12:13]
	s_wait_loadcnt_dscnt 0x301
	v_mul_f64_e32 v[90:91], v[8:9], v[144:145]
	v_mul_f64_e32 v[96:97], v[10:11], v[144:145]
	s_wait_loadcnt_dscnt 0x200
	v_mul_f64_e32 v[94:95], v[110:111], v[108:109]
	v_mul_f64_e32 v[98:99], v[112:113], v[108:109]
	v_add_f64_e32 v[4:5], v[4:5], v[116:117]
	v_add_f64_e32 v[12:13], v[12:13], v[118:119]
	v_fmac_f64_e32 v[90:91], v[10:11], v[142:143]
	v_fma_f64 v[96:97], v[8:9], v[142:143], -v[96:97]
	v_fmac_f64_e32 v[94:95], v[112:113], v[106:107]
	v_fma_f64 v[98:99], v[110:111], v[106:107], -v[98:99]
	v_add_f64_e32 v[92:93], v[4:5], v[92:93]
	v_add_f64_e32 v[12:13], v[12:13], v[114:115]
	ds_load_b128 v[8:11], v2 offset:1184
	ds_load_b128 v[2:5], v2 offset:1200
	s_wait_loadcnt_dscnt 0x101
	v_mul_f64_e32 v[100:101], v[8:9], v[128:129]
	v_mul_f64_e32 v[108:109], v[10:11], v[128:129]
	v_add_f64_e32 v[92:93], v[92:93], v[96:97]
	v_add_f64_e32 v[12:13], v[12:13], v[90:91]
	s_wait_loadcnt_dscnt 0x0
	v_mul_f64_e32 v[90:91], v[2:3], v[104:105]
	v_mul_f64_e32 v[96:97], v[4:5], v[104:105]
	v_fmac_f64_e32 v[100:101], v[10:11], v[126:127]
	v_fma_f64 v[8:9], v[8:9], v[126:127], -v[108:109]
	v_add_f64_e32 v[10:11], v[92:93], v[98:99]
	v_add_f64_e32 v[12:13], v[12:13], v[94:95]
	v_fmac_f64_e32 v[90:91], v[4:5], v[102:103]
	v_fma_f64 v[2:3], v[2:3], v[102:103], -v[96:97]
	s_delay_alu instid0(VALU_DEP_4) | instskip(NEXT) | instid1(VALU_DEP_4)
	v_add_f64_e32 v[4:5], v[10:11], v[8:9]
	v_add_f64_e32 v[8:9], v[12:13], v[100:101]
	s_delay_alu instid0(VALU_DEP_2) | instskip(NEXT) | instid1(VALU_DEP_2)
	v_add_f64_e32 v[2:3], v[4:5], v[2:3]
	v_add_f64_e32 v[4:5], v[8:9], v[90:91]
	s_delay_alu instid0(VALU_DEP_2) | instskip(NEXT) | instid1(VALU_DEP_2)
	v_add_f64_e64 v[2:3], v[138:139], -v[2:3]
	v_add_f64_e64 v[4:5], v[140:141], -v[4:5]
	scratch_store_b128 off, v[2:5], off offset:272
	s_wait_xcnt 0x0
	v_cmpx_lt_u32_e32 16, v1
	s_cbranch_execz .LBB37_209
; %bb.208:
	scratch_load_b128 v[2:5], off, s30
	v_mov_b32_e32 v8, 0
	s_delay_alu instid0(VALU_DEP_1)
	v_dual_mov_b32 v9, v8 :: v_dual_mov_b32 v10, v8
	v_mov_b32_e32 v11, v8
	scratch_store_b128 off, v[8:11], off offset:256
	s_wait_loadcnt 0x0
	ds_store_b128 v6, v[2:5]
.LBB37_209:
	s_wait_xcnt 0x0
	s_or_b32 exec_lo, exec_lo, s2
	s_wait_storecnt_dscnt 0x0
	s_barrier_signal -1
	s_barrier_wait -1
	s_clause 0x9
	scratch_load_b128 v[8:11], off, off offset:272
	scratch_load_b128 v[90:93], off, off offset:288
	;; [unrolled: 1-line block ×10, first 2 shown]
	v_mov_b32_e32 v2, 0
	s_mov_b32 s2, exec_lo
	ds_load_b128 v[126:129], v2 offset:880
	s_clause 0x2
	scratch_load_b128 v[130:133], off, off offset:432
	scratch_load_b128 v[134:137], off, off offset:256
	;; [unrolled: 1-line block ×3, first 2 shown]
	s_wait_loadcnt_dscnt 0xc00
	v_mul_f64_e32 v[4:5], v[128:129], v[10:11]
	v_mul_f64_e32 v[150:151], v[126:127], v[10:11]
	ds_load_b128 v[138:141], v2 offset:896
	scratch_load_b128 v[10:13], off, off offset:448
	ds_load_b128 v[146:149], v2 offset:928
	v_fma_f64 v[4:5], v[126:127], v[8:9], -v[4:5]
	v_fmac_f64_e32 v[150:151], v[128:129], v[8:9]
	ds_load_b128 v[126:129], v2 offset:912
	s_wait_loadcnt_dscnt 0xc02
	v_mul_f64_e32 v[152:153], v[138:139], v[92:93]
	v_mul_f64_e32 v[92:93], v[140:141], v[92:93]
	s_wait_loadcnt_dscnt 0xb00
	v_mul_f64_e32 v[8:9], v[126:127], v[96:97]
	v_mul_f64_e32 v[96:97], v[128:129], v[96:97]
	v_add_f64_e32 v[4:5], 0, v[4:5]
	v_fmac_f64_e32 v[152:153], v[140:141], v[90:91]
	v_fma_f64 v[138:139], v[138:139], v[90:91], -v[92:93]
	v_add_f64_e32 v[140:141], 0, v[150:151]
	scratch_load_b128 v[90:93], off, off offset:480
	v_fmac_f64_e32 v[8:9], v[128:129], v[94:95]
	v_fma_f64 v[154:155], v[126:127], v[94:95], -v[96:97]
	ds_load_b128 v[94:97], v2 offset:944
	s_wait_loadcnt 0xb
	v_mul_f64_e32 v[150:151], v[146:147], v[100:101]
	v_mul_f64_e32 v[100:101], v[148:149], v[100:101]
	scratch_load_b128 v[126:129], off, off offset:496
	v_add_f64_e32 v[4:5], v[4:5], v[138:139]
	v_add_f64_e32 v[152:153], v[140:141], v[152:153]
	ds_load_b128 v[138:141], v2 offset:960
	s_wait_loadcnt_dscnt 0xb01
	v_mul_f64_e32 v[156:157], v[94:95], v[104:105]
	v_mul_f64_e32 v[104:105], v[96:97], v[104:105]
	v_fmac_f64_e32 v[150:151], v[148:149], v[98:99]
	v_fma_f64 v[146:147], v[146:147], v[98:99], -v[100:101]
	scratch_load_b128 v[98:101], off, off offset:512
	v_add_f64_e32 v[4:5], v[4:5], v[154:155]
	v_add_f64_e32 v[8:9], v[152:153], v[8:9]
	v_fmac_f64_e32 v[156:157], v[96:97], v[102:103]
	v_fma_f64 v[154:155], v[94:95], v[102:103], -v[104:105]
	ds_load_b128 v[94:97], v2 offset:976
	s_wait_loadcnt_dscnt 0xb01
	v_mul_f64_e32 v[152:153], v[138:139], v[108:109]
	v_mul_f64_e32 v[108:109], v[140:141], v[108:109]
	scratch_load_b128 v[102:105], off, off offset:528
	v_add_f64_e32 v[4:5], v[4:5], v[146:147]
	v_add_f64_e32 v[8:9], v[8:9], v[150:151]
	s_wait_loadcnt_dscnt 0xb00
	v_mul_f64_e32 v[150:151], v[94:95], v[112:113]
	v_mul_f64_e32 v[112:113], v[96:97], v[112:113]
	ds_load_b128 v[146:149], v2 offset:992
	v_fmac_f64_e32 v[152:153], v[140:141], v[106:107]
	v_fma_f64 v[138:139], v[138:139], v[106:107], -v[108:109]
	scratch_load_b128 v[106:109], off, off offset:544
	v_add_f64_e32 v[4:5], v[4:5], v[154:155]
	v_add_f64_e32 v[8:9], v[8:9], v[156:157]
	v_fmac_f64_e32 v[150:151], v[96:97], v[110:111]
	v_fma_f64 v[156:157], v[94:95], v[110:111], -v[112:113]
	ds_load_b128 v[94:97], v2 offset:1008
	s_wait_loadcnt_dscnt 0xb01
	v_mul_f64_e32 v[154:155], v[146:147], v[116:117]
	v_mul_f64_e32 v[116:117], v[148:149], v[116:117]
	scratch_load_b128 v[110:113], off, off offset:560
	v_add_f64_e32 v[4:5], v[4:5], v[138:139]
	v_add_f64_e32 v[8:9], v[8:9], v[152:153]
	s_wait_loadcnt_dscnt 0xb00
	v_mul_f64_e32 v[152:153], v[94:95], v[120:121]
	v_mul_f64_e32 v[120:121], v[96:97], v[120:121]
	ds_load_b128 v[138:141], v2 offset:1024
	;; [unrolled: 18-line block ×3, first 2 shown]
	v_fmac_f64_e32 v[150:151], v[140:141], v[122:123]
	v_fma_f64 v[122:123], v[138:139], v[122:123], -v[124:125]
	s_wait_loadcnt_dscnt 0x800
	v_mul_f64_e32 v[138:139], v[146:147], v[12:13]
	v_add_f64_e32 v[4:5], v[4:5], v[156:157]
	v_add_f64_e32 v[8:9], v[8:9], v[152:153]
	v_mul_f64_e32 v[12:13], v[148:149], v[12:13]
	v_fmac_f64_e32 v[154:155], v[96:97], v[130:131]
	v_fma_f64 v[130:131], v[94:95], v[130:131], -v[132:133]
	v_fmac_f64_e32 v[138:139], v[148:149], v[10:11]
	v_add_f64_e32 v[4:5], v[4:5], v[122:123]
	v_add_f64_e32 v[8:9], v[8:9], v[150:151]
	ds_load_b128 v[94:97], v2 offset:1072
	ds_load_b128 v[122:125], v2 offset:1088
	v_fma_f64 v[10:11], v[146:147], v[10:11], -v[12:13]
	s_wait_dscnt 0x1
	v_mul_f64_e32 v[132:133], v[94:95], v[144:145]
	v_mul_f64_e32 v[140:141], v[96:97], v[144:145]
	v_add_f64_e32 v[4:5], v[4:5], v[130:131]
	v_add_f64_e32 v[8:9], v[8:9], v[154:155]
	s_wait_loadcnt_dscnt 0x700
	v_mul_f64_e32 v[12:13], v[122:123], v[92:93]
	v_mul_f64_e32 v[130:131], v[124:125], v[92:93]
	v_fmac_f64_e32 v[132:133], v[96:97], v[142:143]
	v_fma_f64 v[96:97], v[94:95], v[142:143], -v[140:141]
	v_add_f64_e32 v[4:5], v[4:5], v[10:11]
	v_add_f64_e32 v[138:139], v[8:9], v[138:139]
	ds_load_b128 v[8:11], v2 offset:1104
	ds_load_b128 v[92:95], v2 offset:1120
	v_fmac_f64_e32 v[12:13], v[124:125], v[90:91]
	v_fma_f64 v[90:91], v[122:123], v[90:91], -v[130:131]
	s_wait_loadcnt_dscnt 0x601
	v_mul_f64_e32 v[140:141], v[8:9], v[128:129]
	v_mul_f64_e32 v[128:129], v[10:11], v[128:129]
	s_wait_loadcnt_dscnt 0x500
	v_mul_f64_e32 v[130:131], v[92:93], v[100:101]
	v_mul_f64_e32 v[100:101], v[94:95], v[100:101]
	v_add_f64_e32 v[4:5], v[4:5], v[96:97]
	v_add_f64_e32 v[96:97], v[138:139], v[132:133]
	v_fmac_f64_e32 v[140:141], v[10:11], v[126:127]
	v_fma_f64 v[126:127], v[8:9], v[126:127], -v[128:129]
	ds_load_b128 v[8:11], v2 offset:1136
	ds_load_b128 v[122:125], v2 offset:1152
	v_fmac_f64_e32 v[130:131], v[94:95], v[98:99]
	v_fma_f64 v[92:93], v[92:93], v[98:99], -v[100:101]
	v_add_f64_e32 v[4:5], v[4:5], v[90:91]
	v_add_f64_e32 v[12:13], v[96:97], v[12:13]
	s_wait_loadcnt_dscnt 0x401
	v_mul_f64_e32 v[96:97], v[8:9], v[104:105]
	v_mul_f64_e32 v[90:91], v[10:11], v[104:105]
	s_wait_loadcnt_dscnt 0x300
	v_mul_f64_e32 v[94:95], v[122:123], v[108:109]
	v_mul_f64_e32 v[98:99], v[124:125], v[108:109]
	v_add_f64_e32 v[4:5], v[4:5], v[126:127]
	v_add_f64_e32 v[12:13], v[12:13], v[140:141]
	v_fmac_f64_e32 v[96:97], v[10:11], v[102:103]
	v_fma_f64 v[100:101], v[8:9], v[102:103], -v[90:91]
	v_fmac_f64_e32 v[94:95], v[124:125], v[106:107]
	v_fma_f64 v[98:99], v[122:123], v[106:107], -v[98:99]
	v_add_f64_e32 v[4:5], v[4:5], v[92:93]
	v_add_f64_e32 v[12:13], v[12:13], v[130:131]
	ds_load_b128 v[8:11], v2 offset:1168
	ds_load_b128 v[90:93], v2 offset:1184
	s_wait_loadcnt_dscnt 0x201
	v_mul_f64_e32 v[102:103], v[8:9], v[112:113]
	v_mul_f64_e32 v[104:105], v[10:11], v[112:113]
	v_add_f64_e32 v[4:5], v[4:5], v[100:101]
	v_add_f64_e32 v[12:13], v[12:13], v[96:97]
	s_wait_loadcnt_dscnt 0x100
	v_mul_f64_e32 v[96:97], v[90:91], v[116:117]
	v_mul_f64_e32 v[100:101], v[92:93], v[116:117]
	v_fmac_f64_e32 v[102:103], v[10:11], v[110:111]
	v_fma_f64 v[104:105], v[8:9], v[110:111], -v[104:105]
	ds_load_b128 v[8:11], v2 offset:1200
	v_add_f64_e32 v[4:5], v[4:5], v[98:99]
	v_add_f64_e32 v[12:13], v[12:13], v[94:95]
	v_fmac_f64_e32 v[96:97], v[92:93], v[114:115]
	v_fma_f64 v[90:91], v[90:91], v[114:115], -v[100:101]
	s_wait_loadcnt_dscnt 0x0
	v_mul_f64_e32 v[94:95], v[8:9], v[120:121]
	v_mul_f64_e32 v[98:99], v[10:11], v[120:121]
	v_add_f64_e32 v[4:5], v[4:5], v[104:105]
	v_add_f64_e32 v[12:13], v[12:13], v[102:103]
	s_delay_alu instid0(VALU_DEP_4) | instskip(NEXT) | instid1(VALU_DEP_4)
	v_fmac_f64_e32 v[94:95], v[10:11], v[118:119]
	v_fma_f64 v[8:9], v[8:9], v[118:119], -v[98:99]
	s_delay_alu instid0(VALU_DEP_4) | instskip(NEXT) | instid1(VALU_DEP_4)
	v_add_f64_e32 v[4:5], v[4:5], v[90:91]
	v_add_f64_e32 v[10:11], v[12:13], v[96:97]
	s_delay_alu instid0(VALU_DEP_2) | instskip(NEXT) | instid1(VALU_DEP_2)
	v_add_f64_e32 v[4:5], v[4:5], v[8:9]
	v_add_f64_e32 v[10:11], v[10:11], v[94:95]
	s_delay_alu instid0(VALU_DEP_2) | instskip(NEXT) | instid1(VALU_DEP_2)
	v_add_f64_e64 v[8:9], v[134:135], -v[4:5]
	v_add_f64_e64 v[10:11], v[136:137], -v[10:11]
	scratch_store_b128 off, v[8:11], off offset:256
	s_wait_xcnt 0x0
	v_cmpx_lt_u32_e32 15, v1
	s_cbranch_execz .LBB37_211
; %bb.210:
	scratch_load_b128 v[8:11], off, s44
	v_dual_mov_b32 v3, v2 :: v_dual_mov_b32 v4, v2
	v_mov_b32_e32 v5, v2
	scratch_store_b128 off, v[2:5], off offset:240
	s_wait_loadcnt 0x0
	ds_store_b128 v6, v[8:11]
.LBB37_211:
	s_wait_xcnt 0x0
	s_or_b32 exec_lo, exec_lo, s2
	s_wait_storecnt_dscnt 0x0
	s_barrier_signal -1
	s_barrier_wait -1
	s_clause 0x9
	scratch_load_b128 v[8:11], off, off offset:256
	scratch_load_b128 v[90:93], off, off offset:272
	;; [unrolled: 1-line block ×10, first 2 shown]
	ds_load_b128 v[126:129], v2 offset:864
	ds_load_b128 v[134:137], v2 offset:880
	s_clause 0x1
	scratch_load_b128 v[130:133], off, off offset:416
	scratch_load_b128 v[138:141], off, off offset:240
	s_mov_b32 s2, exec_lo
	s_wait_loadcnt_dscnt 0xb01
	v_mul_f64_e32 v[4:5], v[128:129], v[10:11]
	v_mul_f64_e32 v[150:151], v[126:127], v[10:11]
	scratch_load_b128 v[10:13], off, off offset:432
	s_wait_loadcnt_dscnt 0xb00
	v_mul_f64_e32 v[152:153], v[134:135], v[92:93]
	v_mul_f64_e32 v[92:93], v[136:137], v[92:93]
	v_fma_f64 v[4:5], v[126:127], v[8:9], -v[4:5]
	v_fmac_f64_e32 v[150:151], v[128:129], v[8:9]
	ds_load_b128 v[126:129], v2 offset:896
	ds_load_b128 v[142:145], v2 offset:912
	scratch_load_b128 v[146:149], off, off offset:448
	v_fmac_f64_e32 v[152:153], v[136:137], v[90:91]
	v_fma_f64 v[134:135], v[134:135], v[90:91], -v[92:93]
	scratch_load_b128 v[90:93], off, off offset:464
	s_wait_loadcnt_dscnt 0xc01
	v_mul_f64_e32 v[8:9], v[126:127], v[96:97]
	v_mul_f64_e32 v[96:97], v[128:129], v[96:97]
	v_add_f64_e32 v[4:5], 0, v[4:5]
	v_add_f64_e32 v[136:137], 0, v[150:151]
	s_wait_loadcnt_dscnt 0xb00
	v_mul_f64_e32 v[150:151], v[142:143], v[100:101]
	v_mul_f64_e32 v[100:101], v[144:145], v[100:101]
	v_fmac_f64_e32 v[8:9], v[128:129], v[94:95]
	v_fma_f64 v[154:155], v[126:127], v[94:95], -v[96:97]
	ds_load_b128 v[94:97], v2 offset:928
	ds_load_b128 v[126:129], v2 offset:944
	v_add_f64_e32 v[4:5], v[4:5], v[134:135]
	v_add_f64_e32 v[152:153], v[136:137], v[152:153]
	scratch_load_b128 v[134:137], off, off offset:480
	v_fmac_f64_e32 v[150:151], v[144:145], v[98:99]
	v_fma_f64 v[142:143], v[142:143], v[98:99], -v[100:101]
	scratch_load_b128 v[98:101], off, off offset:496
	s_wait_loadcnt_dscnt 0xc01
	v_mul_f64_e32 v[156:157], v[94:95], v[104:105]
	v_mul_f64_e32 v[104:105], v[96:97], v[104:105]
	v_add_f64_e32 v[4:5], v[4:5], v[154:155]
	v_add_f64_e32 v[8:9], v[152:153], v[8:9]
	s_wait_loadcnt_dscnt 0xb00
	v_mul_f64_e32 v[152:153], v[126:127], v[108:109]
	v_mul_f64_e32 v[108:109], v[128:129], v[108:109]
	v_fmac_f64_e32 v[156:157], v[96:97], v[102:103]
	v_fma_f64 v[154:155], v[94:95], v[102:103], -v[104:105]
	ds_load_b128 v[94:97], v2 offset:960
	ds_load_b128 v[102:105], v2 offset:976
	v_add_f64_e32 v[4:5], v[4:5], v[142:143]
	v_add_f64_e32 v[8:9], v[8:9], v[150:151]
	scratch_load_b128 v[142:145], off, off offset:512
	s_wait_loadcnt_dscnt 0xb01
	v_mul_f64_e32 v[150:151], v[94:95], v[112:113]
	v_mul_f64_e32 v[112:113], v[96:97], v[112:113]
	v_fmac_f64_e32 v[152:153], v[128:129], v[106:107]
	v_fma_f64 v[126:127], v[126:127], v[106:107], -v[108:109]
	scratch_load_b128 v[106:109], off, off offset:528
	v_add_f64_e32 v[4:5], v[4:5], v[154:155]
	v_add_f64_e32 v[8:9], v[8:9], v[156:157]
	s_wait_loadcnt_dscnt 0xb00
	v_mul_f64_e32 v[154:155], v[102:103], v[116:117]
	v_mul_f64_e32 v[116:117], v[104:105], v[116:117]
	v_fmac_f64_e32 v[150:151], v[96:97], v[110:111]
	v_fma_f64 v[156:157], v[94:95], v[110:111], -v[112:113]
	ds_load_b128 v[94:97], v2 offset:992
	ds_load_b128 v[110:113], v2 offset:1008
	v_add_f64_e32 v[4:5], v[4:5], v[126:127]
	v_add_f64_e32 v[8:9], v[8:9], v[152:153]
	scratch_load_b128 v[126:129], off, off offset:544
	s_wait_loadcnt_dscnt 0xb01
	v_mul_f64_e32 v[152:153], v[94:95], v[120:121]
	v_mul_f64_e32 v[120:121], v[96:97], v[120:121]
	v_fmac_f64_e32 v[154:155], v[104:105], v[114:115]
	v_fma_f64 v[114:115], v[102:103], v[114:115], -v[116:117]
	scratch_load_b128 v[102:105], off, off offset:560
	v_add_f64_e32 v[4:5], v[4:5], v[156:157]
	v_add_f64_e32 v[8:9], v[8:9], v[150:151]
	s_wait_loadcnt_dscnt 0xb00
	v_mul_f64_e32 v[150:151], v[110:111], v[124:125]
	v_mul_f64_e32 v[124:125], v[112:113], v[124:125]
	v_fmac_f64_e32 v[152:153], v[96:97], v[118:119]
	v_fma_f64 v[156:157], v[94:95], v[118:119], -v[120:121]
	v_add_f64_e32 v[4:5], v[4:5], v[114:115]
	v_add_f64_e32 v[8:9], v[8:9], v[154:155]
	ds_load_b128 v[94:97], v2 offset:1024
	ds_load_b128 v[114:117], v2 offset:1040
	scratch_load_b128 v[118:121], off, off offset:576
	v_fmac_f64_e32 v[150:151], v[112:113], v[122:123]
	v_fma_f64 v[122:123], v[110:111], v[122:123], -v[124:125]
	scratch_load_b128 v[110:113], off, off offset:592
	s_wait_loadcnt_dscnt 0xc01
	v_mul_f64_e32 v[154:155], v[94:95], v[132:133]
	v_mul_f64_e32 v[132:133], v[96:97], v[132:133]
	v_add_f64_e32 v[4:5], v[4:5], v[156:157]
	v_add_f64_e32 v[8:9], v[8:9], v[152:153]
	s_wait_loadcnt_dscnt 0xa00
	v_mul_f64_e32 v[152:153], v[114:115], v[12:13]
	v_mul_f64_e32 v[12:13], v[116:117], v[12:13]
	v_fmac_f64_e32 v[154:155], v[96:97], v[130:131]
	v_fma_f64 v[130:131], v[94:95], v[130:131], -v[132:133]
	v_add_f64_e32 v[4:5], v[4:5], v[122:123]
	v_add_f64_e32 v[8:9], v[8:9], v[150:151]
	ds_load_b128 v[94:97], v2 offset:1056
	ds_load_b128 v[122:125], v2 offset:1072
	v_fmac_f64_e32 v[152:153], v[116:117], v[10:11]
	v_fma_f64 v[10:11], v[114:115], v[10:11], -v[12:13]
	s_wait_loadcnt_dscnt 0x901
	v_mul_f64_e32 v[132:133], v[94:95], v[148:149]
	v_mul_f64_e32 v[148:149], v[96:97], v[148:149]
	s_wait_loadcnt_dscnt 0x800
	v_mul_f64_e32 v[12:13], v[122:123], v[92:93]
	v_mul_f64_e32 v[114:115], v[124:125], v[92:93]
	v_add_f64_e32 v[4:5], v[4:5], v[130:131]
	v_add_f64_e32 v[8:9], v[8:9], v[154:155]
	v_fmac_f64_e32 v[132:133], v[96:97], v[146:147]
	v_fma_f64 v[96:97], v[94:95], v[146:147], -v[148:149]
	v_fmac_f64_e32 v[12:13], v[124:125], v[90:91]
	v_fma_f64 v[90:91], v[122:123], v[90:91], -v[114:115]
	v_add_f64_e32 v[4:5], v[4:5], v[10:11]
	v_add_f64_e32 v[116:117], v[8:9], v[152:153]
	ds_load_b128 v[8:11], v2 offset:1088
	ds_load_b128 v[92:95], v2 offset:1104
	s_wait_loadcnt_dscnt 0x701
	v_mul_f64_e32 v[130:131], v[8:9], v[136:137]
	v_mul_f64_e32 v[136:137], v[10:11], v[136:137]
	s_wait_loadcnt_dscnt 0x600
	v_mul_f64_e32 v[122:123], v[92:93], v[100:101]
	v_mul_f64_e32 v[100:101], v[94:95], v[100:101]
	v_add_f64_e32 v[4:5], v[4:5], v[96:97]
	v_add_f64_e32 v[96:97], v[116:117], v[132:133]
	v_fmac_f64_e32 v[130:131], v[10:11], v[134:135]
	v_fma_f64 v[124:125], v[8:9], v[134:135], -v[136:137]
	ds_load_b128 v[8:11], v2 offset:1120
	ds_load_b128 v[114:117], v2 offset:1136
	v_fmac_f64_e32 v[122:123], v[94:95], v[98:99]
	v_fma_f64 v[92:93], v[92:93], v[98:99], -v[100:101]
	v_add_f64_e32 v[4:5], v[4:5], v[90:91]
	v_add_f64_e32 v[12:13], v[96:97], v[12:13]
	s_wait_loadcnt_dscnt 0x501
	v_mul_f64_e32 v[96:97], v[8:9], v[144:145]
	v_mul_f64_e32 v[90:91], v[10:11], v[144:145]
	s_wait_loadcnt_dscnt 0x400
	v_mul_f64_e32 v[94:95], v[114:115], v[108:109]
	v_mul_f64_e32 v[98:99], v[116:117], v[108:109]
	v_add_f64_e32 v[4:5], v[4:5], v[124:125]
	v_add_f64_e32 v[12:13], v[12:13], v[130:131]
	v_fmac_f64_e32 v[96:97], v[10:11], v[142:143]
	v_fma_f64 v[100:101], v[8:9], v[142:143], -v[90:91]
	v_fmac_f64_e32 v[94:95], v[116:117], v[106:107]
	v_fma_f64 v[98:99], v[114:115], v[106:107], -v[98:99]
	v_add_f64_e32 v[4:5], v[4:5], v[92:93]
	v_add_f64_e32 v[12:13], v[12:13], v[122:123]
	ds_load_b128 v[8:11], v2 offset:1152
	ds_load_b128 v[90:93], v2 offset:1168
	s_wait_loadcnt_dscnt 0x301
	v_mul_f64_e32 v[108:109], v[8:9], v[128:129]
	v_mul_f64_e32 v[122:123], v[10:11], v[128:129]
	v_add_f64_e32 v[4:5], v[4:5], v[100:101]
	v_add_f64_e32 v[12:13], v[12:13], v[96:97]
	s_wait_loadcnt_dscnt 0x200
	v_mul_f64_e32 v[96:97], v[90:91], v[104:105]
	v_mul_f64_e32 v[100:101], v[92:93], v[104:105]
	v_fmac_f64_e32 v[108:109], v[10:11], v[126:127]
	v_fma_f64 v[104:105], v[8:9], v[126:127], -v[122:123]
	v_add_f64_e32 v[98:99], v[4:5], v[98:99]
	v_add_f64_e32 v[12:13], v[12:13], v[94:95]
	ds_load_b128 v[8:11], v2 offset:1184
	ds_load_b128 v[2:5], v2 offset:1200
	v_fmac_f64_e32 v[96:97], v[92:93], v[102:103]
	v_fma_f64 v[90:91], v[90:91], v[102:103], -v[100:101]
	s_wait_loadcnt_dscnt 0x101
	v_mul_f64_e32 v[94:95], v[8:9], v[120:121]
	v_mul_f64_e32 v[106:107], v[10:11], v[120:121]
	s_wait_loadcnt_dscnt 0x0
	v_mul_f64_e32 v[100:101], v[4:5], v[112:113]
	v_add_f64_e32 v[92:93], v[98:99], v[104:105]
	v_add_f64_e32 v[12:13], v[12:13], v[108:109]
	v_mul_f64_e32 v[98:99], v[2:3], v[112:113]
	v_fmac_f64_e32 v[94:95], v[10:11], v[118:119]
	v_fma_f64 v[8:9], v[8:9], v[118:119], -v[106:107]
	v_fma_f64 v[2:3], v[2:3], v[110:111], -v[100:101]
	v_add_f64_e32 v[10:11], v[92:93], v[90:91]
	v_add_f64_e32 v[12:13], v[12:13], v[96:97]
	v_fmac_f64_e32 v[98:99], v[4:5], v[110:111]
	s_delay_alu instid0(VALU_DEP_3) | instskip(NEXT) | instid1(VALU_DEP_3)
	v_add_f64_e32 v[4:5], v[10:11], v[8:9]
	v_add_f64_e32 v[8:9], v[12:13], v[94:95]
	s_delay_alu instid0(VALU_DEP_2) | instskip(NEXT) | instid1(VALU_DEP_2)
	v_add_f64_e32 v[2:3], v[4:5], v[2:3]
	v_add_f64_e32 v[4:5], v[8:9], v[98:99]
	s_delay_alu instid0(VALU_DEP_2) | instskip(NEXT) | instid1(VALU_DEP_2)
	v_add_f64_e64 v[2:3], v[138:139], -v[2:3]
	v_add_f64_e64 v[4:5], v[140:141], -v[4:5]
	scratch_store_b128 off, v[2:5], off offset:240
	s_wait_xcnt 0x0
	v_cmpx_lt_u32_e32 14, v1
	s_cbranch_execz .LBB37_213
; %bb.212:
	scratch_load_b128 v[2:5], off, s49
	v_mov_b32_e32 v8, 0
	s_delay_alu instid0(VALU_DEP_1)
	v_dual_mov_b32 v9, v8 :: v_dual_mov_b32 v10, v8
	v_mov_b32_e32 v11, v8
	scratch_store_b128 off, v[8:11], off offset:224
	s_wait_loadcnt 0x0
	ds_store_b128 v6, v[2:5]
.LBB37_213:
	s_wait_xcnt 0x0
	s_or_b32 exec_lo, exec_lo, s2
	s_wait_storecnt_dscnt 0x0
	s_barrier_signal -1
	s_barrier_wait -1
	s_clause 0x9
	scratch_load_b128 v[8:11], off, off offset:240
	scratch_load_b128 v[90:93], off, off offset:256
	;; [unrolled: 1-line block ×10, first 2 shown]
	v_mov_b32_e32 v2, 0
	s_mov_b32 s2, exec_lo
	ds_load_b128 v[126:129], v2 offset:848
	s_clause 0x2
	scratch_load_b128 v[130:133], off, off offset:400
	scratch_load_b128 v[134:137], off, off offset:224
	;; [unrolled: 1-line block ×3, first 2 shown]
	s_wait_loadcnt_dscnt 0xc00
	v_mul_f64_e32 v[4:5], v[128:129], v[10:11]
	v_mul_f64_e32 v[150:151], v[126:127], v[10:11]
	ds_load_b128 v[138:141], v2 offset:864
	scratch_load_b128 v[10:13], off, off offset:416
	ds_load_b128 v[146:149], v2 offset:896
	v_fma_f64 v[4:5], v[126:127], v[8:9], -v[4:5]
	v_fmac_f64_e32 v[150:151], v[128:129], v[8:9]
	ds_load_b128 v[126:129], v2 offset:880
	s_wait_loadcnt_dscnt 0xc02
	v_mul_f64_e32 v[152:153], v[138:139], v[92:93]
	v_mul_f64_e32 v[92:93], v[140:141], v[92:93]
	s_wait_loadcnt_dscnt 0xb00
	v_mul_f64_e32 v[8:9], v[126:127], v[96:97]
	v_mul_f64_e32 v[96:97], v[128:129], v[96:97]
	v_add_f64_e32 v[4:5], 0, v[4:5]
	v_fmac_f64_e32 v[152:153], v[140:141], v[90:91]
	v_fma_f64 v[138:139], v[138:139], v[90:91], -v[92:93]
	v_add_f64_e32 v[140:141], 0, v[150:151]
	scratch_load_b128 v[90:93], off, off offset:448
	v_fmac_f64_e32 v[8:9], v[128:129], v[94:95]
	v_fma_f64 v[154:155], v[126:127], v[94:95], -v[96:97]
	ds_load_b128 v[94:97], v2 offset:912
	s_wait_loadcnt 0xb
	v_mul_f64_e32 v[150:151], v[146:147], v[100:101]
	v_mul_f64_e32 v[100:101], v[148:149], v[100:101]
	scratch_load_b128 v[126:129], off, off offset:464
	v_add_f64_e32 v[4:5], v[4:5], v[138:139]
	v_add_f64_e32 v[152:153], v[140:141], v[152:153]
	ds_load_b128 v[138:141], v2 offset:928
	s_wait_loadcnt_dscnt 0xb01
	v_mul_f64_e32 v[156:157], v[94:95], v[104:105]
	v_mul_f64_e32 v[104:105], v[96:97], v[104:105]
	v_fmac_f64_e32 v[150:151], v[148:149], v[98:99]
	v_fma_f64 v[146:147], v[146:147], v[98:99], -v[100:101]
	scratch_load_b128 v[98:101], off, off offset:480
	v_add_f64_e32 v[4:5], v[4:5], v[154:155]
	v_add_f64_e32 v[8:9], v[152:153], v[8:9]
	v_fmac_f64_e32 v[156:157], v[96:97], v[102:103]
	v_fma_f64 v[154:155], v[94:95], v[102:103], -v[104:105]
	ds_load_b128 v[94:97], v2 offset:944
	s_wait_loadcnt_dscnt 0xb01
	v_mul_f64_e32 v[152:153], v[138:139], v[108:109]
	v_mul_f64_e32 v[108:109], v[140:141], v[108:109]
	scratch_load_b128 v[102:105], off, off offset:496
	v_add_f64_e32 v[4:5], v[4:5], v[146:147]
	v_add_f64_e32 v[8:9], v[8:9], v[150:151]
	s_wait_loadcnt_dscnt 0xb00
	v_mul_f64_e32 v[150:151], v[94:95], v[112:113]
	v_mul_f64_e32 v[112:113], v[96:97], v[112:113]
	ds_load_b128 v[146:149], v2 offset:960
	v_fmac_f64_e32 v[152:153], v[140:141], v[106:107]
	v_fma_f64 v[138:139], v[138:139], v[106:107], -v[108:109]
	scratch_load_b128 v[106:109], off, off offset:512
	v_add_f64_e32 v[4:5], v[4:5], v[154:155]
	v_add_f64_e32 v[8:9], v[8:9], v[156:157]
	v_fmac_f64_e32 v[150:151], v[96:97], v[110:111]
	v_fma_f64 v[156:157], v[94:95], v[110:111], -v[112:113]
	ds_load_b128 v[94:97], v2 offset:976
	s_wait_loadcnt_dscnt 0xb01
	v_mul_f64_e32 v[154:155], v[146:147], v[116:117]
	v_mul_f64_e32 v[116:117], v[148:149], v[116:117]
	scratch_load_b128 v[110:113], off, off offset:528
	v_add_f64_e32 v[4:5], v[4:5], v[138:139]
	v_add_f64_e32 v[8:9], v[8:9], v[152:153]
	s_wait_loadcnt_dscnt 0xb00
	v_mul_f64_e32 v[152:153], v[94:95], v[120:121]
	v_mul_f64_e32 v[120:121], v[96:97], v[120:121]
	ds_load_b128 v[138:141], v2 offset:992
	;; [unrolled: 18-line block ×3, first 2 shown]
	v_fmac_f64_e32 v[150:151], v[140:141], v[122:123]
	v_fma_f64 v[138:139], v[138:139], v[122:123], -v[124:125]
	scratch_load_b128 v[122:125], off, off offset:576
	v_add_f64_e32 v[4:5], v[4:5], v[156:157]
	v_add_f64_e32 v[8:9], v[8:9], v[152:153]
	v_fmac_f64_e32 v[154:155], v[96:97], v[130:131]
	v_fma_f64 v[156:157], v[94:95], v[130:131], -v[132:133]
	ds_load_b128 v[94:97], v2 offset:1040
	s_wait_loadcnt_dscnt 0x901
	v_mul_f64_e32 v[152:153], v[146:147], v[12:13]
	v_mul_f64_e32 v[12:13], v[148:149], v[12:13]
	scratch_load_b128 v[130:133], off, off offset:592
	v_add_f64_e32 v[4:5], v[4:5], v[138:139]
	v_add_f64_e32 v[8:9], v[8:9], v[150:151]
	s_wait_dscnt 0x0
	v_mul_f64_e32 v[150:151], v[94:95], v[144:145]
	v_mul_f64_e32 v[144:145], v[96:97], v[144:145]
	ds_load_b128 v[138:141], v2 offset:1056
	v_fmac_f64_e32 v[152:153], v[148:149], v[10:11]
	v_fma_f64 v[10:11], v[146:147], v[10:11], -v[12:13]
	v_add_f64_e32 v[4:5], v[4:5], v[156:157]
	v_add_f64_e32 v[8:9], v[8:9], v[154:155]
	s_wait_loadcnt_dscnt 0x900
	v_mul_f64_e32 v[12:13], v[138:139], v[92:93]
	v_mul_f64_e32 v[146:147], v[140:141], v[92:93]
	v_fmac_f64_e32 v[150:151], v[96:97], v[142:143]
	v_fma_f64 v[96:97], v[94:95], v[142:143], -v[144:145]
	v_add_f64_e32 v[4:5], v[4:5], v[10:11]
	v_add_f64_e32 v[142:143], v[8:9], v[152:153]
	ds_load_b128 v[8:11], v2 offset:1072
	ds_load_b128 v[92:95], v2 offset:1088
	v_fmac_f64_e32 v[12:13], v[140:141], v[90:91]
	v_fma_f64 v[90:91], v[138:139], v[90:91], -v[146:147]
	s_wait_loadcnt_dscnt 0x801
	v_mul_f64_e32 v[144:145], v[8:9], v[128:129]
	v_mul_f64_e32 v[128:129], v[10:11], v[128:129]
	s_wait_loadcnt_dscnt 0x700
	v_mul_f64_e32 v[138:139], v[92:93], v[100:101]
	v_mul_f64_e32 v[100:101], v[94:95], v[100:101]
	v_add_f64_e32 v[4:5], v[4:5], v[96:97]
	v_add_f64_e32 v[96:97], v[142:143], v[150:151]
	v_fmac_f64_e32 v[144:145], v[10:11], v[126:127]
	v_fma_f64 v[140:141], v[8:9], v[126:127], -v[128:129]
	ds_load_b128 v[8:11], v2 offset:1104
	ds_load_b128 v[126:129], v2 offset:1120
	v_fmac_f64_e32 v[138:139], v[94:95], v[98:99]
	v_fma_f64 v[92:93], v[92:93], v[98:99], -v[100:101]
	v_add_f64_e32 v[4:5], v[4:5], v[90:91]
	v_add_f64_e32 v[12:13], v[96:97], v[12:13]
	s_wait_loadcnt_dscnt 0x601
	v_mul_f64_e32 v[96:97], v[8:9], v[104:105]
	v_mul_f64_e32 v[90:91], v[10:11], v[104:105]
	s_wait_loadcnt_dscnt 0x500
	v_mul_f64_e32 v[94:95], v[126:127], v[108:109]
	v_mul_f64_e32 v[98:99], v[128:129], v[108:109]
	v_add_f64_e32 v[4:5], v[4:5], v[140:141]
	v_add_f64_e32 v[12:13], v[12:13], v[144:145]
	v_fmac_f64_e32 v[96:97], v[10:11], v[102:103]
	v_fma_f64 v[100:101], v[8:9], v[102:103], -v[90:91]
	v_fmac_f64_e32 v[94:95], v[128:129], v[106:107]
	v_fma_f64 v[98:99], v[126:127], v[106:107], -v[98:99]
	v_add_f64_e32 v[4:5], v[4:5], v[92:93]
	v_add_f64_e32 v[12:13], v[12:13], v[138:139]
	ds_load_b128 v[8:11], v2 offset:1136
	ds_load_b128 v[90:93], v2 offset:1152
	s_wait_loadcnt_dscnt 0x401
	v_mul_f64_e32 v[102:103], v[8:9], v[112:113]
	v_mul_f64_e32 v[104:105], v[10:11], v[112:113]
	s_wait_loadcnt_dscnt 0x300
	v_mul_f64_e32 v[106:107], v[92:93], v[116:117]
	v_add_f64_e32 v[4:5], v[4:5], v[100:101]
	v_add_f64_e32 v[12:13], v[12:13], v[96:97]
	v_mul_f64_e32 v[100:101], v[90:91], v[116:117]
	v_fmac_f64_e32 v[102:103], v[10:11], v[110:111]
	v_fma_f64 v[104:105], v[8:9], v[110:111], -v[104:105]
	v_fma_f64 v[90:91], v[90:91], v[114:115], -v[106:107]
	v_add_f64_e32 v[4:5], v[4:5], v[98:99]
	v_add_f64_e32 v[12:13], v[12:13], v[94:95]
	ds_load_b128 v[8:11], v2 offset:1168
	ds_load_b128 v[94:97], v2 offset:1184
	v_fmac_f64_e32 v[100:101], v[92:93], v[114:115]
	s_wait_loadcnt_dscnt 0x201
	v_mul_f64_e32 v[98:99], v[8:9], v[120:121]
	v_mul_f64_e32 v[108:109], v[10:11], v[120:121]
	s_wait_loadcnt_dscnt 0x100
	v_mul_f64_e32 v[92:93], v[94:95], v[124:125]
	v_add_f64_e32 v[4:5], v[4:5], v[104:105]
	v_add_f64_e32 v[12:13], v[12:13], v[102:103]
	v_mul_f64_e32 v[102:103], v[96:97], v[124:125]
	v_fmac_f64_e32 v[98:99], v[10:11], v[118:119]
	v_fma_f64 v[104:105], v[8:9], v[118:119], -v[108:109]
	ds_load_b128 v[8:11], v2 offset:1200
	v_fmac_f64_e32 v[92:93], v[96:97], v[122:123]
	v_add_f64_e32 v[4:5], v[4:5], v[90:91]
	v_add_f64_e32 v[12:13], v[12:13], v[100:101]
	v_fma_f64 v[94:95], v[94:95], v[122:123], -v[102:103]
	s_wait_loadcnt_dscnt 0x0
	v_mul_f64_e32 v[90:91], v[8:9], v[132:133]
	v_mul_f64_e32 v[100:101], v[10:11], v[132:133]
	v_add_f64_e32 v[4:5], v[4:5], v[104:105]
	v_add_f64_e32 v[12:13], v[12:13], v[98:99]
	s_delay_alu instid0(VALU_DEP_4) | instskip(NEXT) | instid1(VALU_DEP_4)
	v_fmac_f64_e32 v[90:91], v[10:11], v[130:131]
	v_fma_f64 v[8:9], v[8:9], v[130:131], -v[100:101]
	s_delay_alu instid0(VALU_DEP_4) | instskip(NEXT) | instid1(VALU_DEP_4)
	v_add_f64_e32 v[4:5], v[4:5], v[94:95]
	v_add_f64_e32 v[10:11], v[12:13], v[92:93]
	s_delay_alu instid0(VALU_DEP_2) | instskip(NEXT) | instid1(VALU_DEP_2)
	v_add_f64_e32 v[4:5], v[4:5], v[8:9]
	v_add_f64_e32 v[10:11], v[10:11], v[90:91]
	s_delay_alu instid0(VALU_DEP_2) | instskip(NEXT) | instid1(VALU_DEP_2)
	v_add_f64_e64 v[8:9], v[134:135], -v[4:5]
	v_add_f64_e64 v[10:11], v[136:137], -v[10:11]
	scratch_store_b128 off, v[8:11], off offset:224
	s_wait_xcnt 0x0
	v_cmpx_lt_u32_e32 13, v1
	s_cbranch_execz .LBB37_215
; %bb.214:
	scratch_load_b128 v[8:11], off, s48
	v_dual_mov_b32 v3, v2 :: v_dual_mov_b32 v4, v2
	v_mov_b32_e32 v5, v2
	scratch_store_b128 off, v[2:5], off offset:208
	s_wait_loadcnt 0x0
	ds_store_b128 v6, v[8:11]
.LBB37_215:
	s_wait_xcnt 0x0
	s_or_b32 exec_lo, exec_lo, s2
	s_wait_storecnt_dscnt 0x0
	s_barrier_signal -1
	s_barrier_wait -1
	s_clause 0x9
	scratch_load_b128 v[8:11], off, off offset:224
	scratch_load_b128 v[90:93], off, off offset:240
	;; [unrolled: 1-line block ×10, first 2 shown]
	ds_load_b128 v[126:129], v2 offset:832
	ds_load_b128 v[134:137], v2 offset:848
	s_clause 0x1
	scratch_load_b128 v[130:133], off, off offset:384
	scratch_load_b128 v[138:141], off, off offset:208
	s_mov_b32 s2, exec_lo
	s_wait_loadcnt_dscnt 0xb01
	v_mul_f64_e32 v[4:5], v[128:129], v[10:11]
	v_mul_f64_e32 v[150:151], v[126:127], v[10:11]
	scratch_load_b128 v[10:13], off, off offset:400
	s_wait_loadcnt_dscnt 0xb00
	v_mul_f64_e32 v[152:153], v[134:135], v[92:93]
	v_mul_f64_e32 v[92:93], v[136:137], v[92:93]
	v_fma_f64 v[4:5], v[126:127], v[8:9], -v[4:5]
	v_fmac_f64_e32 v[150:151], v[128:129], v[8:9]
	ds_load_b128 v[126:129], v2 offset:864
	ds_load_b128 v[142:145], v2 offset:880
	scratch_load_b128 v[146:149], off, off offset:416
	v_fmac_f64_e32 v[152:153], v[136:137], v[90:91]
	v_fma_f64 v[134:135], v[134:135], v[90:91], -v[92:93]
	scratch_load_b128 v[90:93], off, off offset:432
	s_wait_loadcnt_dscnt 0xc01
	v_mul_f64_e32 v[8:9], v[126:127], v[96:97]
	v_mul_f64_e32 v[96:97], v[128:129], v[96:97]
	v_add_f64_e32 v[4:5], 0, v[4:5]
	v_add_f64_e32 v[136:137], 0, v[150:151]
	s_wait_loadcnt_dscnt 0xb00
	v_mul_f64_e32 v[150:151], v[142:143], v[100:101]
	v_mul_f64_e32 v[100:101], v[144:145], v[100:101]
	v_fmac_f64_e32 v[8:9], v[128:129], v[94:95]
	v_fma_f64 v[154:155], v[126:127], v[94:95], -v[96:97]
	ds_load_b128 v[94:97], v2 offset:896
	ds_load_b128 v[126:129], v2 offset:912
	v_add_f64_e32 v[4:5], v[4:5], v[134:135]
	v_add_f64_e32 v[152:153], v[136:137], v[152:153]
	scratch_load_b128 v[134:137], off, off offset:448
	v_fmac_f64_e32 v[150:151], v[144:145], v[98:99]
	v_fma_f64 v[142:143], v[142:143], v[98:99], -v[100:101]
	scratch_load_b128 v[98:101], off, off offset:464
	s_wait_loadcnt_dscnt 0xc01
	v_mul_f64_e32 v[156:157], v[94:95], v[104:105]
	v_mul_f64_e32 v[104:105], v[96:97], v[104:105]
	v_add_f64_e32 v[4:5], v[4:5], v[154:155]
	v_add_f64_e32 v[8:9], v[152:153], v[8:9]
	s_wait_loadcnt_dscnt 0xb00
	v_mul_f64_e32 v[152:153], v[126:127], v[108:109]
	v_mul_f64_e32 v[108:109], v[128:129], v[108:109]
	v_fmac_f64_e32 v[156:157], v[96:97], v[102:103]
	v_fma_f64 v[154:155], v[94:95], v[102:103], -v[104:105]
	ds_load_b128 v[94:97], v2 offset:928
	ds_load_b128 v[102:105], v2 offset:944
	v_add_f64_e32 v[4:5], v[4:5], v[142:143]
	v_add_f64_e32 v[8:9], v[8:9], v[150:151]
	scratch_load_b128 v[142:145], off, off offset:480
	s_wait_loadcnt_dscnt 0xb01
	v_mul_f64_e32 v[150:151], v[94:95], v[112:113]
	v_mul_f64_e32 v[112:113], v[96:97], v[112:113]
	v_fmac_f64_e32 v[152:153], v[128:129], v[106:107]
	v_fma_f64 v[126:127], v[126:127], v[106:107], -v[108:109]
	scratch_load_b128 v[106:109], off, off offset:496
	v_add_f64_e32 v[4:5], v[4:5], v[154:155]
	v_add_f64_e32 v[8:9], v[8:9], v[156:157]
	s_wait_loadcnt_dscnt 0xb00
	v_mul_f64_e32 v[154:155], v[102:103], v[116:117]
	v_mul_f64_e32 v[116:117], v[104:105], v[116:117]
	v_fmac_f64_e32 v[150:151], v[96:97], v[110:111]
	v_fma_f64 v[156:157], v[94:95], v[110:111], -v[112:113]
	ds_load_b128 v[94:97], v2 offset:960
	ds_load_b128 v[110:113], v2 offset:976
	v_add_f64_e32 v[4:5], v[4:5], v[126:127]
	v_add_f64_e32 v[8:9], v[8:9], v[152:153]
	scratch_load_b128 v[126:129], off, off offset:512
	s_wait_loadcnt_dscnt 0xb01
	v_mul_f64_e32 v[152:153], v[94:95], v[120:121]
	v_mul_f64_e32 v[120:121], v[96:97], v[120:121]
	v_fmac_f64_e32 v[154:155], v[104:105], v[114:115]
	v_fma_f64 v[114:115], v[102:103], v[114:115], -v[116:117]
	scratch_load_b128 v[102:105], off, off offset:528
	v_add_f64_e32 v[4:5], v[4:5], v[156:157]
	v_add_f64_e32 v[8:9], v[8:9], v[150:151]
	s_wait_loadcnt_dscnt 0xb00
	v_mul_f64_e32 v[150:151], v[110:111], v[124:125]
	v_mul_f64_e32 v[124:125], v[112:113], v[124:125]
	v_fmac_f64_e32 v[152:153], v[96:97], v[118:119]
	v_fma_f64 v[156:157], v[94:95], v[118:119], -v[120:121]
	v_add_f64_e32 v[4:5], v[4:5], v[114:115]
	v_add_f64_e32 v[8:9], v[8:9], v[154:155]
	ds_load_b128 v[94:97], v2 offset:992
	ds_load_b128 v[114:117], v2 offset:1008
	scratch_load_b128 v[118:121], off, off offset:544
	v_fmac_f64_e32 v[150:151], v[112:113], v[122:123]
	v_fma_f64 v[122:123], v[110:111], v[122:123], -v[124:125]
	scratch_load_b128 v[110:113], off, off offset:560
	s_wait_loadcnt_dscnt 0xc01
	v_mul_f64_e32 v[154:155], v[94:95], v[132:133]
	v_mul_f64_e32 v[132:133], v[96:97], v[132:133]
	v_add_f64_e32 v[4:5], v[4:5], v[156:157]
	v_add_f64_e32 v[8:9], v[8:9], v[152:153]
	s_wait_loadcnt_dscnt 0xa00
	v_mul_f64_e32 v[152:153], v[114:115], v[12:13]
	v_mul_f64_e32 v[12:13], v[116:117], v[12:13]
	v_fmac_f64_e32 v[154:155], v[96:97], v[130:131]
	v_fma_f64 v[156:157], v[94:95], v[130:131], -v[132:133]
	v_add_f64_e32 v[4:5], v[4:5], v[122:123]
	v_add_f64_e32 v[8:9], v[8:9], v[150:151]
	ds_load_b128 v[94:97], v2 offset:1024
	ds_load_b128 v[122:125], v2 offset:1040
	scratch_load_b128 v[130:133], off, off offset:576
	v_fmac_f64_e32 v[152:153], v[116:117], v[10:11]
	v_fma_f64 v[12:13], v[114:115], v[10:11], -v[12:13]
	s_wait_loadcnt_dscnt 0xa01
	v_mul_f64_e32 v[150:151], v[94:95], v[148:149]
	v_mul_f64_e32 v[148:149], v[96:97], v[148:149]
	v_add_f64_e32 v[4:5], v[4:5], v[156:157]
	v_add_f64_e32 v[114:115], v[8:9], v[154:155]
	scratch_load_b128 v[8:11], off, off offset:592
	s_wait_loadcnt_dscnt 0xa00
	v_mul_f64_e32 v[154:155], v[122:123], v[92:93]
	v_mul_f64_e32 v[156:157], v[124:125], v[92:93]
	v_fmac_f64_e32 v[150:151], v[96:97], v[146:147]
	v_fma_f64 v[96:97], v[94:95], v[146:147], -v[148:149]
	v_add_f64_e32 v[4:5], v[4:5], v[12:13]
	v_add_f64_e32 v[12:13], v[114:115], v[152:153]
	ds_load_b128 v[92:95], v2 offset:1056
	ds_load_b128 v[114:117], v2 offset:1072
	v_fmac_f64_e32 v[154:155], v[124:125], v[90:91]
	v_fma_f64 v[90:91], v[122:123], v[90:91], -v[156:157]
	s_wait_loadcnt_dscnt 0x901
	v_mul_f64_e32 v[146:147], v[92:93], v[136:137]
	v_mul_f64_e32 v[136:137], v[94:95], v[136:137]
	s_wait_loadcnt_dscnt 0x800
	v_mul_f64_e32 v[122:123], v[114:115], v[100:101]
	v_mul_f64_e32 v[100:101], v[116:117], v[100:101]
	v_add_f64_e32 v[4:5], v[4:5], v[96:97]
	v_add_f64_e32 v[12:13], v[12:13], v[150:151]
	v_fmac_f64_e32 v[146:147], v[94:95], v[134:135]
	v_fma_f64 v[124:125], v[92:93], v[134:135], -v[136:137]
	v_fmac_f64_e32 v[122:123], v[116:117], v[98:99]
	v_fma_f64 v[98:99], v[114:115], v[98:99], -v[100:101]
	v_add_f64_e32 v[4:5], v[4:5], v[90:91]
	v_add_f64_e32 v[12:13], v[12:13], v[154:155]
	ds_load_b128 v[90:93], v2 offset:1088
	ds_load_b128 v[94:97], v2 offset:1104
	s_wait_loadcnt_dscnt 0x701
	v_mul_f64_e32 v[134:135], v[90:91], v[144:145]
	v_mul_f64_e32 v[136:137], v[92:93], v[144:145]
	s_wait_loadcnt_dscnt 0x600
	v_mul_f64_e32 v[114:115], v[94:95], v[108:109]
	v_mul_f64_e32 v[108:109], v[96:97], v[108:109]
	v_add_f64_e32 v[4:5], v[4:5], v[124:125]
	v_add_f64_e32 v[12:13], v[12:13], v[146:147]
	v_fmac_f64_e32 v[134:135], v[92:93], v[142:143]
	v_fma_f64 v[116:117], v[90:91], v[142:143], -v[136:137]
	v_fmac_f64_e32 v[114:115], v[96:97], v[106:107]
	v_fma_f64 v[94:95], v[94:95], v[106:107], -v[108:109]
	v_add_f64_e32 v[4:5], v[4:5], v[98:99]
	v_add_f64_e32 v[12:13], v[12:13], v[122:123]
	ds_load_b128 v[90:93], v2 offset:1120
	ds_load_b128 v[98:101], v2 offset:1136
	;; [unrolled: 16-line block ×4, first 2 shown]
	s_wait_loadcnt_dscnt 0x101
	v_mul_f64_e32 v[106:107], v[90:91], v[132:133]
	v_mul_f64_e32 v[108:109], v[92:93], v[132:133]
	v_add_f64_e32 v[96:97], v[98:99], v[104:105]
	v_add_f64_e32 v[12:13], v[12:13], v[114:115]
	s_wait_loadcnt_dscnt 0x0
	v_mul_f64_e32 v[98:99], v[2:3], v[10:11]
	v_mul_f64_e32 v[10:11], v[4:5], v[10:11]
	v_fmac_f64_e32 v[106:107], v[92:93], v[130:131]
	v_fma_f64 v[90:91], v[90:91], v[130:131], -v[108:109]
	v_add_f64_e32 v[92:93], v[96:97], v[94:95]
	v_add_f64_e32 v[12:13], v[12:13], v[100:101]
	v_fmac_f64_e32 v[98:99], v[4:5], v[8:9]
	v_fma_f64 v[2:3], v[2:3], v[8:9], -v[10:11]
	s_delay_alu instid0(VALU_DEP_4) | instskip(NEXT) | instid1(VALU_DEP_4)
	v_add_f64_e32 v[4:5], v[92:93], v[90:91]
	v_add_f64_e32 v[8:9], v[12:13], v[106:107]
	s_delay_alu instid0(VALU_DEP_2) | instskip(NEXT) | instid1(VALU_DEP_2)
	v_add_f64_e32 v[2:3], v[4:5], v[2:3]
	v_add_f64_e32 v[4:5], v[8:9], v[98:99]
	s_delay_alu instid0(VALU_DEP_2) | instskip(NEXT) | instid1(VALU_DEP_2)
	v_add_f64_e64 v[2:3], v[138:139], -v[2:3]
	v_add_f64_e64 v[4:5], v[140:141], -v[4:5]
	scratch_store_b128 off, v[2:5], off offset:208
	s_wait_xcnt 0x0
	v_cmpx_lt_u32_e32 12, v1
	s_cbranch_execz .LBB37_217
; %bb.216:
	scratch_load_b128 v[2:5], off, s47
	v_mov_b32_e32 v8, 0
	s_delay_alu instid0(VALU_DEP_1)
	v_dual_mov_b32 v9, v8 :: v_dual_mov_b32 v10, v8
	v_mov_b32_e32 v11, v8
	scratch_store_b128 off, v[8:11], off offset:192
	s_wait_loadcnt 0x0
	ds_store_b128 v6, v[2:5]
.LBB37_217:
	s_wait_xcnt 0x0
	s_or_b32 exec_lo, exec_lo, s2
	s_wait_storecnt_dscnt 0x0
	s_barrier_signal -1
	s_barrier_wait -1
	s_clause 0x9
	scratch_load_b128 v[8:11], off, off offset:208
	scratch_load_b128 v[90:93], off, off offset:224
	;; [unrolled: 1-line block ×10, first 2 shown]
	v_mov_b32_e32 v2, 0
	s_mov_b32 s2, exec_lo
	ds_load_b128 v[126:129], v2 offset:816
	s_clause 0x2
	scratch_load_b128 v[130:133], off, off offset:368
	scratch_load_b128 v[134:137], off, off offset:192
	;; [unrolled: 1-line block ×3, first 2 shown]
	s_wait_loadcnt_dscnt 0xc00
	v_mul_f64_e32 v[4:5], v[128:129], v[10:11]
	v_mul_f64_e32 v[150:151], v[126:127], v[10:11]
	ds_load_b128 v[138:141], v2 offset:832
	scratch_load_b128 v[10:13], off, off offset:384
	ds_load_b128 v[146:149], v2 offset:864
	v_fma_f64 v[4:5], v[126:127], v[8:9], -v[4:5]
	v_fmac_f64_e32 v[150:151], v[128:129], v[8:9]
	ds_load_b128 v[126:129], v2 offset:848
	s_wait_loadcnt_dscnt 0xc02
	v_mul_f64_e32 v[152:153], v[138:139], v[92:93]
	v_mul_f64_e32 v[92:93], v[140:141], v[92:93]
	s_wait_loadcnt_dscnt 0xb00
	v_mul_f64_e32 v[8:9], v[126:127], v[96:97]
	v_mul_f64_e32 v[96:97], v[128:129], v[96:97]
	v_add_f64_e32 v[4:5], 0, v[4:5]
	v_fmac_f64_e32 v[152:153], v[140:141], v[90:91]
	v_fma_f64 v[138:139], v[138:139], v[90:91], -v[92:93]
	v_add_f64_e32 v[140:141], 0, v[150:151]
	scratch_load_b128 v[90:93], off, off offset:416
	v_fmac_f64_e32 v[8:9], v[128:129], v[94:95]
	v_fma_f64 v[154:155], v[126:127], v[94:95], -v[96:97]
	ds_load_b128 v[94:97], v2 offset:880
	s_wait_loadcnt 0xb
	v_mul_f64_e32 v[150:151], v[146:147], v[100:101]
	v_mul_f64_e32 v[100:101], v[148:149], v[100:101]
	scratch_load_b128 v[126:129], off, off offset:432
	v_add_f64_e32 v[4:5], v[4:5], v[138:139]
	v_add_f64_e32 v[152:153], v[140:141], v[152:153]
	ds_load_b128 v[138:141], v2 offset:896
	s_wait_loadcnt_dscnt 0xb01
	v_mul_f64_e32 v[156:157], v[94:95], v[104:105]
	v_mul_f64_e32 v[104:105], v[96:97], v[104:105]
	v_fmac_f64_e32 v[150:151], v[148:149], v[98:99]
	v_fma_f64 v[146:147], v[146:147], v[98:99], -v[100:101]
	scratch_load_b128 v[98:101], off, off offset:448
	v_add_f64_e32 v[4:5], v[4:5], v[154:155]
	v_add_f64_e32 v[8:9], v[152:153], v[8:9]
	v_fmac_f64_e32 v[156:157], v[96:97], v[102:103]
	v_fma_f64 v[154:155], v[94:95], v[102:103], -v[104:105]
	ds_load_b128 v[94:97], v2 offset:912
	s_wait_loadcnt_dscnt 0xb01
	v_mul_f64_e32 v[152:153], v[138:139], v[108:109]
	v_mul_f64_e32 v[108:109], v[140:141], v[108:109]
	scratch_load_b128 v[102:105], off, off offset:464
	v_add_f64_e32 v[4:5], v[4:5], v[146:147]
	v_add_f64_e32 v[8:9], v[8:9], v[150:151]
	s_wait_loadcnt_dscnt 0xb00
	v_mul_f64_e32 v[150:151], v[94:95], v[112:113]
	v_mul_f64_e32 v[112:113], v[96:97], v[112:113]
	ds_load_b128 v[146:149], v2 offset:928
	v_fmac_f64_e32 v[152:153], v[140:141], v[106:107]
	v_fma_f64 v[138:139], v[138:139], v[106:107], -v[108:109]
	scratch_load_b128 v[106:109], off, off offset:480
	v_add_f64_e32 v[4:5], v[4:5], v[154:155]
	v_add_f64_e32 v[8:9], v[8:9], v[156:157]
	v_fmac_f64_e32 v[150:151], v[96:97], v[110:111]
	v_fma_f64 v[156:157], v[94:95], v[110:111], -v[112:113]
	ds_load_b128 v[94:97], v2 offset:944
	s_wait_loadcnt_dscnt 0xb01
	v_mul_f64_e32 v[154:155], v[146:147], v[116:117]
	v_mul_f64_e32 v[116:117], v[148:149], v[116:117]
	scratch_load_b128 v[110:113], off, off offset:496
	v_add_f64_e32 v[4:5], v[4:5], v[138:139]
	v_add_f64_e32 v[8:9], v[8:9], v[152:153]
	s_wait_loadcnt_dscnt 0xb00
	v_mul_f64_e32 v[152:153], v[94:95], v[120:121]
	v_mul_f64_e32 v[120:121], v[96:97], v[120:121]
	ds_load_b128 v[138:141], v2 offset:960
	v_fmac_f64_e32 v[154:155], v[148:149], v[114:115]
	v_fma_f64 v[146:147], v[146:147], v[114:115], -v[116:117]
	scratch_load_b128 v[114:117], off, off offset:512
	v_add_f64_e32 v[4:5], v[4:5], v[156:157]
	v_add_f64_e32 v[8:9], v[8:9], v[150:151]
	v_fmac_f64_e32 v[152:153], v[96:97], v[118:119]
	v_fma_f64 v[156:157], v[94:95], v[118:119], -v[120:121]
	ds_load_b128 v[94:97], v2 offset:976
	s_wait_loadcnt_dscnt 0xb01
	v_mul_f64_e32 v[150:151], v[138:139], v[124:125]
	v_mul_f64_e32 v[124:125], v[140:141], v[124:125]
	scratch_load_b128 v[118:121], off, off offset:528
	v_add_f64_e32 v[4:5], v[4:5], v[146:147]
	v_add_f64_e32 v[8:9], v[8:9], v[154:155]
	s_wait_loadcnt_dscnt 0xb00
	v_mul_f64_e32 v[154:155], v[94:95], v[132:133]
	v_mul_f64_e32 v[132:133], v[96:97], v[132:133]
	ds_load_b128 v[146:149], v2 offset:992
	v_fmac_f64_e32 v[150:151], v[140:141], v[122:123]
	v_fma_f64 v[138:139], v[138:139], v[122:123], -v[124:125]
	scratch_load_b128 v[122:125], off, off offset:544
	v_add_f64_e32 v[4:5], v[4:5], v[156:157]
	v_add_f64_e32 v[8:9], v[8:9], v[152:153]
	v_fmac_f64_e32 v[154:155], v[96:97], v[130:131]
	v_fma_f64 v[156:157], v[94:95], v[130:131], -v[132:133]
	ds_load_b128 v[94:97], v2 offset:1008
	s_wait_loadcnt_dscnt 0x901
	v_mul_f64_e32 v[152:153], v[146:147], v[12:13]
	v_mul_f64_e32 v[12:13], v[148:149], v[12:13]
	scratch_load_b128 v[130:133], off, off offset:560
	v_add_f64_e32 v[4:5], v[4:5], v[138:139]
	v_add_f64_e32 v[8:9], v[8:9], v[150:151]
	s_wait_dscnt 0x0
	v_mul_f64_e32 v[150:151], v[94:95], v[144:145]
	v_mul_f64_e32 v[144:145], v[96:97], v[144:145]
	ds_load_b128 v[138:141], v2 offset:1024
	v_fmac_f64_e32 v[152:153], v[148:149], v[10:11]
	v_fma_f64 v[12:13], v[146:147], v[10:11], -v[12:13]
	v_add_f64_e32 v[4:5], v[4:5], v[156:157]
	v_add_f64_e32 v[146:147], v[8:9], v[154:155]
	scratch_load_b128 v[8:11], off, off offset:576
	v_fmac_f64_e32 v[150:151], v[96:97], v[142:143]
	v_fma_f64 v[96:97], v[94:95], v[142:143], -v[144:145]
	scratch_load_b128 v[142:145], off, off offset:592
	v_add_f64_e32 v[4:5], v[4:5], v[12:13]
	v_add_f64_e32 v[12:13], v[146:147], v[152:153]
	ds_load_b128 v[146:149], v2 offset:1056
	s_wait_loadcnt_dscnt 0xb01
	v_mul_f64_e32 v[154:155], v[138:139], v[92:93]
	v_mul_f64_e32 v[156:157], v[140:141], v[92:93]
	ds_load_b128 v[92:95], v2 offset:1040
	s_wait_loadcnt_dscnt 0xa00
	v_mul_f64_e32 v[152:153], v[92:93], v[128:129]
	v_mul_f64_e32 v[128:129], v[94:95], v[128:129]
	v_add_f64_e32 v[4:5], v[4:5], v[96:97]
	v_add_f64_e32 v[12:13], v[12:13], v[150:151]
	v_fmac_f64_e32 v[154:155], v[140:141], v[90:91]
	v_fma_f64 v[90:91], v[138:139], v[90:91], -v[156:157]
	s_wait_loadcnt 0x9
	v_mul_f64_e32 v[138:139], v[146:147], v[100:101]
	v_mul_f64_e32 v[100:101], v[148:149], v[100:101]
	v_fmac_f64_e32 v[152:153], v[94:95], v[126:127]
	v_fma_f64 v[126:127], v[92:93], v[126:127], -v[128:129]
	v_add_f64_e32 v[12:13], v[12:13], v[154:155]
	v_add_f64_e32 v[4:5], v[4:5], v[90:91]
	ds_load_b128 v[90:93], v2 offset:1072
	ds_load_b128 v[94:97], v2 offset:1088
	v_fmac_f64_e32 v[138:139], v[148:149], v[98:99]
	v_fma_f64 v[98:99], v[146:147], v[98:99], -v[100:101]
	s_wait_loadcnt_dscnt 0x801
	v_mul_f64_e32 v[128:129], v[90:91], v[104:105]
	v_mul_f64_e32 v[104:105], v[92:93], v[104:105]
	v_add_f64_e32 v[12:13], v[12:13], v[152:153]
	v_add_f64_e32 v[4:5], v[4:5], v[126:127]
	s_wait_loadcnt_dscnt 0x700
	v_mul_f64_e32 v[126:127], v[94:95], v[108:109]
	v_mul_f64_e32 v[108:109], v[96:97], v[108:109]
	v_fmac_f64_e32 v[128:129], v[92:93], v[102:103]
	v_fma_f64 v[102:103], v[90:91], v[102:103], -v[104:105]
	v_add_f64_e32 v[12:13], v[12:13], v[138:139]
	v_add_f64_e32 v[4:5], v[4:5], v[98:99]
	ds_load_b128 v[90:93], v2 offset:1104
	ds_load_b128 v[98:101], v2 offset:1120
	v_fmac_f64_e32 v[126:127], v[96:97], v[106:107]
	v_fma_f64 v[94:95], v[94:95], v[106:107], -v[108:109]
	s_wait_loadcnt_dscnt 0x601
	v_mul_f64_e32 v[104:105], v[90:91], v[112:113]
	v_mul_f64_e32 v[112:113], v[92:93], v[112:113]
	s_wait_loadcnt_dscnt 0x500
	v_mul_f64_e32 v[106:107], v[100:101], v[116:117]
	v_add_f64_e32 v[12:13], v[12:13], v[128:129]
	v_add_f64_e32 v[4:5], v[4:5], v[102:103]
	v_mul_f64_e32 v[102:103], v[98:99], v[116:117]
	v_fmac_f64_e32 v[104:105], v[92:93], v[110:111]
	v_fma_f64 v[108:109], v[90:91], v[110:111], -v[112:113]
	v_fma_f64 v[98:99], v[98:99], v[114:115], -v[106:107]
	v_add_f64_e32 v[12:13], v[12:13], v[126:127]
	v_add_f64_e32 v[4:5], v[4:5], v[94:95]
	ds_load_b128 v[90:93], v2 offset:1136
	ds_load_b128 v[94:97], v2 offset:1152
	v_fmac_f64_e32 v[102:103], v[100:101], v[114:115]
	s_wait_loadcnt_dscnt 0x401
	v_mul_f64_e32 v[110:111], v[90:91], v[120:121]
	v_mul_f64_e32 v[112:113], v[92:93], v[120:121]
	s_wait_loadcnt_dscnt 0x300
	v_mul_f64_e32 v[106:107], v[96:97], v[124:125]
	v_add_f64_e32 v[12:13], v[12:13], v[104:105]
	v_add_f64_e32 v[4:5], v[4:5], v[108:109]
	v_mul_f64_e32 v[104:105], v[94:95], v[124:125]
	v_fmac_f64_e32 v[110:111], v[92:93], v[118:119]
	v_fma_f64 v[108:109], v[90:91], v[118:119], -v[112:113]
	v_fma_f64 v[94:95], v[94:95], v[122:123], -v[106:107]
	v_add_f64_e32 v[12:13], v[12:13], v[102:103]
	v_add_f64_e32 v[4:5], v[4:5], v[98:99]
	ds_load_b128 v[90:93], v2 offset:1168
	ds_load_b128 v[98:101], v2 offset:1184
	v_fmac_f64_e32 v[104:105], v[96:97], v[122:123]
	s_wait_loadcnt_dscnt 0x201
	v_mul_f64_e32 v[102:103], v[90:91], v[132:133]
	v_mul_f64_e32 v[112:113], v[92:93], v[132:133]
	s_wait_loadcnt_dscnt 0x100
	v_mul_f64_e32 v[96:97], v[98:99], v[10:11]
	v_add_f64_e32 v[12:13], v[12:13], v[110:111]
	v_add_f64_e32 v[4:5], v[4:5], v[108:109]
	v_mul_f64_e32 v[106:107], v[100:101], v[10:11]
	v_fmac_f64_e32 v[102:103], v[92:93], v[130:131]
	v_fma_f64 v[90:91], v[90:91], v[130:131], -v[112:113]
	v_fmac_f64_e32 v[96:97], v[100:101], v[8:9]
	v_add_f64_e32 v[92:93], v[12:13], v[104:105]
	v_add_f64_e32 v[4:5], v[4:5], v[94:95]
	ds_load_b128 v[10:13], v2 offset:1200
	v_fma_f64 v[8:9], v[98:99], v[8:9], -v[106:107]
	s_wait_loadcnt_dscnt 0x0
	v_mul_f64_e32 v[94:95], v[10:11], v[144:145]
	v_mul_f64_e32 v[104:105], v[12:13], v[144:145]
	v_add_f64_e32 v[4:5], v[4:5], v[90:91]
	v_add_f64_e32 v[90:91], v[92:93], v[102:103]
	s_delay_alu instid0(VALU_DEP_4) | instskip(NEXT) | instid1(VALU_DEP_4)
	v_fmac_f64_e32 v[94:95], v[12:13], v[142:143]
	v_fma_f64 v[10:11], v[10:11], v[142:143], -v[104:105]
	s_delay_alu instid0(VALU_DEP_4) | instskip(NEXT) | instid1(VALU_DEP_4)
	v_add_f64_e32 v[4:5], v[4:5], v[8:9]
	v_add_f64_e32 v[8:9], v[90:91], v[96:97]
	s_delay_alu instid0(VALU_DEP_2) | instskip(NEXT) | instid1(VALU_DEP_2)
	v_add_f64_e32 v[4:5], v[4:5], v[10:11]
	v_add_f64_e32 v[10:11], v[8:9], v[94:95]
	s_delay_alu instid0(VALU_DEP_2) | instskip(NEXT) | instid1(VALU_DEP_2)
	v_add_f64_e64 v[8:9], v[134:135], -v[4:5]
	v_add_f64_e64 v[10:11], v[136:137], -v[10:11]
	scratch_store_b128 off, v[8:11], off offset:192
	s_wait_xcnt 0x0
	v_cmpx_lt_u32_e32 11, v1
	s_cbranch_execz .LBB37_219
; %bb.218:
	scratch_load_b128 v[8:11], off, s45
	v_dual_mov_b32 v3, v2 :: v_dual_mov_b32 v4, v2
	v_mov_b32_e32 v5, v2
	scratch_store_b128 off, v[2:5], off offset:176
	s_wait_loadcnt 0x0
	ds_store_b128 v6, v[8:11]
.LBB37_219:
	s_wait_xcnt 0x0
	s_or_b32 exec_lo, exec_lo, s2
	s_wait_storecnt_dscnt 0x0
	s_barrier_signal -1
	s_barrier_wait -1
	s_clause 0x9
	scratch_load_b128 v[8:11], off, off offset:192
	scratch_load_b128 v[90:93], off, off offset:208
	;; [unrolled: 1-line block ×10, first 2 shown]
	ds_load_b128 v[126:129], v2 offset:800
	ds_load_b128 v[134:137], v2 offset:816
	s_clause 0x1
	scratch_load_b128 v[130:133], off, off offset:352
	scratch_load_b128 v[138:141], off, off offset:176
	s_mov_b32 s2, exec_lo
	s_wait_loadcnt_dscnt 0xb01
	v_mul_f64_e32 v[4:5], v[128:129], v[10:11]
	v_mul_f64_e32 v[150:151], v[126:127], v[10:11]
	scratch_load_b128 v[10:13], off, off offset:368
	s_wait_loadcnt_dscnt 0xb00
	v_mul_f64_e32 v[152:153], v[134:135], v[92:93]
	v_mul_f64_e32 v[92:93], v[136:137], v[92:93]
	v_fma_f64 v[4:5], v[126:127], v[8:9], -v[4:5]
	v_fmac_f64_e32 v[150:151], v[128:129], v[8:9]
	ds_load_b128 v[126:129], v2 offset:832
	ds_load_b128 v[142:145], v2 offset:848
	scratch_load_b128 v[146:149], off, off offset:384
	v_fmac_f64_e32 v[152:153], v[136:137], v[90:91]
	v_fma_f64 v[134:135], v[134:135], v[90:91], -v[92:93]
	scratch_load_b128 v[90:93], off, off offset:400
	s_wait_loadcnt_dscnt 0xc01
	v_mul_f64_e32 v[8:9], v[126:127], v[96:97]
	v_mul_f64_e32 v[96:97], v[128:129], v[96:97]
	v_add_f64_e32 v[4:5], 0, v[4:5]
	v_add_f64_e32 v[136:137], 0, v[150:151]
	s_wait_loadcnt_dscnt 0xb00
	v_mul_f64_e32 v[150:151], v[142:143], v[100:101]
	v_mul_f64_e32 v[100:101], v[144:145], v[100:101]
	v_fmac_f64_e32 v[8:9], v[128:129], v[94:95]
	v_fma_f64 v[154:155], v[126:127], v[94:95], -v[96:97]
	ds_load_b128 v[94:97], v2 offset:864
	ds_load_b128 v[126:129], v2 offset:880
	v_add_f64_e32 v[4:5], v[4:5], v[134:135]
	v_add_f64_e32 v[152:153], v[136:137], v[152:153]
	scratch_load_b128 v[134:137], off, off offset:416
	v_fmac_f64_e32 v[150:151], v[144:145], v[98:99]
	v_fma_f64 v[142:143], v[142:143], v[98:99], -v[100:101]
	scratch_load_b128 v[98:101], off, off offset:432
	s_wait_loadcnt_dscnt 0xc01
	v_mul_f64_e32 v[156:157], v[94:95], v[104:105]
	v_mul_f64_e32 v[104:105], v[96:97], v[104:105]
	v_add_f64_e32 v[4:5], v[4:5], v[154:155]
	v_add_f64_e32 v[8:9], v[152:153], v[8:9]
	s_wait_loadcnt_dscnt 0xb00
	v_mul_f64_e32 v[152:153], v[126:127], v[108:109]
	v_mul_f64_e32 v[108:109], v[128:129], v[108:109]
	v_fmac_f64_e32 v[156:157], v[96:97], v[102:103]
	v_fma_f64 v[154:155], v[94:95], v[102:103], -v[104:105]
	ds_load_b128 v[94:97], v2 offset:896
	ds_load_b128 v[102:105], v2 offset:912
	v_add_f64_e32 v[4:5], v[4:5], v[142:143]
	v_add_f64_e32 v[8:9], v[8:9], v[150:151]
	scratch_load_b128 v[142:145], off, off offset:448
	s_wait_loadcnt_dscnt 0xb01
	v_mul_f64_e32 v[150:151], v[94:95], v[112:113]
	v_mul_f64_e32 v[112:113], v[96:97], v[112:113]
	v_fmac_f64_e32 v[152:153], v[128:129], v[106:107]
	v_fma_f64 v[126:127], v[126:127], v[106:107], -v[108:109]
	scratch_load_b128 v[106:109], off, off offset:464
	v_add_f64_e32 v[4:5], v[4:5], v[154:155]
	v_add_f64_e32 v[8:9], v[8:9], v[156:157]
	s_wait_loadcnt_dscnt 0xb00
	v_mul_f64_e32 v[154:155], v[102:103], v[116:117]
	v_mul_f64_e32 v[116:117], v[104:105], v[116:117]
	v_fmac_f64_e32 v[150:151], v[96:97], v[110:111]
	v_fma_f64 v[156:157], v[94:95], v[110:111], -v[112:113]
	ds_load_b128 v[94:97], v2 offset:928
	ds_load_b128 v[110:113], v2 offset:944
	v_add_f64_e32 v[4:5], v[4:5], v[126:127]
	v_add_f64_e32 v[8:9], v[8:9], v[152:153]
	scratch_load_b128 v[126:129], off, off offset:480
	s_wait_loadcnt_dscnt 0xb01
	v_mul_f64_e32 v[152:153], v[94:95], v[120:121]
	v_mul_f64_e32 v[120:121], v[96:97], v[120:121]
	v_fmac_f64_e32 v[154:155], v[104:105], v[114:115]
	v_fma_f64 v[114:115], v[102:103], v[114:115], -v[116:117]
	scratch_load_b128 v[102:105], off, off offset:496
	v_add_f64_e32 v[4:5], v[4:5], v[156:157]
	v_add_f64_e32 v[8:9], v[8:9], v[150:151]
	s_wait_loadcnt_dscnt 0xb00
	v_mul_f64_e32 v[150:151], v[110:111], v[124:125]
	v_mul_f64_e32 v[124:125], v[112:113], v[124:125]
	v_fmac_f64_e32 v[152:153], v[96:97], v[118:119]
	v_fma_f64 v[156:157], v[94:95], v[118:119], -v[120:121]
	v_add_f64_e32 v[4:5], v[4:5], v[114:115]
	v_add_f64_e32 v[8:9], v[8:9], v[154:155]
	ds_load_b128 v[94:97], v2 offset:960
	ds_load_b128 v[114:117], v2 offset:976
	scratch_load_b128 v[118:121], off, off offset:512
	v_fmac_f64_e32 v[150:151], v[112:113], v[122:123]
	v_fma_f64 v[122:123], v[110:111], v[122:123], -v[124:125]
	scratch_load_b128 v[110:113], off, off offset:528
	s_wait_loadcnt_dscnt 0xc01
	v_mul_f64_e32 v[154:155], v[94:95], v[132:133]
	v_mul_f64_e32 v[132:133], v[96:97], v[132:133]
	v_add_f64_e32 v[4:5], v[4:5], v[156:157]
	v_add_f64_e32 v[8:9], v[8:9], v[152:153]
	s_wait_loadcnt_dscnt 0xa00
	v_mul_f64_e32 v[152:153], v[114:115], v[12:13]
	v_mul_f64_e32 v[12:13], v[116:117], v[12:13]
	v_fmac_f64_e32 v[154:155], v[96:97], v[130:131]
	v_fma_f64 v[156:157], v[94:95], v[130:131], -v[132:133]
	v_add_f64_e32 v[4:5], v[4:5], v[122:123]
	v_add_f64_e32 v[8:9], v[8:9], v[150:151]
	ds_load_b128 v[94:97], v2 offset:992
	ds_load_b128 v[122:125], v2 offset:1008
	scratch_load_b128 v[130:133], off, off offset:544
	v_fmac_f64_e32 v[152:153], v[116:117], v[10:11]
	v_fma_f64 v[12:13], v[114:115], v[10:11], -v[12:13]
	s_wait_loadcnt_dscnt 0xa01
	v_mul_f64_e32 v[150:151], v[94:95], v[148:149]
	v_mul_f64_e32 v[148:149], v[96:97], v[148:149]
	v_add_f64_e32 v[4:5], v[4:5], v[156:157]
	v_add_f64_e32 v[114:115], v[8:9], v[154:155]
	scratch_load_b128 v[8:11], off, off offset:560
	s_wait_loadcnt_dscnt 0xa00
	v_mul_f64_e32 v[154:155], v[122:123], v[92:93]
	v_mul_f64_e32 v[156:157], v[124:125], v[92:93]
	v_fmac_f64_e32 v[150:151], v[96:97], v[146:147]
	v_fma_f64 v[96:97], v[94:95], v[146:147], -v[148:149]
	v_add_f64_e32 v[4:5], v[4:5], v[12:13]
	v_add_f64_e32 v[12:13], v[114:115], v[152:153]
	ds_load_b128 v[92:95], v2 offset:1024
	ds_load_b128 v[114:117], v2 offset:1040
	scratch_load_b128 v[146:149], off, off offset:576
	v_fmac_f64_e32 v[154:155], v[124:125], v[90:91]
	v_fma_f64 v[90:91], v[122:123], v[90:91], -v[156:157]
	scratch_load_b128 v[122:125], off, off offset:592
	s_wait_loadcnt_dscnt 0xb01
	v_mul_f64_e32 v[152:153], v[92:93], v[136:137]
	v_mul_f64_e32 v[136:137], v[94:95], v[136:137]
	v_add_f64_e32 v[4:5], v[4:5], v[96:97]
	v_add_f64_e32 v[12:13], v[12:13], v[150:151]
	s_wait_loadcnt_dscnt 0xa00
	v_mul_f64_e32 v[150:151], v[114:115], v[100:101]
	v_mul_f64_e32 v[100:101], v[116:117], v[100:101]
	v_fmac_f64_e32 v[152:153], v[94:95], v[134:135]
	v_fma_f64 v[134:135], v[92:93], v[134:135], -v[136:137]
	v_add_f64_e32 v[4:5], v[4:5], v[90:91]
	v_add_f64_e32 v[12:13], v[12:13], v[154:155]
	ds_load_b128 v[90:93], v2 offset:1056
	ds_load_b128 v[94:97], v2 offset:1072
	v_fmac_f64_e32 v[150:151], v[116:117], v[98:99]
	v_fma_f64 v[98:99], v[114:115], v[98:99], -v[100:101]
	s_wait_loadcnt_dscnt 0x901
	v_mul_f64_e32 v[136:137], v[90:91], v[144:145]
	v_mul_f64_e32 v[144:145], v[92:93], v[144:145]
	s_wait_loadcnt_dscnt 0x800
	v_mul_f64_e32 v[114:115], v[94:95], v[108:109]
	v_mul_f64_e32 v[108:109], v[96:97], v[108:109]
	v_add_f64_e32 v[4:5], v[4:5], v[134:135]
	v_add_f64_e32 v[12:13], v[12:13], v[152:153]
	v_fmac_f64_e32 v[136:137], v[92:93], v[142:143]
	v_fma_f64 v[116:117], v[90:91], v[142:143], -v[144:145]
	v_fmac_f64_e32 v[114:115], v[96:97], v[106:107]
	v_fma_f64 v[94:95], v[94:95], v[106:107], -v[108:109]
	v_add_f64_e32 v[4:5], v[4:5], v[98:99]
	v_add_f64_e32 v[12:13], v[12:13], v[150:151]
	ds_load_b128 v[90:93], v2 offset:1088
	ds_load_b128 v[98:101], v2 offset:1104
	s_wait_loadcnt_dscnt 0x701
	v_mul_f64_e32 v[134:135], v[90:91], v[128:129]
	v_mul_f64_e32 v[128:129], v[92:93], v[128:129]
	s_wait_loadcnt_dscnt 0x600
	v_mul_f64_e32 v[106:107], v[98:99], v[104:105]
	v_mul_f64_e32 v[104:105], v[100:101], v[104:105]
	v_add_f64_e32 v[4:5], v[4:5], v[116:117]
	v_add_f64_e32 v[12:13], v[12:13], v[136:137]
	v_fmac_f64_e32 v[134:135], v[92:93], v[126:127]
	v_fma_f64 v[108:109], v[90:91], v[126:127], -v[128:129]
	v_fmac_f64_e32 v[106:107], v[100:101], v[102:103]
	v_fma_f64 v[98:99], v[98:99], v[102:103], -v[104:105]
	v_add_f64_e32 v[4:5], v[4:5], v[94:95]
	v_add_f64_e32 v[12:13], v[12:13], v[114:115]
	ds_load_b128 v[90:93], v2 offset:1120
	ds_load_b128 v[94:97], v2 offset:1136
	;; [unrolled: 16-line block ×3, first 2 shown]
	s_wait_loadcnt_dscnt 0x301
	v_mul_f64_e32 v[106:107], v[90:91], v[132:133]
	v_mul_f64_e32 v[112:113], v[92:93], v[132:133]
	v_add_f64_e32 v[4:5], v[4:5], v[108:109]
	v_add_f64_e32 v[12:13], v[12:13], v[114:115]
	s_wait_loadcnt_dscnt 0x200
	v_mul_f64_e32 v[96:97], v[98:99], v[10:11]
	v_mul_f64_e32 v[104:105], v[100:101], v[10:11]
	v_fmac_f64_e32 v[106:107], v[92:93], v[130:131]
	v_fma_f64 v[90:91], v[90:91], v[130:131], -v[112:113]
	v_add_f64_e32 v[92:93], v[4:5], v[94:95]
	v_add_f64_e32 v[94:95], v[12:13], v[102:103]
	ds_load_b128 v[10:13], v2 offset:1184
	ds_load_b128 v[2:5], v2 offset:1200
	v_fmac_f64_e32 v[96:97], v[100:101], v[8:9]
	v_fma_f64 v[8:9], v[98:99], v[8:9], -v[104:105]
	s_wait_loadcnt_dscnt 0x101
	v_mul_f64_e32 v[102:103], v[10:11], v[148:149]
	v_mul_f64_e32 v[108:109], v[12:13], v[148:149]
	s_wait_loadcnt_dscnt 0x0
	v_mul_f64_e32 v[98:99], v[4:5], v[124:125]
	v_add_f64_e32 v[90:91], v[92:93], v[90:91]
	v_add_f64_e32 v[92:93], v[94:95], v[106:107]
	v_mul_f64_e32 v[94:95], v[2:3], v[124:125]
	v_fmac_f64_e32 v[102:103], v[12:13], v[146:147]
	v_fma_f64 v[10:11], v[10:11], v[146:147], -v[108:109]
	v_fma_f64 v[2:3], v[2:3], v[122:123], -v[98:99]
	v_add_f64_e32 v[8:9], v[90:91], v[8:9]
	v_add_f64_e32 v[12:13], v[92:93], v[96:97]
	v_fmac_f64_e32 v[94:95], v[4:5], v[122:123]
	s_delay_alu instid0(VALU_DEP_3) | instskip(NEXT) | instid1(VALU_DEP_3)
	v_add_f64_e32 v[4:5], v[8:9], v[10:11]
	v_add_f64_e32 v[8:9], v[12:13], v[102:103]
	s_delay_alu instid0(VALU_DEP_2) | instskip(NEXT) | instid1(VALU_DEP_2)
	v_add_f64_e32 v[2:3], v[4:5], v[2:3]
	v_add_f64_e32 v[4:5], v[8:9], v[94:95]
	s_delay_alu instid0(VALU_DEP_2) | instskip(NEXT) | instid1(VALU_DEP_2)
	v_add_f64_e64 v[2:3], v[138:139], -v[2:3]
	v_add_f64_e64 v[4:5], v[140:141], -v[4:5]
	scratch_store_b128 off, v[2:5], off offset:176
	s_wait_xcnt 0x0
	v_cmpx_lt_u32_e32 10, v1
	s_cbranch_execz .LBB37_221
; %bb.220:
	scratch_load_b128 v[2:5], off, s42
	v_mov_b32_e32 v8, 0
	s_delay_alu instid0(VALU_DEP_1)
	v_dual_mov_b32 v9, v8 :: v_dual_mov_b32 v10, v8
	v_mov_b32_e32 v11, v8
	scratch_store_b128 off, v[8:11], off offset:160
	s_wait_loadcnt 0x0
	ds_store_b128 v6, v[2:5]
.LBB37_221:
	s_wait_xcnt 0x0
	s_or_b32 exec_lo, exec_lo, s2
	s_wait_storecnt_dscnt 0x0
	s_barrier_signal -1
	s_barrier_wait -1
	s_clause 0x9
	scratch_load_b128 v[8:11], off, off offset:176
	scratch_load_b128 v[90:93], off, off offset:192
	;; [unrolled: 1-line block ×10, first 2 shown]
	v_mov_b32_e32 v2, 0
	s_mov_b32 s2, exec_lo
	ds_load_b128 v[126:129], v2 offset:784
	s_clause 0x2
	scratch_load_b128 v[130:133], off, off offset:336
	scratch_load_b128 v[134:137], off, off offset:160
	;; [unrolled: 1-line block ×3, first 2 shown]
	s_wait_loadcnt_dscnt 0xc00
	v_mul_f64_e32 v[4:5], v[128:129], v[10:11]
	v_mul_f64_e32 v[150:151], v[126:127], v[10:11]
	ds_load_b128 v[138:141], v2 offset:800
	scratch_load_b128 v[10:13], off, off offset:352
	ds_load_b128 v[146:149], v2 offset:832
	v_fma_f64 v[4:5], v[126:127], v[8:9], -v[4:5]
	v_fmac_f64_e32 v[150:151], v[128:129], v[8:9]
	ds_load_b128 v[126:129], v2 offset:816
	s_wait_loadcnt_dscnt 0xc02
	v_mul_f64_e32 v[152:153], v[138:139], v[92:93]
	v_mul_f64_e32 v[92:93], v[140:141], v[92:93]
	s_wait_loadcnt_dscnt 0xb00
	v_mul_f64_e32 v[8:9], v[126:127], v[96:97]
	v_mul_f64_e32 v[96:97], v[128:129], v[96:97]
	v_add_f64_e32 v[4:5], 0, v[4:5]
	v_fmac_f64_e32 v[152:153], v[140:141], v[90:91]
	v_fma_f64 v[138:139], v[138:139], v[90:91], -v[92:93]
	v_add_f64_e32 v[140:141], 0, v[150:151]
	scratch_load_b128 v[90:93], off, off offset:384
	v_fmac_f64_e32 v[8:9], v[128:129], v[94:95]
	v_fma_f64 v[154:155], v[126:127], v[94:95], -v[96:97]
	ds_load_b128 v[94:97], v2 offset:848
	s_wait_loadcnt 0xb
	v_mul_f64_e32 v[150:151], v[146:147], v[100:101]
	v_mul_f64_e32 v[100:101], v[148:149], v[100:101]
	scratch_load_b128 v[126:129], off, off offset:400
	v_add_f64_e32 v[4:5], v[4:5], v[138:139]
	v_add_f64_e32 v[152:153], v[140:141], v[152:153]
	ds_load_b128 v[138:141], v2 offset:864
	s_wait_loadcnt_dscnt 0xb01
	v_mul_f64_e32 v[156:157], v[94:95], v[104:105]
	v_mul_f64_e32 v[104:105], v[96:97], v[104:105]
	v_fmac_f64_e32 v[150:151], v[148:149], v[98:99]
	v_fma_f64 v[146:147], v[146:147], v[98:99], -v[100:101]
	scratch_load_b128 v[98:101], off, off offset:416
	v_add_f64_e32 v[4:5], v[4:5], v[154:155]
	v_add_f64_e32 v[8:9], v[152:153], v[8:9]
	v_fmac_f64_e32 v[156:157], v[96:97], v[102:103]
	v_fma_f64 v[154:155], v[94:95], v[102:103], -v[104:105]
	ds_load_b128 v[94:97], v2 offset:880
	s_wait_loadcnt_dscnt 0xb01
	v_mul_f64_e32 v[152:153], v[138:139], v[108:109]
	v_mul_f64_e32 v[108:109], v[140:141], v[108:109]
	scratch_load_b128 v[102:105], off, off offset:432
	v_add_f64_e32 v[4:5], v[4:5], v[146:147]
	v_add_f64_e32 v[8:9], v[8:9], v[150:151]
	s_wait_loadcnt_dscnt 0xb00
	v_mul_f64_e32 v[150:151], v[94:95], v[112:113]
	v_mul_f64_e32 v[112:113], v[96:97], v[112:113]
	ds_load_b128 v[146:149], v2 offset:896
	v_fmac_f64_e32 v[152:153], v[140:141], v[106:107]
	v_fma_f64 v[138:139], v[138:139], v[106:107], -v[108:109]
	scratch_load_b128 v[106:109], off, off offset:448
	v_add_f64_e32 v[4:5], v[4:5], v[154:155]
	v_add_f64_e32 v[8:9], v[8:9], v[156:157]
	v_fmac_f64_e32 v[150:151], v[96:97], v[110:111]
	v_fma_f64 v[156:157], v[94:95], v[110:111], -v[112:113]
	ds_load_b128 v[94:97], v2 offset:912
	s_wait_loadcnt_dscnt 0xb01
	v_mul_f64_e32 v[154:155], v[146:147], v[116:117]
	v_mul_f64_e32 v[116:117], v[148:149], v[116:117]
	scratch_load_b128 v[110:113], off, off offset:464
	v_add_f64_e32 v[4:5], v[4:5], v[138:139]
	v_add_f64_e32 v[8:9], v[8:9], v[152:153]
	s_wait_loadcnt_dscnt 0xb00
	v_mul_f64_e32 v[152:153], v[94:95], v[120:121]
	v_mul_f64_e32 v[120:121], v[96:97], v[120:121]
	ds_load_b128 v[138:141], v2 offset:928
	v_fmac_f64_e32 v[154:155], v[148:149], v[114:115]
	v_fma_f64 v[146:147], v[146:147], v[114:115], -v[116:117]
	scratch_load_b128 v[114:117], off, off offset:480
	v_add_f64_e32 v[4:5], v[4:5], v[156:157]
	v_add_f64_e32 v[8:9], v[8:9], v[150:151]
	v_fmac_f64_e32 v[152:153], v[96:97], v[118:119]
	v_fma_f64 v[156:157], v[94:95], v[118:119], -v[120:121]
	ds_load_b128 v[94:97], v2 offset:944
	s_wait_loadcnt_dscnt 0xb01
	v_mul_f64_e32 v[150:151], v[138:139], v[124:125]
	v_mul_f64_e32 v[124:125], v[140:141], v[124:125]
	scratch_load_b128 v[118:121], off, off offset:496
	v_add_f64_e32 v[4:5], v[4:5], v[146:147]
	v_add_f64_e32 v[8:9], v[8:9], v[154:155]
	s_wait_loadcnt_dscnt 0xb00
	v_mul_f64_e32 v[154:155], v[94:95], v[132:133]
	v_mul_f64_e32 v[132:133], v[96:97], v[132:133]
	ds_load_b128 v[146:149], v2 offset:960
	v_fmac_f64_e32 v[150:151], v[140:141], v[122:123]
	v_fma_f64 v[138:139], v[138:139], v[122:123], -v[124:125]
	scratch_load_b128 v[122:125], off, off offset:512
	v_add_f64_e32 v[4:5], v[4:5], v[156:157]
	v_add_f64_e32 v[8:9], v[8:9], v[152:153]
	v_fmac_f64_e32 v[154:155], v[96:97], v[130:131]
	v_fma_f64 v[156:157], v[94:95], v[130:131], -v[132:133]
	ds_load_b128 v[94:97], v2 offset:976
	s_wait_loadcnt_dscnt 0x901
	v_mul_f64_e32 v[152:153], v[146:147], v[12:13]
	v_mul_f64_e32 v[12:13], v[148:149], v[12:13]
	scratch_load_b128 v[130:133], off, off offset:528
	v_add_f64_e32 v[4:5], v[4:5], v[138:139]
	v_add_f64_e32 v[8:9], v[8:9], v[150:151]
	s_wait_dscnt 0x0
	v_mul_f64_e32 v[150:151], v[94:95], v[144:145]
	v_mul_f64_e32 v[144:145], v[96:97], v[144:145]
	ds_load_b128 v[138:141], v2 offset:992
	v_fmac_f64_e32 v[152:153], v[148:149], v[10:11]
	v_fma_f64 v[12:13], v[146:147], v[10:11], -v[12:13]
	v_add_f64_e32 v[4:5], v[4:5], v[156:157]
	v_add_f64_e32 v[146:147], v[8:9], v[154:155]
	scratch_load_b128 v[8:11], off, off offset:544
	v_fmac_f64_e32 v[150:151], v[96:97], v[142:143]
	v_fma_f64 v[96:97], v[94:95], v[142:143], -v[144:145]
	scratch_load_b128 v[142:145], off, off offset:560
	v_add_f64_e32 v[4:5], v[4:5], v[12:13]
	v_add_f64_e32 v[12:13], v[146:147], v[152:153]
	ds_load_b128 v[146:149], v2 offset:1024
	s_wait_loadcnt_dscnt 0xb01
	v_mul_f64_e32 v[154:155], v[138:139], v[92:93]
	v_mul_f64_e32 v[156:157], v[140:141], v[92:93]
	ds_load_b128 v[92:95], v2 offset:1008
	s_wait_loadcnt_dscnt 0xa00
	v_mul_f64_e32 v[152:153], v[92:93], v[128:129]
	v_mul_f64_e32 v[128:129], v[94:95], v[128:129]
	v_add_f64_e32 v[4:5], v[4:5], v[96:97]
	v_add_f64_e32 v[12:13], v[12:13], v[150:151]
	s_wait_loadcnt 0x9
	v_mul_f64_e32 v[150:151], v[146:147], v[100:101]
	v_fmac_f64_e32 v[154:155], v[140:141], v[90:91]
	v_fma_f64 v[90:91], v[138:139], v[90:91], -v[156:157]
	scratch_load_b128 v[138:141], off, off offset:576
	v_mul_f64_e32 v[100:101], v[148:149], v[100:101]
	v_fmac_f64_e32 v[152:153], v[94:95], v[126:127]
	v_fma_f64 v[156:157], v[92:93], v[126:127], -v[128:129]
	scratch_load_b128 v[94:97], off, off offset:592
	ds_load_b128 v[126:129], v2 offset:1056
	v_fmac_f64_e32 v[150:151], v[148:149], v[98:99]
	v_add_f64_e32 v[12:13], v[12:13], v[154:155]
	v_add_f64_e32 v[4:5], v[4:5], v[90:91]
	ds_load_b128 v[90:93], v2 offset:1040
	v_fma_f64 v[98:99], v[146:147], v[98:99], -v[100:101]
	s_wait_loadcnt_dscnt 0x901
	v_mul_f64_e32 v[146:147], v[126:127], v[108:109]
	v_mul_f64_e32 v[108:109], v[128:129], v[108:109]
	s_wait_dscnt 0x0
	v_mul_f64_e32 v[154:155], v[90:91], v[104:105]
	v_mul_f64_e32 v[104:105], v[92:93], v[104:105]
	v_add_f64_e32 v[12:13], v[12:13], v[152:153]
	v_add_f64_e32 v[4:5], v[4:5], v[156:157]
	v_fmac_f64_e32 v[146:147], v[128:129], v[106:107]
	v_fma_f64 v[106:107], v[126:127], v[106:107], -v[108:109]
	v_fmac_f64_e32 v[154:155], v[92:93], v[102:103]
	v_fma_f64 v[102:103], v[90:91], v[102:103], -v[104:105]
	v_add_f64_e32 v[12:13], v[12:13], v[150:151]
	v_add_f64_e32 v[4:5], v[4:5], v[98:99]
	ds_load_b128 v[90:93], v2 offset:1072
	ds_load_b128 v[98:101], v2 offset:1088
	s_wait_loadcnt_dscnt 0x801
	v_mul_f64_e32 v[148:149], v[90:91], v[112:113]
	v_mul_f64_e32 v[104:105], v[92:93], v[112:113]
	s_wait_loadcnt_dscnt 0x700
	v_mul_f64_e32 v[108:109], v[98:99], v[116:117]
	v_mul_f64_e32 v[112:113], v[100:101], v[116:117]
	v_add_f64_e32 v[12:13], v[12:13], v[154:155]
	v_add_f64_e32 v[4:5], v[4:5], v[102:103]
	v_fmac_f64_e32 v[148:149], v[92:93], v[110:111]
	v_fma_f64 v[110:111], v[90:91], v[110:111], -v[104:105]
	ds_load_b128 v[90:93], v2 offset:1104
	ds_load_b128 v[102:105], v2 offset:1120
	v_fmac_f64_e32 v[108:109], v[100:101], v[114:115]
	v_fma_f64 v[98:99], v[98:99], v[114:115], -v[112:113]
	v_add_f64_e32 v[12:13], v[12:13], v[146:147]
	v_add_f64_e32 v[4:5], v[4:5], v[106:107]
	s_wait_loadcnt_dscnt 0x601
	v_mul_f64_e32 v[106:107], v[90:91], v[120:121]
	v_mul_f64_e32 v[116:117], v[92:93], v[120:121]
	s_wait_loadcnt_dscnt 0x500
	v_mul_f64_e32 v[112:113], v[104:105], v[124:125]
	v_add_f64_e32 v[12:13], v[12:13], v[148:149]
	v_add_f64_e32 v[4:5], v[4:5], v[110:111]
	v_mul_f64_e32 v[110:111], v[102:103], v[124:125]
	v_fmac_f64_e32 v[106:107], v[92:93], v[118:119]
	v_fma_f64 v[114:115], v[90:91], v[118:119], -v[116:117]
	v_fma_f64 v[102:103], v[102:103], v[122:123], -v[112:113]
	v_add_f64_e32 v[12:13], v[12:13], v[108:109]
	v_add_f64_e32 v[4:5], v[4:5], v[98:99]
	ds_load_b128 v[90:93], v2 offset:1136
	ds_load_b128 v[98:101], v2 offset:1152
	v_fmac_f64_e32 v[110:111], v[104:105], v[122:123]
	s_wait_loadcnt_dscnt 0x401
	v_mul_f64_e32 v[108:109], v[90:91], v[132:133]
	v_mul_f64_e32 v[116:117], v[92:93], v[132:133]
	s_wait_loadcnt_dscnt 0x300
	v_mul_f64_e32 v[104:105], v[98:99], v[10:11]
	v_add_f64_e32 v[12:13], v[12:13], v[106:107]
	v_add_f64_e32 v[4:5], v[4:5], v[114:115]
	v_mul_f64_e32 v[106:107], v[100:101], v[10:11]
	v_fmac_f64_e32 v[108:109], v[92:93], v[130:131]
	v_fma_f64 v[112:113], v[90:91], v[130:131], -v[116:117]
	v_fmac_f64_e32 v[104:105], v[100:101], v[8:9]
	v_add_f64_e32 v[4:5], v[4:5], v[102:103]
	v_add_f64_e32 v[102:103], v[12:13], v[110:111]
	ds_load_b128 v[10:13], v2 offset:1168
	ds_load_b128 v[90:93], v2 offset:1184
	v_fma_f64 v[8:9], v[98:99], v[8:9], -v[106:107]
	s_wait_loadcnt_dscnt 0x201
	v_mul_f64_e32 v[110:111], v[10:11], v[144:145]
	v_mul_f64_e32 v[114:115], v[12:13], v[144:145]
	v_add_f64_e32 v[4:5], v[4:5], v[112:113]
	v_add_f64_e32 v[98:99], v[102:103], v[108:109]
	s_wait_loadcnt_dscnt 0x100
	v_mul_f64_e32 v[100:101], v[90:91], v[140:141]
	v_mul_f64_e32 v[102:103], v[92:93], v[140:141]
	v_fmac_f64_e32 v[110:111], v[12:13], v[142:143]
	v_fma_f64 v[12:13], v[10:11], v[142:143], -v[114:115]
	v_add_f64_e32 v[4:5], v[4:5], v[8:9]
	v_add_f64_e32 v[98:99], v[98:99], v[104:105]
	ds_load_b128 v[8:11], v2 offset:1200
	v_fmac_f64_e32 v[100:101], v[92:93], v[138:139]
	v_fma_f64 v[90:91], v[90:91], v[138:139], -v[102:103]
	s_wait_loadcnt_dscnt 0x0
	v_mul_f64_e32 v[104:105], v[8:9], v[96:97]
	v_mul_f64_e32 v[96:97], v[10:11], v[96:97]
	v_add_f64_e32 v[4:5], v[4:5], v[12:13]
	v_add_f64_e32 v[12:13], v[98:99], v[110:111]
	s_delay_alu instid0(VALU_DEP_4) | instskip(NEXT) | instid1(VALU_DEP_4)
	v_fmac_f64_e32 v[104:105], v[10:11], v[94:95]
	v_fma_f64 v[8:9], v[8:9], v[94:95], -v[96:97]
	s_delay_alu instid0(VALU_DEP_4) | instskip(NEXT) | instid1(VALU_DEP_4)
	v_add_f64_e32 v[4:5], v[4:5], v[90:91]
	v_add_f64_e32 v[10:11], v[12:13], v[100:101]
	s_delay_alu instid0(VALU_DEP_2) | instskip(NEXT) | instid1(VALU_DEP_2)
	v_add_f64_e32 v[4:5], v[4:5], v[8:9]
	v_add_f64_e32 v[10:11], v[10:11], v[104:105]
	s_delay_alu instid0(VALU_DEP_2) | instskip(NEXT) | instid1(VALU_DEP_2)
	v_add_f64_e64 v[8:9], v[134:135], -v[4:5]
	v_add_f64_e64 v[10:11], v[136:137], -v[10:11]
	scratch_store_b128 off, v[8:11], off offset:160
	s_wait_xcnt 0x0
	v_cmpx_lt_u32_e32 9, v1
	s_cbranch_execz .LBB37_223
; %bb.222:
	scratch_load_b128 v[8:11], off, s40
	v_dual_mov_b32 v3, v2 :: v_dual_mov_b32 v4, v2
	v_mov_b32_e32 v5, v2
	scratch_store_b128 off, v[2:5], off offset:144
	s_wait_loadcnt 0x0
	ds_store_b128 v6, v[8:11]
.LBB37_223:
	s_wait_xcnt 0x0
	s_or_b32 exec_lo, exec_lo, s2
	s_wait_storecnt_dscnt 0x0
	s_barrier_signal -1
	s_barrier_wait -1
	s_clause 0x9
	scratch_load_b128 v[8:11], off, off offset:160
	scratch_load_b128 v[90:93], off, off offset:176
	;; [unrolled: 1-line block ×10, first 2 shown]
	ds_load_b128 v[126:129], v2 offset:768
	ds_load_b128 v[134:137], v2 offset:784
	s_clause 0x1
	scratch_load_b128 v[130:133], off, off offset:320
	scratch_load_b128 v[138:141], off, off offset:144
	s_mov_b32 s2, exec_lo
	s_wait_loadcnt_dscnt 0xb01
	v_mul_f64_e32 v[4:5], v[128:129], v[10:11]
	v_mul_f64_e32 v[150:151], v[126:127], v[10:11]
	scratch_load_b128 v[10:13], off, off offset:336
	s_wait_loadcnt_dscnt 0xb00
	v_mul_f64_e32 v[152:153], v[134:135], v[92:93]
	v_mul_f64_e32 v[92:93], v[136:137], v[92:93]
	v_fma_f64 v[4:5], v[126:127], v[8:9], -v[4:5]
	v_fmac_f64_e32 v[150:151], v[128:129], v[8:9]
	ds_load_b128 v[126:129], v2 offset:800
	ds_load_b128 v[142:145], v2 offset:816
	scratch_load_b128 v[146:149], off, off offset:352
	v_fmac_f64_e32 v[152:153], v[136:137], v[90:91]
	v_fma_f64 v[134:135], v[134:135], v[90:91], -v[92:93]
	scratch_load_b128 v[90:93], off, off offset:368
	s_wait_loadcnt_dscnt 0xc01
	v_mul_f64_e32 v[8:9], v[126:127], v[96:97]
	v_mul_f64_e32 v[96:97], v[128:129], v[96:97]
	v_add_f64_e32 v[4:5], 0, v[4:5]
	v_add_f64_e32 v[136:137], 0, v[150:151]
	s_wait_loadcnt_dscnt 0xb00
	v_mul_f64_e32 v[150:151], v[142:143], v[100:101]
	v_mul_f64_e32 v[100:101], v[144:145], v[100:101]
	v_fmac_f64_e32 v[8:9], v[128:129], v[94:95]
	v_fma_f64 v[154:155], v[126:127], v[94:95], -v[96:97]
	ds_load_b128 v[94:97], v2 offset:832
	ds_load_b128 v[126:129], v2 offset:848
	v_add_f64_e32 v[4:5], v[4:5], v[134:135]
	v_add_f64_e32 v[152:153], v[136:137], v[152:153]
	scratch_load_b128 v[134:137], off, off offset:384
	v_fmac_f64_e32 v[150:151], v[144:145], v[98:99]
	v_fma_f64 v[142:143], v[142:143], v[98:99], -v[100:101]
	scratch_load_b128 v[98:101], off, off offset:400
	s_wait_loadcnt_dscnt 0xc01
	v_mul_f64_e32 v[156:157], v[94:95], v[104:105]
	v_mul_f64_e32 v[104:105], v[96:97], v[104:105]
	v_add_f64_e32 v[4:5], v[4:5], v[154:155]
	v_add_f64_e32 v[8:9], v[152:153], v[8:9]
	s_wait_loadcnt_dscnt 0xb00
	v_mul_f64_e32 v[152:153], v[126:127], v[108:109]
	v_mul_f64_e32 v[108:109], v[128:129], v[108:109]
	v_fmac_f64_e32 v[156:157], v[96:97], v[102:103]
	v_fma_f64 v[154:155], v[94:95], v[102:103], -v[104:105]
	ds_load_b128 v[94:97], v2 offset:864
	ds_load_b128 v[102:105], v2 offset:880
	v_add_f64_e32 v[4:5], v[4:5], v[142:143]
	v_add_f64_e32 v[8:9], v[8:9], v[150:151]
	scratch_load_b128 v[142:145], off, off offset:416
	s_wait_loadcnt_dscnt 0xb01
	v_mul_f64_e32 v[150:151], v[94:95], v[112:113]
	v_mul_f64_e32 v[112:113], v[96:97], v[112:113]
	v_fmac_f64_e32 v[152:153], v[128:129], v[106:107]
	v_fma_f64 v[126:127], v[126:127], v[106:107], -v[108:109]
	scratch_load_b128 v[106:109], off, off offset:432
	v_add_f64_e32 v[4:5], v[4:5], v[154:155]
	v_add_f64_e32 v[8:9], v[8:9], v[156:157]
	s_wait_loadcnt_dscnt 0xb00
	v_mul_f64_e32 v[154:155], v[102:103], v[116:117]
	v_mul_f64_e32 v[116:117], v[104:105], v[116:117]
	v_fmac_f64_e32 v[150:151], v[96:97], v[110:111]
	v_fma_f64 v[156:157], v[94:95], v[110:111], -v[112:113]
	ds_load_b128 v[94:97], v2 offset:896
	ds_load_b128 v[110:113], v2 offset:912
	v_add_f64_e32 v[4:5], v[4:5], v[126:127]
	v_add_f64_e32 v[8:9], v[8:9], v[152:153]
	scratch_load_b128 v[126:129], off, off offset:448
	s_wait_loadcnt_dscnt 0xb01
	v_mul_f64_e32 v[152:153], v[94:95], v[120:121]
	v_mul_f64_e32 v[120:121], v[96:97], v[120:121]
	v_fmac_f64_e32 v[154:155], v[104:105], v[114:115]
	v_fma_f64 v[114:115], v[102:103], v[114:115], -v[116:117]
	scratch_load_b128 v[102:105], off, off offset:464
	v_add_f64_e32 v[4:5], v[4:5], v[156:157]
	v_add_f64_e32 v[8:9], v[8:9], v[150:151]
	s_wait_loadcnt_dscnt 0xb00
	v_mul_f64_e32 v[150:151], v[110:111], v[124:125]
	v_mul_f64_e32 v[124:125], v[112:113], v[124:125]
	v_fmac_f64_e32 v[152:153], v[96:97], v[118:119]
	v_fma_f64 v[156:157], v[94:95], v[118:119], -v[120:121]
	v_add_f64_e32 v[4:5], v[4:5], v[114:115]
	v_add_f64_e32 v[8:9], v[8:9], v[154:155]
	ds_load_b128 v[94:97], v2 offset:928
	ds_load_b128 v[114:117], v2 offset:944
	scratch_load_b128 v[118:121], off, off offset:480
	v_fmac_f64_e32 v[150:151], v[112:113], v[122:123]
	v_fma_f64 v[122:123], v[110:111], v[122:123], -v[124:125]
	scratch_load_b128 v[110:113], off, off offset:496
	s_wait_loadcnt_dscnt 0xc01
	v_mul_f64_e32 v[154:155], v[94:95], v[132:133]
	v_mul_f64_e32 v[132:133], v[96:97], v[132:133]
	v_add_f64_e32 v[4:5], v[4:5], v[156:157]
	v_add_f64_e32 v[8:9], v[8:9], v[152:153]
	s_wait_loadcnt_dscnt 0xa00
	v_mul_f64_e32 v[152:153], v[114:115], v[12:13]
	v_mul_f64_e32 v[12:13], v[116:117], v[12:13]
	v_fmac_f64_e32 v[154:155], v[96:97], v[130:131]
	v_fma_f64 v[156:157], v[94:95], v[130:131], -v[132:133]
	v_add_f64_e32 v[4:5], v[4:5], v[122:123]
	v_add_f64_e32 v[8:9], v[8:9], v[150:151]
	ds_load_b128 v[94:97], v2 offset:960
	ds_load_b128 v[122:125], v2 offset:976
	scratch_load_b128 v[130:133], off, off offset:512
	v_fmac_f64_e32 v[152:153], v[116:117], v[10:11]
	v_fma_f64 v[12:13], v[114:115], v[10:11], -v[12:13]
	s_wait_loadcnt_dscnt 0xa01
	v_mul_f64_e32 v[150:151], v[94:95], v[148:149]
	v_mul_f64_e32 v[148:149], v[96:97], v[148:149]
	v_add_f64_e32 v[4:5], v[4:5], v[156:157]
	v_add_f64_e32 v[114:115], v[8:9], v[154:155]
	scratch_load_b128 v[8:11], off, off offset:528
	s_wait_loadcnt_dscnt 0xa00
	v_mul_f64_e32 v[154:155], v[122:123], v[92:93]
	v_mul_f64_e32 v[156:157], v[124:125], v[92:93]
	v_fmac_f64_e32 v[150:151], v[96:97], v[146:147]
	v_fma_f64 v[96:97], v[94:95], v[146:147], -v[148:149]
	v_add_f64_e32 v[4:5], v[4:5], v[12:13]
	v_add_f64_e32 v[12:13], v[114:115], v[152:153]
	ds_load_b128 v[92:95], v2 offset:992
	ds_load_b128 v[114:117], v2 offset:1008
	scratch_load_b128 v[146:149], off, off offset:544
	v_fmac_f64_e32 v[154:155], v[124:125], v[90:91]
	v_fma_f64 v[90:91], v[122:123], v[90:91], -v[156:157]
	scratch_load_b128 v[122:125], off, off offset:560
	s_wait_loadcnt_dscnt 0xb01
	v_mul_f64_e32 v[152:153], v[92:93], v[136:137]
	v_mul_f64_e32 v[136:137], v[94:95], v[136:137]
	v_add_f64_e32 v[4:5], v[4:5], v[96:97]
	v_add_f64_e32 v[12:13], v[12:13], v[150:151]
	s_wait_loadcnt_dscnt 0xa00
	v_mul_f64_e32 v[150:151], v[114:115], v[100:101]
	v_mul_f64_e32 v[100:101], v[116:117], v[100:101]
	v_fmac_f64_e32 v[152:153], v[94:95], v[134:135]
	v_fma_f64 v[156:157], v[92:93], v[134:135], -v[136:137]
	v_add_f64_e32 v[4:5], v[4:5], v[90:91]
	v_add_f64_e32 v[12:13], v[12:13], v[154:155]
	ds_load_b128 v[90:93], v2 offset:1024
	ds_load_b128 v[94:97], v2 offset:1040
	scratch_load_b128 v[134:137], off, off offset:576
	v_fmac_f64_e32 v[150:151], v[116:117], v[98:99]
	v_fma_f64 v[114:115], v[114:115], v[98:99], -v[100:101]
	scratch_load_b128 v[98:101], off, off offset:592
	s_wait_loadcnt_dscnt 0xb01
	v_mul_f64_e32 v[154:155], v[90:91], v[144:145]
	v_mul_f64_e32 v[144:145], v[92:93], v[144:145]
	v_add_f64_e32 v[4:5], v[4:5], v[156:157]
	v_add_f64_e32 v[12:13], v[12:13], v[152:153]
	s_wait_loadcnt_dscnt 0xa00
	v_mul_f64_e32 v[152:153], v[94:95], v[108:109]
	v_mul_f64_e32 v[108:109], v[96:97], v[108:109]
	v_fmac_f64_e32 v[154:155], v[92:93], v[142:143]
	v_fma_f64 v[142:143], v[90:91], v[142:143], -v[144:145]
	v_add_f64_e32 v[4:5], v[4:5], v[114:115]
	v_add_f64_e32 v[12:13], v[12:13], v[150:151]
	ds_load_b128 v[90:93], v2 offset:1056
	ds_load_b128 v[114:117], v2 offset:1072
	v_fmac_f64_e32 v[152:153], v[96:97], v[106:107]
	v_fma_f64 v[94:95], v[94:95], v[106:107], -v[108:109]
	s_wait_loadcnt_dscnt 0x901
	v_mul_f64_e32 v[144:145], v[90:91], v[128:129]
	v_mul_f64_e32 v[128:129], v[92:93], v[128:129]
	s_wait_loadcnt_dscnt 0x800
	v_mul_f64_e32 v[106:107], v[114:115], v[104:105]
	v_mul_f64_e32 v[104:105], v[116:117], v[104:105]
	v_add_f64_e32 v[4:5], v[4:5], v[142:143]
	v_add_f64_e32 v[12:13], v[12:13], v[154:155]
	v_fmac_f64_e32 v[144:145], v[92:93], v[126:127]
	v_fma_f64 v[108:109], v[90:91], v[126:127], -v[128:129]
	v_fmac_f64_e32 v[106:107], v[116:117], v[102:103]
	v_fma_f64 v[102:103], v[114:115], v[102:103], -v[104:105]
	v_add_f64_e32 v[4:5], v[4:5], v[94:95]
	v_add_f64_e32 v[12:13], v[12:13], v[152:153]
	ds_load_b128 v[90:93], v2 offset:1088
	ds_load_b128 v[94:97], v2 offset:1104
	s_wait_loadcnt_dscnt 0x701
	v_mul_f64_e32 v[126:127], v[90:91], v[120:121]
	v_mul_f64_e32 v[120:121], v[92:93], v[120:121]
	v_add_f64_e32 v[4:5], v[4:5], v[108:109]
	v_add_f64_e32 v[12:13], v[12:13], v[144:145]
	s_wait_loadcnt_dscnt 0x600
	v_mul_f64_e32 v[108:109], v[94:95], v[112:113]
	v_mul_f64_e32 v[112:113], v[96:97], v[112:113]
	v_fmac_f64_e32 v[126:127], v[92:93], v[118:119]
	v_fma_f64 v[114:115], v[90:91], v[118:119], -v[120:121]
	v_add_f64_e32 v[4:5], v[4:5], v[102:103]
	v_add_f64_e32 v[12:13], v[12:13], v[106:107]
	ds_load_b128 v[90:93], v2 offset:1120
	ds_load_b128 v[102:105], v2 offset:1136
	v_fmac_f64_e32 v[108:109], v[96:97], v[110:111]
	v_fma_f64 v[94:95], v[94:95], v[110:111], -v[112:113]
	s_wait_loadcnt_dscnt 0x501
	v_mul_f64_e32 v[106:107], v[90:91], v[132:133]
	v_mul_f64_e32 v[116:117], v[92:93], v[132:133]
	v_add_f64_e32 v[4:5], v[4:5], v[114:115]
	v_add_f64_e32 v[12:13], v[12:13], v[126:127]
	s_wait_loadcnt_dscnt 0x400
	v_mul_f64_e32 v[96:97], v[102:103], v[10:11]
	v_mul_f64_e32 v[110:111], v[104:105], v[10:11]
	v_fmac_f64_e32 v[106:107], v[92:93], v[130:131]
	v_fma_f64 v[112:113], v[90:91], v[130:131], -v[116:117]
	v_add_f64_e32 v[4:5], v[4:5], v[94:95]
	v_add_f64_e32 v[94:95], v[12:13], v[108:109]
	ds_load_b128 v[10:13], v2 offset:1152
	ds_load_b128 v[90:93], v2 offset:1168
	v_fmac_f64_e32 v[96:97], v[104:105], v[8:9]
	v_fma_f64 v[8:9], v[102:103], v[8:9], -v[110:111]
	s_wait_loadcnt_dscnt 0x301
	v_mul_f64_e32 v[108:109], v[10:11], v[148:149]
	v_mul_f64_e32 v[114:115], v[12:13], v[148:149]
	s_wait_loadcnt_dscnt 0x200
	v_mul_f64_e32 v[102:103], v[90:91], v[124:125]
	v_mul_f64_e32 v[104:105], v[92:93], v[124:125]
	v_add_f64_e32 v[4:5], v[4:5], v[112:113]
	v_add_f64_e32 v[94:95], v[94:95], v[106:107]
	v_fmac_f64_e32 v[108:109], v[12:13], v[146:147]
	v_fma_f64 v[12:13], v[10:11], v[146:147], -v[114:115]
	v_fmac_f64_e32 v[102:103], v[92:93], v[122:123]
	v_fma_f64 v[90:91], v[90:91], v[122:123], -v[104:105]
	v_add_f64_e32 v[106:107], v[4:5], v[8:9]
	v_add_f64_e32 v[94:95], v[94:95], v[96:97]
	ds_load_b128 v[8:11], v2 offset:1184
	ds_load_b128 v[2:5], v2 offset:1200
	s_wait_loadcnt_dscnt 0x101
	v_mul_f64_e32 v[96:97], v[8:9], v[136:137]
	v_mul_f64_e32 v[110:111], v[10:11], v[136:137]
	v_add_f64_e32 v[12:13], v[106:107], v[12:13]
	v_add_f64_e32 v[92:93], v[94:95], v[108:109]
	s_wait_loadcnt_dscnt 0x0
	v_mul_f64_e32 v[94:95], v[2:3], v[100:101]
	v_mul_f64_e32 v[100:101], v[4:5], v[100:101]
	v_fmac_f64_e32 v[96:97], v[10:11], v[134:135]
	v_fma_f64 v[8:9], v[8:9], v[134:135], -v[110:111]
	v_add_f64_e32 v[10:11], v[12:13], v[90:91]
	v_add_f64_e32 v[12:13], v[92:93], v[102:103]
	v_fmac_f64_e32 v[94:95], v[4:5], v[98:99]
	v_fma_f64 v[2:3], v[2:3], v[98:99], -v[100:101]
	s_delay_alu instid0(VALU_DEP_4) | instskip(NEXT) | instid1(VALU_DEP_4)
	v_add_f64_e32 v[4:5], v[10:11], v[8:9]
	v_add_f64_e32 v[8:9], v[12:13], v[96:97]
	s_delay_alu instid0(VALU_DEP_2) | instskip(NEXT) | instid1(VALU_DEP_2)
	v_add_f64_e32 v[2:3], v[4:5], v[2:3]
	v_add_f64_e32 v[4:5], v[8:9], v[94:95]
	s_delay_alu instid0(VALU_DEP_2) | instskip(NEXT) | instid1(VALU_DEP_2)
	v_add_f64_e64 v[2:3], v[138:139], -v[2:3]
	v_add_f64_e64 v[4:5], v[140:141], -v[4:5]
	scratch_store_b128 off, v[2:5], off offset:144
	s_wait_xcnt 0x0
	v_cmpx_lt_u32_e32 8, v1
	s_cbranch_execz .LBB37_225
; %bb.224:
	scratch_load_b128 v[2:5], off, s39
	v_mov_b32_e32 v8, 0
	s_delay_alu instid0(VALU_DEP_1)
	v_dual_mov_b32 v9, v8 :: v_dual_mov_b32 v10, v8
	v_mov_b32_e32 v11, v8
	scratch_store_b128 off, v[8:11], off offset:128
	s_wait_loadcnt 0x0
	ds_store_b128 v6, v[2:5]
.LBB37_225:
	s_wait_xcnt 0x0
	s_or_b32 exec_lo, exec_lo, s2
	s_wait_storecnt_dscnt 0x0
	s_barrier_signal -1
	s_barrier_wait -1
	s_clause 0x9
	scratch_load_b128 v[8:11], off, off offset:144
	scratch_load_b128 v[90:93], off, off offset:160
	;; [unrolled: 1-line block ×10, first 2 shown]
	v_mov_b32_e32 v2, 0
	s_mov_b32 s2, exec_lo
	ds_load_b128 v[126:129], v2 offset:752
	s_clause 0x2
	scratch_load_b128 v[130:133], off, off offset:304
	scratch_load_b128 v[134:137], off, off offset:128
	;; [unrolled: 1-line block ×3, first 2 shown]
	s_wait_loadcnt_dscnt 0xc00
	v_mul_f64_e32 v[4:5], v[128:129], v[10:11]
	v_mul_f64_e32 v[150:151], v[126:127], v[10:11]
	ds_load_b128 v[138:141], v2 offset:768
	scratch_load_b128 v[10:13], off, off offset:320
	ds_load_b128 v[146:149], v2 offset:800
	v_fma_f64 v[4:5], v[126:127], v[8:9], -v[4:5]
	v_fmac_f64_e32 v[150:151], v[128:129], v[8:9]
	ds_load_b128 v[126:129], v2 offset:784
	s_wait_loadcnt_dscnt 0xc02
	v_mul_f64_e32 v[152:153], v[138:139], v[92:93]
	v_mul_f64_e32 v[92:93], v[140:141], v[92:93]
	s_wait_loadcnt_dscnt 0xb00
	v_mul_f64_e32 v[8:9], v[126:127], v[96:97]
	v_mul_f64_e32 v[96:97], v[128:129], v[96:97]
	v_add_f64_e32 v[4:5], 0, v[4:5]
	v_fmac_f64_e32 v[152:153], v[140:141], v[90:91]
	v_fma_f64 v[138:139], v[138:139], v[90:91], -v[92:93]
	v_add_f64_e32 v[140:141], 0, v[150:151]
	scratch_load_b128 v[90:93], off, off offset:352
	v_fmac_f64_e32 v[8:9], v[128:129], v[94:95]
	v_fma_f64 v[154:155], v[126:127], v[94:95], -v[96:97]
	ds_load_b128 v[94:97], v2 offset:816
	s_wait_loadcnt 0xb
	v_mul_f64_e32 v[150:151], v[146:147], v[100:101]
	v_mul_f64_e32 v[100:101], v[148:149], v[100:101]
	scratch_load_b128 v[126:129], off, off offset:368
	v_add_f64_e32 v[4:5], v[4:5], v[138:139]
	v_add_f64_e32 v[152:153], v[140:141], v[152:153]
	ds_load_b128 v[138:141], v2 offset:832
	s_wait_loadcnt_dscnt 0xb01
	v_mul_f64_e32 v[156:157], v[94:95], v[104:105]
	v_mul_f64_e32 v[104:105], v[96:97], v[104:105]
	v_fmac_f64_e32 v[150:151], v[148:149], v[98:99]
	v_fma_f64 v[146:147], v[146:147], v[98:99], -v[100:101]
	scratch_load_b128 v[98:101], off, off offset:384
	v_add_f64_e32 v[4:5], v[4:5], v[154:155]
	v_add_f64_e32 v[8:9], v[152:153], v[8:9]
	v_fmac_f64_e32 v[156:157], v[96:97], v[102:103]
	v_fma_f64 v[154:155], v[94:95], v[102:103], -v[104:105]
	ds_load_b128 v[94:97], v2 offset:848
	s_wait_loadcnt_dscnt 0xb01
	v_mul_f64_e32 v[152:153], v[138:139], v[108:109]
	v_mul_f64_e32 v[108:109], v[140:141], v[108:109]
	scratch_load_b128 v[102:105], off, off offset:400
	v_add_f64_e32 v[4:5], v[4:5], v[146:147]
	v_add_f64_e32 v[8:9], v[8:9], v[150:151]
	s_wait_loadcnt_dscnt 0xb00
	v_mul_f64_e32 v[150:151], v[94:95], v[112:113]
	v_mul_f64_e32 v[112:113], v[96:97], v[112:113]
	ds_load_b128 v[146:149], v2 offset:864
	v_fmac_f64_e32 v[152:153], v[140:141], v[106:107]
	v_fma_f64 v[138:139], v[138:139], v[106:107], -v[108:109]
	scratch_load_b128 v[106:109], off, off offset:416
	v_add_f64_e32 v[4:5], v[4:5], v[154:155]
	v_add_f64_e32 v[8:9], v[8:9], v[156:157]
	v_fmac_f64_e32 v[150:151], v[96:97], v[110:111]
	v_fma_f64 v[156:157], v[94:95], v[110:111], -v[112:113]
	ds_load_b128 v[94:97], v2 offset:880
	s_wait_loadcnt_dscnt 0xb01
	v_mul_f64_e32 v[154:155], v[146:147], v[116:117]
	v_mul_f64_e32 v[116:117], v[148:149], v[116:117]
	scratch_load_b128 v[110:113], off, off offset:432
	v_add_f64_e32 v[4:5], v[4:5], v[138:139]
	v_add_f64_e32 v[8:9], v[8:9], v[152:153]
	s_wait_loadcnt_dscnt 0xb00
	v_mul_f64_e32 v[152:153], v[94:95], v[120:121]
	v_mul_f64_e32 v[120:121], v[96:97], v[120:121]
	ds_load_b128 v[138:141], v2 offset:896
	;; [unrolled: 18-line block ×3, first 2 shown]
	v_fmac_f64_e32 v[150:151], v[140:141], v[122:123]
	v_fma_f64 v[138:139], v[138:139], v[122:123], -v[124:125]
	scratch_load_b128 v[122:125], off, off offset:480
	v_add_f64_e32 v[4:5], v[4:5], v[156:157]
	v_add_f64_e32 v[8:9], v[8:9], v[152:153]
	v_fmac_f64_e32 v[154:155], v[96:97], v[130:131]
	v_fma_f64 v[156:157], v[94:95], v[130:131], -v[132:133]
	ds_load_b128 v[94:97], v2 offset:944
	s_wait_loadcnt_dscnt 0x901
	v_mul_f64_e32 v[152:153], v[146:147], v[12:13]
	v_mul_f64_e32 v[12:13], v[148:149], v[12:13]
	scratch_load_b128 v[130:133], off, off offset:496
	v_add_f64_e32 v[4:5], v[4:5], v[138:139]
	v_add_f64_e32 v[8:9], v[8:9], v[150:151]
	s_wait_dscnt 0x0
	v_mul_f64_e32 v[150:151], v[94:95], v[144:145]
	v_mul_f64_e32 v[144:145], v[96:97], v[144:145]
	ds_load_b128 v[138:141], v2 offset:960
	v_fmac_f64_e32 v[152:153], v[148:149], v[10:11]
	v_fma_f64 v[12:13], v[146:147], v[10:11], -v[12:13]
	v_add_f64_e32 v[4:5], v[4:5], v[156:157]
	v_add_f64_e32 v[146:147], v[8:9], v[154:155]
	scratch_load_b128 v[8:11], off, off offset:512
	v_fmac_f64_e32 v[150:151], v[96:97], v[142:143]
	v_fma_f64 v[96:97], v[94:95], v[142:143], -v[144:145]
	scratch_load_b128 v[142:145], off, off offset:528
	v_add_f64_e32 v[4:5], v[4:5], v[12:13]
	v_add_f64_e32 v[12:13], v[146:147], v[152:153]
	ds_load_b128 v[146:149], v2 offset:992
	s_wait_loadcnt_dscnt 0xb01
	v_mul_f64_e32 v[154:155], v[138:139], v[92:93]
	v_mul_f64_e32 v[156:157], v[140:141], v[92:93]
	ds_load_b128 v[92:95], v2 offset:976
	s_wait_loadcnt_dscnt 0xa00
	v_mul_f64_e32 v[152:153], v[92:93], v[128:129]
	v_mul_f64_e32 v[128:129], v[94:95], v[128:129]
	v_add_f64_e32 v[4:5], v[4:5], v[96:97]
	v_add_f64_e32 v[12:13], v[12:13], v[150:151]
	s_wait_loadcnt 0x9
	v_mul_f64_e32 v[150:151], v[146:147], v[100:101]
	v_fmac_f64_e32 v[154:155], v[140:141], v[90:91]
	v_fma_f64 v[90:91], v[138:139], v[90:91], -v[156:157]
	scratch_load_b128 v[138:141], off, off offset:544
	v_mul_f64_e32 v[100:101], v[148:149], v[100:101]
	v_fmac_f64_e32 v[152:153], v[94:95], v[126:127]
	v_fma_f64 v[156:157], v[92:93], v[126:127], -v[128:129]
	scratch_load_b128 v[94:97], off, off offset:560
	ds_load_b128 v[126:129], v2 offset:1024
	v_fmac_f64_e32 v[150:151], v[148:149], v[98:99]
	v_add_f64_e32 v[12:13], v[12:13], v[154:155]
	v_add_f64_e32 v[4:5], v[4:5], v[90:91]
	ds_load_b128 v[90:93], v2 offset:1008
	v_fma_f64 v[146:147], v[146:147], v[98:99], -v[100:101]
	scratch_load_b128 v[98:101], off, off offset:576
	s_wait_loadcnt_dscnt 0xb00
	v_mul_f64_e32 v[154:155], v[90:91], v[104:105]
	v_mul_f64_e32 v[104:105], v[92:93], v[104:105]
	v_add_f64_e32 v[12:13], v[12:13], v[152:153]
	v_add_f64_e32 v[4:5], v[4:5], v[156:157]
	s_wait_loadcnt 0xa
	v_mul_f64_e32 v[152:153], v[126:127], v[108:109]
	v_mul_f64_e32 v[108:109], v[128:129], v[108:109]
	v_fmac_f64_e32 v[154:155], v[92:93], v[102:103]
	v_fma_f64 v[156:157], v[90:91], v[102:103], -v[104:105]
	ds_load_b128 v[90:93], v2 offset:1040
	scratch_load_b128 v[102:105], off, off offset:592
	v_add_f64_e32 v[12:13], v[12:13], v[150:151]
	v_add_f64_e32 v[4:5], v[4:5], v[146:147]
	ds_load_b128 v[146:149], v2 offset:1056
	v_fmac_f64_e32 v[152:153], v[128:129], v[106:107]
	v_fma_f64 v[106:107], v[126:127], v[106:107], -v[108:109]
	s_wait_loadcnt_dscnt 0xa01
	v_mul_f64_e32 v[150:151], v[90:91], v[112:113]
	v_mul_f64_e32 v[112:113], v[92:93], v[112:113]
	s_wait_loadcnt_dscnt 0x900
	v_mul_f64_e32 v[126:127], v[146:147], v[116:117]
	v_mul_f64_e32 v[116:117], v[148:149], v[116:117]
	v_add_f64_e32 v[12:13], v[12:13], v[154:155]
	v_add_f64_e32 v[4:5], v[4:5], v[156:157]
	v_fmac_f64_e32 v[150:151], v[92:93], v[110:111]
	v_fma_f64 v[110:111], v[90:91], v[110:111], -v[112:113]
	v_fmac_f64_e32 v[126:127], v[148:149], v[114:115]
	v_fma_f64 v[114:115], v[146:147], v[114:115], -v[116:117]
	v_add_f64_e32 v[12:13], v[12:13], v[152:153]
	v_add_f64_e32 v[4:5], v[4:5], v[106:107]
	ds_load_b128 v[90:93], v2 offset:1072
	ds_load_b128 v[106:109], v2 offset:1088
	s_wait_loadcnt_dscnt 0x801
	v_mul_f64_e32 v[128:129], v[90:91], v[120:121]
	v_mul_f64_e32 v[112:113], v[92:93], v[120:121]
	s_wait_loadcnt_dscnt 0x700
	v_mul_f64_e32 v[116:117], v[106:107], v[124:125]
	v_mul_f64_e32 v[120:121], v[108:109], v[124:125]
	v_add_f64_e32 v[12:13], v[12:13], v[150:151]
	v_add_f64_e32 v[4:5], v[4:5], v[110:111]
	v_fmac_f64_e32 v[128:129], v[92:93], v[118:119]
	v_fma_f64 v[118:119], v[90:91], v[118:119], -v[112:113]
	ds_load_b128 v[90:93], v2 offset:1104
	ds_load_b128 v[110:113], v2 offset:1120
	v_fmac_f64_e32 v[116:117], v[108:109], v[122:123]
	v_fma_f64 v[106:107], v[106:107], v[122:123], -v[120:121]
	v_add_f64_e32 v[12:13], v[12:13], v[126:127]
	v_add_f64_e32 v[4:5], v[4:5], v[114:115]
	s_wait_loadcnt_dscnt 0x601
	v_mul_f64_e32 v[114:115], v[90:91], v[132:133]
	v_mul_f64_e32 v[124:125], v[92:93], v[132:133]
	s_wait_loadcnt_dscnt 0x500
	v_mul_f64_e32 v[108:109], v[110:111], v[10:11]
	v_add_f64_e32 v[12:13], v[12:13], v[128:129]
	v_add_f64_e32 v[4:5], v[4:5], v[118:119]
	v_mul_f64_e32 v[118:119], v[112:113], v[10:11]
	v_fmac_f64_e32 v[114:115], v[92:93], v[130:131]
	v_fma_f64 v[120:121], v[90:91], v[130:131], -v[124:125]
	v_fmac_f64_e32 v[108:109], v[112:113], v[8:9]
	v_add_f64_e32 v[4:5], v[4:5], v[106:107]
	v_add_f64_e32 v[106:107], v[12:13], v[116:117]
	ds_load_b128 v[10:13], v2 offset:1136
	ds_load_b128 v[90:93], v2 offset:1152
	v_fma_f64 v[8:9], v[110:111], v[8:9], -v[118:119]
	s_wait_loadcnt_dscnt 0x401
	v_mul_f64_e32 v[116:117], v[10:11], v[144:145]
	v_mul_f64_e32 v[122:123], v[12:13], v[144:145]
	v_add_f64_e32 v[4:5], v[4:5], v[120:121]
	v_add_f64_e32 v[106:107], v[106:107], v[114:115]
	s_wait_loadcnt_dscnt 0x300
	v_mul_f64_e32 v[110:111], v[90:91], v[140:141]
	v_mul_f64_e32 v[112:113], v[92:93], v[140:141]
	v_fmac_f64_e32 v[116:117], v[12:13], v[142:143]
	v_fma_f64 v[12:13], v[10:11], v[142:143], -v[122:123]
	v_add_f64_e32 v[4:5], v[4:5], v[8:9]
	v_add_f64_e32 v[114:115], v[106:107], v[108:109]
	ds_load_b128 v[8:11], v2 offset:1168
	ds_load_b128 v[106:109], v2 offset:1184
	v_fmac_f64_e32 v[110:111], v[92:93], v[138:139]
	v_fma_f64 v[90:91], v[90:91], v[138:139], -v[112:113]
	s_wait_loadcnt_dscnt 0x201
	v_mul_f64_e32 v[118:119], v[8:9], v[96:97]
	v_mul_f64_e32 v[96:97], v[10:11], v[96:97]
	s_wait_loadcnt_dscnt 0x100
	v_mul_f64_e32 v[92:93], v[106:107], v[100:101]
	v_mul_f64_e32 v[100:101], v[108:109], v[100:101]
	v_add_f64_e32 v[4:5], v[4:5], v[12:13]
	v_add_f64_e32 v[12:13], v[114:115], v[116:117]
	v_fmac_f64_e32 v[118:119], v[10:11], v[94:95]
	v_fma_f64 v[94:95], v[8:9], v[94:95], -v[96:97]
	ds_load_b128 v[8:11], v2 offset:1200
	v_fmac_f64_e32 v[92:93], v[108:109], v[98:99]
	v_fma_f64 v[98:99], v[106:107], v[98:99], -v[100:101]
	v_add_f64_e32 v[4:5], v[4:5], v[90:91]
	v_add_f64_e32 v[12:13], v[12:13], v[110:111]
	s_wait_loadcnt_dscnt 0x0
	v_mul_f64_e32 v[90:91], v[8:9], v[104:105]
	v_mul_f64_e32 v[96:97], v[10:11], v[104:105]
	s_delay_alu instid0(VALU_DEP_4) | instskip(NEXT) | instid1(VALU_DEP_4)
	v_add_f64_e32 v[4:5], v[4:5], v[94:95]
	v_add_f64_e32 v[12:13], v[12:13], v[118:119]
	s_delay_alu instid0(VALU_DEP_4) | instskip(NEXT) | instid1(VALU_DEP_4)
	v_fmac_f64_e32 v[90:91], v[10:11], v[102:103]
	v_fma_f64 v[8:9], v[8:9], v[102:103], -v[96:97]
	s_delay_alu instid0(VALU_DEP_4) | instskip(NEXT) | instid1(VALU_DEP_4)
	v_add_f64_e32 v[4:5], v[4:5], v[98:99]
	v_add_f64_e32 v[10:11], v[12:13], v[92:93]
	s_delay_alu instid0(VALU_DEP_2) | instskip(NEXT) | instid1(VALU_DEP_2)
	v_add_f64_e32 v[4:5], v[4:5], v[8:9]
	v_add_f64_e32 v[10:11], v[10:11], v[90:91]
	s_delay_alu instid0(VALU_DEP_2) | instskip(NEXT) | instid1(VALU_DEP_2)
	v_add_f64_e64 v[8:9], v[134:135], -v[4:5]
	v_add_f64_e64 v[10:11], v[136:137], -v[10:11]
	scratch_store_b128 off, v[8:11], off offset:128
	s_wait_xcnt 0x0
	v_cmpx_lt_u32_e32 7, v1
	s_cbranch_execz .LBB37_227
; %bb.226:
	scratch_load_b128 v[8:11], off, s46
	v_dual_mov_b32 v3, v2 :: v_dual_mov_b32 v4, v2
	v_mov_b32_e32 v5, v2
	scratch_store_b128 off, v[2:5], off offset:112
	s_wait_loadcnt 0x0
	ds_store_b128 v6, v[8:11]
.LBB37_227:
	s_wait_xcnt 0x0
	s_or_b32 exec_lo, exec_lo, s2
	s_wait_storecnt_dscnt 0x0
	s_barrier_signal -1
	s_barrier_wait -1
	s_clause 0x9
	scratch_load_b128 v[8:11], off, off offset:128
	scratch_load_b128 v[90:93], off, off offset:144
	;; [unrolled: 1-line block ×10, first 2 shown]
	ds_load_b128 v[126:129], v2 offset:736
	ds_load_b128 v[134:137], v2 offset:752
	s_clause 0x1
	scratch_load_b128 v[130:133], off, off offset:288
	scratch_load_b128 v[138:141], off, off offset:112
	s_mov_b32 s2, exec_lo
	s_wait_loadcnt_dscnt 0xb01
	v_mul_f64_e32 v[4:5], v[128:129], v[10:11]
	v_mul_f64_e32 v[150:151], v[126:127], v[10:11]
	scratch_load_b128 v[10:13], off, off offset:304
	s_wait_loadcnt_dscnt 0xb00
	v_mul_f64_e32 v[152:153], v[134:135], v[92:93]
	v_mul_f64_e32 v[92:93], v[136:137], v[92:93]
	v_fma_f64 v[4:5], v[126:127], v[8:9], -v[4:5]
	v_fmac_f64_e32 v[150:151], v[128:129], v[8:9]
	ds_load_b128 v[126:129], v2 offset:768
	ds_load_b128 v[142:145], v2 offset:784
	scratch_load_b128 v[146:149], off, off offset:320
	v_fmac_f64_e32 v[152:153], v[136:137], v[90:91]
	v_fma_f64 v[134:135], v[134:135], v[90:91], -v[92:93]
	scratch_load_b128 v[90:93], off, off offset:336
	s_wait_loadcnt_dscnt 0xc01
	v_mul_f64_e32 v[8:9], v[126:127], v[96:97]
	v_mul_f64_e32 v[96:97], v[128:129], v[96:97]
	v_add_f64_e32 v[4:5], 0, v[4:5]
	v_add_f64_e32 v[136:137], 0, v[150:151]
	s_wait_loadcnt_dscnt 0xb00
	v_mul_f64_e32 v[150:151], v[142:143], v[100:101]
	v_mul_f64_e32 v[100:101], v[144:145], v[100:101]
	v_fmac_f64_e32 v[8:9], v[128:129], v[94:95]
	v_fma_f64 v[154:155], v[126:127], v[94:95], -v[96:97]
	ds_load_b128 v[94:97], v2 offset:800
	ds_load_b128 v[126:129], v2 offset:816
	v_add_f64_e32 v[4:5], v[4:5], v[134:135]
	v_add_f64_e32 v[152:153], v[136:137], v[152:153]
	scratch_load_b128 v[134:137], off, off offset:352
	v_fmac_f64_e32 v[150:151], v[144:145], v[98:99]
	v_fma_f64 v[142:143], v[142:143], v[98:99], -v[100:101]
	scratch_load_b128 v[98:101], off, off offset:368
	s_wait_loadcnt_dscnt 0xc01
	v_mul_f64_e32 v[156:157], v[94:95], v[104:105]
	v_mul_f64_e32 v[104:105], v[96:97], v[104:105]
	v_add_f64_e32 v[4:5], v[4:5], v[154:155]
	v_add_f64_e32 v[8:9], v[152:153], v[8:9]
	s_wait_loadcnt_dscnt 0xb00
	v_mul_f64_e32 v[152:153], v[126:127], v[108:109]
	v_mul_f64_e32 v[108:109], v[128:129], v[108:109]
	v_fmac_f64_e32 v[156:157], v[96:97], v[102:103]
	v_fma_f64 v[154:155], v[94:95], v[102:103], -v[104:105]
	ds_load_b128 v[94:97], v2 offset:832
	ds_load_b128 v[102:105], v2 offset:848
	v_add_f64_e32 v[4:5], v[4:5], v[142:143]
	v_add_f64_e32 v[8:9], v[8:9], v[150:151]
	scratch_load_b128 v[142:145], off, off offset:384
	s_wait_loadcnt_dscnt 0xb01
	v_mul_f64_e32 v[150:151], v[94:95], v[112:113]
	v_mul_f64_e32 v[112:113], v[96:97], v[112:113]
	v_fmac_f64_e32 v[152:153], v[128:129], v[106:107]
	v_fma_f64 v[126:127], v[126:127], v[106:107], -v[108:109]
	scratch_load_b128 v[106:109], off, off offset:400
	v_add_f64_e32 v[4:5], v[4:5], v[154:155]
	v_add_f64_e32 v[8:9], v[8:9], v[156:157]
	s_wait_loadcnt_dscnt 0xb00
	v_mul_f64_e32 v[154:155], v[102:103], v[116:117]
	v_mul_f64_e32 v[116:117], v[104:105], v[116:117]
	v_fmac_f64_e32 v[150:151], v[96:97], v[110:111]
	v_fma_f64 v[156:157], v[94:95], v[110:111], -v[112:113]
	ds_load_b128 v[94:97], v2 offset:864
	ds_load_b128 v[110:113], v2 offset:880
	v_add_f64_e32 v[4:5], v[4:5], v[126:127]
	v_add_f64_e32 v[8:9], v[8:9], v[152:153]
	scratch_load_b128 v[126:129], off, off offset:416
	s_wait_loadcnt_dscnt 0xb01
	v_mul_f64_e32 v[152:153], v[94:95], v[120:121]
	v_mul_f64_e32 v[120:121], v[96:97], v[120:121]
	v_fmac_f64_e32 v[154:155], v[104:105], v[114:115]
	v_fma_f64 v[114:115], v[102:103], v[114:115], -v[116:117]
	scratch_load_b128 v[102:105], off, off offset:432
	v_add_f64_e32 v[4:5], v[4:5], v[156:157]
	v_add_f64_e32 v[8:9], v[8:9], v[150:151]
	s_wait_loadcnt_dscnt 0xb00
	v_mul_f64_e32 v[150:151], v[110:111], v[124:125]
	v_mul_f64_e32 v[124:125], v[112:113], v[124:125]
	v_fmac_f64_e32 v[152:153], v[96:97], v[118:119]
	v_fma_f64 v[156:157], v[94:95], v[118:119], -v[120:121]
	v_add_f64_e32 v[4:5], v[4:5], v[114:115]
	v_add_f64_e32 v[8:9], v[8:9], v[154:155]
	ds_load_b128 v[94:97], v2 offset:896
	ds_load_b128 v[114:117], v2 offset:912
	scratch_load_b128 v[118:121], off, off offset:448
	v_fmac_f64_e32 v[150:151], v[112:113], v[122:123]
	v_fma_f64 v[122:123], v[110:111], v[122:123], -v[124:125]
	scratch_load_b128 v[110:113], off, off offset:464
	s_wait_loadcnt_dscnt 0xc01
	v_mul_f64_e32 v[154:155], v[94:95], v[132:133]
	v_mul_f64_e32 v[132:133], v[96:97], v[132:133]
	v_add_f64_e32 v[4:5], v[4:5], v[156:157]
	v_add_f64_e32 v[8:9], v[8:9], v[152:153]
	s_wait_loadcnt_dscnt 0xa00
	v_mul_f64_e32 v[152:153], v[114:115], v[12:13]
	v_mul_f64_e32 v[12:13], v[116:117], v[12:13]
	v_fmac_f64_e32 v[154:155], v[96:97], v[130:131]
	v_fma_f64 v[156:157], v[94:95], v[130:131], -v[132:133]
	v_add_f64_e32 v[4:5], v[4:5], v[122:123]
	v_add_f64_e32 v[8:9], v[8:9], v[150:151]
	ds_load_b128 v[94:97], v2 offset:928
	ds_load_b128 v[122:125], v2 offset:944
	scratch_load_b128 v[130:133], off, off offset:480
	v_fmac_f64_e32 v[152:153], v[116:117], v[10:11]
	v_fma_f64 v[12:13], v[114:115], v[10:11], -v[12:13]
	s_wait_loadcnt_dscnt 0xa01
	v_mul_f64_e32 v[150:151], v[94:95], v[148:149]
	v_mul_f64_e32 v[148:149], v[96:97], v[148:149]
	v_add_f64_e32 v[4:5], v[4:5], v[156:157]
	v_add_f64_e32 v[114:115], v[8:9], v[154:155]
	scratch_load_b128 v[8:11], off, off offset:496
	s_wait_loadcnt_dscnt 0xa00
	v_mul_f64_e32 v[154:155], v[122:123], v[92:93]
	v_mul_f64_e32 v[156:157], v[124:125], v[92:93]
	v_fmac_f64_e32 v[150:151], v[96:97], v[146:147]
	v_fma_f64 v[96:97], v[94:95], v[146:147], -v[148:149]
	v_add_f64_e32 v[4:5], v[4:5], v[12:13]
	v_add_f64_e32 v[12:13], v[114:115], v[152:153]
	ds_load_b128 v[92:95], v2 offset:960
	ds_load_b128 v[114:117], v2 offset:976
	scratch_load_b128 v[146:149], off, off offset:512
	v_fmac_f64_e32 v[154:155], v[124:125], v[90:91]
	v_fma_f64 v[90:91], v[122:123], v[90:91], -v[156:157]
	scratch_load_b128 v[122:125], off, off offset:528
	s_wait_loadcnt_dscnt 0xb01
	v_mul_f64_e32 v[152:153], v[92:93], v[136:137]
	v_mul_f64_e32 v[136:137], v[94:95], v[136:137]
	v_add_f64_e32 v[4:5], v[4:5], v[96:97]
	v_add_f64_e32 v[12:13], v[12:13], v[150:151]
	s_wait_loadcnt_dscnt 0xa00
	v_mul_f64_e32 v[150:151], v[114:115], v[100:101]
	v_mul_f64_e32 v[100:101], v[116:117], v[100:101]
	v_fmac_f64_e32 v[152:153], v[94:95], v[134:135]
	v_fma_f64 v[156:157], v[92:93], v[134:135], -v[136:137]
	v_add_f64_e32 v[4:5], v[4:5], v[90:91]
	v_add_f64_e32 v[12:13], v[12:13], v[154:155]
	ds_load_b128 v[90:93], v2 offset:992
	ds_load_b128 v[94:97], v2 offset:1008
	scratch_load_b128 v[134:137], off, off offset:544
	v_fmac_f64_e32 v[150:151], v[116:117], v[98:99]
	v_fma_f64 v[114:115], v[114:115], v[98:99], -v[100:101]
	scratch_load_b128 v[98:101], off, off offset:560
	s_wait_loadcnt_dscnt 0xb01
	v_mul_f64_e32 v[154:155], v[90:91], v[144:145]
	v_mul_f64_e32 v[144:145], v[92:93], v[144:145]
	v_add_f64_e32 v[4:5], v[4:5], v[156:157]
	v_add_f64_e32 v[12:13], v[12:13], v[152:153]
	s_wait_loadcnt_dscnt 0xa00
	v_mul_f64_e32 v[152:153], v[94:95], v[108:109]
	v_mul_f64_e32 v[108:109], v[96:97], v[108:109]
	v_fmac_f64_e32 v[154:155], v[92:93], v[142:143]
	v_fma_f64 v[156:157], v[90:91], v[142:143], -v[144:145]
	v_add_f64_e32 v[4:5], v[4:5], v[114:115]
	v_add_f64_e32 v[12:13], v[12:13], v[150:151]
	ds_load_b128 v[90:93], v2 offset:1024
	ds_load_b128 v[114:117], v2 offset:1040
	scratch_load_b128 v[142:145], off, off offset:576
	v_fmac_f64_e32 v[152:153], v[96:97], v[106:107]
	v_fma_f64 v[106:107], v[94:95], v[106:107], -v[108:109]
	scratch_load_b128 v[94:97], off, off offset:592
	s_wait_loadcnt_dscnt 0xb01
	v_mul_f64_e32 v[150:151], v[90:91], v[128:129]
	v_mul_f64_e32 v[128:129], v[92:93], v[128:129]
	s_wait_loadcnt_dscnt 0xa00
	v_mul_f64_e32 v[108:109], v[114:115], v[104:105]
	v_add_f64_e32 v[4:5], v[4:5], v[156:157]
	v_add_f64_e32 v[12:13], v[12:13], v[154:155]
	v_mul_f64_e32 v[154:155], v[116:117], v[104:105]
	v_fmac_f64_e32 v[150:151], v[92:93], v[126:127]
	v_fma_f64 v[126:127], v[90:91], v[126:127], -v[128:129]
	v_fmac_f64_e32 v[108:109], v[116:117], v[102:103]
	v_add_f64_e32 v[4:5], v[4:5], v[106:107]
	v_add_f64_e32 v[12:13], v[12:13], v[152:153]
	ds_load_b128 v[90:93], v2 offset:1056
	ds_load_b128 v[104:107], v2 offset:1072
	v_fma_f64 v[102:103], v[114:115], v[102:103], -v[154:155]
	s_wait_loadcnt_dscnt 0x901
	v_mul_f64_e32 v[128:129], v[90:91], v[120:121]
	v_mul_f64_e32 v[120:121], v[92:93], v[120:121]
	s_wait_loadcnt_dscnt 0x800
	v_mul_f64_e32 v[116:117], v[104:105], v[112:113]
	v_add_f64_e32 v[4:5], v[4:5], v[126:127]
	v_add_f64_e32 v[12:13], v[12:13], v[150:151]
	v_mul_f64_e32 v[126:127], v[106:107], v[112:113]
	v_fmac_f64_e32 v[128:129], v[92:93], v[118:119]
	v_fma_f64 v[118:119], v[90:91], v[118:119], -v[120:121]
	ds_load_b128 v[90:93], v2 offset:1088
	ds_load_b128 v[112:115], v2 offset:1104
	v_fmac_f64_e32 v[116:117], v[106:107], v[110:111]
	v_add_f64_e32 v[4:5], v[4:5], v[102:103]
	v_add_f64_e32 v[12:13], v[12:13], v[108:109]
	v_fma_f64 v[104:105], v[104:105], v[110:111], -v[126:127]
	s_wait_loadcnt_dscnt 0x701
	v_mul_f64_e32 v[102:103], v[90:91], v[132:133]
	v_mul_f64_e32 v[108:109], v[92:93], v[132:133]
	v_add_f64_e32 v[4:5], v[4:5], v[118:119]
	v_add_f64_e32 v[12:13], v[12:13], v[128:129]
	s_wait_loadcnt_dscnt 0x600
	v_mul_f64_e32 v[106:107], v[112:113], v[10:11]
	v_mul_f64_e32 v[110:111], v[114:115], v[10:11]
	v_fmac_f64_e32 v[102:103], v[92:93], v[130:131]
	v_fma_f64 v[108:109], v[90:91], v[130:131], -v[108:109]
	v_add_f64_e32 v[4:5], v[4:5], v[104:105]
	v_add_f64_e32 v[104:105], v[12:13], v[116:117]
	ds_load_b128 v[10:13], v2 offset:1120
	ds_load_b128 v[90:93], v2 offset:1136
	v_fmac_f64_e32 v[106:107], v[114:115], v[8:9]
	v_fma_f64 v[8:9], v[112:113], v[8:9], -v[110:111]
	s_wait_loadcnt_dscnt 0x501
	v_mul_f64_e32 v[116:117], v[10:11], v[148:149]
	v_mul_f64_e32 v[118:119], v[12:13], v[148:149]
	s_wait_loadcnt_dscnt 0x400
	v_mul_f64_e32 v[110:111], v[92:93], v[124:125]
	v_add_f64_e32 v[4:5], v[4:5], v[108:109]
	v_add_f64_e32 v[102:103], v[104:105], v[102:103]
	v_mul_f64_e32 v[108:109], v[90:91], v[124:125]
	v_fmac_f64_e32 v[116:117], v[12:13], v[146:147]
	v_fma_f64 v[12:13], v[10:11], v[146:147], -v[118:119]
	v_fma_f64 v[90:91], v[90:91], v[122:123], -v[110:111]
	v_add_f64_e32 v[4:5], v[4:5], v[8:9]
	v_add_f64_e32 v[106:107], v[102:103], v[106:107]
	ds_load_b128 v[8:11], v2 offset:1152
	ds_load_b128 v[102:105], v2 offset:1168
	v_fmac_f64_e32 v[108:109], v[92:93], v[122:123]
	s_wait_loadcnt_dscnt 0x301
	v_mul_f64_e32 v[112:113], v[8:9], v[136:137]
	v_mul_f64_e32 v[114:115], v[10:11], v[136:137]
	s_wait_loadcnt_dscnt 0x200
	v_mul_f64_e32 v[92:93], v[102:103], v[100:101]
	v_mul_f64_e32 v[100:101], v[104:105], v[100:101]
	v_add_f64_e32 v[4:5], v[4:5], v[12:13]
	v_add_f64_e32 v[12:13], v[106:107], v[116:117]
	v_fmac_f64_e32 v[112:113], v[10:11], v[134:135]
	v_fma_f64 v[106:107], v[8:9], v[134:135], -v[114:115]
	v_fmac_f64_e32 v[92:93], v[104:105], v[98:99]
	v_fma_f64 v[98:99], v[102:103], v[98:99], -v[100:101]
	v_add_f64_e32 v[90:91], v[4:5], v[90:91]
	v_add_f64_e32 v[12:13], v[12:13], v[108:109]
	ds_load_b128 v[8:11], v2 offset:1184
	ds_load_b128 v[2:5], v2 offset:1200
	s_wait_loadcnt_dscnt 0x101
	v_mul_f64_e32 v[108:109], v[8:9], v[144:145]
	v_mul_f64_e32 v[110:111], v[10:11], v[144:145]
	s_wait_loadcnt_dscnt 0x0
	v_mul_f64_e32 v[100:101], v[2:3], v[96:97]
	v_mul_f64_e32 v[96:97], v[4:5], v[96:97]
	v_add_f64_e32 v[90:91], v[90:91], v[106:107]
	v_add_f64_e32 v[12:13], v[12:13], v[112:113]
	v_fmac_f64_e32 v[108:109], v[10:11], v[142:143]
	v_fma_f64 v[8:9], v[8:9], v[142:143], -v[110:111]
	v_fmac_f64_e32 v[100:101], v[4:5], v[94:95]
	v_fma_f64 v[2:3], v[2:3], v[94:95], -v[96:97]
	v_add_f64_e32 v[10:11], v[90:91], v[98:99]
	v_add_f64_e32 v[12:13], v[12:13], v[92:93]
	s_delay_alu instid0(VALU_DEP_2) | instskip(NEXT) | instid1(VALU_DEP_2)
	v_add_f64_e32 v[4:5], v[10:11], v[8:9]
	v_add_f64_e32 v[8:9], v[12:13], v[108:109]
	s_delay_alu instid0(VALU_DEP_2) | instskip(NEXT) | instid1(VALU_DEP_2)
	;; [unrolled: 3-line block ×3, first 2 shown]
	v_add_f64_e64 v[2:3], v[138:139], -v[2:3]
	v_add_f64_e64 v[4:5], v[140:141], -v[4:5]
	scratch_store_b128 off, v[2:5], off offset:112
	s_wait_xcnt 0x0
	v_cmpx_lt_u32_e32 6, v1
	s_cbranch_execz .LBB37_229
; %bb.228:
	scratch_load_b128 v[2:5], off, s43
	v_mov_b32_e32 v8, 0
	s_delay_alu instid0(VALU_DEP_1)
	v_dual_mov_b32 v9, v8 :: v_dual_mov_b32 v10, v8
	v_mov_b32_e32 v11, v8
	scratch_store_b128 off, v[8:11], off offset:96
	s_wait_loadcnt 0x0
	ds_store_b128 v6, v[2:5]
.LBB37_229:
	s_wait_xcnt 0x0
	s_or_b32 exec_lo, exec_lo, s2
	s_wait_storecnt_dscnt 0x0
	s_barrier_signal -1
	s_barrier_wait -1
	s_clause 0x9
	scratch_load_b128 v[8:11], off, off offset:112
	scratch_load_b128 v[90:93], off, off offset:128
	scratch_load_b128 v[94:97], off, off offset:144
	scratch_load_b128 v[98:101], off, off offset:160
	scratch_load_b128 v[102:105], off, off offset:176
	scratch_load_b128 v[106:109], off, off offset:192
	scratch_load_b128 v[110:113], off, off offset:208
	scratch_load_b128 v[114:117], off, off offset:224
	scratch_load_b128 v[118:121], off, off offset:240
	scratch_load_b128 v[122:125], off, off offset:256
	v_mov_b32_e32 v2, 0
	s_mov_b32 s2, exec_lo
	ds_load_b128 v[126:129], v2 offset:720
	s_clause 0x2
	scratch_load_b128 v[130:133], off, off offset:272
	scratch_load_b128 v[134:137], off, off offset:96
	;; [unrolled: 1-line block ×3, first 2 shown]
	s_wait_loadcnt_dscnt 0xc00
	v_mul_f64_e32 v[4:5], v[128:129], v[10:11]
	v_mul_f64_e32 v[150:151], v[126:127], v[10:11]
	ds_load_b128 v[138:141], v2 offset:736
	scratch_load_b128 v[10:13], off, off offset:288
	ds_load_b128 v[146:149], v2 offset:768
	v_fma_f64 v[4:5], v[126:127], v[8:9], -v[4:5]
	v_fmac_f64_e32 v[150:151], v[128:129], v[8:9]
	ds_load_b128 v[126:129], v2 offset:752
	s_wait_loadcnt_dscnt 0xc02
	v_mul_f64_e32 v[152:153], v[138:139], v[92:93]
	v_mul_f64_e32 v[92:93], v[140:141], v[92:93]
	s_wait_loadcnt_dscnt 0xb00
	v_mul_f64_e32 v[8:9], v[126:127], v[96:97]
	v_mul_f64_e32 v[96:97], v[128:129], v[96:97]
	v_add_f64_e32 v[4:5], 0, v[4:5]
	v_fmac_f64_e32 v[152:153], v[140:141], v[90:91]
	v_fma_f64 v[138:139], v[138:139], v[90:91], -v[92:93]
	v_add_f64_e32 v[140:141], 0, v[150:151]
	scratch_load_b128 v[90:93], off, off offset:320
	v_fmac_f64_e32 v[8:9], v[128:129], v[94:95]
	v_fma_f64 v[154:155], v[126:127], v[94:95], -v[96:97]
	ds_load_b128 v[94:97], v2 offset:784
	s_wait_loadcnt 0xb
	v_mul_f64_e32 v[150:151], v[146:147], v[100:101]
	v_mul_f64_e32 v[100:101], v[148:149], v[100:101]
	scratch_load_b128 v[126:129], off, off offset:336
	v_add_f64_e32 v[4:5], v[4:5], v[138:139]
	v_add_f64_e32 v[152:153], v[140:141], v[152:153]
	ds_load_b128 v[138:141], v2 offset:800
	s_wait_loadcnt_dscnt 0xb01
	v_mul_f64_e32 v[156:157], v[94:95], v[104:105]
	v_mul_f64_e32 v[104:105], v[96:97], v[104:105]
	v_fmac_f64_e32 v[150:151], v[148:149], v[98:99]
	v_fma_f64 v[146:147], v[146:147], v[98:99], -v[100:101]
	scratch_load_b128 v[98:101], off, off offset:352
	v_add_f64_e32 v[4:5], v[4:5], v[154:155]
	v_add_f64_e32 v[8:9], v[152:153], v[8:9]
	v_fmac_f64_e32 v[156:157], v[96:97], v[102:103]
	v_fma_f64 v[154:155], v[94:95], v[102:103], -v[104:105]
	ds_load_b128 v[94:97], v2 offset:816
	s_wait_loadcnt_dscnt 0xb01
	v_mul_f64_e32 v[152:153], v[138:139], v[108:109]
	v_mul_f64_e32 v[108:109], v[140:141], v[108:109]
	scratch_load_b128 v[102:105], off, off offset:368
	v_add_f64_e32 v[4:5], v[4:5], v[146:147]
	v_add_f64_e32 v[8:9], v[8:9], v[150:151]
	s_wait_loadcnt_dscnt 0xb00
	v_mul_f64_e32 v[150:151], v[94:95], v[112:113]
	v_mul_f64_e32 v[112:113], v[96:97], v[112:113]
	ds_load_b128 v[146:149], v2 offset:832
	v_fmac_f64_e32 v[152:153], v[140:141], v[106:107]
	v_fma_f64 v[138:139], v[138:139], v[106:107], -v[108:109]
	scratch_load_b128 v[106:109], off, off offset:384
	v_add_f64_e32 v[4:5], v[4:5], v[154:155]
	v_add_f64_e32 v[8:9], v[8:9], v[156:157]
	v_fmac_f64_e32 v[150:151], v[96:97], v[110:111]
	v_fma_f64 v[156:157], v[94:95], v[110:111], -v[112:113]
	ds_load_b128 v[94:97], v2 offset:848
	s_wait_loadcnt_dscnt 0xb01
	v_mul_f64_e32 v[154:155], v[146:147], v[116:117]
	v_mul_f64_e32 v[116:117], v[148:149], v[116:117]
	scratch_load_b128 v[110:113], off, off offset:400
	v_add_f64_e32 v[4:5], v[4:5], v[138:139]
	v_add_f64_e32 v[8:9], v[8:9], v[152:153]
	s_wait_loadcnt_dscnt 0xb00
	v_mul_f64_e32 v[152:153], v[94:95], v[120:121]
	v_mul_f64_e32 v[120:121], v[96:97], v[120:121]
	ds_load_b128 v[138:141], v2 offset:864
	;; [unrolled: 18-line block ×3, first 2 shown]
	v_fmac_f64_e32 v[150:151], v[140:141], v[122:123]
	v_fma_f64 v[138:139], v[138:139], v[122:123], -v[124:125]
	scratch_load_b128 v[122:125], off, off offset:448
	v_add_f64_e32 v[4:5], v[4:5], v[156:157]
	v_add_f64_e32 v[8:9], v[8:9], v[152:153]
	v_fmac_f64_e32 v[154:155], v[96:97], v[130:131]
	v_fma_f64 v[156:157], v[94:95], v[130:131], -v[132:133]
	ds_load_b128 v[94:97], v2 offset:912
	s_wait_loadcnt_dscnt 0x901
	v_mul_f64_e32 v[152:153], v[146:147], v[12:13]
	v_mul_f64_e32 v[12:13], v[148:149], v[12:13]
	scratch_load_b128 v[130:133], off, off offset:464
	v_add_f64_e32 v[4:5], v[4:5], v[138:139]
	v_add_f64_e32 v[8:9], v[8:9], v[150:151]
	s_wait_dscnt 0x0
	v_mul_f64_e32 v[150:151], v[94:95], v[144:145]
	v_mul_f64_e32 v[144:145], v[96:97], v[144:145]
	ds_load_b128 v[138:141], v2 offset:928
	v_fmac_f64_e32 v[152:153], v[148:149], v[10:11]
	v_fma_f64 v[12:13], v[146:147], v[10:11], -v[12:13]
	v_add_f64_e32 v[4:5], v[4:5], v[156:157]
	v_add_f64_e32 v[146:147], v[8:9], v[154:155]
	scratch_load_b128 v[8:11], off, off offset:480
	v_fmac_f64_e32 v[150:151], v[96:97], v[142:143]
	v_fma_f64 v[96:97], v[94:95], v[142:143], -v[144:145]
	scratch_load_b128 v[142:145], off, off offset:496
	v_add_f64_e32 v[4:5], v[4:5], v[12:13]
	v_add_f64_e32 v[12:13], v[146:147], v[152:153]
	ds_load_b128 v[146:149], v2 offset:960
	s_wait_loadcnt_dscnt 0xb01
	v_mul_f64_e32 v[154:155], v[138:139], v[92:93]
	v_mul_f64_e32 v[156:157], v[140:141], v[92:93]
	ds_load_b128 v[92:95], v2 offset:944
	s_wait_loadcnt_dscnt 0xa00
	v_mul_f64_e32 v[152:153], v[92:93], v[128:129]
	v_mul_f64_e32 v[128:129], v[94:95], v[128:129]
	v_add_f64_e32 v[4:5], v[4:5], v[96:97]
	v_add_f64_e32 v[12:13], v[12:13], v[150:151]
	s_wait_loadcnt 0x9
	v_mul_f64_e32 v[150:151], v[146:147], v[100:101]
	v_fmac_f64_e32 v[154:155], v[140:141], v[90:91]
	v_fma_f64 v[90:91], v[138:139], v[90:91], -v[156:157]
	scratch_load_b128 v[138:141], off, off offset:512
	v_mul_f64_e32 v[100:101], v[148:149], v[100:101]
	v_fmac_f64_e32 v[152:153], v[94:95], v[126:127]
	v_fma_f64 v[156:157], v[92:93], v[126:127], -v[128:129]
	scratch_load_b128 v[94:97], off, off offset:528
	ds_load_b128 v[126:129], v2 offset:992
	v_fmac_f64_e32 v[150:151], v[148:149], v[98:99]
	v_add_f64_e32 v[12:13], v[12:13], v[154:155]
	v_add_f64_e32 v[4:5], v[4:5], v[90:91]
	ds_load_b128 v[90:93], v2 offset:976
	v_fma_f64 v[146:147], v[146:147], v[98:99], -v[100:101]
	scratch_load_b128 v[98:101], off, off offset:544
	s_wait_loadcnt_dscnt 0xb00
	v_mul_f64_e32 v[154:155], v[90:91], v[104:105]
	v_mul_f64_e32 v[104:105], v[92:93], v[104:105]
	v_add_f64_e32 v[12:13], v[12:13], v[152:153]
	v_add_f64_e32 v[4:5], v[4:5], v[156:157]
	s_wait_loadcnt 0xa
	v_mul_f64_e32 v[152:153], v[126:127], v[108:109]
	v_mul_f64_e32 v[108:109], v[128:129], v[108:109]
	v_fmac_f64_e32 v[154:155], v[92:93], v[102:103]
	v_fma_f64 v[156:157], v[90:91], v[102:103], -v[104:105]
	ds_load_b128 v[90:93], v2 offset:1008
	scratch_load_b128 v[102:105], off, off offset:560
	v_add_f64_e32 v[12:13], v[12:13], v[150:151]
	v_add_f64_e32 v[4:5], v[4:5], v[146:147]
	ds_load_b128 v[146:149], v2 offset:1024
	v_fmac_f64_e32 v[152:153], v[128:129], v[106:107]
	v_fma_f64 v[126:127], v[126:127], v[106:107], -v[108:109]
	scratch_load_b128 v[106:109], off, off offset:576
	s_wait_loadcnt_dscnt 0xb01
	v_mul_f64_e32 v[150:151], v[90:91], v[112:113]
	v_mul_f64_e32 v[112:113], v[92:93], v[112:113]
	v_add_f64_e32 v[12:13], v[12:13], v[154:155]
	v_add_f64_e32 v[4:5], v[4:5], v[156:157]
	s_wait_loadcnt_dscnt 0xa00
	v_mul_f64_e32 v[154:155], v[146:147], v[116:117]
	v_mul_f64_e32 v[116:117], v[148:149], v[116:117]
	v_fmac_f64_e32 v[150:151], v[92:93], v[110:111]
	v_fma_f64 v[156:157], v[90:91], v[110:111], -v[112:113]
	ds_load_b128 v[90:93], v2 offset:1040
	scratch_load_b128 v[110:113], off, off offset:592
	v_add_f64_e32 v[12:13], v[12:13], v[152:153]
	v_add_f64_e32 v[4:5], v[4:5], v[126:127]
	ds_load_b128 v[126:129], v2 offset:1056
	s_wait_loadcnt_dscnt 0xa01
	v_mul_f64_e32 v[152:153], v[90:91], v[120:121]
	v_mul_f64_e32 v[120:121], v[92:93], v[120:121]
	v_fmac_f64_e32 v[154:155], v[148:149], v[114:115]
	v_fma_f64 v[114:115], v[146:147], v[114:115], -v[116:117]
	s_wait_loadcnt_dscnt 0x900
	v_mul_f64_e32 v[146:147], v[126:127], v[124:125]
	v_mul_f64_e32 v[124:125], v[128:129], v[124:125]
	v_add_f64_e32 v[12:13], v[12:13], v[150:151]
	v_add_f64_e32 v[4:5], v[4:5], v[156:157]
	v_fmac_f64_e32 v[152:153], v[92:93], v[118:119]
	v_fma_f64 v[118:119], v[90:91], v[118:119], -v[120:121]
	v_fmac_f64_e32 v[146:147], v[128:129], v[122:123]
	v_fma_f64 v[122:123], v[126:127], v[122:123], -v[124:125]
	v_add_f64_e32 v[12:13], v[12:13], v[154:155]
	v_add_f64_e32 v[4:5], v[4:5], v[114:115]
	ds_load_b128 v[90:93], v2 offset:1072
	ds_load_b128 v[114:117], v2 offset:1088
	s_wait_loadcnt_dscnt 0x801
	v_mul_f64_e32 v[120:121], v[90:91], v[132:133]
	v_mul_f64_e32 v[132:133], v[92:93], v[132:133]
	s_wait_loadcnt_dscnt 0x700
	v_mul_f64_e32 v[124:125], v[116:117], v[10:11]
	v_add_f64_e32 v[12:13], v[12:13], v[152:153]
	v_add_f64_e32 v[4:5], v[4:5], v[118:119]
	v_mul_f64_e32 v[118:119], v[114:115], v[10:11]
	v_fmac_f64_e32 v[120:121], v[92:93], v[130:131]
	v_fma_f64 v[126:127], v[90:91], v[130:131], -v[132:133]
	s_delay_alu instid0(VALU_DEP_4)
	v_add_f64_e32 v[4:5], v[4:5], v[122:123]
	v_add_f64_e32 v[122:123], v[12:13], v[146:147]
	ds_load_b128 v[10:13], v2 offset:1104
	ds_load_b128 v[90:93], v2 offset:1120
	v_fmac_f64_e32 v[118:119], v[116:117], v[8:9]
	v_fma_f64 v[8:9], v[114:115], v[8:9], -v[124:125]
	s_wait_loadcnt_dscnt 0x601
	v_mul_f64_e32 v[128:129], v[10:11], v[144:145]
	v_mul_f64_e32 v[130:131], v[12:13], v[144:145]
	v_add_f64_e32 v[4:5], v[4:5], v[126:127]
	v_add_f64_e32 v[114:115], v[122:123], v[120:121]
	s_wait_loadcnt_dscnt 0x500
	v_mul_f64_e32 v[120:121], v[90:91], v[140:141]
	v_mul_f64_e32 v[122:123], v[92:93], v[140:141]
	v_fmac_f64_e32 v[128:129], v[12:13], v[142:143]
	v_fma_f64 v[12:13], v[10:11], v[142:143], -v[130:131]
	v_add_f64_e32 v[4:5], v[4:5], v[8:9]
	v_add_f64_e32 v[118:119], v[114:115], v[118:119]
	ds_load_b128 v[8:11], v2 offset:1136
	ds_load_b128 v[114:117], v2 offset:1152
	v_fmac_f64_e32 v[120:121], v[92:93], v[138:139]
	v_fma_f64 v[90:91], v[90:91], v[138:139], -v[122:123]
	s_wait_loadcnt_dscnt 0x401
	v_mul_f64_e32 v[124:125], v[8:9], v[96:97]
	v_mul_f64_e32 v[96:97], v[10:11], v[96:97]
	v_add_f64_e32 v[4:5], v[4:5], v[12:13]
	v_add_f64_e32 v[12:13], v[118:119], v[128:129]
	s_wait_loadcnt_dscnt 0x300
	v_mul_f64_e32 v[118:119], v[114:115], v[100:101]
	v_mul_f64_e32 v[100:101], v[116:117], v[100:101]
	v_fmac_f64_e32 v[124:125], v[10:11], v[94:95]
	v_fma_f64 v[94:95], v[8:9], v[94:95], -v[96:97]
	v_add_f64_e32 v[4:5], v[4:5], v[90:91]
	v_add_f64_e32 v[12:13], v[12:13], v[120:121]
	ds_load_b128 v[8:11], v2 offset:1168
	ds_load_b128 v[90:93], v2 offset:1184
	v_fmac_f64_e32 v[118:119], v[116:117], v[98:99]
	v_fma_f64 v[98:99], v[114:115], v[98:99], -v[100:101]
	s_wait_loadcnt_dscnt 0x201
	v_mul_f64_e32 v[96:97], v[8:9], v[104:105]
	v_mul_f64_e32 v[104:105], v[10:11], v[104:105]
	s_wait_loadcnt_dscnt 0x100
	v_mul_f64_e32 v[100:101], v[92:93], v[108:109]
	v_add_f64_e32 v[4:5], v[4:5], v[94:95]
	v_add_f64_e32 v[12:13], v[12:13], v[124:125]
	v_mul_f64_e32 v[94:95], v[90:91], v[108:109]
	v_fmac_f64_e32 v[96:97], v[10:11], v[102:103]
	v_fma_f64 v[102:103], v[8:9], v[102:103], -v[104:105]
	ds_load_b128 v[8:11], v2 offset:1200
	v_fma_f64 v[90:91], v[90:91], v[106:107], -v[100:101]
	v_add_f64_e32 v[4:5], v[4:5], v[98:99]
	v_add_f64_e32 v[12:13], v[12:13], v[118:119]
	v_fmac_f64_e32 v[94:95], v[92:93], v[106:107]
	s_wait_loadcnt_dscnt 0x0
	v_mul_f64_e32 v[98:99], v[8:9], v[112:113]
	v_mul_f64_e32 v[104:105], v[10:11], v[112:113]
	v_add_f64_e32 v[4:5], v[4:5], v[102:103]
	v_add_f64_e32 v[12:13], v[12:13], v[96:97]
	s_delay_alu instid0(VALU_DEP_4) | instskip(NEXT) | instid1(VALU_DEP_4)
	v_fmac_f64_e32 v[98:99], v[10:11], v[110:111]
	v_fma_f64 v[8:9], v[8:9], v[110:111], -v[104:105]
	s_delay_alu instid0(VALU_DEP_4) | instskip(NEXT) | instid1(VALU_DEP_4)
	v_add_f64_e32 v[4:5], v[4:5], v[90:91]
	v_add_f64_e32 v[10:11], v[12:13], v[94:95]
	s_delay_alu instid0(VALU_DEP_2) | instskip(NEXT) | instid1(VALU_DEP_2)
	v_add_f64_e32 v[4:5], v[4:5], v[8:9]
	v_add_f64_e32 v[10:11], v[10:11], v[98:99]
	s_delay_alu instid0(VALU_DEP_2) | instskip(NEXT) | instid1(VALU_DEP_2)
	v_add_f64_e64 v[8:9], v[134:135], -v[4:5]
	v_add_f64_e64 v[10:11], v[136:137], -v[10:11]
	scratch_store_b128 off, v[8:11], off offset:96
	s_wait_xcnt 0x0
	v_cmpx_lt_u32_e32 5, v1
	s_cbranch_execz .LBB37_231
; %bb.230:
	scratch_load_b128 v[8:11], off, s41
	v_dual_mov_b32 v3, v2 :: v_dual_mov_b32 v4, v2
	v_mov_b32_e32 v5, v2
	scratch_store_b128 off, v[2:5], off offset:80
	s_wait_loadcnt 0x0
	ds_store_b128 v6, v[8:11]
.LBB37_231:
	s_wait_xcnt 0x0
	s_or_b32 exec_lo, exec_lo, s2
	s_wait_storecnt_dscnt 0x0
	s_barrier_signal -1
	s_barrier_wait -1
	s_clause 0x9
	scratch_load_b128 v[8:11], off, off offset:96
	scratch_load_b128 v[90:93], off, off offset:112
	;; [unrolled: 1-line block ×10, first 2 shown]
	ds_load_b128 v[126:129], v2 offset:704
	ds_load_b128 v[134:137], v2 offset:720
	s_clause 0x1
	scratch_load_b128 v[130:133], off, off offset:256
	scratch_load_b128 v[138:141], off, off offset:80
	s_mov_b32 s2, exec_lo
	s_wait_loadcnt_dscnt 0xb01
	v_mul_f64_e32 v[4:5], v[128:129], v[10:11]
	v_mul_f64_e32 v[150:151], v[126:127], v[10:11]
	scratch_load_b128 v[10:13], off, off offset:272
	s_wait_loadcnt_dscnt 0xb00
	v_mul_f64_e32 v[152:153], v[134:135], v[92:93]
	v_mul_f64_e32 v[92:93], v[136:137], v[92:93]
	v_fma_f64 v[4:5], v[126:127], v[8:9], -v[4:5]
	v_fmac_f64_e32 v[150:151], v[128:129], v[8:9]
	ds_load_b128 v[126:129], v2 offset:736
	ds_load_b128 v[142:145], v2 offset:752
	scratch_load_b128 v[146:149], off, off offset:288
	v_fmac_f64_e32 v[152:153], v[136:137], v[90:91]
	v_fma_f64 v[134:135], v[134:135], v[90:91], -v[92:93]
	scratch_load_b128 v[90:93], off, off offset:304
	s_wait_loadcnt_dscnt 0xc01
	v_mul_f64_e32 v[8:9], v[126:127], v[96:97]
	v_mul_f64_e32 v[96:97], v[128:129], v[96:97]
	v_add_f64_e32 v[4:5], 0, v[4:5]
	v_add_f64_e32 v[136:137], 0, v[150:151]
	s_wait_loadcnt_dscnt 0xb00
	v_mul_f64_e32 v[150:151], v[142:143], v[100:101]
	v_mul_f64_e32 v[100:101], v[144:145], v[100:101]
	v_fmac_f64_e32 v[8:9], v[128:129], v[94:95]
	v_fma_f64 v[154:155], v[126:127], v[94:95], -v[96:97]
	ds_load_b128 v[94:97], v2 offset:768
	ds_load_b128 v[126:129], v2 offset:784
	v_add_f64_e32 v[4:5], v[4:5], v[134:135]
	v_add_f64_e32 v[152:153], v[136:137], v[152:153]
	scratch_load_b128 v[134:137], off, off offset:320
	v_fmac_f64_e32 v[150:151], v[144:145], v[98:99]
	v_fma_f64 v[142:143], v[142:143], v[98:99], -v[100:101]
	scratch_load_b128 v[98:101], off, off offset:336
	s_wait_loadcnt_dscnt 0xc01
	v_mul_f64_e32 v[156:157], v[94:95], v[104:105]
	v_mul_f64_e32 v[104:105], v[96:97], v[104:105]
	v_add_f64_e32 v[4:5], v[4:5], v[154:155]
	v_add_f64_e32 v[8:9], v[152:153], v[8:9]
	s_wait_loadcnt_dscnt 0xb00
	v_mul_f64_e32 v[152:153], v[126:127], v[108:109]
	v_mul_f64_e32 v[108:109], v[128:129], v[108:109]
	v_fmac_f64_e32 v[156:157], v[96:97], v[102:103]
	v_fma_f64 v[154:155], v[94:95], v[102:103], -v[104:105]
	ds_load_b128 v[94:97], v2 offset:800
	ds_load_b128 v[102:105], v2 offset:816
	v_add_f64_e32 v[4:5], v[4:5], v[142:143]
	v_add_f64_e32 v[8:9], v[8:9], v[150:151]
	scratch_load_b128 v[142:145], off, off offset:352
	s_wait_loadcnt_dscnt 0xb01
	v_mul_f64_e32 v[150:151], v[94:95], v[112:113]
	v_mul_f64_e32 v[112:113], v[96:97], v[112:113]
	v_fmac_f64_e32 v[152:153], v[128:129], v[106:107]
	v_fma_f64 v[126:127], v[126:127], v[106:107], -v[108:109]
	scratch_load_b128 v[106:109], off, off offset:368
	v_add_f64_e32 v[4:5], v[4:5], v[154:155]
	v_add_f64_e32 v[8:9], v[8:9], v[156:157]
	s_wait_loadcnt_dscnt 0xb00
	v_mul_f64_e32 v[154:155], v[102:103], v[116:117]
	v_mul_f64_e32 v[116:117], v[104:105], v[116:117]
	v_fmac_f64_e32 v[150:151], v[96:97], v[110:111]
	v_fma_f64 v[156:157], v[94:95], v[110:111], -v[112:113]
	ds_load_b128 v[94:97], v2 offset:832
	ds_load_b128 v[110:113], v2 offset:848
	v_add_f64_e32 v[4:5], v[4:5], v[126:127]
	v_add_f64_e32 v[8:9], v[8:9], v[152:153]
	scratch_load_b128 v[126:129], off, off offset:384
	s_wait_loadcnt_dscnt 0xb01
	v_mul_f64_e32 v[152:153], v[94:95], v[120:121]
	v_mul_f64_e32 v[120:121], v[96:97], v[120:121]
	v_fmac_f64_e32 v[154:155], v[104:105], v[114:115]
	v_fma_f64 v[114:115], v[102:103], v[114:115], -v[116:117]
	scratch_load_b128 v[102:105], off, off offset:400
	v_add_f64_e32 v[4:5], v[4:5], v[156:157]
	v_add_f64_e32 v[8:9], v[8:9], v[150:151]
	s_wait_loadcnt_dscnt 0xb00
	v_mul_f64_e32 v[150:151], v[110:111], v[124:125]
	v_mul_f64_e32 v[124:125], v[112:113], v[124:125]
	v_fmac_f64_e32 v[152:153], v[96:97], v[118:119]
	v_fma_f64 v[156:157], v[94:95], v[118:119], -v[120:121]
	v_add_f64_e32 v[4:5], v[4:5], v[114:115]
	v_add_f64_e32 v[8:9], v[8:9], v[154:155]
	ds_load_b128 v[94:97], v2 offset:864
	ds_load_b128 v[114:117], v2 offset:880
	scratch_load_b128 v[118:121], off, off offset:416
	v_fmac_f64_e32 v[150:151], v[112:113], v[122:123]
	v_fma_f64 v[122:123], v[110:111], v[122:123], -v[124:125]
	scratch_load_b128 v[110:113], off, off offset:432
	s_wait_loadcnt_dscnt 0xc01
	v_mul_f64_e32 v[154:155], v[94:95], v[132:133]
	v_mul_f64_e32 v[132:133], v[96:97], v[132:133]
	v_add_f64_e32 v[4:5], v[4:5], v[156:157]
	v_add_f64_e32 v[8:9], v[8:9], v[152:153]
	s_wait_loadcnt_dscnt 0xa00
	v_mul_f64_e32 v[152:153], v[114:115], v[12:13]
	v_mul_f64_e32 v[12:13], v[116:117], v[12:13]
	v_fmac_f64_e32 v[154:155], v[96:97], v[130:131]
	v_fma_f64 v[156:157], v[94:95], v[130:131], -v[132:133]
	v_add_f64_e32 v[4:5], v[4:5], v[122:123]
	v_add_f64_e32 v[8:9], v[8:9], v[150:151]
	ds_load_b128 v[94:97], v2 offset:896
	ds_load_b128 v[122:125], v2 offset:912
	scratch_load_b128 v[130:133], off, off offset:448
	v_fmac_f64_e32 v[152:153], v[116:117], v[10:11]
	v_fma_f64 v[12:13], v[114:115], v[10:11], -v[12:13]
	s_wait_loadcnt_dscnt 0xa01
	v_mul_f64_e32 v[150:151], v[94:95], v[148:149]
	v_mul_f64_e32 v[148:149], v[96:97], v[148:149]
	v_add_f64_e32 v[4:5], v[4:5], v[156:157]
	v_add_f64_e32 v[114:115], v[8:9], v[154:155]
	scratch_load_b128 v[8:11], off, off offset:464
	s_wait_loadcnt_dscnt 0xa00
	v_mul_f64_e32 v[154:155], v[122:123], v[92:93]
	v_mul_f64_e32 v[156:157], v[124:125], v[92:93]
	v_fmac_f64_e32 v[150:151], v[96:97], v[146:147]
	v_fma_f64 v[96:97], v[94:95], v[146:147], -v[148:149]
	v_add_f64_e32 v[4:5], v[4:5], v[12:13]
	v_add_f64_e32 v[12:13], v[114:115], v[152:153]
	ds_load_b128 v[92:95], v2 offset:928
	ds_load_b128 v[114:117], v2 offset:944
	scratch_load_b128 v[146:149], off, off offset:480
	v_fmac_f64_e32 v[154:155], v[124:125], v[90:91]
	v_fma_f64 v[90:91], v[122:123], v[90:91], -v[156:157]
	scratch_load_b128 v[122:125], off, off offset:496
	s_wait_loadcnt_dscnt 0xb01
	v_mul_f64_e32 v[152:153], v[92:93], v[136:137]
	v_mul_f64_e32 v[136:137], v[94:95], v[136:137]
	v_add_f64_e32 v[4:5], v[4:5], v[96:97]
	v_add_f64_e32 v[12:13], v[12:13], v[150:151]
	s_wait_loadcnt_dscnt 0xa00
	v_mul_f64_e32 v[150:151], v[114:115], v[100:101]
	v_mul_f64_e32 v[100:101], v[116:117], v[100:101]
	v_fmac_f64_e32 v[152:153], v[94:95], v[134:135]
	v_fma_f64 v[156:157], v[92:93], v[134:135], -v[136:137]
	v_add_f64_e32 v[4:5], v[4:5], v[90:91]
	v_add_f64_e32 v[12:13], v[12:13], v[154:155]
	ds_load_b128 v[90:93], v2 offset:960
	ds_load_b128 v[94:97], v2 offset:976
	scratch_load_b128 v[134:137], off, off offset:512
	v_fmac_f64_e32 v[150:151], v[116:117], v[98:99]
	v_fma_f64 v[114:115], v[114:115], v[98:99], -v[100:101]
	scratch_load_b128 v[98:101], off, off offset:528
	s_wait_loadcnt_dscnt 0xb01
	v_mul_f64_e32 v[154:155], v[90:91], v[144:145]
	v_mul_f64_e32 v[144:145], v[92:93], v[144:145]
	v_add_f64_e32 v[4:5], v[4:5], v[156:157]
	v_add_f64_e32 v[12:13], v[12:13], v[152:153]
	s_wait_loadcnt_dscnt 0xa00
	v_mul_f64_e32 v[152:153], v[94:95], v[108:109]
	v_mul_f64_e32 v[108:109], v[96:97], v[108:109]
	v_fmac_f64_e32 v[154:155], v[92:93], v[142:143]
	v_fma_f64 v[156:157], v[90:91], v[142:143], -v[144:145]
	v_add_f64_e32 v[4:5], v[4:5], v[114:115]
	v_add_f64_e32 v[12:13], v[12:13], v[150:151]
	ds_load_b128 v[90:93], v2 offset:992
	ds_load_b128 v[114:117], v2 offset:1008
	scratch_load_b128 v[142:145], off, off offset:544
	v_fmac_f64_e32 v[152:153], v[96:97], v[106:107]
	v_fma_f64 v[106:107], v[94:95], v[106:107], -v[108:109]
	scratch_load_b128 v[94:97], off, off offset:560
	s_wait_loadcnt_dscnt 0xb01
	v_mul_f64_e32 v[150:151], v[90:91], v[128:129]
	v_mul_f64_e32 v[128:129], v[92:93], v[128:129]
	s_wait_loadcnt_dscnt 0xa00
	v_mul_f64_e32 v[108:109], v[114:115], v[104:105]
	v_add_f64_e32 v[4:5], v[4:5], v[156:157]
	v_add_f64_e32 v[12:13], v[12:13], v[154:155]
	v_mul_f64_e32 v[154:155], v[116:117], v[104:105]
	v_fmac_f64_e32 v[150:151], v[92:93], v[126:127]
	v_fma_f64 v[156:157], v[90:91], v[126:127], -v[128:129]
	v_fmac_f64_e32 v[108:109], v[116:117], v[102:103]
	v_add_f64_e32 v[4:5], v[4:5], v[106:107]
	v_add_f64_e32 v[12:13], v[12:13], v[152:153]
	ds_load_b128 v[90:93], v2 offset:1024
	ds_load_b128 v[104:107], v2 offset:1040
	scratch_load_b128 v[126:129], off, off offset:576
	v_fma_f64 v[102:103], v[114:115], v[102:103], -v[154:155]
	scratch_load_b128 v[114:117], off, off offset:592
	s_wait_loadcnt_dscnt 0xb01
	v_mul_f64_e32 v[152:153], v[90:91], v[120:121]
	v_mul_f64_e32 v[120:121], v[92:93], v[120:121]
	v_add_f64_e32 v[4:5], v[4:5], v[156:157]
	v_add_f64_e32 v[12:13], v[12:13], v[150:151]
	s_wait_loadcnt_dscnt 0xa00
	v_mul_f64_e32 v[150:151], v[104:105], v[112:113]
	v_mul_f64_e32 v[112:113], v[106:107], v[112:113]
	v_fmac_f64_e32 v[152:153], v[92:93], v[118:119]
	v_fma_f64 v[154:155], v[90:91], v[118:119], -v[120:121]
	ds_load_b128 v[90:93], v2 offset:1056
	ds_load_b128 v[118:121], v2 offset:1072
	v_add_f64_e32 v[4:5], v[4:5], v[102:103]
	v_add_f64_e32 v[12:13], v[12:13], v[108:109]
	v_fmac_f64_e32 v[150:151], v[106:107], v[110:111]
	v_fma_f64 v[104:105], v[104:105], v[110:111], -v[112:113]
	s_wait_loadcnt_dscnt 0x901
	v_mul_f64_e32 v[102:103], v[90:91], v[132:133]
	v_mul_f64_e32 v[108:109], v[92:93], v[132:133]
	v_add_f64_e32 v[4:5], v[4:5], v[154:155]
	v_add_f64_e32 v[12:13], v[12:13], v[152:153]
	s_wait_loadcnt_dscnt 0x800
	v_mul_f64_e32 v[106:107], v[118:119], v[10:11]
	v_mul_f64_e32 v[110:111], v[120:121], v[10:11]
	v_fmac_f64_e32 v[102:103], v[92:93], v[130:131]
	v_fma_f64 v[108:109], v[90:91], v[130:131], -v[108:109]
	v_add_f64_e32 v[4:5], v[4:5], v[104:105]
	v_add_f64_e32 v[104:105], v[12:13], v[150:151]
	ds_load_b128 v[10:13], v2 offset:1088
	ds_load_b128 v[90:93], v2 offset:1104
	v_fmac_f64_e32 v[106:107], v[120:121], v[8:9]
	v_fma_f64 v[8:9], v[118:119], v[8:9], -v[110:111]
	s_wait_loadcnt_dscnt 0x701
	v_mul_f64_e32 v[112:113], v[10:11], v[148:149]
	v_mul_f64_e32 v[130:131], v[12:13], v[148:149]
	s_wait_loadcnt_dscnt 0x600
	v_mul_f64_e32 v[110:111], v[92:93], v[124:125]
	v_add_f64_e32 v[4:5], v[4:5], v[108:109]
	v_add_f64_e32 v[102:103], v[104:105], v[102:103]
	v_mul_f64_e32 v[108:109], v[90:91], v[124:125]
	v_fmac_f64_e32 v[112:113], v[12:13], v[146:147]
	v_fma_f64 v[12:13], v[10:11], v[146:147], -v[130:131]
	v_fma_f64 v[90:91], v[90:91], v[122:123], -v[110:111]
	v_add_f64_e32 v[4:5], v[4:5], v[8:9]
	v_add_f64_e32 v[106:107], v[102:103], v[106:107]
	ds_load_b128 v[8:11], v2 offset:1120
	ds_load_b128 v[102:105], v2 offset:1136
	v_fmac_f64_e32 v[108:109], v[92:93], v[122:123]
	s_wait_loadcnt_dscnt 0x501
	v_mul_f64_e32 v[118:119], v[8:9], v[136:137]
	v_mul_f64_e32 v[120:121], v[10:11], v[136:137]
	v_add_f64_e32 v[4:5], v[4:5], v[12:13]
	v_add_f64_e32 v[12:13], v[106:107], v[112:113]
	s_wait_loadcnt_dscnt 0x400
	v_mul_f64_e32 v[106:107], v[102:103], v[100:101]
	v_mul_f64_e32 v[100:101], v[104:105], v[100:101]
	v_fmac_f64_e32 v[118:119], v[10:11], v[134:135]
	v_fma_f64 v[110:111], v[8:9], v[134:135], -v[120:121]
	v_add_f64_e32 v[4:5], v[4:5], v[90:91]
	v_add_f64_e32 v[12:13], v[12:13], v[108:109]
	ds_load_b128 v[8:11], v2 offset:1152
	ds_load_b128 v[90:93], v2 offset:1168
	v_fmac_f64_e32 v[106:107], v[104:105], v[98:99]
	v_fma_f64 v[98:99], v[102:103], v[98:99], -v[100:101]
	s_wait_loadcnt_dscnt 0x301
	v_mul_f64_e32 v[108:109], v[8:9], v[144:145]
	v_mul_f64_e32 v[112:113], v[10:11], v[144:145]
	s_wait_loadcnt_dscnt 0x200
	v_mul_f64_e32 v[100:101], v[90:91], v[96:97]
	v_mul_f64_e32 v[96:97], v[92:93], v[96:97]
	v_add_f64_e32 v[4:5], v[4:5], v[110:111]
	v_add_f64_e32 v[12:13], v[12:13], v[118:119]
	v_fmac_f64_e32 v[108:109], v[10:11], v[142:143]
	v_fma_f64 v[102:103], v[8:9], v[142:143], -v[112:113]
	v_fmac_f64_e32 v[100:101], v[92:93], v[94:95]
	v_fma_f64 v[90:91], v[90:91], v[94:95], -v[96:97]
	v_add_f64_e32 v[98:99], v[4:5], v[98:99]
	v_add_f64_e32 v[12:13], v[12:13], v[106:107]
	ds_load_b128 v[8:11], v2 offset:1184
	ds_load_b128 v[2:5], v2 offset:1200
	s_wait_loadcnt_dscnt 0x101
	v_mul_f64_e32 v[104:105], v[8:9], v[128:129]
	v_mul_f64_e32 v[106:107], v[10:11], v[128:129]
	s_wait_loadcnt_dscnt 0x0
	v_mul_f64_e32 v[94:95], v[2:3], v[116:117]
	v_mul_f64_e32 v[96:97], v[4:5], v[116:117]
	v_add_f64_e32 v[92:93], v[98:99], v[102:103]
	v_add_f64_e32 v[12:13], v[12:13], v[108:109]
	v_fmac_f64_e32 v[104:105], v[10:11], v[126:127]
	v_fma_f64 v[8:9], v[8:9], v[126:127], -v[106:107]
	v_fmac_f64_e32 v[94:95], v[4:5], v[114:115]
	v_fma_f64 v[2:3], v[2:3], v[114:115], -v[96:97]
	v_add_f64_e32 v[10:11], v[92:93], v[90:91]
	v_add_f64_e32 v[12:13], v[12:13], v[100:101]
	s_delay_alu instid0(VALU_DEP_2) | instskip(NEXT) | instid1(VALU_DEP_2)
	v_add_f64_e32 v[4:5], v[10:11], v[8:9]
	v_add_f64_e32 v[8:9], v[12:13], v[104:105]
	s_delay_alu instid0(VALU_DEP_2) | instskip(NEXT) | instid1(VALU_DEP_2)
	;; [unrolled: 3-line block ×3, first 2 shown]
	v_add_f64_e64 v[2:3], v[138:139], -v[2:3]
	v_add_f64_e64 v[4:5], v[140:141], -v[4:5]
	scratch_store_b128 off, v[2:5], off offset:80
	s_wait_xcnt 0x0
	v_cmpx_lt_u32_e32 4, v1
	s_cbranch_execz .LBB37_233
; %bb.232:
	scratch_load_b128 v[2:5], off, s37
	v_mov_b32_e32 v8, 0
	s_delay_alu instid0(VALU_DEP_1)
	v_dual_mov_b32 v9, v8 :: v_dual_mov_b32 v10, v8
	v_mov_b32_e32 v11, v8
	scratch_store_b128 off, v[8:11], off offset:64
	s_wait_loadcnt 0x0
	ds_store_b128 v6, v[2:5]
.LBB37_233:
	s_wait_xcnt 0x0
	s_or_b32 exec_lo, exec_lo, s2
	s_wait_storecnt_dscnt 0x0
	s_barrier_signal -1
	s_barrier_wait -1
	s_clause 0x9
	scratch_load_b128 v[8:11], off, off offset:80
	scratch_load_b128 v[90:93], off, off offset:96
	;; [unrolled: 1-line block ×10, first 2 shown]
	v_mov_b32_e32 v2, 0
	s_mov_b32 s2, exec_lo
	ds_load_b128 v[126:129], v2 offset:688
	s_clause 0x2
	scratch_load_b128 v[130:133], off, off offset:240
	scratch_load_b128 v[134:137], off, off offset:64
	;; [unrolled: 1-line block ×3, first 2 shown]
	s_wait_loadcnt_dscnt 0xc00
	v_mul_f64_e32 v[4:5], v[128:129], v[10:11]
	v_mul_f64_e32 v[150:151], v[126:127], v[10:11]
	ds_load_b128 v[138:141], v2 offset:704
	scratch_load_b128 v[10:13], off, off offset:256
	ds_load_b128 v[146:149], v2 offset:736
	v_fma_f64 v[4:5], v[126:127], v[8:9], -v[4:5]
	v_fmac_f64_e32 v[150:151], v[128:129], v[8:9]
	ds_load_b128 v[126:129], v2 offset:720
	s_wait_loadcnt_dscnt 0xc02
	v_mul_f64_e32 v[152:153], v[138:139], v[92:93]
	v_mul_f64_e32 v[92:93], v[140:141], v[92:93]
	s_wait_loadcnt_dscnt 0xb00
	v_mul_f64_e32 v[8:9], v[126:127], v[96:97]
	v_mul_f64_e32 v[96:97], v[128:129], v[96:97]
	v_add_f64_e32 v[4:5], 0, v[4:5]
	v_fmac_f64_e32 v[152:153], v[140:141], v[90:91]
	v_fma_f64 v[138:139], v[138:139], v[90:91], -v[92:93]
	v_add_f64_e32 v[140:141], 0, v[150:151]
	scratch_load_b128 v[90:93], off, off offset:288
	v_fmac_f64_e32 v[8:9], v[128:129], v[94:95]
	v_fma_f64 v[154:155], v[126:127], v[94:95], -v[96:97]
	ds_load_b128 v[94:97], v2 offset:752
	s_wait_loadcnt 0xb
	v_mul_f64_e32 v[150:151], v[146:147], v[100:101]
	v_mul_f64_e32 v[100:101], v[148:149], v[100:101]
	scratch_load_b128 v[126:129], off, off offset:304
	v_add_f64_e32 v[4:5], v[4:5], v[138:139]
	v_add_f64_e32 v[152:153], v[140:141], v[152:153]
	ds_load_b128 v[138:141], v2 offset:768
	s_wait_loadcnt_dscnt 0xb01
	v_mul_f64_e32 v[156:157], v[94:95], v[104:105]
	v_mul_f64_e32 v[104:105], v[96:97], v[104:105]
	v_fmac_f64_e32 v[150:151], v[148:149], v[98:99]
	v_fma_f64 v[146:147], v[146:147], v[98:99], -v[100:101]
	scratch_load_b128 v[98:101], off, off offset:320
	v_add_f64_e32 v[4:5], v[4:5], v[154:155]
	v_add_f64_e32 v[8:9], v[152:153], v[8:9]
	v_fmac_f64_e32 v[156:157], v[96:97], v[102:103]
	v_fma_f64 v[154:155], v[94:95], v[102:103], -v[104:105]
	ds_load_b128 v[94:97], v2 offset:784
	s_wait_loadcnt_dscnt 0xb01
	v_mul_f64_e32 v[152:153], v[138:139], v[108:109]
	v_mul_f64_e32 v[108:109], v[140:141], v[108:109]
	scratch_load_b128 v[102:105], off, off offset:336
	v_add_f64_e32 v[4:5], v[4:5], v[146:147]
	v_add_f64_e32 v[8:9], v[8:9], v[150:151]
	s_wait_loadcnt_dscnt 0xb00
	v_mul_f64_e32 v[150:151], v[94:95], v[112:113]
	v_mul_f64_e32 v[112:113], v[96:97], v[112:113]
	ds_load_b128 v[146:149], v2 offset:800
	v_fmac_f64_e32 v[152:153], v[140:141], v[106:107]
	v_fma_f64 v[138:139], v[138:139], v[106:107], -v[108:109]
	scratch_load_b128 v[106:109], off, off offset:352
	v_add_f64_e32 v[4:5], v[4:5], v[154:155]
	v_add_f64_e32 v[8:9], v[8:9], v[156:157]
	v_fmac_f64_e32 v[150:151], v[96:97], v[110:111]
	v_fma_f64 v[156:157], v[94:95], v[110:111], -v[112:113]
	ds_load_b128 v[94:97], v2 offset:816
	s_wait_loadcnt_dscnt 0xb01
	v_mul_f64_e32 v[154:155], v[146:147], v[116:117]
	v_mul_f64_e32 v[116:117], v[148:149], v[116:117]
	scratch_load_b128 v[110:113], off, off offset:368
	v_add_f64_e32 v[4:5], v[4:5], v[138:139]
	v_add_f64_e32 v[8:9], v[8:9], v[152:153]
	s_wait_loadcnt_dscnt 0xb00
	v_mul_f64_e32 v[152:153], v[94:95], v[120:121]
	v_mul_f64_e32 v[120:121], v[96:97], v[120:121]
	ds_load_b128 v[138:141], v2 offset:832
	;; [unrolled: 18-line block ×3, first 2 shown]
	v_fmac_f64_e32 v[150:151], v[140:141], v[122:123]
	v_fma_f64 v[138:139], v[138:139], v[122:123], -v[124:125]
	scratch_load_b128 v[122:125], off, off offset:416
	v_add_f64_e32 v[4:5], v[4:5], v[156:157]
	v_add_f64_e32 v[8:9], v[8:9], v[152:153]
	v_fmac_f64_e32 v[154:155], v[96:97], v[130:131]
	v_fma_f64 v[156:157], v[94:95], v[130:131], -v[132:133]
	ds_load_b128 v[94:97], v2 offset:880
	s_wait_loadcnt_dscnt 0x901
	v_mul_f64_e32 v[152:153], v[146:147], v[12:13]
	v_mul_f64_e32 v[12:13], v[148:149], v[12:13]
	scratch_load_b128 v[130:133], off, off offset:432
	v_add_f64_e32 v[4:5], v[4:5], v[138:139]
	v_add_f64_e32 v[8:9], v[8:9], v[150:151]
	s_wait_dscnt 0x0
	v_mul_f64_e32 v[150:151], v[94:95], v[144:145]
	v_mul_f64_e32 v[144:145], v[96:97], v[144:145]
	ds_load_b128 v[138:141], v2 offset:896
	v_fmac_f64_e32 v[152:153], v[148:149], v[10:11]
	v_fma_f64 v[12:13], v[146:147], v[10:11], -v[12:13]
	v_add_f64_e32 v[4:5], v[4:5], v[156:157]
	v_add_f64_e32 v[146:147], v[8:9], v[154:155]
	scratch_load_b128 v[8:11], off, off offset:448
	v_fmac_f64_e32 v[150:151], v[96:97], v[142:143]
	v_fma_f64 v[96:97], v[94:95], v[142:143], -v[144:145]
	scratch_load_b128 v[142:145], off, off offset:464
	v_add_f64_e32 v[4:5], v[4:5], v[12:13]
	v_add_f64_e32 v[12:13], v[146:147], v[152:153]
	ds_load_b128 v[146:149], v2 offset:928
	s_wait_loadcnt_dscnt 0xb01
	v_mul_f64_e32 v[154:155], v[138:139], v[92:93]
	v_mul_f64_e32 v[156:157], v[140:141], v[92:93]
	ds_load_b128 v[92:95], v2 offset:912
	s_wait_loadcnt_dscnt 0xa00
	v_mul_f64_e32 v[152:153], v[92:93], v[128:129]
	v_mul_f64_e32 v[128:129], v[94:95], v[128:129]
	v_add_f64_e32 v[4:5], v[4:5], v[96:97]
	v_add_f64_e32 v[12:13], v[12:13], v[150:151]
	s_wait_loadcnt 0x9
	v_mul_f64_e32 v[150:151], v[146:147], v[100:101]
	v_fmac_f64_e32 v[154:155], v[140:141], v[90:91]
	v_fma_f64 v[90:91], v[138:139], v[90:91], -v[156:157]
	scratch_load_b128 v[138:141], off, off offset:480
	v_mul_f64_e32 v[100:101], v[148:149], v[100:101]
	v_fmac_f64_e32 v[152:153], v[94:95], v[126:127]
	v_fma_f64 v[156:157], v[92:93], v[126:127], -v[128:129]
	scratch_load_b128 v[94:97], off, off offset:496
	ds_load_b128 v[126:129], v2 offset:960
	v_fmac_f64_e32 v[150:151], v[148:149], v[98:99]
	v_add_f64_e32 v[12:13], v[12:13], v[154:155]
	v_add_f64_e32 v[4:5], v[4:5], v[90:91]
	ds_load_b128 v[90:93], v2 offset:944
	v_fma_f64 v[146:147], v[146:147], v[98:99], -v[100:101]
	scratch_load_b128 v[98:101], off, off offset:512
	s_wait_loadcnt_dscnt 0xb00
	v_mul_f64_e32 v[154:155], v[90:91], v[104:105]
	v_mul_f64_e32 v[104:105], v[92:93], v[104:105]
	v_add_f64_e32 v[12:13], v[12:13], v[152:153]
	v_add_f64_e32 v[4:5], v[4:5], v[156:157]
	s_wait_loadcnt 0xa
	v_mul_f64_e32 v[152:153], v[126:127], v[108:109]
	v_mul_f64_e32 v[108:109], v[128:129], v[108:109]
	v_fmac_f64_e32 v[154:155], v[92:93], v[102:103]
	v_fma_f64 v[156:157], v[90:91], v[102:103], -v[104:105]
	ds_load_b128 v[90:93], v2 offset:976
	scratch_load_b128 v[102:105], off, off offset:528
	v_add_f64_e32 v[12:13], v[12:13], v[150:151]
	v_add_f64_e32 v[4:5], v[4:5], v[146:147]
	ds_load_b128 v[146:149], v2 offset:992
	v_fmac_f64_e32 v[152:153], v[128:129], v[106:107]
	v_fma_f64 v[126:127], v[126:127], v[106:107], -v[108:109]
	scratch_load_b128 v[106:109], off, off offset:544
	s_wait_loadcnt_dscnt 0xb01
	v_mul_f64_e32 v[150:151], v[90:91], v[112:113]
	v_mul_f64_e32 v[112:113], v[92:93], v[112:113]
	v_add_f64_e32 v[12:13], v[12:13], v[154:155]
	v_add_f64_e32 v[4:5], v[4:5], v[156:157]
	s_wait_loadcnt_dscnt 0xa00
	v_mul_f64_e32 v[154:155], v[146:147], v[116:117]
	v_mul_f64_e32 v[116:117], v[148:149], v[116:117]
	v_fmac_f64_e32 v[150:151], v[92:93], v[110:111]
	v_fma_f64 v[156:157], v[90:91], v[110:111], -v[112:113]
	ds_load_b128 v[90:93], v2 offset:1008
	scratch_load_b128 v[110:113], off, off offset:560
	v_add_f64_e32 v[12:13], v[12:13], v[152:153]
	v_add_f64_e32 v[4:5], v[4:5], v[126:127]
	ds_load_b128 v[126:129], v2 offset:1024
	s_wait_loadcnt_dscnt 0xa01
	v_mul_f64_e32 v[152:153], v[90:91], v[120:121]
	v_mul_f64_e32 v[120:121], v[92:93], v[120:121]
	v_fmac_f64_e32 v[154:155], v[148:149], v[114:115]
	v_fma_f64 v[146:147], v[146:147], v[114:115], -v[116:117]
	scratch_load_b128 v[114:117], off, off offset:576
	v_add_f64_e32 v[12:13], v[12:13], v[150:151]
	v_add_f64_e32 v[4:5], v[4:5], v[156:157]
	s_wait_loadcnt_dscnt 0xa00
	v_mul_f64_e32 v[150:151], v[126:127], v[124:125]
	v_mul_f64_e32 v[124:125], v[128:129], v[124:125]
	v_fmac_f64_e32 v[152:153], v[92:93], v[118:119]
	v_fma_f64 v[156:157], v[90:91], v[118:119], -v[120:121]
	ds_load_b128 v[90:93], v2 offset:1040
	scratch_load_b128 v[118:121], off, off offset:592
	v_add_f64_e32 v[12:13], v[12:13], v[154:155]
	v_add_f64_e32 v[4:5], v[4:5], v[146:147]
	ds_load_b128 v[146:149], v2 offset:1056
	s_wait_loadcnt_dscnt 0xa01
	v_mul_f64_e32 v[154:155], v[90:91], v[132:133]
	v_mul_f64_e32 v[132:133], v[92:93], v[132:133]
	v_fmac_f64_e32 v[150:151], v[128:129], v[122:123]
	v_fma_f64 v[122:123], v[126:127], v[122:123], -v[124:125]
	s_wait_loadcnt_dscnt 0x900
	v_mul_f64_e32 v[124:125], v[146:147], v[10:11]
	v_add_f64_e32 v[12:13], v[12:13], v[152:153]
	v_add_f64_e32 v[4:5], v[4:5], v[156:157]
	v_mul_f64_e32 v[126:127], v[148:149], v[10:11]
	v_fmac_f64_e32 v[154:155], v[92:93], v[130:131]
	v_fma_f64 v[128:129], v[90:91], v[130:131], -v[132:133]
	v_fmac_f64_e32 v[124:125], v[148:149], v[8:9]
	v_add_f64_e32 v[4:5], v[4:5], v[122:123]
	v_add_f64_e32 v[122:123], v[12:13], v[150:151]
	ds_load_b128 v[10:13], v2 offset:1072
	ds_load_b128 v[90:93], v2 offset:1088
	v_fma_f64 v[8:9], v[146:147], v[8:9], -v[126:127]
	s_wait_loadcnt_dscnt 0x801
	v_mul_f64_e32 v[130:131], v[10:11], v[144:145]
	v_mul_f64_e32 v[132:133], v[12:13], v[144:145]
	v_add_f64_e32 v[4:5], v[4:5], v[128:129]
	v_add_f64_e32 v[122:123], v[122:123], v[154:155]
	s_wait_loadcnt_dscnt 0x700
	v_mul_f64_e32 v[126:127], v[90:91], v[140:141]
	v_mul_f64_e32 v[128:129], v[92:93], v[140:141]
	v_fmac_f64_e32 v[130:131], v[12:13], v[142:143]
	v_fma_f64 v[12:13], v[10:11], v[142:143], -v[132:133]
	v_add_f64_e32 v[4:5], v[4:5], v[8:9]
	v_add_f64_e32 v[132:133], v[122:123], v[124:125]
	ds_load_b128 v[8:11], v2 offset:1104
	ds_load_b128 v[122:125], v2 offset:1120
	v_fmac_f64_e32 v[126:127], v[92:93], v[138:139]
	v_fma_f64 v[90:91], v[90:91], v[138:139], -v[128:129]
	s_wait_loadcnt_dscnt 0x601
	v_mul_f64_e32 v[140:141], v[8:9], v[96:97]
	v_mul_f64_e32 v[96:97], v[10:11], v[96:97]
	s_wait_loadcnt_dscnt 0x500
	v_mul_f64_e32 v[128:129], v[122:123], v[100:101]
	v_mul_f64_e32 v[100:101], v[124:125], v[100:101]
	v_add_f64_e32 v[4:5], v[4:5], v[12:13]
	v_add_f64_e32 v[12:13], v[132:133], v[130:131]
	v_fmac_f64_e32 v[140:141], v[10:11], v[94:95]
	v_fma_f64 v[94:95], v[8:9], v[94:95], -v[96:97]
	v_fmac_f64_e32 v[128:129], v[124:125], v[98:99]
	v_fma_f64 v[98:99], v[122:123], v[98:99], -v[100:101]
	v_add_f64_e32 v[4:5], v[4:5], v[90:91]
	v_add_f64_e32 v[12:13], v[12:13], v[126:127]
	ds_load_b128 v[8:11], v2 offset:1136
	ds_load_b128 v[90:93], v2 offset:1152
	s_wait_loadcnt_dscnt 0x401
	v_mul_f64_e32 v[126:127], v[8:9], v[104:105]
	v_mul_f64_e32 v[96:97], v[10:11], v[104:105]
	s_wait_loadcnt_dscnt 0x300
	v_mul_f64_e32 v[100:101], v[90:91], v[108:109]
	v_mul_f64_e32 v[104:105], v[92:93], v[108:109]
	v_add_f64_e32 v[4:5], v[4:5], v[94:95]
	v_add_f64_e32 v[12:13], v[12:13], v[140:141]
	v_fmac_f64_e32 v[126:127], v[10:11], v[102:103]
	v_fma_f64 v[102:103], v[8:9], v[102:103], -v[96:97]
	ds_load_b128 v[8:11], v2 offset:1168
	ds_load_b128 v[94:97], v2 offset:1184
	v_fmac_f64_e32 v[100:101], v[92:93], v[106:107]
	v_fma_f64 v[90:91], v[90:91], v[106:107], -v[104:105]
	v_add_f64_e32 v[4:5], v[4:5], v[98:99]
	v_add_f64_e32 v[12:13], v[12:13], v[128:129]
	s_wait_loadcnt_dscnt 0x201
	v_mul_f64_e32 v[98:99], v[8:9], v[112:113]
	v_mul_f64_e32 v[108:109], v[10:11], v[112:113]
	s_wait_loadcnt_dscnt 0x100
	v_mul_f64_e32 v[92:93], v[94:95], v[116:117]
	v_add_f64_e32 v[4:5], v[4:5], v[102:103]
	v_add_f64_e32 v[12:13], v[12:13], v[126:127]
	v_mul_f64_e32 v[102:103], v[96:97], v[116:117]
	v_fmac_f64_e32 v[98:99], v[10:11], v[110:111]
	v_fma_f64 v[104:105], v[8:9], v[110:111], -v[108:109]
	ds_load_b128 v[8:11], v2 offset:1200
	v_fmac_f64_e32 v[92:93], v[96:97], v[114:115]
	v_add_f64_e32 v[4:5], v[4:5], v[90:91]
	v_add_f64_e32 v[12:13], v[12:13], v[100:101]
	s_wait_loadcnt_dscnt 0x0
	v_mul_f64_e32 v[90:91], v[8:9], v[120:121]
	v_mul_f64_e32 v[100:101], v[10:11], v[120:121]
	v_fma_f64 v[94:95], v[94:95], v[114:115], -v[102:103]
	v_add_f64_e32 v[4:5], v[4:5], v[104:105]
	v_add_f64_e32 v[12:13], v[12:13], v[98:99]
	v_fmac_f64_e32 v[90:91], v[10:11], v[118:119]
	v_fma_f64 v[8:9], v[8:9], v[118:119], -v[100:101]
	s_delay_alu instid0(VALU_DEP_4) | instskip(NEXT) | instid1(VALU_DEP_4)
	v_add_f64_e32 v[4:5], v[4:5], v[94:95]
	v_add_f64_e32 v[10:11], v[12:13], v[92:93]
	s_delay_alu instid0(VALU_DEP_2) | instskip(NEXT) | instid1(VALU_DEP_2)
	v_add_f64_e32 v[4:5], v[4:5], v[8:9]
	v_add_f64_e32 v[10:11], v[10:11], v[90:91]
	s_delay_alu instid0(VALU_DEP_2) | instskip(NEXT) | instid1(VALU_DEP_2)
	v_add_f64_e64 v[8:9], v[134:135], -v[4:5]
	v_add_f64_e64 v[10:11], v[136:137], -v[10:11]
	scratch_store_b128 off, v[8:11], off offset:64
	s_wait_xcnt 0x0
	v_cmpx_lt_u32_e32 3, v1
	s_cbranch_execz .LBB37_235
; %bb.234:
	scratch_load_b128 v[8:11], off, s36
	v_dual_mov_b32 v3, v2 :: v_dual_mov_b32 v4, v2
	v_mov_b32_e32 v5, v2
	scratch_store_b128 off, v[2:5], off offset:48
	s_wait_loadcnt 0x0
	ds_store_b128 v6, v[8:11]
.LBB37_235:
	s_wait_xcnt 0x0
	s_or_b32 exec_lo, exec_lo, s2
	s_wait_storecnt_dscnt 0x0
	s_barrier_signal -1
	s_barrier_wait -1
	s_clause 0x9
	scratch_load_b128 v[8:11], off, off offset:64
	scratch_load_b128 v[90:93], off, off offset:80
	;; [unrolled: 1-line block ×10, first 2 shown]
	ds_load_b128 v[126:129], v2 offset:672
	ds_load_b128 v[134:137], v2 offset:688
	s_clause 0x1
	scratch_load_b128 v[130:133], off, off offset:224
	scratch_load_b128 v[138:141], off, off offset:48
	s_mov_b32 s2, exec_lo
	s_wait_loadcnt_dscnt 0xb01
	v_mul_f64_e32 v[4:5], v[128:129], v[10:11]
	v_mul_f64_e32 v[150:151], v[126:127], v[10:11]
	scratch_load_b128 v[10:13], off, off offset:240
	s_wait_loadcnt_dscnt 0xb00
	v_mul_f64_e32 v[152:153], v[134:135], v[92:93]
	v_mul_f64_e32 v[92:93], v[136:137], v[92:93]
	v_fma_f64 v[4:5], v[126:127], v[8:9], -v[4:5]
	v_fmac_f64_e32 v[150:151], v[128:129], v[8:9]
	ds_load_b128 v[126:129], v2 offset:704
	ds_load_b128 v[142:145], v2 offset:720
	scratch_load_b128 v[146:149], off, off offset:256
	v_fmac_f64_e32 v[152:153], v[136:137], v[90:91]
	v_fma_f64 v[134:135], v[134:135], v[90:91], -v[92:93]
	scratch_load_b128 v[90:93], off, off offset:272
	s_wait_loadcnt_dscnt 0xc01
	v_mul_f64_e32 v[8:9], v[126:127], v[96:97]
	v_mul_f64_e32 v[96:97], v[128:129], v[96:97]
	v_add_f64_e32 v[4:5], 0, v[4:5]
	v_add_f64_e32 v[136:137], 0, v[150:151]
	s_wait_loadcnt_dscnt 0xb00
	v_mul_f64_e32 v[150:151], v[142:143], v[100:101]
	v_mul_f64_e32 v[100:101], v[144:145], v[100:101]
	v_fmac_f64_e32 v[8:9], v[128:129], v[94:95]
	v_fma_f64 v[154:155], v[126:127], v[94:95], -v[96:97]
	ds_load_b128 v[94:97], v2 offset:736
	ds_load_b128 v[126:129], v2 offset:752
	v_add_f64_e32 v[4:5], v[4:5], v[134:135]
	v_add_f64_e32 v[152:153], v[136:137], v[152:153]
	scratch_load_b128 v[134:137], off, off offset:288
	v_fmac_f64_e32 v[150:151], v[144:145], v[98:99]
	v_fma_f64 v[142:143], v[142:143], v[98:99], -v[100:101]
	scratch_load_b128 v[98:101], off, off offset:304
	s_wait_loadcnt_dscnt 0xc01
	v_mul_f64_e32 v[156:157], v[94:95], v[104:105]
	v_mul_f64_e32 v[104:105], v[96:97], v[104:105]
	v_add_f64_e32 v[4:5], v[4:5], v[154:155]
	v_add_f64_e32 v[8:9], v[152:153], v[8:9]
	s_wait_loadcnt_dscnt 0xb00
	v_mul_f64_e32 v[152:153], v[126:127], v[108:109]
	v_mul_f64_e32 v[108:109], v[128:129], v[108:109]
	v_fmac_f64_e32 v[156:157], v[96:97], v[102:103]
	v_fma_f64 v[154:155], v[94:95], v[102:103], -v[104:105]
	ds_load_b128 v[94:97], v2 offset:768
	ds_load_b128 v[102:105], v2 offset:784
	v_add_f64_e32 v[4:5], v[4:5], v[142:143]
	v_add_f64_e32 v[8:9], v[8:9], v[150:151]
	scratch_load_b128 v[142:145], off, off offset:320
	s_wait_loadcnt_dscnt 0xb01
	v_mul_f64_e32 v[150:151], v[94:95], v[112:113]
	v_mul_f64_e32 v[112:113], v[96:97], v[112:113]
	v_fmac_f64_e32 v[152:153], v[128:129], v[106:107]
	v_fma_f64 v[126:127], v[126:127], v[106:107], -v[108:109]
	scratch_load_b128 v[106:109], off, off offset:336
	v_add_f64_e32 v[4:5], v[4:5], v[154:155]
	v_add_f64_e32 v[8:9], v[8:9], v[156:157]
	s_wait_loadcnt_dscnt 0xb00
	v_mul_f64_e32 v[154:155], v[102:103], v[116:117]
	v_mul_f64_e32 v[116:117], v[104:105], v[116:117]
	v_fmac_f64_e32 v[150:151], v[96:97], v[110:111]
	v_fma_f64 v[156:157], v[94:95], v[110:111], -v[112:113]
	ds_load_b128 v[94:97], v2 offset:800
	ds_load_b128 v[110:113], v2 offset:816
	v_add_f64_e32 v[4:5], v[4:5], v[126:127]
	v_add_f64_e32 v[8:9], v[8:9], v[152:153]
	scratch_load_b128 v[126:129], off, off offset:352
	s_wait_loadcnt_dscnt 0xb01
	v_mul_f64_e32 v[152:153], v[94:95], v[120:121]
	v_mul_f64_e32 v[120:121], v[96:97], v[120:121]
	v_fmac_f64_e32 v[154:155], v[104:105], v[114:115]
	v_fma_f64 v[114:115], v[102:103], v[114:115], -v[116:117]
	scratch_load_b128 v[102:105], off, off offset:368
	v_add_f64_e32 v[4:5], v[4:5], v[156:157]
	v_add_f64_e32 v[8:9], v[8:9], v[150:151]
	s_wait_loadcnt_dscnt 0xb00
	v_mul_f64_e32 v[150:151], v[110:111], v[124:125]
	v_mul_f64_e32 v[124:125], v[112:113], v[124:125]
	v_fmac_f64_e32 v[152:153], v[96:97], v[118:119]
	v_fma_f64 v[156:157], v[94:95], v[118:119], -v[120:121]
	v_add_f64_e32 v[4:5], v[4:5], v[114:115]
	v_add_f64_e32 v[8:9], v[8:9], v[154:155]
	ds_load_b128 v[94:97], v2 offset:832
	ds_load_b128 v[114:117], v2 offset:848
	scratch_load_b128 v[118:121], off, off offset:384
	v_fmac_f64_e32 v[150:151], v[112:113], v[122:123]
	v_fma_f64 v[122:123], v[110:111], v[122:123], -v[124:125]
	scratch_load_b128 v[110:113], off, off offset:400
	s_wait_loadcnt_dscnt 0xc01
	v_mul_f64_e32 v[154:155], v[94:95], v[132:133]
	v_mul_f64_e32 v[132:133], v[96:97], v[132:133]
	v_add_f64_e32 v[4:5], v[4:5], v[156:157]
	v_add_f64_e32 v[8:9], v[8:9], v[152:153]
	s_wait_loadcnt_dscnt 0xa00
	v_mul_f64_e32 v[152:153], v[114:115], v[12:13]
	v_mul_f64_e32 v[12:13], v[116:117], v[12:13]
	v_fmac_f64_e32 v[154:155], v[96:97], v[130:131]
	v_fma_f64 v[156:157], v[94:95], v[130:131], -v[132:133]
	v_add_f64_e32 v[4:5], v[4:5], v[122:123]
	v_add_f64_e32 v[8:9], v[8:9], v[150:151]
	ds_load_b128 v[94:97], v2 offset:864
	ds_load_b128 v[122:125], v2 offset:880
	scratch_load_b128 v[130:133], off, off offset:416
	v_fmac_f64_e32 v[152:153], v[116:117], v[10:11]
	v_fma_f64 v[12:13], v[114:115], v[10:11], -v[12:13]
	s_wait_loadcnt_dscnt 0xa01
	v_mul_f64_e32 v[150:151], v[94:95], v[148:149]
	v_mul_f64_e32 v[148:149], v[96:97], v[148:149]
	v_add_f64_e32 v[4:5], v[4:5], v[156:157]
	v_add_f64_e32 v[114:115], v[8:9], v[154:155]
	scratch_load_b128 v[8:11], off, off offset:432
	s_wait_loadcnt_dscnt 0xa00
	v_mul_f64_e32 v[154:155], v[122:123], v[92:93]
	v_mul_f64_e32 v[156:157], v[124:125], v[92:93]
	v_fmac_f64_e32 v[150:151], v[96:97], v[146:147]
	v_fma_f64 v[96:97], v[94:95], v[146:147], -v[148:149]
	v_add_f64_e32 v[4:5], v[4:5], v[12:13]
	v_add_f64_e32 v[12:13], v[114:115], v[152:153]
	ds_load_b128 v[92:95], v2 offset:896
	ds_load_b128 v[114:117], v2 offset:912
	scratch_load_b128 v[146:149], off, off offset:448
	v_fmac_f64_e32 v[154:155], v[124:125], v[90:91]
	v_fma_f64 v[90:91], v[122:123], v[90:91], -v[156:157]
	scratch_load_b128 v[122:125], off, off offset:464
	s_wait_loadcnt_dscnt 0xb01
	v_mul_f64_e32 v[152:153], v[92:93], v[136:137]
	v_mul_f64_e32 v[136:137], v[94:95], v[136:137]
	v_add_f64_e32 v[4:5], v[4:5], v[96:97]
	v_add_f64_e32 v[12:13], v[12:13], v[150:151]
	s_wait_loadcnt_dscnt 0xa00
	v_mul_f64_e32 v[150:151], v[114:115], v[100:101]
	v_mul_f64_e32 v[100:101], v[116:117], v[100:101]
	v_fmac_f64_e32 v[152:153], v[94:95], v[134:135]
	v_fma_f64 v[156:157], v[92:93], v[134:135], -v[136:137]
	v_add_f64_e32 v[4:5], v[4:5], v[90:91]
	v_add_f64_e32 v[12:13], v[12:13], v[154:155]
	ds_load_b128 v[90:93], v2 offset:928
	ds_load_b128 v[94:97], v2 offset:944
	scratch_load_b128 v[134:137], off, off offset:480
	v_fmac_f64_e32 v[150:151], v[116:117], v[98:99]
	v_fma_f64 v[114:115], v[114:115], v[98:99], -v[100:101]
	scratch_load_b128 v[98:101], off, off offset:496
	s_wait_loadcnt_dscnt 0xb01
	v_mul_f64_e32 v[154:155], v[90:91], v[144:145]
	v_mul_f64_e32 v[144:145], v[92:93], v[144:145]
	v_add_f64_e32 v[4:5], v[4:5], v[156:157]
	v_add_f64_e32 v[12:13], v[12:13], v[152:153]
	s_wait_loadcnt_dscnt 0xa00
	v_mul_f64_e32 v[152:153], v[94:95], v[108:109]
	v_mul_f64_e32 v[108:109], v[96:97], v[108:109]
	v_fmac_f64_e32 v[154:155], v[92:93], v[142:143]
	v_fma_f64 v[156:157], v[90:91], v[142:143], -v[144:145]
	v_add_f64_e32 v[4:5], v[4:5], v[114:115]
	v_add_f64_e32 v[12:13], v[12:13], v[150:151]
	ds_load_b128 v[90:93], v2 offset:960
	ds_load_b128 v[114:117], v2 offset:976
	scratch_load_b128 v[142:145], off, off offset:512
	v_fmac_f64_e32 v[152:153], v[96:97], v[106:107]
	v_fma_f64 v[106:107], v[94:95], v[106:107], -v[108:109]
	scratch_load_b128 v[94:97], off, off offset:528
	s_wait_loadcnt_dscnt 0xb01
	v_mul_f64_e32 v[150:151], v[90:91], v[128:129]
	v_mul_f64_e32 v[128:129], v[92:93], v[128:129]
	s_wait_loadcnt_dscnt 0xa00
	v_mul_f64_e32 v[108:109], v[114:115], v[104:105]
	v_add_f64_e32 v[4:5], v[4:5], v[156:157]
	v_add_f64_e32 v[12:13], v[12:13], v[154:155]
	v_mul_f64_e32 v[154:155], v[116:117], v[104:105]
	v_fmac_f64_e32 v[150:151], v[92:93], v[126:127]
	v_fma_f64 v[156:157], v[90:91], v[126:127], -v[128:129]
	v_fmac_f64_e32 v[108:109], v[116:117], v[102:103]
	v_add_f64_e32 v[4:5], v[4:5], v[106:107]
	v_add_f64_e32 v[12:13], v[12:13], v[152:153]
	ds_load_b128 v[90:93], v2 offset:992
	ds_load_b128 v[104:107], v2 offset:1008
	scratch_load_b128 v[126:129], off, off offset:544
	v_fma_f64 v[102:103], v[114:115], v[102:103], -v[154:155]
	scratch_load_b128 v[114:117], off, off offset:560
	s_wait_loadcnt_dscnt 0xb01
	v_mul_f64_e32 v[158:159], v[90:91], v[120:121]
	v_mul_f64_e32 v[120:121], v[92:93], v[120:121]
	s_wait_loadcnt_dscnt 0xa00
	v_mul_f64_e32 v[154:155], v[104:105], v[112:113]
	v_mul_f64_e32 v[112:113], v[106:107], v[112:113]
	v_add_f64_e32 v[4:5], v[4:5], v[156:157]
	v_add_f64_e32 v[12:13], v[12:13], v[150:151]
	v_fmac_f64_e32 v[158:159], v[92:93], v[118:119]
	v_fma_f64 v[156:157], v[90:91], v[118:119], -v[120:121]
	ds_load_b128 v[90:93], v2 offset:1024
	ds_load_b128 v[118:121], v2 offset:1040
	scratch_load_b128 v[150:153], off, off offset:576
	v_fmac_f64_e32 v[154:155], v[106:107], v[110:111]
	v_fma_f64 v[106:107], v[104:105], v[110:111], -v[112:113]
	v_add_f64_e32 v[4:5], v[4:5], v[102:103]
	v_add_f64_e32 v[12:13], v[12:13], v[108:109]
	scratch_load_b128 v[102:105], off, off offset:592
	s_wait_loadcnt_dscnt 0xb01
	v_mul_f64_e32 v[108:109], v[90:91], v[132:133]
	v_mul_f64_e32 v[132:133], v[92:93], v[132:133]
	v_add_f64_e32 v[4:5], v[4:5], v[156:157]
	v_add_f64_e32 v[12:13], v[12:13], v[158:159]
	s_wait_loadcnt_dscnt 0xa00
	v_mul_f64_e32 v[110:111], v[118:119], v[10:11]
	v_mul_f64_e32 v[112:113], v[120:121], v[10:11]
	v_fmac_f64_e32 v[108:109], v[92:93], v[130:131]
	v_fma_f64 v[130:131], v[90:91], v[130:131], -v[132:133]
	v_add_f64_e32 v[4:5], v[4:5], v[106:107]
	v_add_f64_e32 v[106:107], v[12:13], v[154:155]
	ds_load_b128 v[10:13], v2 offset:1056
	ds_load_b128 v[90:93], v2 offset:1072
	v_fmac_f64_e32 v[110:111], v[120:121], v[8:9]
	v_fma_f64 v[8:9], v[118:119], v[8:9], -v[112:113]
	s_wait_loadcnt_dscnt 0x901
	v_mul_f64_e32 v[132:133], v[10:11], v[148:149]
	v_mul_f64_e32 v[148:149], v[12:13], v[148:149]
	s_wait_loadcnt_dscnt 0x800
	v_mul_f64_e32 v[112:113], v[90:91], v[124:125]
	v_mul_f64_e32 v[118:119], v[92:93], v[124:125]
	v_add_f64_e32 v[4:5], v[4:5], v[130:131]
	v_add_f64_e32 v[106:107], v[106:107], v[108:109]
	v_fmac_f64_e32 v[132:133], v[12:13], v[146:147]
	v_fma_f64 v[12:13], v[10:11], v[146:147], -v[148:149]
	v_fmac_f64_e32 v[112:113], v[92:93], v[122:123]
	v_fma_f64 v[90:91], v[90:91], v[122:123], -v[118:119]
	v_add_f64_e32 v[4:5], v[4:5], v[8:9]
	v_add_f64_e32 v[110:111], v[106:107], v[110:111]
	ds_load_b128 v[8:11], v2 offset:1088
	ds_load_b128 v[106:109], v2 offset:1104
	s_wait_loadcnt_dscnt 0x701
	v_mul_f64_e32 v[120:121], v[8:9], v[136:137]
	v_mul_f64_e32 v[124:125], v[10:11], v[136:137]
	v_add_f64_e32 v[4:5], v[4:5], v[12:13]
	v_add_f64_e32 v[12:13], v[110:111], v[132:133]
	s_wait_loadcnt_dscnt 0x600
	v_mul_f64_e32 v[110:111], v[106:107], v[100:101]
	v_mul_f64_e32 v[100:101], v[108:109], v[100:101]
	v_fmac_f64_e32 v[120:121], v[10:11], v[134:135]
	v_fma_f64 v[118:119], v[8:9], v[134:135], -v[124:125]
	v_add_f64_e32 v[4:5], v[4:5], v[90:91]
	v_add_f64_e32 v[12:13], v[12:13], v[112:113]
	ds_load_b128 v[8:11], v2 offset:1120
	ds_load_b128 v[90:93], v2 offset:1136
	v_fmac_f64_e32 v[110:111], v[108:109], v[98:99]
	v_fma_f64 v[98:99], v[106:107], v[98:99], -v[100:101]
	s_wait_loadcnt_dscnt 0x501
	v_mul_f64_e32 v[112:113], v[8:9], v[144:145]
	v_mul_f64_e32 v[122:123], v[10:11], v[144:145]
	s_wait_loadcnt_dscnt 0x400
	v_mul_f64_e32 v[100:101], v[90:91], v[96:97]
	v_mul_f64_e32 v[106:107], v[92:93], v[96:97]
	v_add_f64_e32 v[4:5], v[4:5], v[118:119]
	v_add_f64_e32 v[12:13], v[12:13], v[120:121]
	v_fmac_f64_e32 v[112:113], v[10:11], v[142:143]
	v_fma_f64 v[108:109], v[8:9], v[142:143], -v[122:123]
	v_fmac_f64_e32 v[100:101], v[92:93], v[94:95]
	v_fma_f64 v[90:91], v[90:91], v[94:95], -v[106:107]
	v_add_f64_e32 v[4:5], v[4:5], v[98:99]
	v_add_f64_e32 v[12:13], v[12:13], v[110:111]
	ds_load_b128 v[8:11], v2 offset:1152
	ds_load_b128 v[96:99], v2 offset:1168
	s_wait_loadcnt_dscnt 0x301
	v_mul_f64_e32 v[110:111], v[8:9], v[128:129]
	v_mul_f64_e32 v[118:119], v[10:11], v[128:129]
	s_wait_loadcnt_dscnt 0x200
	v_mul_f64_e32 v[92:93], v[96:97], v[116:117]
	v_mul_f64_e32 v[94:95], v[98:99], v[116:117]
	v_add_f64_e32 v[4:5], v[4:5], v[108:109]
	v_add_f64_e32 v[12:13], v[12:13], v[112:113]
	v_fmac_f64_e32 v[110:111], v[10:11], v[126:127]
	v_fma_f64 v[106:107], v[8:9], v[126:127], -v[118:119]
	v_fmac_f64_e32 v[92:93], v[98:99], v[114:115]
	v_fma_f64 v[94:95], v[96:97], v[114:115], -v[94:95]
	v_add_f64_e32 v[90:91], v[4:5], v[90:91]
	v_add_f64_e32 v[12:13], v[12:13], v[100:101]
	ds_load_b128 v[8:11], v2 offset:1184
	ds_load_b128 v[2:5], v2 offset:1200
	s_wait_loadcnt_dscnt 0x101
	v_mul_f64_e32 v[100:101], v[8:9], v[152:153]
	v_mul_f64_e32 v[108:109], v[10:11], v[152:153]
	s_wait_loadcnt_dscnt 0x0
	v_mul_f64_e32 v[96:97], v[2:3], v[104:105]
	v_mul_f64_e32 v[98:99], v[4:5], v[104:105]
	v_add_f64_e32 v[90:91], v[90:91], v[106:107]
	v_add_f64_e32 v[12:13], v[12:13], v[110:111]
	v_fmac_f64_e32 v[100:101], v[10:11], v[150:151]
	v_fma_f64 v[8:9], v[8:9], v[150:151], -v[108:109]
	v_fmac_f64_e32 v[96:97], v[4:5], v[102:103]
	v_fma_f64 v[2:3], v[2:3], v[102:103], -v[98:99]
	v_add_f64_e32 v[10:11], v[90:91], v[94:95]
	v_add_f64_e32 v[12:13], v[12:13], v[92:93]
	s_delay_alu instid0(VALU_DEP_2) | instskip(NEXT) | instid1(VALU_DEP_2)
	v_add_f64_e32 v[4:5], v[10:11], v[8:9]
	v_add_f64_e32 v[8:9], v[12:13], v[100:101]
	s_delay_alu instid0(VALU_DEP_2) | instskip(NEXT) | instid1(VALU_DEP_2)
	;; [unrolled: 3-line block ×3, first 2 shown]
	v_add_f64_e64 v[2:3], v[138:139], -v[2:3]
	v_add_f64_e64 v[4:5], v[140:141], -v[4:5]
	scratch_store_b128 off, v[2:5], off offset:48
	s_wait_xcnt 0x0
	v_cmpx_lt_u32_e32 2, v1
	s_cbranch_execz .LBB37_237
; %bb.236:
	scratch_load_b128 v[2:5], off, s35
	v_mov_b32_e32 v8, 0
	s_delay_alu instid0(VALU_DEP_1)
	v_dual_mov_b32 v9, v8 :: v_dual_mov_b32 v10, v8
	v_mov_b32_e32 v11, v8
	scratch_store_b128 off, v[8:11], off offset:32
	s_wait_loadcnt 0x0
	ds_store_b128 v6, v[2:5]
.LBB37_237:
	s_wait_xcnt 0x0
	s_or_b32 exec_lo, exec_lo, s2
	s_wait_storecnt_dscnt 0x0
	s_barrier_signal -1
	s_barrier_wait -1
	s_clause 0x9
	scratch_load_b128 v[8:11], off, off offset:48
	scratch_load_b128 v[90:93], off, off offset:64
	;; [unrolled: 1-line block ×10, first 2 shown]
	v_mov_b32_e32 v2, 0
	s_mov_b32 s2, exec_lo
	v_dual_ashrrev_i32 v21, 31, v20 :: v_dual_ashrrev_i32 v19, 31, v18
	v_ashrrev_i32_e32 v23, 31, v22
	ds_load_b128 v[126:129], v2 offset:656
	s_clause 0x2
	scratch_load_b128 v[130:133], off, off offset:208
	scratch_load_b128 v[134:137], off, off offset:32
	;; [unrolled: 1-line block ×3, first 2 shown]
	v_ashrrev_i32_e32 v27, 31, v26
	v_ashrrev_i32_e32 v31, 31, v30
	v_dual_ashrrev_i32 v35, 31, v34 :: v_dual_ashrrev_i32 v25, 31, v24
	v_dual_ashrrev_i32 v29, 31, v28 :: v_dual_ashrrev_i32 v39, 31, v38
	;; [unrolled: 1-line block ×4, first 2 shown]
	v_ashrrev_i32_e32 v51, 31, v50
	v_ashrrev_i32_e32 v55, 31, v54
	v_dual_ashrrev_i32 v59, 31, v58 :: v_dual_ashrrev_i32 v41, 31, v40
	v_dual_ashrrev_i32 v45, 31, v44 :: v_dual_ashrrev_i32 v63, 31, v62
	;; [unrolled: 1-line block ×8, first 2 shown]
	v_ashrrev_i32_e32 v73, 31, v72
	v_ashrrev_i32_e32 v77, 31, v76
	;; [unrolled: 1-line block ×4, first 2 shown]
	s_wait_loadcnt_dscnt 0xc00
	v_dual_mul_f64 v[4:5], v[128:129], v[10:11] :: v_dual_ashrrev_i32 v89, 31, v88
	v_mul_f64_e32 v[150:151], v[126:127], v[10:11]
	ds_load_b128 v[138:141], v2 offset:672
	scratch_load_b128 v[10:13], off, off offset:224
	ds_load_b128 v[146:149], v2 offset:704
	v_fma_f64 v[4:5], v[126:127], v[8:9], -v[4:5]
	v_fmac_f64_e32 v[150:151], v[128:129], v[8:9]
	ds_load_b128 v[126:129], v2 offset:688
	s_wait_loadcnt_dscnt 0xc02
	v_mul_f64_e32 v[152:153], v[138:139], v[92:93]
	v_mul_f64_e32 v[92:93], v[140:141], v[92:93]
	s_wait_loadcnt_dscnt 0xb00
	v_mul_f64_e32 v[8:9], v[126:127], v[96:97]
	v_mul_f64_e32 v[96:97], v[128:129], v[96:97]
	v_add_f64_e32 v[4:5], 0, v[4:5]
	v_fmac_f64_e32 v[152:153], v[140:141], v[90:91]
	v_fma_f64 v[138:139], v[138:139], v[90:91], -v[92:93]
	v_add_f64_e32 v[140:141], 0, v[150:151]
	scratch_load_b128 v[90:93], off, off offset:256
	v_fmac_f64_e32 v[8:9], v[128:129], v[94:95]
	v_fma_f64 v[154:155], v[126:127], v[94:95], -v[96:97]
	ds_load_b128 v[94:97], v2 offset:720
	s_wait_loadcnt 0xb
	v_mul_f64_e32 v[150:151], v[146:147], v[100:101]
	v_mul_f64_e32 v[100:101], v[148:149], v[100:101]
	scratch_load_b128 v[126:129], off, off offset:272
	v_add_f64_e32 v[4:5], v[4:5], v[138:139]
	v_add_f64_e32 v[152:153], v[140:141], v[152:153]
	ds_load_b128 v[138:141], v2 offset:736
	s_wait_loadcnt_dscnt 0xb01
	v_mul_f64_e32 v[156:157], v[94:95], v[104:105]
	v_mul_f64_e32 v[104:105], v[96:97], v[104:105]
	v_fmac_f64_e32 v[150:151], v[148:149], v[98:99]
	v_fma_f64 v[146:147], v[146:147], v[98:99], -v[100:101]
	scratch_load_b128 v[98:101], off, off offset:288
	v_add_f64_e32 v[4:5], v[4:5], v[154:155]
	v_add_f64_e32 v[8:9], v[152:153], v[8:9]
	v_fmac_f64_e32 v[156:157], v[96:97], v[102:103]
	v_fma_f64 v[154:155], v[94:95], v[102:103], -v[104:105]
	ds_load_b128 v[94:97], v2 offset:752
	s_wait_loadcnt_dscnt 0xb01
	v_mul_f64_e32 v[152:153], v[138:139], v[108:109]
	v_mul_f64_e32 v[108:109], v[140:141], v[108:109]
	scratch_load_b128 v[102:105], off, off offset:304
	v_add_f64_e32 v[4:5], v[4:5], v[146:147]
	v_add_f64_e32 v[8:9], v[8:9], v[150:151]
	s_wait_loadcnt_dscnt 0xb00
	v_mul_f64_e32 v[150:151], v[94:95], v[112:113]
	v_mul_f64_e32 v[112:113], v[96:97], v[112:113]
	ds_load_b128 v[146:149], v2 offset:768
	v_fmac_f64_e32 v[152:153], v[140:141], v[106:107]
	v_fma_f64 v[138:139], v[138:139], v[106:107], -v[108:109]
	scratch_load_b128 v[106:109], off, off offset:320
	v_add_f64_e32 v[4:5], v[4:5], v[154:155]
	v_add_f64_e32 v[8:9], v[8:9], v[156:157]
	v_fmac_f64_e32 v[150:151], v[96:97], v[110:111]
	v_fma_f64 v[156:157], v[94:95], v[110:111], -v[112:113]
	ds_load_b128 v[94:97], v2 offset:784
	s_wait_loadcnt_dscnt 0xb01
	v_mul_f64_e32 v[154:155], v[146:147], v[116:117]
	v_mul_f64_e32 v[116:117], v[148:149], v[116:117]
	scratch_load_b128 v[110:113], off, off offset:336
	v_add_f64_e32 v[4:5], v[4:5], v[138:139]
	v_add_f64_e32 v[8:9], v[8:9], v[152:153]
	s_wait_loadcnt_dscnt 0xb00
	v_mul_f64_e32 v[152:153], v[94:95], v[120:121]
	v_mul_f64_e32 v[120:121], v[96:97], v[120:121]
	ds_load_b128 v[138:141], v2 offset:800
	;; [unrolled: 18-line block ×3, first 2 shown]
	v_fmac_f64_e32 v[150:151], v[140:141], v[122:123]
	v_fma_f64 v[138:139], v[138:139], v[122:123], -v[124:125]
	scratch_load_b128 v[122:125], off, off offset:384
	v_add_f64_e32 v[4:5], v[4:5], v[156:157]
	v_add_f64_e32 v[8:9], v[8:9], v[152:153]
	v_fmac_f64_e32 v[154:155], v[96:97], v[130:131]
	v_fma_f64 v[156:157], v[94:95], v[130:131], -v[132:133]
	ds_load_b128 v[94:97], v2 offset:848
	s_wait_loadcnt_dscnt 0x901
	v_mul_f64_e32 v[152:153], v[146:147], v[12:13]
	v_mul_f64_e32 v[12:13], v[148:149], v[12:13]
	scratch_load_b128 v[130:133], off, off offset:400
	v_add_f64_e32 v[4:5], v[4:5], v[138:139]
	v_add_f64_e32 v[8:9], v[8:9], v[150:151]
	s_wait_dscnt 0x0
	v_mul_f64_e32 v[150:151], v[94:95], v[144:145]
	v_mul_f64_e32 v[144:145], v[96:97], v[144:145]
	ds_load_b128 v[138:141], v2 offset:864
	v_fmac_f64_e32 v[152:153], v[148:149], v[10:11]
	v_fma_f64 v[12:13], v[146:147], v[10:11], -v[12:13]
	v_add_f64_e32 v[4:5], v[4:5], v[156:157]
	v_add_f64_e32 v[146:147], v[8:9], v[154:155]
	scratch_load_b128 v[8:11], off, off offset:416
	v_fmac_f64_e32 v[150:151], v[96:97], v[142:143]
	v_fma_f64 v[96:97], v[94:95], v[142:143], -v[144:145]
	scratch_load_b128 v[142:145], off, off offset:432
	v_add_f64_e32 v[4:5], v[4:5], v[12:13]
	v_add_f64_e32 v[12:13], v[146:147], v[152:153]
	ds_load_b128 v[146:149], v2 offset:896
	s_wait_loadcnt_dscnt 0xb01
	v_mul_f64_e32 v[154:155], v[138:139], v[92:93]
	v_mul_f64_e32 v[156:157], v[140:141], v[92:93]
	ds_load_b128 v[92:95], v2 offset:880
	s_wait_loadcnt_dscnt 0xa00
	v_mul_f64_e32 v[152:153], v[92:93], v[128:129]
	v_mul_f64_e32 v[128:129], v[94:95], v[128:129]
	v_add_f64_e32 v[4:5], v[4:5], v[96:97]
	v_add_f64_e32 v[12:13], v[12:13], v[150:151]
	s_wait_loadcnt 0x9
	v_mul_f64_e32 v[150:151], v[146:147], v[100:101]
	v_fmac_f64_e32 v[154:155], v[140:141], v[90:91]
	v_fma_f64 v[90:91], v[138:139], v[90:91], -v[156:157]
	scratch_load_b128 v[138:141], off, off offset:448
	v_mul_f64_e32 v[100:101], v[148:149], v[100:101]
	v_fmac_f64_e32 v[152:153], v[94:95], v[126:127]
	v_fma_f64 v[156:157], v[92:93], v[126:127], -v[128:129]
	scratch_load_b128 v[94:97], off, off offset:464
	ds_load_b128 v[126:129], v2 offset:928
	v_fmac_f64_e32 v[150:151], v[148:149], v[98:99]
	v_add_f64_e32 v[12:13], v[12:13], v[154:155]
	v_add_f64_e32 v[4:5], v[4:5], v[90:91]
	ds_load_b128 v[90:93], v2 offset:912
	v_fma_f64 v[146:147], v[146:147], v[98:99], -v[100:101]
	scratch_load_b128 v[98:101], off, off offset:480
	s_wait_loadcnt_dscnt 0xb00
	v_mul_f64_e32 v[154:155], v[90:91], v[104:105]
	v_mul_f64_e32 v[104:105], v[92:93], v[104:105]
	v_add_f64_e32 v[12:13], v[12:13], v[152:153]
	v_add_f64_e32 v[4:5], v[4:5], v[156:157]
	s_wait_loadcnt 0xa
	v_mul_f64_e32 v[152:153], v[126:127], v[108:109]
	v_mul_f64_e32 v[108:109], v[128:129], v[108:109]
	v_fmac_f64_e32 v[154:155], v[92:93], v[102:103]
	v_fma_f64 v[156:157], v[90:91], v[102:103], -v[104:105]
	ds_load_b128 v[90:93], v2 offset:944
	scratch_load_b128 v[102:105], off, off offset:496
	v_add_f64_e32 v[12:13], v[12:13], v[150:151]
	v_add_f64_e32 v[4:5], v[4:5], v[146:147]
	ds_load_b128 v[146:149], v2 offset:960
	v_fmac_f64_e32 v[152:153], v[128:129], v[106:107]
	v_fma_f64 v[126:127], v[126:127], v[106:107], -v[108:109]
	scratch_load_b128 v[106:109], off, off offset:512
	s_wait_loadcnt_dscnt 0xb01
	v_mul_f64_e32 v[150:151], v[90:91], v[112:113]
	v_mul_f64_e32 v[112:113], v[92:93], v[112:113]
	v_add_f64_e32 v[12:13], v[12:13], v[154:155]
	v_add_f64_e32 v[4:5], v[4:5], v[156:157]
	s_wait_loadcnt_dscnt 0xa00
	v_mul_f64_e32 v[154:155], v[146:147], v[116:117]
	v_mul_f64_e32 v[116:117], v[148:149], v[116:117]
	v_fmac_f64_e32 v[150:151], v[92:93], v[110:111]
	v_fma_f64 v[156:157], v[90:91], v[110:111], -v[112:113]
	ds_load_b128 v[90:93], v2 offset:976
	scratch_load_b128 v[110:113], off, off offset:528
	v_add_f64_e32 v[12:13], v[12:13], v[152:153]
	v_add_f64_e32 v[4:5], v[4:5], v[126:127]
	ds_load_b128 v[126:129], v2 offset:992
	s_wait_loadcnt_dscnt 0xa01
	v_mul_f64_e32 v[152:153], v[90:91], v[120:121]
	v_fmac_f64_e32 v[154:155], v[148:149], v[114:115]
	v_fma_f64 v[146:147], v[146:147], v[114:115], -v[116:117]
	v_mul_f64_e32 v[120:121], v[92:93], v[120:121]
	scratch_load_b128 v[114:117], off, off offset:544
	v_add_f64_e32 v[12:13], v[12:13], v[150:151]
	v_add_f64_e32 v[4:5], v[4:5], v[156:157]
	s_wait_loadcnt_dscnt 0xa00
	v_mul_f64_e32 v[150:151], v[126:127], v[124:125]
	v_mul_f64_e32 v[124:125], v[128:129], v[124:125]
	v_fmac_f64_e32 v[152:153], v[92:93], v[118:119]
	v_fma_f64 v[156:157], v[90:91], v[118:119], -v[120:121]
	ds_load_b128 v[90:93], v2 offset:1008
	scratch_load_b128 v[118:121], off, off offset:560
	v_add_f64_e32 v[12:13], v[12:13], v[154:155]
	v_add_f64_e32 v[4:5], v[4:5], v[146:147]
	ds_load_b128 v[146:149], v2 offset:1024
	s_wait_loadcnt_dscnt 0xa01
	v_mul_f64_e32 v[154:155], v[90:91], v[132:133]
	v_fmac_f64_e32 v[150:151], v[128:129], v[122:123]
	v_fma_f64 v[126:127], v[126:127], v[122:123], -v[124:125]
	v_mul_f64_e32 v[128:129], v[92:93], v[132:133]
	scratch_load_b128 v[122:125], off, off offset:576
	s_wait_loadcnt_dscnt 0xa00
	v_mul_f64_e32 v[132:133], v[146:147], v[10:11]
	v_add_f64_e32 v[12:13], v[12:13], v[152:153]
	v_add_f64_e32 v[4:5], v[4:5], v[156:157]
	v_mul_f64_e32 v[152:153], v[148:149], v[10:11]
	v_fmac_f64_e32 v[154:155], v[92:93], v[130:131]
	v_fma_f64 v[130:131], v[90:91], v[130:131], -v[128:129]
	scratch_load_b128 v[90:93], off, off offset:592
	v_fmac_f64_e32 v[132:133], v[148:149], v[8:9]
	v_add_f64_e32 v[150:151], v[12:13], v[150:151]
	v_add_f64_e32 v[4:5], v[4:5], v[126:127]
	ds_load_b128 v[10:13], v2 offset:1040
	ds_load_b128 v[126:129], v2 offset:1056
	v_fma_f64 v[8:9], v[146:147], v[8:9], -v[152:153]
	s_wait_loadcnt_dscnt 0xa01
	v_mul_f64_e32 v[156:157], v[10:11], v[144:145]
	v_mul_f64_e32 v[144:145], v[12:13], v[144:145]
	v_add_f64_e32 v[4:5], v[4:5], v[130:131]
	v_add_f64_e32 v[130:131], v[150:151], v[154:155]
	s_wait_loadcnt_dscnt 0x900
	v_mul_f64_e32 v[146:147], v[126:127], v[140:141]
	v_mul_f64_e32 v[140:141], v[128:129], v[140:141]
	v_fmac_f64_e32 v[156:157], v[12:13], v[142:143]
	v_fma_f64 v[12:13], v[10:11], v[142:143], -v[144:145]
	v_add_f64_e32 v[4:5], v[4:5], v[8:9]
	v_add_f64_e32 v[142:143], v[130:131], v[132:133]
	ds_load_b128 v[8:11], v2 offset:1072
	ds_load_b128 v[130:133], v2 offset:1088
	v_fmac_f64_e32 v[146:147], v[128:129], v[138:139]
	v_fma_f64 v[126:127], v[126:127], v[138:139], -v[140:141]
	s_wait_loadcnt_dscnt 0x801
	v_mul_f64_e32 v[144:145], v[8:9], v[96:97]
	v_mul_f64_e32 v[96:97], v[10:11], v[96:97]
	s_wait_loadcnt_dscnt 0x700
	v_mul_f64_e32 v[128:129], v[130:131], v[100:101]
	v_mul_f64_e32 v[100:101], v[132:133], v[100:101]
	v_add_f64_e32 v[4:5], v[4:5], v[12:13]
	v_add_f64_e32 v[12:13], v[142:143], v[156:157]
	v_fmac_f64_e32 v[144:145], v[10:11], v[94:95]
	v_fma_f64 v[138:139], v[8:9], v[94:95], -v[96:97]
	ds_load_b128 v[8:11], v2 offset:1104
	ds_load_b128 v[94:97], v2 offset:1120
	v_fmac_f64_e32 v[128:129], v[132:133], v[98:99]
	v_fma_f64 v[98:99], v[130:131], v[98:99], -v[100:101]
	v_add_f64_e32 v[4:5], v[4:5], v[126:127]
	v_add_f64_e32 v[12:13], v[12:13], v[146:147]
	s_wait_loadcnt_dscnt 0x601
	v_mul_f64_e32 v[126:127], v[8:9], v[104:105]
	v_mul_f64_e32 v[104:105], v[10:11], v[104:105]
	s_wait_loadcnt_dscnt 0x500
	v_mul_f64_e32 v[130:131], v[94:95], v[108:109]
	v_mul_f64_e32 v[108:109], v[96:97], v[108:109]
	v_add_f64_e32 v[4:5], v[4:5], v[138:139]
	v_add_f64_e32 v[12:13], v[12:13], v[144:145]
	v_fmac_f64_e32 v[126:127], v[10:11], v[102:103]
	v_fma_f64 v[102:103], v[8:9], v[102:103], -v[104:105]
	v_fmac_f64_e32 v[130:131], v[96:97], v[106:107]
	v_fma_f64 v[94:95], v[94:95], v[106:107], -v[108:109]
	v_add_f64_e32 v[4:5], v[4:5], v[98:99]
	v_add_f64_e32 v[12:13], v[12:13], v[128:129]
	ds_load_b128 v[8:11], v2 offset:1136
	ds_load_b128 v[98:101], v2 offset:1152
	s_wait_loadcnt_dscnt 0x401
	v_mul_f64_e32 v[104:105], v[8:9], v[112:113]
	v_mul_f64_e32 v[112:113], v[10:11], v[112:113]
	s_wait_loadcnt_dscnt 0x300
	v_mul_f64_e32 v[106:107], v[100:101], v[116:117]
	v_add_f64_e32 v[4:5], v[4:5], v[102:103]
	v_add_f64_e32 v[12:13], v[12:13], v[126:127]
	v_mul_f64_e32 v[102:103], v[98:99], v[116:117]
	v_fmac_f64_e32 v[104:105], v[10:11], v[110:111]
	v_fma_f64 v[108:109], v[8:9], v[110:111], -v[112:113]
	v_fma_f64 v[98:99], v[98:99], v[114:115], -v[106:107]
	v_add_f64_e32 v[4:5], v[4:5], v[94:95]
	v_add_f64_e32 v[12:13], v[12:13], v[130:131]
	ds_load_b128 v[8:11], v2 offset:1168
	ds_load_b128 v[94:97], v2 offset:1184
	v_fmac_f64_e32 v[102:103], v[100:101], v[114:115]
	s_wait_loadcnt_dscnt 0x201
	v_mul_f64_e32 v[110:111], v[8:9], v[120:121]
	v_mul_f64_e32 v[112:113], v[10:11], v[120:121]
	s_wait_loadcnt_dscnt 0x100
	v_mul_f64_e32 v[100:101], v[94:95], v[124:125]
	v_add_f64_e32 v[4:5], v[4:5], v[108:109]
	v_add_f64_e32 v[12:13], v[12:13], v[104:105]
	v_mul_f64_e32 v[104:105], v[96:97], v[124:125]
	v_fmac_f64_e32 v[110:111], v[10:11], v[118:119]
	v_fma_f64 v[106:107], v[8:9], v[118:119], -v[112:113]
	ds_load_b128 v[8:11], v2 offset:1200
	v_fmac_f64_e32 v[100:101], v[96:97], v[122:123]
	v_add_f64_e32 v[4:5], v[4:5], v[98:99]
	v_add_f64_e32 v[12:13], v[12:13], v[102:103]
	v_fma_f64 v[94:95], v[94:95], v[122:123], -v[104:105]
	s_wait_loadcnt_dscnt 0x0
	v_mul_f64_e32 v[98:99], v[8:9], v[92:93]
	v_mul_f64_e32 v[92:93], v[10:11], v[92:93]
	v_add_f64_e32 v[4:5], v[4:5], v[106:107]
	v_add_f64_e32 v[12:13], v[12:13], v[110:111]
	s_delay_alu instid0(VALU_DEP_4) | instskip(NEXT) | instid1(VALU_DEP_4)
	v_fmac_f64_e32 v[98:99], v[10:11], v[90:91]
	v_fma_f64 v[8:9], v[8:9], v[90:91], -v[92:93]
	s_delay_alu instid0(VALU_DEP_4) | instskip(NEXT) | instid1(VALU_DEP_4)
	v_add_f64_e32 v[4:5], v[4:5], v[94:95]
	v_add_f64_e32 v[10:11], v[12:13], v[100:101]
	s_delay_alu instid0(VALU_DEP_2) | instskip(NEXT) | instid1(VALU_DEP_2)
	v_add_f64_e32 v[4:5], v[4:5], v[8:9]
	v_add_f64_e32 v[10:11], v[10:11], v[98:99]
	s_delay_alu instid0(VALU_DEP_2) | instskip(NEXT) | instid1(VALU_DEP_2)
	v_add_f64_e64 v[8:9], v[134:135], -v[4:5]
	v_add_f64_e64 v[10:11], v[136:137], -v[10:11]
	scratch_store_b128 off, v[8:11], off offset:32
	s_wait_xcnt 0x0
	v_cmpx_lt_u32_e32 1, v1
	s_cbranch_execz .LBB37_239
; %bb.238:
	scratch_load_b128 v[8:11], off, s38
	v_dual_mov_b32 v3, v2 :: v_dual_mov_b32 v4, v2
	v_mov_b32_e32 v5, v2
	scratch_store_b128 off, v[2:5], off offset:16
	s_wait_loadcnt 0x0
	ds_store_b128 v6, v[8:11]
.LBB37_239:
	s_wait_xcnt 0x0
	s_or_b32 exec_lo, exec_lo, s2
	s_wait_storecnt_dscnt 0x0
	s_barrier_signal -1
	s_barrier_wait -1
	s_clause 0x9
	scratch_load_b128 v[8:11], off, off offset:32
	scratch_load_b128 v[90:93], off, off offset:48
	;; [unrolled: 1-line block ×10, first 2 shown]
	ds_load_b128 v[126:129], v2 offset:640
	ds_load_b128 v[134:137], v2 offset:656
	s_clause 0x1
	scratch_load_b128 v[130:133], off, off offset:192
	scratch_load_b128 v[138:141], off, off offset:16
	s_mov_b32 s2, exec_lo
	s_wait_loadcnt_dscnt 0xb01
	v_mul_f64_e32 v[4:5], v[128:129], v[10:11]
	v_mul_f64_e32 v[150:151], v[126:127], v[10:11]
	scratch_load_b128 v[10:13], off, off offset:208
	s_wait_loadcnt_dscnt 0xb00
	v_mul_f64_e32 v[152:153], v[134:135], v[92:93]
	v_mul_f64_e32 v[92:93], v[136:137], v[92:93]
	v_fma_f64 v[4:5], v[126:127], v[8:9], -v[4:5]
	v_fmac_f64_e32 v[150:151], v[128:129], v[8:9]
	ds_load_b128 v[126:129], v2 offset:672
	ds_load_b128 v[142:145], v2 offset:688
	scratch_load_b128 v[146:149], off, off offset:224
	v_fmac_f64_e32 v[152:153], v[136:137], v[90:91]
	v_fma_f64 v[134:135], v[134:135], v[90:91], -v[92:93]
	scratch_load_b128 v[90:93], off, off offset:240
	s_wait_loadcnt_dscnt 0xc01
	v_mul_f64_e32 v[8:9], v[126:127], v[96:97]
	v_mul_f64_e32 v[96:97], v[128:129], v[96:97]
	v_add_f64_e32 v[4:5], 0, v[4:5]
	v_add_f64_e32 v[136:137], 0, v[150:151]
	s_wait_loadcnt_dscnt 0xb00
	v_mul_f64_e32 v[150:151], v[142:143], v[100:101]
	v_mul_f64_e32 v[100:101], v[144:145], v[100:101]
	v_fmac_f64_e32 v[8:9], v[128:129], v[94:95]
	v_fma_f64 v[154:155], v[126:127], v[94:95], -v[96:97]
	ds_load_b128 v[94:97], v2 offset:704
	ds_load_b128 v[126:129], v2 offset:720
	v_add_f64_e32 v[4:5], v[4:5], v[134:135]
	v_add_f64_e32 v[152:153], v[136:137], v[152:153]
	scratch_load_b128 v[134:137], off, off offset:256
	v_fmac_f64_e32 v[150:151], v[144:145], v[98:99]
	v_fma_f64 v[142:143], v[142:143], v[98:99], -v[100:101]
	scratch_load_b128 v[98:101], off, off offset:272
	s_wait_loadcnt_dscnt 0xc01
	v_mul_f64_e32 v[156:157], v[94:95], v[104:105]
	v_mul_f64_e32 v[104:105], v[96:97], v[104:105]
	v_add_f64_e32 v[4:5], v[4:5], v[154:155]
	v_add_f64_e32 v[8:9], v[152:153], v[8:9]
	s_wait_loadcnt_dscnt 0xb00
	v_mul_f64_e32 v[152:153], v[126:127], v[108:109]
	v_mul_f64_e32 v[108:109], v[128:129], v[108:109]
	v_fmac_f64_e32 v[156:157], v[96:97], v[102:103]
	v_fma_f64 v[154:155], v[94:95], v[102:103], -v[104:105]
	ds_load_b128 v[94:97], v2 offset:736
	ds_load_b128 v[102:105], v2 offset:752
	v_add_f64_e32 v[4:5], v[4:5], v[142:143]
	v_add_f64_e32 v[8:9], v[8:9], v[150:151]
	scratch_load_b128 v[142:145], off, off offset:288
	s_wait_loadcnt_dscnt 0xb01
	v_mul_f64_e32 v[150:151], v[94:95], v[112:113]
	v_mul_f64_e32 v[112:113], v[96:97], v[112:113]
	v_fmac_f64_e32 v[152:153], v[128:129], v[106:107]
	v_fma_f64 v[126:127], v[126:127], v[106:107], -v[108:109]
	scratch_load_b128 v[106:109], off, off offset:304
	v_add_f64_e32 v[4:5], v[4:5], v[154:155]
	v_add_f64_e32 v[8:9], v[8:9], v[156:157]
	s_wait_loadcnt_dscnt 0xb00
	v_mul_f64_e32 v[154:155], v[102:103], v[116:117]
	v_mul_f64_e32 v[116:117], v[104:105], v[116:117]
	v_fmac_f64_e32 v[150:151], v[96:97], v[110:111]
	v_fma_f64 v[156:157], v[94:95], v[110:111], -v[112:113]
	ds_load_b128 v[94:97], v2 offset:768
	ds_load_b128 v[110:113], v2 offset:784
	v_add_f64_e32 v[4:5], v[4:5], v[126:127]
	v_add_f64_e32 v[8:9], v[8:9], v[152:153]
	scratch_load_b128 v[126:129], off, off offset:320
	s_wait_loadcnt_dscnt 0xb01
	v_mul_f64_e32 v[152:153], v[94:95], v[120:121]
	v_mul_f64_e32 v[120:121], v[96:97], v[120:121]
	v_fmac_f64_e32 v[154:155], v[104:105], v[114:115]
	v_fma_f64 v[114:115], v[102:103], v[114:115], -v[116:117]
	scratch_load_b128 v[102:105], off, off offset:336
	v_add_f64_e32 v[4:5], v[4:5], v[156:157]
	v_add_f64_e32 v[8:9], v[8:9], v[150:151]
	s_wait_loadcnt_dscnt 0xb00
	v_mul_f64_e32 v[150:151], v[110:111], v[124:125]
	v_mul_f64_e32 v[124:125], v[112:113], v[124:125]
	v_fmac_f64_e32 v[152:153], v[96:97], v[118:119]
	v_fma_f64 v[156:157], v[94:95], v[118:119], -v[120:121]
	v_add_f64_e32 v[4:5], v[4:5], v[114:115]
	v_add_f64_e32 v[8:9], v[8:9], v[154:155]
	ds_load_b128 v[94:97], v2 offset:800
	ds_load_b128 v[114:117], v2 offset:816
	scratch_load_b128 v[118:121], off, off offset:352
	v_fmac_f64_e32 v[150:151], v[112:113], v[122:123]
	v_fma_f64 v[122:123], v[110:111], v[122:123], -v[124:125]
	scratch_load_b128 v[110:113], off, off offset:368
	s_wait_loadcnt_dscnt 0xc01
	v_mul_f64_e32 v[154:155], v[94:95], v[132:133]
	v_mul_f64_e32 v[132:133], v[96:97], v[132:133]
	v_add_f64_e32 v[4:5], v[4:5], v[156:157]
	v_add_f64_e32 v[8:9], v[8:9], v[152:153]
	s_wait_loadcnt_dscnt 0xa00
	v_mul_f64_e32 v[152:153], v[114:115], v[12:13]
	v_mul_f64_e32 v[12:13], v[116:117], v[12:13]
	v_fmac_f64_e32 v[154:155], v[96:97], v[130:131]
	v_fma_f64 v[156:157], v[94:95], v[130:131], -v[132:133]
	v_add_f64_e32 v[4:5], v[4:5], v[122:123]
	v_add_f64_e32 v[8:9], v[8:9], v[150:151]
	ds_load_b128 v[94:97], v2 offset:832
	ds_load_b128 v[122:125], v2 offset:848
	scratch_load_b128 v[130:133], off, off offset:384
	v_fmac_f64_e32 v[152:153], v[116:117], v[10:11]
	v_fma_f64 v[12:13], v[114:115], v[10:11], -v[12:13]
	s_wait_loadcnt_dscnt 0xa01
	v_mul_f64_e32 v[150:151], v[94:95], v[148:149]
	v_mul_f64_e32 v[148:149], v[96:97], v[148:149]
	v_add_f64_e32 v[4:5], v[4:5], v[156:157]
	v_add_f64_e32 v[114:115], v[8:9], v[154:155]
	scratch_load_b128 v[8:11], off, off offset:400
	s_wait_loadcnt_dscnt 0xa00
	v_mul_f64_e32 v[154:155], v[122:123], v[92:93]
	v_mul_f64_e32 v[156:157], v[124:125], v[92:93]
	v_fmac_f64_e32 v[150:151], v[96:97], v[146:147]
	v_fma_f64 v[96:97], v[94:95], v[146:147], -v[148:149]
	v_add_f64_e32 v[4:5], v[4:5], v[12:13]
	v_add_f64_e32 v[12:13], v[114:115], v[152:153]
	ds_load_b128 v[92:95], v2 offset:864
	ds_load_b128 v[114:117], v2 offset:880
	scratch_load_b128 v[146:149], off, off offset:416
	v_fmac_f64_e32 v[154:155], v[124:125], v[90:91]
	v_fma_f64 v[90:91], v[122:123], v[90:91], -v[156:157]
	scratch_load_b128 v[122:125], off, off offset:432
	s_wait_loadcnt_dscnt 0xb01
	v_mul_f64_e32 v[152:153], v[92:93], v[136:137]
	v_mul_f64_e32 v[136:137], v[94:95], v[136:137]
	v_add_f64_e32 v[4:5], v[4:5], v[96:97]
	v_add_f64_e32 v[12:13], v[12:13], v[150:151]
	s_wait_loadcnt_dscnt 0xa00
	v_mul_f64_e32 v[150:151], v[114:115], v[100:101]
	v_mul_f64_e32 v[100:101], v[116:117], v[100:101]
	v_fmac_f64_e32 v[152:153], v[94:95], v[134:135]
	v_fma_f64 v[156:157], v[92:93], v[134:135], -v[136:137]
	v_add_f64_e32 v[4:5], v[4:5], v[90:91]
	v_add_f64_e32 v[12:13], v[12:13], v[154:155]
	ds_load_b128 v[90:93], v2 offset:896
	ds_load_b128 v[94:97], v2 offset:912
	scratch_load_b128 v[134:137], off, off offset:448
	v_fmac_f64_e32 v[150:151], v[116:117], v[98:99]
	v_fma_f64 v[114:115], v[114:115], v[98:99], -v[100:101]
	scratch_load_b128 v[98:101], off, off offset:464
	s_wait_loadcnt_dscnt 0xb01
	v_mul_f64_e32 v[154:155], v[90:91], v[144:145]
	v_mul_f64_e32 v[144:145], v[92:93], v[144:145]
	v_add_f64_e32 v[4:5], v[4:5], v[156:157]
	v_add_f64_e32 v[12:13], v[12:13], v[152:153]
	s_wait_loadcnt_dscnt 0xa00
	v_mul_f64_e32 v[152:153], v[94:95], v[108:109]
	v_mul_f64_e32 v[108:109], v[96:97], v[108:109]
	v_fmac_f64_e32 v[154:155], v[92:93], v[142:143]
	v_fma_f64 v[156:157], v[90:91], v[142:143], -v[144:145]
	v_add_f64_e32 v[4:5], v[4:5], v[114:115]
	v_add_f64_e32 v[12:13], v[12:13], v[150:151]
	ds_load_b128 v[90:93], v2 offset:928
	ds_load_b128 v[114:117], v2 offset:944
	scratch_load_b128 v[142:145], off, off offset:480
	v_fmac_f64_e32 v[152:153], v[96:97], v[106:107]
	v_fma_f64 v[106:107], v[94:95], v[106:107], -v[108:109]
	scratch_load_b128 v[94:97], off, off offset:496
	s_wait_loadcnt_dscnt 0xb01
	v_mul_f64_e32 v[150:151], v[90:91], v[128:129]
	v_mul_f64_e32 v[128:129], v[92:93], v[128:129]
	s_wait_loadcnt_dscnt 0xa00
	v_mul_f64_e32 v[108:109], v[114:115], v[104:105]
	v_add_f64_e32 v[4:5], v[4:5], v[156:157]
	v_add_f64_e32 v[12:13], v[12:13], v[154:155]
	v_mul_f64_e32 v[154:155], v[116:117], v[104:105]
	v_fmac_f64_e32 v[150:151], v[92:93], v[126:127]
	v_fma_f64 v[156:157], v[90:91], v[126:127], -v[128:129]
	v_fmac_f64_e32 v[108:109], v[116:117], v[102:103]
	v_add_f64_e32 v[4:5], v[4:5], v[106:107]
	v_add_f64_e32 v[12:13], v[12:13], v[152:153]
	ds_load_b128 v[90:93], v2 offset:960
	ds_load_b128 v[104:107], v2 offset:976
	scratch_load_b128 v[126:129], off, off offset:512
	v_fma_f64 v[102:103], v[114:115], v[102:103], -v[154:155]
	scratch_load_b128 v[114:117], off, off offset:528
	s_wait_loadcnt_dscnt 0xb01
	v_mul_f64_e32 v[158:159], v[90:91], v[120:121]
	v_mul_f64_e32 v[120:121], v[92:93], v[120:121]
	s_wait_loadcnt_dscnt 0xa00
	v_mul_f64_e32 v[154:155], v[104:105], v[112:113]
	v_mul_f64_e32 v[112:113], v[106:107], v[112:113]
	v_add_f64_e32 v[4:5], v[4:5], v[156:157]
	v_add_f64_e32 v[12:13], v[12:13], v[150:151]
	v_fmac_f64_e32 v[158:159], v[92:93], v[118:119]
	v_fma_f64 v[156:157], v[90:91], v[118:119], -v[120:121]
	ds_load_b128 v[90:93], v2 offset:992
	ds_load_b128 v[118:121], v2 offset:1008
	scratch_load_b128 v[150:153], off, off offset:544
	v_fmac_f64_e32 v[154:155], v[106:107], v[110:111]
	v_fma_f64 v[106:107], v[104:105], v[110:111], -v[112:113]
	v_add_f64_e32 v[4:5], v[4:5], v[102:103]
	v_add_f64_e32 v[12:13], v[12:13], v[108:109]
	scratch_load_b128 v[102:105], off, off offset:560
	s_wait_loadcnt_dscnt 0xb01
	v_mul_f64_e32 v[160:161], v[90:91], v[132:133]
	v_mul_f64_e32 v[108:109], v[92:93], v[132:133]
	v_add_f64_e32 v[4:5], v[4:5], v[156:157]
	v_add_f64_e32 v[12:13], v[12:13], v[158:159]
	s_wait_loadcnt_dscnt 0xa00
	v_mul_f64_e32 v[132:133], v[118:119], v[10:11]
	v_mul_f64_e32 v[110:111], v[120:121], v[10:11]
	v_fmac_f64_e32 v[160:161], v[92:93], v[130:131]
	v_fma_f64 v[112:113], v[90:91], v[130:131], -v[108:109]
	v_add_f64_e32 v[4:5], v[4:5], v[106:107]
	v_add_f64_e32 v[130:131], v[12:13], v[154:155]
	ds_load_b128 v[10:13], v2 offset:1024
	ds_load_b128 v[90:93], v2 offset:1040
	scratch_load_b128 v[106:109], off, off offset:576
	v_fmac_f64_e32 v[132:133], v[120:121], v[8:9]
	v_fma_f64 v[8:9], v[118:119], v[8:9], -v[110:111]
	s_wait_loadcnt_dscnt 0xa01
	v_mul_f64_e32 v[154:155], v[10:11], v[148:149]
	v_mul_f64_e32 v[148:149], v[12:13], v[148:149]
	v_add_f64_e32 v[4:5], v[4:5], v[112:113]
	v_add_f64_e32 v[118:119], v[130:131], v[160:161]
	scratch_load_b128 v[110:113], off, off offset:592
	s_wait_loadcnt_dscnt 0xa00
	v_mul_f64_e32 v[130:131], v[90:91], v[124:125]
	v_mul_f64_e32 v[124:125], v[92:93], v[124:125]
	v_fmac_f64_e32 v[154:155], v[12:13], v[146:147]
	v_fma_f64 v[12:13], v[10:11], v[146:147], -v[148:149]
	v_add_f64_e32 v[4:5], v[4:5], v[8:9]
	v_add_f64_e32 v[132:133], v[118:119], v[132:133]
	ds_load_b128 v[8:11], v2 offset:1056
	ds_load_b128 v[118:121], v2 offset:1072
	v_fmac_f64_e32 v[130:131], v[92:93], v[122:123]
	v_fma_f64 v[90:91], v[90:91], v[122:123], -v[124:125]
	s_wait_loadcnt_dscnt 0x901
	v_mul_f64_e32 v[146:147], v[8:9], v[136:137]
	v_mul_f64_e32 v[136:137], v[10:11], v[136:137]
	s_wait_loadcnt_dscnt 0x800
	v_mul_f64_e32 v[122:123], v[118:119], v[100:101]
	v_mul_f64_e32 v[100:101], v[120:121], v[100:101]
	v_add_f64_e32 v[4:5], v[4:5], v[12:13]
	v_add_f64_e32 v[12:13], v[132:133], v[154:155]
	v_fmac_f64_e32 v[146:147], v[10:11], v[134:135]
	v_fma_f64 v[124:125], v[8:9], v[134:135], -v[136:137]
	v_fmac_f64_e32 v[122:123], v[120:121], v[98:99]
	v_fma_f64 v[98:99], v[118:119], v[98:99], -v[100:101]
	v_add_f64_e32 v[4:5], v[4:5], v[90:91]
	v_add_f64_e32 v[12:13], v[12:13], v[130:131]
	ds_load_b128 v[8:11], v2 offset:1088
	ds_load_b128 v[90:93], v2 offset:1104
	s_wait_loadcnt_dscnt 0x701
	v_mul_f64_e32 v[130:131], v[8:9], v[144:145]
	v_mul_f64_e32 v[132:133], v[10:11], v[144:145]
	s_wait_loadcnt_dscnt 0x600
	v_mul_f64_e32 v[100:101], v[90:91], v[96:97]
	v_mul_f64_e32 v[118:119], v[92:93], v[96:97]
	v_add_f64_e32 v[4:5], v[4:5], v[124:125]
	v_add_f64_e32 v[12:13], v[12:13], v[146:147]
	v_fmac_f64_e32 v[130:131], v[10:11], v[142:143]
	v_fma_f64 v[120:121], v[8:9], v[142:143], -v[132:133]
	v_fmac_f64_e32 v[100:101], v[92:93], v[94:95]
	v_fma_f64 v[90:91], v[90:91], v[94:95], -v[118:119]
	v_add_f64_e32 v[4:5], v[4:5], v[98:99]
	v_add_f64_e32 v[12:13], v[12:13], v[122:123]
	ds_load_b128 v[8:11], v2 offset:1120
	ds_load_b128 v[96:99], v2 offset:1136
	;; [unrolled: 16-line block ×4, first 2 shown]
	s_wait_loadcnt_dscnt 0x101
	v_mul_f64_e32 v[94:95], v[8:9], v[108:109]
	v_mul_f64_e32 v[108:109], v[10:11], v[108:109]
	v_add_f64_e32 v[92:93], v[96:97], v[114:115]
	v_add_f64_e32 v[12:13], v[12:13], v[100:101]
	s_wait_loadcnt_dscnt 0x0
	v_mul_f64_e32 v[96:97], v[2:3], v[112:113]
	v_mul_f64_e32 v[100:101], v[4:5], v[112:113]
	v_fmac_f64_e32 v[94:95], v[10:11], v[106:107]
	v_fma_f64 v[8:9], v[8:9], v[106:107], -v[108:109]
	v_add_f64_e32 v[10:11], v[92:93], v[90:91]
	v_add_f64_e32 v[12:13], v[12:13], v[98:99]
	v_fmac_f64_e32 v[96:97], v[4:5], v[110:111]
	v_fma_f64 v[2:3], v[2:3], v[110:111], -v[100:101]
	s_delay_alu instid0(VALU_DEP_4) | instskip(NEXT) | instid1(VALU_DEP_4)
	v_add_f64_e32 v[4:5], v[10:11], v[8:9]
	v_add_f64_e32 v[8:9], v[12:13], v[94:95]
	s_delay_alu instid0(VALU_DEP_2) | instskip(NEXT) | instid1(VALU_DEP_2)
	v_add_f64_e32 v[2:3], v[4:5], v[2:3]
	v_add_f64_e32 v[4:5], v[8:9], v[96:97]
	s_delay_alu instid0(VALU_DEP_2) | instskip(NEXT) | instid1(VALU_DEP_2)
	v_add_f64_e64 v[2:3], v[138:139], -v[2:3]
	v_add_f64_e64 v[4:5], v[140:141], -v[4:5]
	scratch_store_b128 off, v[2:5], off offset:16
	s_wait_xcnt 0x0
	v_cmpx_ne_u32_e32 0, v1
	s_cbranch_execz .LBB37_241
; %bb.240:
	scratch_load_b128 v[2:5], off, off
	v_mov_b32_e32 v8, 0
	s_delay_alu instid0(VALU_DEP_1)
	v_dual_mov_b32 v9, v8 :: v_dual_mov_b32 v10, v8
	v_mov_b32_e32 v11, v8
	scratch_store_b128 off, v[8:11], off
	s_wait_loadcnt 0x0
	ds_store_b128 v6, v[2:5]
.LBB37_241:
	s_wait_xcnt 0x0
	s_or_b32 exec_lo, exec_lo, s2
	s_wait_storecnt_dscnt 0x0
	s_barrier_signal -1
	s_barrier_wait -1
	s_clause 0x9
	scratch_load_b128 v[2:5], off, off offset:16
	scratch_load_b128 v[6:9], off, off offset:32
	;; [unrolled: 1-line block ×10, first 2 shown]
	v_mov_b32_e32 v110, 0
	s_and_b32 vcc_lo, exec_lo, s50
	ds_load_b128 v[120:123], v110 offset:624
	s_clause 0x2
	scratch_load_b128 v[124:127], off, off offset:176
	scratch_load_b128 v[128:131], off, off
	scratch_load_b128 v[136:139], off, off offset:192
	s_wait_loadcnt_dscnt 0xc00
	v_mul_f64_e32 v[140:141], v[122:123], v[4:5]
	v_mul_f64_e32 v[144:145], v[120:121], v[4:5]
	ds_load_b128 v[132:135], v110 offset:640
	v_fma_f64 v[148:149], v[120:121], v[2:3], -v[140:141]
	v_fmac_f64_e32 v[144:145], v[122:123], v[2:3]
	ds_load_b128 v[2:5], v110 offset:656
	s_wait_loadcnt_dscnt 0xb01
	v_mul_f64_e32 v[146:147], v[132:133], v[8:9]
	v_mul_f64_e32 v[8:9], v[134:135], v[8:9]
	scratch_load_b128 v[120:123], off, off offset:208
	ds_load_b128 v[140:143], v110 offset:672
	s_wait_loadcnt_dscnt 0xb01
	v_mul_f64_e32 v[150:151], v[2:3], v[12:13]
	v_mul_f64_e32 v[12:13], v[4:5], v[12:13]
	v_add_f64_e32 v[144:145], 0, v[144:145]
	v_fmac_f64_e32 v[146:147], v[134:135], v[6:7]
	v_fma_f64 v[132:133], v[132:133], v[6:7], -v[8:9]
	v_add_f64_e32 v[134:135], 0, v[148:149]
	scratch_load_b128 v[6:9], off, off offset:224
	v_fmac_f64_e32 v[150:151], v[4:5], v[10:11]
	v_fma_f64 v[152:153], v[2:3], v[10:11], -v[12:13]
	ds_load_b128 v[2:5], v110 offset:688
	s_wait_loadcnt_dscnt 0xb01
	v_mul_f64_e32 v[148:149], v[140:141], v[92:93]
	v_mul_f64_e32 v[92:93], v[142:143], v[92:93]
	scratch_load_b128 v[10:13], off, off offset:240
	v_add_f64_e32 v[144:145], v[144:145], v[146:147]
	v_add_f64_e32 v[154:155], v[134:135], v[132:133]
	ds_load_b128 v[132:135], v110 offset:704
	s_wait_loadcnt_dscnt 0xb01
	v_mul_f64_e32 v[146:147], v[2:3], v[96:97]
	v_mul_f64_e32 v[96:97], v[4:5], v[96:97]
	v_fmac_f64_e32 v[148:149], v[142:143], v[90:91]
	v_fma_f64 v[140:141], v[140:141], v[90:91], -v[92:93]
	scratch_load_b128 v[90:93], off, off offset:256
	v_add_f64_e32 v[144:145], v[144:145], v[150:151]
	v_add_f64_e32 v[142:143], v[154:155], v[152:153]
	v_fmac_f64_e32 v[146:147], v[4:5], v[94:95]
	v_fma_f64 v[152:153], v[2:3], v[94:95], -v[96:97]
	ds_load_b128 v[2:5], v110 offset:720
	s_wait_loadcnt_dscnt 0xb01
	v_mul_f64_e32 v[150:151], v[132:133], v[100:101]
	v_mul_f64_e32 v[100:101], v[134:135], v[100:101]
	scratch_load_b128 v[94:97], off, off offset:272
	v_add_f64_e32 v[144:145], v[144:145], v[148:149]
	s_wait_loadcnt_dscnt 0xb00
	v_mul_f64_e32 v[148:149], v[2:3], v[104:105]
	v_add_f64_e32 v[154:155], v[142:143], v[140:141]
	v_mul_f64_e32 v[104:105], v[4:5], v[104:105]
	ds_load_b128 v[140:143], v110 offset:736
	v_fmac_f64_e32 v[150:151], v[134:135], v[98:99]
	v_fma_f64 v[132:133], v[132:133], v[98:99], -v[100:101]
	scratch_load_b128 v[98:101], off, off offset:288
	v_add_f64_e32 v[144:145], v[144:145], v[146:147]
	v_fmac_f64_e32 v[148:149], v[4:5], v[102:103]
	v_add_f64_e32 v[134:135], v[154:155], v[152:153]
	v_fma_f64 v[152:153], v[2:3], v[102:103], -v[104:105]
	ds_load_b128 v[2:5], v110 offset:752
	s_wait_loadcnt_dscnt 0xb01
	v_mul_f64_e32 v[146:147], v[140:141], v[108:109]
	v_mul_f64_e32 v[108:109], v[142:143], v[108:109]
	scratch_load_b128 v[102:105], off, off offset:304
	v_add_f64_e32 v[144:145], v[144:145], v[150:151]
	s_wait_loadcnt_dscnt 0xb00
	v_mul_f64_e32 v[150:151], v[2:3], v[114:115]
	v_add_f64_e32 v[154:155], v[134:135], v[132:133]
	v_mul_f64_e32 v[114:115], v[4:5], v[114:115]
	ds_load_b128 v[132:135], v110 offset:768
	v_fmac_f64_e32 v[146:147], v[142:143], v[106:107]
	v_fma_f64 v[140:141], v[140:141], v[106:107], -v[108:109]
	scratch_load_b128 v[106:109], off, off offset:320
	v_add_f64_e32 v[144:145], v[144:145], v[148:149]
	v_fmac_f64_e32 v[150:151], v[4:5], v[112:113]
	v_add_f64_e32 v[142:143], v[154:155], v[152:153]
	;; [unrolled: 18-line block ×3, first 2 shown]
	v_fma_f64 v[152:153], v[2:3], v[124:125], -v[126:127]
	ds_load_b128 v[2:5], v110 offset:816
	s_wait_loadcnt_dscnt 0xa01
	v_mul_f64_e32 v[150:151], v[140:141], v[138:139]
	v_mul_f64_e32 v[138:139], v[142:143], v[138:139]
	scratch_load_b128 v[124:127], off, off offset:368
	v_add_f64_e32 v[144:145], v[144:145], v[148:149]
	v_add_f64_e32 v[154:155], v[134:135], v[132:133]
	s_wait_loadcnt_dscnt 0xa00
	v_mul_f64_e32 v[148:149], v[2:3], v[122:123]
	v_mul_f64_e32 v[122:123], v[4:5], v[122:123]
	v_fmac_f64_e32 v[150:151], v[142:143], v[136:137]
	v_fma_f64 v[140:141], v[140:141], v[136:137], -v[138:139]
	ds_load_b128 v[132:135], v110 offset:832
	scratch_load_b128 v[136:139], off, off offset:384
	v_add_f64_e32 v[144:145], v[144:145], v[146:147]
	v_add_f64_e32 v[142:143], v[154:155], v[152:153]
	v_fmac_f64_e32 v[148:149], v[4:5], v[120:121]
	v_fma_f64 v[152:153], v[2:3], v[120:121], -v[122:123]
	ds_load_b128 v[2:5], v110 offset:848
	s_wait_loadcnt_dscnt 0xa01
	v_mul_f64_e32 v[146:147], v[132:133], v[8:9]
	v_mul_f64_e32 v[8:9], v[134:135], v[8:9]
	scratch_load_b128 v[120:123], off, off offset:400
	v_add_f64_e32 v[144:145], v[144:145], v[150:151]
	s_wait_loadcnt_dscnt 0xa00
	v_mul_f64_e32 v[150:151], v[2:3], v[12:13]
	v_add_f64_e32 v[154:155], v[142:143], v[140:141]
	v_mul_f64_e32 v[12:13], v[4:5], v[12:13]
	ds_load_b128 v[140:143], v110 offset:864
	v_fmac_f64_e32 v[146:147], v[134:135], v[6:7]
	v_fma_f64 v[132:133], v[132:133], v[6:7], -v[8:9]
	scratch_load_b128 v[6:9], off, off offset:416
	v_add_f64_e32 v[144:145], v[144:145], v[148:149]
	v_fmac_f64_e32 v[150:151], v[4:5], v[10:11]
	v_add_f64_e32 v[134:135], v[154:155], v[152:153]
	v_fma_f64 v[152:153], v[2:3], v[10:11], -v[12:13]
	ds_load_b128 v[2:5], v110 offset:880
	s_wait_loadcnt_dscnt 0xa01
	v_mul_f64_e32 v[148:149], v[140:141], v[92:93]
	v_mul_f64_e32 v[92:93], v[142:143], v[92:93]
	scratch_load_b128 v[10:13], off, off offset:432
	v_add_f64_e32 v[144:145], v[144:145], v[146:147]
	s_wait_loadcnt_dscnt 0xa00
	v_mul_f64_e32 v[146:147], v[2:3], v[96:97]
	v_add_f64_e32 v[154:155], v[134:135], v[132:133]
	v_mul_f64_e32 v[96:97], v[4:5], v[96:97]
	ds_load_b128 v[132:135], v110 offset:896
	v_fmac_f64_e32 v[148:149], v[142:143], v[90:91]
	v_fma_f64 v[140:141], v[140:141], v[90:91], -v[92:93]
	scratch_load_b128 v[90:93], off, off offset:448
	v_add_f64_e32 v[144:145], v[144:145], v[150:151]
	v_fmac_f64_e32 v[146:147], v[4:5], v[94:95]
	v_add_f64_e32 v[142:143], v[154:155], v[152:153]
	;; [unrolled: 18-line block ×6, first 2 shown]
	v_fma_f64 v[152:153], v[2:3], v[120:121], -v[122:123]
	ds_load_b128 v[2:5], v110 offset:1040
	s_wait_loadcnt_dscnt 0xa01
	v_mul_f64_e32 v[146:147], v[132:133], v[8:9]
	v_mul_f64_e32 v[8:9], v[134:135], v[8:9]
	scratch_load_b128 v[120:123], off, off offset:592
	v_add_f64_e32 v[144:145], v[144:145], v[150:151]
	s_wait_loadcnt_dscnt 0xa00
	v_mul_f64_e32 v[150:151], v[2:3], v[12:13]
	v_add_f64_e32 v[154:155], v[142:143], v[140:141]
	v_mul_f64_e32 v[12:13], v[4:5], v[12:13]
	ds_load_b128 v[140:143], v110 offset:1056
	v_fmac_f64_e32 v[146:147], v[134:135], v[6:7]
	v_fma_f64 v[6:7], v[132:133], v[6:7], -v[8:9]
	s_wait_loadcnt_dscnt 0x900
	v_mul_f64_e32 v[134:135], v[140:141], v[92:93]
	v_mul_f64_e32 v[92:93], v[142:143], v[92:93]
	v_add_f64_e32 v[132:133], v[144:145], v[148:149]
	v_fmac_f64_e32 v[150:151], v[4:5], v[10:11]
	v_add_f64_e32 v[8:9], v[154:155], v[152:153]
	v_fma_f64 v[10:11], v[2:3], v[10:11], -v[12:13]
	v_fmac_f64_e32 v[134:135], v[142:143], v[90:91]
	v_fma_f64 v[90:91], v[140:141], v[90:91], -v[92:93]
	v_add_f64_e32 v[132:133], v[132:133], v[146:147]
	v_add_f64_e32 v[12:13], v[8:9], v[6:7]
	ds_load_b128 v[2:5], v110 offset:1072
	ds_load_b128 v[6:9], v110 offset:1088
	s_wait_loadcnt_dscnt 0x801
	v_mul_f64_e32 v[144:145], v[2:3], v[96:97]
	v_mul_f64_e32 v[96:97], v[4:5], v[96:97]
	s_wait_loadcnt_dscnt 0x700
	v_mul_f64_e32 v[92:93], v[6:7], v[100:101]
	v_mul_f64_e32 v[100:101], v[8:9], v[100:101]
	v_add_f64_e32 v[10:11], v[12:13], v[10:11]
	v_add_f64_e32 v[12:13], v[132:133], v[150:151]
	v_fmac_f64_e32 v[144:145], v[4:5], v[94:95]
	v_fma_f64 v[94:95], v[2:3], v[94:95], -v[96:97]
	v_fmac_f64_e32 v[92:93], v[8:9], v[98:99]
	v_fma_f64 v[6:7], v[6:7], v[98:99], -v[100:101]
	v_add_f64_e32 v[90:91], v[10:11], v[90:91]
	v_add_f64_e32 v[96:97], v[12:13], v[134:135]
	ds_load_b128 v[2:5], v110 offset:1104
	ds_load_b128 v[10:13], v110 offset:1120
	s_wait_loadcnt_dscnt 0x601
	v_mul_f64_e32 v[132:133], v[2:3], v[104:105]
	v_mul_f64_e32 v[104:105], v[4:5], v[104:105]
	v_add_f64_e32 v[8:9], v[90:91], v[94:95]
	v_add_f64_e32 v[90:91], v[96:97], v[144:145]
	s_wait_loadcnt_dscnt 0x500
	v_mul_f64_e32 v[94:95], v[10:11], v[108:109]
	v_mul_f64_e32 v[96:97], v[12:13], v[108:109]
	v_lshl_add_u64 v[108:109], v[18:19], 4, s[4:5]
	v_lshl_add_u64 v[18:19], v[50:51], 4, s[4:5]
	v_lshl_add_u64 v[50:51], v[82:83], 4, s[4:5]
	v_fmac_f64_e32 v[132:133], v[4:5], v[102:103]
	v_fma_f64 v[98:99], v[2:3], v[102:103], -v[104:105]
	v_add_f64_e32 v[100:101], v[8:9], v[6:7]
	v_add_f64_e32 v[90:91], v[90:91], v[92:93]
	ds_load_b128 v[2:5], v110 offset:1136
	ds_load_b128 v[6:9], v110 offset:1152
	v_fmac_f64_e32 v[94:95], v[12:13], v[106:107]
	v_fma_f64 v[10:11], v[10:11], v[106:107], -v[96:97]
	v_lshl_add_u64 v[106:107], v[20:21], 4, s[4:5]
	v_lshl_add_u64 v[20:21], v[52:53], 4, s[4:5]
	;; [unrolled: 1-line block ×3, first 2 shown]
	s_wait_loadcnt_dscnt 0x401
	v_mul_f64_e32 v[92:93], v[2:3], v[114:115]
	v_mul_f64_e32 v[102:103], v[4:5], v[114:115]
	s_wait_loadcnt_dscnt 0x300
	v_mul_f64_e32 v[96:97], v[6:7], v[118:119]
	v_add_f64_e32 v[12:13], v[100:101], v[98:99]
	v_add_f64_e32 v[90:91], v[90:91], v[132:133]
	v_mul_f64_e32 v[98:99], v[8:9], v[118:119]
	v_fmac_f64_e32 v[92:93], v[4:5], v[112:113]
	v_fma_f64 v[100:101], v[2:3], v[112:113], -v[102:103]
	v_fmac_f64_e32 v[96:97], v[8:9], v[116:117]
	v_add_f64_e32 v[102:103], v[12:13], v[10:11]
	v_add_f64_e32 v[90:91], v[90:91], v[94:95]
	ds_load_b128 v[2:5], v110 offset:1168
	ds_load_b128 v[10:13], v110 offset:1184
	v_fma_f64 v[6:7], v[6:7], v[116:117], -v[98:99]
	s_wait_loadcnt_dscnt 0x201
	v_mul_f64_e32 v[94:95], v[2:3], v[126:127]
	v_mul_f64_e32 v[104:105], v[4:5], v[126:127]
	s_wait_loadcnt_dscnt 0x100
	v_mul_f64_e32 v[98:99], v[12:13], v[138:139]
	v_add_f64_e32 v[8:9], v[102:103], v[100:101]
	v_add_f64_e32 v[90:91], v[90:91], v[92:93]
	v_mul_f64_e32 v[92:93], v[10:11], v[138:139]
	v_lshl_add_u64 v[102:103], v[22:23], 4, s[4:5]
	v_lshl_add_u64 v[22:23], v[54:55], 4, s[4:5]
	;; [unrolled: 1-line block ×3, first 2 shown]
	v_fmac_f64_e32 v[94:95], v[4:5], v[124:125]
	v_fma_f64 v[100:101], v[2:3], v[124:125], -v[104:105]
	ds_load_b128 v[2:5], v110 offset:1200
	v_fma_f64 v[10:11], v[10:11], v[136:137], -v[98:99]
	v_lshl_add_u64 v[104:105], v[24:25], 4, s[4:5]
	v_lshl_add_u64 v[98:99], v[32:33], 4, s[4:5]
	;; [unrolled: 1-line block ×5, first 2 shown]
	v_add_f64_e32 v[6:7], v[8:9], v[6:7]
	v_add_f64_e32 v[8:9], v[90:91], v[96:97]
	v_fmac_f64_e32 v[92:93], v[12:13], v[136:137]
	v_lshl_add_u64 v[12:13], v[48:49], 4, s[4:5]
	v_lshl_add_u64 v[48:49], v[80:81], 4, s[4:5]
	s_wait_loadcnt_dscnt 0x0
	v_mul_f64_e32 v[90:91], v[2:3], v[122:123]
	v_mul_f64_e32 v[96:97], v[4:5], v[122:123]
	v_add_f64_e32 v[6:7], v[6:7], v[100:101]
	v_add_f64_e32 v[8:9], v[8:9], v[94:95]
	v_lshl_add_u64 v[100:101], v[26:27], 4, s[4:5]
	v_lshl_add_u64 v[94:95], v[28:29], 4, s[4:5]
	;; [unrolled: 1-line block ×4, first 2 shown]
	v_fmac_f64_e32 v[90:91], v[4:5], v[120:121]
	v_fma_f64 v[2:3], v[2:3], v[120:121], -v[96:97]
	v_lshl_add_u64 v[96:97], v[30:31], 4, s[4:5]
	v_lshl_add_u64 v[30:31], v[62:63], 4, s[4:5]
	v_add_f64_e32 v[4:5], v[6:7], v[10:11]
	v_add_f64_e32 v[6:7], v[8:9], v[92:93]
	v_lshl_add_u64 v[92:93], v[34:35], 4, s[4:5]
	v_lshl_add_u64 v[8:9], v[44:45], 4, s[4:5]
	;; [unrolled: 1-line block ×6, first 2 shown]
	v_add_f64_e32 v[2:3], v[4:5], v[2:3]
	v_add_f64_e32 v[4:5], v[6:7], v[90:91]
	v_lshl_add_u64 v[90:91], v[36:37], 4, s[4:5]
	v_lshl_add_u64 v[6:7], v[42:43], 4, s[4:5]
	;; [unrolled: 1-line block ×4, first 2 shown]
	v_add_f64_e64 v[112:113], v[128:129], -v[2:3]
	v_add_f64_e64 v[114:115], v[130:131], -v[4:5]
	v_lshl_add_u64 v[2:3], v[38:39], 4, s[4:5]
	v_lshl_add_u64 v[4:5], v[40:41], 4, s[4:5]
	;; [unrolled: 1-line block ×4, first 2 shown]
	scratch_store_b128 off, v[112:115], off
	s_cbranch_vccz .LBB37_316
; %bb.242:
	global_load_b32 v58, v110, s[16:17] offset:144
	s_load_b64 s[2:3], s[0:1], 0x4
	v_bfe_u32 v59, v0, 10, 10
	v_bfe_u32 v0, v0, 20, 10
	s_wait_kmcnt 0x0
	s_lshr_b32 s0, s2, 16
	s_delay_alu instid0(VALU_DEP_2) | instskip(SKIP_1) | instid1(SALU_CYCLE_1)
	v_mul_u32_u24_e32 v59, s3, v59
	s_mul_i32 s0, s0, s3
	v_mul_u32_u24_e32 v1, s0, v1
	s_delay_alu instid0(VALU_DEP_1) | instskip(NEXT) | instid1(VALU_DEP_1)
	v_add3_u32 v0, v1, v59, v0
	v_lshl_add_u32 v0, v0, 4, 0x4c8
	s_wait_loadcnt 0x0
	v_cmp_ne_u32_e32 vcc_lo, 37, v58
	s_cbranch_vccz .LBB37_244
; %bb.243:
	v_lshlrev_b32_e32 v1, 4, v58
	s_clause 0x1
	scratch_load_b128 v[58:61], off, s15
	scratch_load_b128 v[62:65], v1, off offset:-16
	s_wait_loadcnt 0x1
	ds_store_2addr_b64 v0, v[58:59], v[60:61] offset1:1
	s_wait_loadcnt 0x0
	s_clause 0x1
	scratch_store_b128 off, v[62:65], s15
	scratch_store_b128 v1, v[58:61], off offset:-16
.LBB37_244:
	s_wait_xcnt 0x0
	v_mov_b32_e32 v1, 0
	global_load_b32 v58, v1, s[16:17] offset:140
	s_wait_loadcnt 0x0
	v_cmp_eq_u32_e32 vcc_lo, 36, v58
	s_cbranch_vccnz .LBB37_246
; %bb.245:
	v_lshlrev_b32_e32 v58, 4, v58
	s_delay_alu instid0(VALU_DEP_1)
	v_mov_b32_e32 v66, v58
	s_clause 0x1
	scratch_load_b128 v[58:61], off, s13
	scratch_load_b128 v[62:65], v66, off offset:-16
	s_wait_loadcnt 0x1
	ds_store_2addr_b64 v0, v[58:59], v[60:61] offset1:1
	s_wait_loadcnt 0x0
	s_clause 0x1
	scratch_store_b128 off, v[62:65], s13
	scratch_store_b128 v66, v[58:61], off offset:-16
.LBB37_246:
	global_load_b32 v1, v1, s[16:17] offset:136
	s_wait_loadcnt 0x0
	v_cmp_eq_u32_e32 vcc_lo, 35, v1
	s_cbranch_vccnz .LBB37_248
; %bb.247:
	s_wait_xcnt 0x0
	v_lshlrev_b32_e32 v1, 4, v1
	s_clause 0x1
	scratch_load_b128 v[58:61], off, s22
	scratch_load_b128 v[62:65], v1, off offset:-16
	s_wait_loadcnt 0x1
	ds_store_2addr_b64 v0, v[58:59], v[60:61] offset1:1
	s_wait_loadcnt 0x0
	s_clause 0x1
	scratch_store_b128 off, v[62:65], s22
	scratch_store_b128 v1, v[58:61], off offset:-16
.LBB37_248:
	s_wait_xcnt 0x0
	v_mov_b32_e32 v1, 0
	global_load_b32 v58, v1, s[16:17] offset:132
	s_wait_loadcnt 0x0
	v_cmp_eq_u32_e32 vcc_lo, 34, v58
	s_cbranch_vccnz .LBB37_250
; %bb.249:
	v_lshlrev_b32_e32 v58, 4, v58
	s_delay_alu instid0(VALU_DEP_1)
	v_mov_b32_e32 v66, v58
	s_clause 0x1
	scratch_load_b128 v[58:61], off, s21
	scratch_load_b128 v[62:65], v66, off offset:-16
	s_wait_loadcnt 0x1
	ds_store_2addr_b64 v0, v[58:59], v[60:61] offset1:1
	s_wait_loadcnt 0x0
	s_clause 0x1
	scratch_store_b128 off, v[62:65], s21
	scratch_store_b128 v66, v[58:61], off offset:-16
.LBB37_250:
	global_load_b32 v1, v1, s[16:17] offset:128
	s_wait_loadcnt 0x0
	v_cmp_eq_u32_e32 vcc_lo, 33, v1
	s_cbranch_vccnz .LBB37_252
; %bb.251:
	s_wait_xcnt 0x0
	v_lshlrev_b32_e32 v1, 4, v1
	s_clause 0x1
	scratch_load_b128 v[58:61], off, s27
	scratch_load_b128 v[62:65], v1, off offset:-16
	s_wait_loadcnt 0x1
	ds_store_2addr_b64 v0, v[58:59], v[60:61] offset1:1
	s_wait_loadcnt 0x0
	s_clause 0x1
	scratch_store_b128 off, v[62:65], s27
	scratch_store_b128 v1, v[58:61], off offset:-16
.LBB37_252:
	;; [unrolled: 37-line block ×17, first 2 shown]
	s_wait_xcnt 0x0
	v_mov_b32_e32 v1, 0
	global_load_b32 v58, v1, s[16:17] offset:4
	s_wait_loadcnt 0x0
	v_cmp_eq_u32_e32 vcc_lo, 2, v58
	s_cbranch_vccnz .LBB37_314
; %bb.313:
	v_lshlrev_b32_e32 v58, 4, v58
	s_delay_alu instid0(VALU_DEP_1)
	v_mov_b32_e32 v66, v58
	s_clause 0x1
	scratch_load_b128 v[58:61], off, s38
	scratch_load_b128 v[62:65], v66, off offset:-16
	s_wait_loadcnt 0x1
	ds_store_2addr_b64 v0, v[58:59], v[60:61] offset1:1
	s_wait_loadcnt 0x0
	s_clause 0x1
	scratch_store_b128 off, v[62:65], s38
	scratch_store_b128 v66, v[58:61], off offset:-16
.LBB37_314:
	global_load_b32 v1, v1, s[16:17]
	s_wait_loadcnt 0x0
	v_cmp_eq_u32_e32 vcc_lo, 1, v1
	s_cbranch_vccnz .LBB37_316
; %bb.315:
	s_wait_xcnt 0x0
	v_lshlrev_b32_e32 v1, 4, v1
	scratch_load_b128 v[58:61], off, off
	scratch_load_b128 v[62:65], v1, off offset:-16
	s_wait_loadcnt 0x1
	ds_store_2addr_b64 v0, v[58:59], v[60:61] offset1:1
	s_wait_loadcnt 0x0
	scratch_store_b128 off, v[62:65], off
	scratch_store_b128 v1, v[58:61], off offset:-16
.LBB37_316:
	scratch_load_b128 v[58:61], off, off
	s_clause 0x12
	scratch_load_b128 v[62:65], off, s38
	scratch_load_b128 v[66:69], off, s35
	;; [unrolled: 1-line block ×15, first 2 shown]
	; meta instruction
	; meta instruction
	;; [unrolled: 1-line block ×15, first 2 shown]
	scratch_load_b128 v[142:145], off, s30
	scratch_load_b128 v[146:149], off, s31
	;; [unrolled: 1-line block ×4, first 2 shown]
	s_wait_loadcnt 0x13
	global_store_b128 v[14:15], v[58:61], off
	s_wait_loadcnt 0x12
	global_store_b128 v[16:17], v[62:65], off
	s_clause 0x1
	scratch_load_b128 v[14:17], off, s28
	scratch_load_b128 v[58:61], off, s29
	s_wait_loadcnt 0x13
	global_store_b128 v[108:109], v[66:69], off
	s_clause 0x1
	scratch_load_b128 v[62:65], off, s24
	scratch_load_b128 v[66:69], off, s26
	s_wait_loadcnt 0x14
	global_store_b128 v[106:107], v[70:73], off
	s_clause 0x1
	scratch_load_b128 v[70:73], off, s20
	scratch_load_b128 v[106:109], off, s23
	s_wait_loadcnt 0x15
	global_store_b128 v[102:103], v[74:77], off
	s_wait_loadcnt 0x14
	global_store_b128 v[104:105], v[78:81], off
	s_clause 0x1
	scratch_load_b128 v[74:77], off, s12
	scratch_load_b128 v[78:81], off, s14
	s_wait_loadcnt 0x15
	global_store_b128 v[100:101], v[82:85], off
	s_clause 0x1
	scratch_load_b128 v[82:85], off, s10
	scratch_load_b128 v[100:103], off, s11
	s_wait_loadcnt 0x16
	global_store_b128 v[94:95], v[86:89], off
	s_clause 0x1
	scratch_load_b128 v[86:89], off, s8
	scratch_load_b128 v[158:161], off, s9
	;; [unrolled: 17-line block ×3, first 2 shown]
	s_wait_loadcnt 0x19
	global_store_b128 v[2:3], v[126:129], off
	s_wait_loadcnt 0x18
	global_store_b128 v[4:5], v[130:133], off
	;; [unrolled: 2-line block ×24, first 2 shown]
	s_wait_loadcnt 0x0
	s_clause 0x1
	global_store_b128 v[54:55], v[122:125], off
	global_store_b128 v[56:57], v[154:157], off
	s_sendmsg sendmsg(MSG_DEALLOC_VGPRS)
	s_endpgm
	.section	.rodata,"a",@progbits
	.p2align	6, 0x0
	.amdhsa_kernel _ZN9rocsolver6v33100L18getri_kernel_smallILi38E19rocblas_complex_numIdEPS3_EEvT1_iilPiilS6_bb
		.amdhsa_group_segment_fixed_size 2248
		.amdhsa_private_segment_fixed_size 624
		.amdhsa_kernarg_size 60
		.amdhsa_user_sgpr_count 4
		.amdhsa_user_sgpr_dispatch_ptr 1
		.amdhsa_user_sgpr_queue_ptr 0
		.amdhsa_user_sgpr_kernarg_segment_ptr 1
		.amdhsa_user_sgpr_dispatch_id 0
		.amdhsa_user_sgpr_kernarg_preload_length 0
		.amdhsa_user_sgpr_kernarg_preload_offset 0
		.amdhsa_user_sgpr_private_segment_size 0
		.amdhsa_wavefront_size32 1
		.amdhsa_uses_dynamic_stack 0
		.amdhsa_enable_private_segment 1
		.amdhsa_system_sgpr_workgroup_id_x 1
		.amdhsa_system_sgpr_workgroup_id_y 0
		.amdhsa_system_sgpr_workgroup_id_z 0
		.amdhsa_system_sgpr_workgroup_info 0
		.amdhsa_system_vgpr_workitem_id 2
		.amdhsa_next_free_vgpr 164
		.amdhsa_next_free_sgpr 66
		.amdhsa_named_barrier_count 0
		.amdhsa_reserve_vcc 1
		.amdhsa_float_round_mode_32 0
		.amdhsa_float_round_mode_16_64 0
		.amdhsa_float_denorm_mode_32 3
		.amdhsa_float_denorm_mode_16_64 3
		.amdhsa_fp16_overflow 0
		.amdhsa_memory_ordered 1
		.amdhsa_forward_progress 1
		.amdhsa_inst_pref_size 255
		.amdhsa_round_robin_scheduling 0
		.amdhsa_exception_fp_ieee_invalid_op 0
		.amdhsa_exception_fp_denorm_src 0
		.amdhsa_exception_fp_ieee_div_zero 0
		.amdhsa_exception_fp_ieee_overflow 0
		.amdhsa_exception_fp_ieee_underflow 0
		.amdhsa_exception_fp_ieee_inexact 0
		.amdhsa_exception_int_div_zero 0
	.end_amdhsa_kernel
	.section	.text._ZN9rocsolver6v33100L18getri_kernel_smallILi38E19rocblas_complex_numIdEPS3_EEvT1_iilPiilS6_bb,"axG",@progbits,_ZN9rocsolver6v33100L18getri_kernel_smallILi38E19rocblas_complex_numIdEPS3_EEvT1_iilPiilS6_bb,comdat
.Lfunc_end37:
	.size	_ZN9rocsolver6v33100L18getri_kernel_smallILi38E19rocblas_complex_numIdEPS3_EEvT1_iilPiilS6_bb, .Lfunc_end37-_ZN9rocsolver6v33100L18getri_kernel_smallILi38E19rocblas_complex_numIdEPS3_EEvT1_iilPiilS6_bb
                                        ; -- End function
	.set _ZN9rocsolver6v33100L18getri_kernel_smallILi38E19rocblas_complex_numIdEPS3_EEvT1_iilPiilS6_bb.num_vgpr, 164
	.set _ZN9rocsolver6v33100L18getri_kernel_smallILi38E19rocblas_complex_numIdEPS3_EEvT1_iilPiilS6_bb.num_agpr, 0
	.set _ZN9rocsolver6v33100L18getri_kernel_smallILi38E19rocblas_complex_numIdEPS3_EEvT1_iilPiilS6_bb.numbered_sgpr, 66
	.set _ZN9rocsolver6v33100L18getri_kernel_smallILi38E19rocblas_complex_numIdEPS3_EEvT1_iilPiilS6_bb.num_named_barrier, 0
	.set _ZN9rocsolver6v33100L18getri_kernel_smallILi38E19rocblas_complex_numIdEPS3_EEvT1_iilPiilS6_bb.private_seg_size, 624
	.set _ZN9rocsolver6v33100L18getri_kernel_smallILi38E19rocblas_complex_numIdEPS3_EEvT1_iilPiilS6_bb.uses_vcc, 1
	.set _ZN9rocsolver6v33100L18getri_kernel_smallILi38E19rocblas_complex_numIdEPS3_EEvT1_iilPiilS6_bb.uses_flat_scratch, 1
	.set _ZN9rocsolver6v33100L18getri_kernel_smallILi38E19rocblas_complex_numIdEPS3_EEvT1_iilPiilS6_bb.has_dyn_sized_stack, 0
	.set _ZN9rocsolver6v33100L18getri_kernel_smallILi38E19rocblas_complex_numIdEPS3_EEvT1_iilPiilS6_bb.has_recursion, 0
	.set _ZN9rocsolver6v33100L18getri_kernel_smallILi38E19rocblas_complex_numIdEPS3_EEvT1_iilPiilS6_bb.has_indirect_call, 0
	.section	.AMDGPU.csdata,"",@progbits
; Kernel info:
; codeLenInByte = 60344
; TotalNumSgprs: 68
; NumVgprs: 164
; ScratchSize: 624
; MemoryBound: 0
; FloatMode: 240
; IeeeMode: 1
; LDSByteSize: 2248 bytes/workgroup (compile time only)
; SGPRBlocks: 0
; VGPRBlocks: 10
; NumSGPRsForWavesPerEU: 68
; NumVGPRsForWavesPerEU: 164
; NamedBarCnt: 0
; Occupancy: 5
; WaveLimiterHint : 1
; COMPUTE_PGM_RSRC2:SCRATCH_EN: 1
; COMPUTE_PGM_RSRC2:USER_SGPR: 4
; COMPUTE_PGM_RSRC2:TRAP_HANDLER: 0
; COMPUTE_PGM_RSRC2:TGID_X_EN: 1
; COMPUTE_PGM_RSRC2:TGID_Y_EN: 0
; COMPUTE_PGM_RSRC2:TGID_Z_EN: 0
; COMPUTE_PGM_RSRC2:TIDIG_COMP_CNT: 2
	.section	.text._ZN9rocsolver6v33100L18getri_kernel_smallILi39E19rocblas_complex_numIdEPS3_EEvT1_iilPiilS6_bb,"axG",@progbits,_ZN9rocsolver6v33100L18getri_kernel_smallILi39E19rocblas_complex_numIdEPS3_EEvT1_iilPiilS6_bb,comdat
	.globl	_ZN9rocsolver6v33100L18getri_kernel_smallILi39E19rocblas_complex_numIdEPS3_EEvT1_iilPiilS6_bb ; -- Begin function _ZN9rocsolver6v33100L18getri_kernel_smallILi39E19rocblas_complex_numIdEPS3_EEvT1_iilPiilS6_bb
	.p2align	8
	.type	_ZN9rocsolver6v33100L18getri_kernel_smallILi39E19rocblas_complex_numIdEPS3_EEvT1_iilPiilS6_bb,@function
_ZN9rocsolver6v33100L18getri_kernel_smallILi39E19rocblas_complex_numIdEPS3_EEvT1_iilPiilS6_bb: ; @_ZN9rocsolver6v33100L18getri_kernel_smallILi39E19rocblas_complex_numIdEPS3_EEvT1_iilPiilS6_bb
; %bb.0:
	v_and_b32_e32 v1, 0x3ff, v0
	s_mov_b32 s4, exec_lo
	s_delay_alu instid0(VALU_DEP_1)
	v_cmpx_gt_u32_e32 39, v1
	s_cbranch_execz .LBB38_170
; %bb.1:
	s_clause 0x2
	s_load_b32 s8, s[2:3], 0x38
	s_load_b128 s[12:15], s[2:3], 0x10
	s_load_b128 s[4:7], s[2:3], 0x28
	s_getreg_b32 s11, hwreg(HW_REG_IB_STS2, 6, 4)
                                        ; implicit-def: $sgpr16_sgpr17
	s_wait_kmcnt 0x0
	s_bitcmp1_b32 s8, 8
	s_cselect_b32 s51, -1, 0
	s_bfe_u32 s9, ttmp6, 0x4000c
	s_and_b32 s10, ttmp6, 15
	s_add_co_i32 s9, s9, 1
	s_delay_alu instid0(SALU_CYCLE_1) | instskip(NEXT) | instid1(SALU_CYCLE_1)
	s_mul_i32 s9, ttmp9, s9
	s_add_co_i32 s10, s10, s9
	s_cmp_eq_u32 s11, 0
	s_cselect_b32 s18, ttmp9, s10
	s_bfe_u32 s8, s8, 0x10008
	s_ashr_i32 s19, s18, 31
	s_cmp_eq_u32 s8, 0
	s_cbranch_scc1 .LBB38_3
; %bb.2:
	s_load_b32 s8, s[2:3], 0x20
	s_mul_u64 s[4:5], s[4:5], s[18:19]
	s_delay_alu instid0(SALU_CYCLE_1) | instskip(NEXT) | instid1(SALU_CYCLE_1)
	s_lshl_b64 s[4:5], s[4:5], 2
	s_add_nc_u64 s[4:5], s[14:15], s[4:5]
	s_wait_kmcnt 0x0
	s_ashr_i32 s9, s8, 31
	s_delay_alu instid0(SALU_CYCLE_1) | instskip(NEXT) | instid1(SALU_CYCLE_1)
	s_lshl_b64 s[8:9], s[8:9], 2
	s_add_nc_u64 s[16:17], s[4:5], s[8:9]
.LBB38_3:
	s_clause 0x1
	s_load_b128 s[8:11], s[2:3], 0x0
	s_load_b32 s52, s[2:3], 0x38
	s_wait_xcnt 0x0
	s_mul_u64 s[2:3], s[12:13], s[18:19]
	s_movk_i32 s53, 0x170
	s_lshl_b64 s[2:3], s[2:3], 4
	s_movk_i32 s54, 0x180
	s_movk_i32 s55, 0x190
	;; [unrolled: 1-line block ×15, first 2 shown]
	s_wait_kmcnt 0x0
	v_add3_u32 v20, s11, s11, v1
	s_ashr_i32 s5, s10, 31
	s_mov_b32 s4, s10
	s_add_nc_u64 s[2:3], s[8:9], s[2:3]
	s_lshl_b64 s[4:5], s[4:5], 4
	v_add_nc_u32_e32 v22, s11, v20
	s_add_nc_u64 s[4:5], s[2:3], s[4:5]
	s_ashr_i32 s3, s11, 31
	s_mov_b32 s2, s11
	s_mov_b32 s34, 16
	v_add_nc_u32_e32 v24, s11, v22
	s_mov_b32 s28, 32
	s_mov_b32 s30, 48
	;; [unrolled: 1-line block ×3, first 2 shown]
	s_movk_i32 s42, 0x50
	v_add_nc_u32_e32 v26, s11, v24
	s_movk_i32 s44, 0x60
	s_movk_i32 s47, 0x70
	;; [unrolled: 1-line block ×4, first 2 shown]
	v_add_nc_u32_e32 v28, s11, v26
	s_clause 0x1
	global_load_b128 v[2:5], v20, s[4:5] scale_offset
	global_load_b128 v[6:9], v22, s[4:5] scale_offset
	s_movk_i32 s43, 0xa0
	s_movk_i32 s46, 0xb0
	;; [unrolled: 1-line block ×3, first 2 shown]
	v_add_nc_u32_e32 v30, s11, v28
	global_load_b128 v[10:13], v24, s[4:5] scale_offset
	s_movk_i32 s49, 0xd0
	s_movk_i32 s50, 0xe0
	s_movk_i32 s45, 0xf0
	v_dual_add_nc_u32 v32, s11, v30 :: v_dual_lshlrev_b32 v14, 4, v1
	s_movk_i32 s37, 0x100
	s_movk_i32 s38, 0x110
	;; [unrolled: 1-line block ×3, first 2 shown]
	s_delay_alu instid0(VALU_DEP_1) | instskip(SKIP_3) | instid1(VALU_DEP_1)
	v_dual_mov_b32 v15, 0 :: v_dual_add_nc_u32 v34, s11, v32
	s_movk_i32 s35, 0x130
	s_movk_i32 s36, 0x140
	;; [unrolled: 1-line block ×3, first 2 shown]
	v_add_nc_u32_e32 v36, s11, v34
	v_add_nc_u64_e32 v[16:17], s[4:5], v[14:15]
	s_movk_i32 s31, 0x160
	s_mov_b32 s26, s53
	s_mov_b32 s27, s54
	v_add_nc_u32_e32 v38, s11, v36
	s_mov_b32 s24, s55
	s_mov_b32 s25, s56
	v_lshl_add_u64 v[18:19], s[2:3], 4, v[16:17]
	s_mov_b32 s22, s57
	v_add_nc_u32_e32 v40, s11, v38
	s_clause 0x6
	global_load_b128 v[82:85], v1, s[4:5] scale_offset
	global_load_b128 v[86:89], v[18:19], off
	global_load_b128 v[90:93], v26, s[4:5] scale_offset
	global_load_b128 v[94:97], v28, s[4:5] scale_offset
	;; [unrolled: 1-line block ×5, first 2 shown]
	v_add_nc_u32_e32 v42, s11, v40
	s_mov_b32 s23, s58
	s_mov_b32 s14, s59
	;; [unrolled: 1-line block ×4, first 2 shown]
	v_add_nc_u32_e32 v44, s11, v42
	s_clause 0x1
	global_load_b128 v[110:113], v36, s[4:5] scale_offset
	global_load_b128 v[114:117], v38, s[4:5] scale_offset
	s_mov_b32 s9, s63
	s_mov_b32 s10, s64
	;; [unrolled: 1-line block ×3, first 2 shown]
	v_add_nc_u32_e32 v46, s11, v44
	s_mov_b32 s21, s66
	s_mov_b32 s13, s67
	;; [unrolled: 1-line block ×3, first 2 shown]
	s_bitcmp0_b32 s52, 0
	v_add_nc_u32_e32 v48, s11, v46
	s_clause 0x2
	global_load_b128 v[118:121], v40, s[4:5] scale_offset
	global_load_b128 v[122:125], v42, s[4:5] scale_offset
	;; [unrolled: 1-line block ×3, first 2 shown]
	s_mov_b32 s3, -1
	s_clause 0x1
	global_load_b128 v[130:133], v46, s[4:5] scale_offset
	global_load_b128 v[134:137], v48, s[4:5] scale_offset
	v_add_nc_u32_e32 v50, s11, v48
	s_delay_alu instid0(VALU_DEP_1) | instskip(NEXT) | instid1(VALU_DEP_1)
	v_add_nc_u32_e32 v52, s11, v50
	v_add_nc_u32_e32 v54, s11, v52
	s_delay_alu instid0(VALU_DEP_1) | instskip(NEXT) | instid1(VALU_DEP_1)
	v_add_nc_u32_e32 v56, s11, v54
	v_add_nc_u32_e32 v58, s11, v56
	s_delay_alu instid0(VALU_DEP_1)
	v_add_nc_u32_e32 v60, s11, v58
	s_clause 0x4
	global_load_b128 v[138:141], v50, s[4:5] scale_offset
	global_load_b128 v[142:145], v52, s[4:5] scale_offset
	;; [unrolled: 1-line block ×5, first 2 shown]
	s_wait_loadcnt 0x15
	scratch_store_b128 off, v[2:5], off offset:32
	s_wait_loadcnt 0x14
	scratch_store_b128 off, v[6:9], off offset:48
	v_add_nc_u32_e32 v62, s11, v60
	s_delay_alu instid0(VALU_DEP_1) | instskip(NEXT) | instid1(VALU_DEP_1)
	v_add_nc_u32_e32 v64, s11, v62
	v_add_nc_u32_e32 v66, s11, v64
	s_delay_alu instid0(VALU_DEP_1)
	v_add_nc_u32_e32 v68, s11, v66
	s_clause 0x1
	global_load_b128 v[2:5], v60, s[4:5] scale_offset
	global_load_b128 v[6:9], v62, s[4:5] scale_offset
	s_wait_loadcnt 0x15
	scratch_store_b128 off, v[10:13], off offset:64
	s_wait_loadcnt 0x14
	scratch_store_b128 off, v[82:85], off
	s_wait_loadcnt 0x13
	scratch_store_b128 off, v[86:89], off offset:16
	v_add_nc_u32_e32 v70, s11, v68
	s_delay_alu instid0(VALU_DEP_1)
	v_add_nc_u32_e32 v72, s11, v70
	s_clause 0x1
	global_load_b128 v[10:13], v64, s[4:5] scale_offset
	global_load_b128 v[158:161], v66, s[4:5] scale_offset
	s_wait_loadcnt 0x14
	scratch_store_b128 off, v[90:93], off offset:80
	s_wait_loadcnt 0x13
	scratch_store_b128 off, v[94:97], off offset:96
	s_clause 0x1
	global_load_b128 v[94:97], v68, s[4:5] scale_offset
	global_load_b128 v[162:165], v70, s[4:5] scale_offset
	s_wait_loadcnt 0x14
	scratch_store_b128 off, v[98:101], off offset:112
	v_add_nc_u32_e32 v74, s11, v72
	s_wait_loadcnt 0x13
	scratch_store_b128 off, v[102:105], off offset:128
	s_wait_loadcnt 0x12
	scratch_store_b128 off, v[106:109], off offset:144
	v_add_nc_u32_e32 v76, s11, v74
	s_delay_alu instid0(VALU_DEP_1) | instskip(NEXT) | instid1(VALU_DEP_1)
	v_add_nc_u32_e32 v78, s11, v76
	v_add_nc_u32_e32 v80, s11, v78
	s_clause 0x1
	global_load_b128 v[98:101], v72, s[4:5] scale_offset
	global_load_b128 v[102:105], v74, s[4:5] scale_offset
	s_wait_loadcnt 0x13
	scratch_store_b128 off, v[110:113], off offset:160
	s_wait_loadcnt 0x12
	scratch_store_b128 off, v[114:117], off offset:176
	v_add_nc_u32_e32 v82, s11, v80
	s_delay_alu instid0(VALU_DEP_1)
	v_add_nc_u32_e32 v84, s11, v82
	s_clause 0x1
	global_load_b128 v[106:109], v76, s[4:5] scale_offset
	global_load_b128 v[110:113], v78, s[4:5] scale_offset
	s_wait_loadcnt 0x13
	scratch_store_b128 off, v[118:121], off offset:192
	s_wait_loadcnt 0x12
	scratch_store_b128 off, v[122:125], off offset:208
	;; [unrolled: 2-line block ×3, first 2 shown]
	s_clause 0x1
	global_load_b128 v[114:117], v80, s[4:5] scale_offset
	global_load_b128 v[118:121], v82, s[4:5] scale_offset
	v_add_nc_u32_e32 v86, s11, v84
	s_wait_loadcnt 0x12
	scratch_store_b128 off, v[130:133], off offset:240
	s_wait_loadcnt 0x11
	scratch_store_b128 off, v[134:137], off offset:256
	v_add_nc_u32_e32 v88, s11, v86
	s_delay_alu instid0(VALU_DEP_1) | instskip(NEXT) | instid1(VALU_DEP_1)
	v_add_nc_u32_e32 v90, s11, v88
	v_add_nc_u32_e32 v92, s11, v90
	s_clause 0x1
	global_load_b128 v[122:125], v84, s[4:5] scale_offset
	global_load_b128 v[126:129], v86, s[4:5] scale_offset
	s_wait_loadcnt 0x12
	scratch_store_b128 off, v[138:141], off offset:272
	s_wait_loadcnt 0x11
	scratch_store_b128 off, v[142:145], off offset:288
	s_clause 0x1
	global_load_b128 v[130:133], v88, s[4:5] scale_offset
	global_load_b128 v[134:137], v90, s[4:5] scale_offset
	s_mov_b32 s11, s61
	global_load_b128 v[138:141], v92, s[4:5] scale_offset
	s_wait_loadcnt 0x13
	scratch_store_b128 off, v[146:149], off offset:304
	s_wait_loadcnt 0x12
	scratch_store_b128 off, v[150:153], off offset:320
	;; [unrolled: 2-line block ×20, first 2 shown]
	s_cbranch_scc1 .LBB38_168
; %bb.4:
	v_cmp_eq_u32_e64 s2, 0, v1
	s_wait_xcnt 0x0
	s_and_saveexec_b32 s3, s2
; %bb.5:
	v_mov_b32_e32 v2, 0
	ds_store_b32 v2, v2 offset:1248
; %bb.6:
	s_or_b32 exec_lo, exec_lo, s3
	s_wait_storecnt_dscnt 0x0
	s_barrier_signal -1
	s_barrier_wait -1
	scratch_load_b128 v[2:5], v1, off scale_offset
	s_wait_loadcnt 0x0
	v_cmp_eq_f64_e32 vcc_lo, 0, v[2:3]
	v_cmp_eq_f64_e64 s3, 0, v[4:5]
	s_and_b32 s3, vcc_lo, s3
	s_delay_alu instid0(SALU_CYCLE_1)
	s_and_saveexec_b32 s52, s3
	s_cbranch_execz .LBB38_10
; %bb.7:
	v_mov_b32_e32 v2, 0
	s_mov_b32 s53, 0
	ds_load_b32 v3, v2 offset:1248
	s_wait_dscnt 0x0
	v_readfirstlane_b32 s3, v3
	v_add_nc_u32_e32 v3, 1, v1
	s_cmp_eq_u32 s3, 0
	s_delay_alu instid0(VALU_DEP_1) | instskip(SKIP_1) | instid1(SALU_CYCLE_1)
	v_cmp_gt_i32_e32 vcc_lo, s3, v3
	s_cselect_b32 s54, -1, 0
	s_or_b32 s54, s54, vcc_lo
	s_delay_alu instid0(SALU_CYCLE_1)
	s_and_b32 exec_lo, exec_lo, s54
	s_cbranch_execz .LBB38_10
; %bb.8:
	v_mov_b32_e32 v4, s3
.LBB38_9:                               ; =>This Inner Loop Header: Depth=1
	ds_cmpstore_rtn_b32 v4, v2, v3, v4 offset:1248
	s_wait_dscnt 0x0
	v_cmp_ne_u32_e32 vcc_lo, 0, v4
	v_cmp_le_i32_e64 s3, v4, v3
	s_and_b32 s3, vcc_lo, s3
	s_delay_alu instid0(SALU_CYCLE_1) | instskip(NEXT) | instid1(SALU_CYCLE_1)
	s_and_b32 s3, exec_lo, s3
	s_or_b32 s53, s3, s53
	s_delay_alu instid0(SALU_CYCLE_1)
	s_and_not1_b32 exec_lo, exec_lo, s53
	s_cbranch_execnz .LBB38_9
.LBB38_10:
	s_or_b32 exec_lo, exec_lo, s52
	v_mov_b32_e32 v2, 0
	s_barrier_signal -1
	s_barrier_wait -1
	ds_load_b32 v3, v2 offset:1248
	s_and_saveexec_b32 s3, s2
	s_cbranch_execz .LBB38_12
; %bb.11:
	s_lshl_b64 s[52:53], s[18:19], 2
	s_delay_alu instid0(SALU_CYCLE_1)
	s_add_nc_u64 s[52:53], s[6:7], s[52:53]
	s_wait_dscnt 0x0
	global_store_b32 v2, v3, s[52:53]
.LBB38_12:
	s_wait_xcnt 0x0
	s_or_b32 exec_lo, exec_lo, s3
	s_wait_dscnt 0x0
	v_cmp_ne_u32_e32 vcc_lo, 0, v3
	s_mov_b32 s3, 0
	s_cbranch_vccnz .LBB38_168
; %bb.13:
	v_lshl_add_u32 v15, v1, 4, 0
                                        ; implicit-def: $vgpr6_vgpr7
                                        ; implicit-def: $vgpr10_vgpr11
	scratch_load_b128 v[2:5], v15, off
	s_wait_loadcnt 0x0
	v_cmp_ngt_f64_e64 s3, |v[2:3]|, |v[4:5]|
	s_wait_xcnt 0x0
	s_and_saveexec_b32 s52, s3
	s_delay_alu instid0(SALU_CYCLE_1)
	s_xor_b32 s3, exec_lo, s52
	s_cbranch_execz .LBB38_15
; %bb.14:
	v_div_scale_f64 v[6:7], null, v[4:5], v[4:5], v[2:3]
	v_div_scale_f64 v[12:13], vcc_lo, v[2:3], v[4:5], v[2:3]
	s_delay_alu instid0(VALU_DEP_2) | instskip(SKIP_1) | instid1(TRANS32_DEP_1)
	v_rcp_f64_e32 v[8:9], v[6:7]
	v_nop
	v_fma_f64 v[10:11], -v[6:7], v[8:9], 1.0
	s_delay_alu instid0(VALU_DEP_1) | instskip(NEXT) | instid1(VALU_DEP_1)
	v_fmac_f64_e32 v[8:9], v[8:9], v[10:11]
	v_fma_f64 v[10:11], -v[6:7], v[8:9], 1.0
	s_delay_alu instid0(VALU_DEP_1) | instskip(NEXT) | instid1(VALU_DEP_1)
	v_fmac_f64_e32 v[8:9], v[8:9], v[10:11]
	v_mul_f64_e32 v[10:11], v[12:13], v[8:9]
	s_delay_alu instid0(VALU_DEP_1) | instskip(NEXT) | instid1(VALU_DEP_1)
	v_fma_f64 v[6:7], -v[6:7], v[10:11], v[12:13]
	v_div_fmas_f64 v[6:7], v[6:7], v[8:9], v[10:11]
	s_delay_alu instid0(VALU_DEP_1) | instskip(NEXT) | instid1(VALU_DEP_1)
	v_div_fixup_f64 v[6:7], v[6:7], v[4:5], v[2:3]
	v_fmac_f64_e32 v[4:5], v[2:3], v[6:7]
	s_delay_alu instid0(VALU_DEP_1) | instskip(SKIP_1) | instid1(VALU_DEP_2)
	v_div_scale_f64 v[2:3], null, v[4:5], v[4:5], 1.0
	v_div_scale_f64 v[12:13], vcc_lo, 1.0, v[4:5], 1.0
	v_rcp_f64_e32 v[8:9], v[2:3]
	v_nop
	s_delay_alu instid0(TRANS32_DEP_1) | instskip(NEXT) | instid1(VALU_DEP_1)
	v_fma_f64 v[10:11], -v[2:3], v[8:9], 1.0
	v_fmac_f64_e32 v[8:9], v[8:9], v[10:11]
	s_delay_alu instid0(VALU_DEP_1) | instskip(NEXT) | instid1(VALU_DEP_1)
	v_fma_f64 v[10:11], -v[2:3], v[8:9], 1.0
	v_fmac_f64_e32 v[8:9], v[8:9], v[10:11]
	s_delay_alu instid0(VALU_DEP_1) | instskip(NEXT) | instid1(VALU_DEP_1)
	v_mul_f64_e32 v[10:11], v[12:13], v[8:9]
	v_fma_f64 v[2:3], -v[2:3], v[10:11], v[12:13]
	s_delay_alu instid0(VALU_DEP_1) | instskip(NEXT) | instid1(VALU_DEP_1)
	v_div_fmas_f64 v[2:3], v[2:3], v[8:9], v[10:11]
	v_div_fixup_f64 v[8:9], v[2:3], v[4:5], 1.0
                                        ; implicit-def: $vgpr2_vgpr3
	s_delay_alu instid0(VALU_DEP_1) | instskip(SKIP_1) | instid1(VALU_DEP_2)
	v_mul_f64_e32 v[6:7], v[6:7], v[8:9]
	v_xor_b32_e32 v9, 0x80000000, v9
	v_xor_b32_e32 v11, 0x80000000, v7
	s_delay_alu instid0(VALU_DEP_3)
	v_mov_b32_e32 v10, v6
.LBB38_15:
	s_and_not1_saveexec_b32 s3, s3
	s_cbranch_execz .LBB38_17
; %bb.16:
	v_div_scale_f64 v[6:7], null, v[2:3], v[2:3], v[4:5]
	v_div_scale_f64 v[12:13], vcc_lo, v[4:5], v[2:3], v[4:5]
	s_delay_alu instid0(VALU_DEP_2) | instskip(SKIP_1) | instid1(TRANS32_DEP_1)
	v_rcp_f64_e32 v[8:9], v[6:7]
	v_nop
	v_fma_f64 v[10:11], -v[6:7], v[8:9], 1.0
	s_delay_alu instid0(VALU_DEP_1) | instskip(NEXT) | instid1(VALU_DEP_1)
	v_fmac_f64_e32 v[8:9], v[8:9], v[10:11]
	v_fma_f64 v[10:11], -v[6:7], v[8:9], 1.0
	s_delay_alu instid0(VALU_DEP_1) | instskip(NEXT) | instid1(VALU_DEP_1)
	v_fmac_f64_e32 v[8:9], v[8:9], v[10:11]
	v_mul_f64_e32 v[10:11], v[12:13], v[8:9]
	s_delay_alu instid0(VALU_DEP_1) | instskip(NEXT) | instid1(VALU_DEP_1)
	v_fma_f64 v[6:7], -v[6:7], v[10:11], v[12:13]
	v_div_fmas_f64 v[6:7], v[6:7], v[8:9], v[10:11]
	s_delay_alu instid0(VALU_DEP_1) | instskip(NEXT) | instid1(VALU_DEP_1)
	v_div_fixup_f64 v[8:9], v[6:7], v[2:3], v[4:5]
	v_fmac_f64_e32 v[2:3], v[4:5], v[8:9]
	s_delay_alu instid0(VALU_DEP_1) | instskip(NEXT) | instid1(VALU_DEP_1)
	v_div_scale_f64 v[4:5], null, v[2:3], v[2:3], 1.0
	v_rcp_f64_e32 v[6:7], v[4:5]
	v_nop
	s_delay_alu instid0(TRANS32_DEP_1) | instskip(NEXT) | instid1(VALU_DEP_1)
	v_fma_f64 v[10:11], -v[4:5], v[6:7], 1.0
	v_fmac_f64_e32 v[6:7], v[6:7], v[10:11]
	s_delay_alu instid0(VALU_DEP_1) | instskip(NEXT) | instid1(VALU_DEP_1)
	v_fma_f64 v[10:11], -v[4:5], v[6:7], 1.0
	v_fmac_f64_e32 v[6:7], v[6:7], v[10:11]
	v_div_scale_f64 v[10:11], vcc_lo, 1.0, v[2:3], 1.0
	s_delay_alu instid0(VALU_DEP_1) | instskip(NEXT) | instid1(VALU_DEP_1)
	v_mul_f64_e32 v[12:13], v[10:11], v[6:7]
	v_fma_f64 v[4:5], -v[4:5], v[12:13], v[10:11]
	s_delay_alu instid0(VALU_DEP_1) | instskip(NEXT) | instid1(VALU_DEP_1)
	v_div_fmas_f64 v[4:5], v[4:5], v[6:7], v[12:13]
	v_div_fixup_f64 v[6:7], v[4:5], v[2:3], 1.0
	s_delay_alu instid0(VALU_DEP_1)
	v_mul_f64_e64 v[8:9], v[8:9], -v[6:7]
	v_xor_b32_e32 v11, 0x80000000, v7
	v_mov_b32_e32 v10, v6
.LBB38_17:
	s_or_b32 exec_lo, exec_lo, s3
	s_clause 0x1
	scratch_store_b128 v15, v[6:9], off
	scratch_load_b128 v[2:5], off, s34
	v_xor_b32_e32 v13, 0x80000000, v9
	v_mov_b32_e32 v12, v8
	s_wait_xcnt 0x1
	v_add_nc_u32_e32 v6, 0x270, v14
	ds_store_b128 v14, v[10:13]
	s_wait_loadcnt 0x0
	ds_store_b128 v14, v[2:5] offset:624
	s_wait_storecnt_dscnt 0x0
	s_barrier_signal -1
	s_barrier_wait -1
	s_wait_xcnt 0x0
	s_and_saveexec_b32 s3, s2
	s_cbranch_execz .LBB38_19
; %bb.18:
	scratch_load_b128 v[2:5], v15, off
	ds_load_b128 v[8:11], v6
	v_mov_b32_e32 v7, 0
	ds_load_b128 v[94:97], v7 offset:16
	s_wait_loadcnt_dscnt 0x1
	v_mul_f64_e32 v[12:13], v[8:9], v[4:5]
	v_mul_f64_e32 v[4:5], v[10:11], v[4:5]
	s_delay_alu instid0(VALU_DEP_2) | instskip(NEXT) | instid1(VALU_DEP_2)
	v_fmac_f64_e32 v[12:13], v[10:11], v[2:3]
	v_fma_f64 v[2:3], v[8:9], v[2:3], -v[4:5]
	s_delay_alu instid0(VALU_DEP_2) | instskip(NEXT) | instid1(VALU_DEP_2)
	v_add_f64_e32 v[8:9], 0, v[12:13]
	v_add_f64_e32 v[2:3], 0, v[2:3]
	s_wait_dscnt 0x0
	s_delay_alu instid0(VALU_DEP_2) | instskip(NEXT) | instid1(VALU_DEP_2)
	v_mul_f64_e32 v[10:11], v[8:9], v[96:97]
	v_mul_f64_e32 v[4:5], v[2:3], v[96:97]
	s_delay_alu instid0(VALU_DEP_2) | instskip(NEXT) | instid1(VALU_DEP_2)
	v_fma_f64 v[2:3], v[2:3], v[94:95], -v[10:11]
	v_fmac_f64_e32 v[4:5], v[8:9], v[94:95]
	scratch_store_b128 off, v[2:5], off offset:16
.LBB38_19:
	s_wait_xcnt 0x0
	s_or_b32 exec_lo, exec_lo, s3
	s_wait_storecnt 0x0
	s_barrier_signal -1
	s_barrier_wait -1
	scratch_load_b128 v[2:5], off, s28
	s_mov_b32 s3, exec_lo
	s_wait_loadcnt 0x0
	ds_store_b128 v6, v[2:5]
	s_wait_dscnt 0x0
	s_barrier_signal -1
	s_barrier_wait -1
	v_cmpx_gt_u32_e32 2, v1
	s_cbranch_execz .LBB38_23
; %bb.20:
	scratch_load_b128 v[2:5], v15, off
	ds_load_b128 v[8:11], v6
	s_wait_loadcnt_dscnt 0x0
	v_mul_f64_e32 v[12:13], v[10:11], v[4:5]
	v_mul_f64_e32 v[94:95], v[8:9], v[4:5]
	s_delay_alu instid0(VALU_DEP_2) | instskip(NEXT) | instid1(VALU_DEP_2)
	v_fma_f64 v[4:5], v[8:9], v[2:3], -v[12:13]
	v_fmac_f64_e32 v[94:95], v[10:11], v[2:3]
	s_delay_alu instid0(VALU_DEP_2) | instskip(NEXT) | instid1(VALU_DEP_2)
	v_add_f64_e32 v[4:5], 0, v[4:5]
	v_add_f64_e32 v[2:3], 0, v[94:95]
	s_and_saveexec_b32 s52, s2
	s_cbranch_execz .LBB38_22
; %bb.21:
	scratch_load_b128 v[8:11], off, off offset:16
	v_mov_b32_e32 v7, 0
	ds_load_b128 v[94:97], v7 offset:640
	s_wait_loadcnt_dscnt 0x0
	v_mul_f64_e32 v[12:13], v[94:95], v[10:11]
	v_mul_f64_e32 v[10:11], v[96:97], v[10:11]
	s_delay_alu instid0(VALU_DEP_2) | instskip(NEXT) | instid1(VALU_DEP_2)
	v_fmac_f64_e32 v[12:13], v[96:97], v[8:9]
	v_fma_f64 v[8:9], v[94:95], v[8:9], -v[10:11]
	s_delay_alu instid0(VALU_DEP_2) | instskip(NEXT) | instid1(VALU_DEP_2)
	v_add_f64_e32 v[2:3], v[2:3], v[12:13]
	v_add_f64_e32 v[4:5], v[4:5], v[8:9]
.LBB38_22:
	s_or_b32 exec_lo, exec_lo, s52
	v_mov_b32_e32 v7, 0
	ds_load_b128 v[8:11], v7 offset:32
	s_wait_dscnt 0x0
	v_mul_f64_e32 v[94:95], v[2:3], v[10:11]
	v_mul_f64_e32 v[12:13], v[4:5], v[10:11]
	s_delay_alu instid0(VALU_DEP_2) | instskip(NEXT) | instid1(VALU_DEP_2)
	v_fma_f64 v[10:11], v[4:5], v[8:9], -v[94:95]
	v_fmac_f64_e32 v[12:13], v[2:3], v[8:9]
	scratch_store_b128 off, v[10:13], off offset:32
.LBB38_23:
	s_wait_xcnt 0x0
	s_or_b32 exec_lo, exec_lo, s3
	s_wait_storecnt 0x0
	s_barrier_signal -1
	s_barrier_wait -1
	scratch_load_b128 v[2:5], off, s30
	v_add_nc_u32_e32 v7, -1, v1
	s_mov_b32 s2, exec_lo
	s_wait_loadcnt 0x0
	ds_store_b128 v6, v[2:5]
	s_wait_dscnt 0x0
	s_barrier_signal -1
	s_barrier_wait -1
	v_cmpx_gt_u32_e32 3, v1
	s_cbranch_execz .LBB38_27
; %bb.24:
	v_dual_mov_b32 v10, v14 :: v_dual_add_nc_u32 v8, -1, v1
	v_mov_b64_e32 v[2:3], 0
	v_mov_b64_e32 v[4:5], 0
	v_add_nc_u32_e32 v9, 0x270, v14
	s_delay_alu instid0(VALU_DEP_4)
	v_or_b32_e32 v10, 8, v10
	s_mov_b32 s3, 0
.LBB38_25:                              ; =>This Inner Loop Header: Depth=1
	scratch_load_b128 v[94:97], v10, off offset:-8
	ds_load_b128 v[98:101], v9
	s_wait_xcnt 0x0
	v_dual_add_nc_u32 v9, 16, v9 :: v_dual_add_nc_u32 v10, 16, v10
	v_add_nc_u32_e32 v8, 1, v8
	s_delay_alu instid0(VALU_DEP_1) | instskip(SKIP_4) | instid1(VALU_DEP_2)
	v_cmp_lt_u32_e32 vcc_lo, 1, v8
	s_or_b32 s3, vcc_lo, s3
	s_wait_loadcnt_dscnt 0x0
	v_mul_f64_e32 v[12:13], v[100:101], v[96:97]
	v_mul_f64_e32 v[96:97], v[98:99], v[96:97]
	v_fma_f64 v[12:13], v[98:99], v[94:95], -v[12:13]
	s_delay_alu instid0(VALU_DEP_2) | instskip(NEXT) | instid1(VALU_DEP_2)
	v_fmac_f64_e32 v[96:97], v[100:101], v[94:95]
	v_add_f64_e32 v[4:5], v[4:5], v[12:13]
	s_delay_alu instid0(VALU_DEP_2)
	v_add_f64_e32 v[2:3], v[2:3], v[96:97]
	s_and_not1_b32 exec_lo, exec_lo, s3
	s_cbranch_execnz .LBB38_25
; %bb.26:
	s_or_b32 exec_lo, exec_lo, s3
	v_mov_b32_e32 v8, 0
	ds_load_b128 v[8:11], v8 offset:48
	s_wait_dscnt 0x0
	v_mul_f64_e32 v[94:95], v[2:3], v[10:11]
	v_mul_f64_e32 v[12:13], v[4:5], v[10:11]
	s_delay_alu instid0(VALU_DEP_2) | instskip(NEXT) | instid1(VALU_DEP_2)
	v_fma_f64 v[10:11], v[4:5], v[8:9], -v[94:95]
	v_fmac_f64_e32 v[12:13], v[2:3], v[8:9]
	scratch_store_b128 off, v[10:13], off offset:48
.LBB38_27:
	s_wait_xcnt 0x0
	s_or_b32 exec_lo, exec_lo, s2
	s_wait_storecnt 0x0
	s_barrier_signal -1
	s_barrier_wait -1
	scratch_load_b128 v[2:5], off, s33
	s_mov_b32 s2, exec_lo
	s_wait_loadcnt 0x0
	ds_store_b128 v6, v[2:5]
	s_wait_dscnt 0x0
	s_barrier_signal -1
	s_barrier_wait -1
	v_cmpx_gt_u32_e32 4, v1
	s_cbranch_execz .LBB38_31
; %bb.28:
	v_dual_mov_b32 v10, v14 :: v_dual_add_nc_u32 v8, -1, v1
	v_mov_b64_e32 v[2:3], 0
	v_mov_b64_e32 v[4:5], 0
	v_add_nc_u32_e32 v9, 0x270, v14
	s_delay_alu instid0(VALU_DEP_4)
	v_or_b32_e32 v10, 8, v10
	s_mov_b32 s3, 0
.LBB38_29:                              ; =>This Inner Loop Header: Depth=1
	scratch_load_b128 v[94:97], v10, off offset:-8
	ds_load_b128 v[98:101], v9
	s_wait_xcnt 0x0
	v_dual_add_nc_u32 v9, 16, v9 :: v_dual_add_nc_u32 v10, 16, v10
	v_add_nc_u32_e32 v8, 1, v8
	s_delay_alu instid0(VALU_DEP_1) | instskip(SKIP_4) | instid1(VALU_DEP_2)
	v_cmp_lt_u32_e32 vcc_lo, 2, v8
	s_or_b32 s3, vcc_lo, s3
	s_wait_loadcnt_dscnt 0x0
	v_mul_f64_e32 v[12:13], v[100:101], v[96:97]
	v_mul_f64_e32 v[96:97], v[98:99], v[96:97]
	v_fma_f64 v[12:13], v[98:99], v[94:95], -v[12:13]
	s_delay_alu instid0(VALU_DEP_2) | instskip(NEXT) | instid1(VALU_DEP_2)
	v_fmac_f64_e32 v[96:97], v[100:101], v[94:95]
	v_add_f64_e32 v[4:5], v[4:5], v[12:13]
	s_delay_alu instid0(VALU_DEP_2)
	v_add_f64_e32 v[2:3], v[2:3], v[96:97]
	s_and_not1_b32 exec_lo, exec_lo, s3
	s_cbranch_execnz .LBB38_29
; %bb.30:
	s_or_b32 exec_lo, exec_lo, s3
	v_mov_b32_e32 v8, 0
	ds_load_b128 v[8:11], v8 offset:64
	s_wait_dscnt 0x0
	v_mul_f64_e32 v[94:95], v[2:3], v[10:11]
	v_mul_f64_e32 v[12:13], v[4:5], v[10:11]
	s_delay_alu instid0(VALU_DEP_2) | instskip(NEXT) | instid1(VALU_DEP_2)
	v_fma_f64 v[10:11], v[4:5], v[8:9], -v[94:95]
	v_fmac_f64_e32 v[12:13], v[2:3], v[8:9]
	scratch_store_b128 off, v[10:13], off offset:64
.LBB38_31:
	s_wait_xcnt 0x0
	s_or_b32 exec_lo, exec_lo, s2
	s_wait_storecnt 0x0
	s_barrier_signal -1
	s_barrier_wait -1
	scratch_load_b128 v[2:5], off, s42
	;; [unrolled: 54-line block ×19, first 2 shown]
	s_mov_b32 s2, exec_lo
	s_wait_loadcnt 0x0
	ds_store_b128 v6, v[2:5]
	s_wait_dscnt 0x0
	s_barrier_signal -1
	s_barrier_wait -1
	v_cmpx_gt_u32_e32 22, v1
	s_cbranch_execz .LBB38_103
; %bb.100:
	v_dual_mov_b32 v10, v14 :: v_dual_add_nc_u32 v8, -1, v1
	v_mov_b64_e32 v[2:3], 0
	v_mov_b64_e32 v[4:5], 0
	v_add_nc_u32_e32 v9, 0x270, v14
	s_delay_alu instid0(VALU_DEP_4)
	v_or_b32_e32 v10, 8, v10
	s_mov_b32 s3, 0
.LBB38_101:                             ; =>This Inner Loop Header: Depth=1
	scratch_load_b128 v[94:97], v10, off offset:-8
	ds_load_b128 v[98:101], v9
	s_wait_xcnt 0x0
	v_dual_add_nc_u32 v9, 16, v9 :: v_dual_add_nc_u32 v10, 16, v10
	v_add_nc_u32_e32 v8, 1, v8
	s_delay_alu instid0(VALU_DEP_1) | instskip(SKIP_4) | instid1(VALU_DEP_2)
	v_cmp_lt_u32_e32 vcc_lo, 20, v8
	s_or_b32 s3, vcc_lo, s3
	s_wait_loadcnt_dscnt 0x0
	v_mul_f64_e32 v[12:13], v[100:101], v[96:97]
	v_mul_f64_e32 v[96:97], v[98:99], v[96:97]
	v_fma_f64 v[12:13], v[98:99], v[94:95], -v[12:13]
	s_delay_alu instid0(VALU_DEP_2) | instskip(NEXT) | instid1(VALU_DEP_2)
	v_fmac_f64_e32 v[96:97], v[100:101], v[94:95]
	v_add_f64_e32 v[4:5], v[4:5], v[12:13]
	s_delay_alu instid0(VALU_DEP_2)
	v_add_f64_e32 v[2:3], v[2:3], v[96:97]
	s_and_not1_b32 exec_lo, exec_lo, s3
	s_cbranch_execnz .LBB38_101
; %bb.102:
	s_or_b32 exec_lo, exec_lo, s3
	v_mov_b32_e32 v8, 0
	ds_load_b128 v[8:11], v8 offset:352
	s_wait_dscnt 0x0
	v_mul_f64_e32 v[94:95], v[2:3], v[10:11]
	v_mul_f64_e32 v[12:13], v[4:5], v[10:11]
	s_delay_alu instid0(VALU_DEP_2) | instskip(NEXT) | instid1(VALU_DEP_2)
	v_fma_f64 v[10:11], v[4:5], v[8:9], -v[94:95]
	v_fmac_f64_e32 v[12:13], v[2:3], v[8:9]
	scratch_store_b128 off, v[10:13], off offset:352
.LBB38_103:
	s_wait_xcnt 0x0
	s_or_b32 exec_lo, exec_lo, s2
	s_wait_storecnt 0x0
	s_barrier_signal -1
	s_barrier_wait -1
	scratch_load_b128 v[2:5], off, s26
	s_mov_b32 s2, exec_lo
	s_wait_loadcnt 0x0
	ds_store_b128 v6, v[2:5]
	s_wait_dscnt 0x0
	s_barrier_signal -1
	s_barrier_wait -1
	v_cmpx_gt_u32_e32 23, v1
	s_cbranch_execz .LBB38_107
; %bb.104:
	v_dual_mov_b32 v10, v14 :: v_dual_add_nc_u32 v8, -1, v1
	v_mov_b64_e32 v[2:3], 0
	v_mov_b64_e32 v[4:5], 0
	v_add_nc_u32_e32 v9, 0x270, v14
	s_delay_alu instid0(VALU_DEP_4)
	v_or_b32_e32 v10, 8, v10
	s_mov_b32 s3, 0
.LBB38_105:                             ; =>This Inner Loop Header: Depth=1
	scratch_load_b128 v[94:97], v10, off offset:-8
	ds_load_b128 v[98:101], v9
	s_wait_xcnt 0x0
	v_dual_add_nc_u32 v9, 16, v9 :: v_dual_add_nc_u32 v10, 16, v10
	v_add_nc_u32_e32 v8, 1, v8
	s_delay_alu instid0(VALU_DEP_1) | instskip(SKIP_4) | instid1(VALU_DEP_2)
	v_cmp_lt_u32_e32 vcc_lo, 21, v8
	s_or_b32 s3, vcc_lo, s3
	s_wait_loadcnt_dscnt 0x0
	v_mul_f64_e32 v[12:13], v[100:101], v[96:97]
	v_mul_f64_e32 v[96:97], v[98:99], v[96:97]
	v_fma_f64 v[12:13], v[98:99], v[94:95], -v[12:13]
	s_delay_alu instid0(VALU_DEP_2) | instskip(NEXT) | instid1(VALU_DEP_2)
	v_fmac_f64_e32 v[96:97], v[100:101], v[94:95]
	v_add_f64_e32 v[4:5], v[4:5], v[12:13]
	s_delay_alu instid0(VALU_DEP_2)
	v_add_f64_e32 v[2:3], v[2:3], v[96:97]
	s_and_not1_b32 exec_lo, exec_lo, s3
	s_cbranch_execnz .LBB38_105
; %bb.106:
	s_or_b32 exec_lo, exec_lo, s3
	v_mov_b32_e32 v8, 0
	ds_load_b128 v[8:11], v8 offset:368
	s_wait_dscnt 0x0
	v_mul_f64_e32 v[94:95], v[2:3], v[10:11]
	v_mul_f64_e32 v[12:13], v[4:5], v[10:11]
	s_delay_alu instid0(VALU_DEP_2) | instskip(NEXT) | instid1(VALU_DEP_2)
	v_fma_f64 v[10:11], v[4:5], v[8:9], -v[94:95]
	v_fmac_f64_e32 v[12:13], v[2:3], v[8:9]
	scratch_store_b128 off, v[10:13], off offset:368
.LBB38_107:
	s_wait_xcnt 0x0
	s_or_b32 exec_lo, exec_lo, s2
	s_wait_storecnt 0x0
	s_barrier_signal -1
	s_barrier_wait -1
	scratch_load_b128 v[2:5], off, s27
	;; [unrolled: 54-line block ×16, first 2 shown]
	s_mov_b32 s2, exec_lo
	s_wait_loadcnt 0x0
	ds_store_b128 v6, v[2:5]
	s_wait_dscnt 0x0
	s_barrier_signal -1
	s_barrier_wait -1
	v_cmpx_ne_u32_e32 38, v1
	s_cbranch_execz .LBB38_167
; %bb.164:
	v_mov_b32_e32 v8, v14
	v_mov_b64_e32 v[2:3], 0
	v_mov_b64_e32 v[4:5], 0
	s_mov_b32 s3, 0
	s_delay_alu instid0(VALU_DEP_3)
	v_or_b32_e32 v8, 8, v8
.LBB38_165:                             ; =>This Inner Loop Header: Depth=1
	scratch_load_b128 v[10:13], v8, off offset:-8
	ds_load_b128 v[94:97], v6
	v_dual_add_nc_u32 v7, 1, v7 :: v_dual_add_nc_u32 v6, 16, v6
	s_wait_xcnt 0x0
	v_add_nc_u32_e32 v8, 16, v8
	s_delay_alu instid0(VALU_DEP_2) | instskip(SKIP_4) | instid1(VALU_DEP_2)
	v_cmp_lt_u32_e32 vcc_lo, 36, v7
	s_or_b32 s3, vcc_lo, s3
	s_wait_loadcnt_dscnt 0x0
	v_mul_f64_e32 v[14:15], v[96:97], v[12:13]
	v_mul_f64_e32 v[12:13], v[94:95], v[12:13]
	v_fma_f64 v[14:15], v[94:95], v[10:11], -v[14:15]
	s_delay_alu instid0(VALU_DEP_2) | instskip(NEXT) | instid1(VALU_DEP_2)
	v_fmac_f64_e32 v[12:13], v[96:97], v[10:11]
	v_add_f64_e32 v[4:5], v[4:5], v[14:15]
	s_delay_alu instid0(VALU_DEP_2)
	v_add_f64_e32 v[2:3], v[2:3], v[12:13]
	s_and_not1_b32 exec_lo, exec_lo, s3
	s_cbranch_execnz .LBB38_165
; %bb.166:
	s_or_b32 exec_lo, exec_lo, s3
	v_mov_b32_e32 v6, 0
	ds_load_b128 v[6:9], v6 offset:608
	s_wait_dscnt 0x0
	v_mul_f64_e32 v[12:13], v[2:3], v[8:9]
	v_mul_f64_e32 v[10:11], v[4:5], v[8:9]
	s_delay_alu instid0(VALU_DEP_2) | instskip(NEXT) | instid1(VALU_DEP_2)
	v_fma_f64 v[8:9], v[4:5], v[6:7], -v[12:13]
	v_fmac_f64_e32 v[10:11], v[2:3], v[6:7]
	scratch_store_b128 off, v[8:11], off offset:608
.LBB38_167:
	s_wait_xcnt 0x0
	s_or_b32 exec_lo, exec_lo, s2
	s_mov_b32 s3, -1
	s_wait_storecnt 0x0
	s_barrier_signal -1
	s_barrier_wait -1
.LBB38_168:
	s_and_b32 vcc_lo, exec_lo, s3
	s_cbranch_vccz .LBB38_170
; %bb.169:
	s_wait_xcnt 0x10
	v_mov_b32_e32 v2, 0
	s_lshl_b64 s[2:3], s[18:19], 2
	s_delay_alu instid0(SALU_CYCLE_1)
	s_add_nc_u64 s[2:3], s[6:7], s[2:3]
	global_load_b32 v2, v2, s[2:3]
	s_wait_loadcnt 0x0
	v_cmp_ne_u32_e32 vcc_lo, 0, v2
	s_cbranch_vccz .LBB38_171
.LBB38_170:
	s_sendmsg sendmsg(MSG_DEALLOC_VGPRS)
	s_endpgm
.LBB38_171:
	s_wait_xcnt 0xd
	v_lshl_add_u32 v94, v1, 4, 0x270
	s_wait_xcnt 0x0
	s_mov_b32 s2, exec_lo
	v_cmpx_eq_u32_e32 38, v1
	s_cbranch_execz .LBB38_173
; %bb.172:
	scratch_load_b128 v[2:5], off, s13
	v_mov_b32_e32 v6, 0
	s_delay_alu instid0(VALU_DEP_1)
	v_dual_mov_b32 v7, v6 :: v_dual_mov_b32 v8, v6
	v_mov_b32_e32 v9, v6
	scratch_store_b128 off, v[6:9], off offset:592
	s_wait_loadcnt 0x0
	ds_store_b128 v94, v[2:5]
.LBB38_173:
	s_wait_xcnt 0x0
	s_or_b32 exec_lo, exec_lo, s2
	s_wait_storecnt_dscnt 0x0
	s_barrier_signal -1
	s_barrier_wait -1
	s_clause 0x1
	scratch_load_b128 v[4:7], off, off offset:608
	scratch_load_b128 v[8:11], off, off offset:592
	v_mov_b32_e32 v2, 0
	s_mov_b32 s2, exec_lo
	ds_load_b128 v[12:15], v2 offset:1232
	s_wait_loadcnt_dscnt 0x100
	v_mul_f64_e32 v[96:97], v[14:15], v[6:7]
	v_mul_f64_e32 v[6:7], v[12:13], v[6:7]
	s_delay_alu instid0(VALU_DEP_2) | instskip(NEXT) | instid1(VALU_DEP_2)
	v_fma_f64 v[12:13], v[12:13], v[4:5], -v[96:97]
	v_fmac_f64_e32 v[6:7], v[14:15], v[4:5]
	s_delay_alu instid0(VALU_DEP_2) | instskip(NEXT) | instid1(VALU_DEP_2)
	v_add_f64_e32 v[4:5], 0, v[12:13]
	v_add_f64_e32 v[6:7], 0, v[6:7]
	s_wait_loadcnt 0x0
	s_delay_alu instid0(VALU_DEP_2) | instskip(NEXT) | instid1(VALU_DEP_2)
	v_add_f64_e64 v[4:5], v[8:9], -v[4:5]
	v_add_f64_e64 v[6:7], v[10:11], -v[6:7]
	scratch_store_b128 off, v[4:7], off offset:592
	s_wait_xcnt 0x0
	v_cmpx_lt_u32_e32 36, v1
	s_cbranch_execz .LBB38_175
; %bb.174:
	scratch_load_b128 v[6:9], off, s21
	v_dual_mov_b32 v3, v2 :: v_dual_mov_b32 v4, v2
	v_mov_b32_e32 v5, v2
	scratch_store_b128 off, v[2:5], off offset:576
	s_wait_loadcnt 0x0
	ds_store_b128 v94, v[6:9]
.LBB38_175:
	s_wait_xcnt 0x0
	s_or_b32 exec_lo, exec_lo, s2
	s_wait_storecnt_dscnt 0x0
	s_barrier_signal -1
	s_barrier_wait -1
	s_clause 0x2
	scratch_load_b128 v[4:7], off, off offset:592
	scratch_load_b128 v[8:11], off, off offset:608
	;; [unrolled: 1-line block ×3, first 2 shown]
	ds_load_b128 v[96:99], v2 offset:1216
	ds_load_b128 v[100:103], v2 offset:1232
	s_mov_b32 s2, exec_lo
	s_wait_loadcnt_dscnt 0x201
	v_mul_f64_e32 v[2:3], v[98:99], v[6:7]
	v_mul_f64_e32 v[6:7], v[96:97], v[6:7]
	s_wait_loadcnt_dscnt 0x100
	v_mul_f64_e32 v[104:105], v[100:101], v[10:11]
	v_mul_f64_e32 v[10:11], v[102:103], v[10:11]
	s_delay_alu instid0(VALU_DEP_4) | instskip(NEXT) | instid1(VALU_DEP_4)
	v_fma_f64 v[2:3], v[96:97], v[4:5], -v[2:3]
	v_fmac_f64_e32 v[6:7], v[98:99], v[4:5]
	s_delay_alu instid0(VALU_DEP_4) | instskip(NEXT) | instid1(VALU_DEP_4)
	v_fmac_f64_e32 v[104:105], v[102:103], v[8:9]
	v_fma_f64 v[4:5], v[100:101], v[8:9], -v[10:11]
	s_delay_alu instid0(VALU_DEP_4) | instskip(NEXT) | instid1(VALU_DEP_4)
	v_add_f64_e32 v[2:3], 0, v[2:3]
	v_add_f64_e32 v[6:7], 0, v[6:7]
	s_delay_alu instid0(VALU_DEP_2) | instskip(NEXT) | instid1(VALU_DEP_2)
	v_add_f64_e32 v[2:3], v[2:3], v[4:5]
	v_add_f64_e32 v[4:5], v[6:7], v[104:105]
	s_wait_loadcnt 0x0
	s_delay_alu instid0(VALU_DEP_2) | instskip(NEXT) | instid1(VALU_DEP_2)
	v_add_f64_e64 v[2:3], v[12:13], -v[2:3]
	v_add_f64_e64 v[4:5], v[14:15], -v[4:5]
	scratch_store_b128 off, v[2:5], off offset:576
	s_wait_xcnt 0x0
	v_cmpx_lt_u32_e32 35, v1
	s_cbranch_execz .LBB38_177
; %bb.176:
	scratch_load_b128 v[2:5], off, s8
	v_mov_b32_e32 v6, 0
	s_delay_alu instid0(VALU_DEP_1)
	v_dual_mov_b32 v7, v6 :: v_dual_mov_b32 v8, v6
	v_mov_b32_e32 v9, v6
	scratch_store_b128 off, v[6:9], off offset:560
	s_wait_loadcnt 0x0
	ds_store_b128 v94, v[2:5]
.LBB38_177:
	s_wait_xcnt 0x0
	s_or_b32 exec_lo, exec_lo, s2
	s_wait_storecnt_dscnt 0x0
	s_barrier_signal -1
	s_barrier_wait -1
	s_clause 0x3
	scratch_load_b128 v[4:7], off, off offset:576
	scratch_load_b128 v[8:11], off, off offset:592
	;; [unrolled: 1-line block ×4, first 2 shown]
	v_mov_b32_e32 v2, 0
	ds_load_b128 v[100:103], v2 offset:1200
	ds_load_b128 v[104:107], v2 offset:1216
	s_mov_b32 s2, exec_lo
	s_wait_loadcnt_dscnt 0x301
	v_mul_f64_e32 v[108:109], v[102:103], v[6:7]
	v_mul_f64_e32 v[110:111], v[100:101], v[6:7]
	s_wait_loadcnt_dscnt 0x200
	v_mul_f64_e32 v[112:113], v[104:105], v[10:11]
	v_mul_f64_e32 v[10:11], v[106:107], v[10:11]
	s_delay_alu instid0(VALU_DEP_4) | instskip(NEXT) | instid1(VALU_DEP_4)
	v_fma_f64 v[100:101], v[100:101], v[4:5], -v[108:109]
	v_fmac_f64_e32 v[110:111], v[102:103], v[4:5]
	ds_load_b128 v[4:7], v2 offset:1232
	v_fmac_f64_e32 v[112:113], v[106:107], v[8:9]
	v_fma_f64 v[8:9], v[104:105], v[8:9], -v[10:11]
	s_wait_loadcnt_dscnt 0x100
	v_mul_f64_e32 v[102:103], v[4:5], v[14:15]
	v_mul_f64_e32 v[14:15], v[6:7], v[14:15]
	v_add_f64_e32 v[10:11], 0, v[100:101]
	v_add_f64_e32 v[100:101], 0, v[110:111]
	s_delay_alu instid0(VALU_DEP_4) | instskip(NEXT) | instid1(VALU_DEP_4)
	v_fmac_f64_e32 v[102:103], v[6:7], v[12:13]
	v_fma_f64 v[4:5], v[4:5], v[12:13], -v[14:15]
	s_delay_alu instid0(VALU_DEP_4) | instskip(NEXT) | instid1(VALU_DEP_4)
	v_add_f64_e32 v[6:7], v[10:11], v[8:9]
	v_add_f64_e32 v[8:9], v[100:101], v[112:113]
	s_delay_alu instid0(VALU_DEP_2) | instskip(NEXT) | instid1(VALU_DEP_2)
	v_add_f64_e32 v[4:5], v[6:7], v[4:5]
	v_add_f64_e32 v[6:7], v[8:9], v[102:103]
	s_wait_loadcnt 0x0
	s_delay_alu instid0(VALU_DEP_2) | instskip(NEXT) | instid1(VALU_DEP_2)
	v_add_f64_e64 v[4:5], v[96:97], -v[4:5]
	v_add_f64_e64 v[6:7], v[98:99], -v[6:7]
	scratch_store_b128 off, v[4:7], off offset:560
	s_wait_xcnt 0x0
	v_cmpx_lt_u32_e32 34, v1
	s_cbranch_execz .LBB38_179
; %bb.178:
	scratch_load_b128 v[6:9], off, s10
	v_dual_mov_b32 v3, v2 :: v_dual_mov_b32 v4, v2
	v_mov_b32_e32 v5, v2
	scratch_store_b128 off, v[2:5], off offset:544
	s_wait_loadcnt 0x0
	ds_store_b128 v94, v[6:9]
.LBB38_179:
	s_wait_xcnt 0x0
	s_or_b32 exec_lo, exec_lo, s2
	s_wait_storecnt_dscnt 0x0
	s_barrier_signal -1
	s_barrier_wait -1
	s_clause 0x4
	scratch_load_b128 v[4:7], off, off offset:560
	scratch_load_b128 v[8:11], off, off offset:576
	;; [unrolled: 1-line block ×5, first 2 shown]
	ds_load_b128 v[104:107], v2 offset:1184
	ds_load_b128 v[108:111], v2 offset:1200
	s_mov_b32 s2, exec_lo
	s_wait_loadcnt_dscnt 0x401
	v_mul_f64_e32 v[112:113], v[106:107], v[6:7]
	v_mul_f64_e32 v[114:115], v[104:105], v[6:7]
	s_wait_loadcnt_dscnt 0x300
	v_mul_f64_e32 v[116:117], v[108:109], v[10:11]
	v_mul_f64_e32 v[10:11], v[110:111], v[10:11]
	s_delay_alu instid0(VALU_DEP_4) | instskip(NEXT) | instid1(VALU_DEP_4)
	v_fma_f64 v[112:113], v[104:105], v[4:5], -v[112:113]
	v_fmac_f64_e32 v[114:115], v[106:107], v[4:5]
	ds_load_b128 v[4:7], v2 offset:1216
	ds_load_b128 v[104:107], v2 offset:1232
	v_fmac_f64_e32 v[116:117], v[110:111], v[8:9]
	v_fma_f64 v[8:9], v[108:109], v[8:9], -v[10:11]
	s_wait_loadcnt_dscnt 0x201
	v_mul_f64_e32 v[2:3], v[4:5], v[14:15]
	v_mul_f64_e32 v[14:15], v[6:7], v[14:15]
	s_wait_loadcnt_dscnt 0x100
	v_mul_f64_e32 v[110:111], v[104:105], v[98:99]
	v_mul_f64_e32 v[98:99], v[106:107], v[98:99]
	v_add_f64_e32 v[10:11], 0, v[112:113]
	v_add_f64_e32 v[108:109], 0, v[114:115]
	v_fmac_f64_e32 v[2:3], v[6:7], v[12:13]
	v_fma_f64 v[4:5], v[4:5], v[12:13], -v[14:15]
	v_fmac_f64_e32 v[110:111], v[106:107], v[96:97]
	v_add_f64_e32 v[6:7], v[10:11], v[8:9]
	v_add_f64_e32 v[8:9], v[108:109], v[116:117]
	v_fma_f64 v[10:11], v[104:105], v[96:97], -v[98:99]
	s_delay_alu instid0(VALU_DEP_3) | instskip(NEXT) | instid1(VALU_DEP_3)
	v_add_f64_e32 v[4:5], v[6:7], v[4:5]
	v_add_f64_e32 v[2:3], v[8:9], v[2:3]
	s_delay_alu instid0(VALU_DEP_2) | instskip(NEXT) | instid1(VALU_DEP_2)
	v_add_f64_e32 v[4:5], v[4:5], v[10:11]
	v_add_f64_e32 v[6:7], v[2:3], v[110:111]
	s_wait_loadcnt 0x0
	s_delay_alu instid0(VALU_DEP_2) | instskip(NEXT) | instid1(VALU_DEP_2)
	v_add_f64_e64 v[2:3], v[100:101], -v[4:5]
	v_add_f64_e64 v[4:5], v[102:103], -v[6:7]
	scratch_store_b128 off, v[2:5], off offset:544
	s_wait_xcnt 0x0
	v_cmpx_lt_u32_e32 33, v1
	s_cbranch_execz .LBB38_181
; %bb.180:
	scratch_load_b128 v[2:5], off, s9
	v_mov_b32_e32 v6, 0
	s_delay_alu instid0(VALU_DEP_1)
	v_dual_mov_b32 v7, v6 :: v_dual_mov_b32 v8, v6
	v_mov_b32_e32 v9, v6
	scratch_store_b128 off, v[6:9], off offset:528
	s_wait_loadcnt 0x0
	ds_store_b128 v94, v[2:5]
.LBB38_181:
	s_wait_xcnt 0x0
	s_or_b32 exec_lo, exec_lo, s2
	s_wait_storecnt_dscnt 0x0
	s_barrier_signal -1
	s_barrier_wait -1
	s_clause 0x5
	scratch_load_b128 v[4:7], off, off offset:544
	scratch_load_b128 v[8:11], off, off offset:560
	;; [unrolled: 1-line block ×6, first 2 shown]
	v_mov_b32_e32 v2, 0
	ds_load_b128 v[108:111], v2 offset:1168
	ds_load_b128 v[112:115], v2 offset:1184
	s_mov_b32 s2, exec_lo
	s_wait_loadcnt_dscnt 0x501
	v_mul_f64_e32 v[116:117], v[110:111], v[6:7]
	v_mul_f64_e32 v[118:119], v[108:109], v[6:7]
	s_wait_loadcnt_dscnt 0x400
	v_mul_f64_e32 v[120:121], v[112:113], v[10:11]
	v_mul_f64_e32 v[10:11], v[114:115], v[10:11]
	s_delay_alu instid0(VALU_DEP_4) | instskip(NEXT) | instid1(VALU_DEP_4)
	v_fma_f64 v[116:117], v[108:109], v[4:5], -v[116:117]
	v_fmac_f64_e32 v[118:119], v[110:111], v[4:5]
	ds_load_b128 v[4:7], v2 offset:1200
	ds_load_b128 v[108:111], v2 offset:1216
	v_fmac_f64_e32 v[120:121], v[114:115], v[8:9]
	v_fma_f64 v[8:9], v[112:113], v[8:9], -v[10:11]
	s_wait_loadcnt_dscnt 0x301
	v_mul_f64_e32 v[122:123], v[4:5], v[14:15]
	v_mul_f64_e32 v[14:15], v[6:7], v[14:15]
	s_wait_loadcnt_dscnt 0x200
	v_mul_f64_e32 v[114:115], v[108:109], v[98:99]
	v_mul_f64_e32 v[98:99], v[110:111], v[98:99]
	v_add_f64_e32 v[10:11], 0, v[116:117]
	v_add_f64_e32 v[112:113], 0, v[118:119]
	v_fmac_f64_e32 v[122:123], v[6:7], v[12:13]
	v_fma_f64 v[12:13], v[4:5], v[12:13], -v[14:15]
	ds_load_b128 v[4:7], v2 offset:1232
	v_fmac_f64_e32 v[114:115], v[110:111], v[96:97]
	v_fma_f64 v[96:97], v[108:109], v[96:97], -v[98:99]
	v_add_f64_e32 v[8:9], v[10:11], v[8:9]
	v_add_f64_e32 v[10:11], v[112:113], v[120:121]
	s_wait_loadcnt_dscnt 0x100
	v_mul_f64_e32 v[14:15], v[4:5], v[102:103]
	v_mul_f64_e32 v[102:103], v[6:7], v[102:103]
	s_delay_alu instid0(VALU_DEP_4) | instskip(NEXT) | instid1(VALU_DEP_4)
	v_add_f64_e32 v[8:9], v[8:9], v[12:13]
	v_add_f64_e32 v[10:11], v[10:11], v[122:123]
	s_delay_alu instid0(VALU_DEP_4) | instskip(NEXT) | instid1(VALU_DEP_4)
	v_fmac_f64_e32 v[14:15], v[6:7], v[100:101]
	v_fma_f64 v[4:5], v[4:5], v[100:101], -v[102:103]
	s_delay_alu instid0(VALU_DEP_4) | instskip(NEXT) | instid1(VALU_DEP_4)
	v_add_f64_e32 v[6:7], v[8:9], v[96:97]
	v_add_f64_e32 v[8:9], v[10:11], v[114:115]
	s_delay_alu instid0(VALU_DEP_2) | instskip(NEXT) | instid1(VALU_DEP_2)
	v_add_f64_e32 v[4:5], v[6:7], v[4:5]
	v_add_f64_e32 v[6:7], v[8:9], v[14:15]
	s_wait_loadcnt 0x0
	s_delay_alu instid0(VALU_DEP_2) | instskip(NEXT) | instid1(VALU_DEP_2)
	v_add_f64_e64 v[4:5], v[104:105], -v[4:5]
	v_add_f64_e64 v[6:7], v[106:107], -v[6:7]
	scratch_store_b128 off, v[4:7], off offset:528
	s_wait_xcnt 0x0
	v_cmpx_lt_u32_e32 32, v1
	s_cbranch_execz .LBB38_183
; %bb.182:
	scratch_load_b128 v[6:9], off, s12
	v_dual_mov_b32 v3, v2 :: v_dual_mov_b32 v4, v2
	v_mov_b32_e32 v5, v2
	scratch_store_b128 off, v[2:5], off offset:512
	s_wait_loadcnt 0x0
	ds_store_b128 v94, v[6:9]
.LBB38_183:
	s_wait_xcnt 0x0
	s_or_b32 exec_lo, exec_lo, s2
	s_wait_storecnt_dscnt 0x0
	s_barrier_signal -1
	s_barrier_wait -1
	s_clause 0x6
	scratch_load_b128 v[4:7], off, off offset:528
	scratch_load_b128 v[8:11], off, off offset:544
	;; [unrolled: 1-line block ×7, first 2 shown]
	ds_load_b128 v[112:115], v2 offset:1152
	ds_load_b128 v[116:119], v2 offset:1168
	s_mov_b32 s2, exec_lo
	s_wait_loadcnt_dscnt 0x601
	v_mul_f64_e32 v[120:121], v[114:115], v[6:7]
	v_mul_f64_e32 v[122:123], v[112:113], v[6:7]
	s_wait_loadcnt_dscnt 0x500
	v_mul_f64_e32 v[124:125], v[116:117], v[10:11]
	v_mul_f64_e32 v[10:11], v[118:119], v[10:11]
	s_delay_alu instid0(VALU_DEP_4) | instskip(NEXT) | instid1(VALU_DEP_4)
	v_fma_f64 v[120:121], v[112:113], v[4:5], -v[120:121]
	v_fmac_f64_e32 v[122:123], v[114:115], v[4:5]
	ds_load_b128 v[4:7], v2 offset:1184
	ds_load_b128 v[112:115], v2 offset:1200
	v_fmac_f64_e32 v[124:125], v[118:119], v[8:9]
	v_fma_f64 v[8:9], v[116:117], v[8:9], -v[10:11]
	s_wait_loadcnt_dscnt 0x401
	v_mul_f64_e32 v[126:127], v[4:5], v[14:15]
	v_mul_f64_e32 v[14:15], v[6:7], v[14:15]
	s_wait_loadcnt_dscnt 0x300
	v_mul_f64_e32 v[118:119], v[112:113], v[98:99]
	v_mul_f64_e32 v[98:99], v[114:115], v[98:99]
	v_add_f64_e32 v[10:11], 0, v[120:121]
	v_add_f64_e32 v[116:117], 0, v[122:123]
	v_fmac_f64_e32 v[126:127], v[6:7], v[12:13]
	v_fma_f64 v[12:13], v[4:5], v[12:13], -v[14:15]
	v_fmac_f64_e32 v[118:119], v[114:115], v[96:97]
	v_fma_f64 v[96:97], v[112:113], v[96:97], -v[98:99]
	v_add_f64_e32 v[14:15], v[10:11], v[8:9]
	v_add_f64_e32 v[116:117], v[116:117], v[124:125]
	ds_load_b128 v[4:7], v2 offset:1216
	ds_load_b128 v[8:11], v2 offset:1232
	s_wait_loadcnt_dscnt 0x201
	v_mul_f64_e32 v[2:3], v[4:5], v[102:103]
	v_mul_f64_e32 v[102:103], v[6:7], v[102:103]
	s_wait_loadcnt_dscnt 0x100
	v_mul_f64_e32 v[98:99], v[8:9], v[106:107]
	v_mul_f64_e32 v[106:107], v[10:11], v[106:107]
	v_add_f64_e32 v[12:13], v[14:15], v[12:13]
	v_add_f64_e32 v[14:15], v[116:117], v[126:127]
	v_fmac_f64_e32 v[2:3], v[6:7], v[100:101]
	v_fma_f64 v[4:5], v[4:5], v[100:101], -v[102:103]
	v_fmac_f64_e32 v[98:99], v[10:11], v[104:105]
	v_fma_f64 v[8:9], v[8:9], v[104:105], -v[106:107]
	v_add_f64_e32 v[6:7], v[12:13], v[96:97]
	v_add_f64_e32 v[12:13], v[14:15], v[118:119]
	s_delay_alu instid0(VALU_DEP_2) | instskip(NEXT) | instid1(VALU_DEP_2)
	v_add_f64_e32 v[4:5], v[6:7], v[4:5]
	v_add_f64_e32 v[2:3], v[12:13], v[2:3]
	s_delay_alu instid0(VALU_DEP_2) | instskip(NEXT) | instid1(VALU_DEP_2)
	v_add_f64_e32 v[4:5], v[4:5], v[8:9]
	v_add_f64_e32 v[6:7], v[2:3], v[98:99]
	s_wait_loadcnt 0x0
	s_delay_alu instid0(VALU_DEP_2) | instskip(NEXT) | instid1(VALU_DEP_2)
	v_add_f64_e64 v[2:3], v[108:109], -v[4:5]
	v_add_f64_e64 v[4:5], v[110:111], -v[6:7]
	scratch_store_b128 off, v[2:5], off offset:512
	s_wait_xcnt 0x0
	v_cmpx_lt_u32_e32 31, v1
	s_cbranch_execz .LBB38_185
; %bb.184:
	scratch_load_b128 v[2:5], off, s11
	v_mov_b32_e32 v6, 0
	s_delay_alu instid0(VALU_DEP_1)
	v_dual_mov_b32 v7, v6 :: v_dual_mov_b32 v8, v6
	v_mov_b32_e32 v9, v6
	scratch_store_b128 off, v[6:9], off offset:496
	s_wait_loadcnt 0x0
	ds_store_b128 v94, v[2:5]
.LBB38_185:
	s_wait_xcnt 0x0
	s_or_b32 exec_lo, exec_lo, s2
	s_wait_storecnt_dscnt 0x0
	s_barrier_signal -1
	s_barrier_wait -1
	s_clause 0x7
	scratch_load_b128 v[4:7], off, off offset:512
	scratch_load_b128 v[8:11], off, off offset:528
	;; [unrolled: 1-line block ×8, first 2 shown]
	v_mov_b32_e32 v2, 0
	ds_load_b128 v[116:119], v2 offset:1136
	ds_load_b128 v[120:123], v2 offset:1152
	s_mov_b32 s2, exec_lo
	s_wait_loadcnt_dscnt 0x701
	v_mul_f64_e32 v[124:125], v[118:119], v[6:7]
	v_mul_f64_e32 v[126:127], v[116:117], v[6:7]
	s_wait_loadcnt_dscnt 0x600
	v_mul_f64_e32 v[128:129], v[120:121], v[10:11]
	v_mul_f64_e32 v[10:11], v[122:123], v[10:11]
	s_delay_alu instid0(VALU_DEP_4) | instskip(NEXT) | instid1(VALU_DEP_4)
	v_fma_f64 v[124:125], v[116:117], v[4:5], -v[124:125]
	v_fmac_f64_e32 v[126:127], v[118:119], v[4:5]
	ds_load_b128 v[4:7], v2 offset:1168
	ds_load_b128 v[116:119], v2 offset:1184
	v_fmac_f64_e32 v[128:129], v[122:123], v[8:9]
	v_fma_f64 v[8:9], v[120:121], v[8:9], -v[10:11]
	s_wait_loadcnt_dscnt 0x501
	v_mul_f64_e32 v[130:131], v[4:5], v[14:15]
	v_mul_f64_e32 v[14:15], v[6:7], v[14:15]
	s_wait_loadcnt_dscnt 0x400
	v_mul_f64_e32 v[122:123], v[116:117], v[98:99]
	v_mul_f64_e32 v[98:99], v[118:119], v[98:99]
	v_add_f64_e32 v[10:11], 0, v[124:125]
	v_add_f64_e32 v[120:121], 0, v[126:127]
	v_fmac_f64_e32 v[130:131], v[6:7], v[12:13]
	v_fma_f64 v[12:13], v[4:5], v[12:13], -v[14:15]
	v_fmac_f64_e32 v[122:123], v[118:119], v[96:97]
	v_fma_f64 v[96:97], v[116:117], v[96:97], -v[98:99]
	v_add_f64_e32 v[14:15], v[10:11], v[8:9]
	v_add_f64_e32 v[120:121], v[120:121], v[128:129]
	ds_load_b128 v[4:7], v2 offset:1200
	ds_load_b128 v[8:11], v2 offset:1216
	s_wait_loadcnt_dscnt 0x301
	v_mul_f64_e32 v[124:125], v[4:5], v[102:103]
	v_mul_f64_e32 v[102:103], v[6:7], v[102:103]
	s_wait_loadcnt_dscnt 0x200
	v_mul_f64_e32 v[98:99], v[8:9], v[106:107]
	v_mul_f64_e32 v[106:107], v[10:11], v[106:107]
	v_add_f64_e32 v[12:13], v[14:15], v[12:13]
	v_add_f64_e32 v[14:15], v[120:121], v[130:131]
	v_fmac_f64_e32 v[124:125], v[6:7], v[100:101]
	v_fma_f64 v[100:101], v[4:5], v[100:101], -v[102:103]
	ds_load_b128 v[4:7], v2 offset:1232
	v_fmac_f64_e32 v[98:99], v[10:11], v[104:105]
	v_fma_f64 v[8:9], v[8:9], v[104:105], -v[106:107]
	v_add_f64_e32 v[12:13], v[12:13], v[96:97]
	v_add_f64_e32 v[14:15], v[14:15], v[122:123]
	s_wait_loadcnt_dscnt 0x100
	v_mul_f64_e32 v[96:97], v[4:5], v[110:111]
	v_mul_f64_e32 v[102:103], v[6:7], v[110:111]
	s_delay_alu instid0(VALU_DEP_4) | instskip(NEXT) | instid1(VALU_DEP_4)
	v_add_f64_e32 v[10:11], v[12:13], v[100:101]
	v_add_f64_e32 v[12:13], v[14:15], v[124:125]
	s_delay_alu instid0(VALU_DEP_4) | instskip(NEXT) | instid1(VALU_DEP_4)
	v_fmac_f64_e32 v[96:97], v[6:7], v[108:109]
	v_fma_f64 v[4:5], v[4:5], v[108:109], -v[102:103]
	s_delay_alu instid0(VALU_DEP_4) | instskip(NEXT) | instid1(VALU_DEP_4)
	v_add_f64_e32 v[6:7], v[10:11], v[8:9]
	v_add_f64_e32 v[8:9], v[12:13], v[98:99]
	s_delay_alu instid0(VALU_DEP_2) | instskip(NEXT) | instid1(VALU_DEP_2)
	v_add_f64_e32 v[4:5], v[6:7], v[4:5]
	v_add_f64_e32 v[6:7], v[8:9], v[96:97]
	s_wait_loadcnt 0x0
	s_delay_alu instid0(VALU_DEP_2) | instskip(NEXT) | instid1(VALU_DEP_2)
	v_add_f64_e64 v[4:5], v[112:113], -v[4:5]
	v_add_f64_e64 v[6:7], v[114:115], -v[6:7]
	scratch_store_b128 off, v[4:7], off offset:496
	s_wait_xcnt 0x0
	v_cmpx_lt_u32_e32 30, v1
	s_cbranch_execz .LBB38_187
; %bb.186:
	scratch_load_b128 v[6:9], off, s20
	v_dual_mov_b32 v3, v2 :: v_dual_mov_b32 v4, v2
	v_mov_b32_e32 v5, v2
	scratch_store_b128 off, v[2:5], off offset:480
	s_wait_loadcnt 0x0
	ds_store_b128 v94, v[6:9]
.LBB38_187:
	s_wait_xcnt 0x0
	s_or_b32 exec_lo, exec_lo, s2
	s_wait_storecnt_dscnt 0x0
	s_barrier_signal -1
	s_barrier_wait -1
	s_clause 0x7
	scratch_load_b128 v[4:7], off, off offset:496
	scratch_load_b128 v[8:11], off, off offset:512
	;; [unrolled: 1-line block ×8, first 2 shown]
	ds_load_b128 v[116:119], v2 offset:1120
	ds_load_b128 v[120:123], v2 offset:1136
	scratch_load_b128 v[124:127], off, off offset:480
	s_mov_b32 s2, exec_lo
	s_wait_loadcnt_dscnt 0x801
	v_mul_f64_e32 v[128:129], v[118:119], v[6:7]
	v_mul_f64_e32 v[130:131], v[116:117], v[6:7]
	s_wait_loadcnt_dscnt 0x700
	v_mul_f64_e32 v[132:133], v[120:121], v[10:11]
	v_mul_f64_e32 v[10:11], v[122:123], v[10:11]
	s_delay_alu instid0(VALU_DEP_4) | instskip(NEXT) | instid1(VALU_DEP_4)
	v_fma_f64 v[128:129], v[116:117], v[4:5], -v[128:129]
	v_fmac_f64_e32 v[130:131], v[118:119], v[4:5]
	ds_load_b128 v[4:7], v2 offset:1152
	ds_load_b128 v[116:119], v2 offset:1168
	v_fmac_f64_e32 v[132:133], v[122:123], v[8:9]
	v_fma_f64 v[8:9], v[120:121], v[8:9], -v[10:11]
	s_wait_loadcnt_dscnt 0x601
	v_mul_f64_e32 v[134:135], v[4:5], v[14:15]
	v_mul_f64_e32 v[14:15], v[6:7], v[14:15]
	s_wait_loadcnt_dscnt 0x500
	v_mul_f64_e32 v[122:123], v[116:117], v[98:99]
	v_mul_f64_e32 v[98:99], v[118:119], v[98:99]
	v_add_f64_e32 v[10:11], 0, v[128:129]
	v_add_f64_e32 v[120:121], 0, v[130:131]
	v_fmac_f64_e32 v[134:135], v[6:7], v[12:13]
	v_fma_f64 v[12:13], v[4:5], v[12:13], -v[14:15]
	v_fmac_f64_e32 v[122:123], v[118:119], v[96:97]
	v_fma_f64 v[96:97], v[116:117], v[96:97], -v[98:99]
	v_add_f64_e32 v[14:15], v[10:11], v[8:9]
	v_add_f64_e32 v[120:121], v[120:121], v[132:133]
	ds_load_b128 v[4:7], v2 offset:1184
	ds_load_b128 v[8:11], v2 offset:1200
	s_wait_loadcnt_dscnt 0x401
	v_mul_f64_e32 v[128:129], v[4:5], v[102:103]
	v_mul_f64_e32 v[102:103], v[6:7], v[102:103]
	s_wait_loadcnt_dscnt 0x300
	v_mul_f64_e32 v[98:99], v[8:9], v[106:107]
	v_mul_f64_e32 v[106:107], v[10:11], v[106:107]
	v_add_f64_e32 v[12:13], v[14:15], v[12:13]
	v_add_f64_e32 v[14:15], v[120:121], v[134:135]
	v_fmac_f64_e32 v[128:129], v[6:7], v[100:101]
	v_fma_f64 v[100:101], v[4:5], v[100:101], -v[102:103]
	v_fmac_f64_e32 v[98:99], v[10:11], v[104:105]
	v_fma_f64 v[8:9], v[8:9], v[104:105], -v[106:107]
	v_add_f64_e32 v[96:97], v[12:13], v[96:97]
	v_add_f64_e32 v[102:103], v[14:15], v[122:123]
	ds_load_b128 v[4:7], v2 offset:1216
	ds_load_b128 v[12:15], v2 offset:1232
	s_wait_loadcnt_dscnt 0x201
	v_mul_f64_e32 v[2:3], v[4:5], v[110:111]
	v_mul_f64_e32 v[110:111], v[6:7], v[110:111]
	v_add_f64_e32 v[10:11], v[96:97], v[100:101]
	v_add_f64_e32 v[96:97], v[102:103], v[128:129]
	s_wait_loadcnt_dscnt 0x100
	v_mul_f64_e32 v[100:101], v[12:13], v[114:115]
	v_mul_f64_e32 v[102:103], v[14:15], v[114:115]
	v_fmac_f64_e32 v[2:3], v[6:7], v[108:109]
	v_fma_f64 v[4:5], v[4:5], v[108:109], -v[110:111]
	v_add_f64_e32 v[6:7], v[10:11], v[8:9]
	v_add_f64_e32 v[8:9], v[96:97], v[98:99]
	v_fmac_f64_e32 v[100:101], v[14:15], v[112:113]
	v_fma_f64 v[10:11], v[12:13], v[112:113], -v[102:103]
	s_delay_alu instid0(VALU_DEP_4) | instskip(NEXT) | instid1(VALU_DEP_4)
	v_add_f64_e32 v[4:5], v[6:7], v[4:5]
	v_add_f64_e32 v[2:3], v[8:9], v[2:3]
	s_delay_alu instid0(VALU_DEP_2) | instskip(NEXT) | instid1(VALU_DEP_2)
	v_add_f64_e32 v[4:5], v[4:5], v[10:11]
	v_add_f64_e32 v[6:7], v[2:3], v[100:101]
	s_wait_loadcnt 0x0
	s_delay_alu instid0(VALU_DEP_2) | instskip(NEXT) | instid1(VALU_DEP_2)
	v_add_f64_e64 v[2:3], v[124:125], -v[4:5]
	v_add_f64_e64 v[4:5], v[126:127], -v[6:7]
	scratch_store_b128 off, v[2:5], off offset:480
	s_wait_xcnt 0x0
	v_cmpx_lt_u32_e32 29, v1
	s_cbranch_execz .LBB38_189
; %bb.188:
	scratch_load_b128 v[2:5], off, s14
	v_mov_b32_e32 v6, 0
	s_delay_alu instid0(VALU_DEP_1)
	v_dual_mov_b32 v7, v6 :: v_dual_mov_b32 v8, v6
	v_mov_b32_e32 v9, v6
	scratch_store_b128 off, v[6:9], off offset:464
	s_wait_loadcnt 0x0
	ds_store_b128 v94, v[2:5]
.LBB38_189:
	s_wait_xcnt 0x0
	s_or_b32 exec_lo, exec_lo, s2
	s_wait_storecnt_dscnt 0x0
	s_barrier_signal -1
	s_barrier_wait -1
	s_clause 0x8
	scratch_load_b128 v[4:7], off, off offset:480
	scratch_load_b128 v[8:11], off, off offset:496
	;; [unrolled: 1-line block ×9, first 2 shown]
	v_mov_b32_e32 v2, 0
	scratch_load_b128 v[124:127], off, off offset:464
	s_mov_b32 s2, exec_lo
	ds_load_b128 v[120:123], v2 offset:1104
	ds_load_b128 v[128:131], v2 offset:1120
	s_wait_loadcnt_dscnt 0x901
	v_mul_f64_e32 v[132:133], v[122:123], v[6:7]
	v_mul_f64_e32 v[134:135], v[120:121], v[6:7]
	s_wait_loadcnt_dscnt 0x800
	v_mul_f64_e32 v[136:137], v[128:129], v[10:11]
	v_mul_f64_e32 v[10:11], v[130:131], v[10:11]
	s_delay_alu instid0(VALU_DEP_4) | instskip(NEXT) | instid1(VALU_DEP_4)
	v_fma_f64 v[132:133], v[120:121], v[4:5], -v[132:133]
	v_fmac_f64_e32 v[134:135], v[122:123], v[4:5]
	ds_load_b128 v[4:7], v2 offset:1136
	ds_load_b128 v[120:123], v2 offset:1152
	v_fmac_f64_e32 v[136:137], v[130:131], v[8:9]
	v_fma_f64 v[8:9], v[128:129], v[8:9], -v[10:11]
	s_wait_loadcnt_dscnt 0x701
	v_mul_f64_e32 v[138:139], v[4:5], v[14:15]
	v_mul_f64_e32 v[14:15], v[6:7], v[14:15]
	s_wait_loadcnt_dscnt 0x600
	v_mul_f64_e32 v[130:131], v[120:121], v[98:99]
	v_mul_f64_e32 v[98:99], v[122:123], v[98:99]
	v_add_f64_e32 v[10:11], 0, v[132:133]
	v_add_f64_e32 v[128:129], 0, v[134:135]
	v_fmac_f64_e32 v[138:139], v[6:7], v[12:13]
	v_fma_f64 v[12:13], v[4:5], v[12:13], -v[14:15]
	v_fmac_f64_e32 v[130:131], v[122:123], v[96:97]
	v_fma_f64 v[96:97], v[120:121], v[96:97], -v[98:99]
	v_add_f64_e32 v[14:15], v[10:11], v[8:9]
	v_add_f64_e32 v[128:129], v[128:129], v[136:137]
	ds_load_b128 v[4:7], v2 offset:1168
	ds_load_b128 v[8:11], v2 offset:1184
	s_wait_loadcnt_dscnt 0x501
	v_mul_f64_e32 v[132:133], v[4:5], v[102:103]
	v_mul_f64_e32 v[102:103], v[6:7], v[102:103]
	s_wait_loadcnt_dscnt 0x400
	v_mul_f64_e32 v[98:99], v[8:9], v[106:107]
	v_mul_f64_e32 v[106:107], v[10:11], v[106:107]
	v_add_f64_e32 v[12:13], v[14:15], v[12:13]
	v_add_f64_e32 v[14:15], v[128:129], v[138:139]
	v_fmac_f64_e32 v[132:133], v[6:7], v[100:101]
	v_fma_f64 v[100:101], v[4:5], v[100:101], -v[102:103]
	v_fmac_f64_e32 v[98:99], v[10:11], v[104:105]
	v_fma_f64 v[8:9], v[8:9], v[104:105], -v[106:107]
	v_add_f64_e32 v[96:97], v[12:13], v[96:97]
	v_add_f64_e32 v[102:103], v[14:15], v[130:131]
	ds_load_b128 v[4:7], v2 offset:1200
	ds_load_b128 v[12:15], v2 offset:1216
	s_wait_loadcnt_dscnt 0x301
	v_mul_f64_e32 v[120:121], v[4:5], v[110:111]
	v_mul_f64_e32 v[110:111], v[6:7], v[110:111]
	v_add_f64_e32 v[10:11], v[96:97], v[100:101]
	v_add_f64_e32 v[96:97], v[102:103], v[132:133]
	s_wait_loadcnt_dscnt 0x200
	v_mul_f64_e32 v[100:101], v[12:13], v[114:115]
	v_mul_f64_e32 v[102:103], v[14:15], v[114:115]
	v_fmac_f64_e32 v[120:121], v[6:7], v[108:109]
	v_fma_f64 v[104:105], v[4:5], v[108:109], -v[110:111]
	ds_load_b128 v[4:7], v2 offset:1232
	v_add_f64_e32 v[8:9], v[10:11], v[8:9]
	v_add_f64_e32 v[10:11], v[96:97], v[98:99]
	v_fmac_f64_e32 v[100:101], v[14:15], v[112:113]
	v_fma_f64 v[12:13], v[12:13], v[112:113], -v[102:103]
	s_wait_loadcnt_dscnt 0x100
	v_mul_f64_e32 v[96:97], v[4:5], v[118:119]
	v_mul_f64_e32 v[98:99], v[6:7], v[118:119]
	v_add_f64_e32 v[8:9], v[8:9], v[104:105]
	v_add_f64_e32 v[10:11], v[10:11], v[120:121]
	s_delay_alu instid0(VALU_DEP_4) | instskip(NEXT) | instid1(VALU_DEP_4)
	v_fmac_f64_e32 v[96:97], v[6:7], v[116:117]
	v_fma_f64 v[4:5], v[4:5], v[116:117], -v[98:99]
	s_delay_alu instid0(VALU_DEP_4) | instskip(NEXT) | instid1(VALU_DEP_4)
	v_add_f64_e32 v[6:7], v[8:9], v[12:13]
	v_add_f64_e32 v[8:9], v[10:11], v[100:101]
	s_delay_alu instid0(VALU_DEP_2) | instskip(NEXT) | instid1(VALU_DEP_2)
	v_add_f64_e32 v[4:5], v[6:7], v[4:5]
	v_add_f64_e32 v[6:7], v[8:9], v[96:97]
	s_wait_loadcnt 0x0
	s_delay_alu instid0(VALU_DEP_2) | instskip(NEXT) | instid1(VALU_DEP_2)
	v_add_f64_e64 v[4:5], v[124:125], -v[4:5]
	v_add_f64_e64 v[6:7], v[126:127], -v[6:7]
	scratch_store_b128 off, v[4:7], off offset:464
	s_wait_xcnt 0x0
	v_cmpx_lt_u32_e32 28, v1
	s_cbranch_execz .LBB38_191
; %bb.190:
	scratch_load_b128 v[6:9], off, s23
	v_dual_mov_b32 v3, v2 :: v_dual_mov_b32 v4, v2
	v_mov_b32_e32 v5, v2
	scratch_store_b128 off, v[2:5], off offset:448
	s_wait_loadcnt 0x0
	ds_store_b128 v94, v[6:9]
.LBB38_191:
	s_wait_xcnt 0x0
	s_or_b32 exec_lo, exec_lo, s2
	s_wait_storecnt_dscnt 0x0
	s_barrier_signal -1
	s_barrier_wait -1
	s_clause 0x9
	scratch_load_b128 v[4:7], off, off offset:464
	scratch_load_b128 v[8:11], off, off offset:480
	;; [unrolled: 1-line block ×10, first 2 shown]
	ds_load_b128 v[124:127], v2 offset:1088
	ds_load_b128 v[128:131], v2 offset:1104
	scratch_load_b128 v[132:135], off, off offset:448
	s_mov_b32 s2, exec_lo
	s_wait_loadcnt_dscnt 0xa01
	v_mul_f64_e32 v[136:137], v[126:127], v[6:7]
	v_mul_f64_e32 v[138:139], v[124:125], v[6:7]
	s_wait_loadcnt_dscnt 0x900
	v_mul_f64_e32 v[140:141], v[128:129], v[10:11]
	v_mul_f64_e32 v[10:11], v[130:131], v[10:11]
	s_delay_alu instid0(VALU_DEP_4) | instskip(NEXT) | instid1(VALU_DEP_4)
	v_fma_f64 v[136:137], v[124:125], v[4:5], -v[136:137]
	v_fmac_f64_e32 v[138:139], v[126:127], v[4:5]
	ds_load_b128 v[4:7], v2 offset:1120
	ds_load_b128 v[124:127], v2 offset:1136
	v_fmac_f64_e32 v[140:141], v[130:131], v[8:9]
	v_fma_f64 v[8:9], v[128:129], v[8:9], -v[10:11]
	s_wait_loadcnt_dscnt 0x801
	v_mul_f64_e32 v[142:143], v[4:5], v[14:15]
	v_mul_f64_e32 v[14:15], v[6:7], v[14:15]
	s_wait_loadcnt_dscnt 0x700
	v_mul_f64_e32 v[130:131], v[124:125], v[98:99]
	v_mul_f64_e32 v[98:99], v[126:127], v[98:99]
	v_add_f64_e32 v[10:11], 0, v[136:137]
	v_add_f64_e32 v[128:129], 0, v[138:139]
	v_fmac_f64_e32 v[142:143], v[6:7], v[12:13]
	v_fma_f64 v[12:13], v[4:5], v[12:13], -v[14:15]
	v_fmac_f64_e32 v[130:131], v[126:127], v[96:97]
	v_fma_f64 v[96:97], v[124:125], v[96:97], -v[98:99]
	v_add_f64_e32 v[14:15], v[10:11], v[8:9]
	v_add_f64_e32 v[128:129], v[128:129], v[140:141]
	ds_load_b128 v[4:7], v2 offset:1152
	ds_load_b128 v[8:11], v2 offset:1168
	s_wait_loadcnt_dscnt 0x601
	v_mul_f64_e32 v[136:137], v[4:5], v[102:103]
	v_mul_f64_e32 v[102:103], v[6:7], v[102:103]
	s_wait_loadcnt_dscnt 0x500
	v_mul_f64_e32 v[98:99], v[8:9], v[106:107]
	v_mul_f64_e32 v[106:107], v[10:11], v[106:107]
	v_add_f64_e32 v[12:13], v[14:15], v[12:13]
	v_add_f64_e32 v[14:15], v[128:129], v[142:143]
	v_fmac_f64_e32 v[136:137], v[6:7], v[100:101]
	v_fma_f64 v[100:101], v[4:5], v[100:101], -v[102:103]
	v_fmac_f64_e32 v[98:99], v[10:11], v[104:105]
	v_fma_f64 v[8:9], v[8:9], v[104:105], -v[106:107]
	v_add_f64_e32 v[96:97], v[12:13], v[96:97]
	v_add_f64_e32 v[102:103], v[14:15], v[130:131]
	ds_load_b128 v[4:7], v2 offset:1184
	ds_load_b128 v[12:15], v2 offset:1200
	s_wait_loadcnt_dscnt 0x401
	v_mul_f64_e32 v[124:125], v[4:5], v[110:111]
	v_mul_f64_e32 v[110:111], v[6:7], v[110:111]
	v_add_f64_e32 v[10:11], v[96:97], v[100:101]
	v_add_f64_e32 v[96:97], v[102:103], v[136:137]
	s_wait_loadcnt_dscnt 0x300
	v_mul_f64_e32 v[100:101], v[12:13], v[114:115]
	v_mul_f64_e32 v[102:103], v[14:15], v[114:115]
	v_fmac_f64_e32 v[124:125], v[6:7], v[108:109]
	v_fma_f64 v[104:105], v[4:5], v[108:109], -v[110:111]
	v_add_f64_e32 v[106:107], v[10:11], v[8:9]
	v_add_f64_e32 v[96:97], v[96:97], v[98:99]
	ds_load_b128 v[4:7], v2 offset:1216
	ds_load_b128 v[8:11], v2 offset:1232
	v_fmac_f64_e32 v[100:101], v[14:15], v[112:113]
	v_fma_f64 v[12:13], v[12:13], v[112:113], -v[102:103]
	s_wait_loadcnt_dscnt 0x201
	v_mul_f64_e32 v[2:3], v[4:5], v[118:119]
	v_mul_f64_e32 v[98:99], v[6:7], v[118:119]
	s_wait_loadcnt_dscnt 0x100
	v_mul_f64_e32 v[102:103], v[8:9], v[122:123]
	v_add_f64_e32 v[14:15], v[106:107], v[104:105]
	v_add_f64_e32 v[96:97], v[96:97], v[124:125]
	v_mul_f64_e32 v[104:105], v[10:11], v[122:123]
	v_fmac_f64_e32 v[2:3], v[6:7], v[116:117]
	v_fma_f64 v[4:5], v[4:5], v[116:117], -v[98:99]
	v_fmac_f64_e32 v[102:103], v[10:11], v[120:121]
	v_add_f64_e32 v[6:7], v[14:15], v[12:13]
	v_add_f64_e32 v[12:13], v[96:97], v[100:101]
	v_fma_f64 v[8:9], v[8:9], v[120:121], -v[104:105]
	s_delay_alu instid0(VALU_DEP_3) | instskip(NEXT) | instid1(VALU_DEP_3)
	v_add_f64_e32 v[4:5], v[6:7], v[4:5]
	v_add_f64_e32 v[2:3], v[12:13], v[2:3]
	s_delay_alu instid0(VALU_DEP_2) | instskip(NEXT) | instid1(VALU_DEP_2)
	v_add_f64_e32 v[4:5], v[4:5], v[8:9]
	v_add_f64_e32 v[6:7], v[2:3], v[102:103]
	s_wait_loadcnt 0x0
	s_delay_alu instid0(VALU_DEP_2) | instskip(NEXT) | instid1(VALU_DEP_2)
	v_add_f64_e64 v[2:3], v[132:133], -v[4:5]
	v_add_f64_e64 v[4:5], v[134:135], -v[6:7]
	scratch_store_b128 off, v[2:5], off offset:448
	s_wait_xcnt 0x0
	v_cmpx_lt_u32_e32 27, v1
	s_cbranch_execz .LBB38_193
; %bb.192:
	scratch_load_b128 v[2:5], off, s22
	v_mov_b32_e32 v6, 0
	s_delay_alu instid0(VALU_DEP_1)
	v_dual_mov_b32 v7, v6 :: v_dual_mov_b32 v8, v6
	v_mov_b32_e32 v9, v6
	scratch_store_b128 off, v[6:9], off offset:432
	s_wait_loadcnt 0x0
	ds_store_b128 v94, v[2:5]
.LBB38_193:
	s_wait_xcnt 0x0
	s_or_b32 exec_lo, exec_lo, s2
	s_wait_storecnt_dscnt 0x0
	s_barrier_signal -1
	s_barrier_wait -1
	s_clause 0x9
	scratch_load_b128 v[4:7], off, off offset:448
	scratch_load_b128 v[8:11], off, off offset:464
	;; [unrolled: 1-line block ×10, first 2 shown]
	v_mov_b32_e32 v2, 0
	s_mov_b32 s2, exec_lo
	ds_load_b128 v[124:127], v2 offset:1072
	s_clause 0x1
	scratch_load_b128 v[128:131], off, off offset:608
	scratch_load_b128 v[132:135], off, off offset:432
	s_wait_loadcnt_dscnt 0xb00
	v_mul_f64_e32 v[140:141], v[126:127], v[6:7]
	v_mul_f64_e32 v[142:143], v[124:125], v[6:7]
	ds_load_b128 v[136:139], v2 offset:1088
	s_wait_loadcnt_dscnt 0xa00
	v_mul_f64_e32 v[144:145], v[136:137], v[10:11]
	v_mul_f64_e32 v[10:11], v[138:139], v[10:11]
	v_fma_f64 v[140:141], v[124:125], v[4:5], -v[140:141]
	v_fmac_f64_e32 v[142:143], v[126:127], v[4:5]
	ds_load_b128 v[4:7], v2 offset:1104
	ds_load_b128 v[124:127], v2 offset:1120
	s_wait_loadcnt_dscnt 0x901
	v_mul_f64_e32 v[146:147], v[4:5], v[14:15]
	v_mul_f64_e32 v[14:15], v[6:7], v[14:15]
	v_fmac_f64_e32 v[144:145], v[138:139], v[8:9]
	v_fma_f64 v[8:9], v[136:137], v[8:9], -v[10:11]
	s_wait_loadcnt_dscnt 0x800
	v_mul_f64_e32 v[138:139], v[124:125], v[98:99]
	v_mul_f64_e32 v[98:99], v[126:127], v[98:99]
	v_add_f64_e32 v[10:11], 0, v[140:141]
	v_add_f64_e32 v[136:137], 0, v[142:143]
	v_fmac_f64_e32 v[146:147], v[6:7], v[12:13]
	v_fma_f64 v[12:13], v[4:5], v[12:13], -v[14:15]
	v_fmac_f64_e32 v[138:139], v[126:127], v[96:97]
	v_fma_f64 v[96:97], v[124:125], v[96:97], -v[98:99]
	v_add_f64_e32 v[14:15], v[10:11], v[8:9]
	v_add_f64_e32 v[136:137], v[136:137], v[144:145]
	ds_load_b128 v[4:7], v2 offset:1136
	ds_load_b128 v[8:11], v2 offset:1152
	s_wait_loadcnt_dscnt 0x701
	v_mul_f64_e32 v[140:141], v[4:5], v[102:103]
	v_mul_f64_e32 v[102:103], v[6:7], v[102:103]
	s_wait_loadcnt_dscnt 0x600
	v_mul_f64_e32 v[98:99], v[8:9], v[106:107]
	v_mul_f64_e32 v[106:107], v[10:11], v[106:107]
	v_add_f64_e32 v[12:13], v[14:15], v[12:13]
	v_add_f64_e32 v[14:15], v[136:137], v[146:147]
	v_fmac_f64_e32 v[140:141], v[6:7], v[100:101]
	v_fma_f64 v[100:101], v[4:5], v[100:101], -v[102:103]
	v_fmac_f64_e32 v[98:99], v[10:11], v[104:105]
	v_fma_f64 v[8:9], v[8:9], v[104:105], -v[106:107]
	v_add_f64_e32 v[96:97], v[12:13], v[96:97]
	v_add_f64_e32 v[102:103], v[14:15], v[138:139]
	ds_load_b128 v[4:7], v2 offset:1168
	ds_load_b128 v[12:15], v2 offset:1184
	s_wait_loadcnt_dscnt 0x501
	v_mul_f64_e32 v[124:125], v[4:5], v[110:111]
	v_mul_f64_e32 v[110:111], v[6:7], v[110:111]
	v_add_f64_e32 v[10:11], v[96:97], v[100:101]
	v_add_f64_e32 v[96:97], v[102:103], v[140:141]
	s_wait_loadcnt_dscnt 0x400
	v_mul_f64_e32 v[100:101], v[12:13], v[114:115]
	v_mul_f64_e32 v[102:103], v[14:15], v[114:115]
	v_fmac_f64_e32 v[124:125], v[6:7], v[108:109]
	v_fma_f64 v[104:105], v[4:5], v[108:109], -v[110:111]
	v_add_f64_e32 v[106:107], v[10:11], v[8:9]
	v_add_f64_e32 v[96:97], v[96:97], v[98:99]
	ds_load_b128 v[4:7], v2 offset:1200
	ds_load_b128 v[8:11], v2 offset:1216
	v_fmac_f64_e32 v[100:101], v[14:15], v[112:113]
	v_fma_f64 v[12:13], v[12:13], v[112:113], -v[102:103]
	s_wait_loadcnt_dscnt 0x301
	v_mul_f64_e32 v[98:99], v[4:5], v[118:119]
	v_mul_f64_e32 v[108:109], v[6:7], v[118:119]
	s_wait_loadcnt_dscnt 0x200
	v_mul_f64_e32 v[102:103], v[8:9], v[122:123]
	v_add_f64_e32 v[14:15], v[106:107], v[104:105]
	v_add_f64_e32 v[96:97], v[96:97], v[124:125]
	v_mul_f64_e32 v[104:105], v[10:11], v[122:123]
	v_fmac_f64_e32 v[98:99], v[6:7], v[116:117]
	v_fma_f64 v[106:107], v[4:5], v[116:117], -v[108:109]
	ds_load_b128 v[4:7], v2 offset:1232
	v_fmac_f64_e32 v[102:103], v[10:11], v[120:121]
	v_add_f64_e32 v[12:13], v[14:15], v[12:13]
	v_add_f64_e32 v[14:15], v[96:97], v[100:101]
	v_fma_f64 v[8:9], v[8:9], v[120:121], -v[104:105]
	s_wait_loadcnt_dscnt 0x100
	v_mul_f64_e32 v[96:97], v[4:5], v[130:131]
	v_mul_f64_e32 v[100:101], v[6:7], v[130:131]
	v_add_f64_e32 v[10:11], v[12:13], v[106:107]
	v_add_f64_e32 v[12:13], v[14:15], v[98:99]
	s_delay_alu instid0(VALU_DEP_4) | instskip(NEXT) | instid1(VALU_DEP_4)
	v_fmac_f64_e32 v[96:97], v[6:7], v[128:129]
	v_fma_f64 v[4:5], v[4:5], v[128:129], -v[100:101]
	s_delay_alu instid0(VALU_DEP_4) | instskip(NEXT) | instid1(VALU_DEP_4)
	v_add_f64_e32 v[6:7], v[10:11], v[8:9]
	v_add_f64_e32 v[8:9], v[12:13], v[102:103]
	s_delay_alu instid0(VALU_DEP_2) | instskip(NEXT) | instid1(VALU_DEP_2)
	v_add_f64_e32 v[4:5], v[6:7], v[4:5]
	v_add_f64_e32 v[6:7], v[8:9], v[96:97]
	s_wait_loadcnt 0x0
	s_delay_alu instid0(VALU_DEP_2) | instskip(NEXT) | instid1(VALU_DEP_2)
	v_add_f64_e64 v[4:5], v[132:133], -v[4:5]
	v_add_f64_e64 v[6:7], v[134:135], -v[6:7]
	scratch_store_b128 off, v[4:7], off offset:432
	s_wait_xcnt 0x0
	v_cmpx_lt_u32_e32 26, v1
	s_cbranch_execz .LBB38_195
; %bb.194:
	scratch_load_b128 v[6:9], off, s25
	v_dual_mov_b32 v3, v2 :: v_dual_mov_b32 v4, v2
	v_mov_b32_e32 v5, v2
	scratch_store_b128 off, v[2:5], off offset:416
	s_wait_loadcnt 0x0
	ds_store_b128 v94, v[6:9]
.LBB38_195:
	s_wait_xcnt 0x0
	s_or_b32 exec_lo, exec_lo, s2
	s_wait_storecnt_dscnt 0x0
	s_barrier_signal -1
	s_barrier_wait -1
	s_clause 0x9
	scratch_load_b128 v[4:7], off, off offset:432
	scratch_load_b128 v[8:11], off, off offset:448
	;; [unrolled: 1-line block ×10, first 2 shown]
	ds_load_b128 v[124:127], v2 offset:1056
	ds_load_b128 v[132:135], v2 offset:1072
	s_clause 0x2
	scratch_load_b128 v[128:131], off, off offset:592
	scratch_load_b128 v[136:139], off, off offset:416
	;; [unrolled: 1-line block ×3, first 2 shown]
	s_mov_b32 s2, exec_lo
	s_wait_loadcnt_dscnt 0xc01
	v_mul_f64_e32 v[144:145], v[126:127], v[6:7]
	v_mul_f64_e32 v[146:147], v[124:125], v[6:7]
	s_wait_loadcnt_dscnt 0xb00
	v_mul_f64_e32 v[148:149], v[132:133], v[10:11]
	v_mul_f64_e32 v[10:11], v[134:135], v[10:11]
	s_delay_alu instid0(VALU_DEP_4) | instskip(NEXT) | instid1(VALU_DEP_4)
	v_fma_f64 v[144:145], v[124:125], v[4:5], -v[144:145]
	v_fmac_f64_e32 v[146:147], v[126:127], v[4:5]
	ds_load_b128 v[4:7], v2 offset:1088
	ds_load_b128 v[124:127], v2 offset:1104
	v_fmac_f64_e32 v[148:149], v[134:135], v[8:9]
	v_fma_f64 v[8:9], v[132:133], v[8:9], -v[10:11]
	s_wait_loadcnt_dscnt 0xa01
	v_mul_f64_e32 v[150:151], v[4:5], v[14:15]
	v_mul_f64_e32 v[14:15], v[6:7], v[14:15]
	s_wait_loadcnt_dscnt 0x900
	v_mul_f64_e32 v[134:135], v[124:125], v[98:99]
	v_mul_f64_e32 v[98:99], v[126:127], v[98:99]
	v_add_f64_e32 v[10:11], 0, v[144:145]
	v_add_f64_e32 v[132:133], 0, v[146:147]
	v_fmac_f64_e32 v[150:151], v[6:7], v[12:13]
	v_fma_f64 v[12:13], v[4:5], v[12:13], -v[14:15]
	v_fmac_f64_e32 v[134:135], v[126:127], v[96:97]
	v_fma_f64 v[96:97], v[124:125], v[96:97], -v[98:99]
	v_add_f64_e32 v[14:15], v[10:11], v[8:9]
	v_add_f64_e32 v[132:133], v[132:133], v[148:149]
	ds_load_b128 v[4:7], v2 offset:1120
	ds_load_b128 v[8:11], v2 offset:1136
	s_wait_loadcnt_dscnt 0x801
	v_mul_f64_e32 v[144:145], v[4:5], v[102:103]
	v_mul_f64_e32 v[102:103], v[6:7], v[102:103]
	s_wait_loadcnt_dscnt 0x700
	v_mul_f64_e32 v[98:99], v[8:9], v[106:107]
	v_mul_f64_e32 v[106:107], v[10:11], v[106:107]
	v_add_f64_e32 v[12:13], v[14:15], v[12:13]
	v_add_f64_e32 v[14:15], v[132:133], v[150:151]
	v_fmac_f64_e32 v[144:145], v[6:7], v[100:101]
	v_fma_f64 v[100:101], v[4:5], v[100:101], -v[102:103]
	v_fmac_f64_e32 v[98:99], v[10:11], v[104:105]
	v_fma_f64 v[8:9], v[8:9], v[104:105], -v[106:107]
	v_add_f64_e32 v[96:97], v[12:13], v[96:97]
	v_add_f64_e32 v[102:103], v[14:15], v[134:135]
	ds_load_b128 v[4:7], v2 offset:1152
	ds_load_b128 v[12:15], v2 offset:1168
	s_wait_loadcnt_dscnt 0x601
	v_mul_f64_e32 v[124:125], v[4:5], v[110:111]
	v_mul_f64_e32 v[110:111], v[6:7], v[110:111]
	v_add_f64_e32 v[10:11], v[96:97], v[100:101]
	v_add_f64_e32 v[96:97], v[102:103], v[144:145]
	s_wait_loadcnt_dscnt 0x500
	v_mul_f64_e32 v[100:101], v[12:13], v[114:115]
	v_mul_f64_e32 v[102:103], v[14:15], v[114:115]
	v_fmac_f64_e32 v[124:125], v[6:7], v[108:109]
	v_fma_f64 v[104:105], v[4:5], v[108:109], -v[110:111]
	v_add_f64_e32 v[106:107], v[10:11], v[8:9]
	v_add_f64_e32 v[96:97], v[96:97], v[98:99]
	ds_load_b128 v[4:7], v2 offset:1184
	ds_load_b128 v[8:11], v2 offset:1200
	v_fmac_f64_e32 v[100:101], v[14:15], v[112:113]
	v_fma_f64 v[12:13], v[12:13], v[112:113], -v[102:103]
	s_wait_loadcnt_dscnt 0x401
	v_mul_f64_e32 v[98:99], v[4:5], v[118:119]
	v_mul_f64_e32 v[108:109], v[6:7], v[118:119]
	s_wait_loadcnt_dscnt 0x300
	v_mul_f64_e32 v[102:103], v[8:9], v[122:123]
	v_add_f64_e32 v[14:15], v[106:107], v[104:105]
	v_add_f64_e32 v[96:97], v[96:97], v[124:125]
	v_mul_f64_e32 v[104:105], v[10:11], v[122:123]
	v_fmac_f64_e32 v[98:99], v[6:7], v[116:117]
	v_fma_f64 v[106:107], v[4:5], v[116:117], -v[108:109]
	v_fmac_f64_e32 v[102:103], v[10:11], v[120:121]
	v_add_f64_e32 v[108:109], v[14:15], v[12:13]
	v_add_f64_e32 v[96:97], v[96:97], v[100:101]
	ds_load_b128 v[4:7], v2 offset:1216
	ds_load_b128 v[12:15], v2 offset:1232
	v_fma_f64 v[8:9], v[8:9], v[120:121], -v[104:105]
	s_wait_loadcnt_dscnt 0x201
	v_mul_f64_e32 v[2:3], v[4:5], v[130:131]
	v_mul_f64_e32 v[100:101], v[6:7], v[130:131]
	s_wait_loadcnt_dscnt 0x0
	v_mul_f64_e32 v[104:105], v[14:15], v[142:143]
	v_add_f64_e32 v[10:11], v[108:109], v[106:107]
	v_add_f64_e32 v[96:97], v[96:97], v[98:99]
	v_mul_f64_e32 v[98:99], v[12:13], v[142:143]
	v_fmac_f64_e32 v[2:3], v[6:7], v[128:129]
	v_fma_f64 v[4:5], v[4:5], v[128:129], -v[100:101]
	v_add_f64_e32 v[6:7], v[10:11], v[8:9]
	v_add_f64_e32 v[8:9], v[96:97], v[102:103]
	v_fmac_f64_e32 v[98:99], v[14:15], v[140:141]
	v_fma_f64 v[10:11], v[12:13], v[140:141], -v[104:105]
	s_delay_alu instid0(VALU_DEP_4) | instskip(NEXT) | instid1(VALU_DEP_4)
	v_add_f64_e32 v[4:5], v[6:7], v[4:5]
	v_add_f64_e32 v[2:3], v[8:9], v[2:3]
	s_delay_alu instid0(VALU_DEP_2) | instskip(NEXT) | instid1(VALU_DEP_2)
	v_add_f64_e32 v[4:5], v[4:5], v[10:11]
	v_add_f64_e32 v[6:7], v[2:3], v[98:99]
	s_delay_alu instid0(VALU_DEP_2) | instskip(NEXT) | instid1(VALU_DEP_2)
	v_add_f64_e64 v[2:3], v[136:137], -v[4:5]
	v_add_f64_e64 v[4:5], v[138:139], -v[6:7]
	scratch_store_b128 off, v[2:5], off offset:416
	s_wait_xcnt 0x0
	v_cmpx_lt_u32_e32 25, v1
	s_cbranch_execz .LBB38_197
; %bb.196:
	scratch_load_b128 v[2:5], off, s24
	v_mov_b32_e32 v6, 0
	s_delay_alu instid0(VALU_DEP_1)
	v_dual_mov_b32 v7, v6 :: v_dual_mov_b32 v8, v6
	v_mov_b32_e32 v9, v6
	scratch_store_b128 off, v[6:9], off offset:400
	s_wait_loadcnt 0x0
	ds_store_b128 v94, v[2:5]
.LBB38_197:
	s_wait_xcnt 0x0
	s_or_b32 exec_lo, exec_lo, s2
	s_wait_storecnt_dscnt 0x0
	s_barrier_signal -1
	s_barrier_wait -1
	s_clause 0x9
	scratch_load_b128 v[4:7], off, off offset:416
	scratch_load_b128 v[8:11], off, off offset:432
	scratch_load_b128 v[12:15], off, off offset:448
	scratch_load_b128 v[96:99], off, off offset:464
	scratch_load_b128 v[100:103], off, off offset:480
	scratch_load_b128 v[104:107], off, off offset:496
	scratch_load_b128 v[108:111], off, off offset:512
	scratch_load_b128 v[112:115], off, off offset:528
	scratch_load_b128 v[116:119], off, off offset:544
	scratch_load_b128 v[120:123], off, off offset:560
	v_mov_b32_e32 v2, 0
	s_mov_b32 s2, exec_lo
	ds_load_b128 v[124:127], v2 offset:1040
	s_clause 0x2
	scratch_load_b128 v[128:131], off, off offset:576
	scratch_load_b128 v[132:135], off, off offset:400
	scratch_load_b128 v[140:143], off, off offset:592
	s_wait_loadcnt_dscnt 0xc00
	v_mul_f64_e32 v[144:145], v[126:127], v[6:7]
	v_mul_f64_e32 v[148:149], v[124:125], v[6:7]
	ds_load_b128 v[136:139], v2 offset:1056
	v_fma_f64 v[152:153], v[124:125], v[4:5], -v[144:145]
	v_fmac_f64_e32 v[148:149], v[126:127], v[4:5]
	ds_load_b128 v[4:7], v2 offset:1072
	s_wait_loadcnt_dscnt 0xb01
	v_mul_f64_e32 v[150:151], v[136:137], v[10:11]
	v_mul_f64_e32 v[10:11], v[138:139], v[10:11]
	scratch_load_b128 v[124:127], off, off offset:608
	ds_load_b128 v[144:147], v2 offset:1088
	s_wait_loadcnt_dscnt 0xb01
	v_mul_f64_e32 v[154:155], v[4:5], v[14:15]
	v_mul_f64_e32 v[14:15], v[6:7], v[14:15]
	v_fmac_f64_e32 v[150:151], v[138:139], v[8:9]
	v_fma_f64 v[8:9], v[136:137], v[8:9], -v[10:11]
	v_add_f64_e32 v[10:11], 0, v[152:153]
	v_add_f64_e32 v[136:137], 0, v[148:149]
	s_wait_loadcnt_dscnt 0xa00
	v_mul_f64_e32 v[138:139], v[144:145], v[98:99]
	v_mul_f64_e32 v[98:99], v[146:147], v[98:99]
	v_fmac_f64_e32 v[154:155], v[6:7], v[12:13]
	v_fma_f64 v[12:13], v[4:5], v[12:13], -v[14:15]
	v_add_f64_e32 v[14:15], v[10:11], v[8:9]
	v_add_f64_e32 v[136:137], v[136:137], v[150:151]
	ds_load_b128 v[4:7], v2 offset:1104
	ds_load_b128 v[8:11], v2 offset:1120
	v_fmac_f64_e32 v[138:139], v[146:147], v[96:97]
	v_fma_f64 v[96:97], v[144:145], v[96:97], -v[98:99]
	s_wait_loadcnt_dscnt 0x901
	v_mul_f64_e32 v[148:149], v[4:5], v[102:103]
	v_mul_f64_e32 v[102:103], v[6:7], v[102:103]
	s_wait_loadcnt_dscnt 0x800
	v_mul_f64_e32 v[98:99], v[8:9], v[106:107]
	v_mul_f64_e32 v[106:107], v[10:11], v[106:107]
	v_add_f64_e32 v[12:13], v[14:15], v[12:13]
	v_add_f64_e32 v[14:15], v[136:137], v[154:155]
	v_fmac_f64_e32 v[148:149], v[6:7], v[100:101]
	v_fma_f64 v[100:101], v[4:5], v[100:101], -v[102:103]
	v_fmac_f64_e32 v[98:99], v[10:11], v[104:105]
	v_fma_f64 v[8:9], v[8:9], v[104:105], -v[106:107]
	v_add_f64_e32 v[96:97], v[12:13], v[96:97]
	v_add_f64_e32 v[102:103], v[14:15], v[138:139]
	ds_load_b128 v[4:7], v2 offset:1136
	ds_load_b128 v[12:15], v2 offset:1152
	s_wait_loadcnt_dscnt 0x701
	v_mul_f64_e32 v[136:137], v[4:5], v[110:111]
	v_mul_f64_e32 v[110:111], v[6:7], v[110:111]
	v_add_f64_e32 v[10:11], v[96:97], v[100:101]
	v_add_f64_e32 v[96:97], v[102:103], v[148:149]
	s_wait_loadcnt_dscnt 0x600
	v_mul_f64_e32 v[100:101], v[12:13], v[114:115]
	v_mul_f64_e32 v[102:103], v[14:15], v[114:115]
	v_fmac_f64_e32 v[136:137], v[6:7], v[108:109]
	v_fma_f64 v[104:105], v[4:5], v[108:109], -v[110:111]
	v_add_f64_e32 v[106:107], v[10:11], v[8:9]
	v_add_f64_e32 v[96:97], v[96:97], v[98:99]
	ds_load_b128 v[4:7], v2 offset:1168
	ds_load_b128 v[8:11], v2 offset:1184
	v_fmac_f64_e32 v[100:101], v[14:15], v[112:113]
	v_fma_f64 v[12:13], v[12:13], v[112:113], -v[102:103]
	s_wait_loadcnt_dscnt 0x501
	v_mul_f64_e32 v[98:99], v[4:5], v[118:119]
	v_mul_f64_e32 v[108:109], v[6:7], v[118:119]
	s_wait_loadcnt_dscnt 0x400
	v_mul_f64_e32 v[102:103], v[8:9], v[122:123]
	v_add_f64_e32 v[14:15], v[106:107], v[104:105]
	v_add_f64_e32 v[96:97], v[96:97], v[136:137]
	v_mul_f64_e32 v[104:105], v[10:11], v[122:123]
	v_fmac_f64_e32 v[98:99], v[6:7], v[116:117]
	v_fma_f64 v[106:107], v[4:5], v[116:117], -v[108:109]
	v_fmac_f64_e32 v[102:103], v[10:11], v[120:121]
	v_add_f64_e32 v[108:109], v[14:15], v[12:13]
	v_add_f64_e32 v[96:97], v[96:97], v[100:101]
	ds_load_b128 v[4:7], v2 offset:1200
	ds_load_b128 v[12:15], v2 offset:1216
	v_fma_f64 v[8:9], v[8:9], v[120:121], -v[104:105]
	s_wait_loadcnt_dscnt 0x301
	v_mul_f64_e32 v[100:101], v[4:5], v[130:131]
	v_mul_f64_e32 v[110:111], v[6:7], v[130:131]
	s_wait_loadcnt_dscnt 0x100
	v_mul_f64_e32 v[104:105], v[14:15], v[142:143]
	v_add_f64_e32 v[10:11], v[108:109], v[106:107]
	v_add_f64_e32 v[96:97], v[96:97], v[98:99]
	v_mul_f64_e32 v[98:99], v[12:13], v[142:143]
	v_fmac_f64_e32 v[100:101], v[6:7], v[128:129]
	v_fma_f64 v[106:107], v[4:5], v[128:129], -v[110:111]
	ds_load_b128 v[4:7], v2 offset:1232
	v_fma_f64 v[12:13], v[12:13], v[140:141], -v[104:105]
	v_add_f64_e32 v[8:9], v[10:11], v[8:9]
	v_add_f64_e32 v[10:11], v[96:97], v[102:103]
	v_fmac_f64_e32 v[98:99], v[14:15], v[140:141]
	s_wait_loadcnt_dscnt 0x0
	v_mul_f64_e32 v[96:97], v[4:5], v[126:127]
	v_mul_f64_e32 v[102:103], v[6:7], v[126:127]
	v_add_f64_e32 v[8:9], v[8:9], v[106:107]
	v_add_f64_e32 v[10:11], v[10:11], v[100:101]
	s_delay_alu instid0(VALU_DEP_4) | instskip(NEXT) | instid1(VALU_DEP_4)
	v_fmac_f64_e32 v[96:97], v[6:7], v[124:125]
	v_fma_f64 v[4:5], v[4:5], v[124:125], -v[102:103]
	s_delay_alu instid0(VALU_DEP_4) | instskip(NEXT) | instid1(VALU_DEP_4)
	v_add_f64_e32 v[6:7], v[8:9], v[12:13]
	v_add_f64_e32 v[8:9], v[10:11], v[98:99]
	s_delay_alu instid0(VALU_DEP_2) | instskip(NEXT) | instid1(VALU_DEP_2)
	v_add_f64_e32 v[4:5], v[6:7], v[4:5]
	v_add_f64_e32 v[6:7], v[8:9], v[96:97]
	s_delay_alu instid0(VALU_DEP_2) | instskip(NEXT) | instid1(VALU_DEP_2)
	v_add_f64_e64 v[4:5], v[132:133], -v[4:5]
	v_add_f64_e64 v[6:7], v[134:135], -v[6:7]
	scratch_store_b128 off, v[4:7], off offset:400
	s_wait_xcnt 0x0
	v_cmpx_lt_u32_e32 24, v1
	s_cbranch_execz .LBB38_199
; %bb.198:
	scratch_load_b128 v[6:9], off, s27
	v_dual_mov_b32 v3, v2 :: v_dual_mov_b32 v4, v2
	v_mov_b32_e32 v5, v2
	scratch_store_b128 off, v[2:5], off offset:384
	s_wait_loadcnt 0x0
	ds_store_b128 v94, v[6:9]
.LBB38_199:
	s_wait_xcnt 0x0
	s_or_b32 exec_lo, exec_lo, s2
	s_wait_storecnt_dscnt 0x0
	s_barrier_signal -1
	s_barrier_wait -1
	s_clause 0x9
	scratch_load_b128 v[4:7], off, off offset:400
	scratch_load_b128 v[8:11], off, off offset:416
	;; [unrolled: 1-line block ×10, first 2 shown]
	ds_load_b128 v[124:127], v2 offset:1024
	ds_load_b128 v[132:135], v2 offset:1040
	s_clause 0x2
	scratch_load_b128 v[128:131], off, off offset:560
	scratch_load_b128 v[136:139], off, off offset:384
	;; [unrolled: 1-line block ×3, first 2 shown]
	s_mov_b32 s2, exec_lo
	s_wait_loadcnt_dscnt 0xc01
	v_mul_f64_e32 v[144:145], v[126:127], v[6:7]
	v_mul_f64_e32 v[148:149], v[124:125], v[6:7]
	s_wait_loadcnt_dscnt 0xb00
	v_mul_f64_e32 v[150:151], v[132:133], v[10:11]
	v_mul_f64_e32 v[10:11], v[134:135], v[10:11]
	s_delay_alu instid0(VALU_DEP_4) | instskip(NEXT) | instid1(VALU_DEP_4)
	v_fma_f64 v[152:153], v[124:125], v[4:5], -v[144:145]
	v_fmac_f64_e32 v[148:149], v[126:127], v[4:5]
	ds_load_b128 v[4:7], v2 offset:1056
	ds_load_b128 v[124:127], v2 offset:1072
	scratch_load_b128 v[144:147], off, off offset:592
	v_fmac_f64_e32 v[150:151], v[134:135], v[8:9]
	v_fma_f64 v[132:133], v[132:133], v[8:9], -v[10:11]
	scratch_load_b128 v[8:11], off, off offset:608
	s_wait_loadcnt_dscnt 0xc01
	v_mul_f64_e32 v[154:155], v[4:5], v[14:15]
	v_mul_f64_e32 v[14:15], v[6:7], v[14:15]
	v_add_f64_e32 v[134:135], 0, v[152:153]
	v_add_f64_e32 v[148:149], 0, v[148:149]
	s_wait_loadcnt_dscnt 0xb00
	v_mul_f64_e32 v[152:153], v[124:125], v[98:99]
	v_mul_f64_e32 v[98:99], v[126:127], v[98:99]
	v_fmac_f64_e32 v[154:155], v[6:7], v[12:13]
	v_fma_f64 v[156:157], v[4:5], v[12:13], -v[14:15]
	ds_load_b128 v[4:7], v2 offset:1088
	ds_load_b128 v[12:15], v2 offset:1104
	v_add_f64_e32 v[132:133], v[134:135], v[132:133]
	v_add_f64_e32 v[134:135], v[148:149], v[150:151]
	v_fmac_f64_e32 v[152:153], v[126:127], v[96:97]
	v_fma_f64 v[96:97], v[124:125], v[96:97], -v[98:99]
	s_wait_loadcnt_dscnt 0xa01
	v_mul_f64_e32 v[148:149], v[4:5], v[102:103]
	v_mul_f64_e32 v[102:103], v[6:7], v[102:103]
	s_wait_loadcnt_dscnt 0x900
	v_mul_f64_e32 v[126:127], v[12:13], v[106:107]
	v_mul_f64_e32 v[106:107], v[14:15], v[106:107]
	v_add_f64_e32 v[98:99], v[132:133], v[156:157]
	v_add_f64_e32 v[124:125], v[134:135], v[154:155]
	v_fmac_f64_e32 v[148:149], v[6:7], v[100:101]
	v_fma_f64 v[100:101], v[4:5], v[100:101], -v[102:103]
	v_fmac_f64_e32 v[126:127], v[14:15], v[104:105]
	v_fma_f64 v[12:13], v[12:13], v[104:105], -v[106:107]
	v_add_f64_e32 v[102:103], v[98:99], v[96:97]
	v_add_f64_e32 v[124:125], v[124:125], v[152:153]
	ds_load_b128 v[4:7], v2 offset:1120
	ds_load_b128 v[96:99], v2 offset:1136
	s_wait_loadcnt_dscnt 0x801
	v_mul_f64_e32 v[132:133], v[4:5], v[110:111]
	v_mul_f64_e32 v[110:111], v[6:7], v[110:111]
	s_wait_loadcnt_dscnt 0x700
	v_mul_f64_e32 v[104:105], v[98:99], v[114:115]
	v_add_f64_e32 v[14:15], v[102:103], v[100:101]
	v_add_f64_e32 v[100:101], v[124:125], v[148:149]
	v_mul_f64_e32 v[102:103], v[96:97], v[114:115]
	v_fmac_f64_e32 v[132:133], v[6:7], v[108:109]
	v_fma_f64 v[106:107], v[4:5], v[108:109], -v[110:111]
	v_fma_f64 v[96:97], v[96:97], v[112:113], -v[104:105]
	v_add_f64_e32 v[108:109], v[14:15], v[12:13]
	v_add_f64_e32 v[100:101], v[100:101], v[126:127]
	ds_load_b128 v[4:7], v2 offset:1152
	ds_load_b128 v[12:15], v2 offset:1168
	v_fmac_f64_e32 v[102:103], v[98:99], v[112:113]
	s_wait_loadcnt_dscnt 0x601
	v_mul_f64_e32 v[110:111], v[4:5], v[118:119]
	v_mul_f64_e32 v[114:115], v[6:7], v[118:119]
	s_wait_loadcnt_dscnt 0x500
	v_mul_f64_e32 v[104:105], v[12:13], v[122:123]
	v_add_f64_e32 v[98:99], v[108:109], v[106:107]
	v_add_f64_e32 v[100:101], v[100:101], v[132:133]
	v_mul_f64_e32 v[106:107], v[14:15], v[122:123]
	v_fmac_f64_e32 v[110:111], v[6:7], v[116:117]
	v_fma_f64 v[108:109], v[4:5], v[116:117], -v[114:115]
	v_fmac_f64_e32 v[104:105], v[14:15], v[120:121]
	v_add_f64_e32 v[112:113], v[98:99], v[96:97]
	v_add_f64_e32 v[100:101], v[100:101], v[102:103]
	ds_load_b128 v[4:7], v2 offset:1184
	ds_load_b128 v[96:99], v2 offset:1200
	v_fma_f64 v[12:13], v[12:13], v[120:121], -v[106:107]
	s_wait_loadcnt_dscnt 0x401
	v_mul_f64_e32 v[102:103], v[4:5], v[130:131]
	v_mul_f64_e32 v[114:115], v[6:7], v[130:131]
	s_wait_loadcnt_dscnt 0x200
	v_mul_f64_e32 v[106:107], v[96:97], v[142:143]
	v_add_f64_e32 v[14:15], v[112:113], v[108:109]
	v_add_f64_e32 v[100:101], v[100:101], v[110:111]
	v_mul_f64_e32 v[108:109], v[98:99], v[142:143]
	v_fmac_f64_e32 v[102:103], v[6:7], v[128:129]
	v_fma_f64 v[110:111], v[4:5], v[128:129], -v[114:115]
	v_fmac_f64_e32 v[106:107], v[98:99], v[140:141]
	v_add_f64_e32 v[112:113], v[14:15], v[12:13]
	v_add_f64_e32 v[100:101], v[100:101], v[104:105]
	ds_load_b128 v[4:7], v2 offset:1216
	ds_load_b128 v[12:15], v2 offset:1232
	v_fma_f64 v[96:97], v[96:97], v[140:141], -v[108:109]
	s_wait_loadcnt_dscnt 0x101
	v_mul_f64_e32 v[2:3], v[4:5], v[146:147]
	v_mul_f64_e32 v[104:105], v[6:7], v[146:147]
	v_add_f64_e32 v[98:99], v[112:113], v[110:111]
	v_add_f64_e32 v[100:101], v[100:101], v[102:103]
	s_wait_loadcnt_dscnt 0x0
	v_mul_f64_e32 v[102:103], v[12:13], v[10:11]
	v_mul_f64_e32 v[10:11], v[14:15], v[10:11]
	v_fmac_f64_e32 v[2:3], v[6:7], v[144:145]
	v_fma_f64 v[4:5], v[4:5], v[144:145], -v[104:105]
	v_add_f64_e32 v[6:7], v[98:99], v[96:97]
	v_add_f64_e32 v[96:97], v[100:101], v[106:107]
	v_fmac_f64_e32 v[102:103], v[14:15], v[8:9]
	v_fma_f64 v[8:9], v[12:13], v[8:9], -v[10:11]
	s_delay_alu instid0(VALU_DEP_4) | instskip(NEXT) | instid1(VALU_DEP_4)
	v_add_f64_e32 v[4:5], v[6:7], v[4:5]
	v_add_f64_e32 v[2:3], v[96:97], v[2:3]
	s_delay_alu instid0(VALU_DEP_2) | instskip(NEXT) | instid1(VALU_DEP_2)
	v_add_f64_e32 v[4:5], v[4:5], v[8:9]
	v_add_f64_e32 v[6:7], v[2:3], v[102:103]
	s_delay_alu instid0(VALU_DEP_2) | instskip(NEXT) | instid1(VALU_DEP_2)
	v_add_f64_e64 v[2:3], v[136:137], -v[4:5]
	v_add_f64_e64 v[4:5], v[138:139], -v[6:7]
	scratch_store_b128 off, v[2:5], off offset:384
	s_wait_xcnt 0x0
	v_cmpx_lt_u32_e32 23, v1
	s_cbranch_execz .LBB38_201
; %bb.200:
	scratch_load_b128 v[2:5], off, s26
	v_mov_b32_e32 v6, 0
	s_delay_alu instid0(VALU_DEP_1)
	v_dual_mov_b32 v7, v6 :: v_dual_mov_b32 v8, v6
	v_mov_b32_e32 v9, v6
	scratch_store_b128 off, v[6:9], off offset:368
	s_wait_loadcnt 0x0
	ds_store_b128 v94, v[2:5]
.LBB38_201:
	s_wait_xcnt 0x0
	s_or_b32 exec_lo, exec_lo, s2
	s_wait_storecnt_dscnt 0x0
	s_barrier_signal -1
	s_barrier_wait -1
	s_clause 0x9
	scratch_load_b128 v[4:7], off, off offset:384
	scratch_load_b128 v[8:11], off, off offset:400
	;; [unrolled: 1-line block ×10, first 2 shown]
	v_mov_b32_e32 v2, 0
	s_mov_b32 s2, exec_lo
	ds_load_b128 v[124:127], v2 offset:1008
	s_clause 0x2
	scratch_load_b128 v[128:131], off, off offset:544
	scratch_load_b128 v[132:135], off, off offset:368
	;; [unrolled: 1-line block ×3, first 2 shown]
	s_wait_loadcnt_dscnt 0xc00
	v_mul_f64_e32 v[144:145], v[126:127], v[6:7]
	v_mul_f64_e32 v[148:149], v[124:125], v[6:7]
	ds_load_b128 v[136:139], v2 offset:1024
	v_fma_f64 v[152:153], v[124:125], v[4:5], -v[144:145]
	v_fmac_f64_e32 v[148:149], v[126:127], v[4:5]
	ds_load_b128 v[4:7], v2 offset:1040
	s_wait_loadcnt_dscnt 0xb01
	v_mul_f64_e32 v[150:151], v[136:137], v[10:11]
	v_mul_f64_e32 v[10:11], v[138:139], v[10:11]
	scratch_load_b128 v[124:127], off, off offset:576
	ds_load_b128 v[144:147], v2 offset:1056
	s_wait_loadcnt_dscnt 0xb01
	v_mul_f64_e32 v[154:155], v[4:5], v[14:15]
	v_mul_f64_e32 v[14:15], v[6:7], v[14:15]
	v_add_f64_e32 v[148:149], 0, v[148:149]
	v_fmac_f64_e32 v[150:151], v[138:139], v[8:9]
	v_fma_f64 v[136:137], v[136:137], v[8:9], -v[10:11]
	v_add_f64_e32 v[138:139], 0, v[152:153]
	scratch_load_b128 v[8:11], off, off offset:592
	v_fmac_f64_e32 v[154:155], v[6:7], v[12:13]
	v_fma_f64 v[156:157], v[4:5], v[12:13], -v[14:15]
	ds_load_b128 v[4:7], v2 offset:1072
	s_wait_loadcnt_dscnt 0xb01
	v_mul_f64_e32 v[152:153], v[144:145], v[98:99]
	v_mul_f64_e32 v[98:99], v[146:147], v[98:99]
	scratch_load_b128 v[12:15], off, off offset:608
	v_add_f64_e32 v[148:149], v[148:149], v[150:151]
	v_add_f64_e32 v[158:159], v[138:139], v[136:137]
	ds_load_b128 v[136:139], v2 offset:1088
	s_wait_loadcnt_dscnt 0xb01
	v_mul_f64_e32 v[150:151], v[4:5], v[102:103]
	v_mul_f64_e32 v[102:103], v[6:7], v[102:103]
	v_fmac_f64_e32 v[152:153], v[146:147], v[96:97]
	v_fma_f64 v[96:97], v[144:145], v[96:97], -v[98:99]
	s_wait_loadcnt_dscnt 0xa00
	v_mul_f64_e32 v[146:147], v[136:137], v[106:107]
	v_mul_f64_e32 v[106:107], v[138:139], v[106:107]
	v_add_f64_e32 v[144:145], v[148:149], v[154:155]
	v_add_f64_e32 v[98:99], v[158:159], v[156:157]
	v_fmac_f64_e32 v[150:151], v[6:7], v[100:101]
	v_fma_f64 v[100:101], v[4:5], v[100:101], -v[102:103]
	v_fmac_f64_e32 v[146:147], v[138:139], v[104:105]
	v_fma_f64 v[104:105], v[136:137], v[104:105], -v[106:107]
	v_add_f64_e32 v[144:145], v[144:145], v[152:153]
	v_add_f64_e32 v[102:103], v[98:99], v[96:97]
	ds_load_b128 v[4:7], v2 offset:1104
	ds_load_b128 v[96:99], v2 offset:1120
	s_wait_loadcnt_dscnt 0x901
	v_mul_f64_e32 v[148:149], v[4:5], v[110:111]
	v_mul_f64_e32 v[110:111], v[6:7], v[110:111]
	s_wait_loadcnt_dscnt 0x800
	v_mul_f64_e32 v[106:107], v[96:97], v[114:115]
	v_mul_f64_e32 v[114:115], v[98:99], v[114:115]
	v_add_f64_e32 v[100:101], v[102:103], v[100:101]
	v_add_f64_e32 v[102:103], v[144:145], v[150:151]
	v_fmac_f64_e32 v[148:149], v[6:7], v[108:109]
	v_fma_f64 v[108:109], v[4:5], v[108:109], -v[110:111]
	v_fmac_f64_e32 v[106:107], v[98:99], v[112:113]
	v_fma_f64 v[96:97], v[96:97], v[112:113], -v[114:115]
	v_add_f64_e32 v[104:105], v[100:101], v[104:105]
	v_add_f64_e32 v[110:111], v[102:103], v[146:147]
	ds_load_b128 v[4:7], v2 offset:1136
	ds_load_b128 v[100:103], v2 offset:1152
	s_wait_loadcnt_dscnt 0x701
	v_mul_f64_e32 v[136:137], v[4:5], v[118:119]
	v_mul_f64_e32 v[118:119], v[6:7], v[118:119]
	v_add_f64_e32 v[98:99], v[104:105], v[108:109]
	v_add_f64_e32 v[104:105], v[110:111], v[148:149]
	s_wait_loadcnt_dscnt 0x600
	v_mul_f64_e32 v[108:109], v[100:101], v[122:123]
	v_mul_f64_e32 v[110:111], v[102:103], v[122:123]
	v_fmac_f64_e32 v[136:137], v[6:7], v[116:117]
	v_fma_f64 v[112:113], v[4:5], v[116:117], -v[118:119]
	v_add_f64_e32 v[114:115], v[98:99], v[96:97]
	v_add_f64_e32 v[104:105], v[104:105], v[106:107]
	ds_load_b128 v[4:7], v2 offset:1168
	ds_load_b128 v[96:99], v2 offset:1184
	v_fmac_f64_e32 v[108:109], v[102:103], v[120:121]
	v_fma_f64 v[100:101], v[100:101], v[120:121], -v[110:111]
	s_wait_loadcnt_dscnt 0x501
	v_mul_f64_e32 v[106:107], v[4:5], v[130:131]
	v_mul_f64_e32 v[116:117], v[6:7], v[130:131]
	s_wait_loadcnt_dscnt 0x300
	v_mul_f64_e32 v[110:111], v[96:97], v[142:143]
	v_add_f64_e32 v[102:103], v[114:115], v[112:113]
	v_add_f64_e32 v[104:105], v[104:105], v[136:137]
	v_mul_f64_e32 v[112:113], v[98:99], v[142:143]
	v_fmac_f64_e32 v[106:107], v[6:7], v[128:129]
	v_fma_f64 v[114:115], v[4:5], v[128:129], -v[116:117]
	v_fmac_f64_e32 v[110:111], v[98:99], v[140:141]
	v_add_f64_e32 v[116:117], v[102:103], v[100:101]
	v_add_f64_e32 v[104:105], v[104:105], v[108:109]
	ds_load_b128 v[4:7], v2 offset:1200
	ds_load_b128 v[100:103], v2 offset:1216
	v_fma_f64 v[96:97], v[96:97], v[140:141], -v[112:113]
	s_wait_loadcnt_dscnt 0x201
	v_mul_f64_e32 v[108:109], v[4:5], v[126:127]
	v_mul_f64_e32 v[118:119], v[6:7], v[126:127]
	v_add_f64_e32 v[98:99], v[116:117], v[114:115]
	v_add_f64_e32 v[104:105], v[104:105], v[106:107]
	s_wait_loadcnt_dscnt 0x100
	v_mul_f64_e32 v[106:107], v[100:101], v[10:11]
	v_mul_f64_e32 v[10:11], v[102:103], v[10:11]
	v_fmac_f64_e32 v[108:109], v[6:7], v[124:125]
	v_fma_f64 v[112:113], v[4:5], v[124:125], -v[118:119]
	ds_load_b128 v[4:7], v2 offset:1232
	v_add_f64_e32 v[96:97], v[98:99], v[96:97]
	v_add_f64_e32 v[98:99], v[104:105], v[110:111]
	v_fmac_f64_e32 v[106:107], v[102:103], v[8:9]
	v_fma_f64 v[8:9], v[100:101], v[8:9], -v[10:11]
	s_wait_loadcnt_dscnt 0x0
	v_mul_f64_e32 v[104:105], v[4:5], v[14:15]
	v_mul_f64_e32 v[14:15], v[6:7], v[14:15]
	v_add_f64_e32 v[10:11], v[96:97], v[112:113]
	v_add_f64_e32 v[96:97], v[98:99], v[108:109]
	s_delay_alu instid0(VALU_DEP_4) | instskip(NEXT) | instid1(VALU_DEP_4)
	v_fmac_f64_e32 v[104:105], v[6:7], v[12:13]
	v_fma_f64 v[4:5], v[4:5], v[12:13], -v[14:15]
	s_delay_alu instid0(VALU_DEP_4) | instskip(NEXT) | instid1(VALU_DEP_4)
	v_add_f64_e32 v[6:7], v[10:11], v[8:9]
	v_add_f64_e32 v[8:9], v[96:97], v[106:107]
	s_delay_alu instid0(VALU_DEP_2) | instskip(NEXT) | instid1(VALU_DEP_2)
	v_add_f64_e32 v[4:5], v[6:7], v[4:5]
	v_add_f64_e32 v[6:7], v[8:9], v[104:105]
	s_delay_alu instid0(VALU_DEP_2) | instskip(NEXT) | instid1(VALU_DEP_2)
	v_add_f64_e64 v[4:5], v[132:133], -v[4:5]
	v_add_f64_e64 v[6:7], v[134:135], -v[6:7]
	scratch_store_b128 off, v[4:7], off offset:368
	s_wait_xcnt 0x0
	v_cmpx_lt_u32_e32 22, v1
	s_cbranch_execz .LBB38_203
; %bb.202:
	scratch_load_b128 v[6:9], off, s31
	v_dual_mov_b32 v3, v2 :: v_dual_mov_b32 v4, v2
	v_mov_b32_e32 v5, v2
	scratch_store_b128 off, v[2:5], off offset:352
	s_wait_loadcnt 0x0
	ds_store_b128 v94, v[6:9]
.LBB38_203:
	s_wait_xcnt 0x0
	s_or_b32 exec_lo, exec_lo, s2
	s_wait_storecnt_dscnt 0x0
	s_barrier_signal -1
	s_barrier_wait -1
	s_clause 0x9
	scratch_load_b128 v[4:7], off, off offset:368
	scratch_load_b128 v[8:11], off, off offset:384
	;; [unrolled: 1-line block ×10, first 2 shown]
	ds_load_b128 v[124:127], v2 offset:992
	ds_load_b128 v[132:135], v2 offset:1008
	s_clause 0x2
	scratch_load_b128 v[128:131], off, off offset:528
	scratch_load_b128 v[136:139], off, off offset:352
	;; [unrolled: 1-line block ×3, first 2 shown]
	s_mov_b32 s2, exec_lo
	s_wait_loadcnt_dscnt 0xc01
	v_mul_f64_e32 v[144:145], v[126:127], v[6:7]
	v_mul_f64_e32 v[148:149], v[124:125], v[6:7]
	s_wait_loadcnt_dscnt 0xb00
	v_mul_f64_e32 v[150:151], v[132:133], v[10:11]
	v_mul_f64_e32 v[10:11], v[134:135], v[10:11]
	s_delay_alu instid0(VALU_DEP_4) | instskip(NEXT) | instid1(VALU_DEP_4)
	v_fma_f64 v[152:153], v[124:125], v[4:5], -v[144:145]
	v_fmac_f64_e32 v[148:149], v[126:127], v[4:5]
	ds_load_b128 v[4:7], v2 offset:1024
	ds_load_b128 v[124:127], v2 offset:1040
	scratch_load_b128 v[144:147], off, off offset:560
	v_fmac_f64_e32 v[150:151], v[134:135], v[8:9]
	v_fma_f64 v[132:133], v[132:133], v[8:9], -v[10:11]
	scratch_load_b128 v[8:11], off, off offset:576
	s_wait_loadcnt_dscnt 0xc01
	v_mul_f64_e32 v[154:155], v[4:5], v[14:15]
	v_mul_f64_e32 v[14:15], v[6:7], v[14:15]
	v_add_f64_e32 v[134:135], 0, v[152:153]
	v_add_f64_e32 v[148:149], 0, v[148:149]
	s_wait_loadcnt_dscnt 0xb00
	v_mul_f64_e32 v[152:153], v[124:125], v[98:99]
	v_mul_f64_e32 v[98:99], v[126:127], v[98:99]
	v_fmac_f64_e32 v[154:155], v[6:7], v[12:13]
	v_fma_f64 v[156:157], v[4:5], v[12:13], -v[14:15]
	ds_load_b128 v[4:7], v2 offset:1056
	ds_load_b128 v[12:15], v2 offset:1072
	v_add_f64_e32 v[158:159], v[134:135], v[132:133]
	v_add_f64_e32 v[148:149], v[148:149], v[150:151]
	scratch_load_b128 v[132:135], off, off offset:592
	v_fmac_f64_e32 v[152:153], v[126:127], v[96:97]
	v_fma_f64 v[124:125], v[124:125], v[96:97], -v[98:99]
	scratch_load_b128 v[96:99], off, off offset:608
	s_wait_loadcnt_dscnt 0xc01
	v_mul_f64_e32 v[150:151], v[4:5], v[102:103]
	v_mul_f64_e32 v[102:103], v[6:7], v[102:103]
	v_add_f64_e32 v[126:127], v[158:159], v[156:157]
	v_add_f64_e32 v[148:149], v[148:149], v[154:155]
	s_wait_loadcnt_dscnt 0xb00
	v_mul_f64_e32 v[154:155], v[12:13], v[106:107]
	v_mul_f64_e32 v[106:107], v[14:15], v[106:107]
	v_fmac_f64_e32 v[150:151], v[6:7], v[100:101]
	v_fma_f64 v[156:157], v[4:5], v[100:101], -v[102:103]
	ds_load_b128 v[4:7], v2 offset:1088
	ds_load_b128 v[100:103], v2 offset:1104
	v_add_f64_e32 v[124:125], v[126:127], v[124:125]
	v_add_f64_e32 v[126:127], v[148:149], v[152:153]
	s_wait_loadcnt_dscnt 0xa01
	v_mul_f64_e32 v[148:149], v[4:5], v[110:111]
	v_mul_f64_e32 v[110:111], v[6:7], v[110:111]
	v_fmac_f64_e32 v[154:155], v[14:15], v[104:105]
	v_fma_f64 v[12:13], v[12:13], v[104:105], -v[106:107]
	s_wait_loadcnt_dscnt 0x900
	v_mul_f64_e32 v[106:107], v[100:101], v[114:115]
	v_mul_f64_e32 v[114:115], v[102:103], v[114:115]
	v_add_f64_e32 v[14:15], v[124:125], v[156:157]
	v_add_f64_e32 v[104:105], v[126:127], v[150:151]
	v_fmac_f64_e32 v[148:149], v[6:7], v[108:109]
	v_fma_f64 v[108:109], v[4:5], v[108:109], -v[110:111]
	v_fmac_f64_e32 v[106:107], v[102:103], v[112:113]
	v_fma_f64 v[100:101], v[100:101], v[112:113], -v[114:115]
	v_add_f64_e32 v[110:111], v[14:15], v[12:13]
	v_add_f64_e32 v[104:105], v[104:105], v[154:155]
	ds_load_b128 v[4:7], v2 offset:1120
	ds_load_b128 v[12:15], v2 offset:1136
	s_wait_loadcnt_dscnt 0x801
	v_mul_f64_e32 v[124:125], v[4:5], v[118:119]
	v_mul_f64_e32 v[118:119], v[6:7], v[118:119]
	v_add_f64_e32 v[102:103], v[110:111], v[108:109]
	v_add_f64_e32 v[104:105], v[104:105], v[148:149]
	s_wait_loadcnt_dscnt 0x700
	v_mul_f64_e32 v[108:109], v[12:13], v[122:123]
	v_mul_f64_e32 v[110:111], v[14:15], v[122:123]
	v_fmac_f64_e32 v[124:125], v[6:7], v[116:117]
	v_fma_f64 v[112:113], v[4:5], v[116:117], -v[118:119]
	v_add_f64_e32 v[114:115], v[102:103], v[100:101]
	v_add_f64_e32 v[104:105], v[104:105], v[106:107]
	ds_load_b128 v[4:7], v2 offset:1152
	ds_load_b128 v[100:103], v2 offset:1168
	v_fmac_f64_e32 v[108:109], v[14:15], v[120:121]
	v_fma_f64 v[12:13], v[12:13], v[120:121], -v[110:111]
	s_wait_loadcnt_dscnt 0x601
	v_mul_f64_e32 v[106:107], v[4:5], v[130:131]
	v_mul_f64_e32 v[116:117], v[6:7], v[130:131]
	s_wait_loadcnt_dscnt 0x400
	v_mul_f64_e32 v[110:111], v[100:101], v[142:143]
	v_add_f64_e32 v[14:15], v[114:115], v[112:113]
	v_add_f64_e32 v[104:105], v[104:105], v[124:125]
	v_mul_f64_e32 v[112:113], v[102:103], v[142:143]
	v_fmac_f64_e32 v[106:107], v[6:7], v[128:129]
	v_fma_f64 v[114:115], v[4:5], v[128:129], -v[116:117]
	v_fmac_f64_e32 v[110:111], v[102:103], v[140:141]
	v_add_f64_e32 v[116:117], v[14:15], v[12:13]
	v_add_f64_e32 v[104:105], v[104:105], v[108:109]
	ds_load_b128 v[4:7], v2 offset:1184
	ds_load_b128 v[12:15], v2 offset:1200
	v_fma_f64 v[100:101], v[100:101], v[140:141], -v[112:113]
	s_wait_loadcnt_dscnt 0x301
	v_mul_f64_e32 v[108:109], v[4:5], v[146:147]
	v_mul_f64_e32 v[118:119], v[6:7], v[146:147]
	v_add_f64_e32 v[102:103], v[116:117], v[114:115]
	v_add_f64_e32 v[104:105], v[104:105], v[106:107]
	s_wait_loadcnt_dscnt 0x200
	v_mul_f64_e32 v[106:107], v[12:13], v[10:11]
	v_mul_f64_e32 v[10:11], v[14:15], v[10:11]
	v_fmac_f64_e32 v[108:109], v[6:7], v[144:145]
	v_fma_f64 v[112:113], v[4:5], v[144:145], -v[118:119]
	v_add_f64_e32 v[114:115], v[102:103], v[100:101]
	v_add_f64_e32 v[104:105], v[104:105], v[110:111]
	ds_load_b128 v[4:7], v2 offset:1216
	ds_load_b128 v[100:103], v2 offset:1232
	v_fmac_f64_e32 v[106:107], v[14:15], v[8:9]
	v_fma_f64 v[8:9], v[12:13], v[8:9], -v[10:11]
	s_wait_loadcnt_dscnt 0x101
	v_mul_f64_e32 v[2:3], v[4:5], v[134:135]
	v_mul_f64_e32 v[110:111], v[6:7], v[134:135]
	s_wait_loadcnt_dscnt 0x0
	v_mul_f64_e32 v[14:15], v[100:101], v[98:99]
	v_mul_f64_e32 v[98:99], v[102:103], v[98:99]
	v_add_f64_e32 v[10:11], v[114:115], v[112:113]
	v_add_f64_e32 v[12:13], v[104:105], v[108:109]
	v_fmac_f64_e32 v[2:3], v[6:7], v[132:133]
	v_fma_f64 v[4:5], v[4:5], v[132:133], -v[110:111]
	v_fmac_f64_e32 v[14:15], v[102:103], v[96:97]
	v_add_f64_e32 v[6:7], v[10:11], v[8:9]
	v_add_f64_e32 v[8:9], v[12:13], v[106:107]
	v_fma_f64 v[10:11], v[100:101], v[96:97], -v[98:99]
	s_delay_alu instid0(VALU_DEP_3) | instskip(NEXT) | instid1(VALU_DEP_3)
	v_add_f64_e32 v[4:5], v[6:7], v[4:5]
	v_add_f64_e32 v[2:3], v[8:9], v[2:3]
	s_delay_alu instid0(VALU_DEP_2) | instskip(NEXT) | instid1(VALU_DEP_2)
	v_add_f64_e32 v[4:5], v[4:5], v[10:11]
	v_add_f64_e32 v[6:7], v[2:3], v[14:15]
	s_delay_alu instid0(VALU_DEP_2) | instskip(NEXT) | instid1(VALU_DEP_2)
	v_add_f64_e64 v[2:3], v[136:137], -v[4:5]
	v_add_f64_e64 v[4:5], v[138:139], -v[6:7]
	scratch_store_b128 off, v[2:5], off offset:352
	s_wait_xcnt 0x0
	v_cmpx_lt_u32_e32 21, v1
	s_cbranch_execz .LBB38_205
; %bb.204:
	scratch_load_b128 v[2:5], off, s29
	v_mov_b32_e32 v6, 0
	s_delay_alu instid0(VALU_DEP_1)
	v_dual_mov_b32 v7, v6 :: v_dual_mov_b32 v8, v6
	v_mov_b32_e32 v9, v6
	scratch_store_b128 off, v[6:9], off offset:336
	s_wait_loadcnt 0x0
	ds_store_b128 v94, v[2:5]
.LBB38_205:
	s_wait_xcnt 0x0
	s_or_b32 exec_lo, exec_lo, s2
	s_wait_storecnt_dscnt 0x0
	s_barrier_signal -1
	s_barrier_wait -1
	s_clause 0x9
	scratch_load_b128 v[4:7], off, off offset:352
	scratch_load_b128 v[8:11], off, off offset:368
	;; [unrolled: 1-line block ×10, first 2 shown]
	v_mov_b32_e32 v2, 0
	s_mov_b32 s2, exec_lo
	ds_load_b128 v[124:127], v2 offset:976
	s_clause 0x2
	scratch_load_b128 v[128:131], off, off offset:512
	scratch_load_b128 v[132:135], off, off offset:336
	;; [unrolled: 1-line block ×3, first 2 shown]
	s_wait_loadcnt_dscnt 0xc00
	v_mul_f64_e32 v[144:145], v[126:127], v[6:7]
	v_mul_f64_e32 v[148:149], v[124:125], v[6:7]
	ds_load_b128 v[136:139], v2 offset:992
	v_fma_f64 v[152:153], v[124:125], v[4:5], -v[144:145]
	v_fmac_f64_e32 v[148:149], v[126:127], v[4:5]
	ds_load_b128 v[4:7], v2 offset:1008
	s_wait_loadcnt_dscnt 0xb01
	v_mul_f64_e32 v[150:151], v[136:137], v[10:11]
	v_mul_f64_e32 v[10:11], v[138:139], v[10:11]
	scratch_load_b128 v[124:127], off, off offset:544
	ds_load_b128 v[144:147], v2 offset:1024
	s_wait_loadcnt_dscnt 0xb01
	v_mul_f64_e32 v[154:155], v[4:5], v[14:15]
	v_mul_f64_e32 v[14:15], v[6:7], v[14:15]
	v_add_f64_e32 v[148:149], 0, v[148:149]
	v_fmac_f64_e32 v[150:151], v[138:139], v[8:9]
	v_fma_f64 v[136:137], v[136:137], v[8:9], -v[10:11]
	v_add_f64_e32 v[138:139], 0, v[152:153]
	scratch_load_b128 v[8:11], off, off offset:560
	v_fmac_f64_e32 v[154:155], v[6:7], v[12:13]
	v_fma_f64 v[156:157], v[4:5], v[12:13], -v[14:15]
	ds_load_b128 v[4:7], v2 offset:1040
	s_wait_loadcnt_dscnt 0xb01
	v_mul_f64_e32 v[152:153], v[144:145], v[98:99]
	v_mul_f64_e32 v[98:99], v[146:147], v[98:99]
	scratch_load_b128 v[12:15], off, off offset:576
	v_add_f64_e32 v[148:149], v[148:149], v[150:151]
	v_add_f64_e32 v[158:159], v[138:139], v[136:137]
	ds_load_b128 v[136:139], v2 offset:1056
	s_wait_loadcnt_dscnt 0xb01
	v_mul_f64_e32 v[150:151], v[4:5], v[102:103]
	v_mul_f64_e32 v[102:103], v[6:7], v[102:103]
	v_fmac_f64_e32 v[152:153], v[146:147], v[96:97]
	v_fma_f64 v[144:145], v[144:145], v[96:97], -v[98:99]
	scratch_load_b128 v[96:99], off, off offset:592
	v_add_f64_e32 v[148:149], v[148:149], v[154:155]
	v_add_f64_e32 v[146:147], v[158:159], v[156:157]
	v_fmac_f64_e32 v[150:151], v[6:7], v[100:101]
	v_fma_f64 v[156:157], v[4:5], v[100:101], -v[102:103]
	ds_load_b128 v[4:7], v2 offset:1072
	s_wait_loadcnt_dscnt 0xb01
	v_mul_f64_e32 v[154:155], v[136:137], v[106:107]
	v_mul_f64_e32 v[106:107], v[138:139], v[106:107]
	scratch_load_b128 v[100:103], off, off offset:608
	v_add_f64_e32 v[148:149], v[148:149], v[152:153]
	s_wait_loadcnt_dscnt 0xb00
	v_mul_f64_e32 v[152:153], v[4:5], v[110:111]
	v_add_f64_e32 v[158:159], v[146:147], v[144:145]
	v_mul_f64_e32 v[110:111], v[6:7], v[110:111]
	ds_load_b128 v[144:147], v2 offset:1088
	v_fmac_f64_e32 v[154:155], v[138:139], v[104:105]
	v_fma_f64 v[104:105], v[136:137], v[104:105], -v[106:107]
	s_wait_loadcnt_dscnt 0xa00
	v_mul_f64_e32 v[138:139], v[144:145], v[114:115]
	v_mul_f64_e32 v[114:115], v[146:147], v[114:115]
	v_add_f64_e32 v[136:137], v[148:149], v[150:151]
	v_fmac_f64_e32 v[152:153], v[6:7], v[108:109]
	v_add_f64_e32 v[106:107], v[158:159], v[156:157]
	v_fma_f64 v[108:109], v[4:5], v[108:109], -v[110:111]
	v_fmac_f64_e32 v[138:139], v[146:147], v[112:113]
	v_fma_f64 v[112:113], v[144:145], v[112:113], -v[114:115]
	v_add_f64_e32 v[136:137], v[136:137], v[154:155]
	v_add_f64_e32 v[110:111], v[106:107], v[104:105]
	ds_load_b128 v[4:7], v2 offset:1104
	ds_load_b128 v[104:107], v2 offset:1120
	s_wait_loadcnt_dscnt 0x901
	v_mul_f64_e32 v[148:149], v[4:5], v[118:119]
	v_mul_f64_e32 v[118:119], v[6:7], v[118:119]
	s_wait_loadcnt_dscnt 0x800
	v_mul_f64_e32 v[114:115], v[104:105], v[122:123]
	v_mul_f64_e32 v[122:123], v[106:107], v[122:123]
	v_add_f64_e32 v[108:109], v[110:111], v[108:109]
	v_add_f64_e32 v[110:111], v[136:137], v[152:153]
	v_fmac_f64_e32 v[148:149], v[6:7], v[116:117]
	v_fma_f64 v[116:117], v[4:5], v[116:117], -v[118:119]
	v_fmac_f64_e32 v[114:115], v[106:107], v[120:121]
	v_fma_f64 v[104:105], v[104:105], v[120:121], -v[122:123]
	v_add_f64_e32 v[112:113], v[108:109], v[112:113]
	v_add_f64_e32 v[118:119], v[110:111], v[138:139]
	ds_load_b128 v[4:7], v2 offset:1136
	ds_load_b128 v[108:111], v2 offset:1152
	s_wait_loadcnt_dscnt 0x701
	v_mul_f64_e32 v[136:137], v[4:5], v[130:131]
	v_mul_f64_e32 v[130:131], v[6:7], v[130:131]
	v_add_f64_e32 v[106:107], v[112:113], v[116:117]
	v_add_f64_e32 v[112:113], v[118:119], v[148:149]
	s_wait_loadcnt_dscnt 0x500
	v_mul_f64_e32 v[116:117], v[108:109], v[142:143]
	v_mul_f64_e32 v[118:119], v[110:111], v[142:143]
	v_fmac_f64_e32 v[136:137], v[6:7], v[128:129]
	v_fma_f64 v[120:121], v[4:5], v[128:129], -v[130:131]
	v_add_f64_e32 v[122:123], v[106:107], v[104:105]
	v_add_f64_e32 v[112:113], v[112:113], v[114:115]
	ds_load_b128 v[4:7], v2 offset:1168
	ds_load_b128 v[104:107], v2 offset:1184
	v_fmac_f64_e32 v[116:117], v[110:111], v[140:141]
	v_fma_f64 v[108:109], v[108:109], v[140:141], -v[118:119]
	s_wait_loadcnt_dscnt 0x401
	v_mul_f64_e32 v[114:115], v[4:5], v[126:127]
	v_mul_f64_e32 v[126:127], v[6:7], v[126:127]
	v_add_f64_e32 v[110:111], v[122:123], v[120:121]
	v_add_f64_e32 v[112:113], v[112:113], v[136:137]
	s_wait_loadcnt_dscnt 0x300
	v_mul_f64_e32 v[118:119], v[104:105], v[10:11]
	v_mul_f64_e32 v[10:11], v[106:107], v[10:11]
	v_fmac_f64_e32 v[114:115], v[6:7], v[124:125]
	v_fma_f64 v[120:121], v[4:5], v[124:125], -v[126:127]
	v_add_f64_e32 v[122:123], v[110:111], v[108:109]
	v_add_f64_e32 v[112:113], v[112:113], v[116:117]
	ds_load_b128 v[4:7], v2 offset:1200
	ds_load_b128 v[108:111], v2 offset:1216
	v_fmac_f64_e32 v[118:119], v[106:107], v[8:9]
	v_fma_f64 v[8:9], v[104:105], v[8:9], -v[10:11]
	s_wait_loadcnt_dscnt 0x201
	v_mul_f64_e32 v[116:117], v[4:5], v[14:15]
	v_mul_f64_e32 v[14:15], v[6:7], v[14:15]
	s_wait_loadcnt_dscnt 0x100
	v_mul_f64_e32 v[106:107], v[108:109], v[98:99]
	v_mul_f64_e32 v[98:99], v[110:111], v[98:99]
	v_add_f64_e32 v[10:11], v[122:123], v[120:121]
	v_add_f64_e32 v[104:105], v[112:113], v[114:115]
	v_fmac_f64_e32 v[116:117], v[6:7], v[12:13]
	v_fma_f64 v[12:13], v[4:5], v[12:13], -v[14:15]
	ds_load_b128 v[4:7], v2 offset:1232
	v_fmac_f64_e32 v[106:107], v[110:111], v[96:97]
	v_fma_f64 v[96:97], v[108:109], v[96:97], -v[98:99]
	v_add_f64_e32 v[8:9], v[10:11], v[8:9]
	v_add_f64_e32 v[10:11], v[104:105], v[118:119]
	s_wait_loadcnt_dscnt 0x0
	v_mul_f64_e32 v[14:15], v[4:5], v[102:103]
	v_mul_f64_e32 v[102:103], v[6:7], v[102:103]
	s_delay_alu instid0(VALU_DEP_4) | instskip(NEXT) | instid1(VALU_DEP_4)
	v_add_f64_e32 v[8:9], v[8:9], v[12:13]
	v_add_f64_e32 v[10:11], v[10:11], v[116:117]
	s_delay_alu instid0(VALU_DEP_4) | instskip(NEXT) | instid1(VALU_DEP_4)
	v_fmac_f64_e32 v[14:15], v[6:7], v[100:101]
	v_fma_f64 v[4:5], v[4:5], v[100:101], -v[102:103]
	s_delay_alu instid0(VALU_DEP_4) | instskip(NEXT) | instid1(VALU_DEP_4)
	v_add_f64_e32 v[6:7], v[8:9], v[96:97]
	v_add_f64_e32 v[8:9], v[10:11], v[106:107]
	s_delay_alu instid0(VALU_DEP_2) | instskip(NEXT) | instid1(VALU_DEP_2)
	v_add_f64_e32 v[4:5], v[6:7], v[4:5]
	v_add_f64_e32 v[6:7], v[8:9], v[14:15]
	s_delay_alu instid0(VALU_DEP_2) | instskip(NEXT) | instid1(VALU_DEP_2)
	v_add_f64_e64 v[4:5], v[132:133], -v[4:5]
	v_add_f64_e64 v[6:7], v[134:135], -v[6:7]
	scratch_store_b128 off, v[4:7], off offset:336
	s_wait_xcnt 0x0
	v_cmpx_lt_u32_e32 20, v1
	s_cbranch_execz .LBB38_207
; %bb.206:
	scratch_load_b128 v[6:9], off, s36
	v_dual_mov_b32 v3, v2 :: v_dual_mov_b32 v4, v2
	v_mov_b32_e32 v5, v2
	scratch_store_b128 off, v[2:5], off offset:320
	s_wait_loadcnt 0x0
	ds_store_b128 v94, v[6:9]
.LBB38_207:
	s_wait_xcnt 0x0
	s_or_b32 exec_lo, exec_lo, s2
	s_wait_storecnt_dscnt 0x0
	s_barrier_signal -1
	s_barrier_wait -1
	s_clause 0x9
	scratch_load_b128 v[4:7], off, off offset:336
	scratch_load_b128 v[8:11], off, off offset:352
	scratch_load_b128 v[12:15], off, off offset:368
	scratch_load_b128 v[96:99], off, off offset:384
	scratch_load_b128 v[100:103], off, off offset:400
	scratch_load_b128 v[104:107], off, off offset:416
	scratch_load_b128 v[108:111], off, off offset:432
	scratch_load_b128 v[112:115], off, off offset:448
	scratch_load_b128 v[116:119], off, off offset:464
	scratch_load_b128 v[120:123], off, off offset:480
	ds_load_b128 v[124:127], v2 offset:960
	ds_load_b128 v[132:135], v2 offset:976
	s_clause 0x2
	scratch_load_b128 v[128:131], off, off offset:496
	scratch_load_b128 v[136:139], off, off offset:320
	;; [unrolled: 1-line block ×3, first 2 shown]
	s_mov_b32 s2, exec_lo
	s_wait_loadcnt_dscnt 0xc01
	v_mul_f64_e32 v[144:145], v[126:127], v[6:7]
	v_mul_f64_e32 v[148:149], v[124:125], v[6:7]
	s_wait_loadcnt_dscnt 0xb00
	v_mul_f64_e32 v[150:151], v[132:133], v[10:11]
	v_mul_f64_e32 v[10:11], v[134:135], v[10:11]
	s_delay_alu instid0(VALU_DEP_4) | instskip(NEXT) | instid1(VALU_DEP_4)
	v_fma_f64 v[152:153], v[124:125], v[4:5], -v[144:145]
	v_fmac_f64_e32 v[148:149], v[126:127], v[4:5]
	ds_load_b128 v[4:7], v2 offset:992
	ds_load_b128 v[124:127], v2 offset:1008
	scratch_load_b128 v[144:147], off, off offset:528
	v_fmac_f64_e32 v[150:151], v[134:135], v[8:9]
	v_fma_f64 v[132:133], v[132:133], v[8:9], -v[10:11]
	scratch_load_b128 v[8:11], off, off offset:544
	s_wait_loadcnt_dscnt 0xc01
	v_mul_f64_e32 v[154:155], v[4:5], v[14:15]
	v_mul_f64_e32 v[14:15], v[6:7], v[14:15]
	v_add_f64_e32 v[134:135], 0, v[152:153]
	v_add_f64_e32 v[148:149], 0, v[148:149]
	s_wait_loadcnt_dscnt 0xb00
	v_mul_f64_e32 v[152:153], v[124:125], v[98:99]
	v_mul_f64_e32 v[98:99], v[126:127], v[98:99]
	v_fmac_f64_e32 v[154:155], v[6:7], v[12:13]
	v_fma_f64 v[156:157], v[4:5], v[12:13], -v[14:15]
	ds_load_b128 v[4:7], v2 offset:1024
	ds_load_b128 v[12:15], v2 offset:1040
	v_add_f64_e32 v[158:159], v[134:135], v[132:133]
	v_add_f64_e32 v[148:149], v[148:149], v[150:151]
	scratch_load_b128 v[132:135], off, off offset:560
	v_fmac_f64_e32 v[152:153], v[126:127], v[96:97]
	v_fma_f64 v[124:125], v[124:125], v[96:97], -v[98:99]
	scratch_load_b128 v[96:99], off, off offset:576
	s_wait_loadcnt_dscnt 0xc01
	v_mul_f64_e32 v[150:151], v[4:5], v[102:103]
	v_mul_f64_e32 v[102:103], v[6:7], v[102:103]
	v_add_f64_e32 v[126:127], v[158:159], v[156:157]
	v_add_f64_e32 v[148:149], v[148:149], v[154:155]
	s_wait_loadcnt_dscnt 0xb00
	v_mul_f64_e32 v[154:155], v[12:13], v[106:107]
	v_mul_f64_e32 v[106:107], v[14:15], v[106:107]
	v_fmac_f64_e32 v[150:151], v[6:7], v[100:101]
	v_fma_f64 v[156:157], v[4:5], v[100:101], -v[102:103]
	ds_load_b128 v[4:7], v2 offset:1056
	ds_load_b128 v[100:103], v2 offset:1072
	v_add_f64_e32 v[158:159], v[126:127], v[124:125]
	v_add_f64_e32 v[148:149], v[148:149], v[152:153]
	scratch_load_b128 v[124:127], off, off offset:592
	s_wait_loadcnt_dscnt 0xb01
	v_mul_f64_e32 v[152:153], v[4:5], v[110:111]
	v_mul_f64_e32 v[110:111], v[6:7], v[110:111]
	v_fmac_f64_e32 v[154:155], v[14:15], v[104:105]
	v_fma_f64 v[104:105], v[12:13], v[104:105], -v[106:107]
	scratch_load_b128 v[12:15], off, off offset:608
	v_add_f64_e32 v[106:107], v[158:159], v[156:157]
	v_add_f64_e32 v[148:149], v[148:149], v[150:151]
	s_wait_loadcnt_dscnt 0xb00
	v_mul_f64_e32 v[150:151], v[100:101], v[114:115]
	v_mul_f64_e32 v[114:115], v[102:103], v[114:115]
	v_fmac_f64_e32 v[152:153], v[6:7], v[108:109]
	v_fma_f64 v[108:109], v[4:5], v[108:109], -v[110:111]
	v_add_f64_e32 v[110:111], v[106:107], v[104:105]
	v_add_f64_e32 v[148:149], v[148:149], v[154:155]
	ds_load_b128 v[4:7], v2 offset:1088
	ds_load_b128 v[104:107], v2 offset:1104
	v_fmac_f64_e32 v[150:151], v[102:103], v[112:113]
	v_fma_f64 v[100:101], v[100:101], v[112:113], -v[114:115]
	s_wait_loadcnt_dscnt 0xa01
	v_mul_f64_e32 v[154:155], v[4:5], v[118:119]
	v_mul_f64_e32 v[118:119], v[6:7], v[118:119]
	s_wait_loadcnt_dscnt 0x900
	v_mul_f64_e32 v[112:113], v[106:107], v[122:123]
	v_add_f64_e32 v[102:103], v[110:111], v[108:109]
	v_add_f64_e32 v[108:109], v[148:149], v[152:153]
	v_mul_f64_e32 v[110:111], v[104:105], v[122:123]
	v_fmac_f64_e32 v[154:155], v[6:7], v[116:117]
	v_fma_f64 v[114:115], v[4:5], v[116:117], -v[118:119]
	v_fma_f64 v[104:105], v[104:105], v[120:121], -v[112:113]
	v_add_f64_e32 v[116:117], v[102:103], v[100:101]
	v_add_f64_e32 v[108:109], v[108:109], v[150:151]
	ds_load_b128 v[4:7], v2 offset:1120
	ds_load_b128 v[100:103], v2 offset:1136
	v_fmac_f64_e32 v[110:111], v[106:107], v[120:121]
	s_wait_loadcnt_dscnt 0x801
	v_mul_f64_e32 v[118:119], v[4:5], v[130:131]
	v_mul_f64_e32 v[122:123], v[6:7], v[130:131]
	s_wait_loadcnt_dscnt 0x600
	v_mul_f64_e32 v[112:113], v[100:101], v[142:143]
	v_add_f64_e32 v[106:107], v[116:117], v[114:115]
	v_add_f64_e32 v[108:109], v[108:109], v[154:155]
	v_mul_f64_e32 v[114:115], v[102:103], v[142:143]
	v_fmac_f64_e32 v[118:119], v[6:7], v[128:129]
	v_fma_f64 v[116:117], v[4:5], v[128:129], -v[122:123]
	v_fmac_f64_e32 v[112:113], v[102:103], v[140:141]
	v_add_f64_e32 v[120:121], v[106:107], v[104:105]
	v_add_f64_e32 v[108:109], v[108:109], v[110:111]
	ds_load_b128 v[4:7], v2 offset:1152
	ds_load_b128 v[104:107], v2 offset:1168
	v_fma_f64 v[100:101], v[100:101], v[140:141], -v[114:115]
	s_wait_loadcnt_dscnt 0x501
	v_mul_f64_e32 v[110:111], v[4:5], v[146:147]
	v_mul_f64_e32 v[122:123], v[6:7], v[146:147]
	s_wait_loadcnt_dscnt 0x400
	v_mul_f64_e32 v[114:115], v[104:105], v[10:11]
	v_mul_f64_e32 v[10:11], v[106:107], v[10:11]
	v_add_f64_e32 v[102:103], v[120:121], v[116:117]
	v_add_f64_e32 v[108:109], v[108:109], v[118:119]
	v_fmac_f64_e32 v[110:111], v[6:7], v[144:145]
	v_fma_f64 v[116:117], v[4:5], v[144:145], -v[122:123]
	v_fmac_f64_e32 v[114:115], v[106:107], v[8:9]
	v_fma_f64 v[8:9], v[104:105], v[8:9], -v[10:11]
	v_add_f64_e32 v[118:119], v[102:103], v[100:101]
	v_add_f64_e32 v[108:109], v[108:109], v[112:113]
	ds_load_b128 v[4:7], v2 offset:1184
	ds_load_b128 v[100:103], v2 offset:1200
	s_wait_loadcnt_dscnt 0x301
	v_mul_f64_e32 v[112:113], v[4:5], v[134:135]
	v_mul_f64_e32 v[120:121], v[6:7], v[134:135]
	s_wait_loadcnt_dscnt 0x200
	v_mul_f64_e32 v[106:107], v[100:101], v[98:99]
	v_mul_f64_e32 v[98:99], v[102:103], v[98:99]
	v_add_f64_e32 v[10:11], v[118:119], v[116:117]
	v_add_f64_e32 v[104:105], v[108:109], v[110:111]
	v_fmac_f64_e32 v[112:113], v[6:7], v[132:133]
	v_fma_f64 v[108:109], v[4:5], v[132:133], -v[120:121]
	v_fmac_f64_e32 v[106:107], v[102:103], v[96:97]
	v_fma_f64 v[96:97], v[100:101], v[96:97], -v[98:99]
	v_add_f64_e32 v[110:111], v[10:11], v[8:9]
	v_add_f64_e32 v[104:105], v[104:105], v[114:115]
	ds_load_b128 v[4:7], v2 offset:1216
	ds_load_b128 v[8:11], v2 offset:1232
	s_wait_loadcnt_dscnt 0x101
	v_mul_f64_e32 v[2:3], v[4:5], v[126:127]
	v_mul_f64_e32 v[114:115], v[6:7], v[126:127]
	s_wait_loadcnt_dscnt 0x0
	v_mul_f64_e32 v[102:103], v[8:9], v[14:15]
	v_mul_f64_e32 v[14:15], v[10:11], v[14:15]
	v_add_f64_e32 v[98:99], v[110:111], v[108:109]
	v_add_f64_e32 v[100:101], v[104:105], v[112:113]
	v_fmac_f64_e32 v[2:3], v[6:7], v[124:125]
	v_fma_f64 v[4:5], v[4:5], v[124:125], -v[114:115]
	v_fmac_f64_e32 v[102:103], v[10:11], v[12:13]
	v_fma_f64 v[8:9], v[8:9], v[12:13], -v[14:15]
	v_add_f64_e32 v[6:7], v[98:99], v[96:97]
	v_add_f64_e32 v[96:97], v[100:101], v[106:107]
	s_delay_alu instid0(VALU_DEP_2) | instskip(NEXT) | instid1(VALU_DEP_2)
	v_add_f64_e32 v[4:5], v[6:7], v[4:5]
	v_add_f64_e32 v[2:3], v[96:97], v[2:3]
	s_delay_alu instid0(VALU_DEP_2) | instskip(NEXT) | instid1(VALU_DEP_2)
	;; [unrolled: 3-line block ×3, first 2 shown]
	v_add_f64_e64 v[2:3], v[136:137], -v[4:5]
	v_add_f64_e64 v[4:5], v[138:139], -v[6:7]
	scratch_store_b128 off, v[2:5], off offset:320
	s_wait_xcnt 0x0
	v_cmpx_lt_u32_e32 19, v1
	s_cbranch_execz .LBB38_209
; %bb.208:
	scratch_load_b128 v[2:5], off, s35
	v_mov_b32_e32 v6, 0
	s_delay_alu instid0(VALU_DEP_1)
	v_dual_mov_b32 v7, v6 :: v_dual_mov_b32 v8, v6
	v_mov_b32_e32 v9, v6
	scratch_store_b128 off, v[6:9], off offset:304
	s_wait_loadcnt 0x0
	ds_store_b128 v94, v[2:5]
.LBB38_209:
	s_wait_xcnt 0x0
	s_or_b32 exec_lo, exec_lo, s2
	s_wait_storecnt_dscnt 0x0
	s_barrier_signal -1
	s_barrier_wait -1
	s_clause 0x9
	scratch_load_b128 v[4:7], off, off offset:320
	scratch_load_b128 v[8:11], off, off offset:336
	;; [unrolled: 1-line block ×10, first 2 shown]
	v_mov_b32_e32 v2, 0
	s_mov_b32 s2, exec_lo
	ds_load_b128 v[124:127], v2 offset:944
	s_clause 0x2
	scratch_load_b128 v[128:131], off, off offset:480
	scratch_load_b128 v[132:135], off, off offset:304
	scratch_load_b128 v[140:143], off, off offset:496
	s_wait_loadcnt_dscnt 0xc00
	v_mul_f64_e32 v[144:145], v[126:127], v[6:7]
	v_mul_f64_e32 v[148:149], v[124:125], v[6:7]
	ds_load_b128 v[136:139], v2 offset:960
	v_fma_f64 v[152:153], v[124:125], v[4:5], -v[144:145]
	v_fmac_f64_e32 v[148:149], v[126:127], v[4:5]
	ds_load_b128 v[4:7], v2 offset:976
	s_wait_loadcnt_dscnt 0xb01
	v_mul_f64_e32 v[150:151], v[136:137], v[10:11]
	v_mul_f64_e32 v[10:11], v[138:139], v[10:11]
	scratch_load_b128 v[124:127], off, off offset:512
	ds_load_b128 v[144:147], v2 offset:992
	s_wait_loadcnt_dscnt 0xb01
	v_mul_f64_e32 v[154:155], v[4:5], v[14:15]
	v_mul_f64_e32 v[14:15], v[6:7], v[14:15]
	v_add_f64_e32 v[148:149], 0, v[148:149]
	v_fmac_f64_e32 v[150:151], v[138:139], v[8:9]
	v_fma_f64 v[136:137], v[136:137], v[8:9], -v[10:11]
	v_add_f64_e32 v[138:139], 0, v[152:153]
	scratch_load_b128 v[8:11], off, off offset:528
	v_fmac_f64_e32 v[154:155], v[6:7], v[12:13]
	v_fma_f64 v[156:157], v[4:5], v[12:13], -v[14:15]
	ds_load_b128 v[4:7], v2 offset:1008
	s_wait_loadcnt_dscnt 0xb01
	v_mul_f64_e32 v[152:153], v[144:145], v[98:99]
	v_mul_f64_e32 v[98:99], v[146:147], v[98:99]
	scratch_load_b128 v[12:15], off, off offset:544
	v_add_f64_e32 v[148:149], v[148:149], v[150:151]
	v_add_f64_e32 v[158:159], v[138:139], v[136:137]
	ds_load_b128 v[136:139], v2 offset:1024
	s_wait_loadcnt_dscnt 0xb01
	v_mul_f64_e32 v[150:151], v[4:5], v[102:103]
	v_mul_f64_e32 v[102:103], v[6:7], v[102:103]
	v_fmac_f64_e32 v[152:153], v[146:147], v[96:97]
	v_fma_f64 v[144:145], v[144:145], v[96:97], -v[98:99]
	scratch_load_b128 v[96:99], off, off offset:560
	v_add_f64_e32 v[148:149], v[148:149], v[154:155]
	v_add_f64_e32 v[146:147], v[158:159], v[156:157]
	v_fmac_f64_e32 v[150:151], v[6:7], v[100:101]
	v_fma_f64 v[156:157], v[4:5], v[100:101], -v[102:103]
	ds_load_b128 v[4:7], v2 offset:1040
	s_wait_loadcnt_dscnt 0xb01
	v_mul_f64_e32 v[154:155], v[136:137], v[106:107]
	v_mul_f64_e32 v[106:107], v[138:139], v[106:107]
	scratch_load_b128 v[100:103], off, off offset:576
	v_add_f64_e32 v[148:149], v[148:149], v[152:153]
	s_wait_loadcnt_dscnt 0xb00
	v_mul_f64_e32 v[152:153], v[4:5], v[110:111]
	v_add_f64_e32 v[158:159], v[146:147], v[144:145]
	v_mul_f64_e32 v[110:111], v[6:7], v[110:111]
	ds_load_b128 v[144:147], v2 offset:1056
	v_fmac_f64_e32 v[154:155], v[138:139], v[104:105]
	v_fma_f64 v[136:137], v[136:137], v[104:105], -v[106:107]
	scratch_load_b128 v[104:107], off, off offset:592
	v_add_f64_e32 v[148:149], v[148:149], v[150:151]
	v_fmac_f64_e32 v[152:153], v[6:7], v[108:109]
	v_add_f64_e32 v[138:139], v[158:159], v[156:157]
	v_fma_f64 v[156:157], v[4:5], v[108:109], -v[110:111]
	ds_load_b128 v[4:7], v2 offset:1072
	s_wait_loadcnt_dscnt 0xb01
	v_mul_f64_e32 v[150:151], v[144:145], v[114:115]
	v_mul_f64_e32 v[114:115], v[146:147], v[114:115]
	scratch_load_b128 v[108:111], off, off offset:608
	v_add_f64_e32 v[148:149], v[148:149], v[154:155]
	s_wait_loadcnt_dscnt 0xb00
	v_mul_f64_e32 v[154:155], v[4:5], v[118:119]
	v_add_f64_e32 v[158:159], v[138:139], v[136:137]
	v_mul_f64_e32 v[118:119], v[6:7], v[118:119]
	ds_load_b128 v[136:139], v2 offset:1088
	v_fmac_f64_e32 v[150:151], v[146:147], v[112:113]
	v_fma_f64 v[112:113], v[144:145], v[112:113], -v[114:115]
	s_wait_loadcnt_dscnt 0xa00
	v_mul_f64_e32 v[146:147], v[136:137], v[122:123]
	v_mul_f64_e32 v[122:123], v[138:139], v[122:123]
	v_add_f64_e32 v[144:145], v[148:149], v[152:153]
	v_fmac_f64_e32 v[154:155], v[6:7], v[116:117]
	v_add_f64_e32 v[114:115], v[158:159], v[156:157]
	v_fma_f64 v[116:117], v[4:5], v[116:117], -v[118:119]
	v_fmac_f64_e32 v[146:147], v[138:139], v[120:121]
	v_fma_f64 v[120:121], v[136:137], v[120:121], -v[122:123]
	v_add_f64_e32 v[144:145], v[144:145], v[150:151]
	v_add_f64_e32 v[118:119], v[114:115], v[112:113]
	ds_load_b128 v[4:7], v2 offset:1104
	ds_load_b128 v[112:115], v2 offset:1120
	s_wait_loadcnt_dscnt 0x901
	v_mul_f64_e32 v[148:149], v[4:5], v[130:131]
	v_mul_f64_e32 v[130:131], v[6:7], v[130:131]
	s_wait_loadcnt_dscnt 0x700
	v_mul_f64_e32 v[122:123], v[112:113], v[142:143]
	v_mul_f64_e32 v[136:137], v[114:115], v[142:143]
	v_add_f64_e32 v[116:117], v[118:119], v[116:117]
	v_add_f64_e32 v[118:119], v[144:145], v[154:155]
	v_fmac_f64_e32 v[148:149], v[6:7], v[128:129]
	v_fma_f64 v[128:129], v[4:5], v[128:129], -v[130:131]
	v_fmac_f64_e32 v[122:123], v[114:115], v[140:141]
	v_fma_f64 v[112:113], v[112:113], v[140:141], -v[136:137]
	v_add_f64_e32 v[120:121], v[116:117], v[120:121]
	v_add_f64_e32 v[130:131], v[118:119], v[146:147]
	ds_load_b128 v[4:7], v2 offset:1136
	ds_load_b128 v[116:119], v2 offset:1152
	s_wait_loadcnt_dscnt 0x601
	v_mul_f64_e32 v[138:139], v[4:5], v[126:127]
	v_mul_f64_e32 v[126:127], v[6:7], v[126:127]
	v_add_f64_e32 v[114:115], v[120:121], v[128:129]
	v_add_f64_e32 v[120:121], v[130:131], v[148:149]
	s_wait_loadcnt_dscnt 0x500
	v_mul_f64_e32 v[128:129], v[116:117], v[10:11]
	v_mul_f64_e32 v[10:11], v[118:119], v[10:11]
	v_fmac_f64_e32 v[138:139], v[6:7], v[124:125]
	v_fma_f64 v[124:125], v[4:5], v[124:125], -v[126:127]
	v_add_f64_e32 v[126:127], v[114:115], v[112:113]
	v_add_f64_e32 v[120:121], v[120:121], v[122:123]
	ds_load_b128 v[4:7], v2 offset:1168
	ds_load_b128 v[112:115], v2 offset:1184
	v_fmac_f64_e32 v[128:129], v[118:119], v[8:9]
	v_fma_f64 v[8:9], v[116:117], v[8:9], -v[10:11]
	s_wait_loadcnt_dscnt 0x401
	v_mul_f64_e32 v[122:123], v[4:5], v[14:15]
	v_mul_f64_e32 v[14:15], v[6:7], v[14:15]
	s_wait_loadcnt_dscnt 0x300
	v_mul_f64_e32 v[118:119], v[112:113], v[98:99]
	v_mul_f64_e32 v[98:99], v[114:115], v[98:99]
	v_add_f64_e32 v[10:11], v[126:127], v[124:125]
	v_add_f64_e32 v[116:117], v[120:121], v[138:139]
	v_fmac_f64_e32 v[122:123], v[6:7], v[12:13]
	v_fma_f64 v[12:13], v[4:5], v[12:13], -v[14:15]
	v_fmac_f64_e32 v[118:119], v[114:115], v[96:97]
	v_fma_f64 v[96:97], v[112:113], v[96:97], -v[98:99]
	v_add_f64_e32 v[14:15], v[10:11], v[8:9]
	v_add_f64_e32 v[116:117], v[116:117], v[128:129]
	ds_load_b128 v[4:7], v2 offset:1200
	ds_load_b128 v[8:11], v2 offset:1216
	s_wait_loadcnt_dscnt 0x201
	v_mul_f64_e32 v[120:121], v[4:5], v[102:103]
	v_mul_f64_e32 v[102:103], v[6:7], v[102:103]
	s_wait_loadcnt_dscnt 0x100
	v_mul_f64_e32 v[98:99], v[8:9], v[106:107]
	v_mul_f64_e32 v[106:107], v[10:11], v[106:107]
	v_add_f64_e32 v[12:13], v[14:15], v[12:13]
	v_add_f64_e32 v[14:15], v[116:117], v[122:123]
	v_fmac_f64_e32 v[120:121], v[6:7], v[100:101]
	v_fma_f64 v[100:101], v[4:5], v[100:101], -v[102:103]
	ds_load_b128 v[4:7], v2 offset:1232
	v_fmac_f64_e32 v[98:99], v[10:11], v[104:105]
	v_fma_f64 v[8:9], v[8:9], v[104:105], -v[106:107]
	v_add_f64_e32 v[12:13], v[12:13], v[96:97]
	v_add_f64_e32 v[14:15], v[14:15], v[118:119]
	s_wait_loadcnt_dscnt 0x0
	v_mul_f64_e32 v[96:97], v[4:5], v[110:111]
	v_mul_f64_e32 v[102:103], v[6:7], v[110:111]
	s_delay_alu instid0(VALU_DEP_4) | instskip(NEXT) | instid1(VALU_DEP_4)
	v_add_f64_e32 v[10:11], v[12:13], v[100:101]
	v_add_f64_e32 v[12:13], v[14:15], v[120:121]
	s_delay_alu instid0(VALU_DEP_4) | instskip(NEXT) | instid1(VALU_DEP_4)
	v_fmac_f64_e32 v[96:97], v[6:7], v[108:109]
	v_fma_f64 v[4:5], v[4:5], v[108:109], -v[102:103]
	s_delay_alu instid0(VALU_DEP_4) | instskip(NEXT) | instid1(VALU_DEP_4)
	v_add_f64_e32 v[6:7], v[10:11], v[8:9]
	v_add_f64_e32 v[8:9], v[12:13], v[98:99]
	s_delay_alu instid0(VALU_DEP_2) | instskip(NEXT) | instid1(VALU_DEP_2)
	v_add_f64_e32 v[4:5], v[6:7], v[4:5]
	v_add_f64_e32 v[6:7], v[8:9], v[96:97]
	s_delay_alu instid0(VALU_DEP_2) | instskip(NEXT) | instid1(VALU_DEP_2)
	v_add_f64_e64 v[4:5], v[132:133], -v[4:5]
	v_add_f64_e64 v[6:7], v[134:135], -v[6:7]
	scratch_store_b128 off, v[4:7], off offset:304
	s_wait_xcnt 0x0
	v_cmpx_lt_u32_e32 18, v1
	s_cbranch_execz .LBB38_211
; %bb.210:
	scratch_load_b128 v[6:9], off, s39
	v_dual_mov_b32 v3, v2 :: v_dual_mov_b32 v4, v2
	v_mov_b32_e32 v5, v2
	scratch_store_b128 off, v[2:5], off offset:288
	s_wait_loadcnt 0x0
	ds_store_b128 v94, v[6:9]
.LBB38_211:
	s_wait_xcnt 0x0
	s_or_b32 exec_lo, exec_lo, s2
	s_wait_storecnt_dscnt 0x0
	s_barrier_signal -1
	s_barrier_wait -1
	s_clause 0x9
	scratch_load_b128 v[4:7], off, off offset:304
	scratch_load_b128 v[8:11], off, off offset:320
	;; [unrolled: 1-line block ×10, first 2 shown]
	ds_load_b128 v[124:127], v2 offset:928
	ds_load_b128 v[132:135], v2 offset:944
	s_clause 0x2
	scratch_load_b128 v[128:131], off, off offset:464
	scratch_load_b128 v[136:139], off, off offset:288
	;; [unrolled: 1-line block ×3, first 2 shown]
	s_mov_b32 s2, exec_lo
	s_wait_loadcnt_dscnt 0xc01
	v_mul_f64_e32 v[144:145], v[126:127], v[6:7]
	v_mul_f64_e32 v[148:149], v[124:125], v[6:7]
	s_wait_loadcnt_dscnt 0xb00
	v_mul_f64_e32 v[150:151], v[132:133], v[10:11]
	v_mul_f64_e32 v[10:11], v[134:135], v[10:11]
	s_delay_alu instid0(VALU_DEP_4) | instskip(NEXT) | instid1(VALU_DEP_4)
	v_fma_f64 v[152:153], v[124:125], v[4:5], -v[144:145]
	v_fmac_f64_e32 v[148:149], v[126:127], v[4:5]
	ds_load_b128 v[4:7], v2 offset:960
	ds_load_b128 v[124:127], v2 offset:976
	scratch_load_b128 v[144:147], off, off offset:496
	v_fmac_f64_e32 v[150:151], v[134:135], v[8:9]
	v_fma_f64 v[132:133], v[132:133], v[8:9], -v[10:11]
	scratch_load_b128 v[8:11], off, off offset:512
	s_wait_loadcnt_dscnt 0xc01
	v_mul_f64_e32 v[154:155], v[4:5], v[14:15]
	v_mul_f64_e32 v[14:15], v[6:7], v[14:15]
	v_add_f64_e32 v[134:135], 0, v[152:153]
	v_add_f64_e32 v[148:149], 0, v[148:149]
	s_wait_loadcnt_dscnt 0xb00
	v_mul_f64_e32 v[152:153], v[124:125], v[98:99]
	v_mul_f64_e32 v[98:99], v[126:127], v[98:99]
	v_fmac_f64_e32 v[154:155], v[6:7], v[12:13]
	v_fma_f64 v[156:157], v[4:5], v[12:13], -v[14:15]
	ds_load_b128 v[4:7], v2 offset:992
	ds_load_b128 v[12:15], v2 offset:1008
	v_add_f64_e32 v[158:159], v[134:135], v[132:133]
	v_add_f64_e32 v[148:149], v[148:149], v[150:151]
	scratch_load_b128 v[132:135], off, off offset:528
	v_fmac_f64_e32 v[152:153], v[126:127], v[96:97]
	v_fma_f64 v[124:125], v[124:125], v[96:97], -v[98:99]
	scratch_load_b128 v[96:99], off, off offset:544
	s_wait_loadcnt_dscnt 0xc01
	v_mul_f64_e32 v[150:151], v[4:5], v[102:103]
	v_mul_f64_e32 v[102:103], v[6:7], v[102:103]
	v_add_f64_e32 v[126:127], v[158:159], v[156:157]
	v_add_f64_e32 v[148:149], v[148:149], v[154:155]
	s_wait_loadcnt_dscnt 0xb00
	v_mul_f64_e32 v[154:155], v[12:13], v[106:107]
	v_mul_f64_e32 v[106:107], v[14:15], v[106:107]
	v_fmac_f64_e32 v[150:151], v[6:7], v[100:101]
	v_fma_f64 v[156:157], v[4:5], v[100:101], -v[102:103]
	ds_load_b128 v[4:7], v2 offset:1024
	ds_load_b128 v[100:103], v2 offset:1040
	v_add_f64_e32 v[158:159], v[126:127], v[124:125]
	v_add_f64_e32 v[148:149], v[148:149], v[152:153]
	scratch_load_b128 v[124:127], off, off offset:560
	s_wait_loadcnt_dscnt 0xb01
	v_mul_f64_e32 v[152:153], v[4:5], v[110:111]
	v_mul_f64_e32 v[110:111], v[6:7], v[110:111]
	v_fmac_f64_e32 v[154:155], v[14:15], v[104:105]
	v_fma_f64 v[104:105], v[12:13], v[104:105], -v[106:107]
	scratch_load_b128 v[12:15], off, off offset:576
	v_add_f64_e32 v[106:107], v[158:159], v[156:157]
	v_add_f64_e32 v[148:149], v[148:149], v[150:151]
	s_wait_loadcnt_dscnt 0xb00
	v_mul_f64_e32 v[150:151], v[100:101], v[114:115]
	v_mul_f64_e32 v[114:115], v[102:103], v[114:115]
	v_fmac_f64_e32 v[152:153], v[6:7], v[108:109]
	v_fma_f64 v[156:157], v[4:5], v[108:109], -v[110:111]
	v_add_f64_e32 v[158:159], v[106:107], v[104:105]
	v_add_f64_e32 v[148:149], v[148:149], v[154:155]
	ds_load_b128 v[4:7], v2 offset:1056
	ds_load_b128 v[104:107], v2 offset:1072
	scratch_load_b128 v[108:111], off, off offset:592
	v_fmac_f64_e32 v[150:151], v[102:103], v[112:113]
	v_fma_f64 v[112:113], v[100:101], v[112:113], -v[114:115]
	scratch_load_b128 v[100:103], off, off offset:608
	s_wait_loadcnt_dscnt 0xc01
	v_mul_f64_e32 v[154:155], v[4:5], v[118:119]
	v_mul_f64_e32 v[118:119], v[6:7], v[118:119]
	v_add_f64_e32 v[114:115], v[158:159], v[156:157]
	v_add_f64_e32 v[148:149], v[148:149], v[152:153]
	s_wait_loadcnt_dscnt 0xb00
	v_mul_f64_e32 v[152:153], v[104:105], v[122:123]
	v_mul_f64_e32 v[122:123], v[106:107], v[122:123]
	v_fmac_f64_e32 v[154:155], v[6:7], v[116:117]
	v_fma_f64 v[116:117], v[4:5], v[116:117], -v[118:119]
	v_add_f64_e32 v[118:119], v[114:115], v[112:113]
	v_add_f64_e32 v[148:149], v[148:149], v[150:151]
	ds_load_b128 v[4:7], v2 offset:1088
	ds_load_b128 v[112:115], v2 offset:1104
	v_fmac_f64_e32 v[152:153], v[106:107], v[120:121]
	v_fma_f64 v[104:105], v[104:105], v[120:121], -v[122:123]
	s_wait_loadcnt_dscnt 0xa01
	v_mul_f64_e32 v[150:151], v[4:5], v[130:131]
	v_mul_f64_e32 v[130:131], v[6:7], v[130:131]
	s_wait_loadcnt_dscnt 0x800
	v_mul_f64_e32 v[120:121], v[114:115], v[142:143]
	v_add_f64_e32 v[106:107], v[118:119], v[116:117]
	v_add_f64_e32 v[116:117], v[148:149], v[154:155]
	v_mul_f64_e32 v[118:119], v[112:113], v[142:143]
	v_fmac_f64_e32 v[150:151], v[6:7], v[128:129]
	v_fma_f64 v[122:123], v[4:5], v[128:129], -v[130:131]
	v_fma_f64 v[112:113], v[112:113], v[140:141], -v[120:121]
	v_add_f64_e32 v[128:129], v[106:107], v[104:105]
	v_add_f64_e32 v[116:117], v[116:117], v[152:153]
	ds_load_b128 v[4:7], v2 offset:1120
	ds_load_b128 v[104:107], v2 offset:1136
	v_fmac_f64_e32 v[118:119], v[114:115], v[140:141]
	s_wait_loadcnt_dscnt 0x701
	v_mul_f64_e32 v[130:131], v[4:5], v[146:147]
	v_mul_f64_e32 v[142:143], v[6:7], v[146:147]
	s_wait_loadcnt_dscnt 0x600
	v_mul_f64_e32 v[120:121], v[104:105], v[10:11]
	v_mul_f64_e32 v[10:11], v[106:107], v[10:11]
	v_add_f64_e32 v[114:115], v[128:129], v[122:123]
	v_add_f64_e32 v[116:117], v[116:117], v[150:151]
	v_fmac_f64_e32 v[130:131], v[6:7], v[144:145]
	v_fma_f64 v[122:123], v[4:5], v[144:145], -v[142:143]
	v_fmac_f64_e32 v[120:121], v[106:107], v[8:9]
	v_fma_f64 v[8:9], v[104:105], v[8:9], -v[10:11]
	v_add_f64_e32 v[128:129], v[114:115], v[112:113]
	v_add_f64_e32 v[116:117], v[116:117], v[118:119]
	ds_load_b128 v[4:7], v2 offset:1152
	ds_load_b128 v[112:115], v2 offset:1168
	s_wait_loadcnt_dscnt 0x501
	v_mul_f64_e32 v[118:119], v[4:5], v[134:135]
	v_mul_f64_e32 v[134:135], v[6:7], v[134:135]
	s_wait_loadcnt_dscnt 0x400
	v_mul_f64_e32 v[106:107], v[112:113], v[98:99]
	v_mul_f64_e32 v[98:99], v[114:115], v[98:99]
	v_add_f64_e32 v[10:11], v[128:129], v[122:123]
	v_add_f64_e32 v[104:105], v[116:117], v[130:131]
	v_fmac_f64_e32 v[118:119], v[6:7], v[132:133]
	v_fma_f64 v[116:117], v[4:5], v[132:133], -v[134:135]
	v_fmac_f64_e32 v[106:107], v[114:115], v[96:97]
	v_fma_f64 v[96:97], v[112:113], v[96:97], -v[98:99]
	v_add_f64_e32 v[122:123], v[10:11], v[8:9]
	v_add_f64_e32 v[104:105], v[104:105], v[120:121]
	ds_load_b128 v[4:7], v2 offset:1184
	ds_load_b128 v[8:11], v2 offset:1200
	;; [unrolled: 16-line block ×3, first 2 shown]
	s_wait_loadcnt_dscnt 0x101
	v_mul_f64_e32 v[2:3], v[4:5], v[110:111]
	v_mul_f64_e32 v[106:107], v[6:7], v[110:111]
	s_wait_loadcnt_dscnt 0x0
	v_mul_f64_e32 v[14:15], v[96:97], v[102:103]
	v_mul_f64_e32 v[102:103], v[98:99], v[102:103]
	v_add_f64_e32 v[10:11], v[116:117], v[114:115]
	v_add_f64_e32 v[12:13], v[104:105], v[120:121]
	v_fmac_f64_e32 v[2:3], v[6:7], v[108:109]
	v_fma_f64 v[4:5], v[4:5], v[108:109], -v[106:107]
	v_fmac_f64_e32 v[14:15], v[98:99], v[100:101]
	v_add_f64_e32 v[6:7], v[10:11], v[8:9]
	v_add_f64_e32 v[8:9], v[12:13], v[112:113]
	v_fma_f64 v[10:11], v[96:97], v[100:101], -v[102:103]
	s_delay_alu instid0(VALU_DEP_3) | instskip(NEXT) | instid1(VALU_DEP_3)
	v_add_f64_e32 v[4:5], v[6:7], v[4:5]
	v_add_f64_e32 v[2:3], v[8:9], v[2:3]
	s_delay_alu instid0(VALU_DEP_2) | instskip(NEXT) | instid1(VALU_DEP_2)
	v_add_f64_e32 v[4:5], v[4:5], v[10:11]
	v_add_f64_e32 v[6:7], v[2:3], v[14:15]
	s_delay_alu instid0(VALU_DEP_2) | instskip(NEXT) | instid1(VALU_DEP_2)
	v_add_f64_e64 v[2:3], v[136:137], -v[4:5]
	v_add_f64_e64 v[4:5], v[138:139], -v[6:7]
	scratch_store_b128 off, v[2:5], off offset:288
	s_wait_xcnt 0x0
	v_cmpx_lt_u32_e32 17, v1
	s_cbranch_execz .LBB38_213
; %bb.212:
	scratch_load_b128 v[2:5], off, s38
	v_mov_b32_e32 v6, 0
	s_delay_alu instid0(VALU_DEP_1)
	v_dual_mov_b32 v7, v6 :: v_dual_mov_b32 v8, v6
	v_mov_b32_e32 v9, v6
	scratch_store_b128 off, v[6:9], off offset:272
	s_wait_loadcnt 0x0
	ds_store_b128 v94, v[2:5]
.LBB38_213:
	s_wait_xcnt 0x0
	s_or_b32 exec_lo, exec_lo, s2
	s_wait_storecnt_dscnt 0x0
	s_barrier_signal -1
	s_barrier_wait -1
	s_clause 0x9
	scratch_load_b128 v[4:7], off, off offset:288
	scratch_load_b128 v[8:11], off, off offset:304
	;; [unrolled: 1-line block ×10, first 2 shown]
	v_mov_b32_e32 v2, 0
	s_mov_b32 s2, exec_lo
	ds_load_b128 v[124:127], v2 offset:912
	s_clause 0x2
	scratch_load_b128 v[128:131], off, off offset:448
	scratch_load_b128 v[132:135], off, off offset:272
	;; [unrolled: 1-line block ×3, first 2 shown]
	s_wait_loadcnt_dscnt 0xc00
	v_mul_f64_e32 v[144:145], v[126:127], v[6:7]
	v_mul_f64_e32 v[148:149], v[124:125], v[6:7]
	ds_load_b128 v[136:139], v2 offset:928
	v_fma_f64 v[152:153], v[124:125], v[4:5], -v[144:145]
	v_fmac_f64_e32 v[148:149], v[126:127], v[4:5]
	ds_load_b128 v[4:7], v2 offset:944
	s_wait_loadcnt_dscnt 0xb01
	v_mul_f64_e32 v[150:151], v[136:137], v[10:11]
	v_mul_f64_e32 v[10:11], v[138:139], v[10:11]
	scratch_load_b128 v[124:127], off, off offset:480
	ds_load_b128 v[144:147], v2 offset:960
	s_wait_loadcnt_dscnt 0xb01
	v_mul_f64_e32 v[154:155], v[4:5], v[14:15]
	v_mul_f64_e32 v[14:15], v[6:7], v[14:15]
	v_add_f64_e32 v[148:149], 0, v[148:149]
	v_fmac_f64_e32 v[150:151], v[138:139], v[8:9]
	v_fma_f64 v[136:137], v[136:137], v[8:9], -v[10:11]
	v_add_f64_e32 v[138:139], 0, v[152:153]
	scratch_load_b128 v[8:11], off, off offset:496
	v_fmac_f64_e32 v[154:155], v[6:7], v[12:13]
	v_fma_f64 v[156:157], v[4:5], v[12:13], -v[14:15]
	ds_load_b128 v[4:7], v2 offset:976
	s_wait_loadcnt_dscnt 0xb01
	v_mul_f64_e32 v[152:153], v[144:145], v[98:99]
	v_mul_f64_e32 v[98:99], v[146:147], v[98:99]
	scratch_load_b128 v[12:15], off, off offset:512
	v_add_f64_e32 v[148:149], v[148:149], v[150:151]
	v_add_f64_e32 v[158:159], v[138:139], v[136:137]
	ds_load_b128 v[136:139], v2 offset:992
	s_wait_loadcnt_dscnt 0xb01
	v_mul_f64_e32 v[150:151], v[4:5], v[102:103]
	v_mul_f64_e32 v[102:103], v[6:7], v[102:103]
	v_fmac_f64_e32 v[152:153], v[146:147], v[96:97]
	v_fma_f64 v[144:145], v[144:145], v[96:97], -v[98:99]
	scratch_load_b128 v[96:99], off, off offset:528
	v_add_f64_e32 v[148:149], v[148:149], v[154:155]
	v_add_f64_e32 v[146:147], v[158:159], v[156:157]
	v_fmac_f64_e32 v[150:151], v[6:7], v[100:101]
	v_fma_f64 v[156:157], v[4:5], v[100:101], -v[102:103]
	ds_load_b128 v[4:7], v2 offset:1008
	s_wait_loadcnt_dscnt 0xb01
	v_mul_f64_e32 v[154:155], v[136:137], v[106:107]
	v_mul_f64_e32 v[106:107], v[138:139], v[106:107]
	scratch_load_b128 v[100:103], off, off offset:544
	v_add_f64_e32 v[148:149], v[148:149], v[152:153]
	s_wait_loadcnt_dscnt 0xb00
	v_mul_f64_e32 v[152:153], v[4:5], v[110:111]
	v_add_f64_e32 v[158:159], v[146:147], v[144:145]
	v_mul_f64_e32 v[110:111], v[6:7], v[110:111]
	ds_load_b128 v[144:147], v2 offset:1024
	v_fmac_f64_e32 v[154:155], v[138:139], v[104:105]
	v_fma_f64 v[136:137], v[136:137], v[104:105], -v[106:107]
	scratch_load_b128 v[104:107], off, off offset:560
	v_add_f64_e32 v[148:149], v[148:149], v[150:151]
	v_fmac_f64_e32 v[152:153], v[6:7], v[108:109]
	v_add_f64_e32 v[138:139], v[158:159], v[156:157]
	v_fma_f64 v[156:157], v[4:5], v[108:109], -v[110:111]
	ds_load_b128 v[4:7], v2 offset:1040
	s_wait_loadcnt_dscnt 0xb01
	v_mul_f64_e32 v[150:151], v[144:145], v[114:115]
	v_mul_f64_e32 v[114:115], v[146:147], v[114:115]
	scratch_load_b128 v[108:111], off, off offset:576
	v_add_f64_e32 v[148:149], v[148:149], v[154:155]
	s_wait_loadcnt_dscnt 0xb00
	v_mul_f64_e32 v[154:155], v[4:5], v[118:119]
	v_add_f64_e32 v[158:159], v[138:139], v[136:137]
	v_mul_f64_e32 v[118:119], v[6:7], v[118:119]
	ds_load_b128 v[136:139], v2 offset:1056
	v_fmac_f64_e32 v[150:151], v[146:147], v[112:113]
	v_fma_f64 v[144:145], v[144:145], v[112:113], -v[114:115]
	scratch_load_b128 v[112:115], off, off offset:592
	v_add_f64_e32 v[148:149], v[148:149], v[152:153]
	v_fmac_f64_e32 v[154:155], v[6:7], v[116:117]
	v_add_f64_e32 v[146:147], v[158:159], v[156:157]
	v_fma_f64 v[156:157], v[4:5], v[116:117], -v[118:119]
	ds_load_b128 v[4:7], v2 offset:1072
	s_wait_loadcnt_dscnt 0xb01
	v_mul_f64_e32 v[152:153], v[136:137], v[122:123]
	v_mul_f64_e32 v[122:123], v[138:139], v[122:123]
	scratch_load_b128 v[116:119], off, off offset:608
	v_add_f64_e32 v[148:149], v[148:149], v[150:151]
	s_wait_loadcnt_dscnt 0xb00
	v_mul_f64_e32 v[150:151], v[4:5], v[130:131]
	v_add_f64_e32 v[158:159], v[146:147], v[144:145]
	v_mul_f64_e32 v[130:131], v[6:7], v[130:131]
	ds_load_b128 v[144:147], v2 offset:1088
	v_fmac_f64_e32 v[152:153], v[138:139], v[120:121]
	v_fma_f64 v[120:121], v[136:137], v[120:121], -v[122:123]
	s_wait_loadcnt_dscnt 0x900
	v_mul_f64_e32 v[138:139], v[144:145], v[142:143]
	v_mul_f64_e32 v[142:143], v[146:147], v[142:143]
	v_add_f64_e32 v[136:137], v[148:149], v[154:155]
	v_fmac_f64_e32 v[150:151], v[6:7], v[128:129]
	v_add_f64_e32 v[122:123], v[158:159], v[156:157]
	v_fma_f64 v[128:129], v[4:5], v[128:129], -v[130:131]
	v_fmac_f64_e32 v[138:139], v[146:147], v[140:141]
	v_fma_f64 v[140:141], v[144:145], v[140:141], -v[142:143]
	v_add_f64_e32 v[136:137], v[136:137], v[152:153]
	v_add_f64_e32 v[130:131], v[122:123], v[120:121]
	ds_load_b128 v[4:7], v2 offset:1104
	ds_load_b128 v[120:123], v2 offset:1120
	s_wait_loadcnt_dscnt 0x801
	v_mul_f64_e32 v[148:149], v[4:5], v[126:127]
	v_mul_f64_e32 v[126:127], v[6:7], v[126:127]
	v_add_f64_e32 v[128:129], v[130:131], v[128:129]
	v_add_f64_e32 v[130:131], v[136:137], v[150:151]
	s_wait_loadcnt_dscnt 0x700
	v_mul_f64_e32 v[136:137], v[120:121], v[10:11]
	v_mul_f64_e32 v[10:11], v[122:123], v[10:11]
	v_fmac_f64_e32 v[148:149], v[6:7], v[124:125]
	v_fma_f64 v[142:143], v[4:5], v[124:125], -v[126:127]
	ds_load_b128 v[4:7], v2 offset:1136
	ds_load_b128 v[124:127], v2 offset:1152
	v_add_f64_e32 v[128:129], v[128:129], v[140:141]
	v_add_f64_e32 v[130:131], v[130:131], v[138:139]
	v_fmac_f64_e32 v[136:137], v[122:123], v[8:9]
	v_fma_f64 v[8:9], v[120:121], v[8:9], -v[10:11]
	s_wait_loadcnt_dscnt 0x601
	v_mul_f64_e32 v[138:139], v[4:5], v[14:15]
	v_mul_f64_e32 v[14:15], v[6:7], v[14:15]
	s_wait_loadcnt_dscnt 0x500
	v_mul_f64_e32 v[122:123], v[124:125], v[98:99]
	v_mul_f64_e32 v[98:99], v[126:127], v[98:99]
	v_add_f64_e32 v[10:11], v[128:129], v[142:143]
	v_add_f64_e32 v[120:121], v[130:131], v[148:149]
	v_fmac_f64_e32 v[138:139], v[6:7], v[12:13]
	v_fma_f64 v[12:13], v[4:5], v[12:13], -v[14:15]
	v_fmac_f64_e32 v[122:123], v[126:127], v[96:97]
	v_fma_f64 v[96:97], v[124:125], v[96:97], -v[98:99]
	v_add_f64_e32 v[14:15], v[10:11], v[8:9]
	v_add_f64_e32 v[120:121], v[120:121], v[136:137]
	ds_load_b128 v[4:7], v2 offset:1168
	ds_load_b128 v[8:11], v2 offset:1184
	s_wait_loadcnt_dscnt 0x401
	v_mul_f64_e32 v[128:129], v[4:5], v[102:103]
	v_mul_f64_e32 v[102:103], v[6:7], v[102:103]
	s_wait_loadcnt_dscnt 0x300
	v_mul_f64_e32 v[98:99], v[8:9], v[106:107]
	v_mul_f64_e32 v[106:107], v[10:11], v[106:107]
	v_add_f64_e32 v[12:13], v[14:15], v[12:13]
	v_add_f64_e32 v[14:15], v[120:121], v[138:139]
	v_fmac_f64_e32 v[128:129], v[6:7], v[100:101]
	v_fma_f64 v[100:101], v[4:5], v[100:101], -v[102:103]
	v_fmac_f64_e32 v[98:99], v[10:11], v[104:105]
	v_fma_f64 v[8:9], v[8:9], v[104:105], -v[106:107]
	v_add_f64_e32 v[96:97], v[12:13], v[96:97]
	v_add_f64_e32 v[102:103], v[14:15], v[122:123]
	ds_load_b128 v[4:7], v2 offset:1200
	ds_load_b128 v[12:15], v2 offset:1216
	s_wait_loadcnt_dscnt 0x201
	v_mul_f64_e32 v[120:121], v[4:5], v[110:111]
	v_mul_f64_e32 v[110:111], v[6:7], v[110:111]
	v_add_f64_e32 v[10:11], v[96:97], v[100:101]
	v_add_f64_e32 v[96:97], v[102:103], v[128:129]
	s_wait_loadcnt_dscnt 0x100
	v_mul_f64_e32 v[100:101], v[12:13], v[114:115]
	v_mul_f64_e32 v[102:103], v[14:15], v[114:115]
	v_fmac_f64_e32 v[120:121], v[6:7], v[108:109]
	v_fma_f64 v[104:105], v[4:5], v[108:109], -v[110:111]
	ds_load_b128 v[4:7], v2 offset:1232
	v_add_f64_e32 v[8:9], v[10:11], v[8:9]
	v_add_f64_e32 v[10:11], v[96:97], v[98:99]
	v_fmac_f64_e32 v[100:101], v[14:15], v[112:113]
	v_fma_f64 v[12:13], v[12:13], v[112:113], -v[102:103]
	s_wait_loadcnt_dscnt 0x0
	v_mul_f64_e32 v[96:97], v[4:5], v[118:119]
	v_mul_f64_e32 v[98:99], v[6:7], v[118:119]
	v_add_f64_e32 v[8:9], v[8:9], v[104:105]
	v_add_f64_e32 v[10:11], v[10:11], v[120:121]
	s_delay_alu instid0(VALU_DEP_4) | instskip(NEXT) | instid1(VALU_DEP_4)
	v_fmac_f64_e32 v[96:97], v[6:7], v[116:117]
	v_fma_f64 v[4:5], v[4:5], v[116:117], -v[98:99]
	s_delay_alu instid0(VALU_DEP_4) | instskip(NEXT) | instid1(VALU_DEP_4)
	v_add_f64_e32 v[6:7], v[8:9], v[12:13]
	v_add_f64_e32 v[8:9], v[10:11], v[100:101]
	s_delay_alu instid0(VALU_DEP_2) | instskip(NEXT) | instid1(VALU_DEP_2)
	v_add_f64_e32 v[4:5], v[6:7], v[4:5]
	v_add_f64_e32 v[6:7], v[8:9], v[96:97]
	s_delay_alu instid0(VALU_DEP_2) | instskip(NEXT) | instid1(VALU_DEP_2)
	v_add_f64_e64 v[4:5], v[132:133], -v[4:5]
	v_add_f64_e64 v[6:7], v[134:135], -v[6:7]
	scratch_store_b128 off, v[4:7], off offset:272
	s_wait_xcnt 0x0
	v_cmpx_lt_u32_e32 16, v1
	s_cbranch_execz .LBB38_215
; %bb.214:
	scratch_load_b128 v[6:9], off, s37
	v_dual_mov_b32 v3, v2 :: v_dual_mov_b32 v4, v2
	v_mov_b32_e32 v5, v2
	scratch_store_b128 off, v[2:5], off offset:256
	s_wait_loadcnt 0x0
	ds_store_b128 v94, v[6:9]
.LBB38_215:
	s_wait_xcnt 0x0
	s_or_b32 exec_lo, exec_lo, s2
	s_wait_storecnt_dscnt 0x0
	s_barrier_signal -1
	s_barrier_wait -1
	s_clause 0x9
	scratch_load_b128 v[4:7], off, off offset:272
	scratch_load_b128 v[8:11], off, off offset:288
	;; [unrolled: 1-line block ×10, first 2 shown]
	ds_load_b128 v[124:127], v2 offset:896
	ds_load_b128 v[132:135], v2 offset:912
	s_clause 0x2
	scratch_load_b128 v[128:131], off, off offset:432
	scratch_load_b128 v[136:139], off, off offset:256
	;; [unrolled: 1-line block ×3, first 2 shown]
	s_mov_b32 s2, exec_lo
	s_wait_loadcnt_dscnt 0xc01
	v_mul_f64_e32 v[144:145], v[126:127], v[6:7]
	v_mul_f64_e32 v[148:149], v[124:125], v[6:7]
	s_wait_loadcnt_dscnt 0xb00
	v_mul_f64_e32 v[150:151], v[132:133], v[10:11]
	v_mul_f64_e32 v[10:11], v[134:135], v[10:11]
	s_delay_alu instid0(VALU_DEP_4) | instskip(NEXT) | instid1(VALU_DEP_4)
	v_fma_f64 v[152:153], v[124:125], v[4:5], -v[144:145]
	v_fmac_f64_e32 v[148:149], v[126:127], v[4:5]
	ds_load_b128 v[4:7], v2 offset:928
	ds_load_b128 v[124:127], v2 offset:944
	scratch_load_b128 v[144:147], off, off offset:464
	v_fmac_f64_e32 v[150:151], v[134:135], v[8:9]
	v_fma_f64 v[132:133], v[132:133], v[8:9], -v[10:11]
	scratch_load_b128 v[8:11], off, off offset:480
	s_wait_loadcnt_dscnt 0xc01
	v_mul_f64_e32 v[154:155], v[4:5], v[14:15]
	v_mul_f64_e32 v[14:15], v[6:7], v[14:15]
	v_add_f64_e32 v[134:135], 0, v[152:153]
	v_add_f64_e32 v[148:149], 0, v[148:149]
	s_wait_loadcnt_dscnt 0xb00
	v_mul_f64_e32 v[152:153], v[124:125], v[98:99]
	v_mul_f64_e32 v[98:99], v[126:127], v[98:99]
	v_fmac_f64_e32 v[154:155], v[6:7], v[12:13]
	v_fma_f64 v[156:157], v[4:5], v[12:13], -v[14:15]
	ds_load_b128 v[4:7], v2 offset:960
	ds_load_b128 v[12:15], v2 offset:976
	v_add_f64_e32 v[158:159], v[134:135], v[132:133]
	v_add_f64_e32 v[148:149], v[148:149], v[150:151]
	scratch_load_b128 v[132:135], off, off offset:496
	v_fmac_f64_e32 v[152:153], v[126:127], v[96:97]
	v_fma_f64 v[124:125], v[124:125], v[96:97], -v[98:99]
	scratch_load_b128 v[96:99], off, off offset:512
	s_wait_loadcnt_dscnt 0xc01
	v_mul_f64_e32 v[150:151], v[4:5], v[102:103]
	v_mul_f64_e32 v[102:103], v[6:7], v[102:103]
	v_add_f64_e32 v[126:127], v[158:159], v[156:157]
	v_add_f64_e32 v[148:149], v[148:149], v[154:155]
	s_wait_loadcnt_dscnt 0xb00
	v_mul_f64_e32 v[154:155], v[12:13], v[106:107]
	v_mul_f64_e32 v[106:107], v[14:15], v[106:107]
	v_fmac_f64_e32 v[150:151], v[6:7], v[100:101]
	v_fma_f64 v[156:157], v[4:5], v[100:101], -v[102:103]
	ds_load_b128 v[4:7], v2 offset:992
	ds_load_b128 v[100:103], v2 offset:1008
	v_add_f64_e32 v[158:159], v[126:127], v[124:125]
	v_add_f64_e32 v[148:149], v[148:149], v[152:153]
	scratch_load_b128 v[124:127], off, off offset:528
	s_wait_loadcnt_dscnt 0xb01
	v_mul_f64_e32 v[152:153], v[4:5], v[110:111]
	v_mul_f64_e32 v[110:111], v[6:7], v[110:111]
	v_fmac_f64_e32 v[154:155], v[14:15], v[104:105]
	v_fma_f64 v[104:105], v[12:13], v[104:105], -v[106:107]
	scratch_load_b128 v[12:15], off, off offset:544
	v_add_f64_e32 v[106:107], v[158:159], v[156:157]
	v_add_f64_e32 v[148:149], v[148:149], v[150:151]
	s_wait_loadcnt_dscnt 0xb00
	v_mul_f64_e32 v[150:151], v[100:101], v[114:115]
	v_mul_f64_e32 v[114:115], v[102:103], v[114:115]
	v_fmac_f64_e32 v[152:153], v[6:7], v[108:109]
	v_fma_f64 v[156:157], v[4:5], v[108:109], -v[110:111]
	v_add_f64_e32 v[158:159], v[106:107], v[104:105]
	v_add_f64_e32 v[148:149], v[148:149], v[154:155]
	ds_load_b128 v[4:7], v2 offset:1024
	ds_load_b128 v[104:107], v2 offset:1040
	scratch_load_b128 v[108:111], off, off offset:560
	v_fmac_f64_e32 v[150:151], v[102:103], v[112:113]
	v_fma_f64 v[112:113], v[100:101], v[112:113], -v[114:115]
	scratch_load_b128 v[100:103], off, off offset:576
	s_wait_loadcnt_dscnt 0xc01
	v_mul_f64_e32 v[154:155], v[4:5], v[118:119]
	v_mul_f64_e32 v[118:119], v[6:7], v[118:119]
	v_add_f64_e32 v[114:115], v[158:159], v[156:157]
	v_add_f64_e32 v[148:149], v[148:149], v[152:153]
	s_wait_loadcnt_dscnt 0xb00
	v_mul_f64_e32 v[152:153], v[104:105], v[122:123]
	v_mul_f64_e32 v[122:123], v[106:107], v[122:123]
	v_fmac_f64_e32 v[154:155], v[6:7], v[116:117]
	v_fma_f64 v[156:157], v[4:5], v[116:117], -v[118:119]
	v_add_f64_e32 v[158:159], v[114:115], v[112:113]
	v_add_f64_e32 v[148:149], v[148:149], v[150:151]
	ds_load_b128 v[4:7], v2 offset:1056
	ds_load_b128 v[112:115], v2 offset:1072
	scratch_load_b128 v[116:119], off, off offset:592
	v_fmac_f64_e32 v[152:153], v[106:107], v[120:121]
	v_fma_f64 v[120:121], v[104:105], v[120:121], -v[122:123]
	scratch_load_b128 v[104:107], off, off offset:608
	s_wait_loadcnt_dscnt 0xc01
	v_mul_f64_e32 v[150:151], v[4:5], v[130:131]
	v_mul_f64_e32 v[130:131], v[6:7], v[130:131]
	v_add_f64_e32 v[122:123], v[158:159], v[156:157]
	v_add_f64_e32 v[148:149], v[148:149], v[154:155]
	s_wait_loadcnt_dscnt 0xa00
	v_mul_f64_e32 v[154:155], v[112:113], v[142:143]
	v_mul_f64_e32 v[142:143], v[114:115], v[142:143]
	v_fmac_f64_e32 v[150:151], v[6:7], v[128:129]
	v_fma_f64 v[128:129], v[4:5], v[128:129], -v[130:131]
	v_add_f64_e32 v[130:131], v[122:123], v[120:121]
	v_add_f64_e32 v[148:149], v[148:149], v[152:153]
	ds_load_b128 v[4:7], v2 offset:1088
	ds_load_b128 v[120:123], v2 offset:1104
	v_fmac_f64_e32 v[154:155], v[114:115], v[140:141]
	v_fma_f64 v[112:113], v[112:113], v[140:141], -v[142:143]
	s_wait_loadcnt_dscnt 0x901
	v_mul_f64_e32 v[152:153], v[4:5], v[146:147]
	v_mul_f64_e32 v[146:147], v[6:7], v[146:147]
	v_add_f64_e32 v[114:115], v[130:131], v[128:129]
	v_add_f64_e32 v[128:129], v[148:149], v[150:151]
	s_wait_loadcnt_dscnt 0x800
	v_mul_f64_e32 v[130:131], v[120:121], v[10:11]
	v_mul_f64_e32 v[10:11], v[122:123], v[10:11]
	v_fmac_f64_e32 v[152:153], v[6:7], v[144:145]
	v_fma_f64 v[140:141], v[4:5], v[144:145], -v[146:147]
	v_add_f64_e32 v[142:143], v[114:115], v[112:113]
	v_add_f64_e32 v[128:129], v[128:129], v[154:155]
	ds_load_b128 v[4:7], v2 offset:1120
	ds_load_b128 v[112:115], v2 offset:1136
	v_fmac_f64_e32 v[130:131], v[122:123], v[8:9]
	v_fma_f64 v[8:9], v[120:121], v[8:9], -v[10:11]
	s_wait_loadcnt_dscnt 0x701
	v_mul_f64_e32 v[144:145], v[4:5], v[134:135]
	v_mul_f64_e32 v[134:135], v[6:7], v[134:135]
	s_wait_loadcnt_dscnt 0x600
	v_mul_f64_e32 v[122:123], v[112:113], v[98:99]
	v_mul_f64_e32 v[98:99], v[114:115], v[98:99]
	v_add_f64_e32 v[10:11], v[142:143], v[140:141]
	v_add_f64_e32 v[120:121], v[128:129], v[152:153]
	v_fmac_f64_e32 v[144:145], v[6:7], v[132:133]
	v_fma_f64 v[128:129], v[4:5], v[132:133], -v[134:135]
	v_fmac_f64_e32 v[122:123], v[114:115], v[96:97]
	v_fma_f64 v[96:97], v[112:113], v[96:97], -v[98:99]
	v_add_f64_e32 v[132:133], v[10:11], v[8:9]
	v_add_f64_e32 v[120:121], v[120:121], v[130:131]
	ds_load_b128 v[4:7], v2 offset:1152
	ds_load_b128 v[8:11], v2 offset:1168
	s_wait_loadcnt_dscnt 0x501
	v_mul_f64_e32 v[130:131], v[4:5], v[126:127]
	v_mul_f64_e32 v[126:127], v[6:7], v[126:127]
	s_wait_loadcnt_dscnt 0x400
	v_mul_f64_e32 v[114:115], v[8:9], v[14:15]
	v_mul_f64_e32 v[14:15], v[10:11], v[14:15]
	v_add_f64_e32 v[98:99], v[132:133], v[128:129]
	v_add_f64_e32 v[112:113], v[120:121], v[144:145]
	v_fmac_f64_e32 v[130:131], v[6:7], v[124:125]
	v_fma_f64 v[120:121], v[4:5], v[124:125], -v[126:127]
	v_fmac_f64_e32 v[114:115], v[10:11], v[12:13]
	v_fma_f64 v[8:9], v[8:9], v[12:13], -v[14:15]
	v_add_f64_e32 v[124:125], v[98:99], v[96:97]
	v_add_f64_e32 v[112:113], v[112:113], v[122:123]
	ds_load_b128 v[4:7], v2 offset:1184
	ds_load_b128 v[96:99], v2 offset:1200
	;; [unrolled: 16-line block ×3, first 2 shown]
	s_wait_loadcnt_dscnt 0x101
	v_mul_f64_e32 v[2:3], v[4:5], v[118:119]
	v_mul_f64_e32 v[112:113], v[6:7], v[118:119]
	s_wait_loadcnt_dscnt 0x0
	v_mul_f64_e32 v[100:101], v[8:9], v[106:107]
	v_mul_f64_e32 v[102:103], v[10:11], v[106:107]
	v_add_f64_e32 v[98:99], v[110:111], v[108:109]
	v_add_f64_e32 v[12:13], v[12:13], v[122:123]
	v_fmac_f64_e32 v[2:3], v[6:7], v[116:117]
	v_fma_f64 v[4:5], v[4:5], v[116:117], -v[112:113]
	v_fmac_f64_e32 v[100:101], v[10:11], v[104:105]
	v_fma_f64 v[8:9], v[8:9], v[104:105], -v[102:103]
	v_add_f64_e32 v[6:7], v[98:99], v[96:97]
	v_add_f64_e32 v[12:13], v[12:13], v[14:15]
	s_delay_alu instid0(VALU_DEP_2) | instskip(NEXT) | instid1(VALU_DEP_2)
	v_add_f64_e32 v[4:5], v[6:7], v[4:5]
	v_add_f64_e32 v[2:3], v[12:13], v[2:3]
	s_delay_alu instid0(VALU_DEP_2) | instskip(NEXT) | instid1(VALU_DEP_2)
	;; [unrolled: 3-line block ×3, first 2 shown]
	v_add_f64_e64 v[2:3], v[136:137], -v[4:5]
	v_add_f64_e64 v[4:5], v[138:139], -v[6:7]
	scratch_store_b128 off, v[2:5], off offset:256
	s_wait_xcnt 0x0
	v_cmpx_lt_u32_e32 15, v1
	s_cbranch_execz .LBB38_217
; %bb.216:
	scratch_load_b128 v[2:5], off, s45
	v_mov_b32_e32 v6, 0
	s_delay_alu instid0(VALU_DEP_1)
	v_dual_mov_b32 v7, v6 :: v_dual_mov_b32 v8, v6
	v_mov_b32_e32 v9, v6
	scratch_store_b128 off, v[6:9], off offset:240
	s_wait_loadcnt 0x0
	ds_store_b128 v94, v[2:5]
.LBB38_217:
	s_wait_xcnt 0x0
	s_or_b32 exec_lo, exec_lo, s2
	s_wait_storecnt_dscnt 0x0
	s_barrier_signal -1
	s_barrier_wait -1
	s_clause 0x9
	scratch_load_b128 v[4:7], off, off offset:256
	scratch_load_b128 v[8:11], off, off offset:272
	;; [unrolled: 1-line block ×10, first 2 shown]
	v_mov_b32_e32 v2, 0
	s_mov_b32 s2, exec_lo
	ds_load_b128 v[124:127], v2 offset:880
	s_clause 0x2
	scratch_load_b128 v[128:131], off, off offset:416
	scratch_load_b128 v[132:135], off, off offset:240
	;; [unrolled: 1-line block ×3, first 2 shown]
	s_wait_loadcnt_dscnt 0xc00
	v_mul_f64_e32 v[144:145], v[126:127], v[6:7]
	v_mul_f64_e32 v[148:149], v[124:125], v[6:7]
	ds_load_b128 v[136:139], v2 offset:896
	v_fma_f64 v[152:153], v[124:125], v[4:5], -v[144:145]
	v_fmac_f64_e32 v[148:149], v[126:127], v[4:5]
	ds_load_b128 v[4:7], v2 offset:912
	s_wait_loadcnt_dscnt 0xb01
	v_mul_f64_e32 v[150:151], v[136:137], v[10:11]
	v_mul_f64_e32 v[10:11], v[138:139], v[10:11]
	scratch_load_b128 v[124:127], off, off offset:448
	ds_load_b128 v[144:147], v2 offset:928
	s_wait_loadcnt_dscnt 0xb01
	v_mul_f64_e32 v[154:155], v[4:5], v[14:15]
	v_mul_f64_e32 v[14:15], v[6:7], v[14:15]
	v_add_f64_e32 v[148:149], 0, v[148:149]
	v_fmac_f64_e32 v[150:151], v[138:139], v[8:9]
	v_fma_f64 v[136:137], v[136:137], v[8:9], -v[10:11]
	v_add_f64_e32 v[138:139], 0, v[152:153]
	scratch_load_b128 v[8:11], off, off offset:464
	v_fmac_f64_e32 v[154:155], v[6:7], v[12:13]
	v_fma_f64 v[156:157], v[4:5], v[12:13], -v[14:15]
	ds_load_b128 v[4:7], v2 offset:944
	s_wait_loadcnt_dscnt 0xb01
	v_mul_f64_e32 v[152:153], v[144:145], v[98:99]
	v_mul_f64_e32 v[98:99], v[146:147], v[98:99]
	scratch_load_b128 v[12:15], off, off offset:480
	v_add_f64_e32 v[148:149], v[148:149], v[150:151]
	v_add_f64_e32 v[158:159], v[138:139], v[136:137]
	ds_load_b128 v[136:139], v2 offset:960
	s_wait_loadcnt_dscnt 0xb01
	v_mul_f64_e32 v[150:151], v[4:5], v[102:103]
	v_mul_f64_e32 v[102:103], v[6:7], v[102:103]
	v_fmac_f64_e32 v[152:153], v[146:147], v[96:97]
	v_fma_f64 v[144:145], v[144:145], v[96:97], -v[98:99]
	scratch_load_b128 v[96:99], off, off offset:496
	v_add_f64_e32 v[148:149], v[148:149], v[154:155]
	v_add_f64_e32 v[146:147], v[158:159], v[156:157]
	v_fmac_f64_e32 v[150:151], v[6:7], v[100:101]
	v_fma_f64 v[156:157], v[4:5], v[100:101], -v[102:103]
	ds_load_b128 v[4:7], v2 offset:976
	s_wait_loadcnt_dscnt 0xb01
	v_mul_f64_e32 v[154:155], v[136:137], v[106:107]
	v_mul_f64_e32 v[106:107], v[138:139], v[106:107]
	scratch_load_b128 v[100:103], off, off offset:512
	v_add_f64_e32 v[148:149], v[148:149], v[152:153]
	s_wait_loadcnt_dscnt 0xb00
	v_mul_f64_e32 v[152:153], v[4:5], v[110:111]
	v_add_f64_e32 v[158:159], v[146:147], v[144:145]
	v_mul_f64_e32 v[110:111], v[6:7], v[110:111]
	ds_load_b128 v[144:147], v2 offset:992
	v_fmac_f64_e32 v[154:155], v[138:139], v[104:105]
	v_fma_f64 v[136:137], v[136:137], v[104:105], -v[106:107]
	scratch_load_b128 v[104:107], off, off offset:528
	v_add_f64_e32 v[148:149], v[148:149], v[150:151]
	v_fmac_f64_e32 v[152:153], v[6:7], v[108:109]
	v_add_f64_e32 v[138:139], v[158:159], v[156:157]
	v_fma_f64 v[156:157], v[4:5], v[108:109], -v[110:111]
	ds_load_b128 v[4:7], v2 offset:1008
	s_wait_loadcnt_dscnt 0xb01
	v_mul_f64_e32 v[150:151], v[144:145], v[114:115]
	v_mul_f64_e32 v[114:115], v[146:147], v[114:115]
	scratch_load_b128 v[108:111], off, off offset:544
	v_add_f64_e32 v[148:149], v[148:149], v[154:155]
	s_wait_loadcnt_dscnt 0xb00
	v_mul_f64_e32 v[154:155], v[4:5], v[118:119]
	v_add_f64_e32 v[158:159], v[138:139], v[136:137]
	v_mul_f64_e32 v[118:119], v[6:7], v[118:119]
	ds_load_b128 v[136:139], v2 offset:1024
	v_fmac_f64_e32 v[150:151], v[146:147], v[112:113]
	v_fma_f64 v[144:145], v[144:145], v[112:113], -v[114:115]
	scratch_load_b128 v[112:115], off, off offset:560
	v_add_f64_e32 v[148:149], v[148:149], v[152:153]
	v_fmac_f64_e32 v[154:155], v[6:7], v[116:117]
	v_add_f64_e32 v[146:147], v[158:159], v[156:157]
	;; [unrolled: 18-line block ×3, first 2 shown]
	v_fma_f64 v[156:157], v[4:5], v[128:129], -v[130:131]
	ds_load_b128 v[4:7], v2 offset:1072
	s_wait_loadcnt_dscnt 0xa01
	v_mul_f64_e32 v[154:155], v[144:145], v[142:143]
	v_mul_f64_e32 v[142:143], v[146:147], v[142:143]
	scratch_load_b128 v[128:131], off, off offset:608
	v_add_f64_e32 v[148:149], v[148:149], v[152:153]
	v_add_f64_e32 v[158:159], v[138:139], v[136:137]
	s_wait_loadcnt_dscnt 0xa00
	v_mul_f64_e32 v[152:153], v[4:5], v[126:127]
	v_mul_f64_e32 v[126:127], v[6:7], v[126:127]
	v_fmac_f64_e32 v[154:155], v[146:147], v[140:141]
	v_fma_f64 v[140:141], v[144:145], v[140:141], -v[142:143]
	ds_load_b128 v[136:139], v2 offset:1088
	v_add_f64_e32 v[144:145], v[148:149], v[150:151]
	v_add_f64_e32 v[142:143], v[158:159], v[156:157]
	s_wait_loadcnt_dscnt 0x900
	v_mul_f64_e32 v[146:147], v[136:137], v[10:11]
	v_mul_f64_e32 v[10:11], v[138:139], v[10:11]
	v_fmac_f64_e32 v[152:153], v[6:7], v[124:125]
	v_fma_f64 v[148:149], v[4:5], v[124:125], -v[126:127]
	ds_load_b128 v[4:7], v2 offset:1104
	ds_load_b128 v[124:127], v2 offset:1120
	v_add_f64_e32 v[140:141], v[142:143], v[140:141]
	v_add_f64_e32 v[142:143], v[144:145], v[154:155]
	s_wait_loadcnt_dscnt 0x801
	v_mul_f64_e32 v[144:145], v[4:5], v[14:15]
	v_mul_f64_e32 v[14:15], v[6:7], v[14:15]
	v_fmac_f64_e32 v[146:147], v[138:139], v[8:9]
	v_fma_f64 v[8:9], v[136:137], v[8:9], -v[10:11]
	s_wait_loadcnt_dscnt 0x700
	v_mul_f64_e32 v[138:139], v[124:125], v[98:99]
	v_mul_f64_e32 v[98:99], v[126:127], v[98:99]
	v_add_f64_e32 v[10:11], v[140:141], v[148:149]
	v_add_f64_e32 v[136:137], v[142:143], v[152:153]
	v_fmac_f64_e32 v[144:145], v[6:7], v[12:13]
	v_fma_f64 v[12:13], v[4:5], v[12:13], -v[14:15]
	v_fmac_f64_e32 v[138:139], v[126:127], v[96:97]
	v_fma_f64 v[96:97], v[124:125], v[96:97], -v[98:99]
	v_add_f64_e32 v[14:15], v[10:11], v[8:9]
	v_add_f64_e32 v[136:137], v[136:137], v[146:147]
	ds_load_b128 v[4:7], v2 offset:1136
	ds_load_b128 v[8:11], v2 offset:1152
	s_wait_loadcnt_dscnt 0x601
	v_mul_f64_e32 v[140:141], v[4:5], v[102:103]
	v_mul_f64_e32 v[102:103], v[6:7], v[102:103]
	s_wait_loadcnt_dscnt 0x500
	v_mul_f64_e32 v[98:99], v[8:9], v[106:107]
	v_mul_f64_e32 v[106:107], v[10:11], v[106:107]
	v_add_f64_e32 v[12:13], v[14:15], v[12:13]
	v_add_f64_e32 v[14:15], v[136:137], v[144:145]
	v_fmac_f64_e32 v[140:141], v[6:7], v[100:101]
	v_fma_f64 v[100:101], v[4:5], v[100:101], -v[102:103]
	v_fmac_f64_e32 v[98:99], v[10:11], v[104:105]
	v_fma_f64 v[8:9], v[8:9], v[104:105], -v[106:107]
	v_add_f64_e32 v[96:97], v[12:13], v[96:97]
	v_add_f64_e32 v[102:103], v[14:15], v[138:139]
	ds_load_b128 v[4:7], v2 offset:1168
	ds_load_b128 v[12:15], v2 offset:1184
	s_wait_loadcnt_dscnt 0x401
	v_mul_f64_e32 v[124:125], v[4:5], v[110:111]
	v_mul_f64_e32 v[110:111], v[6:7], v[110:111]
	v_add_f64_e32 v[10:11], v[96:97], v[100:101]
	v_add_f64_e32 v[96:97], v[102:103], v[140:141]
	s_wait_loadcnt_dscnt 0x300
	v_mul_f64_e32 v[100:101], v[12:13], v[114:115]
	v_mul_f64_e32 v[102:103], v[14:15], v[114:115]
	v_fmac_f64_e32 v[124:125], v[6:7], v[108:109]
	v_fma_f64 v[104:105], v[4:5], v[108:109], -v[110:111]
	v_add_f64_e32 v[106:107], v[10:11], v[8:9]
	v_add_f64_e32 v[96:97], v[96:97], v[98:99]
	ds_load_b128 v[4:7], v2 offset:1200
	ds_load_b128 v[8:11], v2 offset:1216
	v_fmac_f64_e32 v[100:101], v[14:15], v[112:113]
	v_fma_f64 v[12:13], v[12:13], v[112:113], -v[102:103]
	s_wait_loadcnt_dscnt 0x201
	v_mul_f64_e32 v[98:99], v[4:5], v[118:119]
	v_mul_f64_e32 v[108:109], v[6:7], v[118:119]
	s_wait_loadcnt_dscnt 0x100
	v_mul_f64_e32 v[102:103], v[8:9], v[122:123]
	v_add_f64_e32 v[14:15], v[106:107], v[104:105]
	v_add_f64_e32 v[96:97], v[96:97], v[124:125]
	v_mul_f64_e32 v[104:105], v[10:11], v[122:123]
	v_fmac_f64_e32 v[98:99], v[6:7], v[116:117]
	v_fma_f64 v[106:107], v[4:5], v[116:117], -v[108:109]
	ds_load_b128 v[4:7], v2 offset:1232
	v_fmac_f64_e32 v[102:103], v[10:11], v[120:121]
	v_add_f64_e32 v[12:13], v[14:15], v[12:13]
	v_add_f64_e32 v[14:15], v[96:97], v[100:101]
	v_fma_f64 v[8:9], v[8:9], v[120:121], -v[104:105]
	s_wait_loadcnt_dscnt 0x0
	v_mul_f64_e32 v[96:97], v[4:5], v[130:131]
	v_mul_f64_e32 v[100:101], v[6:7], v[130:131]
	v_add_f64_e32 v[10:11], v[12:13], v[106:107]
	v_add_f64_e32 v[12:13], v[14:15], v[98:99]
	s_delay_alu instid0(VALU_DEP_4) | instskip(NEXT) | instid1(VALU_DEP_4)
	v_fmac_f64_e32 v[96:97], v[6:7], v[128:129]
	v_fma_f64 v[4:5], v[4:5], v[128:129], -v[100:101]
	s_delay_alu instid0(VALU_DEP_4) | instskip(NEXT) | instid1(VALU_DEP_4)
	v_add_f64_e32 v[6:7], v[10:11], v[8:9]
	v_add_f64_e32 v[8:9], v[12:13], v[102:103]
	s_delay_alu instid0(VALU_DEP_2) | instskip(NEXT) | instid1(VALU_DEP_2)
	v_add_f64_e32 v[4:5], v[6:7], v[4:5]
	v_add_f64_e32 v[6:7], v[8:9], v[96:97]
	s_delay_alu instid0(VALU_DEP_2) | instskip(NEXT) | instid1(VALU_DEP_2)
	v_add_f64_e64 v[4:5], v[132:133], -v[4:5]
	v_add_f64_e64 v[6:7], v[134:135], -v[6:7]
	scratch_store_b128 off, v[4:7], off offset:240
	s_wait_xcnt 0x0
	v_cmpx_lt_u32_e32 14, v1
	s_cbranch_execz .LBB38_219
; %bb.218:
	scratch_load_b128 v[6:9], off, s50
	v_dual_mov_b32 v3, v2 :: v_dual_mov_b32 v4, v2
	v_mov_b32_e32 v5, v2
	scratch_store_b128 off, v[2:5], off offset:224
	s_wait_loadcnt 0x0
	ds_store_b128 v94, v[6:9]
.LBB38_219:
	s_wait_xcnt 0x0
	s_or_b32 exec_lo, exec_lo, s2
	s_wait_storecnt_dscnt 0x0
	s_barrier_signal -1
	s_barrier_wait -1
	s_clause 0x9
	scratch_load_b128 v[4:7], off, off offset:240
	scratch_load_b128 v[8:11], off, off offset:256
	;; [unrolled: 1-line block ×10, first 2 shown]
	ds_load_b128 v[124:127], v2 offset:864
	ds_load_b128 v[132:135], v2 offset:880
	s_clause 0x2
	scratch_load_b128 v[128:131], off, off offset:400
	scratch_load_b128 v[136:139], off, off offset:224
	;; [unrolled: 1-line block ×3, first 2 shown]
	s_mov_b32 s2, exec_lo
	s_wait_loadcnt_dscnt 0xc01
	v_mul_f64_e32 v[144:145], v[126:127], v[6:7]
	v_mul_f64_e32 v[148:149], v[124:125], v[6:7]
	s_wait_loadcnt_dscnt 0xb00
	v_mul_f64_e32 v[150:151], v[132:133], v[10:11]
	v_mul_f64_e32 v[10:11], v[134:135], v[10:11]
	s_delay_alu instid0(VALU_DEP_4) | instskip(NEXT) | instid1(VALU_DEP_4)
	v_fma_f64 v[152:153], v[124:125], v[4:5], -v[144:145]
	v_fmac_f64_e32 v[148:149], v[126:127], v[4:5]
	ds_load_b128 v[4:7], v2 offset:896
	ds_load_b128 v[124:127], v2 offset:912
	scratch_load_b128 v[144:147], off, off offset:432
	v_fmac_f64_e32 v[150:151], v[134:135], v[8:9]
	v_fma_f64 v[132:133], v[132:133], v[8:9], -v[10:11]
	scratch_load_b128 v[8:11], off, off offset:448
	s_wait_loadcnt_dscnt 0xc01
	v_mul_f64_e32 v[154:155], v[4:5], v[14:15]
	v_mul_f64_e32 v[14:15], v[6:7], v[14:15]
	v_add_f64_e32 v[134:135], 0, v[152:153]
	v_add_f64_e32 v[148:149], 0, v[148:149]
	s_wait_loadcnt_dscnt 0xb00
	v_mul_f64_e32 v[152:153], v[124:125], v[98:99]
	v_mul_f64_e32 v[98:99], v[126:127], v[98:99]
	v_fmac_f64_e32 v[154:155], v[6:7], v[12:13]
	v_fma_f64 v[156:157], v[4:5], v[12:13], -v[14:15]
	ds_load_b128 v[4:7], v2 offset:928
	ds_load_b128 v[12:15], v2 offset:944
	v_add_f64_e32 v[158:159], v[134:135], v[132:133]
	v_add_f64_e32 v[148:149], v[148:149], v[150:151]
	scratch_load_b128 v[132:135], off, off offset:464
	v_fmac_f64_e32 v[152:153], v[126:127], v[96:97]
	v_fma_f64 v[124:125], v[124:125], v[96:97], -v[98:99]
	scratch_load_b128 v[96:99], off, off offset:480
	s_wait_loadcnt_dscnt 0xc01
	v_mul_f64_e32 v[150:151], v[4:5], v[102:103]
	v_mul_f64_e32 v[102:103], v[6:7], v[102:103]
	v_add_f64_e32 v[126:127], v[158:159], v[156:157]
	v_add_f64_e32 v[148:149], v[148:149], v[154:155]
	s_wait_loadcnt_dscnt 0xb00
	v_mul_f64_e32 v[154:155], v[12:13], v[106:107]
	v_mul_f64_e32 v[106:107], v[14:15], v[106:107]
	v_fmac_f64_e32 v[150:151], v[6:7], v[100:101]
	v_fma_f64 v[156:157], v[4:5], v[100:101], -v[102:103]
	ds_load_b128 v[4:7], v2 offset:960
	ds_load_b128 v[100:103], v2 offset:976
	v_add_f64_e32 v[158:159], v[126:127], v[124:125]
	v_add_f64_e32 v[148:149], v[148:149], v[152:153]
	scratch_load_b128 v[124:127], off, off offset:496
	s_wait_loadcnt_dscnt 0xb01
	v_mul_f64_e32 v[152:153], v[4:5], v[110:111]
	v_mul_f64_e32 v[110:111], v[6:7], v[110:111]
	v_fmac_f64_e32 v[154:155], v[14:15], v[104:105]
	v_fma_f64 v[104:105], v[12:13], v[104:105], -v[106:107]
	scratch_load_b128 v[12:15], off, off offset:512
	v_add_f64_e32 v[106:107], v[158:159], v[156:157]
	v_add_f64_e32 v[148:149], v[148:149], v[150:151]
	s_wait_loadcnt_dscnt 0xb00
	v_mul_f64_e32 v[150:151], v[100:101], v[114:115]
	v_mul_f64_e32 v[114:115], v[102:103], v[114:115]
	v_fmac_f64_e32 v[152:153], v[6:7], v[108:109]
	v_fma_f64 v[156:157], v[4:5], v[108:109], -v[110:111]
	v_add_f64_e32 v[158:159], v[106:107], v[104:105]
	v_add_f64_e32 v[148:149], v[148:149], v[154:155]
	ds_load_b128 v[4:7], v2 offset:992
	ds_load_b128 v[104:107], v2 offset:1008
	scratch_load_b128 v[108:111], off, off offset:528
	v_fmac_f64_e32 v[150:151], v[102:103], v[112:113]
	v_fma_f64 v[112:113], v[100:101], v[112:113], -v[114:115]
	scratch_load_b128 v[100:103], off, off offset:544
	s_wait_loadcnt_dscnt 0xc01
	v_mul_f64_e32 v[154:155], v[4:5], v[118:119]
	v_mul_f64_e32 v[118:119], v[6:7], v[118:119]
	v_add_f64_e32 v[114:115], v[158:159], v[156:157]
	v_add_f64_e32 v[148:149], v[148:149], v[152:153]
	s_wait_loadcnt_dscnt 0xb00
	v_mul_f64_e32 v[152:153], v[104:105], v[122:123]
	v_mul_f64_e32 v[122:123], v[106:107], v[122:123]
	v_fmac_f64_e32 v[154:155], v[6:7], v[116:117]
	v_fma_f64 v[156:157], v[4:5], v[116:117], -v[118:119]
	v_add_f64_e32 v[158:159], v[114:115], v[112:113]
	v_add_f64_e32 v[148:149], v[148:149], v[150:151]
	ds_load_b128 v[4:7], v2 offset:1024
	ds_load_b128 v[112:115], v2 offset:1040
	scratch_load_b128 v[116:119], off, off offset:560
	v_fmac_f64_e32 v[152:153], v[106:107], v[120:121]
	v_fma_f64 v[120:121], v[104:105], v[120:121], -v[122:123]
	scratch_load_b128 v[104:107], off, off offset:576
	s_wait_loadcnt_dscnt 0xc01
	v_mul_f64_e32 v[150:151], v[4:5], v[130:131]
	v_mul_f64_e32 v[130:131], v[6:7], v[130:131]
	;; [unrolled: 18-line block ×3, first 2 shown]
	v_add_f64_e32 v[142:143], v[158:159], v[156:157]
	v_add_f64_e32 v[148:149], v[148:149], v[150:151]
	s_wait_loadcnt_dscnt 0xa00
	v_mul_f64_e32 v[150:151], v[120:121], v[10:11]
	v_mul_f64_e32 v[10:11], v[122:123], v[10:11]
	v_fmac_f64_e32 v[152:153], v[6:7], v[144:145]
	v_fma_f64 v[144:145], v[4:5], v[144:145], -v[146:147]
	v_add_f64_e32 v[146:147], v[142:143], v[140:141]
	v_add_f64_e32 v[148:149], v[148:149], v[154:155]
	ds_load_b128 v[4:7], v2 offset:1088
	ds_load_b128 v[140:143], v2 offset:1104
	v_fmac_f64_e32 v[150:151], v[122:123], v[8:9]
	v_fma_f64 v[8:9], v[120:121], v[8:9], -v[10:11]
	s_wait_loadcnt_dscnt 0x901
	v_mul_f64_e32 v[154:155], v[4:5], v[134:135]
	v_mul_f64_e32 v[134:135], v[6:7], v[134:135]
	s_wait_loadcnt_dscnt 0x800
	v_mul_f64_e32 v[122:123], v[140:141], v[98:99]
	v_mul_f64_e32 v[98:99], v[142:143], v[98:99]
	v_add_f64_e32 v[10:11], v[146:147], v[144:145]
	v_add_f64_e32 v[120:121], v[148:149], v[152:153]
	v_fmac_f64_e32 v[154:155], v[6:7], v[132:133]
	v_fma_f64 v[132:133], v[4:5], v[132:133], -v[134:135]
	v_fmac_f64_e32 v[122:123], v[142:143], v[96:97]
	v_fma_f64 v[96:97], v[140:141], v[96:97], -v[98:99]
	v_add_f64_e32 v[134:135], v[10:11], v[8:9]
	v_add_f64_e32 v[120:121], v[120:121], v[150:151]
	ds_load_b128 v[4:7], v2 offset:1120
	ds_load_b128 v[8:11], v2 offset:1136
	s_wait_loadcnt_dscnt 0x701
	v_mul_f64_e32 v[144:145], v[4:5], v[126:127]
	v_mul_f64_e32 v[126:127], v[6:7], v[126:127]
	v_add_f64_e32 v[98:99], v[134:135], v[132:133]
	v_add_f64_e32 v[120:121], v[120:121], v[154:155]
	s_wait_loadcnt_dscnt 0x600
	v_mul_f64_e32 v[132:133], v[8:9], v[14:15]
	v_mul_f64_e32 v[14:15], v[10:11], v[14:15]
	v_fmac_f64_e32 v[144:145], v[6:7], v[124:125]
	v_fma_f64 v[124:125], v[4:5], v[124:125], -v[126:127]
	v_add_f64_e32 v[126:127], v[98:99], v[96:97]
	v_add_f64_e32 v[120:121], v[120:121], v[122:123]
	ds_load_b128 v[4:7], v2 offset:1152
	ds_load_b128 v[96:99], v2 offset:1168
	v_fmac_f64_e32 v[132:133], v[10:11], v[12:13]
	v_fma_f64 v[8:9], v[8:9], v[12:13], -v[14:15]
	s_wait_loadcnt_dscnt 0x501
	v_mul_f64_e32 v[122:123], v[4:5], v[110:111]
	v_mul_f64_e32 v[110:111], v[6:7], v[110:111]
	s_wait_loadcnt_dscnt 0x400
	v_mul_f64_e32 v[14:15], v[96:97], v[102:103]
	v_mul_f64_e32 v[102:103], v[98:99], v[102:103]
	v_add_f64_e32 v[10:11], v[126:127], v[124:125]
	v_add_f64_e32 v[12:13], v[120:121], v[144:145]
	v_fmac_f64_e32 v[122:123], v[6:7], v[108:109]
	v_fma_f64 v[108:109], v[4:5], v[108:109], -v[110:111]
	v_fmac_f64_e32 v[14:15], v[98:99], v[100:101]
	v_fma_f64 v[96:97], v[96:97], v[100:101], -v[102:103]
	v_add_f64_e32 v[110:111], v[10:11], v[8:9]
	v_add_f64_e32 v[12:13], v[12:13], v[132:133]
	ds_load_b128 v[4:7], v2 offset:1184
	ds_load_b128 v[8:11], v2 offset:1200
	s_wait_loadcnt_dscnt 0x301
	v_mul_f64_e32 v[120:121], v[4:5], v[118:119]
	v_mul_f64_e32 v[118:119], v[6:7], v[118:119]
	s_wait_loadcnt_dscnt 0x200
	v_mul_f64_e32 v[100:101], v[8:9], v[106:107]
	v_mul_f64_e32 v[102:103], v[10:11], v[106:107]
	v_add_f64_e32 v[98:99], v[110:111], v[108:109]
	v_add_f64_e32 v[12:13], v[12:13], v[122:123]
	v_fmac_f64_e32 v[120:121], v[6:7], v[116:117]
	v_fma_f64 v[106:107], v[4:5], v[116:117], -v[118:119]
	v_fmac_f64_e32 v[100:101], v[10:11], v[104:105]
	v_fma_f64 v[8:9], v[8:9], v[104:105], -v[102:103]
	v_add_f64_e32 v[96:97], v[98:99], v[96:97]
	v_add_f64_e32 v[98:99], v[12:13], v[14:15]
	ds_load_b128 v[4:7], v2 offset:1216
	ds_load_b128 v[12:15], v2 offset:1232
	s_wait_loadcnt_dscnt 0x101
	v_mul_f64_e32 v[2:3], v[4:5], v[130:131]
	v_mul_f64_e32 v[108:109], v[6:7], v[130:131]
	s_wait_loadcnt_dscnt 0x0
	v_mul_f64_e32 v[102:103], v[14:15], v[114:115]
	v_add_f64_e32 v[10:11], v[96:97], v[106:107]
	v_add_f64_e32 v[96:97], v[98:99], v[120:121]
	v_mul_f64_e32 v[98:99], v[12:13], v[114:115]
	v_fmac_f64_e32 v[2:3], v[6:7], v[128:129]
	v_fma_f64 v[4:5], v[4:5], v[128:129], -v[108:109]
	v_add_f64_e32 v[6:7], v[10:11], v[8:9]
	v_add_f64_e32 v[8:9], v[96:97], v[100:101]
	v_fmac_f64_e32 v[98:99], v[14:15], v[112:113]
	v_fma_f64 v[10:11], v[12:13], v[112:113], -v[102:103]
	s_delay_alu instid0(VALU_DEP_4) | instskip(NEXT) | instid1(VALU_DEP_4)
	v_add_f64_e32 v[4:5], v[6:7], v[4:5]
	v_add_f64_e32 v[2:3], v[8:9], v[2:3]
	s_delay_alu instid0(VALU_DEP_2) | instskip(NEXT) | instid1(VALU_DEP_2)
	v_add_f64_e32 v[4:5], v[4:5], v[10:11]
	v_add_f64_e32 v[6:7], v[2:3], v[98:99]
	s_delay_alu instid0(VALU_DEP_2) | instskip(NEXT) | instid1(VALU_DEP_2)
	v_add_f64_e64 v[2:3], v[136:137], -v[4:5]
	v_add_f64_e64 v[4:5], v[138:139], -v[6:7]
	scratch_store_b128 off, v[2:5], off offset:224
	s_wait_xcnt 0x0
	v_cmpx_lt_u32_e32 13, v1
	s_cbranch_execz .LBB38_221
; %bb.220:
	scratch_load_b128 v[2:5], off, s49
	v_mov_b32_e32 v6, 0
	s_delay_alu instid0(VALU_DEP_1)
	v_dual_mov_b32 v7, v6 :: v_dual_mov_b32 v8, v6
	v_mov_b32_e32 v9, v6
	scratch_store_b128 off, v[6:9], off offset:208
	s_wait_loadcnt 0x0
	ds_store_b128 v94, v[2:5]
.LBB38_221:
	s_wait_xcnt 0x0
	s_or_b32 exec_lo, exec_lo, s2
	s_wait_storecnt_dscnt 0x0
	s_barrier_signal -1
	s_barrier_wait -1
	s_clause 0x9
	scratch_load_b128 v[4:7], off, off offset:224
	scratch_load_b128 v[8:11], off, off offset:240
	;; [unrolled: 1-line block ×10, first 2 shown]
	v_mov_b32_e32 v2, 0
	s_mov_b32 s2, exec_lo
	ds_load_b128 v[124:127], v2 offset:848
	s_clause 0x2
	scratch_load_b128 v[128:131], off, off offset:384
	scratch_load_b128 v[132:135], off, off offset:208
	;; [unrolled: 1-line block ×3, first 2 shown]
	s_wait_loadcnt_dscnt 0xc00
	v_mul_f64_e32 v[144:145], v[126:127], v[6:7]
	v_mul_f64_e32 v[148:149], v[124:125], v[6:7]
	ds_load_b128 v[136:139], v2 offset:864
	v_fma_f64 v[152:153], v[124:125], v[4:5], -v[144:145]
	v_fmac_f64_e32 v[148:149], v[126:127], v[4:5]
	ds_load_b128 v[4:7], v2 offset:880
	s_wait_loadcnt_dscnt 0xb01
	v_mul_f64_e32 v[150:151], v[136:137], v[10:11]
	v_mul_f64_e32 v[10:11], v[138:139], v[10:11]
	scratch_load_b128 v[124:127], off, off offset:416
	ds_load_b128 v[144:147], v2 offset:896
	s_wait_loadcnt_dscnt 0xb01
	v_mul_f64_e32 v[154:155], v[4:5], v[14:15]
	v_mul_f64_e32 v[14:15], v[6:7], v[14:15]
	v_add_f64_e32 v[148:149], 0, v[148:149]
	v_fmac_f64_e32 v[150:151], v[138:139], v[8:9]
	v_fma_f64 v[136:137], v[136:137], v[8:9], -v[10:11]
	v_add_f64_e32 v[138:139], 0, v[152:153]
	scratch_load_b128 v[8:11], off, off offset:432
	v_fmac_f64_e32 v[154:155], v[6:7], v[12:13]
	v_fma_f64 v[156:157], v[4:5], v[12:13], -v[14:15]
	ds_load_b128 v[4:7], v2 offset:912
	s_wait_loadcnt_dscnt 0xb01
	v_mul_f64_e32 v[152:153], v[144:145], v[98:99]
	v_mul_f64_e32 v[98:99], v[146:147], v[98:99]
	scratch_load_b128 v[12:15], off, off offset:448
	v_add_f64_e32 v[148:149], v[148:149], v[150:151]
	v_add_f64_e32 v[158:159], v[138:139], v[136:137]
	ds_load_b128 v[136:139], v2 offset:928
	s_wait_loadcnt_dscnt 0xb01
	v_mul_f64_e32 v[150:151], v[4:5], v[102:103]
	v_mul_f64_e32 v[102:103], v[6:7], v[102:103]
	v_fmac_f64_e32 v[152:153], v[146:147], v[96:97]
	v_fma_f64 v[144:145], v[144:145], v[96:97], -v[98:99]
	scratch_load_b128 v[96:99], off, off offset:464
	v_add_f64_e32 v[148:149], v[148:149], v[154:155]
	v_add_f64_e32 v[146:147], v[158:159], v[156:157]
	v_fmac_f64_e32 v[150:151], v[6:7], v[100:101]
	v_fma_f64 v[156:157], v[4:5], v[100:101], -v[102:103]
	ds_load_b128 v[4:7], v2 offset:944
	s_wait_loadcnt_dscnt 0xb01
	v_mul_f64_e32 v[154:155], v[136:137], v[106:107]
	v_mul_f64_e32 v[106:107], v[138:139], v[106:107]
	scratch_load_b128 v[100:103], off, off offset:480
	v_add_f64_e32 v[148:149], v[148:149], v[152:153]
	s_wait_loadcnt_dscnt 0xb00
	v_mul_f64_e32 v[152:153], v[4:5], v[110:111]
	v_add_f64_e32 v[158:159], v[146:147], v[144:145]
	v_mul_f64_e32 v[110:111], v[6:7], v[110:111]
	ds_load_b128 v[144:147], v2 offset:960
	v_fmac_f64_e32 v[154:155], v[138:139], v[104:105]
	v_fma_f64 v[136:137], v[136:137], v[104:105], -v[106:107]
	scratch_load_b128 v[104:107], off, off offset:496
	v_add_f64_e32 v[148:149], v[148:149], v[150:151]
	v_fmac_f64_e32 v[152:153], v[6:7], v[108:109]
	v_add_f64_e32 v[138:139], v[158:159], v[156:157]
	v_fma_f64 v[156:157], v[4:5], v[108:109], -v[110:111]
	ds_load_b128 v[4:7], v2 offset:976
	s_wait_loadcnt_dscnt 0xb01
	v_mul_f64_e32 v[150:151], v[144:145], v[114:115]
	v_mul_f64_e32 v[114:115], v[146:147], v[114:115]
	scratch_load_b128 v[108:111], off, off offset:512
	v_add_f64_e32 v[148:149], v[148:149], v[154:155]
	s_wait_loadcnt_dscnt 0xb00
	v_mul_f64_e32 v[154:155], v[4:5], v[118:119]
	v_add_f64_e32 v[158:159], v[138:139], v[136:137]
	v_mul_f64_e32 v[118:119], v[6:7], v[118:119]
	ds_load_b128 v[136:139], v2 offset:992
	v_fmac_f64_e32 v[150:151], v[146:147], v[112:113]
	v_fma_f64 v[144:145], v[144:145], v[112:113], -v[114:115]
	scratch_load_b128 v[112:115], off, off offset:528
	v_add_f64_e32 v[148:149], v[148:149], v[152:153]
	v_fmac_f64_e32 v[154:155], v[6:7], v[116:117]
	v_add_f64_e32 v[146:147], v[158:159], v[156:157]
	;; [unrolled: 18-line block ×3, first 2 shown]
	v_fma_f64 v[156:157], v[4:5], v[128:129], -v[130:131]
	ds_load_b128 v[4:7], v2 offset:1040
	s_wait_loadcnt_dscnt 0xa01
	v_mul_f64_e32 v[154:155], v[144:145], v[142:143]
	v_mul_f64_e32 v[142:143], v[146:147], v[142:143]
	scratch_load_b128 v[128:131], off, off offset:576
	v_add_f64_e32 v[148:149], v[148:149], v[152:153]
	v_add_f64_e32 v[158:159], v[138:139], v[136:137]
	s_wait_loadcnt_dscnt 0xa00
	v_mul_f64_e32 v[152:153], v[4:5], v[126:127]
	v_mul_f64_e32 v[126:127], v[6:7], v[126:127]
	v_fmac_f64_e32 v[154:155], v[146:147], v[140:141]
	v_fma_f64 v[144:145], v[144:145], v[140:141], -v[142:143]
	ds_load_b128 v[136:139], v2 offset:1056
	scratch_load_b128 v[140:143], off, off offset:592
	v_add_f64_e32 v[148:149], v[148:149], v[150:151]
	v_add_f64_e32 v[146:147], v[158:159], v[156:157]
	v_fmac_f64_e32 v[152:153], v[6:7], v[124:125]
	v_fma_f64 v[156:157], v[4:5], v[124:125], -v[126:127]
	ds_load_b128 v[4:7], v2 offset:1072
	s_wait_loadcnt_dscnt 0xa01
	v_mul_f64_e32 v[150:151], v[136:137], v[10:11]
	v_mul_f64_e32 v[10:11], v[138:139], v[10:11]
	scratch_load_b128 v[124:127], off, off offset:608
	v_add_f64_e32 v[148:149], v[148:149], v[154:155]
	s_wait_loadcnt_dscnt 0xa00
	v_mul_f64_e32 v[154:155], v[4:5], v[14:15]
	v_add_f64_e32 v[158:159], v[146:147], v[144:145]
	v_mul_f64_e32 v[14:15], v[6:7], v[14:15]
	ds_load_b128 v[144:147], v2 offset:1088
	v_fmac_f64_e32 v[150:151], v[138:139], v[8:9]
	v_fma_f64 v[8:9], v[136:137], v[8:9], -v[10:11]
	s_wait_loadcnt_dscnt 0x900
	v_mul_f64_e32 v[138:139], v[144:145], v[98:99]
	v_mul_f64_e32 v[98:99], v[146:147], v[98:99]
	v_add_f64_e32 v[136:137], v[148:149], v[152:153]
	v_fmac_f64_e32 v[154:155], v[6:7], v[12:13]
	v_add_f64_e32 v[10:11], v[158:159], v[156:157]
	v_fma_f64 v[12:13], v[4:5], v[12:13], -v[14:15]
	v_fmac_f64_e32 v[138:139], v[146:147], v[96:97]
	v_fma_f64 v[96:97], v[144:145], v[96:97], -v[98:99]
	v_add_f64_e32 v[136:137], v[136:137], v[150:151]
	v_add_f64_e32 v[14:15], v[10:11], v[8:9]
	ds_load_b128 v[4:7], v2 offset:1104
	ds_load_b128 v[8:11], v2 offset:1120
	s_wait_loadcnt_dscnt 0x801
	v_mul_f64_e32 v[148:149], v[4:5], v[102:103]
	v_mul_f64_e32 v[102:103], v[6:7], v[102:103]
	s_wait_loadcnt_dscnt 0x700
	v_mul_f64_e32 v[98:99], v[8:9], v[106:107]
	v_mul_f64_e32 v[106:107], v[10:11], v[106:107]
	v_add_f64_e32 v[12:13], v[14:15], v[12:13]
	v_add_f64_e32 v[14:15], v[136:137], v[154:155]
	v_fmac_f64_e32 v[148:149], v[6:7], v[100:101]
	v_fma_f64 v[100:101], v[4:5], v[100:101], -v[102:103]
	v_fmac_f64_e32 v[98:99], v[10:11], v[104:105]
	v_fma_f64 v[8:9], v[8:9], v[104:105], -v[106:107]
	v_add_f64_e32 v[96:97], v[12:13], v[96:97]
	v_add_f64_e32 v[102:103], v[14:15], v[138:139]
	ds_load_b128 v[4:7], v2 offset:1136
	ds_load_b128 v[12:15], v2 offset:1152
	s_wait_loadcnt_dscnt 0x601
	v_mul_f64_e32 v[136:137], v[4:5], v[110:111]
	v_mul_f64_e32 v[110:111], v[6:7], v[110:111]
	v_add_f64_e32 v[10:11], v[96:97], v[100:101]
	v_add_f64_e32 v[96:97], v[102:103], v[148:149]
	s_wait_loadcnt_dscnt 0x500
	v_mul_f64_e32 v[100:101], v[12:13], v[114:115]
	v_mul_f64_e32 v[102:103], v[14:15], v[114:115]
	v_fmac_f64_e32 v[136:137], v[6:7], v[108:109]
	v_fma_f64 v[104:105], v[4:5], v[108:109], -v[110:111]
	v_add_f64_e32 v[106:107], v[10:11], v[8:9]
	v_add_f64_e32 v[96:97], v[96:97], v[98:99]
	ds_load_b128 v[4:7], v2 offset:1168
	ds_load_b128 v[8:11], v2 offset:1184
	v_fmac_f64_e32 v[100:101], v[14:15], v[112:113]
	v_fma_f64 v[12:13], v[12:13], v[112:113], -v[102:103]
	s_wait_loadcnt_dscnt 0x401
	v_mul_f64_e32 v[98:99], v[4:5], v[118:119]
	v_mul_f64_e32 v[108:109], v[6:7], v[118:119]
	s_wait_loadcnt_dscnt 0x300
	v_mul_f64_e32 v[102:103], v[8:9], v[122:123]
	v_add_f64_e32 v[14:15], v[106:107], v[104:105]
	v_add_f64_e32 v[96:97], v[96:97], v[136:137]
	v_mul_f64_e32 v[104:105], v[10:11], v[122:123]
	v_fmac_f64_e32 v[98:99], v[6:7], v[116:117]
	v_fma_f64 v[106:107], v[4:5], v[116:117], -v[108:109]
	v_fmac_f64_e32 v[102:103], v[10:11], v[120:121]
	v_add_f64_e32 v[108:109], v[14:15], v[12:13]
	v_add_f64_e32 v[96:97], v[96:97], v[100:101]
	ds_load_b128 v[4:7], v2 offset:1200
	ds_load_b128 v[12:15], v2 offset:1216
	v_fma_f64 v[8:9], v[8:9], v[120:121], -v[104:105]
	s_wait_loadcnt_dscnt 0x201
	v_mul_f64_e32 v[100:101], v[4:5], v[130:131]
	v_mul_f64_e32 v[110:111], v[6:7], v[130:131]
	s_wait_loadcnt_dscnt 0x100
	v_mul_f64_e32 v[104:105], v[14:15], v[142:143]
	v_add_f64_e32 v[10:11], v[108:109], v[106:107]
	v_add_f64_e32 v[96:97], v[96:97], v[98:99]
	v_mul_f64_e32 v[98:99], v[12:13], v[142:143]
	v_fmac_f64_e32 v[100:101], v[6:7], v[128:129]
	v_fma_f64 v[106:107], v[4:5], v[128:129], -v[110:111]
	ds_load_b128 v[4:7], v2 offset:1232
	v_fma_f64 v[12:13], v[12:13], v[140:141], -v[104:105]
	v_add_f64_e32 v[8:9], v[10:11], v[8:9]
	v_add_f64_e32 v[10:11], v[96:97], v[102:103]
	v_fmac_f64_e32 v[98:99], v[14:15], v[140:141]
	s_wait_loadcnt_dscnt 0x0
	v_mul_f64_e32 v[96:97], v[4:5], v[126:127]
	v_mul_f64_e32 v[102:103], v[6:7], v[126:127]
	v_add_f64_e32 v[8:9], v[8:9], v[106:107]
	v_add_f64_e32 v[10:11], v[10:11], v[100:101]
	s_delay_alu instid0(VALU_DEP_4) | instskip(NEXT) | instid1(VALU_DEP_4)
	v_fmac_f64_e32 v[96:97], v[6:7], v[124:125]
	v_fma_f64 v[4:5], v[4:5], v[124:125], -v[102:103]
	s_delay_alu instid0(VALU_DEP_4) | instskip(NEXT) | instid1(VALU_DEP_4)
	v_add_f64_e32 v[6:7], v[8:9], v[12:13]
	v_add_f64_e32 v[8:9], v[10:11], v[98:99]
	s_delay_alu instid0(VALU_DEP_2) | instskip(NEXT) | instid1(VALU_DEP_2)
	v_add_f64_e32 v[4:5], v[6:7], v[4:5]
	v_add_f64_e32 v[6:7], v[8:9], v[96:97]
	s_delay_alu instid0(VALU_DEP_2) | instskip(NEXT) | instid1(VALU_DEP_2)
	v_add_f64_e64 v[4:5], v[132:133], -v[4:5]
	v_add_f64_e64 v[6:7], v[134:135], -v[6:7]
	scratch_store_b128 off, v[4:7], off offset:208
	s_wait_xcnt 0x0
	v_cmpx_lt_u32_e32 12, v1
	s_cbranch_execz .LBB38_223
; %bb.222:
	scratch_load_b128 v[6:9], off, s48
	v_dual_mov_b32 v3, v2 :: v_dual_mov_b32 v4, v2
	v_mov_b32_e32 v5, v2
	scratch_store_b128 off, v[2:5], off offset:192
	s_wait_loadcnt 0x0
	ds_store_b128 v94, v[6:9]
.LBB38_223:
	s_wait_xcnt 0x0
	s_or_b32 exec_lo, exec_lo, s2
	s_wait_storecnt_dscnt 0x0
	s_barrier_signal -1
	s_barrier_wait -1
	s_clause 0x9
	scratch_load_b128 v[4:7], off, off offset:208
	scratch_load_b128 v[8:11], off, off offset:224
	;; [unrolled: 1-line block ×10, first 2 shown]
	ds_load_b128 v[124:127], v2 offset:832
	ds_load_b128 v[132:135], v2 offset:848
	s_clause 0x2
	scratch_load_b128 v[128:131], off, off offset:368
	scratch_load_b128 v[136:139], off, off offset:192
	;; [unrolled: 1-line block ×3, first 2 shown]
	s_mov_b32 s2, exec_lo
	s_wait_loadcnt_dscnt 0xc01
	v_mul_f64_e32 v[144:145], v[126:127], v[6:7]
	v_mul_f64_e32 v[148:149], v[124:125], v[6:7]
	s_wait_loadcnt_dscnt 0xb00
	v_mul_f64_e32 v[150:151], v[132:133], v[10:11]
	v_mul_f64_e32 v[10:11], v[134:135], v[10:11]
	s_delay_alu instid0(VALU_DEP_4) | instskip(NEXT) | instid1(VALU_DEP_4)
	v_fma_f64 v[152:153], v[124:125], v[4:5], -v[144:145]
	v_fmac_f64_e32 v[148:149], v[126:127], v[4:5]
	ds_load_b128 v[4:7], v2 offset:864
	ds_load_b128 v[124:127], v2 offset:880
	scratch_load_b128 v[144:147], off, off offset:400
	v_fmac_f64_e32 v[150:151], v[134:135], v[8:9]
	v_fma_f64 v[132:133], v[132:133], v[8:9], -v[10:11]
	scratch_load_b128 v[8:11], off, off offset:416
	s_wait_loadcnt_dscnt 0xc01
	v_mul_f64_e32 v[154:155], v[4:5], v[14:15]
	v_mul_f64_e32 v[14:15], v[6:7], v[14:15]
	v_add_f64_e32 v[134:135], 0, v[152:153]
	v_add_f64_e32 v[148:149], 0, v[148:149]
	s_wait_loadcnt_dscnt 0xb00
	v_mul_f64_e32 v[152:153], v[124:125], v[98:99]
	v_mul_f64_e32 v[98:99], v[126:127], v[98:99]
	v_fmac_f64_e32 v[154:155], v[6:7], v[12:13]
	v_fma_f64 v[156:157], v[4:5], v[12:13], -v[14:15]
	ds_load_b128 v[4:7], v2 offset:896
	ds_load_b128 v[12:15], v2 offset:912
	v_add_f64_e32 v[158:159], v[134:135], v[132:133]
	v_add_f64_e32 v[148:149], v[148:149], v[150:151]
	scratch_load_b128 v[132:135], off, off offset:432
	v_fmac_f64_e32 v[152:153], v[126:127], v[96:97]
	v_fma_f64 v[124:125], v[124:125], v[96:97], -v[98:99]
	scratch_load_b128 v[96:99], off, off offset:448
	s_wait_loadcnt_dscnt 0xc01
	v_mul_f64_e32 v[150:151], v[4:5], v[102:103]
	v_mul_f64_e32 v[102:103], v[6:7], v[102:103]
	v_add_f64_e32 v[126:127], v[158:159], v[156:157]
	v_add_f64_e32 v[148:149], v[148:149], v[154:155]
	s_wait_loadcnt_dscnt 0xb00
	v_mul_f64_e32 v[154:155], v[12:13], v[106:107]
	v_mul_f64_e32 v[106:107], v[14:15], v[106:107]
	v_fmac_f64_e32 v[150:151], v[6:7], v[100:101]
	v_fma_f64 v[156:157], v[4:5], v[100:101], -v[102:103]
	ds_load_b128 v[4:7], v2 offset:928
	ds_load_b128 v[100:103], v2 offset:944
	v_add_f64_e32 v[158:159], v[126:127], v[124:125]
	v_add_f64_e32 v[148:149], v[148:149], v[152:153]
	scratch_load_b128 v[124:127], off, off offset:464
	s_wait_loadcnt_dscnt 0xb01
	v_mul_f64_e32 v[152:153], v[4:5], v[110:111]
	v_mul_f64_e32 v[110:111], v[6:7], v[110:111]
	v_fmac_f64_e32 v[154:155], v[14:15], v[104:105]
	v_fma_f64 v[104:105], v[12:13], v[104:105], -v[106:107]
	scratch_load_b128 v[12:15], off, off offset:480
	v_add_f64_e32 v[106:107], v[158:159], v[156:157]
	v_add_f64_e32 v[148:149], v[148:149], v[150:151]
	s_wait_loadcnt_dscnt 0xb00
	v_mul_f64_e32 v[150:151], v[100:101], v[114:115]
	v_mul_f64_e32 v[114:115], v[102:103], v[114:115]
	v_fmac_f64_e32 v[152:153], v[6:7], v[108:109]
	v_fma_f64 v[156:157], v[4:5], v[108:109], -v[110:111]
	v_add_f64_e32 v[158:159], v[106:107], v[104:105]
	v_add_f64_e32 v[148:149], v[148:149], v[154:155]
	ds_load_b128 v[4:7], v2 offset:960
	ds_load_b128 v[104:107], v2 offset:976
	scratch_load_b128 v[108:111], off, off offset:496
	v_fmac_f64_e32 v[150:151], v[102:103], v[112:113]
	v_fma_f64 v[112:113], v[100:101], v[112:113], -v[114:115]
	scratch_load_b128 v[100:103], off, off offset:512
	s_wait_loadcnt_dscnt 0xc01
	v_mul_f64_e32 v[154:155], v[4:5], v[118:119]
	v_mul_f64_e32 v[118:119], v[6:7], v[118:119]
	v_add_f64_e32 v[114:115], v[158:159], v[156:157]
	v_add_f64_e32 v[148:149], v[148:149], v[152:153]
	s_wait_loadcnt_dscnt 0xb00
	v_mul_f64_e32 v[152:153], v[104:105], v[122:123]
	v_mul_f64_e32 v[122:123], v[106:107], v[122:123]
	v_fmac_f64_e32 v[154:155], v[6:7], v[116:117]
	v_fma_f64 v[156:157], v[4:5], v[116:117], -v[118:119]
	v_add_f64_e32 v[158:159], v[114:115], v[112:113]
	v_add_f64_e32 v[148:149], v[148:149], v[150:151]
	ds_load_b128 v[4:7], v2 offset:992
	ds_load_b128 v[112:115], v2 offset:1008
	scratch_load_b128 v[116:119], off, off offset:528
	v_fmac_f64_e32 v[152:153], v[106:107], v[120:121]
	v_fma_f64 v[120:121], v[104:105], v[120:121], -v[122:123]
	scratch_load_b128 v[104:107], off, off offset:544
	s_wait_loadcnt_dscnt 0xc01
	v_mul_f64_e32 v[150:151], v[4:5], v[130:131]
	v_mul_f64_e32 v[130:131], v[6:7], v[130:131]
	v_add_f64_e32 v[122:123], v[158:159], v[156:157]
	v_add_f64_e32 v[148:149], v[148:149], v[154:155]
	s_wait_loadcnt_dscnt 0xa00
	v_mul_f64_e32 v[154:155], v[112:113], v[142:143]
	v_mul_f64_e32 v[142:143], v[114:115], v[142:143]
	v_fmac_f64_e32 v[150:151], v[6:7], v[128:129]
	v_fma_f64 v[156:157], v[4:5], v[128:129], -v[130:131]
	v_add_f64_e32 v[158:159], v[122:123], v[120:121]
	v_add_f64_e32 v[148:149], v[148:149], v[152:153]
	ds_load_b128 v[4:7], v2 offset:1024
	ds_load_b128 v[120:123], v2 offset:1040
	scratch_load_b128 v[128:131], off, off offset:560
	v_fmac_f64_e32 v[154:155], v[114:115], v[140:141]
	v_fma_f64 v[140:141], v[112:113], v[140:141], -v[142:143]
	scratch_load_b128 v[112:115], off, off offset:576
	s_wait_loadcnt_dscnt 0xb01
	v_mul_f64_e32 v[152:153], v[4:5], v[146:147]
	v_mul_f64_e32 v[146:147], v[6:7], v[146:147]
	v_add_f64_e32 v[142:143], v[158:159], v[156:157]
	v_add_f64_e32 v[148:149], v[148:149], v[150:151]
	s_wait_loadcnt_dscnt 0xa00
	v_mul_f64_e32 v[150:151], v[120:121], v[10:11]
	v_mul_f64_e32 v[10:11], v[122:123], v[10:11]
	v_fmac_f64_e32 v[152:153], v[6:7], v[144:145]
	v_fma_f64 v[156:157], v[4:5], v[144:145], -v[146:147]
	v_add_f64_e32 v[158:159], v[142:143], v[140:141]
	v_add_f64_e32 v[148:149], v[148:149], v[154:155]
	ds_load_b128 v[4:7], v2 offset:1056
	ds_load_b128 v[140:143], v2 offset:1072
	scratch_load_b128 v[144:147], off, off offset:592
	v_fmac_f64_e32 v[150:151], v[122:123], v[8:9]
	v_fma_f64 v[120:121], v[120:121], v[8:9], -v[10:11]
	scratch_load_b128 v[8:11], off, off offset:608
	s_wait_loadcnt_dscnt 0xb01
	v_mul_f64_e32 v[154:155], v[4:5], v[134:135]
	v_mul_f64_e32 v[134:135], v[6:7], v[134:135]
	v_add_f64_e32 v[122:123], v[158:159], v[156:157]
	v_add_f64_e32 v[148:149], v[148:149], v[152:153]
	s_wait_loadcnt_dscnt 0xa00
	v_mul_f64_e32 v[152:153], v[140:141], v[98:99]
	v_mul_f64_e32 v[98:99], v[142:143], v[98:99]
	v_fmac_f64_e32 v[154:155], v[6:7], v[132:133]
	v_fma_f64 v[132:133], v[4:5], v[132:133], -v[134:135]
	v_add_f64_e32 v[134:135], v[122:123], v[120:121]
	v_add_f64_e32 v[148:149], v[148:149], v[150:151]
	ds_load_b128 v[4:7], v2 offset:1088
	ds_load_b128 v[120:123], v2 offset:1104
	v_fmac_f64_e32 v[152:153], v[142:143], v[96:97]
	v_fma_f64 v[96:97], v[140:141], v[96:97], -v[98:99]
	s_wait_loadcnt_dscnt 0x901
	v_mul_f64_e32 v[150:151], v[4:5], v[126:127]
	v_mul_f64_e32 v[126:127], v[6:7], v[126:127]
	v_add_f64_e32 v[98:99], v[134:135], v[132:133]
	v_add_f64_e32 v[132:133], v[148:149], v[154:155]
	s_wait_loadcnt_dscnt 0x800
	v_mul_f64_e32 v[134:135], v[120:121], v[14:15]
	v_mul_f64_e32 v[14:15], v[122:123], v[14:15]
	v_fmac_f64_e32 v[150:151], v[6:7], v[124:125]
	v_fma_f64 v[124:125], v[4:5], v[124:125], -v[126:127]
	v_add_f64_e32 v[126:127], v[98:99], v[96:97]
	v_add_f64_e32 v[132:133], v[132:133], v[152:153]
	ds_load_b128 v[4:7], v2 offset:1120
	ds_load_b128 v[96:99], v2 offset:1136
	v_fmac_f64_e32 v[134:135], v[122:123], v[12:13]
	v_fma_f64 v[12:13], v[120:121], v[12:13], -v[14:15]
	s_wait_loadcnt_dscnt 0x701
	v_mul_f64_e32 v[140:141], v[4:5], v[110:111]
	v_mul_f64_e32 v[110:111], v[6:7], v[110:111]
	s_wait_loadcnt_dscnt 0x600
	v_mul_f64_e32 v[122:123], v[96:97], v[102:103]
	v_mul_f64_e32 v[102:103], v[98:99], v[102:103]
	v_add_f64_e32 v[14:15], v[126:127], v[124:125]
	v_add_f64_e32 v[120:121], v[132:133], v[150:151]
	v_fmac_f64_e32 v[140:141], v[6:7], v[108:109]
	v_fma_f64 v[108:109], v[4:5], v[108:109], -v[110:111]
	v_fmac_f64_e32 v[122:123], v[98:99], v[100:101]
	v_fma_f64 v[96:97], v[96:97], v[100:101], -v[102:103]
	v_add_f64_e32 v[110:111], v[14:15], v[12:13]
	v_add_f64_e32 v[120:121], v[120:121], v[134:135]
	ds_load_b128 v[4:7], v2 offset:1152
	ds_load_b128 v[12:15], v2 offset:1168
	s_wait_loadcnt_dscnt 0x501
	v_mul_f64_e32 v[124:125], v[4:5], v[118:119]
	v_mul_f64_e32 v[118:119], v[6:7], v[118:119]
	s_wait_loadcnt_dscnt 0x400
	v_mul_f64_e32 v[102:103], v[12:13], v[106:107]
	v_mul_f64_e32 v[106:107], v[14:15], v[106:107]
	v_add_f64_e32 v[98:99], v[110:111], v[108:109]
	v_add_f64_e32 v[100:101], v[120:121], v[140:141]
	v_fmac_f64_e32 v[124:125], v[6:7], v[116:117]
	v_fma_f64 v[108:109], v[4:5], v[116:117], -v[118:119]
	v_fmac_f64_e32 v[102:103], v[14:15], v[104:105]
	v_fma_f64 v[12:13], v[12:13], v[104:105], -v[106:107]
	v_add_f64_e32 v[110:111], v[98:99], v[96:97]
	v_add_f64_e32 v[100:101], v[100:101], v[122:123]
	ds_load_b128 v[4:7], v2 offset:1184
	ds_load_b128 v[96:99], v2 offset:1200
	;; [unrolled: 16-line block ×3, first 2 shown]
	s_wait_loadcnt_dscnt 0x101
	v_mul_f64_e32 v[2:3], v[4:5], v[146:147]
	v_mul_f64_e32 v[102:103], v[6:7], v[146:147]
	s_wait_loadcnt_dscnt 0x0
	v_mul_f64_e32 v[106:107], v[12:13], v[10:11]
	v_mul_f64_e32 v[10:11], v[14:15], v[10:11]
	v_add_f64_e32 v[98:99], v[110:111], v[108:109]
	v_add_f64_e32 v[100:101], v[100:101], v[116:117]
	v_fmac_f64_e32 v[2:3], v[6:7], v[144:145]
	v_fma_f64 v[4:5], v[4:5], v[144:145], -v[102:103]
	v_fmac_f64_e32 v[106:107], v[14:15], v[8:9]
	v_fma_f64 v[8:9], v[12:13], v[8:9], -v[10:11]
	v_add_f64_e32 v[6:7], v[98:99], v[96:97]
	v_add_f64_e32 v[96:97], v[100:101], v[104:105]
	s_delay_alu instid0(VALU_DEP_2) | instskip(NEXT) | instid1(VALU_DEP_2)
	v_add_f64_e32 v[4:5], v[6:7], v[4:5]
	v_add_f64_e32 v[2:3], v[96:97], v[2:3]
	s_delay_alu instid0(VALU_DEP_2) | instskip(NEXT) | instid1(VALU_DEP_2)
	;; [unrolled: 3-line block ×3, first 2 shown]
	v_add_f64_e64 v[2:3], v[136:137], -v[4:5]
	v_add_f64_e64 v[4:5], v[138:139], -v[6:7]
	scratch_store_b128 off, v[2:5], off offset:192
	s_wait_xcnt 0x0
	v_cmpx_lt_u32_e32 11, v1
	s_cbranch_execz .LBB38_225
; %bb.224:
	scratch_load_b128 v[2:5], off, s46
	v_mov_b32_e32 v6, 0
	s_delay_alu instid0(VALU_DEP_1)
	v_dual_mov_b32 v7, v6 :: v_dual_mov_b32 v8, v6
	v_mov_b32_e32 v9, v6
	scratch_store_b128 off, v[6:9], off offset:176
	s_wait_loadcnt 0x0
	ds_store_b128 v94, v[2:5]
.LBB38_225:
	s_wait_xcnt 0x0
	s_or_b32 exec_lo, exec_lo, s2
	s_wait_storecnt_dscnt 0x0
	s_barrier_signal -1
	s_barrier_wait -1
	s_clause 0x9
	scratch_load_b128 v[4:7], off, off offset:192
	scratch_load_b128 v[8:11], off, off offset:208
	;; [unrolled: 1-line block ×10, first 2 shown]
	v_mov_b32_e32 v2, 0
	s_mov_b32 s2, exec_lo
	ds_load_b128 v[124:127], v2 offset:816
	s_clause 0x2
	scratch_load_b128 v[128:131], off, off offset:352
	scratch_load_b128 v[132:135], off, off offset:176
	;; [unrolled: 1-line block ×3, first 2 shown]
	s_wait_loadcnt_dscnt 0xc00
	v_mul_f64_e32 v[144:145], v[126:127], v[6:7]
	v_mul_f64_e32 v[148:149], v[124:125], v[6:7]
	ds_load_b128 v[136:139], v2 offset:832
	v_fma_f64 v[152:153], v[124:125], v[4:5], -v[144:145]
	v_fmac_f64_e32 v[148:149], v[126:127], v[4:5]
	ds_load_b128 v[4:7], v2 offset:848
	s_wait_loadcnt_dscnt 0xb01
	v_mul_f64_e32 v[150:151], v[136:137], v[10:11]
	v_mul_f64_e32 v[10:11], v[138:139], v[10:11]
	scratch_load_b128 v[124:127], off, off offset:384
	ds_load_b128 v[144:147], v2 offset:864
	s_wait_loadcnt_dscnt 0xb01
	v_mul_f64_e32 v[154:155], v[4:5], v[14:15]
	v_mul_f64_e32 v[14:15], v[6:7], v[14:15]
	v_add_f64_e32 v[148:149], 0, v[148:149]
	v_fmac_f64_e32 v[150:151], v[138:139], v[8:9]
	v_fma_f64 v[136:137], v[136:137], v[8:9], -v[10:11]
	v_add_f64_e32 v[138:139], 0, v[152:153]
	scratch_load_b128 v[8:11], off, off offset:400
	v_fmac_f64_e32 v[154:155], v[6:7], v[12:13]
	v_fma_f64 v[156:157], v[4:5], v[12:13], -v[14:15]
	ds_load_b128 v[4:7], v2 offset:880
	s_wait_loadcnt_dscnt 0xb01
	v_mul_f64_e32 v[152:153], v[144:145], v[98:99]
	v_mul_f64_e32 v[98:99], v[146:147], v[98:99]
	scratch_load_b128 v[12:15], off, off offset:416
	v_add_f64_e32 v[148:149], v[148:149], v[150:151]
	v_add_f64_e32 v[158:159], v[138:139], v[136:137]
	ds_load_b128 v[136:139], v2 offset:896
	s_wait_loadcnt_dscnt 0xb01
	v_mul_f64_e32 v[150:151], v[4:5], v[102:103]
	v_mul_f64_e32 v[102:103], v[6:7], v[102:103]
	v_fmac_f64_e32 v[152:153], v[146:147], v[96:97]
	v_fma_f64 v[144:145], v[144:145], v[96:97], -v[98:99]
	scratch_load_b128 v[96:99], off, off offset:432
	v_add_f64_e32 v[148:149], v[148:149], v[154:155]
	v_add_f64_e32 v[146:147], v[158:159], v[156:157]
	v_fmac_f64_e32 v[150:151], v[6:7], v[100:101]
	v_fma_f64 v[156:157], v[4:5], v[100:101], -v[102:103]
	ds_load_b128 v[4:7], v2 offset:912
	s_wait_loadcnt_dscnt 0xb01
	v_mul_f64_e32 v[154:155], v[136:137], v[106:107]
	v_mul_f64_e32 v[106:107], v[138:139], v[106:107]
	scratch_load_b128 v[100:103], off, off offset:448
	v_add_f64_e32 v[148:149], v[148:149], v[152:153]
	s_wait_loadcnt_dscnt 0xb00
	v_mul_f64_e32 v[152:153], v[4:5], v[110:111]
	v_add_f64_e32 v[158:159], v[146:147], v[144:145]
	v_mul_f64_e32 v[110:111], v[6:7], v[110:111]
	ds_load_b128 v[144:147], v2 offset:928
	v_fmac_f64_e32 v[154:155], v[138:139], v[104:105]
	v_fma_f64 v[136:137], v[136:137], v[104:105], -v[106:107]
	scratch_load_b128 v[104:107], off, off offset:464
	v_add_f64_e32 v[148:149], v[148:149], v[150:151]
	v_fmac_f64_e32 v[152:153], v[6:7], v[108:109]
	v_add_f64_e32 v[138:139], v[158:159], v[156:157]
	v_fma_f64 v[156:157], v[4:5], v[108:109], -v[110:111]
	ds_load_b128 v[4:7], v2 offset:944
	s_wait_loadcnt_dscnt 0xb01
	v_mul_f64_e32 v[150:151], v[144:145], v[114:115]
	v_mul_f64_e32 v[114:115], v[146:147], v[114:115]
	scratch_load_b128 v[108:111], off, off offset:480
	v_add_f64_e32 v[148:149], v[148:149], v[154:155]
	s_wait_loadcnt_dscnt 0xb00
	v_mul_f64_e32 v[154:155], v[4:5], v[118:119]
	v_add_f64_e32 v[158:159], v[138:139], v[136:137]
	v_mul_f64_e32 v[118:119], v[6:7], v[118:119]
	ds_load_b128 v[136:139], v2 offset:960
	v_fmac_f64_e32 v[150:151], v[146:147], v[112:113]
	v_fma_f64 v[144:145], v[144:145], v[112:113], -v[114:115]
	scratch_load_b128 v[112:115], off, off offset:496
	v_add_f64_e32 v[148:149], v[148:149], v[152:153]
	v_fmac_f64_e32 v[154:155], v[6:7], v[116:117]
	v_add_f64_e32 v[146:147], v[158:159], v[156:157]
	;; [unrolled: 18-line block ×3, first 2 shown]
	v_fma_f64 v[156:157], v[4:5], v[128:129], -v[130:131]
	ds_load_b128 v[4:7], v2 offset:1008
	s_wait_loadcnt_dscnt 0xa01
	v_mul_f64_e32 v[154:155], v[144:145], v[142:143]
	v_mul_f64_e32 v[142:143], v[146:147], v[142:143]
	scratch_load_b128 v[128:131], off, off offset:544
	v_add_f64_e32 v[148:149], v[148:149], v[152:153]
	v_add_f64_e32 v[158:159], v[138:139], v[136:137]
	s_wait_loadcnt_dscnt 0xa00
	v_mul_f64_e32 v[152:153], v[4:5], v[126:127]
	v_mul_f64_e32 v[126:127], v[6:7], v[126:127]
	v_fmac_f64_e32 v[154:155], v[146:147], v[140:141]
	v_fma_f64 v[144:145], v[144:145], v[140:141], -v[142:143]
	ds_load_b128 v[136:139], v2 offset:1024
	scratch_load_b128 v[140:143], off, off offset:560
	v_add_f64_e32 v[148:149], v[148:149], v[150:151]
	v_add_f64_e32 v[146:147], v[158:159], v[156:157]
	v_fmac_f64_e32 v[152:153], v[6:7], v[124:125]
	v_fma_f64 v[156:157], v[4:5], v[124:125], -v[126:127]
	ds_load_b128 v[4:7], v2 offset:1040
	s_wait_loadcnt_dscnt 0xa01
	v_mul_f64_e32 v[150:151], v[136:137], v[10:11]
	v_mul_f64_e32 v[10:11], v[138:139], v[10:11]
	scratch_load_b128 v[124:127], off, off offset:576
	v_add_f64_e32 v[148:149], v[148:149], v[154:155]
	s_wait_loadcnt_dscnt 0xa00
	v_mul_f64_e32 v[154:155], v[4:5], v[14:15]
	v_add_f64_e32 v[158:159], v[146:147], v[144:145]
	v_mul_f64_e32 v[14:15], v[6:7], v[14:15]
	ds_load_b128 v[144:147], v2 offset:1056
	v_fmac_f64_e32 v[150:151], v[138:139], v[8:9]
	v_fma_f64 v[136:137], v[136:137], v[8:9], -v[10:11]
	scratch_load_b128 v[8:11], off, off offset:592
	v_add_f64_e32 v[148:149], v[148:149], v[152:153]
	v_fmac_f64_e32 v[154:155], v[6:7], v[12:13]
	v_add_f64_e32 v[138:139], v[158:159], v[156:157]
	v_fma_f64 v[156:157], v[4:5], v[12:13], -v[14:15]
	ds_load_b128 v[4:7], v2 offset:1072
	s_wait_loadcnt_dscnt 0xa01
	v_mul_f64_e32 v[152:153], v[144:145], v[98:99]
	v_mul_f64_e32 v[98:99], v[146:147], v[98:99]
	scratch_load_b128 v[12:15], off, off offset:608
	v_add_f64_e32 v[148:149], v[148:149], v[150:151]
	s_wait_loadcnt_dscnt 0xa00
	v_mul_f64_e32 v[150:151], v[4:5], v[102:103]
	v_add_f64_e32 v[158:159], v[138:139], v[136:137]
	v_mul_f64_e32 v[102:103], v[6:7], v[102:103]
	ds_load_b128 v[136:139], v2 offset:1088
	v_fmac_f64_e32 v[152:153], v[146:147], v[96:97]
	v_fma_f64 v[96:97], v[144:145], v[96:97], -v[98:99]
	s_wait_loadcnt_dscnt 0x900
	v_mul_f64_e32 v[146:147], v[136:137], v[106:107]
	v_mul_f64_e32 v[106:107], v[138:139], v[106:107]
	v_add_f64_e32 v[144:145], v[148:149], v[154:155]
	v_fmac_f64_e32 v[150:151], v[6:7], v[100:101]
	v_add_f64_e32 v[98:99], v[158:159], v[156:157]
	v_fma_f64 v[100:101], v[4:5], v[100:101], -v[102:103]
	v_fmac_f64_e32 v[146:147], v[138:139], v[104:105]
	v_fma_f64 v[104:105], v[136:137], v[104:105], -v[106:107]
	v_add_f64_e32 v[144:145], v[144:145], v[152:153]
	v_add_f64_e32 v[102:103], v[98:99], v[96:97]
	ds_load_b128 v[4:7], v2 offset:1104
	ds_load_b128 v[96:99], v2 offset:1120
	s_wait_loadcnt_dscnt 0x801
	v_mul_f64_e32 v[148:149], v[4:5], v[110:111]
	v_mul_f64_e32 v[110:111], v[6:7], v[110:111]
	s_wait_loadcnt_dscnt 0x700
	v_mul_f64_e32 v[106:107], v[96:97], v[114:115]
	v_mul_f64_e32 v[114:115], v[98:99], v[114:115]
	v_add_f64_e32 v[100:101], v[102:103], v[100:101]
	v_add_f64_e32 v[102:103], v[144:145], v[150:151]
	v_fmac_f64_e32 v[148:149], v[6:7], v[108:109]
	v_fma_f64 v[108:109], v[4:5], v[108:109], -v[110:111]
	v_fmac_f64_e32 v[106:107], v[98:99], v[112:113]
	v_fma_f64 v[96:97], v[96:97], v[112:113], -v[114:115]
	v_add_f64_e32 v[104:105], v[100:101], v[104:105]
	v_add_f64_e32 v[110:111], v[102:103], v[146:147]
	ds_load_b128 v[4:7], v2 offset:1136
	ds_load_b128 v[100:103], v2 offset:1152
	s_wait_loadcnt_dscnt 0x601
	v_mul_f64_e32 v[136:137], v[4:5], v[118:119]
	v_mul_f64_e32 v[118:119], v[6:7], v[118:119]
	v_add_f64_e32 v[98:99], v[104:105], v[108:109]
	v_add_f64_e32 v[104:105], v[110:111], v[148:149]
	s_wait_loadcnt_dscnt 0x500
	v_mul_f64_e32 v[108:109], v[100:101], v[122:123]
	v_mul_f64_e32 v[110:111], v[102:103], v[122:123]
	v_fmac_f64_e32 v[136:137], v[6:7], v[116:117]
	v_fma_f64 v[112:113], v[4:5], v[116:117], -v[118:119]
	v_add_f64_e32 v[114:115], v[98:99], v[96:97]
	v_add_f64_e32 v[104:105], v[104:105], v[106:107]
	ds_load_b128 v[4:7], v2 offset:1168
	ds_load_b128 v[96:99], v2 offset:1184
	v_fmac_f64_e32 v[108:109], v[102:103], v[120:121]
	v_fma_f64 v[100:101], v[100:101], v[120:121], -v[110:111]
	s_wait_loadcnt_dscnt 0x401
	v_mul_f64_e32 v[106:107], v[4:5], v[130:131]
	v_mul_f64_e32 v[116:117], v[6:7], v[130:131]
	s_wait_loadcnt_dscnt 0x300
	v_mul_f64_e32 v[110:111], v[96:97], v[142:143]
	v_add_f64_e32 v[102:103], v[114:115], v[112:113]
	v_add_f64_e32 v[104:105], v[104:105], v[136:137]
	v_mul_f64_e32 v[112:113], v[98:99], v[142:143]
	v_fmac_f64_e32 v[106:107], v[6:7], v[128:129]
	v_fma_f64 v[114:115], v[4:5], v[128:129], -v[116:117]
	v_fmac_f64_e32 v[110:111], v[98:99], v[140:141]
	v_add_f64_e32 v[116:117], v[102:103], v[100:101]
	v_add_f64_e32 v[104:105], v[104:105], v[108:109]
	ds_load_b128 v[4:7], v2 offset:1200
	ds_load_b128 v[100:103], v2 offset:1216
	v_fma_f64 v[96:97], v[96:97], v[140:141], -v[112:113]
	s_wait_loadcnt_dscnt 0x201
	v_mul_f64_e32 v[108:109], v[4:5], v[126:127]
	v_mul_f64_e32 v[118:119], v[6:7], v[126:127]
	v_add_f64_e32 v[98:99], v[116:117], v[114:115]
	v_add_f64_e32 v[104:105], v[104:105], v[106:107]
	s_wait_loadcnt_dscnt 0x100
	v_mul_f64_e32 v[106:107], v[100:101], v[10:11]
	v_mul_f64_e32 v[10:11], v[102:103], v[10:11]
	v_fmac_f64_e32 v[108:109], v[6:7], v[124:125]
	v_fma_f64 v[112:113], v[4:5], v[124:125], -v[118:119]
	ds_load_b128 v[4:7], v2 offset:1232
	v_add_f64_e32 v[96:97], v[98:99], v[96:97]
	v_add_f64_e32 v[98:99], v[104:105], v[110:111]
	v_fmac_f64_e32 v[106:107], v[102:103], v[8:9]
	v_fma_f64 v[8:9], v[100:101], v[8:9], -v[10:11]
	s_wait_loadcnt_dscnt 0x0
	v_mul_f64_e32 v[104:105], v[4:5], v[14:15]
	v_mul_f64_e32 v[14:15], v[6:7], v[14:15]
	v_add_f64_e32 v[10:11], v[96:97], v[112:113]
	v_add_f64_e32 v[96:97], v[98:99], v[108:109]
	s_delay_alu instid0(VALU_DEP_4) | instskip(NEXT) | instid1(VALU_DEP_4)
	v_fmac_f64_e32 v[104:105], v[6:7], v[12:13]
	v_fma_f64 v[4:5], v[4:5], v[12:13], -v[14:15]
	s_delay_alu instid0(VALU_DEP_4) | instskip(NEXT) | instid1(VALU_DEP_4)
	v_add_f64_e32 v[6:7], v[10:11], v[8:9]
	v_add_f64_e32 v[8:9], v[96:97], v[106:107]
	s_delay_alu instid0(VALU_DEP_2) | instskip(NEXT) | instid1(VALU_DEP_2)
	v_add_f64_e32 v[4:5], v[6:7], v[4:5]
	v_add_f64_e32 v[6:7], v[8:9], v[104:105]
	s_delay_alu instid0(VALU_DEP_2) | instskip(NEXT) | instid1(VALU_DEP_2)
	v_add_f64_e64 v[4:5], v[132:133], -v[4:5]
	v_add_f64_e64 v[6:7], v[134:135], -v[6:7]
	scratch_store_b128 off, v[4:7], off offset:176
	s_wait_xcnt 0x0
	v_cmpx_lt_u32_e32 10, v1
	s_cbranch_execz .LBB38_227
; %bb.226:
	scratch_load_b128 v[6:9], off, s43
	v_dual_mov_b32 v3, v2 :: v_dual_mov_b32 v4, v2
	v_mov_b32_e32 v5, v2
	scratch_store_b128 off, v[2:5], off offset:160
	s_wait_loadcnt 0x0
	ds_store_b128 v94, v[6:9]
.LBB38_227:
	s_wait_xcnt 0x0
	s_or_b32 exec_lo, exec_lo, s2
	s_wait_storecnt_dscnt 0x0
	s_barrier_signal -1
	s_barrier_wait -1
	s_clause 0x9
	scratch_load_b128 v[4:7], off, off offset:176
	scratch_load_b128 v[8:11], off, off offset:192
	;; [unrolled: 1-line block ×10, first 2 shown]
	ds_load_b128 v[124:127], v2 offset:800
	ds_load_b128 v[132:135], v2 offset:816
	s_clause 0x2
	scratch_load_b128 v[128:131], off, off offset:336
	scratch_load_b128 v[136:139], off, off offset:160
	;; [unrolled: 1-line block ×3, first 2 shown]
	s_mov_b32 s2, exec_lo
	s_wait_loadcnt_dscnt 0xc01
	v_mul_f64_e32 v[144:145], v[126:127], v[6:7]
	v_mul_f64_e32 v[148:149], v[124:125], v[6:7]
	s_wait_loadcnt_dscnt 0xb00
	v_mul_f64_e32 v[150:151], v[132:133], v[10:11]
	v_mul_f64_e32 v[10:11], v[134:135], v[10:11]
	s_delay_alu instid0(VALU_DEP_4) | instskip(NEXT) | instid1(VALU_DEP_4)
	v_fma_f64 v[152:153], v[124:125], v[4:5], -v[144:145]
	v_fmac_f64_e32 v[148:149], v[126:127], v[4:5]
	ds_load_b128 v[4:7], v2 offset:832
	ds_load_b128 v[124:127], v2 offset:848
	scratch_load_b128 v[144:147], off, off offset:368
	v_fmac_f64_e32 v[150:151], v[134:135], v[8:9]
	v_fma_f64 v[132:133], v[132:133], v[8:9], -v[10:11]
	scratch_load_b128 v[8:11], off, off offset:384
	s_wait_loadcnt_dscnt 0xc01
	v_mul_f64_e32 v[154:155], v[4:5], v[14:15]
	v_mul_f64_e32 v[14:15], v[6:7], v[14:15]
	v_add_f64_e32 v[134:135], 0, v[152:153]
	v_add_f64_e32 v[148:149], 0, v[148:149]
	s_wait_loadcnt_dscnt 0xb00
	v_mul_f64_e32 v[152:153], v[124:125], v[98:99]
	v_mul_f64_e32 v[98:99], v[126:127], v[98:99]
	v_fmac_f64_e32 v[154:155], v[6:7], v[12:13]
	v_fma_f64 v[156:157], v[4:5], v[12:13], -v[14:15]
	ds_load_b128 v[4:7], v2 offset:864
	ds_load_b128 v[12:15], v2 offset:880
	v_add_f64_e32 v[158:159], v[134:135], v[132:133]
	v_add_f64_e32 v[148:149], v[148:149], v[150:151]
	scratch_load_b128 v[132:135], off, off offset:400
	v_fmac_f64_e32 v[152:153], v[126:127], v[96:97]
	v_fma_f64 v[124:125], v[124:125], v[96:97], -v[98:99]
	scratch_load_b128 v[96:99], off, off offset:416
	s_wait_loadcnt_dscnt 0xc01
	v_mul_f64_e32 v[150:151], v[4:5], v[102:103]
	v_mul_f64_e32 v[102:103], v[6:7], v[102:103]
	v_add_f64_e32 v[126:127], v[158:159], v[156:157]
	v_add_f64_e32 v[148:149], v[148:149], v[154:155]
	s_wait_loadcnt_dscnt 0xb00
	v_mul_f64_e32 v[154:155], v[12:13], v[106:107]
	v_mul_f64_e32 v[106:107], v[14:15], v[106:107]
	v_fmac_f64_e32 v[150:151], v[6:7], v[100:101]
	v_fma_f64 v[156:157], v[4:5], v[100:101], -v[102:103]
	ds_load_b128 v[4:7], v2 offset:896
	ds_load_b128 v[100:103], v2 offset:912
	v_add_f64_e32 v[158:159], v[126:127], v[124:125]
	v_add_f64_e32 v[148:149], v[148:149], v[152:153]
	scratch_load_b128 v[124:127], off, off offset:432
	s_wait_loadcnt_dscnt 0xb01
	v_mul_f64_e32 v[152:153], v[4:5], v[110:111]
	v_mul_f64_e32 v[110:111], v[6:7], v[110:111]
	v_fmac_f64_e32 v[154:155], v[14:15], v[104:105]
	v_fma_f64 v[104:105], v[12:13], v[104:105], -v[106:107]
	scratch_load_b128 v[12:15], off, off offset:448
	v_add_f64_e32 v[106:107], v[158:159], v[156:157]
	v_add_f64_e32 v[148:149], v[148:149], v[150:151]
	s_wait_loadcnt_dscnt 0xb00
	v_mul_f64_e32 v[150:151], v[100:101], v[114:115]
	v_mul_f64_e32 v[114:115], v[102:103], v[114:115]
	v_fmac_f64_e32 v[152:153], v[6:7], v[108:109]
	v_fma_f64 v[156:157], v[4:5], v[108:109], -v[110:111]
	v_add_f64_e32 v[158:159], v[106:107], v[104:105]
	v_add_f64_e32 v[148:149], v[148:149], v[154:155]
	ds_load_b128 v[4:7], v2 offset:928
	ds_load_b128 v[104:107], v2 offset:944
	scratch_load_b128 v[108:111], off, off offset:464
	v_fmac_f64_e32 v[150:151], v[102:103], v[112:113]
	v_fma_f64 v[112:113], v[100:101], v[112:113], -v[114:115]
	scratch_load_b128 v[100:103], off, off offset:480
	s_wait_loadcnt_dscnt 0xc01
	v_mul_f64_e32 v[154:155], v[4:5], v[118:119]
	v_mul_f64_e32 v[118:119], v[6:7], v[118:119]
	v_add_f64_e32 v[114:115], v[158:159], v[156:157]
	v_add_f64_e32 v[148:149], v[148:149], v[152:153]
	s_wait_loadcnt_dscnt 0xb00
	v_mul_f64_e32 v[152:153], v[104:105], v[122:123]
	v_mul_f64_e32 v[122:123], v[106:107], v[122:123]
	v_fmac_f64_e32 v[154:155], v[6:7], v[116:117]
	v_fma_f64 v[156:157], v[4:5], v[116:117], -v[118:119]
	v_add_f64_e32 v[158:159], v[114:115], v[112:113]
	v_add_f64_e32 v[148:149], v[148:149], v[150:151]
	ds_load_b128 v[4:7], v2 offset:960
	ds_load_b128 v[112:115], v2 offset:976
	scratch_load_b128 v[116:119], off, off offset:496
	v_fmac_f64_e32 v[152:153], v[106:107], v[120:121]
	v_fma_f64 v[120:121], v[104:105], v[120:121], -v[122:123]
	scratch_load_b128 v[104:107], off, off offset:512
	s_wait_loadcnt_dscnt 0xc01
	v_mul_f64_e32 v[150:151], v[4:5], v[130:131]
	v_mul_f64_e32 v[130:131], v[6:7], v[130:131]
	;; [unrolled: 18-line block ×5, first 2 shown]
	v_add_f64_e32 v[142:143], v[158:159], v[156:157]
	v_add_f64_e32 v[148:149], v[148:149], v[154:155]
	s_wait_loadcnt_dscnt 0xa00
	v_mul_f64_e32 v[154:155], v[120:121], v[14:15]
	v_mul_f64_e32 v[14:15], v[122:123], v[14:15]
	v_fmac_f64_e32 v[150:151], v[6:7], v[124:125]
	v_fma_f64 v[156:157], v[4:5], v[124:125], -v[126:127]
	ds_load_b128 v[4:7], v2 offset:1088
	ds_load_b128 v[124:127], v2 offset:1104
	v_add_f64_e32 v[140:141], v[142:143], v[140:141]
	v_add_f64_e32 v[142:143], v[148:149], v[152:153]
	v_fmac_f64_e32 v[154:155], v[122:123], v[12:13]
	v_fma_f64 v[12:13], v[120:121], v[12:13], -v[14:15]
	s_wait_loadcnt_dscnt 0x901
	v_mul_f64_e32 v[148:149], v[4:5], v[110:111]
	v_mul_f64_e32 v[110:111], v[6:7], v[110:111]
	s_wait_loadcnt_dscnt 0x800
	v_mul_f64_e32 v[122:123], v[124:125], v[102:103]
	v_mul_f64_e32 v[102:103], v[126:127], v[102:103]
	v_add_f64_e32 v[14:15], v[140:141], v[156:157]
	v_add_f64_e32 v[120:121], v[142:143], v[150:151]
	v_fmac_f64_e32 v[148:149], v[6:7], v[108:109]
	v_fma_f64 v[108:109], v[4:5], v[108:109], -v[110:111]
	v_fmac_f64_e32 v[122:123], v[126:127], v[100:101]
	v_fma_f64 v[100:101], v[124:125], v[100:101], -v[102:103]
	v_add_f64_e32 v[110:111], v[14:15], v[12:13]
	v_add_f64_e32 v[120:121], v[120:121], v[154:155]
	ds_load_b128 v[4:7], v2 offset:1120
	ds_load_b128 v[12:15], v2 offset:1136
	s_wait_loadcnt_dscnt 0x701
	v_mul_f64_e32 v[140:141], v[4:5], v[118:119]
	v_mul_f64_e32 v[118:119], v[6:7], v[118:119]
	v_add_f64_e32 v[102:103], v[110:111], v[108:109]
	v_add_f64_e32 v[108:109], v[120:121], v[148:149]
	s_wait_loadcnt_dscnt 0x600
	v_mul_f64_e32 v[110:111], v[12:13], v[106:107]
	v_mul_f64_e32 v[106:107], v[14:15], v[106:107]
	v_fmac_f64_e32 v[140:141], v[6:7], v[116:117]
	v_fma_f64 v[116:117], v[4:5], v[116:117], -v[118:119]
	v_add_f64_e32 v[118:119], v[102:103], v[100:101]
	v_add_f64_e32 v[108:109], v[108:109], v[122:123]
	ds_load_b128 v[4:7], v2 offset:1152
	ds_load_b128 v[100:103], v2 offset:1168
	v_fmac_f64_e32 v[110:111], v[14:15], v[104:105]
	v_fma_f64 v[12:13], v[12:13], v[104:105], -v[106:107]
	s_wait_loadcnt_dscnt 0x501
	v_mul_f64_e32 v[120:121], v[4:5], v[130:131]
	v_mul_f64_e32 v[122:123], v[6:7], v[130:131]
	s_wait_loadcnt_dscnt 0x400
	v_mul_f64_e32 v[106:107], v[100:101], v[114:115]
	v_add_f64_e32 v[14:15], v[118:119], v[116:117]
	v_add_f64_e32 v[104:105], v[108:109], v[140:141]
	v_mul_f64_e32 v[108:109], v[102:103], v[114:115]
	v_fmac_f64_e32 v[120:121], v[6:7], v[128:129]
	v_fma_f64 v[114:115], v[4:5], v[128:129], -v[122:123]
	v_fmac_f64_e32 v[106:107], v[102:103], v[112:113]
	v_add_f64_e32 v[116:117], v[14:15], v[12:13]
	v_add_f64_e32 v[104:105], v[104:105], v[110:111]
	ds_load_b128 v[4:7], v2 offset:1184
	ds_load_b128 v[12:15], v2 offset:1200
	v_fma_f64 v[100:101], v[100:101], v[112:113], -v[108:109]
	s_wait_loadcnt_dscnt 0x301
	v_mul_f64_e32 v[110:111], v[4:5], v[146:147]
	v_mul_f64_e32 v[118:119], v[6:7], v[146:147]
	s_wait_loadcnt_dscnt 0x200
	v_mul_f64_e32 v[108:109], v[12:13], v[10:11]
	v_mul_f64_e32 v[10:11], v[14:15], v[10:11]
	v_add_f64_e32 v[102:103], v[116:117], v[114:115]
	v_add_f64_e32 v[104:105], v[104:105], v[120:121]
	v_fmac_f64_e32 v[110:111], v[6:7], v[144:145]
	v_fma_f64 v[112:113], v[4:5], v[144:145], -v[118:119]
	v_fmac_f64_e32 v[108:109], v[14:15], v[8:9]
	v_fma_f64 v[8:9], v[12:13], v[8:9], -v[10:11]
	v_add_f64_e32 v[114:115], v[102:103], v[100:101]
	v_add_f64_e32 v[104:105], v[104:105], v[106:107]
	ds_load_b128 v[4:7], v2 offset:1216
	ds_load_b128 v[100:103], v2 offset:1232
	s_wait_loadcnt_dscnt 0x101
	v_mul_f64_e32 v[2:3], v[4:5], v[134:135]
	v_mul_f64_e32 v[106:107], v[6:7], v[134:135]
	s_wait_loadcnt_dscnt 0x0
	v_mul_f64_e32 v[14:15], v[100:101], v[98:99]
	v_mul_f64_e32 v[98:99], v[102:103], v[98:99]
	v_add_f64_e32 v[10:11], v[114:115], v[112:113]
	v_add_f64_e32 v[12:13], v[104:105], v[110:111]
	v_fmac_f64_e32 v[2:3], v[6:7], v[132:133]
	v_fma_f64 v[4:5], v[4:5], v[132:133], -v[106:107]
	v_fmac_f64_e32 v[14:15], v[102:103], v[96:97]
	v_add_f64_e32 v[6:7], v[10:11], v[8:9]
	v_add_f64_e32 v[8:9], v[12:13], v[108:109]
	v_fma_f64 v[10:11], v[100:101], v[96:97], -v[98:99]
	s_delay_alu instid0(VALU_DEP_3) | instskip(NEXT) | instid1(VALU_DEP_3)
	v_add_f64_e32 v[4:5], v[6:7], v[4:5]
	v_add_f64_e32 v[2:3], v[8:9], v[2:3]
	s_delay_alu instid0(VALU_DEP_2) | instskip(NEXT) | instid1(VALU_DEP_2)
	v_add_f64_e32 v[4:5], v[4:5], v[10:11]
	v_add_f64_e32 v[6:7], v[2:3], v[14:15]
	s_delay_alu instid0(VALU_DEP_2) | instskip(NEXT) | instid1(VALU_DEP_2)
	v_add_f64_e64 v[2:3], v[136:137], -v[4:5]
	v_add_f64_e64 v[4:5], v[138:139], -v[6:7]
	scratch_store_b128 off, v[2:5], off offset:160
	s_wait_xcnt 0x0
	v_cmpx_lt_u32_e32 9, v1
	s_cbranch_execz .LBB38_229
; %bb.228:
	scratch_load_b128 v[2:5], off, s41
	v_mov_b32_e32 v6, 0
	s_delay_alu instid0(VALU_DEP_1)
	v_dual_mov_b32 v7, v6 :: v_dual_mov_b32 v8, v6
	v_mov_b32_e32 v9, v6
	scratch_store_b128 off, v[6:9], off offset:144
	s_wait_loadcnt 0x0
	ds_store_b128 v94, v[2:5]
.LBB38_229:
	s_wait_xcnt 0x0
	s_or_b32 exec_lo, exec_lo, s2
	s_wait_storecnt_dscnt 0x0
	s_barrier_signal -1
	s_barrier_wait -1
	s_clause 0x9
	scratch_load_b128 v[4:7], off, off offset:160
	scratch_load_b128 v[8:11], off, off offset:176
	;; [unrolled: 1-line block ×10, first 2 shown]
	v_mov_b32_e32 v2, 0
	s_mov_b32 s2, exec_lo
	ds_load_b128 v[124:127], v2 offset:784
	s_clause 0x2
	scratch_load_b128 v[128:131], off, off offset:320
	scratch_load_b128 v[132:135], off, off offset:144
	scratch_load_b128 v[140:143], off, off offset:336
	s_wait_loadcnt_dscnt 0xc00
	v_mul_f64_e32 v[144:145], v[126:127], v[6:7]
	v_mul_f64_e32 v[148:149], v[124:125], v[6:7]
	ds_load_b128 v[136:139], v2 offset:800
	v_fma_f64 v[152:153], v[124:125], v[4:5], -v[144:145]
	v_fmac_f64_e32 v[148:149], v[126:127], v[4:5]
	ds_load_b128 v[4:7], v2 offset:816
	s_wait_loadcnt_dscnt 0xb01
	v_mul_f64_e32 v[150:151], v[136:137], v[10:11]
	v_mul_f64_e32 v[10:11], v[138:139], v[10:11]
	scratch_load_b128 v[124:127], off, off offset:352
	ds_load_b128 v[144:147], v2 offset:832
	s_wait_loadcnt_dscnt 0xb01
	v_mul_f64_e32 v[154:155], v[4:5], v[14:15]
	v_mul_f64_e32 v[14:15], v[6:7], v[14:15]
	v_add_f64_e32 v[148:149], 0, v[148:149]
	v_fmac_f64_e32 v[150:151], v[138:139], v[8:9]
	v_fma_f64 v[136:137], v[136:137], v[8:9], -v[10:11]
	v_add_f64_e32 v[138:139], 0, v[152:153]
	scratch_load_b128 v[8:11], off, off offset:368
	v_fmac_f64_e32 v[154:155], v[6:7], v[12:13]
	v_fma_f64 v[156:157], v[4:5], v[12:13], -v[14:15]
	ds_load_b128 v[4:7], v2 offset:848
	s_wait_loadcnt_dscnt 0xb01
	v_mul_f64_e32 v[152:153], v[144:145], v[98:99]
	v_mul_f64_e32 v[98:99], v[146:147], v[98:99]
	scratch_load_b128 v[12:15], off, off offset:384
	v_add_f64_e32 v[148:149], v[148:149], v[150:151]
	v_add_f64_e32 v[158:159], v[138:139], v[136:137]
	ds_load_b128 v[136:139], v2 offset:864
	s_wait_loadcnt_dscnt 0xb01
	v_mul_f64_e32 v[150:151], v[4:5], v[102:103]
	v_mul_f64_e32 v[102:103], v[6:7], v[102:103]
	v_fmac_f64_e32 v[152:153], v[146:147], v[96:97]
	v_fma_f64 v[144:145], v[144:145], v[96:97], -v[98:99]
	scratch_load_b128 v[96:99], off, off offset:400
	v_add_f64_e32 v[148:149], v[148:149], v[154:155]
	v_add_f64_e32 v[146:147], v[158:159], v[156:157]
	v_fmac_f64_e32 v[150:151], v[6:7], v[100:101]
	v_fma_f64 v[156:157], v[4:5], v[100:101], -v[102:103]
	ds_load_b128 v[4:7], v2 offset:880
	s_wait_loadcnt_dscnt 0xb01
	v_mul_f64_e32 v[154:155], v[136:137], v[106:107]
	v_mul_f64_e32 v[106:107], v[138:139], v[106:107]
	scratch_load_b128 v[100:103], off, off offset:416
	v_add_f64_e32 v[148:149], v[148:149], v[152:153]
	s_wait_loadcnt_dscnt 0xb00
	v_mul_f64_e32 v[152:153], v[4:5], v[110:111]
	v_add_f64_e32 v[158:159], v[146:147], v[144:145]
	v_mul_f64_e32 v[110:111], v[6:7], v[110:111]
	ds_load_b128 v[144:147], v2 offset:896
	v_fmac_f64_e32 v[154:155], v[138:139], v[104:105]
	v_fma_f64 v[136:137], v[136:137], v[104:105], -v[106:107]
	scratch_load_b128 v[104:107], off, off offset:432
	v_add_f64_e32 v[148:149], v[148:149], v[150:151]
	v_fmac_f64_e32 v[152:153], v[6:7], v[108:109]
	v_add_f64_e32 v[138:139], v[158:159], v[156:157]
	v_fma_f64 v[156:157], v[4:5], v[108:109], -v[110:111]
	ds_load_b128 v[4:7], v2 offset:912
	s_wait_loadcnt_dscnt 0xb01
	v_mul_f64_e32 v[150:151], v[144:145], v[114:115]
	v_mul_f64_e32 v[114:115], v[146:147], v[114:115]
	scratch_load_b128 v[108:111], off, off offset:448
	v_add_f64_e32 v[148:149], v[148:149], v[154:155]
	s_wait_loadcnt_dscnt 0xb00
	v_mul_f64_e32 v[154:155], v[4:5], v[118:119]
	v_add_f64_e32 v[158:159], v[138:139], v[136:137]
	v_mul_f64_e32 v[118:119], v[6:7], v[118:119]
	ds_load_b128 v[136:139], v2 offset:928
	v_fmac_f64_e32 v[150:151], v[146:147], v[112:113]
	v_fma_f64 v[144:145], v[144:145], v[112:113], -v[114:115]
	scratch_load_b128 v[112:115], off, off offset:464
	v_add_f64_e32 v[148:149], v[148:149], v[152:153]
	v_fmac_f64_e32 v[154:155], v[6:7], v[116:117]
	v_add_f64_e32 v[146:147], v[158:159], v[156:157]
	;; [unrolled: 18-line block ×3, first 2 shown]
	v_fma_f64 v[156:157], v[4:5], v[128:129], -v[130:131]
	ds_load_b128 v[4:7], v2 offset:976
	s_wait_loadcnt_dscnt 0xa01
	v_mul_f64_e32 v[154:155], v[144:145], v[142:143]
	v_mul_f64_e32 v[142:143], v[146:147], v[142:143]
	scratch_load_b128 v[128:131], off, off offset:512
	v_add_f64_e32 v[148:149], v[148:149], v[152:153]
	v_add_f64_e32 v[158:159], v[138:139], v[136:137]
	s_wait_loadcnt_dscnt 0xa00
	v_mul_f64_e32 v[152:153], v[4:5], v[126:127]
	v_mul_f64_e32 v[126:127], v[6:7], v[126:127]
	v_fmac_f64_e32 v[154:155], v[146:147], v[140:141]
	v_fma_f64 v[144:145], v[144:145], v[140:141], -v[142:143]
	ds_load_b128 v[136:139], v2 offset:992
	scratch_load_b128 v[140:143], off, off offset:528
	v_add_f64_e32 v[148:149], v[148:149], v[150:151]
	v_add_f64_e32 v[146:147], v[158:159], v[156:157]
	v_fmac_f64_e32 v[152:153], v[6:7], v[124:125]
	v_fma_f64 v[156:157], v[4:5], v[124:125], -v[126:127]
	ds_load_b128 v[4:7], v2 offset:1008
	s_wait_loadcnt_dscnt 0xa01
	v_mul_f64_e32 v[150:151], v[136:137], v[10:11]
	v_mul_f64_e32 v[10:11], v[138:139], v[10:11]
	scratch_load_b128 v[124:127], off, off offset:544
	v_add_f64_e32 v[148:149], v[148:149], v[154:155]
	s_wait_loadcnt_dscnt 0xa00
	v_mul_f64_e32 v[154:155], v[4:5], v[14:15]
	v_add_f64_e32 v[158:159], v[146:147], v[144:145]
	v_mul_f64_e32 v[14:15], v[6:7], v[14:15]
	ds_load_b128 v[144:147], v2 offset:1024
	v_fmac_f64_e32 v[150:151], v[138:139], v[8:9]
	v_fma_f64 v[136:137], v[136:137], v[8:9], -v[10:11]
	scratch_load_b128 v[8:11], off, off offset:560
	v_add_f64_e32 v[148:149], v[148:149], v[152:153]
	v_fmac_f64_e32 v[154:155], v[6:7], v[12:13]
	v_add_f64_e32 v[138:139], v[158:159], v[156:157]
	v_fma_f64 v[156:157], v[4:5], v[12:13], -v[14:15]
	ds_load_b128 v[4:7], v2 offset:1040
	s_wait_loadcnt_dscnt 0xa01
	v_mul_f64_e32 v[152:153], v[144:145], v[98:99]
	v_mul_f64_e32 v[98:99], v[146:147], v[98:99]
	scratch_load_b128 v[12:15], off, off offset:576
	v_add_f64_e32 v[148:149], v[148:149], v[150:151]
	s_wait_loadcnt_dscnt 0xa00
	v_mul_f64_e32 v[150:151], v[4:5], v[102:103]
	v_add_f64_e32 v[158:159], v[138:139], v[136:137]
	v_mul_f64_e32 v[102:103], v[6:7], v[102:103]
	ds_load_b128 v[136:139], v2 offset:1056
	v_fmac_f64_e32 v[152:153], v[146:147], v[96:97]
	v_fma_f64 v[144:145], v[144:145], v[96:97], -v[98:99]
	scratch_load_b128 v[96:99], off, off offset:592
	v_add_f64_e32 v[148:149], v[148:149], v[154:155]
	v_fmac_f64_e32 v[150:151], v[6:7], v[100:101]
	v_add_f64_e32 v[146:147], v[158:159], v[156:157]
	v_fma_f64 v[156:157], v[4:5], v[100:101], -v[102:103]
	ds_load_b128 v[4:7], v2 offset:1072
	s_wait_loadcnt_dscnt 0xa01
	v_mul_f64_e32 v[154:155], v[136:137], v[106:107]
	v_mul_f64_e32 v[106:107], v[138:139], v[106:107]
	scratch_load_b128 v[100:103], off, off offset:608
	v_add_f64_e32 v[148:149], v[148:149], v[152:153]
	s_wait_loadcnt_dscnt 0xa00
	v_mul_f64_e32 v[152:153], v[4:5], v[110:111]
	v_add_f64_e32 v[158:159], v[146:147], v[144:145]
	v_mul_f64_e32 v[110:111], v[6:7], v[110:111]
	ds_load_b128 v[144:147], v2 offset:1088
	v_fmac_f64_e32 v[154:155], v[138:139], v[104:105]
	v_fma_f64 v[104:105], v[136:137], v[104:105], -v[106:107]
	s_wait_loadcnt_dscnt 0x900
	v_mul_f64_e32 v[138:139], v[144:145], v[114:115]
	v_mul_f64_e32 v[114:115], v[146:147], v[114:115]
	v_add_f64_e32 v[136:137], v[148:149], v[150:151]
	v_fmac_f64_e32 v[152:153], v[6:7], v[108:109]
	v_add_f64_e32 v[106:107], v[158:159], v[156:157]
	v_fma_f64 v[108:109], v[4:5], v[108:109], -v[110:111]
	v_fmac_f64_e32 v[138:139], v[146:147], v[112:113]
	v_fma_f64 v[112:113], v[144:145], v[112:113], -v[114:115]
	v_add_f64_e32 v[136:137], v[136:137], v[154:155]
	v_add_f64_e32 v[110:111], v[106:107], v[104:105]
	ds_load_b128 v[4:7], v2 offset:1104
	ds_load_b128 v[104:107], v2 offset:1120
	s_wait_loadcnt_dscnt 0x801
	v_mul_f64_e32 v[148:149], v[4:5], v[118:119]
	v_mul_f64_e32 v[118:119], v[6:7], v[118:119]
	s_wait_loadcnt_dscnt 0x700
	v_mul_f64_e32 v[114:115], v[104:105], v[122:123]
	v_mul_f64_e32 v[122:123], v[106:107], v[122:123]
	v_add_f64_e32 v[108:109], v[110:111], v[108:109]
	v_add_f64_e32 v[110:111], v[136:137], v[152:153]
	v_fmac_f64_e32 v[148:149], v[6:7], v[116:117]
	v_fma_f64 v[116:117], v[4:5], v[116:117], -v[118:119]
	v_fmac_f64_e32 v[114:115], v[106:107], v[120:121]
	v_fma_f64 v[104:105], v[104:105], v[120:121], -v[122:123]
	v_add_f64_e32 v[112:113], v[108:109], v[112:113]
	v_add_f64_e32 v[118:119], v[110:111], v[138:139]
	ds_load_b128 v[4:7], v2 offset:1136
	ds_load_b128 v[108:111], v2 offset:1152
	s_wait_loadcnt_dscnt 0x601
	v_mul_f64_e32 v[136:137], v[4:5], v[130:131]
	v_mul_f64_e32 v[130:131], v[6:7], v[130:131]
	v_add_f64_e32 v[106:107], v[112:113], v[116:117]
	v_add_f64_e32 v[112:113], v[118:119], v[148:149]
	s_wait_loadcnt_dscnt 0x500
	v_mul_f64_e32 v[116:117], v[108:109], v[142:143]
	v_mul_f64_e32 v[118:119], v[110:111], v[142:143]
	v_fmac_f64_e32 v[136:137], v[6:7], v[128:129]
	v_fma_f64 v[120:121], v[4:5], v[128:129], -v[130:131]
	v_add_f64_e32 v[122:123], v[106:107], v[104:105]
	v_add_f64_e32 v[112:113], v[112:113], v[114:115]
	ds_load_b128 v[4:7], v2 offset:1168
	ds_load_b128 v[104:107], v2 offset:1184
	v_fmac_f64_e32 v[116:117], v[110:111], v[140:141]
	v_fma_f64 v[108:109], v[108:109], v[140:141], -v[118:119]
	s_wait_loadcnt_dscnt 0x401
	v_mul_f64_e32 v[114:115], v[4:5], v[126:127]
	v_mul_f64_e32 v[126:127], v[6:7], v[126:127]
	s_wait_loadcnt_dscnt 0x300
	v_mul_f64_e32 v[118:119], v[104:105], v[10:11]
	v_mul_f64_e32 v[10:11], v[106:107], v[10:11]
	v_add_f64_e32 v[110:111], v[122:123], v[120:121]
	v_add_f64_e32 v[112:113], v[112:113], v[136:137]
	v_fmac_f64_e32 v[114:115], v[6:7], v[124:125]
	v_fma_f64 v[120:121], v[4:5], v[124:125], -v[126:127]
	v_fmac_f64_e32 v[118:119], v[106:107], v[8:9]
	v_fma_f64 v[8:9], v[104:105], v[8:9], -v[10:11]
	v_add_f64_e32 v[122:123], v[110:111], v[108:109]
	v_add_f64_e32 v[112:113], v[112:113], v[116:117]
	ds_load_b128 v[4:7], v2 offset:1200
	ds_load_b128 v[108:111], v2 offset:1216
	s_wait_loadcnt_dscnt 0x201
	v_mul_f64_e32 v[116:117], v[4:5], v[14:15]
	v_mul_f64_e32 v[14:15], v[6:7], v[14:15]
	s_wait_loadcnt_dscnt 0x100
	v_mul_f64_e32 v[106:107], v[108:109], v[98:99]
	v_mul_f64_e32 v[98:99], v[110:111], v[98:99]
	v_add_f64_e32 v[10:11], v[122:123], v[120:121]
	v_add_f64_e32 v[104:105], v[112:113], v[114:115]
	v_fmac_f64_e32 v[116:117], v[6:7], v[12:13]
	v_fma_f64 v[12:13], v[4:5], v[12:13], -v[14:15]
	ds_load_b128 v[4:7], v2 offset:1232
	v_fmac_f64_e32 v[106:107], v[110:111], v[96:97]
	v_fma_f64 v[96:97], v[108:109], v[96:97], -v[98:99]
	v_add_f64_e32 v[8:9], v[10:11], v[8:9]
	v_add_f64_e32 v[10:11], v[104:105], v[118:119]
	s_wait_loadcnt_dscnt 0x0
	v_mul_f64_e32 v[14:15], v[4:5], v[102:103]
	v_mul_f64_e32 v[102:103], v[6:7], v[102:103]
	s_delay_alu instid0(VALU_DEP_4) | instskip(NEXT) | instid1(VALU_DEP_4)
	v_add_f64_e32 v[8:9], v[8:9], v[12:13]
	v_add_f64_e32 v[10:11], v[10:11], v[116:117]
	s_delay_alu instid0(VALU_DEP_4) | instskip(NEXT) | instid1(VALU_DEP_4)
	v_fmac_f64_e32 v[14:15], v[6:7], v[100:101]
	v_fma_f64 v[4:5], v[4:5], v[100:101], -v[102:103]
	s_delay_alu instid0(VALU_DEP_4) | instskip(NEXT) | instid1(VALU_DEP_4)
	v_add_f64_e32 v[6:7], v[8:9], v[96:97]
	v_add_f64_e32 v[8:9], v[10:11], v[106:107]
	s_delay_alu instid0(VALU_DEP_2) | instskip(NEXT) | instid1(VALU_DEP_2)
	v_add_f64_e32 v[4:5], v[6:7], v[4:5]
	v_add_f64_e32 v[6:7], v[8:9], v[14:15]
	s_delay_alu instid0(VALU_DEP_2) | instskip(NEXT) | instid1(VALU_DEP_2)
	v_add_f64_e64 v[4:5], v[132:133], -v[4:5]
	v_add_f64_e64 v[6:7], v[134:135], -v[6:7]
	scratch_store_b128 off, v[4:7], off offset:144
	s_wait_xcnt 0x0
	v_cmpx_lt_u32_e32 8, v1
	s_cbranch_execz .LBB38_231
; %bb.230:
	scratch_load_b128 v[6:9], off, s40
	v_dual_mov_b32 v3, v2 :: v_dual_mov_b32 v4, v2
	v_mov_b32_e32 v5, v2
	scratch_store_b128 off, v[2:5], off offset:128
	s_wait_loadcnt 0x0
	ds_store_b128 v94, v[6:9]
.LBB38_231:
	s_wait_xcnt 0x0
	s_or_b32 exec_lo, exec_lo, s2
	s_wait_storecnt_dscnt 0x0
	s_barrier_signal -1
	s_barrier_wait -1
	s_clause 0x9
	scratch_load_b128 v[4:7], off, off offset:144
	scratch_load_b128 v[8:11], off, off offset:160
	;; [unrolled: 1-line block ×10, first 2 shown]
	ds_load_b128 v[124:127], v2 offset:768
	ds_load_b128 v[132:135], v2 offset:784
	s_clause 0x2
	scratch_load_b128 v[128:131], off, off offset:304
	scratch_load_b128 v[136:139], off, off offset:128
	;; [unrolled: 1-line block ×3, first 2 shown]
	s_mov_b32 s2, exec_lo
	s_wait_loadcnt_dscnt 0xc01
	v_mul_f64_e32 v[144:145], v[126:127], v[6:7]
	v_mul_f64_e32 v[148:149], v[124:125], v[6:7]
	s_wait_loadcnt_dscnt 0xb00
	v_mul_f64_e32 v[150:151], v[132:133], v[10:11]
	v_mul_f64_e32 v[10:11], v[134:135], v[10:11]
	s_delay_alu instid0(VALU_DEP_4) | instskip(NEXT) | instid1(VALU_DEP_4)
	v_fma_f64 v[152:153], v[124:125], v[4:5], -v[144:145]
	v_fmac_f64_e32 v[148:149], v[126:127], v[4:5]
	ds_load_b128 v[4:7], v2 offset:800
	ds_load_b128 v[124:127], v2 offset:816
	scratch_load_b128 v[144:147], off, off offset:336
	v_fmac_f64_e32 v[150:151], v[134:135], v[8:9]
	v_fma_f64 v[132:133], v[132:133], v[8:9], -v[10:11]
	scratch_load_b128 v[8:11], off, off offset:352
	s_wait_loadcnt_dscnt 0xc01
	v_mul_f64_e32 v[154:155], v[4:5], v[14:15]
	v_mul_f64_e32 v[14:15], v[6:7], v[14:15]
	v_add_f64_e32 v[134:135], 0, v[152:153]
	v_add_f64_e32 v[148:149], 0, v[148:149]
	s_wait_loadcnt_dscnt 0xb00
	v_mul_f64_e32 v[152:153], v[124:125], v[98:99]
	v_mul_f64_e32 v[98:99], v[126:127], v[98:99]
	v_fmac_f64_e32 v[154:155], v[6:7], v[12:13]
	v_fma_f64 v[156:157], v[4:5], v[12:13], -v[14:15]
	ds_load_b128 v[4:7], v2 offset:832
	ds_load_b128 v[12:15], v2 offset:848
	v_add_f64_e32 v[158:159], v[134:135], v[132:133]
	v_add_f64_e32 v[148:149], v[148:149], v[150:151]
	scratch_load_b128 v[132:135], off, off offset:368
	v_fmac_f64_e32 v[152:153], v[126:127], v[96:97]
	v_fma_f64 v[124:125], v[124:125], v[96:97], -v[98:99]
	scratch_load_b128 v[96:99], off, off offset:384
	s_wait_loadcnt_dscnt 0xc01
	v_mul_f64_e32 v[150:151], v[4:5], v[102:103]
	v_mul_f64_e32 v[102:103], v[6:7], v[102:103]
	v_add_f64_e32 v[126:127], v[158:159], v[156:157]
	v_add_f64_e32 v[148:149], v[148:149], v[154:155]
	s_wait_loadcnt_dscnt 0xb00
	v_mul_f64_e32 v[154:155], v[12:13], v[106:107]
	v_mul_f64_e32 v[106:107], v[14:15], v[106:107]
	v_fmac_f64_e32 v[150:151], v[6:7], v[100:101]
	v_fma_f64 v[156:157], v[4:5], v[100:101], -v[102:103]
	ds_load_b128 v[4:7], v2 offset:864
	ds_load_b128 v[100:103], v2 offset:880
	v_add_f64_e32 v[158:159], v[126:127], v[124:125]
	v_add_f64_e32 v[148:149], v[148:149], v[152:153]
	scratch_load_b128 v[124:127], off, off offset:400
	s_wait_loadcnt_dscnt 0xb01
	v_mul_f64_e32 v[152:153], v[4:5], v[110:111]
	v_mul_f64_e32 v[110:111], v[6:7], v[110:111]
	v_fmac_f64_e32 v[154:155], v[14:15], v[104:105]
	v_fma_f64 v[104:105], v[12:13], v[104:105], -v[106:107]
	scratch_load_b128 v[12:15], off, off offset:416
	v_add_f64_e32 v[106:107], v[158:159], v[156:157]
	v_add_f64_e32 v[148:149], v[148:149], v[150:151]
	s_wait_loadcnt_dscnt 0xb00
	v_mul_f64_e32 v[150:151], v[100:101], v[114:115]
	v_mul_f64_e32 v[114:115], v[102:103], v[114:115]
	v_fmac_f64_e32 v[152:153], v[6:7], v[108:109]
	v_fma_f64 v[156:157], v[4:5], v[108:109], -v[110:111]
	v_add_f64_e32 v[158:159], v[106:107], v[104:105]
	v_add_f64_e32 v[148:149], v[148:149], v[154:155]
	ds_load_b128 v[4:7], v2 offset:896
	ds_load_b128 v[104:107], v2 offset:912
	scratch_load_b128 v[108:111], off, off offset:432
	v_fmac_f64_e32 v[150:151], v[102:103], v[112:113]
	v_fma_f64 v[112:113], v[100:101], v[112:113], -v[114:115]
	scratch_load_b128 v[100:103], off, off offset:448
	s_wait_loadcnt_dscnt 0xc01
	v_mul_f64_e32 v[154:155], v[4:5], v[118:119]
	v_mul_f64_e32 v[118:119], v[6:7], v[118:119]
	v_add_f64_e32 v[114:115], v[158:159], v[156:157]
	v_add_f64_e32 v[148:149], v[148:149], v[152:153]
	s_wait_loadcnt_dscnt 0xb00
	v_mul_f64_e32 v[152:153], v[104:105], v[122:123]
	v_mul_f64_e32 v[122:123], v[106:107], v[122:123]
	v_fmac_f64_e32 v[154:155], v[6:7], v[116:117]
	v_fma_f64 v[156:157], v[4:5], v[116:117], -v[118:119]
	v_add_f64_e32 v[158:159], v[114:115], v[112:113]
	v_add_f64_e32 v[148:149], v[148:149], v[150:151]
	ds_load_b128 v[4:7], v2 offset:928
	ds_load_b128 v[112:115], v2 offset:944
	scratch_load_b128 v[116:119], off, off offset:464
	v_fmac_f64_e32 v[152:153], v[106:107], v[120:121]
	v_fma_f64 v[120:121], v[104:105], v[120:121], -v[122:123]
	scratch_load_b128 v[104:107], off, off offset:480
	s_wait_loadcnt_dscnt 0xc01
	v_mul_f64_e32 v[150:151], v[4:5], v[130:131]
	v_mul_f64_e32 v[130:131], v[6:7], v[130:131]
	;; [unrolled: 18-line block ×5, first 2 shown]
	v_add_f64_e32 v[142:143], v[158:159], v[156:157]
	v_add_f64_e32 v[148:149], v[148:149], v[154:155]
	s_wait_loadcnt_dscnt 0xa00
	v_mul_f64_e32 v[154:155], v[120:121], v[14:15]
	v_mul_f64_e32 v[14:15], v[122:123], v[14:15]
	v_fmac_f64_e32 v[150:151], v[6:7], v[124:125]
	v_fma_f64 v[156:157], v[4:5], v[124:125], -v[126:127]
	ds_load_b128 v[4:7], v2 offset:1056
	ds_load_b128 v[124:127], v2 offset:1072
	v_add_f64_e32 v[158:159], v[142:143], v[140:141]
	v_add_f64_e32 v[148:149], v[148:149], v[152:153]
	scratch_load_b128 v[140:143], off, off offset:592
	v_fmac_f64_e32 v[154:155], v[122:123], v[12:13]
	v_fma_f64 v[120:121], v[120:121], v[12:13], -v[14:15]
	scratch_load_b128 v[12:15], off, off offset:608
	s_wait_loadcnt_dscnt 0xb01
	v_mul_f64_e32 v[152:153], v[4:5], v[110:111]
	v_mul_f64_e32 v[110:111], v[6:7], v[110:111]
	v_add_f64_e32 v[122:123], v[158:159], v[156:157]
	v_add_f64_e32 v[148:149], v[148:149], v[150:151]
	s_wait_loadcnt_dscnt 0xa00
	v_mul_f64_e32 v[150:151], v[124:125], v[102:103]
	v_mul_f64_e32 v[102:103], v[126:127], v[102:103]
	v_fmac_f64_e32 v[152:153], v[6:7], v[108:109]
	v_fma_f64 v[156:157], v[4:5], v[108:109], -v[110:111]
	ds_load_b128 v[4:7], v2 offset:1088
	ds_load_b128 v[108:111], v2 offset:1104
	v_add_f64_e32 v[120:121], v[122:123], v[120:121]
	v_add_f64_e32 v[122:123], v[148:149], v[154:155]
	v_fmac_f64_e32 v[150:151], v[126:127], v[100:101]
	s_wait_loadcnt_dscnt 0x901
	v_mul_f64_e32 v[148:149], v[4:5], v[118:119]
	v_mul_f64_e32 v[118:119], v[6:7], v[118:119]
	v_fma_f64 v[100:101], v[124:125], v[100:101], -v[102:103]
	v_add_f64_e32 v[102:103], v[120:121], v[156:157]
	v_add_f64_e32 v[120:121], v[122:123], v[152:153]
	s_wait_loadcnt_dscnt 0x800
	v_mul_f64_e32 v[122:123], v[108:109], v[106:107]
	v_mul_f64_e32 v[106:107], v[110:111], v[106:107]
	v_fmac_f64_e32 v[148:149], v[6:7], v[116:117]
	v_fma_f64 v[116:117], v[4:5], v[116:117], -v[118:119]
	v_add_f64_e32 v[118:119], v[102:103], v[100:101]
	v_add_f64_e32 v[120:121], v[120:121], v[150:151]
	ds_load_b128 v[4:7], v2 offset:1120
	ds_load_b128 v[100:103], v2 offset:1136
	v_fmac_f64_e32 v[122:123], v[110:111], v[104:105]
	v_fma_f64 v[104:105], v[108:109], v[104:105], -v[106:107]
	s_wait_loadcnt_dscnt 0x701
	v_mul_f64_e32 v[124:125], v[4:5], v[130:131]
	v_mul_f64_e32 v[126:127], v[6:7], v[130:131]
	s_wait_loadcnt_dscnt 0x600
	v_mul_f64_e32 v[110:111], v[100:101], v[114:115]
	v_mul_f64_e32 v[114:115], v[102:103], v[114:115]
	v_add_f64_e32 v[106:107], v[118:119], v[116:117]
	v_add_f64_e32 v[108:109], v[120:121], v[148:149]
	v_fmac_f64_e32 v[124:125], v[6:7], v[128:129]
	v_fma_f64 v[116:117], v[4:5], v[128:129], -v[126:127]
	v_fmac_f64_e32 v[110:111], v[102:103], v[112:113]
	v_fma_f64 v[100:101], v[100:101], v[112:113], -v[114:115]
	v_add_f64_e32 v[118:119], v[106:107], v[104:105]
	v_add_f64_e32 v[108:109], v[108:109], v[122:123]
	ds_load_b128 v[4:7], v2 offset:1152
	ds_load_b128 v[104:107], v2 offset:1168
	s_wait_loadcnt_dscnt 0x501
	v_mul_f64_e32 v[120:121], v[4:5], v[146:147]
	v_mul_f64_e32 v[122:123], v[6:7], v[146:147]
	s_wait_loadcnt_dscnt 0x400
	v_mul_f64_e32 v[112:113], v[104:105], v[10:11]
	v_mul_f64_e32 v[10:11], v[106:107], v[10:11]
	v_add_f64_e32 v[102:103], v[118:119], v[116:117]
	v_add_f64_e32 v[108:109], v[108:109], v[124:125]
	v_fmac_f64_e32 v[120:121], v[6:7], v[144:145]
	v_fma_f64 v[114:115], v[4:5], v[144:145], -v[122:123]
	v_fmac_f64_e32 v[112:113], v[106:107], v[8:9]
	v_fma_f64 v[8:9], v[104:105], v[8:9], -v[10:11]
	v_add_f64_e32 v[116:117], v[102:103], v[100:101]
	v_add_f64_e32 v[108:109], v[108:109], v[110:111]
	ds_load_b128 v[4:7], v2 offset:1184
	ds_load_b128 v[100:103], v2 offset:1200
	;; [unrolled: 16-line block ×3, first 2 shown]
	s_wait_loadcnt_dscnt 0x101
	v_mul_f64_e32 v[2:3], v[4:5], v[142:143]
	v_mul_f64_e32 v[112:113], v[6:7], v[142:143]
	s_wait_loadcnt_dscnt 0x0
	v_mul_f64_e32 v[102:103], v[8:9], v[14:15]
	v_mul_f64_e32 v[14:15], v[10:11], v[14:15]
	v_add_f64_e32 v[98:99], v[114:115], v[108:109]
	v_add_f64_e32 v[100:101], v[104:105], v[110:111]
	v_fmac_f64_e32 v[2:3], v[6:7], v[140:141]
	v_fma_f64 v[4:5], v[4:5], v[140:141], -v[112:113]
	v_fmac_f64_e32 v[102:103], v[10:11], v[12:13]
	v_fma_f64 v[8:9], v[8:9], v[12:13], -v[14:15]
	v_add_f64_e32 v[6:7], v[98:99], v[96:97]
	v_add_f64_e32 v[96:97], v[100:101], v[106:107]
	s_delay_alu instid0(VALU_DEP_2) | instskip(NEXT) | instid1(VALU_DEP_2)
	v_add_f64_e32 v[4:5], v[6:7], v[4:5]
	v_add_f64_e32 v[2:3], v[96:97], v[2:3]
	s_delay_alu instid0(VALU_DEP_2) | instskip(NEXT) | instid1(VALU_DEP_2)
	;; [unrolled: 3-line block ×3, first 2 shown]
	v_add_f64_e64 v[2:3], v[136:137], -v[4:5]
	v_add_f64_e64 v[4:5], v[138:139], -v[6:7]
	scratch_store_b128 off, v[2:5], off offset:128
	s_wait_xcnt 0x0
	v_cmpx_lt_u32_e32 7, v1
	s_cbranch_execz .LBB38_233
; %bb.232:
	scratch_load_b128 v[2:5], off, s47
	v_mov_b32_e32 v6, 0
	s_delay_alu instid0(VALU_DEP_1)
	v_dual_mov_b32 v7, v6 :: v_dual_mov_b32 v8, v6
	v_mov_b32_e32 v9, v6
	scratch_store_b128 off, v[6:9], off offset:112
	s_wait_loadcnt 0x0
	ds_store_b128 v94, v[2:5]
.LBB38_233:
	s_wait_xcnt 0x0
	s_or_b32 exec_lo, exec_lo, s2
	s_wait_storecnt_dscnt 0x0
	s_barrier_signal -1
	s_barrier_wait -1
	s_clause 0x9
	scratch_load_b128 v[4:7], off, off offset:128
	scratch_load_b128 v[8:11], off, off offset:144
	;; [unrolled: 1-line block ×10, first 2 shown]
	v_mov_b32_e32 v2, 0
	s_mov_b32 s2, exec_lo
	ds_load_b128 v[124:127], v2 offset:752
	s_clause 0x2
	scratch_load_b128 v[128:131], off, off offset:288
	scratch_load_b128 v[132:135], off, off offset:112
	scratch_load_b128 v[140:143], off, off offset:304
	s_wait_loadcnt_dscnt 0xc00
	v_mul_f64_e32 v[144:145], v[126:127], v[6:7]
	v_mul_f64_e32 v[148:149], v[124:125], v[6:7]
	ds_load_b128 v[136:139], v2 offset:768
	v_fma_f64 v[152:153], v[124:125], v[4:5], -v[144:145]
	v_fmac_f64_e32 v[148:149], v[126:127], v[4:5]
	ds_load_b128 v[4:7], v2 offset:784
	s_wait_loadcnt_dscnt 0xb01
	v_mul_f64_e32 v[150:151], v[136:137], v[10:11]
	v_mul_f64_e32 v[10:11], v[138:139], v[10:11]
	scratch_load_b128 v[124:127], off, off offset:320
	ds_load_b128 v[144:147], v2 offset:800
	s_wait_loadcnt_dscnt 0xb01
	v_mul_f64_e32 v[154:155], v[4:5], v[14:15]
	v_mul_f64_e32 v[14:15], v[6:7], v[14:15]
	v_add_f64_e32 v[148:149], 0, v[148:149]
	v_fmac_f64_e32 v[150:151], v[138:139], v[8:9]
	v_fma_f64 v[136:137], v[136:137], v[8:9], -v[10:11]
	v_add_f64_e32 v[138:139], 0, v[152:153]
	scratch_load_b128 v[8:11], off, off offset:336
	v_fmac_f64_e32 v[154:155], v[6:7], v[12:13]
	v_fma_f64 v[156:157], v[4:5], v[12:13], -v[14:15]
	ds_load_b128 v[4:7], v2 offset:816
	s_wait_loadcnt_dscnt 0xb01
	v_mul_f64_e32 v[152:153], v[144:145], v[98:99]
	v_mul_f64_e32 v[98:99], v[146:147], v[98:99]
	scratch_load_b128 v[12:15], off, off offset:352
	v_add_f64_e32 v[148:149], v[148:149], v[150:151]
	v_add_f64_e32 v[158:159], v[138:139], v[136:137]
	ds_load_b128 v[136:139], v2 offset:832
	s_wait_loadcnt_dscnt 0xb01
	v_mul_f64_e32 v[150:151], v[4:5], v[102:103]
	v_mul_f64_e32 v[102:103], v[6:7], v[102:103]
	v_fmac_f64_e32 v[152:153], v[146:147], v[96:97]
	v_fma_f64 v[144:145], v[144:145], v[96:97], -v[98:99]
	scratch_load_b128 v[96:99], off, off offset:368
	v_add_f64_e32 v[148:149], v[148:149], v[154:155]
	v_add_f64_e32 v[146:147], v[158:159], v[156:157]
	v_fmac_f64_e32 v[150:151], v[6:7], v[100:101]
	v_fma_f64 v[156:157], v[4:5], v[100:101], -v[102:103]
	ds_load_b128 v[4:7], v2 offset:848
	s_wait_loadcnt_dscnt 0xb01
	v_mul_f64_e32 v[154:155], v[136:137], v[106:107]
	v_mul_f64_e32 v[106:107], v[138:139], v[106:107]
	scratch_load_b128 v[100:103], off, off offset:384
	v_add_f64_e32 v[148:149], v[148:149], v[152:153]
	s_wait_loadcnt_dscnt 0xb00
	v_mul_f64_e32 v[152:153], v[4:5], v[110:111]
	v_add_f64_e32 v[158:159], v[146:147], v[144:145]
	v_mul_f64_e32 v[110:111], v[6:7], v[110:111]
	ds_load_b128 v[144:147], v2 offset:864
	v_fmac_f64_e32 v[154:155], v[138:139], v[104:105]
	v_fma_f64 v[136:137], v[136:137], v[104:105], -v[106:107]
	scratch_load_b128 v[104:107], off, off offset:400
	v_add_f64_e32 v[148:149], v[148:149], v[150:151]
	v_fmac_f64_e32 v[152:153], v[6:7], v[108:109]
	v_add_f64_e32 v[138:139], v[158:159], v[156:157]
	v_fma_f64 v[156:157], v[4:5], v[108:109], -v[110:111]
	ds_load_b128 v[4:7], v2 offset:880
	s_wait_loadcnt_dscnt 0xb01
	v_mul_f64_e32 v[150:151], v[144:145], v[114:115]
	v_mul_f64_e32 v[114:115], v[146:147], v[114:115]
	scratch_load_b128 v[108:111], off, off offset:416
	v_add_f64_e32 v[148:149], v[148:149], v[154:155]
	s_wait_loadcnt_dscnt 0xb00
	v_mul_f64_e32 v[154:155], v[4:5], v[118:119]
	v_add_f64_e32 v[158:159], v[138:139], v[136:137]
	v_mul_f64_e32 v[118:119], v[6:7], v[118:119]
	ds_load_b128 v[136:139], v2 offset:896
	v_fmac_f64_e32 v[150:151], v[146:147], v[112:113]
	v_fma_f64 v[144:145], v[144:145], v[112:113], -v[114:115]
	scratch_load_b128 v[112:115], off, off offset:432
	v_add_f64_e32 v[148:149], v[148:149], v[152:153]
	v_fmac_f64_e32 v[154:155], v[6:7], v[116:117]
	v_add_f64_e32 v[146:147], v[158:159], v[156:157]
	;; [unrolled: 18-line block ×3, first 2 shown]
	v_fma_f64 v[156:157], v[4:5], v[128:129], -v[130:131]
	ds_load_b128 v[4:7], v2 offset:944
	s_wait_loadcnt_dscnt 0xa01
	v_mul_f64_e32 v[154:155], v[144:145], v[142:143]
	v_mul_f64_e32 v[142:143], v[146:147], v[142:143]
	scratch_load_b128 v[128:131], off, off offset:480
	v_add_f64_e32 v[148:149], v[148:149], v[152:153]
	v_add_f64_e32 v[158:159], v[138:139], v[136:137]
	s_wait_loadcnt_dscnt 0xa00
	v_mul_f64_e32 v[152:153], v[4:5], v[126:127]
	v_mul_f64_e32 v[126:127], v[6:7], v[126:127]
	v_fmac_f64_e32 v[154:155], v[146:147], v[140:141]
	v_fma_f64 v[144:145], v[144:145], v[140:141], -v[142:143]
	ds_load_b128 v[136:139], v2 offset:960
	scratch_load_b128 v[140:143], off, off offset:496
	v_add_f64_e32 v[148:149], v[148:149], v[150:151]
	v_add_f64_e32 v[146:147], v[158:159], v[156:157]
	v_fmac_f64_e32 v[152:153], v[6:7], v[124:125]
	v_fma_f64 v[156:157], v[4:5], v[124:125], -v[126:127]
	ds_load_b128 v[4:7], v2 offset:976
	s_wait_loadcnt_dscnt 0xa01
	v_mul_f64_e32 v[150:151], v[136:137], v[10:11]
	v_mul_f64_e32 v[10:11], v[138:139], v[10:11]
	scratch_load_b128 v[124:127], off, off offset:512
	v_add_f64_e32 v[148:149], v[148:149], v[154:155]
	s_wait_loadcnt_dscnt 0xa00
	v_mul_f64_e32 v[154:155], v[4:5], v[14:15]
	v_add_f64_e32 v[158:159], v[146:147], v[144:145]
	v_mul_f64_e32 v[14:15], v[6:7], v[14:15]
	ds_load_b128 v[144:147], v2 offset:992
	v_fmac_f64_e32 v[150:151], v[138:139], v[8:9]
	v_fma_f64 v[136:137], v[136:137], v[8:9], -v[10:11]
	scratch_load_b128 v[8:11], off, off offset:528
	v_add_f64_e32 v[148:149], v[148:149], v[152:153]
	v_fmac_f64_e32 v[154:155], v[6:7], v[12:13]
	v_add_f64_e32 v[138:139], v[158:159], v[156:157]
	v_fma_f64 v[156:157], v[4:5], v[12:13], -v[14:15]
	ds_load_b128 v[4:7], v2 offset:1008
	s_wait_loadcnt_dscnt 0xa01
	v_mul_f64_e32 v[152:153], v[144:145], v[98:99]
	v_mul_f64_e32 v[98:99], v[146:147], v[98:99]
	scratch_load_b128 v[12:15], off, off offset:544
	v_add_f64_e32 v[148:149], v[148:149], v[150:151]
	s_wait_loadcnt_dscnt 0xa00
	v_mul_f64_e32 v[150:151], v[4:5], v[102:103]
	v_add_f64_e32 v[158:159], v[138:139], v[136:137]
	v_mul_f64_e32 v[102:103], v[6:7], v[102:103]
	ds_load_b128 v[136:139], v2 offset:1024
	v_fmac_f64_e32 v[152:153], v[146:147], v[96:97]
	v_fma_f64 v[144:145], v[144:145], v[96:97], -v[98:99]
	scratch_load_b128 v[96:99], off, off offset:560
	v_add_f64_e32 v[148:149], v[148:149], v[154:155]
	v_fmac_f64_e32 v[150:151], v[6:7], v[100:101]
	v_add_f64_e32 v[146:147], v[158:159], v[156:157]
	;; [unrolled: 18-line block ×3, first 2 shown]
	v_fma_f64 v[156:157], v[4:5], v[108:109], -v[110:111]
	ds_load_b128 v[4:7], v2 offset:1072
	s_wait_loadcnt_dscnt 0xa01
	v_mul_f64_e32 v[150:151], v[144:145], v[114:115]
	v_mul_f64_e32 v[114:115], v[146:147], v[114:115]
	scratch_load_b128 v[108:111], off, off offset:608
	v_add_f64_e32 v[148:149], v[148:149], v[154:155]
	s_wait_loadcnt_dscnt 0xa00
	v_mul_f64_e32 v[154:155], v[4:5], v[118:119]
	v_add_f64_e32 v[158:159], v[138:139], v[136:137]
	v_mul_f64_e32 v[118:119], v[6:7], v[118:119]
	ds_load_b128 v[136:139], v2 offset:1088
	v_fmac_f64_e32 v[150:151], v[146:147], v[112:113]
	v_fma_f64 v[112:113], v[144:145], v[112:113], -v[114:115]
	s_wait_loadcnt_dscnt 0x900
	v_mul_f64_e32 v[146:147], v[136:137], v[122:123]
	v_mul_f64_e32 v[122:123], v[138:139], v[122:123]
	v_add_f64_e32 v[144:145], v[148:149], v[152:153]
	v_fmac_f64_e32 v[154:155], v[6:7], v[116:117]
	v_add_f64_e32 v[114:115], v[158:159], v[156:157]
	v_fma_f64 v[116:117], v[4:5], v[116:117], -v[118:119]
	v_fmac_f64_e32 v[146:147], v[138:139], v[120:121]
	v_fma_f64 v[120:121], v[136:137], v[120:121], -v[122:123]
	v_add_f64_e32 v[144:145], v[144:145], v[150:151]
	v_add_f64_e32 v[118:119], v[114:115], v[112:113]
	ds_load_b128 v[4:7], v2 offset:1104
	ds_load_b128 v[112:115], v2 offset:1120
	s_wait_loadcnt_dscnt 0x801
	v_mul_f64_e32 v[148:149], v[4:5], v[130:131]
	v_mul_f64_e32 v[130:131], v[6:7], v[130:131]
	s_wait_loadcnt_dscnt 0x700
	v_mul_f64_e32 v[122:123], v[112:113], v[142:143]
	v_mul_f64_e32 v[136:137], v[114:115], v[142:143]
	v_add_f64_e32 v[116:117], v[118:119], v[116:117]
	v_add_f64_e32 v[118:119], v[144:145], v[154:155]
	v_fmac_f64_e32 v[148:149], v[6:7], v[128:129]
	v_fma_f64 v[128:129], v[4:5], v[128:129], -v[130:131]
	v_fmac_f64_e32 v[122:123], v[114:115], v[140:141]
	v_fma_f64 v[112:113], v[112:113], v[140:141], -v[136:137]
	v_add_f64_e32 v[120:121], v[116:117], v[120:121]
	v_add_f64_e32 v[130:131], v[118:119], v[146:147]
	ds_load_b128 v[4:7], v2 offset:1136
	ds_load_b128 v[116:119], v2 offset:1152
	s_wait_loadcnt_dscnt 0x601
	v_mul_f64_e32 v[138:139], v[4:5], v[126:127]
	v_mul_f64_e32 v[126:127], v[6:7], v[126:127]
	v_add_f64_e32 v[114:115], v[120:121], v[128:129]
	v_add_f64_e32 v[120:121], v[130:131], v[148:149]
	s_wait_loadcnt_dscnt 0x500
	v_mul_f64_e32 v[128:129], v[116:117], v[10:11]
	v_mul_f64_e32 v[10:11], v[118:119], v[10:11]
	v_fmac_f64_e32 v[138:139], v[6:7], v[124:125]
	v_fma_f64 v[124:125], v[4:5], v[124:125], -v[126:127]
	v_add_f64_e32 v[126:127], v[114:115], v[112:113]
	v_add_f64_e32 v[120:121], v[120:121], v[122:123]
	ds_load_b128 v[4:7], v2 offset:1168
	ds_load_b128 v[112:115], v2 offset:1184
	v_fmac_f64_e32 v[128:129], v[118:119], v[8:9]
	v_fma_f64 v[8:9], v[116:117], v[8:9], -v[10:11]
	s_wait_loadcnt_dscnt 0x401
	v_mul_f64_e32 v[122:123], v[4:5], v[14:15]
	v_mul_f64_e32 v[14:15], v[6:7], v[14:15]
	s_wait_loadcnt_dscnt 0x300
	v_mul_f64_e32 v[118:119], v[112:113], v[98:99]
	v_mul_f64_e32 v[98:99], v[114:115], v[98:99]
	v_add_f64_e32 v[10:11], v[126:127], v[124:125]
	v_add_f64_e32 v[116:117], v[120:121], v[138:139]
	v_fmac_f64_e32 v[122:123], v[6:7], v[12:13]
	v_fma_f64 v[12:13], v[4:5], v[12:13], -v[14:15]
	v_fmac_f64_e32 v[118:119], v[114:115], v[96:97]
	v_fma_f64 v[96:97], v[112:113], v[96:97], -v[98:99]
	v_add_f64_e32 v[14:15], v[10:11], v[8:9]
	v_add_f64_e32 v[116:117], v[116:117], v[128:129]
	ds_load_b128 v[4:7], v2 offset:1200
	ds_load_b128 v[8:11], v2 offset:1216
	s_wait_loadcnt_dscnt 0x201
	v_mul_f64_e32 v[120:121], v[4:5], v[102:103]
	v_mul_f64_e32 v[102:103], v[6:7], v[102:103]
	s_wait_loadcnt_dscnt 0x100
	v_mul_f64_e32 v[98:99], v[8:9], v[106:107]
	v_mul_f64_e32 v[106:107], v[10:11], v[106:107]
	v_add_f64_e32 v[12:13], v[14:15], v[12:13]
	v_add_f64_e32 v[14:15], v[116:117], v[122:123]
	v_fmac_f64_e32 v[120:121], v[6:7], v[100:101]
	v_fma_f64 v[100:101], v[4:5], v[100:101], -v[102:103]
	ds_load_b128 v[4:7], v2 offset:1232
	v_fmac_f64_e32 v[98:99], v[10:11], v[104:105]
	v_fma_f64 v[8:9], v[8:9], v[104:105], -v[106:107]
	v_add_f64_e32 v[12:13], v[12:13], v[96:97]
	v_add_f64_e32 v[14:15], v[14:15], v[118:119]
	s_wait_loadcnt_dscnt 0x0
	v_mul_f64_e32 v[96:97], v[4:5], v[110:111]
	v_mul_f64_e32 v[102:103], v[6:7], v[110:111]
	s_delay_alu instid0(VALU_DEP_4) | instskip(NEXT) | instid1(VALU_DEP_4)
	v_add_f64_e32 v[10:11], v[12:13], v[100:101]
	v_add_f64_e32 v[12:13], v[14:15], v[120:121]
	s_delay_alu instid0(VALU_DEP_4) | instskip(NEXT) | instid1(VALU_DEP_4)
	v_fmac_f64_e32 v[96:97], v[6:7], v[108:109]
	v_fma_f64 v[4:5], v[4:5], v[108:109], -v[102:103]
	s_delay_alu instid0(VALU_DEP_4) | instskip(NEXT) | instid1(VALU_DEP_4)
	v_add_f64_e32 v[6:7], v[10:11], v[8:9]
	v_add_f64_e32 v[8:9], v[12:13], v[98:99]
	s_delay_alu instid0(VALU_DEP_2) | instskip(NEXT) | instid1(VALU_DEP_2)
	v_add_f64_e32 v[4:5], v[6:7], v[4:5]
	v_add_f64_e32 v[6:7], v[8:9], v[96:97]
	s_delay_alu instid0(VALU_DEP_2) | instskip(NEXT) | instid1(VALU_DEP_2)
	v_add_f64_e64 v[4:5], v[132:133], -v[4:5]
	v_add_f64_e64 v[6:7], v[134:135], -v[6:7]
	scratch_store_b128 off, v[4:7], off offset:112
	s_wait_xcnt 0x0
	v_cmpx_lt_u32_e32 6, v1
	s_cbranch_execz .LBB38_235
; %bb.234:
	scratch_load_b128 v[6:9], off, s44
	v_dual_mov_b32 v3, v2 :: v_dual_mov_b32 v4, v2
	v_mov_b32_e32 v5, v2
	scratch_store_b128 off, v[2:5], off offset:96
	s_wait_loadcnt 0x0
	ds_store_b128 v94, v[6:9]
.LBB38_235:
	s_wait_xcnt 0x0
	s_or_b32 exec_lo, exec_lo, s2
	s_wait_storecnt_dscnt 0x0
	s_barrier_signal -1
	s_barrier_wait -1
	s_clause 0x9
	scratch_load_b128 v[4:7], off, off offset:112
	scratch_load_b128 v[8:11], off, off offset:128
	;; [unrolled: 1-line block ×10, first 2 shown]
	ds_load_b128 v[124:127], v2 offset:736
	ds_load_b128 v[132:135], v2 offset:752
	s_clause 0x2
	scratch_load_b128 v[128:131], off, off offset:272
	scratch_load_b128 v[136:139], off, off offset:96
	;; [unrolled: 1-line block ×3, first 2 shown]
	s_mov_b32 s2, exec_lo
	s_wait_loadcnt_dscnt 0xc01
	v_mul_f64_e32 v[144:145], v[126:127], v[6:7]
	v_mul_f64_e32 v[148:149], v[124:125], v[6:7]
	s_wait_loadcnt_dscnt 0xb00
	v_mul_f64_e32 v[150:151], v[132:133], v[10:11]
	v_mul_f64_e32 v[10:11], v[134:135], v[10:11]
	s_delay_alu instid0(VALU_DEP_4) | instskip(NEXT) | instid1(VALU_DEP_4)
	v_fma_f64 v[152:153], v[124:125], v[4:5], -v[144:145]
	v_fmac_f64_e32 v[148:149], v[126:127], v[4:5]
	ds_load_b128 v[4:7], v2 offset:768
	ds_load_b128 v[124:127], v2 offset:784
	scratch_load_b128 v[144:147], off, off offset:304
	v_fmac_f64_e32 v[150:151], v[134:135], v[8:9]
	v_fma_f64 v[132:133], v[132:133], v[8:9], -v[10:11]
	scratch_load_b128 v[8:11], off, off offset:320
	s_wait_loadcnt_dscnt 0xc01
	v_mul_f64_e32 v[154:155], v[4:5], v[14:15]
	v_mul_f64_e32 v[14:15], v[6:7], v[14:15]
	v_add_f64_e32 v[134:135], 0, v[152:153]
	v_add_f64_e32 v[148:149], 0, v[148:149]
	s_wait_loadcnt_dscnt 0xb00
	v_mul_f64_e32 v[152:153], v[124:125], v[98:99]
	v_mul_f64_e32 v[98:99], v[126:127], v[98:99]
	v_fmac_f64_e32 v[154:155], v[6:7], v[12:13]
	v_fma_f64 v[156:157], v[4:5], v[12:13], -v[14:15]
	ds_load_b128 v[4:7], v2 offset:800
	ds_load_b128 v[12:15], v2 offset:816
	v_add_f64_e32 v[158:159], v[134:135], v[132:133]
	v_add_f64_e32 v[148:149], v[148:149], v[150:151]
	scratch_load_b128 v[132:135], off, off offset:336
	v_fmac_f64_e32 v[152:153], v[126:127], v[96:97]
	v_fma_f64 v[124:125], v[124:125], v[96:97], -v[98:99]
	scratch_load_b128 v[96:99], off, off offset:352
	s_wait_loadcnt_dscnt 0xc01
	v_mul_f64_e32 v[150:151], v[4:5], v[102:103]
	v_mul_f64_e32 v[102:103], v[6:7], v[102:103]
	v_add_f64_e32 v[126:127], v[158:159], v[156:157]
	v_add_f64_e32 v[148:149], v[148:149], v[154:155]
	s_wait_loadcnt_dscnt 0xb00
	v_mul_f64_e32 v[154:155], v[12:13], v[106:107]
	v_mul_f64_e32 v[106:107], v[14:15], v[106:107]
	v_fmac_f64_e32 v[150:151], v[6:7], v[100:101]
	v_fma_f64 v[156:157], v[4:5], v[100:101], -v[102:103]
	ds_load_b128 v[4:7], v2 offset:832
	ds_load_b128 v[100:103], v2 offset:848
	v_add_f64_e32 v[158:159], v[126:127], v[124:125]
	v_add_f64_e32 v[148:149], v[148:149], v[152:153]
	scratch_load_b128 v[124:127], off, off offset:368
	s_wait_loadcnt_dscnt 0xb01
	v_mul_f64_e32 v[152:153], v[4:5], v[110:111]
	v_mul_f64_e32 v[110:111], v[6:7], v[110:111]
	v_fmac_f64_e32 v[154:155], v[14:15], v[104:105]
	v_fma_f64 v[104:105], v[12:13], v[104:105], -v[106:107]
	scratch_load_b128 v[12:15], off, off offset:384
	v_add_f64_e32 v[106:107], v[158:159], v[156:157]
	v_add_f64_e32 v[148:149], v[148:149], v[150:151]
	s_wait_loadcnt_dscnt 0xb00
	v_mul_f64_e32 v[150:151], v[100:101], v[114:115]
	v_mul_f64_e32 v[114:115], v[102:103], v[114:115]
	v_fmac_f64_e32 v[152:153], v[6:7], v[108:109]
	v_fma_f64 v[156:157], v[4:5], v[108:109], -v[110:111]
	v_add_f64_e32 v[158:159], v[106:107], v[104:105]
	v_add_f64_e32 v[148:149], v[148:149], v[154:155]
	ds_load_b128 v[4:7], v2 offset:864
	ds_load_b128 v[104:107], v2 offset:880
	scratch_load_b128 v[108:111], off, off offset:400
	v_fmac_f64_e32 v[150:151], v[102:103], v[112:113]
	v_fma_f64 v[112:113], v[100:101], v[112:113], -v[114:115]
	scratch_load_b128 v[100:103], off, off offset:416
	s_wait_loadcnt_dscnt 0xc01
	v_mul_f64_e32 v[154:155], v[4:5], v[118:119]
	v_mul_f64_e32 v[118:119], v[6:7], v[118:119]
	v_add_f64_e32 v[114:115], v[158:159], v[156:157]
	v_add_f64_e32 v[148:149], v[148:149], v[152:153]
	s_wait_loadcnt_dscnt 0xb00
	v_mul_f64_e32 v[152:153], v[104:105], v[122:123]
	v_mul_f64_e32 v[122:123], v[106:107], v[122:123]
	v_fmac_f64_e32 v[154:155], v[6:7], v[116:117]
	v_fma_f64 v[156:157], v[4:5], v[116:117], -v[118:119]
	v_add_f64_e32 v[158:159], v[114:115], v[112:113]
	v_add_f64_e32 v[148:149], v[148:149], v[150:151]
	ds_load_b128 v[4:7], v2 offset:896
	ds_load_b128 v[112:115], v2 offset:912
	scratch_load_b128 v[116:119], off, off offset:432
	v_fmac_f64_e32 v[152:153], v[106:107], v[120:121]
	v_fma_f64 v[120:121], v[104:105], v[120:121], -v[122:123]
	scratch_load_b128 v[104:107], off, off offset:448
	s_wait_loadcnt_dscnt 0xc01
	v_mul_f64_e32 v[150:151], v[4:5], v[130:131]
	v_mul_f64_e32 v[130:131], v[6:7], v[130:131]
	;; [unrolled: 18-line block ×5, first 2 shown]
	v_add_f64_e32 v[142:143], v[158:159], v[156:157]
	v_add_f64_e32 v[148:149], v[148:149], v[154:155]
	s_wait_loadcnt_dscnt 0xa00
	v_mul_f64_e32 v[154:155], v[120:121], v[14:15]
	v_mul_f64_e32 v[14:15], v[122:123], v[14:15]
	v_fmac_f64_e32 v[150:151], v[6:7], v[124:125]
	v_fma_f64 v[156:157], v[4:5], v[124:125], -v[126:127]
	ds_load_b128 v[4:7], v2 offset:1024
	ds_load_b128 v[124:127], v2 offset:1040
	v_add_f64_e32 v[158:159], v[142:143], v[140:141]
	v_add_f64_e32 v[148:149], v[148:149], v[152:153]
	scratch_load_b128 v[140:143], off, off offset:560
	v_fmac_f64_e32 v[154:155], v[122:123], v[12:13]
	v_fma_f64 v[120:121], v[120:121], v[12:13], -v[14:15]
	scratch_load_b128 v[12:15], off, off offset:576
	s_wait_loadcnt_dscnt 0xb01
	v_mul_f64_e32 v[152:153], v[4:5], v[110:111]
	v_mul_f64_e32 v[110:111], v[6:7], v[110:111]
	v_add_f64_e32 v[122:123], v[158:159], v[156:157]
	v_add_f64_e32 v[148:149], v[148:149], v[150:151]
	s_wait_loadcnt_dscnt 0xa00
	v_mul_f64_e32 v[150:151], v[124:125], v[102:103]
	v_mul_f64_e32 v[102:103], v[126:127], v[102:103]
	v_fmac_f64_e32 v[152:153], v[6:7], v[108:109]
	v_fma_f64 v[156:157], v[4:5], v[108:109], -v[110:111]
	ds_load_b128 v[4:7], v2 offset:1056
	ds_load_b128 v[108:111], v2 offset:1072
	v_add_f64_e32 v[158:159], v[122:123], v[120:121]
	v_add_f64_e32 v[148:149], v[148:149], v[154:155]
	scratch_load_b128 v[120:123], off, off offset:592
	s_wait_loadcnt_dscnt 0xa01
	v_mul_f64_e32 v[154:155], v[4:5], v[118:119]
	v_mul_f64_e32 v[118:119], v[6:7], v[118:119]
	v_fmac_f64_e32 v[150:151], v[126:127], v[100:101]
	v_fma_f64 v[124:125], v[124:125], v[100:101], -v[102:103]
	scratch_load_b128 v[100:103], off, off offset:608
	v_add_f64_e32 v[126:127], v[158:159], v[156:157]
	v_add_f64_e32 v[148:149], v[148:149], v[152:153]
	s_wait_loadcnt_dscnt 0xa00
	v_mul_f64_e32 v[152:153], v[108:109], v[106:107]
	v_mul_f64_e32 v[106:107], v[110:111], v[106:107]
	v_fmac_f64_e32 v[154:155], v[6:7], v[116:117]
	v_fma_f64 v[156:157], v[4:5], v[116:117], -v[118:119]
	ds_load_b128 v[4:7], v2 offset:1088
	ds_load_b128 v[116:119], v2 offset:1104
	v_add_f64_e32 v[124:125], v[126:127], v[124:125]
	v_add_f64_e32 v[126:127], v[148:149], v[150:151]
	v_fmac_f64_e32 v[152:153], v[110:111], v[104:105]
	s_wait_loadcnt_dscnt 0x901
	v_mul_f64_e32 v[148:149], v[4:5], v[130:131]
	v_mul_f64_e32 v[130:131], v[6:7], v[130:131]
	v_fma_f64 v[104:105], v[108:109], v[104:105], -v[106:107]
	s_wait_loadcnt_dscnt 0x800
	v_mul_f64_e32 v[110:111], v[116:117], v[114:115]
	v_mul_f64_e32 v[114:115], v[118:119], v[114:115]
	v_add_f64_e32 v[106:107], v[124:125], v[156:157]
	v_add_f64_e32 v[108:109], v[126:127], v[154:155]
	v_fmac_f64_e32 v[148:149], v[6:7], v[128:129]
	v_fma_f64 v[124:125], v[4:5], v[128:129], -v[130:131]
	v_fmac_f64_e32 v[110:111], v[118:119], v[112:113]
	v_fma_f64 v[112:113], v[116:117], v[112:113], -v[114:115]
	v_add_f64_e32 v[126:127], v[106:107], v[104:105]
	v_add_f64_e32 v[108:109], v[108:109], v[152:153]
	ds_load_b128 v[4:7], v2 offset:1120
	ds_load_b128 v[104:107], v2 offset:1136
	s_wait_loadcnt_dscnt 0x701
	v_mul_f64_e32 v[128:129], v[4:5], v[146:147]
	v_mul_f64_e32 v[130:131], v[6:7], v[146:147]
	s_wait_loadcnt_dscnt 0x600
	v_mul_f64_e32 v[116:117], v[104:105], v[10:11]
	v_mul_f64_e32 v[10:11], v[106:107], v[10:11]
	v_add_f64_e32 v[114:115], v[126:127], v[124:125]
	v_add_f64_e32 v[108:109], v[108:109], v[148:149]
	v_fmac_f64_e32 v[128:129], v[6:7], v[144:145]
	v_fma_f64 v[118:119], v[4:5], v[144:145], -v[130:131]
	v_fmac_f64_e32 v[116:117], v[106:107], v[8:9]
	v_fma_f64 v[8:9], v[104:105], v[8:9], -v[10:11]
	v_add_f64_e32 v[112:113], v[114:115], v[112:113]
	v_add_f64_e32 v[114:115], v[108:109], v[110:111]
	ds_load_b128 v[4:7], v2 offset:1152
	ds_load_b128 v[108:111], v2 offset:1168
	s_wait_loadcnt_dscnt 0x501
	v_mul_f64_e32 v[124:125], v[4:5], v[134:135]
	v_mul_f64_e32 v[126:127], v[6:7], v[134:135]
	;; [unrolled: 16-line block ×4, first 2 shown]
	s_wait_loadcnt_dscnt 0x0
	v_mul_f64_e32 v[14:15], v[96:97], v[102:103]
	v_mul_f64_e32 v[102:103], v[98:99], v[102:103]
	v_add_f64_e32 v[10:11], v[112:113], v[110:111]
	v_add_f64_e32 v[12:13], v[104:105], v[116:117]
	v_fmac_f64_e32 v[2:3], v[6:7], v[120:121]
	v_fma_f64 v[4:5], v[4:5], v[120:121], -v[106:107]
	v_fmac_f64_e32 v[14:15], v[98:99], v[100:101]
	v_add_f64_e32 v[6:7], v[10:11], v[8:9]
	v_add_f64_e32 v[8:9], v[12:13], v[108:109]
	v_fma_f64 v[10:11], v[96:97], v[100:101], -v[102:103]
	s_delay_alu instid0(VALU_DEP_3) | instskip(NEXT) | instid1(VALU_DEP_3)
	v_add_f64_e32 v[4:5], v[6:7], v[4:5]
	v_add_f64_e32 v[2:3], v[8:9], v[2:3]
	s_delay_alu instid0(VALU_DEP_2) | instskip(NEXT) | instid1(VALU_DEP_2)
	v_add_f64_e32 v[4:5], v[4:5], v[10:11]
	v_add_f64_e32 v[6:7], v[2:3], v[14:15]
	s_delay_alu instid0(VALU_DEP_2) | instskip(NEXT) | instid1(VALU_DEP_2)
	v_add_f64_e64 v[2:3], v[136:137], -v[4:5]
	v_add_f64_e64 v[4:5], v[138:139], -v[6:7]
	scratch_store_b128 off, v[2:5], off offset:96
	s_wait_xcnt 0x0
	v_cmpx_lt_u32_e32 5, v1
	s_cbranch_execz .LBB38_237
; %bb.236:
	scratch_load_b128 v[2:5], off, s42
	v_mov_b32_e32 v6, 0
	s_delay_alu instid0(VALU_DEP_1)
	v_dual_mov_b32 v7, v6 :: v_dual_mov_b32 v8, v6
	v_mov_b32_e32 v9, v6
	scratch_store_b128 off, v[6:9], off offset:80
	s_wait_loadcnt 0x0
	ds_store_b128 v94, v[2:5]
.LBB38_237:
	s_wait_xcnt 0x0
	s_or_b32 exec_lo, exec_lo, s2
	s_wait_storecnt_dscnt 0x0
	s_barrier_signal -1
	s_barrier_wait -1
	s_clause 0x9
	scratch_load_b128 v[4:7], off, off offset:96
	scratch_load_b128 v[8:11], off, off offset:112
	;; [unrolled: 1-line block ×10, first 2 shown]
	v_mov_b32_e32 v2, 0
	s_mov_b32 s2, exec_lo
	ds_load_b128 v[124:127], v2 offset:720
	s_clause 0x2
	scratch_load_b128 v[128:131], off, off offset:256
	scratch_load_b128 v[132:135], off, off offset:80
	;; [unrolled: 1-line block ×3, first 2 shown]
	s_wait_loadcnt_dscnt 0xc00
	v_mul_f64_e32 v[144:145], v[126:127], v[6:7]
	v_mul_f64_e32 v[148:149], v[124:125], v[6:7]
	ds_load_b128 v[136:139], v2 offset:736
	v_fma_f64 v[152:153], v[124:125], v[4:5], -v[144:145]
	v_fmac_f64_e32 v[148:149], v[126:127], v[4:5]
	ds_load_b128 v[4:7], v2 offset:752
	s_wait_loadcnt_dscnt 0xb01
	v_mul_f64_e32 v[150:151], v[136:137], v[10:11]
	v_mul_f64_e32 v[10:11], v[138:139], v[10:11]
	scratch_load_b128 v[124:127], off, off offset:288
	ds_load_b128 v[144:147], v2 offset:768
	s_wait_loadcnt_dscnt 0xb01
	v_mul_f64_e32 v[154:155], v[4:5], v[14:15]
	v_mul_f64_e32 v[14:15], v[6:7], v[14:15]
	v_add_f64_e32 v[148:149], 0, v[148:149]
	v_fmac_f64_e32 v[150:151], v[138:139], v[8:9]
	v_fma_f64 v[136:137], v[136:137], v[8:9], -v[10:11]
	v_add_f64_e32 v[138:139], 0, v[152:153]
	scratch_load_b128 v[8:11], off, off offset:304
	v_fmac_f64_e32 v[154:155], v[6:7], v[12:13]
	v_fma_f64 v[156:157], v[4:5], v[12:13], -v[14:15]
	ds_load_b128 v[4:7], v2 offset:784
	s_wait_loadcnt_dscnt 0xb01
	v_mul_f64_e32 v[152:153], v[144:145], v[98:99]
	v_mul_f64_e32 v[98:99], v[146:147], v[98:99]
	scratch_load_b128 v[12:15], off, off offset:320
	v_add_f64_e32 v[148:149], v[148:149], v[150:151]
	v_add_f64_e32 v[158:159], v[138:139], v[136:137]
	ds_load_b128 v[136:139], v2 offset:800
	s_wait_loadcnt_dscnt 0xb01
	v_mul_f64_e32 v[150:151], v[4:5], v[102:103]
	v_mul_f64_e32 v[102:103], v[6:7], v[102:103]
	v_fmac_f64_e32 v[152:153], v[146:147], v[96:97]
	v_fma_f64 v[144:145], v[144:145], v[96:97], -v[98:99]
	scratch_load_b128 v[96:99], off, off offset:336
	v_add_f64_e32 v[148:149], v[148:149], v[154:155]
	v_add_f64_e32 v[146:147], v[158:159], v[156:157]
	v_fmac_f64_e32 v[150:151], v[6:7], v[100:101]
	v_fma_f64 v[156:157], v[4:5], v[100:101], -v[102:103]
	ds_load_b128 v[4:7], v2 offset:816
	s_wait_loadcnt_dscnt 0xb01
	v_mul_f64_e32 v[154:155], v[136:137], v[106:107]
	v_mul_f64_e32 v[106:107], v[138:139], v[106:107]
	scratch_load_b128 v[100:103], off, off offset:352
	v_add_f64_e32 v[148:149], v[148:149], v[152:153]
	s_wait_loadcnt_dscnt 0xb00
	v_mul_f64_e32 v[152:153], v[4:5], v[110:111]
	v_add_f64_e32 v[158:159], v[146:147], v[144:145]
	v_mul_f64_e32 v[110:111], v[6:7], v[110:111]
	ds_load_b128 v[144:147], v2 offset:832
	v_fmac_f64_e32 v[154:155], v[138:139], v[104:105]
	v_fma_f64 v[136:137], v[136:137], v[104:105], -v[106:107]
	scratch_load_b128 v[104:107], off, off offset:368
	v_add_f64_e32 v[148:149], v[148:149], v[150:151]
	v_fmac_f64_e32 v[152:153], v[6:7], v[108:109]
	v_add_f64_e32 v[138:139], v[158:159], v[156:157]
	v_fma_f64 v[156:157], v[4:5], v[108:109], -v[110:111]
	ds_load_b128 v[4:7], v2 offset:848
	s_wait_loadcnt_dscnt 0xb01
	v_mul_f64_e32 v[150:151], v[144:145], v[114:115]
	v_mul_f64_e32 v[114:115], v[146:147], v[114:115]
	scratch_load_b128 v[108:111], off, off offset:384
	v_add_f64_e32 v[148:149], v[148:149], v[154:155]
	s_wait_loadcnt_dscnt 0xb00
	v_mul_f64_e32 v[154:155], v[4:5], v[118:119]
	v_add_f64_e32 v[158:159], v[138:139], v[136:137]
	v_mul_f64_e32 v[118:119], v[6:7], v[118:119]
	ds_load_b128 v[136:139], v2 offset:864
	v_fmac_f64_e32 v[150:151], v[146:147], v[112:113]
	v_fma_f64 v[144:145], v[144:145], v[112:113], -v[114:115]
	scratch_load_b128 v[112:115], off, off offset:400
	v_add_f64_e32 v[148:149], v[148:149], v[152:153]
	v_fmac_f64_e32 v[154:155], v[6:7], v[116:117]
	v_add_f64_e32 v[146:147], v[158:159], v[156:157]
	;; [unrolled: 18-line block ×3, first 2 shown]
	v_fma_f64 v[156:157], v[4:5], v[128:129], -v[130:131]
	ds_load_b128 v[4:7], v2 offset:912
	s_wait_loadcnt_dscnt 0xa01
	v_mul_f64_e32 v[154:155], v[144:145], v[142:143]
	v_mul_f64_e32 v[142:143], v[146:147], v[142:143]
	scratch_load_b128 v[128:131], off, off offset:448
	v_add_f64_e32 v[148:149], v[148:149], v[152:153]
	v_add_f64_e32 v[158:159], v[138:139], v[136:137]
	s_wait_loadcnt_dscnt 0xa00
	v_mul_f64_e32 v[152:153], v[4:5], v[126:127]
	v_mul_f64_e32 v[126:127], v[6:7], v[126:127]
	v_fmac_f64_e32 v[154:155], v[146:147], v[140:141]
	v_fma_f64 v[144:145], v[144:145], v[140:141], -v[142:143]
	ds_load_b128 v[136:139], v2 offset:928
	scratch_load_b128 v[140:143], off, off offset:464
	v_add_f64_e32 v[148:149], v[148:149], v[150:151]
	v_add_f64_e32 v[146:147], v[158:159], v[156:157]
	v_fmac_f64_e32 v[152:153], v[6:7], v[124:125]
	v_fma_f64 v[156:157], v[4:5], v[124:125], -v[126:127]
	ds_load_b128 v[4:7], v2 offset:944
	s_wait_loadcnt_dscnt 0xa01
	v_mul_f64_e32 v[150:151], v[136:137], v[10:11]
	v_mul_f64_e32 v[10:11], v[138:139], v[10:11]
	scratch_load_b128 v[124:127], off, off offset:480
	v_add_f64_e32 v[148:149], v[148:149], v[154:155]
	s_wait_loadcnt_dscnt 0xa00
	v_mul_f64_e32 v[154:155], v[4:5], v[14:15]
	v_add_f64_e32 v[158:159], v[146:147], v[144:145]
	v_mul_f64_e32 v[14:15], v[6:7], v[14:15]
	ds_load_b128 v[144:147], v2 offset:960
	v_fmac_f64_e32 v[150:151], v[138:139], v[8:9]
	v_fma_f64 v[136:137], v[136:137], v[8:9], -v[10:11]
	scratch_load_b128 v[8:11], off, off offset:496
	v_add_f64_e32 v[148:149], v[148:149], v[152:153]
	v_fmac_f64_e32 v[154:155], v[6:7], v[12:13]
	v_add_f64_e32 v[138:139], v[158:159], v[156:157]
	v_fma_f64 v[156:157], v[4:5], v[12:13], -v[14:15]
	ds_load_b128 v[4:7], v2 offset:976
	s_wait_loadcnt_dscnt 0xa01
	v_mul_f64_e32 v[152:153], v[144:145], v[98:99]
	v_mul_f64_e32 v[98:99], v[146:147], v[98:99]
	scratch_load_b128 v[12:15], off, off offset:512
	v_add_f64_e32 v[148:149], v[148:149], v[150:151]
	s_wait_loadcnt_dscnt 0xa00
	v_mul_f64_e32 v[150:151], v[4:5], v[102:103]
	v_add_f64_e32 v[158:159], v[138:139], v[136:137]
	v_mul_f64_e32 v[102:103], v[6:7], v[102:103]
	ds_load_b128 v[136:139], v2 offset:992
	v_fmac_f64_e32 v[152:153], v[146:147], v[96:97]
	v_fma_f64 v[144:145], v[144:145], v[96:97], -v[98:99]
	scratch_load_b128 v[96:99], off, off offset:528
	v_add_f64_e32 v[148:149], v[148:149], v[154:155]
	v_fmac_f64_e32 v[150:151], v[6:7], v[100:101]
	v_add_f64_e32 v[146:147], v[158:159], v[156:157]
	;; [unrolled: 18-line block ×4, first 2 shown]
	v_fma_f64 v[156:157], v[4:5], v[116:117], -v[118:119]
	ds_load_b128 v[4:7], v2 offset:1072
	s_wait_loadcnt_dscnt 0xa01
	v_mul_f64_e32 v[152:153], v[136:137], v[122:123]
	v_mul_f64_e32 v[122:123], v[138:139], v[122:123]
	scratch_load_b128 v[116:119], off, off offset:608
	v_add_f64_e32 v[148:149], v[148:149], v[150:151]
	s_wait_loadcnt_dscnt 0xa00
	v_mul_f64_e32 v[150:151], v[4:5], v[130:131]
	v_add_f64_e32 v[158:159], v[146:147], v[144:145]
	v_mul_f64_e32 v[130:131], v[6:7], v[130:131]
	ds_load_b128 v[144:147], v2 offset:1088
	v_fmac_f64_e32 v[152:153], v[138:139], v[120:121]
	v_fma_f64 v[120:121], v[136:137], v[120:121], -v[122:123]
	s_wait_loadcnt_dscnt 0x900
	v_mul_f64_e32 v[138:139], v[144:145], v[142:143]
	v_mul_f64_e32 v[142:143], v[146:147], v[142:143]
	v_add_f64_e32 v[136:137], v[148:149], v[154:155]
	v_fmac_f64_e32 v[150:151], v[6:7], v[128:129]
	v_add_f64_e32 v[122:123], v[158:159], v[156:157]
	v_fma_f64 v[128:129], v[4:5], v[128:129], -v[130:131]
	v_fmac_f64_e32 v[138:139], v[146:147], v[140:141]
	v_fma_f64 v[140:141], v[144:145], v[140:141], -v[142:143]
	v_add_f64_e32 v[136:137], v[136:137], v[152:153]
	v_add_f64_e32 v[130:131], v[122:123], v[120:121]
	ds_load_b128 v[4:7], v2 offset:1104
	ds_load_b128 v[120:123], v2 offset:1120
	s_wait_loadcnt_dscnt 0x801
	v_mul_f64_e32 v[148:149], v[4:5], v[126:127]
	v_mul_f64_e32 v[126:127], v[6:7], v[126:127]
	v_add_f64_e32 v[128:129], v[130:131], v[128:129]
	v_add_f64_e32 v[130:131], v[136:137], v[150:151]
	s_wait_loadcnt_dscnt 0x700
	v_mul_f64_e32 v[136:137], v[120:121], v[10:11]
	v_mul_f64_e32 v[10:11], v[122:123], v[10:11]
	v_fmac_f64_e32 v[148:149], v[6:7], v[124:125]
	v_fma_f64 v[142:143], v[4:5], v[124:125], -v[126:127]
	ds_load_b128 v[4:7], v2 offset:1136
	ds_load_b128 v[124:127], v2 offset:1152
	v_add_f64_e32 v[128:129], v[128:129], v[140:141]
	v_add_f64_e32 v[130:131], v[130:131], v[138:139]
	v_fmac_f64_e32 v[136:137], v[122:123], v[8:9]
	v_fma_f64 v[8:9], v[120:121], v[8:9], -v[10:11]
	s_wait_loadcnt_dscnt 0x601
	v_mul_f64_e32 v[138:139], v[4:5], v[14:15]
	v_mul_f64_e32 v[14:15], v[6:7], v[14:15]
	s_wait_loadcnt_dscnt 0x500
	v_mul_f64_e32 v[122:123], v[124:125], v[98:99]
	v_mul_f64_e32 v[98:99], v[126:127], v[98:99]
	v_add_f64_e32 v[10:11], v[128:129], v[142:143]
	v_add_f64_e32 v[120:121], v[130:131], v[148:149]
	v_fmac_f64_e32 v[138:139], v[6:7], v[12:13]
	v_fma_f64 v[12:13], v[4:5], v[12:13], -v[14:15]
	v_fmac_f64_e32 v[122:123], v[126:127], v[96:97]
	v_fma_f64 v[96:97], v[124:125], v[96:97], -v[98:99]
	v_add_f64_e32 v[14:15], v[10:11], v[8:9]
	v_add_f64_e32 v[120:121], v[120:121], v[136:137]
	ds_load_b128 v[4:7], v2 offset:1168
	ds_load_b128 v[8:11], v2 offset:1184
	s_wait_loadcnt_dscnt 0x401
	v_mul_f64_e32 v[128:129], v[4:5], v[102:103]
	v_mul_f64_e32 v[102:103], v[6:7], v[102:103]
	s_wait_loadcnt_dscnt 0x300
	v_mul_f64_e32 v[98:99], v[8:9], v[106:107]
	v_mul_f64_e32 v[106:107], v[10:11], v[106:107]
	v_add_f64_e32 v[12:13], v[14:15], v[12:13]
	v_add_f64_e32 v[14:15], v[120:121], v[138:139]
	v_fmac_f64_e32 v[128:129], v[6:7], v[100:101]
	v_fma_f64 v[100:101], v[4:5], v[100:101], -v[102:103]
	v_fmac_f64_e32 v[98:99], v[10:11], v[104:105]
	v_fma_f64 v[8:9], v[8:9], v[104:105], -v[106:107]
	v_add_f64_e32 v[96:97], v[12:13], v[96:97]
	v_add_f64_e32 v[102:103], v[14:15], v[122:123]
	ds_load_b128 v[4:7], v2 offset:1200
	ds_load_b128 v[12:15], v2 offset:1216
	s_wait_loadcnt_dscnt 0x201
	v_mul_f64_e32 v[120:121], v[4:5], v[110:111]
	v_mul_f64_e32 v[110:111], v[6:7], v[110:111]
	v_add_f64_e32 v[10:11], v[96:97], v[100:101]
	v_add_f64_e32 v[96:97], v[102:103], v[128:129]
	s_wait_loadcnt_dscnt 0x100
	v_mul_f64_e32 v[100:101], v[12:13], v[114:115]
	v_mul_f64_e32 v[102:103], v[14:15], v[114:115]
	v_fmac_f64_e32 v[120:121], v[6:7], v[108:109]
	v_fma_f64 v[104:105], v[4:5], v[108:109], -v[110:111]
	ds_load_b128 v[4:7], v2 offset:1232
	v_add_f64_e32 v[8:9], v[10:11], v[8:9]
	v_add_f64_e32 v[10:11], v[96:97], v[98:99]
	v_fmac_f64_e32 v[100:101], v[14:15], v[112:113]
	v_fma_f64 v[12:13], v[12:13], v[112:113], -v[102:103]
	s_wait_loadcnt_dscnt 0x0
	v_mul_f64_e32 v[96:97], v[4:5], v[118:119]
	v_mul_f64_e32 v[98:99], v[6:7], v[118:119]
	v_add_f64_e32 v[8:9], v[8:9], v[104:105]
	v_add_f64_e32 v[10:11], v[10:11], v[120:121]
	s_delay_alu instid0(VALU_DEP_4) | instskip(NEXT) | instid1(VALU_DEP_4)
	v_fmac_f64_e32 v[96:97], v[6:7], v[116:117]
	v_fma_f64 v[4:5], v[4:5], v[116:117], -v[98:99]
	s_delay_alu instid0(VALU_DEP_4) | instskip(NEXT) | instid1(VALU_DEP_4)
	v_add_f64_e32 v[6:7], v[8:9], v[12:13]
	v_add_f64_e32 v[8:9], v[10:11], v[100:101]
	s_delay_alu instid0(VALU_DEP_2) | instskip(NEXT) | instid1(VALU_DEP_2)
	v_add_f64_e32 v[4:5], v[6:7], v[4:5]
	v_add_f64_e32 v[6:7], v[8:9], v[96:97]
	s_delay_alu instid0(VALU_DEP_2) | instskip(NEXT) | instid1(VALU_DEP_2)
	v_add_f64_e64 v[4:5], v[132:133], -v[4:5]
	v_add_f64_e64 v[6:7], v[134:135], -v[6:7]
	scratch_store_b128 off, v[4:7], off offset:80
	s_wait_xcnt 0x0
	v_cmpx_lt_u32_e32 4, v1
	s_cbranch_execz .LBB38_239
; %bb.238:
	scratch_load_b128 v[6:9], off, s33
	v_dual_mov_b32 v3, v2 :: v_dual_mov_b32 v4, v2
	v_mov_b32_e32 v5, v2
	scratch_store_b128 off, v[2:5], off offset:64
	s_wait_loadcnt 0x0
	ds_store_b128 v94, v[6:9]
.LBB38_239:
	s_wait_xcnt 0x0
	s_or_b32 exec_lo, exec_lo, s2
	s_wait_storecnt_dscnt 0x0
	s_barrier_signal -1
	s_barrier_wait -1
	s_clause 0x9
	scratch_load_b128 v[4:7], off, off offset:80
	scratch_load_b128 v[8:11], off, off offset:96
	;; [unrolled: 1-line block ×10, first 2 shown]
	ds_load_b128 v[124:127], v2 offset:704
	ds_load_b128 v[132:135], v2 offset:720
	s_clause 0x2
	scratch_load_b128 v[128:131], off, off offset:240
	scratch_load_b128 v[136:139], off, off offset:64
	;; [unrolled: 1-line block ×3, first 2 shown]
	s_mov_b32 s2, exec_lo
	s_wait_loadcnt_dscnt 0xc01
	v_mul_f64_e32 v[144:145], v[126:127], v[6:7]
	v_mul_f64_e32 v[148:149], v[124:125], v[6:7]
	s_wait_loadcnt_dscnt 0xb00
	v_mul_f64_e32 v[150:151], v[132:133], v[10:11]
	v_mul_f64_e32 v[10:11], v[134:135], v[10:11]
	s_delay_alu instid0(VALU_DEP_4) | instskip(NEXT) | instid1(VALU_DEP_4)
	v_fma_f64 v[152:153], v[124:125], v[4:5], -v[144:145]
	v_fmac_f64_e32 v[148:149], v[126:127], v[4:5]
	ds_load_b128 v[4:7], v2 offset:736
	ds_load_b128 v[124:127], v2 offset:752
	scratch_load_b128 v[144:147], off, off offset:272
	v_fmac_f64_e32 v[150:151], v[134:135], v[8:9]
	v_fma_f64 v[132:133], v[132:133], v[8:9], -v[10:11]
	scratch_load_b128 v[8:11], off, off offset:288
	s_wait_loadcnt_dscnt 0xc01
	v_mul_f64_e32 v[154:155], v[4:5], v[14:15]
	v_mul_f64_e32 v[14:15], v[6:7], v[14:15]
	v_add_f64_e32 v[134:135], 0, v[152:153]
	v_add_f64_e32 v[148:149], 0, v[148:149]
	s_wait_loadcnt_dscnt 0xb00
	v_mul_f64_e32 v[152:153], v[124:125], v[98:99]
	v_mul_f64_e32 v[98:99], v[126:127], v[98:99]
	v_fmac_f64_e32 v[154:155], v[6:7], v[12:13]
	v_fma_f64 v[156:157], v[4:5], v[12:13], -v[14:15]
	ds_load_b128 v[4:7], v2 offset:768
	ds_load_b128 v[12:15], v2 offset:784
	v_add_f64_e32 v[158:159], v[134:135], v[132:133]
	v_add_f64_e32 v[148:149], v[148:149], v[150:151]
	scratch_load_b128 v[132:135], off, off offset:304
	v_fmac_f64_e32 v[152:153], v[126:127], v[96:97]
	v_fma_f64 v[124:125], v[124:125], v[96:97], -v[98:99]
	scratch_load_b128 v[96:99], off, off offset:320
	s_wait_loadcnt_dscnt 0xc01
	v_mul_f64_e32 v[150:151], v[4:5], v[102:103]
	v_mul_f64_e32 v[102:103], v[6:7], v[102:103]
	v_add_f64_e32 v[126:127], v[158:159], v[156:157]
	v_add_f64_e32 v[148:149], v[148:149], v[154:155]
	s_wait_loadcnt_dscnt 0xb00
	v_mul_f64_e32 v[154:155], v[12:13], v[106:107]
	v_mul_f64_e32 v[106:107], v[14:15], v[106:107]
	v_fmac_f64_e32 v[150:151], v[6:7], v[100:101]
	v_fma_f64 v[156:157], v[4:5], v[100:101], -v[102:103]
	ds_load_b128 v[4:7], v2 offset:800
	ds_load_b128 v[100:103], v2 offset:816
	v_add_f64_e32 v[158:159], v[126:127], v[124:125]
	v_add_f64_e32 v[148:149], v[148:149], v[152:153]
	scratch_load_b128 v[124:127], off, off offset:336
	s_wait_loadcnt_dscnt 0xb01
	v_mul_f64_e32 v[152:153], v[4:5], v[110:111]
	v_mul_f64_e32 v[110:111], v[6:7], v[110:111]
	v_fmac_f64_e32 v[154:155], v[14:15], v[104:105]
	v_fma_f64 v[104:105], v[12:13], v[104:105], -v[106:107]
	scratch_load_b128 v[12:15], off, off offset:352
	v_add_f64_e32 v[106:107], v[158:159], v[156:157]
	v_add_f64_e32 v[148:149], v[148:149], v[150:151]
	s_wait_loadcnt_dscnt 0xb00
	v_mul_f64_e32 v[150:151], v[100:101], v[114:115]
	v_mul_f64_e32 v[114:115], v[102:103], v[114:115]
	v_fmac_f64_e32 v[152:153], v[6:7], v[108:109]
	v_fma_f64 v[156:157], v[4:5], v[108:109], -v[110:111]
	v_add_f64_e32 v[158:159], v[106:107], v[104:105]
	v_add_f64_e32 v[148:149], v[148:149], v[154:155]
	ds_load_b128 v[4:7], v2 offset:832
	ds_load_b128 v[104:107], v2 offset:848
	scratch_load_b128 v[108:111], off, off offset:368
	v_fmac_f64_e32 v[150:151], v[102:103], v[112:113]
	v_fma_f64 v[112:113], v[100:101], v[112:113], -v[114:115]
	scratch_load_b128 v[100:103], off, off offset:384
	s_wait_loadcnt_dscnt 0xc01
	v_mul_f64_e32 v[154:155], v[4:5], v[118:119]
	v_mul_f64_e32 v[118:119], v[6:7], v[118:119]
	v_add_f64_e32 v[114:115], v[158:159], v[156:157]
	v_add_f64_e32 v[148:149], v[148:149], v[152:153]
	s_wait_loadcnt_dscnt 0xb00
	v_mul_f64_e32 v[152:153], v[104:105], v[122:123]
	v_mul_f64_e32 v[122:123], v[106:107], v[122:123]
	v_fmac_f64_e32 v[154:155], v[6:7], v[116:117]
	v_fma_f64 v[156:157], v[4:5], v[116:117], -v[118:119]
	v_add_f64_e32 v[158:159], v[114:115], v[112:113]
	v_add_f64_e32 v[148:149], v[148:149], v[150:151]
	ds_load_b128 v[4:7], v2 offset:864
	ds_load_b128 v[112:115], v2 offset:880
	scratch_load_b128 v[116:119], off, off offset:400
	v_fmac_f64_e32 v[152:153], v[106:107], v[120:121]
	v_fma_f64 v[120:121], v[104:105], v[120:121], -v[122:123]
	scratch_load_b128 v[104:107], off, off offset:416
	s_wait_loadcnt_dscnt 0xc01
	v_mul_f64_e32 v[150:151], v[4:5], v[130:131]
	v_mul_f64_e32 v[130:131], v[6:7], v[130:131]
	v_add_f64_e32 v[122:123], v[158:159], v[156:157]
	v_add_f64_e32 v[148:149], v[148:149], v[154:155]
	s_wait_loadcnt_dscnt 0xa00
	v_mul_f64_e32 v[154:155], v[112:113], v[142:143]
	v_mul_f64_e32 v[142:143], v[114:115], v[142:143]
	v_fmac_f64_e32 v[150:151], v[6:7], v[128:129]
	v_fma_f64 v[156:157], v[4:5], v[128:129], -v[130:131]
	v_add_f64_e32 v[158:159], v[122:123], v[120:121]
	v_add_f64_e32 v[148:149], v[148:149], v[152:153]
	ds_load_b128 v[4:7], v2 offset:896
	ds_load_b128 v[120:123], v2 offset:912
	scratch_load_b128 v[128:131], off, off offset:432
	v_fmac_f64_e32 v[154:155], v[114:115], v[140:141]
	v_fma_f64 v[140:141], v[112:113], v[140:141], -v[142:143]
	scratch_load_b128 v[112:115], off, off offset:448
	s_wait_loadcnt_dscnt 0xb01
	v_mul_f64_e32 v[152:153], v[4:5], v[146:147]
	v_mul_f64_e32 v[146:147], v[6:7], v[146:147]
	v_add_f64_e32 v[142:143], v[158:159], v[156:157]
	v_add_f64_e32 v[148:149], v[148:149], v[150:151]
	s_wait_loadcnt_dscnt 0xa00
	v_mul_f64_e32 v[150:151], v[120:121], v[10:11]
	v_mul_f64_e32 v[10:11], v[122:123], v[10:11]
	v_fmac_f64_e32 v[152:153], v[6:7], v[144:145]
	v_fma_f64 v[156:157], v[4:5], v[144:145], -v[146:147]
	v_add_f64_e32 v[158:159], v[142:143], v[140:141]
	v_add_f64_e32 v[148:149], v[148:149], v[154:155]
	ds_load_b128 v[4:7], v2 offset:928
	ds_load_b128 v[140:143], v2 offset:944
	scratch_load_b128 v[144:147], off, off offset:464
	v_fmac_f64_e32 v[150:151], v[122:123], v[8:9]
	v_fma_f64 v[120:121], v[120:121], v[8:9], -v[10:11]
	scratch_load_b128 v[8:11], off, off offset:480
	s_wait_loadcnt_dscnt 0xb01
	v_mul_f64_e32 v[154:155], v[4:5], v[134:135]
	v_mul_f64_e32 v[134:135], v[6:7], v[134:135]
	v_add_f64_e32 v[122:123], v[158:159], v[156:157]
	v_add_f64_e32 v[148:149], v[148:149], v[152:153]
	s_wait_loadcnt_dscnt 0xa00
	v_mul_f64_e32 v[152:153], v[140:141], v[98:99]
	v_mul_f64_e32 v[98:99], v[142:143], v[98:99]
	v_fmac_f64_e32 v[154:155], v[6:7], v[132:133]
	v_fma_f64 v[156:157], v[4:5], v[132:133], -v[134:135]
	v_add_f64_e32 v[158:159], v[122:123], v[120:121]
	v_add_f64_e32 v[148:149], v[148:149], v[150:151]
	ds_load_b128 v[4:7], v2 offset:960
	ds_load_b128 v[120:123], v2 offset:976
	scratch_load_b128 v[132:135], off, off offset:496
	v_fmac_f64_e32 v[152:153], v[142:143], v[96:97]
	v_fma_f64 v[140:141], v[140:141], v[96:97], -v[98:99]
	scratch_load_b128 v[96:99], off, off offset:512
	s_wait_loadcnt_dscnt 0xb01
	v_mul_f64_e32 v[150:151], v[4:5], v[126:127]
	v_mul_f64_e32 v[126:127], v[6:7], v[126:127]
	v_add_f64_e32 v[142:143], v[158:159], v[156:157]
	v_add_f64_e32 v[148:149], v[148:149], v[154:155]
	s_wait_loadcnt_dscnt 0xa00
	v_mul_f64_e32 v[154:155], v[120:121], v[14:15]
	v_mul_f64_e32 v[14:15], v[122:123], v[14:15]
	v_fmac_f64_e32 v[150:151], v[6:7], v[124:125]
	v_fma_f64 v[156:157], v[4:5], v[124:125], -v[126:127]
	ds_load_b128 v[4:7], v2 offset:992
	ds_load_b128 v[124:127], v2 offset:1008
	v_add_f64_e32 v[158:159], v[142:143], v[140:141]
	v_add_f64_e32 v[148:149], v[148:149], v[152:153]
	scratch_load_b128 v[140:143], off, off offset:528
	v_fmac_f64_e32 v[154:155], v[122:123], v[12:13]
	v_fma_f64 v[120:121], v[120:121], v[12:13], -v[14:15]
	scratch_load_b128 v[12:15], off, off offset:544
	s_wait_loadcnt_dscnt 0xb01
	v_mul_f64_e32 v[152:153], v[4:5], v[110:111]
	v_mul_f64_e32 v[110:111], v[6:7], v[110:111]
	v_add_f64_e32 v[122:123], v[158:159], v[156:157]
	v_add_f64_e32 v[148:149], v[148:149], v[150:151]
	s_wait_loadcnt_dscnt 0xa00
	v_mul_f64_e32 v[150:151], v[124:125], v[102:103]
	v_mul_f64_e32 v[102:103], v[126:127], v[102:103]
	v_fmac_f64_e32 v[152:153], v[6:7], v[108:109]
	v_fma_f64 v[156:157], v[4:5], v[108:109], -v[110:111]
	ds_load_b128 v[4:7], v2 offset:1024
	ds_load_b128 v[108:111], v2 offset:1040
	v_add_f64_e32 v[158:159], v[122:123], v[120:121]
	v_add_f64_e32 v[148:149], v[148:149], v[154:155]
	scratch_load_b128 v[120:123], off, off offset:560
	s_wait_loadcnt_dscnt 0xa01
	v_mul_f64_e32 v[154:155], v[4:5], v[118:119]
	v_mul_f64_e32 v[118:119], v[6:7], v[118:119]
	v_fmac_f64_e32 v[150:151], v[126:127], v[100:101]
	v_fma_f64 v[124:125], v[124:125], v[100:101], -v[102:103]
	scratch_load_b128 v[100:103], off, off offset:576
	v_add_f64_e32 v[126:127], v[158:159], v[156:157]
	v_add_f64_e32 v[148:149], v[148:149], v[152:153]
	s_wait_loadcnt_dscnt 0xa00
	v_mul_f64_e32 v[152:153], v[108:109], v[106:107]
	v_mul_f64_e32 v[106:107], v[110:111], v[106:107]
	v_fmac_f64_e32 v[154:155], v[6:7], v[116:117]
	v_fma_f64 v[156:157], v[4:5], v[116:117], -v[118:119]
	ds_load_b128 v[4:7], v2 offset:1056
	ds_load_b128 v[116:119], v2 offset:1072
	v_add_f64_e32 v[158:159], v[126:127], v[124:125]
	v_add_f64_e32 v[148:149], v[148:149], v[150:151]
	scratch_load_b128 v[124:127], off, off offset:592
	s_wait_loadcnt_dscnt 0xa01
	v_mul_f64_e32 v[150:151], v[4:5], v[130:131]
	v_mul_f64_e32 v[130:131], v[6:7], v[130:131]
	v_fmac_f64_e32 v[152:153], v[110:111], v[104:105]
	v_fma_f64 v[108:109], v[108:109], v[104:105], -v[106:107]
	scratch_load_b128 v[104:107], off, off offset:608
	v_add_f64_e32 v[110:111], v[158:159], v[156:157]
	v_add_f64_e32 v[148:149], v[148:149], v[154:155]
	s_wait_loadcnt_dscnt 0xa00
	v_mul_f64_e32 v[154:155], v[116:117], v[114:115]
	v_mul_f64_e32 v[114:115], v[118:119], v[114:115]
	v_fmac_f64_e32 v[150:151], v[6:7], v[128:129]
	v_fma_f64 v[128:129], v[4:5], v[128:129], -v[130:131]
	v_add_f64_e32 v[130:131], v[110:111], v[108:109]
	v_add_f64_e32 v[148:149], v[148:149], v[152:153]
	ds_load_b128 v[4:7], v2 offset:1088
	ds_load_b128 v[108:111], v2 offset:1104
	v_fmac_f64_e32 v[154:155], v[118:119], v[112:113]
	v_fma_f64 v[112:113], v[116:117], v[112:113], -v[114:115]
	s_wait_loadcnt_dscnt 0x901
	v_mul_f64_e32 v[152:153], v[4:5], v[146:147]
	v_mul_f64_e32 v[146:147], v[6:7], v[146:147]
	s_wait_loadcnt_dscnt 0x800
	v_mul_f64_e32 v[118:119], v[108:109], v[10:11]
	v_mul_f64_e32 v[10:11], v[110:111], v[10:11]
	v_add_f64_e32 v[114:115], v[130:131], v[128:129]
	v_add_f64_e32 v[116:117], v[148:149], v[150:151]
	v_fmac_f64_e32 v[152:153], v[6:7], v[144:145]
	v_fma_f64 v[128:129], v[4:5], v[144:145], -v[146:147]
	v_fmac_f64_e32 v[118:119], v[110:111], v[8:9]
	v_fma_f64 v[8:9], v[108:109], v[8:9], -v[10:11]
	v_add_f64_e32 v[130:131], v[114:115], v[112:113]
	v_add_f64_e32 v[116:117], v[116:117], v[154:155]
	ds_load_b128 v[4:7], v2 offset:1120
	ds_load_b128 v[112:115], v2 offset:1136
	s_wait_loadcnt_dscnt 0x701
	v_mul_f64_e32 v[144:145], v[4:5], v[134:135]
	v_mul_f64_e32 v[134:135], v[6:7], v[134:135]
	s_wait_loadcnt_dscnt 0x600
	v_mul_f64_e32 v[110:111], v[112:113], v[98:99]
	v_mul_f64_e32 v[98:99], v[114:115], v[98:99]
	v_add_f64_e32 v[10:11], v[130:131], v[128:129]
	v_add_f64_e32 v[108:109], v[116:117], v[152:153]
	v_fmac_f64_e32 v[144:145], v[6:7], v[132:133]
	v_fma_f64 v[116:117], v[4:5], v[132:133], -v[134:135]
	v_fmac_f64_e32 v[110:111], v[114:115], v[96:97]
	v_fma_f64 v[96:97], v[112:113], v[96:97], -v[98:99]
	v_add_f64_e32 v[128:129], v[10:11], v[8:9]
	v_add_f64_e32 v[108:109], v[108:109], v[118:119]
	ds_load_b128 v[4:7], v2 offset:1152
	ds_load_b128 v[8:11], v2 offset:1168
	;; [unrolled: 16-line block ×4, first 2 shown]
	s_wait_loadcnt_dscnt 0x101
	v_mul_f64_e32 v[2:3], v[4:5], v[126:127]
	v_mul_f64_e32 v[112:113], v[6:7], v[126:127]
	s_wait_loadcnt_dscnt 0x0
	v_mul_f64_e32 v[100:101], v[8:9], v[106:107]
	v_mul_f64_e32 v[102:103], v[10:11], v[106:107]
	v_add_f64_e32 v[98:99], v[114:115], v[108:109]
	v_add_f64_e32 v[12:13], v[12:13], v[110:111]
	v_fmac_f64_e32 v[2:3], v[6:7], v[124:125]
	v_fma_f64 v[4:5], v[4:5], v[124:125], -v[112:113]
	v_fmac_f64_e32 v[100:101], v[10:11], v[104:105]
	v_fma_f64 v[8:9], v[8:9], v[104:105], -v[102:103]
	v_add_f64_e32 v[6:7], v[98:99], v[96:97]
	v_add_f64_e32 v[12:13], v[12:13], v[14:15]
	s_delay_alu instid0(VALU_DEP_2) | instskip(NEXT) | instid1(VALU_DEP_2)
	v_add_f64_e32 v[4:5], v[6:7], v[4:5]
	v_add_f64_e32 v[2:3], v[12:13], v[2:3]
	s_delay_alu instid0(VALU_DEP_2) | instskip(NEXT) | instid1(VALU_DEP_2)
	;; [unrolled: 3-line block ×3, first 2 shown]
	v_add_f64_e64 v[2:3], v[136:137], -v[4:5]
	v_add_f64_e64 v[4:5], v[138:139], -v[6:7]
	scratch_store_b128 off, v[2:5], off offset:64
	s_wait_xcnt 0x0
	v_cmpx_lt_u32_e32 3, v1
	s_cbranch_execz .LBB38_241
; %bb.240:
	scratch_load_b128 v[2:5], off, s30
	v_mov_b32_e32 v6, 0
	s_delay_alu instid0(VALU_DEP_1)
	v_dual_mov_b32 v7, v6 :: v_dual_mov_b32 v8, v6
	v_mov_b32_e32 v9, v6
	scratch_store_b128 off, v[6:9], off offset:48
	s_wait_loadcnt 0x0
	ds_store_b128 v94, v[2:5]
.LBB38_241:
	s_wait_xcnt 0x0
	s_or_b32 exec_lo, exec_lo, s2
	s_wait_storecnt_dscnt 0x0
	s_barrier_signal -1
	s_barrier_wait -1
	s_clause 0x9
	scratch_load_b128 v[4:7], off, off offset:64
	scratch_load_b128 v[8:11], off, off offset:80
	;; [unrolled: 1-line block ×10, first 2 shown]
	v_mov_b32_e32 v2, 0
	s_mov_b32 s2, exec_lo
	ds_load_b128 v[124:127], v2 offset:688
	s_clause 0x2
	scratch_load_b128 v[128:131], off, off offset:224
	scratch_load_b128 v[132:135], off, off offset:48
	;; [unrolled: 1-line block ×3, first 2 shown]
	s_wait_loadcnt_dscnt 0xc00
	v_mul_f64_e32 v[144:145], v[126:127], v[6:7]
	v_mul_f64_e32 v[148:149], v[124:125], v[6:7]
	ds_load_b128 v[136:139], v2 offset:704
	v_fma_f64 v[152:153], v[124:125], v[4:5], -v[144:145]
	v_fmac_f64_e32 v[148:149], v[126:127], v[4:5]
	ds_load_b128 v[4:7], v2 offset:720
	s_wait_loadcnt_dscnt 0xb01
	v_mul_f64_e32 v[150:151], v[136:137], v[10:11]
	v_mul_f64_e32 v[10:11], v[138:139], v[10:11]
	scratch_load_b128 v[124:127], off, off offset:256
	ds_load_b128 v[144:147], v2 offset:736
	s_wait_loadcnt_dscnt 0xb01
	v_mul_f64_e32 v[154:155], v[4:5], v[14:15]
	v_mul_f64_e32 v[14:15], v[6:7], v[14:15]
	v_add_f64_e32 v[148:149], 0, v[148:149]
	v_fmac_f64_e32 v[150:151], v[138:139], v[8:9]
	v_fma_f64 v[136:137], v[136:137], v[8:9], -v[10:11]
	v_add_f64_e32 v[138:139], 0, v[152:153]
	scratch_load_b128 v[8:11], off, off offset:272
	v_fmac_f64_e32 v[154:155], v[6:7], v[12:13]
	v_fma_f64 v[156:157], v[4:5], v[12:13], -v[14:15]
	ds_load_b128 v[4:7], v2 offset:752
	s_wait_loadcnt_dscnt 0xb01
	v_mul_f64_e32 v[152:153], v[144:145], v[98:99]
	v_mul_f64_e32 v[98:99], v[146:147], v[98:99]
	scratch_load_b128 v[12:15], off, off offset:288
	v_add_f64_e32 v[148:149], v[148:149], v[150:151]
	v_add_f64_e32 v[158:159], v[138:139], v[136:137]
	ds_load_b128 v[136:139], v2 offset:768
	s_wait_loadcnt_dscnt 0xb01
	v_mul_f64_e32 v[150:151], v[4:5], v[102:103]
	v_mul_f64_e32 v[102:103], v[6:7], v[102:103]
	v_fmac_f64_e32 v[152:153], v[146:147], v[96:97]
	v_fma_f64 v[144:145], v[144:145], v[96:97], -v[98:99]
	scratch_load_b128 v[96:99], off, off offset:304
	v_add_f64_e32 v[148:149], v[148:149], v[154:155]
	v_add_f64_e32 v[146:147], v[158:159], v[156:157]
	v_fmac_f64_e32 v[150:151], v[6:7], v[100:101]
	v_fma_f64 v[156:157], v[4:5], v[100:101], -v[102:103]
	ds_load_b128 v[4:7], v2 offset:784
	s_wait_loadcnt_dscnt 0xb01
	v_mul_f64_e32 v[154:155], v[136:137], v[106:107]
	v_mul_f64_e32 v[106:107], v[138:139], v[106:107]
	scratch_load_b128 v[100:103], off, off offset:320
	v_add_f64_e32 v[148:149], v[148:149], v[152:153]
	s_wait_loadcnt_dscnt 0xb00
	v_mul_f64_e32 v[152:153], v[4:5], v[110:111]
	v_add_f64_e32 v[158:159], v[146:147], v[144:145]
	v_mul_f64_e32 v[110:111], v[6:7], v[110:111]
	ds_load_b128 v[144:147], v2 offset:800
	v_fmac_f64_e32 v[154:155], v[138:139], v[104:105]
	v_fma_f64 v[136:137], v[136:137], v[104:105], -v[106:107]
	scratch_load_b128 v[104:107], off, off offset:336
	v_add_f64_e32 v[148:149], v[148:149], v[150:151]
	v_fmac_f64_e32 v[152:153], v[6:7], v[108:109]
	v_add_f64_e32 v[138:139], v[158:159], v[156:157]
	v_fma_f64 v[156:157], v[4:5], v[108:109], -v[110:111]
	ds_load_b128 v[4:7], v2 offset:816
	s_wait_loadcnt_dscnt 0xb01
	v_mul_f64_e32 v[150:151], v[144:145], v[114:115]
	v_mul_f64_e32 v[114:115], v[146:147], v[114:115]
	scratch_load_b128 v[108:111], off, off offset:352
	v_add_f64_e32 v[148:149], v[148:149], v[154:155]
	s_wait_loadcnt_dscnt 0xb00
	v_mul_f64_e32 v[154:155], v[4:5], v[118:119]
	v_add_f64_e32 v[158:159], v[138:139], v[136:137]
	v_mul_f64_e32 v[118:119], v[6:7], v[118:119]
	ds_load_b128 v[136:139], v2 offset:832
	v_fmac_f64_e32 v[150:151], v[146:147], v[112:113]
	v_fma_f64 v[144:145], v[144:145], v[112:113], -v[114:115]
	scratch_load_b128 v[112:115], off, off offset:368
	v_add_f64_e32 v[148:149], v[148:149], v[152:153]
	v_fmac_f64_e32 v[154:155], v[6:7], v[116:117]
	v_add_f64_e32 v[146:147], v[158:159], v[156:157]
	;; [unrolled: 18-line block ×3, first 2 shown]
	v_fma_f64 v[156:157], v[4:5], v[128:129], -v[130:131]
	ds_load_b128 v[4:7], v2 offset:880
	s_wait_loadcnt_dscnt 0xa01
	v_mul_f64_e32 v[154:155], v[144:145], v[142:143]
	v_mul_f64_e32 v[142:143], v[146:147], v[142:143]
	scratch_load_b128 v[128:131], off, off offset:416
	v_add_f64_e32 v[148:149], v[148:149], v[152:153]
	v_add_f64_e32 v[158:159], v[138:139], v[136:137]
	s_wait_loadcnt_dscnt 0xa00
	v_mul_f64_e32 v[152:153], v[4:5], v[126:127]
	v_mul_f64_e32 v[126:127], v[6:7], v[126:127]
	v_fmac_f64_e32 v[154:155], v[146:147], v[140:141]
	v_fma_f64 v[144:145], v[144:145], v[140:141], -v[142:143]
	ds_load_b128 v[136:139], v2 offset:896
	scratch_load_b128 v[140:143], off, off offset:432
	v_add_f64_e32 v[148:149], v[148:149], v[150:151]
	v_add_f64_e32 v[146:147], v[158:159], v[156:157]
	v_fmac_f64_e32 v[152:153], v[6:7], v[124:125]
	v_fma_f64 v[156:157], v[4:5], v[124:125], -v[126:127]
	ds_load_b128 v[4:7], v2 offset:912
	s_wait_loadcnt_dscnt 0xa01
	v_mul_f64_e32 v[150:151], v[136:137], v[10:11]
	v_mul_f64_e32 v[10:11], v[138:139], v[10:11]
	scratch_load_b128 v[124:127], off, off offset:448
	v_add_f64_e32 v[148:149], v[148:149], v[154:155]
	s_wait_loadcnt_dscnt 0xa00
	v_mul_f64_e32 v[154:155], v[4:5], v[14:15]
	v_add_f64_e32 v[158:159], v[146:147], v[144:145]
	v_mul_f64_e32 v[14:15], v[6:7], v[14:15]
	ds_load_b128 v[144:147], v2 offset:928
	v_fmac_f64_e32 v[150:151], v[138:139], v[8:9]
	v_fma_f64 v[136:137], v[136:137], v[8:9], -v[10:11]
	scratch_load_b128 v[8:11], off, off offset:464
	v_add_f64_e32 v[148:149], v[148:149], v[152:153]
	v_fmac_f64_e32 v[154:155], v[6:7], v[12:13]
	v_add_f64_e32 v[138:139], v[158:159], v[156:157]
	v_fma_f64 v[156:157], v[4:5], v[12:13], -v[14:15]
	ds_load_b128 v[4:7], v2 offset:944
	s_wait_loadcnt_dscnt 0xa01
	v_mul_f64_e32 v[152:153], v[144:145], v[98:99]
	v_mul_f64_e32 v[98:99], v[146:147], v[98:99]
	scratch_load_b128 v[12:15], off, off offset:480
	v_add_f64_e32 v[148:149], v[148:149], v[150:151]
	s_wait_loadcnt_dscnt 0xa00
	v_mul_f64_e32 v[150:151], v[4:5], v[102:103]
	v_add_f64_e32 v[158:159], v[138:139], v[136:137]
	v_mul_f64_e32 v[102:103], v[6:7], v[102:103]
	ds_load_b128 v[136:139], v2 offset:960
	v_fmac_f64_e32 v[152:153], v[146:147], v[96:97]
	v_fma_f64 v[144:145], v[144:145], v[96:97], -v[98:99]
	scratch_load_b128 v[96:99], off, off offset:496
	v_add_f64_e32 v[148:149], v[148:149], v[154:155]
	v_fmac_f64_e32 v[150:151], v[6:7], v[100:101]
	v_add_f64_e32 v[146:147], v[158:159], v[156:157]
	;; [unrolled: 18-line block ×5, first 2 shown]
	v_fma_f64 v[156:157], v[4:5], v[128:129], -v[130:131]
	ds_load_b128 v[4:7], v2 offset:1072
	s_wait_loadcnt_dscnt 0xa01
	v_mul_f64_e32 v[154:155], v[144:145], v[142:143]
	v_mul_f64_e32 v[142:143], v[146:147], v[142:143]
	scratch_load_b128 v[128:131], off, off offset:608
	v_add_f64_e32 v[148:149], v[148:149], v[152:153]
	s_wait_loadcnt_dscnt 0xa00
	v_mul_f64_e32 v[152:153], v[4:5], v[126:127]
	v_add_f64_e32 v[158:159], v[138:139], v[136:137]
	v_mul_f64_e32 v[126:127], v[6:7], v[126:127]
	ds_load_b128 v[136:139], v2 offset:1088
	v_fmac_f64_e32 v[154:155], v[146:147], v[140:141]
	v_fma_f64 v[140:141], v[144:145], v[140:141], -v[142:143]
	s_wait_loadcnt_dscnt 0x900
	v_mul_f64_e32 v[146:147], v[136:137], v[10:11]
	v_mul_f64_e32 v[10:11], v[138:139], v[10:11]
	v_add_f64_e32 v[144:145], v[148:149], v[150:151]
	v_fmac_f64_e32 v[152:153], v[6:7], v[124:125]
	v_add_f64_e32 v[142:143], v[158:159], v[156:157]
	v_fma_f64 v[148:149], v[4:5], v[124:125], -v[126:127]
	ds_load_b128 v[4:7], v2 offset:1104
	ds_load_b128 v[124:127], v2 offset:1120
	v_fmac_f64_e32 v[146:147], v[138:139], v[8:9]
	v_fma_f64 v[8:9], v[136:137], v[8:9], -v[10:11]
	v_add_f64_e32 v[140:141], v[142:143], v[140:141]
	v_add_f64_e32 v[142:143], v[144:145], v[154:155]
	s_wait_loadcnt_dscnt 0x801
	v_mul_f64_e32 v[144:145], v[4:5], v[14:15]
	v_mul_f64_e32 v[14:15], v[6:7], v[14:15]
	s_wait_loadcnt_dscnt 0x700
	v_mul_f64_e32 v[138:139], v[124:125], v[98:99]
	v_mul_f64_e32 v[98:99], v[126:127], v[98:99]
	v_add_f64_e32 v[10:11], v[140:141], v[148:149]
	v_add_f64_e32 v[136:137], v[142:143], v[152:153]
	v_fmac_f64_e32 v[144:145], v[6:7], v[12:13]
	v_fma_f64 v[12:13], v[4:5], v[12:13], -v[14:15]
	v_fmac_f64_e32 v[138:139], v[126:127], v[96:97]
	v_fma_f64 v[96:97], v[124:125], v[96:97], -v[98:99]
	v_add_f64_e32 v[14:15], v[10:11], v[8:9]
	v_add_f64_e32 v[136:137], v[136:137], v[146:147]
	ds_load_b128 v[4:7], v2 offset:1136
	ds_load_b128 v[8:11], v2 offset:1152
	s_wait_loadcnt_dscnt 0x601
	v_mul_f64_e32 v[140:141], v[4:5], v[102:103]
	v_mul_f64_e32 v[102:103], v[6:7], v[102:103]
	s_wait_loadcnt_dscnt 0x500
	v_mul_f64_e32 v[98:99], v[8:9], v[106:107]
	v_mul_f64_e32 v[106:107], v[10:11], v[106:107]
	v_add_f64_e32 v[12:13], v[14:15], v[12:13]
	v_add_f64_e32 v[14:15], v[136:137], v[144:145]
	v_fmac_f64_e32 v[140:141], v[6:7], v[100:101]
	v_fma_f64 v[100:101], v[4:5], v[100:101], -v[102:103]
	v_fmac_f64_e32 v[98:99], v[10:11], v[104:105]
	v_fma_f64 v[8:9], v[8:9], v[104:105], -v[106:107]
	v_add_f64_e32 v[96:97], v[12:13], v[96:97]
	v_add_f64_e32 v[102:103], v[14:15], v[138:139]
	ds_load_b128 v[4:7], v2 offset:1168
	ds_load_b128 v[12:15], v2 offset:1184
	s_wait_loadcnt_dscnt 0x401
	v_mul_f64_e32 v[124:125], v[4:5], v[110:111]
	v_mul_f64_e32 v[110:111], v[6:7], v[110:111]
	v_add_f64_e32 v[10:11], v[96:97], v[100:101]
	v_add_f64_e32 v[96:97], v[102:103], v[140:141]
	s_wait_loadcnt_dscnt 0x300
	v_mul_f64_e32 v[100:101], v[12:13], v[114:115]
	v_mul_f64_e32 v[102:103], v[14:15], v[114:115]
	v_fmac_f64_e32 v[124:125], v[6:7], v[108:109]
	v_fma_f64 v[104:105], v[4:5], v[108:109], -v[110:111]
	v_add_f64_e32 v[106:107], v[10:11], v[8:9]
	v_add_f64_e32 v[96:97], v[96:97], v[98:99]
	ds_load_b128 v[4:7], v2 offset:1200
	ds_load_b128 v[8:11], v2 offset:1216
	v_fmac_f64_e32 v[100:101], v[14:15], v[112:113]
	v_fma_f64 v[12:13], v[12:13], v[112:113], -v[102:103]
	s_wait_loadcnt_dscnt 0x201
	v_mul_f64_e32 v[98:99], v[4:5], v[118:119]
	v_mul_f64_e32 v[108:109], v[6:7], v[118:119]
	s_wait_loadcnt_dscnt 0x100
	v_mul_f64_e32 v[102:103], v[8:9], v[122:123]
	v_add_f64_e32 v[14:15], v[106:107], v[104:105]
	v_add_f64_e32 v[96:97], v[96:97], v[124:125]
	v_mul_f64_e32 v[104:105], v[10:11], v[122:123]
	v_fmac_f64_e32 v[98:99], v[6:7], v[116:117]
	v_fma_f64 v[106:107], v[4:5], v[116:117], -v[108:109]
	ds_load_b128 v[4:7], v2 offset:1232
	v_fmac_f64_e32 v[102:103], v[10:11], v[120:121]
	v_add_f64_e32 v[12:13], v[14:15], v[12:13]
	v_add_f64_e32 v[14:15], v[96:97], v[100:101]
	v_fma_f64 v[8:9], v[8:9], v[120:121], -v[104:105]
	s_wait_loadcnt_dscnt 0x0
	v_mul_f64_e32 v[96:97], v[4:5], v[130:131]
	v_mul_f64_e32 v[100:101], v[6:7], v[130:131]
	v_add_f64_e32 v[10:11], v[12:13], v[106:107]
	v_add_f64_e32 v[12:13], v[14:15], v[98:99]
	s_delay_alu instid0(VALU_DEP_4) | instskip(NEXT) | instid1(VALU_DEP_4)
	v_fmac_f64_e32 v[96:97], v[6:7], v[128:129]
	v_fma_f64 v[4:5], v[4:5], v[128:129], -v[100:101]
	s_delay_alu instid0(VALU_DEP_4) | instskip(NEXT) | instid1(VALU_DEP_4)
	v_add_f64_e32 v[6:7], v[10:11], v[8:9]
	v_add_f64_e32 v[8:9], v[12:13], v[102:103]
	s_delay_alu instid0(VALU_DEP_2) | instskip(NEXT) | instid1(VALU_DEP_2)
	v_add_f64_e32 v[4:5], v[6:7], v[4:5]
	v_add_f64_e32 v[6:7], v[8:9], v[96:97]
	s_delay_alu instid0(VALU_DEP_2) | instskip(NEXT) | instid1(VALU_DEP_2)
	v_add_f64_e64 v[4:5], v[132:133], -v[4:5]
	v_add_f64_e64 v[6:7], v[134:135], -v[6:7]
	scratch_store_b128 off, v[4:7], off offset:48
	s_wait_xcnt 0x0
	v_cmpx_lt_u32_e32 2, v1
	s_cbranch_execz .LBB38_243
; %bb.242:
	scratch_load_b128 v[6:9], off, s28
	v_dual_mov_b32 v3, v2 :: v_dual_mov_b32 v4, v2
	v_mov_b32_e32 v5, v2
	scratch_store_b128 off, v[2:5], off offset:32
	s_wait_loadcnt 0x0
	ds_store_b128 v94, v[6:9]
.LBB38_243:
	s_wait_xcnt 0x0
	s_or_b32 exec_lo, exec_lo, s2
	s_wait_storecnt_dscnt 0x0
	s_barrier_signal -1
	s_barrier_wait -1
	s_clause 0x9
	scratch_load_b128 v[4:7], off, off offset:48
	scratch_load_b128 v[8:11], off, off offset:64
	;; [unrolled: 1-line block ×10, first 2 shown]
	ds_load_b128 v[124:127], v2 offset:672
	ds_load_b128 v[132:135], v2 offset:688
	s_clause 0x2
	scratch_load_b128 v[128:131], off, off offset:208
	scratch_load_b128 v[136:139], off, off offset:32
	;; [unrolled: 1-line block ×3, first 2 shown]
	s_mov_b32 s2, exec_lo
	v_ashrrev_i32_e32 v21, 31, v20
	v_ashrrev_i32_e32 v25, 31, v24
	;; [unrolled: 1-line block ×3, first 2 shown]
	v_dual_ashrrev_i32 v33, 31, v32 :: v_dual_ashrrev_i32 v23, 31, v22
	v_dual_ashrrev_i32 v27, 31, v26 :: v_dual_ashrrev_i32 v37, 31, v36
	;; [unrolled: 1-line block ×8, first 2 shown]
	v_ashrrev_i32_e32 v65, 31, v64
	v_ashrrev_i32_e32 v69, 31, v68
	v_dual_ashrrev_i32 v73, 31, v72 :: v_dual_ashrrev_i32 v55, 31, v54
	v_ashrrev_i32_e32 v59, 31, v58
	v_ashrrev_i32_e32 v63, 31, v62
	v_dual_ashrrev_i32 v67, 31, v66 :: v_dual_ashrrev_i32 v77, 31, v76
	v_dual_ashrrev_i32 v81, 31, v80 :: v_dual_ashrrev_i32 v71, 31, v70
	;; [unrolled: 1-line block ×3, first 2 shown]
	v_ashrrev_i32_e32 v89, 31, v88
	v_dual_ashrrev_i32 v93, 31, v92 :: v_dual_ashrrev_i32 v79, 31, v78
	v_ashrrev_i32_e32 v83, 31, v82
	v_ashrrev_i32_e32 v87, 31, v86
	;; [unrolled: 1-line block ×3, first 2 shown]
	s_wait_loadcnt_dscnt 0xc01
	v_mul_f64_e32 v[144:145], v[126:127], v[6:7]
	v_mul_f64_e32 v[148:149], v[124:125], v[6:7]
	s_wait_loadcnt_dscnt 0xb00
	v_mul_f64_e32 v[150:151], v[132:133], v[10:11]
	v_mul_f64_e32 v[10:11], v[134:135], v[10:11]
	s_delay_alu instid0(VALU_DEP_4) | instskip(NEXT) | instid1(VALU_DEP_4)
	v_fma_f64 v[152:153], v[124:125], v[4:5], -v[144:145]
	v_fmac_f64_e32 v[148:149], v[126:127], v[4:5]
	ds_load_b128 v[4:7], v2 offset:704
	ds_load_b128 v[144:147], v2 offset:720
	scratch_load_b128 v[124:127], off, off offset:240
	v_fmac_f64_e32 v[150:151], v[134:135], v[8:9]
	v_fma_f64 v[132:133], v[132:133], v[8:9], -v[10:11]
	scratch_load_b128 v[8:11], off, off offset:256
	s_wait_loadcnt_dscnt 0xc01
	v_mul_f64_e32 v[154:155], v[4:5], v[14:15]
	v_mul_f64_e32 v[14:15], v[6:7], v[14:15]
	v_add_f64_e32 v[134:135], 0, v[152:153]
	v_add_f64_e32 v[148:149], 0, v[148:149]
	s_wait_loadcnt_dscnt 0xb00
	v_mul_f64_e32 v[152:153], v[144:145], v[98:99]
	v_mul_f64_e32 v[98:99], v[146:147], v[98:99]
	v_fmac_f64_e32 v[154:155], v[6:7], v[12:13]
	v_fma_f64 v[156:157], v[4:5], v[12:13], -v[14:15]
	ds_load_b128 v[4:7], v2 offset:736
	scratch_load_b128 v[12:15], off, off offset:272
	v_add_f64_e32 v[158:159], v[134:135], v[132:133]
	v_add_f64_e32 v[148:149], v[148:149], v[150:151]
	ds_load_b128 v[132:135], v2 offset:752
	v_fmac_f64_e32 v[152:153], v[146:147], v[96:97]
	v_fma_f64 v[144:145], v[144:145], v[96:97], -v[98:99]
	scratch_load_b128 v[96:99], off, off offset:288
	s_wait_loadcnt_dscnt 0xc01
	v_mul_f64_e32 v[150:151], v[4:5], v[102:103]
	v_mul_f64_e32 v[102:103], v[6:7], v[102:103]
	v_add_f64_e32 v[146:147], v[158:159], v[156:157]
	v_add_f64_e32 v[148:149], v[148:149], v[154:155]
	s_wait_loadcnt_dscnt 0xb00
	v_mul_f64_e32 v[154:155], v[132:133], v[106:107]
	v_mul_f64_e32 v[106:107], v[134:135], v[106:107]
	v_fmac_f64_e32 v[150:151], v[6:7], v[100:101]
	v_fma_f64 v[156:157], v[4:5], v[100:101], -v[102:103]
	ds_load_b128 v[4:7], v2 offset:768
	scratch_load_b128 v[100:103], off, off offset:304
	v_add_f64_e32 v[158:159], v[146:147], v[144:145]
	v_add_f64_e32 v[148:149], v[148:149], v[152:153]
	ds_load_b128 v[144:147], v2 offset:784
	v_fmac_f64_e32 v[154:155], v[134:135], v[104:105]
	v_fma_f64 v[132:133], v[132:133], v[104:105], -v[106:107]
	s_wait_loadcnt_dscnt 0xb01
	v_mul_f64_e32 v[152:153], v[4:5], v[110:111]
	v_mul_f64_e32 v[110:111], v[6:7], v[110:111]
	scratch_load_b128 v[104:107], off, off offset:320
	v_add_f64_e32 v[134:135], v[158:159], v[156:157]
	v_add_f64_e32 v[148:149], v[148:149], v[150:151]
	s_wait_loadcnt_dscnt 0xb00
	v_mul_f64_e32 v[150:151], v[144:145], v[114:115]
	v_mul_f64_e32 v[114:115], v[146:147], v[114:115]
	v_fmac_f64_e32 v[152:153], v[6:7], v[108:109]
	v_fma_f64 v[156:157], v[4:5], v[108:109], -v[110:111]
	ds_load_b128 v[4:7], v2 offset:800
	scratch_load_b128 v[108:111], off, off offset:336
	v_add_f64_e32 v[158:159], v[134:135], v[132:133]
	v_add_f64_e32 v[148:149], v[148:149], v[154:155]
	ds_load_b128 v[132:135], v2 offset:816
	v_fmac_f64_e32 v[150:151], v[146:147], v[112:113]
	v_fma_f64 v[144:145], v[144:145], v[112:113], -v[114:115]
	s_wait_loadcnt_dscnt 0xb01
	v_mul_f64_e32 v[154:155], v[4:5], v[118:119]
	v_mul_f64_e32 v[118:119], v[6:7], v[118:119]
	scratch_load_b128 v[112:115], off, off offset:352
	;; [unrolled: 18-line block ×10, first 2 shown]
	v_add_f64_e32 v[152:153], v[158:159], v[156:157]
	v_add_f64_e32 v[148:149], v[148:149], v[150:151]
	s_wait_loadcnt_dscnt 0xa00
	v_mul_f64_e32 v[150:151], v[132:133], v[10:11]
	v_mul_f64_e32 v[10:11], v[134:135], v[10:11]
	v_fmac_f64_e32 v[146:147], v[6:7], v[124:125]
	v_fma_f64 v[156:157], v[4:5], v[124:125], -v[126:127]
	ds_load_b128 v[4:7], v2 offset:1088
	ds_load_b128 v[124:127], v2 offset:1104
	v_add_f64_e32 v[144:145], v[152:153], v[144:145]
	v_add_f64_e32 v[148:149], v[148:149], v[154:155]
	s_wait_loadcnt_dscnt 0x901
	v_mul_f64_e32 v[152:153], v[4:5], v[14:15]
	v_mul_f64_e32 v[14:15], v[6:7], v[14:15]
	v_fmac_f64_e32 v[150:151], v[134:135], v[8:9]
	v_fma_f64 v[8:9], v[132:133], v[8:9], -v[10:11]
	s_wait_loadcnt_dscnt 0x800
	v_mul_f64_e32 v[134:135], v[124:125], v[98:99]
	v_mul_f64_e32 v[98:99], v[126:127], v[98:99]
	v_add_f64_e32 v[10:11], v[144:145], v[156:157]
	v_add_f64_e32 v[132:133], v[148:149], v[146:147]
	v_fmac_f64_e32 v[152:153], v[6:7], v[12:13]
	v_fma_f64 v[12:13], v[4:5], v[12:13], -v[14:15]
	v_fmac_f64_e32 v[134:135], v[126:127], v[96:97]
	v_fma_f64 v[96:97], v[124:125], v[96:97], -v[98:99]
	v_add_f64_e32 v[14:15], v[10:11], v[8:9]
	v_add_f64_e32 v[132:133], v[132:133], v[150:151]
	ds_load_b128 v[4:7], v2 offset:1120
	ds_load_b128 v[8:11], v2 offset:1136
	s_wait_loadcnt_dscnt 0x701
	v_mul_f64_e32 v[144:145], v[4:5], v[102:103]
	v_mul_f64_e32 v[102:103], v[6:7], v[102:103]
	s_wait_loadcnt_dscnt 0x600
	v_mul_f64_e32 v[98:99], v[8:9], v[106:107]
	v_mul_f64_e32 v[106:107], v[10:11], v[106:107]
	v_add_f64_e32 v[12:13], v[14:15], v[12:13]
	v_add_f64_e32 v[14:15], v[132:133], v[152:153]
	v_fmac_f64_e32 v[144:145], v[6:7], v[100:101]
	v_fma_f64 v[100:101], v[4:5], v[100:101], -v[102:103]
	v_fmac_f64_e32 v[98:99], v[10:11], v[104:105]
	v_fma_f64 v[8:9], v[8:9], v[104:105], -v[106:107]
	v_add_f64_e32 v[96:97], v[12:13], v[96:97]
	v_add_f64_e32 v[102:103], v[14:15], v[134:135]
	ds_load_b128 v[4:7], v2 offset:1152
	ds_load_b128 v[12:15], v2 offset:1168
	s_wait_loadcnt_dscnt 0x501
	v_mul_f64_e32 v[124:125], v[4:5], v[110:111]
	v_mul_f64_e32 v[110:111], v[6:7], v[110:111]
	v_add_f64_e32 v[10:11], v[96:97], v[100:101]
	v_add_f64_e32 v[96:97], v[102:103], v[144:145]
	s_wait_loadcnt_dscnt 0x400
	v_mul_f64_e32 v[100:101], v[12:13], v[114:115]
	v_mul_f64_e32 v[102:103], v[14:15], v[114:115]
	v_fmac_f64_e32 v[124:125], v[6:7], v[108:109]
	v_fma_f64 v[104:105], v[4:5], v[108:109], -v[110:111]
	v_add_f64_e32 v[106:107], v[10:11], v[8:9]
	v_add_f64_e32 v[96:97], v[96:97], v[98:99]
	ds_load_b128 v[4:7], v2 offset:1184
	ds_load_b128 v[8:11], v2 offset:1200
	v_fmac_f64_e32 v[100:101], v[14:15], v[112:113]
	v_fma_f64 v[12:13], v[12:13], v[112:113], -v[102:103]
	s_wait_loadcnt_dscnt 0x301
	v_mul_f64_e32 v[98:99], v[4:5], v[118:119]
	v_mul_f64_e32 v[108:109], v[6:7], v[118:119]
	s_wait_loadcnt_dscnt 0x200
	v_mul_f64_e32 v[102:103], v[8:9], v[122:123]
	v_add_f64_e32 v[14:15], v[106:107], v[104:105]
	v_add_f64_e32 v[96:97], v[96:97], v[124:125]
	v_mul_f64_e32 v[104:105], v[10:11], v[122:123]
	v_fmac_f64_e32 v[98:99], v[6:7], v[116:117]
	v_fma_f64 v[106:107], v[4:5], v[116:117], -v[108:109]
	v_fmac_f64_e32 v[102:103], v[10:11], v[120:121]
	v_add_f64_e32 v[108:109], v[14:15], v[12:13]
	v_add_f64_e32 v[96:97], v[96:97], v[100:101]
	ds_load_b128 v[4:7], v2 offset:1216
	ds_load_b128 v[12:15], v2 offset:1232
	v_fma_f64 v[8:9], v[8:9], v[120:121], -v[104:105]
	s_wait_loadcnt_dscnt 0x101
	v_mul_f64_e32 v[2:3], v[4:5], v[130:131]
	v_mul_f64_e32 v[100:101], v[6:7], v[130:131]
	s_wait_loadcnt_dscnt 0x0
	v_mul_f64_e32 v[104:105], v[14:15], v[142:143]
	v_add_f64_e32 v[10:11], v[108:109], v[106:107]
	v_add_f64_e32 v[96:97], v[96:97], v[98:99]
	v_mul_f64_e32 v[98:99], v[12:13], v[142:143]
	v_fmac_f64_e32 v[2:3], v[6:7], v[128:129]
	v_fma_f64 v[4:5], v[4:5], v[128:129], -v[100:101]
	v_add_f64_e32 v[6:7], v[10:11], v[8:9]
	v_add_f64_e32 v[8:9], v[96:97], v[102:103]
	v_fmac_f64_e32 v[98:99], v[14:15], v[140:141]
	v_fma_f64 v[10:11], v[12:13], v[140:141], -v[104:105]
	s_delay_alu instid0(VALU_DEP_4) | instskip(NEXT) | instid1(VALU_DEP_4)
	v_add_f64_e32 v[4:5], v[6:7], v[4:5]
	v_add_f64_e32 v[2:3], v[8:9], v[2:3]
	s_delay_alu instid0(VALU_DEP_2) | instskip(NEXT) | instid1(VALU_DEP_2)
	v_add_f64_e32 v[4:5], v[4:5], v[10:11]
	v_add_f64_e32 v[6:7], v[2:3], v[98:99]
	s_delay_alu instid0(VALU_DEP_2) | instskip(NEXT) | instid1(VALU_DEP_2)
	v_add_f64_e64 v[2:3], v[136:137], -v[4:5]
	v_add_f64_e64 v[4:5], v[138:139], -v[6:7]
	scratch_store_b128 off, v[2:5], off offset:32
	s_wait_xcnt 0x0
	v_cmpx_lt_u32_e32 1, v1
	s_cbranch_execz .LBB38_245
; %bb.244:
	scratch_load_b128 v[2:5], off, s34
	v_mov_b32_e32 v6, 0
	s_delay_alu instid0(VALU_DEP_1)
	v_dual_mov_b32 v7, v6 :: v_dual_mov_b32 v8, v6
	v_mov_b32_e32 v9, v6
	scratch_store_b128 off, v[6:9], off offset:16
	s_wait_loadcnt 0x0
	ds_store_b128 v94, v[2:5]
.LBB38_245:
	s_wait_xcnt 0x0
	s_or_b32 exec_lo, exec_lo, s2
	s_wait_storecnt_dscnt 0x0
	s_barrier_signal -1
	s_barrier_wait -1
	s_clause 0x9
	scratch_load_b128 v[4:7], off, off offset:32
	scratch_load_b128 v[8:11], off, off offset:48
	;; [unrolled: 1-line block ×10, first 2 shown]
	v_mov_b32_e32 v2, 0
	s_mov_b32 s2, exec_lo
	ds_load_b128 v[124:127], v2 offset:656
	s_clause 0x2
	scratch_load_b128 v[128:131], off, off offset:192
	scratch_load_b128 v[132:135], off, off offset:16
	;; [unrolled: 1-line block ×3, first 2 shown]
	s_wait_loadcnt_dscnt 0xc00
	v_mul_f64_e32 v[144:145], v[126:127], v[6:7]
	v_mul_f64_e32 v[148:149], v[124:125], v[6:7]
	ds_load_b128 v[136:139], v2 offset:672
	v_fma_f64 v[152:153], v[124:125], v[4:5], -v[144:145]
	v_fmac_f64_e32 v[148:149], v[126:127], v[4:5]
	ds_load_b128 v[4:7], v2 offset:688
	s_wait_loadcnt_dscnt 0xb01
	v_mul_f64_e32 v[150:151], v[136:137], v[10:11]
	v_mul_f64_e32 v[10:11], v[138:139], v[10:11]
	scratch_load_b128 v[124:127], off, off offset:224
	ds_load_b128 v[144:147], v2 offset:704
	s_wait_loadcnt_dscnt 0xb01
	v_mul_f64_e32 v[154:155], v[4:5], v[14:15]
	v_mul_f64_e32 v[14:15], v[6:7], v[14:15]
	v_add_f64_e32 v[148:149], 0, v[148:149]
	v_fmac_f64_e32 v[150:151], v[138:139], v[8:9]
	v_fma_f64 v[136:137], v[136:137], v[8:9], -v[10:11]
	v_add_f64_e32 v[138:139], 0, v[152:153]
	scratch_load_b128 v[8:11], off, off offset:240
	v_fmac_f64_e32 v[154:155], v[6:7], v[12:13]
	v_fma_f64 v[156:157], v[4:5], v[12:13], -v[14:15]
	ds_load_b128 v[4:7], v2 offset:720
	s_wait_loadcnt_dscnt 0xb01
	v_mul_f64_e32 v[152:153], v[144:145], v[98:99]
	v_mul_f64_e32 v[98:99], v[146:147], v[98:99]
	scratch_load_b128 v[12:15], off, off offset:256
	v_add_f64_e32 v[148:149], v[148:149], v[150:151]
	v_add_f64_e32 v[158:159], v[138:139], v[136:137]
	ds_load_b128 v[136:139], v2 offset:736
	s_wait_loadcnt_dscnt 0xb01
	v_mul_f64_e32 v[150:151], v[4:5], v[102:103]
	v_mul_f64_e32 v[102:103], v[6:7], v[102:103]
	v_fmac_f64_e32 v[152:153], v[146:147], v[96:97]
	v_fma_f64 v[144:145], v[144:145], v[96:97], -v[98:99]
	scratch_load_b128 v[96:99], off, off offset:272
	v_add_f64_e32 v[148:149], v[148:149], v[154:155]
	v_add_f64_e32 v[146:147], v[158:159], v[156:157]
	v_fmac_f64_e32 v[150:151], v[6:7], v[100:101]
	v_fma_f64 v[156:157], v[4:5], v[100:101], -v[102:103]
	ds_load_b128 v[4:7], v2 offset:752
	s_wait_loadcnt_dscnt 0xb01
	v_mul_f64_e32 v[154:155], v[136:137], v[106:107]
	v_mul_f64_e32 v[106:107], v[138:139], v[106:107]
	scratch_load_b128 v[100:103], off, off offset:288
	v_add_f64_e32 v[148:149], v[148:149], v[152:153]
	s_wait_loadcnt_dscnt 0xb00
	v_mul_f64_e32 v[152:153], v[4:5], v[110:111]
	v_add_f64_e32 v[158:159], v[146:147], v[144:145]
	v_mul_f64_e32 v[110:111], v[6:7], v[110:111]
	ds_load_b128 v[144:147], v2 offset:768
	v_fmac_f64_e32 v[154:155], v[138:139], v[104:105]
	v_fma_f64 v[136:137], v[136:137], v[104:105], -v[106:107]
	scratch_load_b128 v[104:107], off, off offset:304
	v_add_f64_e32 v[148:149], v[148:149], v[150:151]
	v_fmac_f64_e32 v[152:153], v[6:7], v[108:109]
	v_add_f64_e32 v[138:139], v[158:159], v[156:157]
	v_fma_f64 v[156:157], v[4:5], v[108:109], -v[110:111]
	ds_load_b128 v[4:7], v2 offset:784
	s_wait_loadcnt_dscnt 0xb01
	v_mul_f64_e32 v[150:151], v[144:145], v[114:115]
	v_mul_f64_e32 v[114:115], v[146:147], v[114:115]
	scratch_load_b128 v[108:111], off, off offset:320
	v_add_f64_e32 v[148:149], v[148:149], v[154:155]
	s_wait_loadcnt_dscnt 0xb00
	v_mul_f64_e32 v[154:155], v[4:5], v[118:119]
	v_add_f64_e32 v[158:159], v[138:139], v[136:137]
	v_mul_f64_e32 v[118:119], v[6:7], v[118:119]
	ds_load_b128 v[136:139], v2 offset:800
	v_fmac_f64_e32 v[150:151], v[146:147], v[112:113]
	v_fma_f64 v[144:145], v[144:145], v[112:113], -v[114:115]
	scratch_load_b128 v[112:115], off, off offset:336
	v_add_f64_e32 v[148:149], v[148:149], v[152:153]
	v_fmac_f64_e32 v[154:155], v[6:7], v[116:117]
	v_add_f64_e32 v[146:147], v[158:159], v[156:157]
	;; [unrolled: 18-line block ×3, first 2 shown]
	v_fma_f64 v[156:157], v[4:5], v[128:129], -v[130:131]
	ds_load_b128 v[4:7], v2 offset:848
	s_wait_loadcnt_dscnt 0xa01
	v_mul_f64_e32 v[154:155], v[144:145], v[142:143]
	v_mul_f64_e32 v[142:143], v[146:147], v[142:143]
	scratch_load_b128 v[128:131], off, off offset:384
	v_add_f64_e32 v[148:149], v[148:149], v[152:153]
	v_add_f64_e32 v[158:159], v[138:139], v[136:137]
	s_wait_loadcnt_dscnt 0xa00
	v_mul_f64_e32 v[152:153], v[4:5], v[126:127]
	v_mul_f64_e32 v[126:127], v[6:7], v[126:127]
	v_fmac_f64_e32 v[154:155], v[146:147], v[140:141]
	v_fma_f64 v[144:145], v[144:145], v[140:141], -v[142:143]
	ds_load_b128 v[136:139], v2 offset:864
	scratch_load_b128 v[140:143], off, off offset:400
	v_add_f64_e32 v[148:149], v[148:149], v[150:151]
	v_add_f64_e32 v[146:147], v[158:159], v[156:157]
	v_fmac_f64_e32 v[152:153], v[6:7], v[124:125]
	v_fma_f64 v[156:157], v[4:5], v[124:125], -v[126:127]
	ds_load_b128 v[4:7], v2 offset:880
	s_wait_loadcnt_dscnt 0xa01
	v_mul_f64_e32 v[150:151], v[136:137], v[10:11]
	v_mul_f64_e32 v[10:11], v[138:139], v[10:11]
	scratch_load_b128 v[124:127], off, off offset:416
	v_add_f64_e32 v[148:149], v[148:149], v[154:155]
	s_wait_loadcnt_dscnt 0xa00
	v_mul_f64_e32 v[154:155], v[4:5], v[14:15]
	v_add_f64_e32 v[158:159], v[146:147], v[144:145]
	v_mul_f64_e32 v[14:15], v[6:7], v[14:15]
	ds_load_b128 v[144:147], v2 offset:896
	v_fmac_f64_e32 v[150:151], v[138:139], v[8:9]
	v_fma_f64 v[136:137], v[136:137], v[8:9], -v[10:11]
	scratch_load_b128 v[8:11], off, off offset:432
	v_add_f64_e32 v[148:149], v[148:149], v[152:153]
	v_fmac_f64_e32 v[154:155], v[6:7], v[12:13]
	v_add_f64_e32 v[138:139], v[158:159], v[156:157]
	v_fma_f64 v[156:157], v[4:5], v[12:13], -v[14:15]
	ds_load_b128 v[4:7], v2 offset:912
	s_wait_loadcnt_dscnt 0xa01
	v_mul_f64_e32 v[152:153], v[144:145], v[98:99]
	v_mul_f64_e32 v[98:99], v[146:147], v[98:99]
	scratch_load_b128 v[12:15], off, off offset:448
	v_add_f64_e32 v[148:149], v[148:149], v[150:151]
	s_wait_loadcnt_dscnt 0xa00
	v_mul_f64_e32 v[150:151], v[4:5], v[102:103]
	v_add_f64_e32 v[158:159], v[138:139], v[136:137]
	v_mul_f64_e32 v[102:103], v[6:7], v[102:103]
	ds_load_b128 v[136:139], v2 offset:928
	v_fmac_f64_e32 v[152:153], v[146:147], v[96:97]
	v_fma_f64 v[144:145], v[144:145], v[96:97], -v[98:99]
	scratch_load_b128 v[96:99], off, off offset:464
	v_add_f64_e32 v[148:149], v[148:149], v[154:155]
	v_fmac_f64_e32 v[150:151], v[6:7], v[100:101]
	v_add_f64_e32 v[146:147], v[158:159], v[156:157]
	v_fma_f64 v[156:157], v[4:5], v[100:101], -v[102:103]
	ds_load_b128 v[4:7], v2 offset:944
	s_wait_loadcnt_dscnt 0xa01
	v_mul_f64_e32 v[154:155], v[136:137], v[106:107]
	v_mul_f64_e32 v[106:107], v[138:139], v[106:107]
	scratch_load_b128 v[100:103], off, off offset:480
	v_add_f64_e32 v[148:149], v[148:149], v[152:153]
	s_wait_loadcnt_dscnt 0xa00
	v_mul_f64_e32 v[152:153], v[4:5], v[110:111]
	v_add_f64_e32 v[158:159], v[146:147], v[144:145]
	v_mul_f64_e32 v[110:111], v[6:7], v[110:111]
	ds_load_b128 v[144:147], v2 offset:960
	v_fmac_f64_e32 v[154:155], v[138:139], v[104:105]
	v_fma_f64 v[136:137], v[136:137], v[104:105], -v[106:107]
	scratch_load_b128 v[104:107], off, off offset:496
	v_add_f64_e32 v[148:149], v[148:149], v[150:151]
	v_fmac_f64_e32 v[152:153], v[6:7], v[108:109]
	v_add_f64_e32 v[138:139], v[158:159], v[156:157]
	v_fma_f64 v[156:157], v[4:5], v[108:109], -v[110:111]
	ds_load_b128 v[4:7], v2 offset:976
	s_wait_loadcnt_dscnt 0xa01
	v_mul_f64_e32 v[150:151], v[144:145], v[114:115]
	v_mul_f64_e32 v[114:115], v[146:147], v[114:115]
	scratch_load_b128 v[108:111], off, off offset:512
	v_add_f64_e32 v[148:149], v[148:149], v[154:155]
	s_wait_loadcnt_dscnt 0xa00
	v_mul_f64_e32 v[154:155], v[4:5], v[118:119]
	v_add_f64_e32 v[158:159], v[138:139], v[136:137]
	v_mul_f64_e32 v[118:119], v[6:7], v[118:119]
	ds_load_b128 v[136:139], v2 offset:992
	v_fmac_f64_e32 v[150:151], v[146:147], v[112:113]
	v_fma_f64 v[144:145], v[144:145], v[112:113], -v[114:115]
	scratch_load_b128 v[112:115], off, off offset:528
	v_add_f64_e32 v[148:149], v[148:149], v[152:153]
	v_fmac_f64_e32 v[154:155], v[6:7], v[116:117]
	v_add_f64_e32 v[146:147], v[158:159], v[156:157]
	v_fma_f64 v[156:157], v[4:5], v[116:117], -v[118:119]
	ds_load_b128 v[4:7], v2 offset:1008
	s_wait_loadcnt_dscnt 0xa01
	v_mul_f64_e32 v[152:153], v[136:137], v[122:123]
	v_mul_f64_e32 v[122:123], v[138:139], v[122:123]
	scratch_load_b128 v[116:119], off, off offset:544
	v_add_f64_e32 v[148:149], v[148:149], v[150:151]
	s_wait_loadcnt_dscnt 0xa00
	v_mul_f64_e32 v[150:151], v[4:5], v[130:131]
	v_add_f64_e32 v[158:159], v[146:147], v[144:145]
	v_mul_f64_e32 v[130:131], v[6:7], v[130:131]
	ds_load_b128 v[144:147], v2 offset:1024
	v_fmac_f64_e32 v[152:153], v[138:139], v[120:121]
	v_fma_f64 v[136:137], v[136:137], v[120:121], -v[122:123]
	scratch_load_b128 v[120:123], off, off offset:560
	v_add_f64_e32 v[148:149], v[148:149], v[154:155]
	v_fmac_f64_e32 v[150:151], v[6:7], v[128:129]
	v_add_f64_e32 v[138:139], v[158:159], v[156:157]
	v_fma_f64 v[156:157], v[4:5], v[128:129], -v[130:131]
	ds_load_b128 v[4:7], v2 offset:1040
	s_wait_loadcnt_dscnt 0xa01
	v_mul_f64_e32 v[154:155], v[144:145], v[142:143]
	v_mul_f64_e32 v[142:143], v[146:147], v[142:143]
	scratch_load_b128 v[128:131], off, off offset:576
	v_add_f64_e32 v[148:149], v[148:149], v[152:153]
	s_wait_loadcnt_dscnt 0xa00
	v_mul_f64_e32 v[152:153], v[4:5], v[126:127]
	v_add_f64_e32 v[158:159], v[138:139], v[136:137]
	v_mul_f64_e32 v[126:127], v[6:7], v[126:127]
	ds_load_b128 v[136:139], v2 offset:1056
	v_fmac_f64_e32 v[154:155], v[146:147], v[140:141]
	v_fma_f64 v[144:145], v[144:145], v[140:141], -v[142:143]
	scratch_load_b128 v[140:143], off, off offset:592
	v_add_f64_e32 v[148:149], v[148:149], v[150:151]
	v_fmac_f64_e32 v[152:153], v[6:7], v[124:125]
	v_add_f64_e32 v[146:147], v[158:159], v[156:157]
	v_fma_f64 v[156:157], v[4:5], v[124:125], -v[126:127]
	ds_load_b128 v[4:7], v2 offset:1072
	s_wait_loadcnt_dscnt 0xa01
	v_mul_f64_e32 v[150:151], v[136:137], v[10:11]
	v_mul_f64_e32 v[10:11], v[138:139], v[10:11]
	scratch_load_b128 v[124:127], off, off offset:608
	v_add_f64_e32 v[148:149], v[148:149], v[154:155]
	s_wait_loadcnt_dscnt 0xa00
	v_mul_f64_e32 v[154:155], v[4:5], v[14:15]
	v_add_f64_e32 v[158:159], v[146:147], v[144:145]
	v_mul_f64_e32 v[14:15], v[6:7], v[14:15]
	ds_load_b128 v[144:147], v2 offset:1088
	v_fmac_f64_e32 v[150:151], v[138:139], v[8:9]
	v_fma_f64 v[8:9], v[136:137], v[8:9], -v[10:11]
	s_wait_loadcnt_dscnt 0x900
	v_mul_f64_e32 v[138:139], v[144:145], v[98:99]
	v_mul_f64_e32 v[98:99], v[146:147], v[98:99]
	v_add_f64_e32 v[136:137], v[148:149], v[152:153]
	v_fmac_f64_e32 v[154:155], v[6:7], v[12:13]
	v_add_f64_e32 v[10:11], v[158:159], v[156:157]
	v_fma_f64 v[12:13], v[4:5], v[12:13], -v[14:15]
	v_fmac_f64_e32 v[138:139], v[146:147], v[96:97]
	v_fma_f64 v[96:97], v[144:145], v[96:97], -v[98:99]
	v_add_f64_e32 v[136:137], v[136:137], v[150:151]
	v_add_f64_e32 v[14:15], v[10:11], v[8:9]
	ds_load_b128 v[4:7], v2 offset:1104
	ds_load_b128 v[8:11], v2 offset:1120
	s_wait_loadcnt_dscnt 0x801
	v_mul_f64_e32 v[148:149], v[4:5], v[102:103]
	v_mul_f64_e32 v[102:103], v[6:7], v[102:103]
	s_wait_loadcnt_dscnt 0x700
	v_mul_f64_e32 v[98:99], v[8:9], v[106:107]
	v_mul_f64_e32 v[106:107], v[10:11], v[106:107]
	v_add_f64_e32 v[12:13], v[14:15], v[12:13]
	v_add_f64_e32 v[14:15], v[136:137], v[154:155]
	v_fmac_f64_e32 v[148:149], v[6:7], v[100:101]
	v_fma_f64 v[100:101], v[4:5], v[100:101], -v[102:103]
	v_fmac_f64_e32 v[98:99], v[10:11], v[104:105]
	v_fma_f64 v[8:9], v[8:9], v[104:105], -v[106:107]
	v_add_f64_e32 v[96:97], v[12:13], v[96:97]
	v_add_f64_e32 v[102:103], v[14:15], v[138:139]
	ds_load_b128 v[4:7], v2 offset:1136
	ds_load_b128 v[12:15], v2 offset:1152
	s_wait_loadcnt_dscnt 0x601
	v_mul_f64_e32 v[136:137], v[4:5], v[110:111]
	v_mul_f64_e32 v[110:111], v[6:7], v[110:111]
	v_add_f64_e32 v[10:11], v[96:97], v[100:101]
	v_add_f64_e32 v[96:97], v[102:103], v[148:149]
	s_wait_loadcnt_dscnt 0x500
	v_mul_f64_e32 v[100:101], v[12:13], v[114:115]
	v_mul_f64_e32 v[102:103], v[14:15], v[114:115]
	v_fmac_f64_e32 v[136:137], v[6:7], v[108:109]
	v_fma_f64 v[104:105], v[4:5], v[108:109], -v[110:111]
	v_add_f64_e32 v[106:107], v[10:11], v[8:9]
	v_add_f64_e32 v[96:97], v[96:97], v[98:99]
	ds_load_b128 v[4:7], v2 offset:1168
	ds_load_b128 v[8:11], v2 offset:1184
	v_fmac_f64_e32 v[100:101], v[14:15], v[112:113]
	v_fma_f64 v[12:13], v[12:13], v[112:113], -v[102:103]
	s_wait_loadcnt_dscnt 0x401
	v_mul_f64_e32 v[98:99], v[4:5], v[118:119]
	v_mul_f64_e32 v[108:109], v[6:7], v[118:119]
	s_wait_loadcnt_dscnt 0x300
	v_mul_f64_e32 v[102:103], v[8:9], v[122:123]
	v_add_f64_e32 v[14:15], v[106:107], v[104:105]
	v_add_f64_e32 v[96:97], v[96:97], v[136:137]
	v_mul_f64_e32 v[104:105], v[10:11], v[122:123]
	v_fmac_f64_e32 v[98:99], v[6:7], v[116:117]
	v_fma_f64 v[106:107], v[4:5], v[116:117], -v[108:109]
	v_fmac_f64_e32 v[102:103], v[10:11], v[120:121]
	v_add_f64_e32 v[108:109], v[14:15], v[12:13]
	v_add_f64_e32 v[96:97], v[96:97], v[100:101]
	ds_load_b128 v[4:7], v2 offset:1200
	ds_load_b128 v[12:15], v2 offset:1216
	v_fma_f64 v[8:9], v[8:9], v[120:121], -v[104:105]
	s_wait_loadcnt_dscnt 0x201
	v_mul_f64_e32 v[100:101], v[4:5], v[130:131]
	v_mul_f64_e32 v[110:111], v[6:7], v[130:131]
	s_wait_loadcnt_dscnt 0x100
	v_mul_f64_e32 v[104:105], v[14:15], v[142:143]
	v_add_f64_e32 v[10:11], v[108:109], v[106:107]
	v_add_f64_e32 v[96:97], v[96:97], v[98:99]
	v_mul_f64_e32 v[98:99], v[12:13], v[142:143]
	v_fmac_f64_e32 v[100:101], v[6:7], v[128:129]
	v_fma_f64 v[106:107], v[4:5], v[128:129], -v[110:111]
	ds_load_b128 v[4:7], v2 offset:1232
	v_fma_f64 v[12:13], v[12:13], v[140:141], -v[104:105]
	v_add_f64_e32 v[8:9], v[10:11], v[8:9]
	v_add_f64_e32 v[10:11], v[96:97], v[102:103]
	v_fmac_f64_e32 v[98:99], v[14:15], v[140:141]
	s_wait_loadcnt_dscnt 0x0
	v_mul_f64_e32 v[96:97], v[4:5], v[126:127]
	v_mul_f64_e32 v[102:103], v[6:7], v[126:127]
	v_add_f64_e32 v[8:9], v[8:9], v[106:107]
	v_add_f64_e32 v[10:11], v[10:11], v[100:101]
	s_delay_alu instid0(VALU_DEP_4) | instskip(NEXT) | instid1(VALU_DEP_4)
	v_fmac_f64_e32 v[96:97], v[6:7], v[124:125]
	v_fma_f64 v[4:5], v[4:5], v[124:125], -v[102:103]
	s_delay_alu instid0(VALU_DEP_4) | instskip(NEXT) | instid1(VALU_DEP_4)
	v_add_f64_e32 v[6:7], v[8:9], v[12:13]
	v_add_f64_e32 v[8:9], v[10:11], v[98:99]
	s_delay_alu instid0(VALU_DEP_2) | instskip(NEXT) | instid1(VALU_DEP_2)
	v_add_f64_e32 v[4:5], v[6:7], v[4:5]
	v_add_f64_e32 v[6:7], v[8:9], v[96:97]
	s_delay_alu instid0(VALU_DEP_2) | instskip(NEXT) | instid1(VALU_DEP_2)
	v_add_f64_e64 v[4:5], v[132:133], -v[4:5]
	v_add_f64_e64 v[6:7], v[134:135], -v[6:7]
	scratch_store_b128 off, v[4:7], off offset:16
	s_wait_xcnt 0x0
	v_cmpx_ne_u32_e32 0, v1
	s_cbranch_execz .LBB38_247
; %bb.246:
	scratch_load_b128 v[6:9], off, off
	v_dual_mov_b32 v3, v2 :: v_dual_mov_b32 v4, v2
	v_mov_b32_e32 v5, v2
	scratch_store_b128 off, v[2:5], off
	s_wait_loadcnt 0x0
	ds_store_b128 v94, v[6:9]
.LBB38_247:
	s_wait_xcnt 0x0
	s_or_b32 exec_lo, exec_lo, s2
	s_wait_storecnt_dscnt 0x0
	s_barrier_signal -1
	s_barrier_wait -1
	s_clause 0x9
	scratch_load_b128 v[4:7], off, off offset:16
	scratch_load_b128 v[8:11], off, off offset:32
	;; [unrolled: 1-line block ×10, first 2 shown]
	ds_load_b128 v[122:125], v2 offset:640
	ds_load_b128 v[130:133], v2 offset:656
	s_clause 0x2
	scratch_load_b128 v[126:129], off, off offset:176
	scratch_load_b128 v[134:137], off, off
	scratch_load_b128 v[138:141], off, off offset:192
	s_and_b32 vcc_lo, exec_lo, s51
	s_wait_loadcnt_dscnt 0xc01
	v_mul_f64_e32 v[142:143], v[124:125], v[6:7]
	v_mul_f64_e32 v[146:147], v[122:123], v[6:7]
	s_wait_loadcnt_dscnt 0xb00
	v_mul_f64_e32 v[148:149], v[130:131], v[10:11]
	v_mul_f64_e32 v[10:11], v[132:133], v[10:11]
	s_delay_alu instid0(VALU_DEP_4) | instskip(NEXT) | instid1(VALU_DEP_4)
	v_fma_f64 v[150:151], v[122:123], v[4:5], -v[142:143]
	v_fmac_f64_e32 v[146:147], v[124:125], v[4:5]
	ds_load_b128 v[4:7], v2 offset:672
	ds_load_b128 v[122:125], v2 offset:688
	scratch_load_b128 v[142:145], off, off offset:208
	v_fmac_f64_e32 v[148:149], v[132:133], v[8:9]
	v_fma_f64 v[130:131], v[130:131], v[8:9], -v[10:11]
	scratch_load_b128 v[8:11], off, off offset:224
	s_wait_loadcnt_dscnt 0xc01
	v_mul_f64_e32 v[152:153], v[4:5], v[14:15]
	v_mul_f64_e32 v[14:15], v[6:7], v[14:15]
	v_add_f64_e32 v[132:133], 0, v[150:151]
	v_add_f64_e32 v[146:147], 0, v[146:147]
	s_wait_loadcnt_dscnt 0xb00
	v_mul_f64_e32 v[150:151], v[122:123], v[96:97]
	v_mul_f64_e32 v[96:97], v[124:125], v[96:97]
	v_fmac_f64_e32 v[152:153], v[6:7], v[12:13]
	v_fma_f64 v[154:155], v[4:5], v[12:13], -v[14:15]
	ds_load_b128 v[4:7], v2 offset:704
	ds_load_b128 v[12:15], v2 offset:720
	v_add_f64_e32 v[156:157], v[132:133], v[130:131]
	v_add_f64_e32 v[146:147], v[146:147], v[148:149]
	scratch_load_b128 v[130:133], off, off offset:240
	v_fmac_f64_e32 v[150:151], v[124:125], v[94:95]
	v_fma_f64 v[122:123], v[122:123], v[94:95], -v[96:97]
	scratch_load_b128 v[94:97], off, off offset:256
	s_wait_loadcnt_dscnt 0xc01
	v_mul_f64_e32 v[148:149], v[4:5], v[100:101]
	v_mul_f64_e32 v[100:101], v[6:7], v[100:101]
	v_add_f64_e32 v[124:125], v[156:157], v[154:155]
	v_add_f64_e32 v[146:147], v[146:147], v[152:153]
	s_wait_loadcnt_dscnt 0xb00
	v_mul_f64_e32 v[152:153], v[12:13], v[104:105]
	v_mul_f64_e32 v[104:105], v[14:15], v[104:105]
	v_fmac_f64_e32 v[148:149], v[6:7], v[98:99]
	v_fma_f64 v[154:155], v[4:5], v[98:99], -v[100:101]
	ds_load_b128 v[4:7], v2 offset:736
	ds_load_b128 v[98:101], v2 offset:752
	v_add_f64_e32 v[156:157], v[124:125], v[122:123]
	v_add_f64_e32 v[146:147], v[146:147], v[150:151]
	scratch_load_b128 v[122:125], off, off offset:272
	s_wait_loadcnt_dscnt 0xb01
	v_mul_f64_e32 v[150:151], v[4:5], v[108:109]
	v_mul_f64_e32 v[108:109], v[6:7], v[108:109]
	v_fmac_f64_e32 v[152:153], v[14:15], v[102:103]
	v_fma_f64 v[102:103], v[12:13], v[102:103], -v[104:105]
	scratch_load_b128 v[12:15], off, off offset:288
	v_add_f64_e32 v[104:105], v[156:157], v[154:155]
	v_add_f64_e32 v[146:147], v[146:147], v[148:149]
	s_wait_loadcnt_dscnt 0xb00
	v_mul_f64_e32 v[148:149], v[98:99], v[112:113]
	v_mul_f64_e32 v[112:113], v[100:101], v[112:113]
	v_fmac_f64_e32 v[150:151], v[6:7], v[106:107]
	v_fma_f64 v[154:155], v[4:5], v[106:107], -v[108:109]
	v_add_f64_e32 v[156:157], v[104:105], v[102:103]
	v_add_f64_e32 v[146:147], v[146:147], v[152:153]
	ds_load_b128 v[4:7], v2 offset:768
	ds_load_b128 v[102:105], v2 offset:784
	scratch_load_b128 v[106:109], off, off offset:304
	v_fmac_f64_e32 v[148:149], v[100:101], v[110:111]
	v_fma_f64 v[110:111], v[98:99], v[110:111], -v[112:113]
	scratch_load_b128 v[98:101], off, off offset:320
	s_wait_loadcnt_dscnt 0xc01
	v_mul_f64_e32 v[152:153], v[4:5], v[116:117]
	v_mul_f64_e32 v[116:117], v[6:7], v[116:117]
	v_add_f64_e32 v[112:113], v[156:157], v[154:155]
	v_add_f64_e32 v[146:147], v[146:147], v[150:151]
	s_wait_loadcnt_dscnt 0xb00
	v_mul_f64_e32 v[150:151], v[102:103], v[120:121]
	v_mul_f64_e32 v[120:121], v[104:105], v[120:121]
	v_fmac_f64_e32 v[152:153], v[6:7], v[114:115]
	v_fma_f64 v[154:155], v[4:5], v[114:115], -v[116:117]
	v_add_f64_e32 v[156:157], v[112:113], v[110:111]
	v_add_f64_e32 v[146:147], v[146:147], v[148:149]
	ds_load_b128 v[4:7], v2 offset:800
	ds_load_b128 v[110:113], v2 offset:816
	scratch_load_b128 v[114:117], off, off offset:336
	v_fmac_f64_e32 v[150:151], v[104:105], v[118:119]
	v_fma_f64 v[118:119], v[102:103], v[118:119], -v[120:121]
	scratch_load_b128 v[102:105], off, off offset:352
	s_wait_loadcnt_dscnt 0xc01
	v_mul_f64_e32 v[148:149], v[4:5], v[128:129]
	v_mul_f64_e32 v[128:129], v[6:7], v[128:129]
	;; [unrolled: 18-line block ×5, first 2 shown]
	v_add_f64_e32 v[140:141], v[156:157], v[154:155]
	v_add_f64_e32 v[146:147], v[146:147], v[152:153]
	s_wait_loadcnt_dscnt 0xa00
	v_mul_f64_e32 v[152:153], v[118:119], v[14:15]
	v_mul_f64_e32 v[14:15], v[120:121], v[14:15]
	v_fmac_f64_e32 v[148:149], v[6:7], v[122:123]
	v_fma_f64 v[154:155], v[4:5], v[122:123], -v[124:125]
	ds_load_b128 v[4:7], v2 offset:928
	ds_load_b128 v[122:125], v2 offset:944
	v_add_f64_e32 v[156:157], v[140:141], v[138:139]
	v_add_f64_e32 v[146:147], v[146:147], v[150:151]
	scratch_load_b128 v[138:141], off, off offset:464
	v_fmac_f64_e32 v[152:153], v[120:121], v[12:13]
	v_fma_f64 v[118:119], v[118:119], v[12:13], -v[14:15]
	scratch_load_b128 v[12:15], off, off offset:480
	s_wait_loadcnt_dscnt 0xb01
	v_mul_f64_e32 v[150:151], v[4:5], v[108:109]
	v_mul_f64_e32 v[108:109], v[6:7], v[108:109]
	v_add_f64_e32 v[120:121], v[156:157], v[154:155]
	v_add_f64_e32 v[146:147], v[146:147], v[148:149]
	s_wait_loadcnt_dscnt 0xa00
	v_mul_f64_e32 v[148:149], v[122:123], v[100:101]
	v_mul_f64_e32 v[100:101], v[124:125], v[100:101]
	v_fmac_f64_e32 v[150:151], v[6:7], v[106:107]
	v_fma_f64 v[154:155], v[4:5], v[106:107], -v[108:109]
	ds_load_b128 v[4:7], v2 offset:960
	ds_load_b128 v[106:109], v2 offset:976
	v_add_f64_e32 v[156:157], v[120:121], v[118:119]
	v_add_f64_e32 v[146:147], v[146:147], v[152:153]
	scratch_load_b128 v[118:121], off, off offset:496
	s_wait_loadcnt_dscnt 0xa01
	v_mul_f64_e32 v[152:153], v[4:5], v[116:117]
	v_mul_f64_e32 v[116:117], v[6:7], v[116:117]
	v_fmac_f64_e32 v[148:149], v[124:125], v[98:99]
	v_fma_f64 v[122:123], v[122:123], v[98:99], -v[100:101]
	scratch_load_b128 v[98:101], off, off offset:512
	v_add_f64_e32 v[124:125], v[156:157], v[154:155]
	v_add_f64_e32 v[146:147], v[146:147], v[150:151]
	s_wait_loadcnt_dscnt 0xa00
	v_mul_f64_e32 v[150:151], v[106:107], v[104:105]
	v_mul_f64_e32 v[104:105], v[108:109], v[104:105]
	v_fmac_f64_e32 v[152:153], v[6:7], v[114:115]
	v_fma_f64 v[154:155], v[4:5], v[114:115], -v[116:117]
	ds_load_b128 v[4:7], v2 offset:992
	ds_load_b128 v[114:117], v2 offset:1008
	v_add_f64_e32 v[156:157], v[124:125], v[122:123]
	v_add_f64_e32 v[146:147], v[146:147], v[148:149]
	scratch_load_b128 v[122:125], off, off offset:528
	s_wait_loadcnt_dscnt 0xa01
	v_mul_f64_e32 v[148:149], v[4:5], v[128:129]
	v_mul_f64_e32 v[128:129], v[6:7], v[128:129]
	v_fmac_f64_e32 v[150:151], v[108:109], v[102:103]
	v_fma_f64 v[106:107], v[106:107], v[102:103], -v[104:105]
	scratch_load_b128 v[102:105], off, off offset:544
	v_add_f64_e32 v[108:109], v[156:157], v[154:155]
	v_add_f64_e32 v[146:147], v[146:147], v[152:153]
	s_wait_loadcnt_dscnt 0xa00
	v_mul_f64_e32 v[152:153], v[114:115], v[112:113]
	v_mul_f64_e32 v[112:113], v[116:117], v[112:113]
	v_fmac_f64_e32 v[148:149], v[6:7], v[126:127]
	v_fma_f64 v[154:155], v[4:5], v[126:127], -v[128:129]
	v_add_f64_e32 v[156:157], v[108:109], v[106:107]
	v_add_f64_e32 v[146:147], v[146:147], v[150:151]
	ds_load_b128 v[4:7], v2 offset:1024
	ds_load_b128 v[106:109], v2 offset:1040
	scratch_load_b128 v[126:129], off, off offset:560
	v_fmac_f64_e32 v[152:153], v[116:117], v[110:111]
	v_fma_f64 v[114:115], v[114:115], v[110:111], -v[112:113]
	scratch_load_b128 v[110:113], off, off offset:576
	s_wait_loadcnt_dscnt 0xb01
	v_mul_f64_e32 v[150:151], v[4:5], v[144:145]
	v_mul_f64_e32 v[144:145], v[6:7], v[144:145]
	v_add_f64_e32 v[116:117], v[156:157], v[154:155]
	v_add_f64_e32 v[146:147], v[146:147], v[148:149]
	s_wait_loadcnt_dscnt 0xa00
	v_mul_f64_e32 v[148:149], v[106:107], v[10:11]
	v_mul_f64_e32 v[10:11], v[108:109], v[10:11]
	v_fmac_f64_e32 v[150:151], v[6:7], v[142:143]
	v_fma_f64 v[154:155], v[4:5], v[142:143], -v[144:145]
	v_add_f64_e32 v[156:157], v[116:117], v[114:115]
	v_add_f64_e32 v[146:147], v[146:147], v[152:153]
	ds_load_b128 v[4:7], v2 offset:1056
	ds_load_b128 v[114:117], v2 offset:1072
	scratch_load_b128 v[142:145], off, off offset:592
	v_fmac_f64_e32 v[148:149], v[108:109], v[8:9]
	v_fma_f64 v[106:107], v[106:107], v[8:9], -v[10:11]
	scratch_load_b128 v[8:11], off, off offset:608
	s_wait_loadcnt_dscnt 0xb01
	v_mul_f64_e32 v[152:153], v[4:5], v[132:133]
	v_mul_f64_e32 v[132:133], v[6:7], v[132:133]
	v_add_f64_e32 v[108:109], v[156:157], v[154:155]
	v_add_f64_e32 v[146:147], v[146:147], v[150:151]
	s_wait_loadcnt_dscnt 0xa00
	v_mul_f64_e32 v[150:151], v[114:115], v[96:97]
	v_mul_f64_e32 v[96:97], v[116:117], v[96:97]
	v_fmac_f64_e32 v[152:153], v[6:7], v[130:131]
	v_fma_f64 v[130:131], v[4:5], v[130:131], -v[132:133]
	v_add_f64_e32 v[132:133], v[108:109], v[106:107]
	v_add_f64_e32 v[146:147], v[146:147], v[148:149]
	ds_load_b128 v[4:7], v2 offset:1088
	ds_load_b128 v[106:109], v2 offset:1104
	v_fmac_f64_e32 v[150:151], v[116:117], v[94:95]
	v_fma_f64 v[94:95], v[114:115], v[94:95], -v[96:97]
	s_wait_loadcnt_dscnt 0x901
	v_mul_f64_e32 v[148:149], v[4:5], v[140:141]
	v_mul_f64_e32 v[140:141], v[6:7], v[140:141]
	s_wait_loadcnt_dscnt 0x800
	v_mul_f64_e32 v[116:117], v[106:107], v[14:15]
	v_mul_f64_e32 v[14:15], v[108:109], v[14:15]
	v_add_f64_e32 v[96:97], v[132:133], v[130:131]
	v_add_f64_e32 v[114:115], v[146:147], v[152:153]
	v_fmac_f64_e32 v[148:149], v[6:7], v[138:139]
	v_fma_f64 v[130:131], v[4:5], v[138:139], -v[140:141]
	v_fmac_f64_e32 v[116:117], v[108:109], v[12:13]
	v_fma_f64 v[12:13], v[106:107], v[12:13], -v[14:15]
	v_add_f64_e32 v[132:133], v[96:97], v[94:95]
	v_add_f64_e32 v[114:115], v[114:115], v[150:151]
	ds_load_b128 v[4:7], v2 offset:1120
	ds_load_b128 v[94:97], v2 offset:1136
	s_wait_loadcnt_dscnt 0x701
	v_mul_f64_e32 v[138:139], v[4:5], v[120:121]
	v_mul_f64_e32 v[120:121], v[6:7], v[120:121]
	s_wait_loadcnt_dscnt 0x600
	v_mul_f64_e32 v[108:109], v[94:95], v[100:101]
	v_mul_f64_e32 v[100:101], v[96:97], v[100:101]
	v_add_f64_e32 v[14:15], v[132:133], v[130:131]
	v_add_f64_e32 v[106:107], v[114:115], v[148:149]
	v_fmac_f64_e32 v[138:139], v[6:7], v[118:119]
	v_fma_f64 v[114:115], v[4:5], v[118:119], -v[120:121]
	v_fmac_f64_e32 v[108:109], v[96:97], v[98:99]
	v_fma_f64 v[94:95], v[94:95], v[98:99], -v[100:101]
	v_add_f64_e32 v[118:119], v[14:15], v[12:13]
	v_add_f64_e32 v[106:107], v[106:107], v[116:117]
	ds_load_b128 v[4:7], v2 offset:1152
	ds_load_b128 v[12:15], v2 offset:1168
	;; [unrolled: 16-line block ×3, first 2 shown]
	s_wait_loadcnt_dscnt 0x301
	v_mul_f64_e32 v[108:109], v[4:5], v[128:129]
	v_mul_f64_e32 v[118:119], v[6:7], v[128:129]
	s_wait_loadcnt_dscnt 0x200
	v_mul_f64_e32 v[102:103], v[94:95], v[112:113]
	v_mul_f64_e32 v[104:105], v[96:97], v[112:113]
	v_add_f64_e32 v[14:15], v[114:115], v[106:107]
	v_add_f64_e32 v[98:99], v[98:99], v[116:117]
	v_lshl_add_u64 v[114:115], v[20:21], 4, s[4:5]
	v_lshl_add_u64 v[20:21], v[56:57], 4, s[4:5]
	;; [unrolled: 1-line block ×3, first 2 shown]
	v_fmac_f64_e32 v[108:109], v[6:7], v[126:127]
	v_fma_f64 v[106:107], v[4:5], v[126:127], -v[118:119]
	v_fmac_f64_e32 v[102:103], v[96:97], v[110:111]
	v_fma_f64 v[94:95], v[94:95], v[110:111], -v[104:105]
	v_lshl_add_u64 v[110:111], v[24:25], 4, s[4:5]
	v_lshl_add_u64 v[24:25], v[60:61], 4, s[4:5]
	v_add_f64_e32 v[112:113], v[14:15], v[12:13]
	v_add_f64_e32 v[98:99], v[98:99], v[100:101]
	ds_load_b128 v[4:7], v2 offset:1216
	ds_load_b128 v[12:15], v2 offset:1232
	s_wait_loadcnt_dscnt 0x101
	v_mul_f64_e32 v[2:3], v[4:5], v[144:145]
	v_mul_f64_e32 v[100:101], v[6:7], v[144:145]
	s_wait_loadcnt_dscnt 0x0
	v_mul_f64_e32 v[104:105], v[12:13], v[10:11]
	v_mul_f64_e32 v[10:11], v[14:15], v[10:11]
	v_add_f64_e32 v[96:97], v[112:113], v[106:107]
	v_add_f64_e32 v[98:99], v[98:99], v[108:109]
	v_lshl_add_u64 v[112:113], v[22:23], 4, s[4:5]
	v_lshl_add_u64 v[106:107], v[26:27], 4, s[4:5]
	;; [unrolled: 1-line block ×6, first 2 shown]
	v_fmac_f64_e32 v[2:3], v[6:7], v[142:143]
	v_fma_f64 v[4:5], v[4:5], v[142:143], -v[100:101]
	v_fmac_f64_e32 v[104:105], v[14:15], v[8:9]
	v_fma_f64 v[8:9], v[12:13], v[8:9], -v[10:11]
	v_lshl_add_u64 v[100:101], v[34:35], 4, s[4:5]
	v_lshl_add_u64 v[10:11], v[50:51], 4, s[4:5]
	;; [unrolled: 1-line block ×7, first 2 shown]
	v_add_f64_e32 v[6:7], v[96:97], v[94:95]
	v_add_f64_e32 v[94:95], v[98:99], v[102:103]
	v_lshl_add_u64 v[98:99], v[32:33], 4, s[4:5]
	v_lshl_add_u64 v[102:103], v[36:37], 4, s[4:5]
	;; [unrolled: 1-line block ×7, first 2 shown]
	v_add_f64_e32 v[4:5], v[6:7], v[4:5]
	v_add_f64_e32 v[2:3], v[94:95], v[2:3]
	v_lshl_add_u64 v[94:95], v[40:41], 4, s[4:5]
	v_lshl_add_u64 v[6:7], v[46:47], 4, s[4:5]
	;; [unrolled: 1-line block ×4, first 2 shown]
	v_add_f64_e32 v[4:5], v[4:5], v[8:9]
	v_add_f64_e32 v[2:3], v[2:3], v[104:105]
	v_lshl_add_u64 v[104:105], v[30:31], 4, s[4:5]
	v_lshl_add_u64 v[8:9], v[48:49], 4, s[4:5]
	v_lshl_add_u64 v[30:31], v[66:67], 4, s[4:5]
	v_lshl_add_u64 v[48:49], v[84:85], 4, s[4:5]
	v_add_f64_e64 v[116:117], v[134:135], -v[4:5]
	v_add_f64_e64 v[118:119], v[136:137], -v[2:3]
	v_lshl_add_u64 v[2:3], v[42:43], 4, s[4:5]
	v_lshl_add_u64 v[4:5], v[44:45], 4, s[4:5]
	;; [unrolled: 1-line block ×4, first 2 shown]
	scratch_store_b128 off, v[116:119], off
	s_cbranch_vccz .LBB38_324
; %bb.248:
	v_mov_b32_e32 v58, 0
	s_load_b64 s[2:3], s[0:1], 0x4
	v_bfe_u32 v60, v0, 10, 10
	v_bfe_u32 v0, v0, 20, 10
	global_load_b32 v59, v58, s[16:17] offset:148
	s_wait_kmcnt 0x0
	s_lshr_b32 s0, s2, 16
	v_mul_u32_u24_e32 v60, s3, v60
	s_mul_i32 s0, s0, s3
	s_delay_alu instid0(SALU_CYCLE_1) | instskip(NEXT) | instid1(VALU_DEP_1)
	v_mul_u32_u24_e32 v1, s0, v1
	v_add3_u32 v0, v1, v60, v0
	s_delay_alu instid0(VALU_DEP_1)
	v_lshl_add_u32 v0, v0, 4, 0x4e8
	s_wait_loadcnt 0x0
	v_cmp_ne_u32_e32 vcc_lo, 38, v59
	s_cbranch_vccz .LBB38_250
; %bb.249:
	v_lshlrev_b32_e32 v1, 4, v59
	s_clause 0x1
	scratch_load_b128 v[60:63], off, s13
	scratch_load_b128 v[64:67], v1, off offset:-16
	s_wait_loadcnt 0x1
	ds_store_2addr_b64 v0, v[60:61], v[62:63] offset1:1
	s_wait_loadcnt 0x0
	s_clause 0x1
	scratch_store_b128 off, v[64:67], s13
	scratch_store_b128 v1, v[60:63], off offset:-16
.LBB38_250:
	global_load_b32 v1, v58, s[16:17] offset:144
	s_wait_loadcnt 0x0
	v_cmp_eq_u32_e32 vcc_lo, 37, v1
	s_cbranch_vccnz .LBB38_252
; %bb.251:
	v_lshlrev_b32_e32 v1, 4, v1
	s_clause 0x1
	scratch_load_b128 v[58:61], off, s21
	scratch_load_b128 v[62:65], v1, off offset:-16
	s_wait_loadcnt 0x1
	ds_store_2addr_b64 v0, v[58:59], v[60:61] offset1:1
	s_wait_loadcnt 0x0
	s_clause 0x1
	scratch_store_b128 off, v[62:65], s21
	scratch_store_b128 v1, v[58:61], off offset:-16
.LBB38_252:
	s_wait_xcnt 0x0
	v_mov_b32_e32 v1, 0
	global_load_b32 v58, v1, s[16:17] offset:140
	s_wait_loadcnt 0x0
	v_cmp_eq_u32_e32 vcc_lo, 36, v58
	s_cbranch_vccnz .LBB38_254
; %bb.253:
	v_lshlrev_b32_e32 v58, 4, v58
	s_delay_alu instid0(VALU_DEP_1)
	v_mov_b32_e32 v66, v58
	s_clause 0x1
	scratch_load_b128 v[58:61], off, s8
	scratch_load_b128 v[62:65], v66, off offset:-16
	s_wait_loadcnt 0x1
	ds_store_2addr_b64 v0, v[58:59], v[60:61] offset1:1
	s_wait_loadcnt 0x0
	s_clause 0x1
	scratch_store_b128 off, v[62:65], s8
	scratch_store_b128 v66, v[58:61], off offset:-16
.LBB38_254:
	global_load_b32 v1, v1, s[16:17] offset:136
	s_wait_loadcnt 0x0
	v_cmp_eq_u32_e32 vcc_lo, 35, v1
	s_cbranch_vccnz .LBB38_256
; %bb.255:
	s_wait_xcnt 0x0
	v_lshlrev_b32_e32 v1, 4, v1
	s_clause 0x1
	scratch_load_b128 v[58:61], off, s10
	scratch_load_b128 v[62:65], v1, off offset:-16
	s_wait_loadcnt 0x1
	ds_store_2addr_b64 v0, v[58:59], v[60:61] offset1:1
	s_wait_loadcnt 0x0
	s_clause 0x1
	scratch_store_b128 off, v[62:65], s10
	scratch_store_b128 v1, v[58:61], off offset:-16
.LBB38_256:
	s_wait_xcnt 0x0
	v_mov_b32_e32 v1, 0
	global_load_b32 v58, v1, s[16:17] offset:132
	s_wait_loadcnt 0x0
	v_cmp_eq_u32_e32 vcc_lo, 34, v58
	s_cbranch_vccnz .LBB38_258
; %bb.257:
	v_lshlrev_b32_e32 v58, 4, v58
	s_delay_alu instid0(VALU_DEP_1)
	v_mov_b32_e32 v66, v58
	s_clause 0x1
	scratch_load_b128 v[58:61], off, s9
	scratch_load_b128 v[62:65], v66, off offset:-16
	s_wait_loadcnt 0x1
	ds_store_2addr_b64 v0, v[58:59], v[60:61] offset1:1
	s_wait_loadcnt 0x0
	s_clause 0x1
	scratch_store_b128 off, v[62:65], s9
	scratch_store_b128 v66, v[58:61], off offset:-16
.LBB38_258:
	global_load_b32 v1, v1, s[16:17] offset:128
	s_wait_loadcnt 0x0
	v_cmp_eq_u32_e32 vcc_lo, 33, v1
	s_cbranch_vccnz .LBB38_260
; %bb.259:
	s_wait_xcnt 0x0
	v_lshlrev_b32_e32 v1, 4, v1
	s_clause 0x1
	scratch_load_b128 v[58:61], off, s12
	scratch_load_b128 v[62:65], v1, off offset:-16
	s_wait_loadcnt 0x1
	ds_store_2addr_b64 v0, v[58:59], v[60:61] offset1:1
	s_wait_loadcnt 0x0
	s_clause 0x1
	scratch_store_b128 off, v[62:65], s12
	scratch_store_b128 v1, v[58:61], off offset:-16
.LBB38_260:
	;; [unrolled: 37-line block ×17, first 2 shown]
	s_wait_xcnt 0x0
	v_mov_b32_e32 v1, 0
	global_load_b32 v58, v1, s[16:17] offset:4
	s_wait_loadcnt 0x0
	v_cmp_eq_u32_e32 vcc_lo, 2, v58
	s_cbranch_vccnz .LBB38_322
; %bb.321:
	v_lshlrev_b32_e32 v58, 4, v58
	s_delay_alu instid0(VALU_DEP_1)
	v_mov_b32_e32 v66, v58
	s_clause 0x1
	scratch_load_b128 v[58:61], off, s34
	scratch_load_b128 v[62:65], v66, off offset:-16
	s_wait_loadcnt 0x1
	ds_store_2addr_b64 v0, v[58:59], v[60:61] offset1:1
	s_wait_loadcnt 0x0
	s_clause 0x1
	scratch_store_b128 off, v[62:65], s34
	scratch_store_b128 v66, v[58:61], off offset:-16
.LBB38_322:
	global_load_b32 v1, v1, s[16:17]
	s_wait_loadcnt 0x0
	v_cmp_eq_u32_e32 vcc_lo, 1, v1
	s_cbranch_vccnz .LBB38_324
; %bb.323:
	s_wait_xcnt 0x0
	v_lshlrev_b32_e32 v1, 4, v1
	scratch_load_b128 v[58:61], off, off
	scratch_load_b128 v[62:65], v1, off offset:-16
	s_wait_loadcnt 0x1
	ds_store_2addr_b64 v0, v[58:59], v[60:61] offset1:1
	s_wait_loadcnt 0x0
	scratch_store_b128 off, v[62:65], off
	scratch_store_b128 v1, v[58:61], off offset:-16
.LBB38_324:
	scratch_load_b128 v[58:61], off, off
	s_clause 0x11
	scratch_load_b128 v[62:65], off, s34
	scratch_load_b128 v[66:69], off, s28
	;; [unrolled: 1-line block ×15, first 2 shown]
	; meta instruction
	; meta instruction
	;; [unrolled: 1-line block ×15, first 2 shown]
	scratch_load_b128 v[144:147], off, s37
	scratch_load_b128 v[148:151], off, s38
	;; [unrolled: 1-line block ×3, first 2 shown]
	s_wait_loadcnt 0x12
	global_store_b128 v[16:17], v[58:61], off
	s_clause 0x1
	scratch_load_b128 v[58:61], off, s35
	scratch_load_b128 v[156:159], off, s36
	s_wait_loadcnt 0x13
	global_store_b128 v[18:19], v[62:65], off
	s_wait_loadcnt 0x12
	global_store_b128 v[114:115], v[66:69], off
	s_clause 0x1
	scratch_load_b128 v[16:19], off, s29
	scratch_load_b128 v[62:65], off, s31
	s_wait_loadcnt 0x13
	global_store_b128 v[112:113], v[70:73], off
	s_clause 0x1
	scratch_load_b128 v[66:69], off, s26
	scratch_load_b128 v[70:73], off, s27
	s_wait_loadcnt 0x14
	global_store_b128 v[110:111], v[74:77], off
	s_clause 0x1
	scratch_load_b128 v[74:77], off, s24
	scratch_load_b128 v[110:113], off, s25
	s_wait_loadcnt 0x15
	global_store_b128 v[106:107], v[78:81], off
	s_wait_loadcnt 0x14
	global_store_b128 v[108:109], v[82:85], off
	s_clause 0x1
	scratch_load_b128 v[78:81], off, s22
	scratch_load_b128 v[82:85], off, s23
	s_wait_loadcnt 0x15
	global_store_b128 v[104:105], v[86:89], off
	s_clause 0x1
	scratch_load_b128 v[86:89], off, s14
	scratch_load_b128 v[104:107], off, s20
	;; [unrolled: 17-line block ×3, first 2 shown]
	s_wait_loadcnt 0x18
	global_store_b128 v[94:95], v[128:131], off
	s_clause 0x1
	scratch_load_b128 v[94:97], off, s13
	scratch_load_b128 v[126:129], off, s15
	s_wait_loadcnt 0x19
	global_store_b128 v[2:3], v[132:135], off
	s_wait_loadcnt 0x18
	global_store_b128 v[4:5], v[136:139], off
	s_wait_loadcnt 0x17
	global_store_b128 v[6:7], v[140:143], off
	s_wait_loadcnt 0x16
	global_store_b128 v[8:9], v[144:147], off
	s_wait_loadcnt 0x15
	global_store_b128 v[10:11], v[148:151], off
	s_wait_loadcnt 0x14
	global_store_b128 v[12:13], v[152:155], off
	s_wait_loadcnt 0x13
	global_store_b128 v[14:15], v[58:61], off
	s_wait_loadcnt 0x12
	global_store_b128 v[20:21], v[156:159], off
	s_wait_loadcnt 0x11
	global_store_b128 v[22:23], v[16:19], off
	s_wait_loadcnt 0x10
	global_store_b128 v[24:25], v[62:65], off
	s_wait_loadcnt 0xf
	global_store_b128 v[26:27], v[66:69], off
	s_wait_loadcnt 0xe
	global_store_b128 v[28:29], v[70:73], off
	s_wait_loadcnt 0xd
	global_store_b128 v[30:31], v[74:77], off
	s_wait_loadcnt 0xc
	global_store_b128 v[32:33], v[110:113], off
	s_wait_loadcnt 0xb
	global_store_b128 v[34:35], v[78:81], off
	s_wait_loadcnt 0xa
	global_store_b128 v[36:37], v[82:85], off
	s_wait_loadcnt 0x9
	global_store_b128 v[38:39], v[86:89], off
	s_wait_loadcnt 0x8
	global_store_b128 v[40:41], v[104:107], off
	s_wait_loadcnt 0x7
	global_store_b128 v[42:43], v[90:93], off
	s_wait_loadcnt 0x6
	global_store_b128 v[44:45], v[160:163], off
	s_wait_loadcnt 0x5
	global_store_b128 v[46:47], v[98:101], off
	s_wait_loadcnt 0x4
	global_store_b128 v[48:49], v[114:117], off
	s_wait_loadcnt 0x3
	global_store_b128 v[50:51], v[118:121], off
	s_wait_loadcnt 0x2
	global_store_b128 v[52:53], v[122:125], off
	s_wait_loadcnt 0x1
	global_store_b128 v[54:55], v[94:97], off
	s_wait_loadcnt 0x0
	global_store_b128 v[56:57], v[126:129], off
	s_sendmsg sendmsg(MSG_DEALLOC_VGPRS)
	s_endpgm
	.section	.rodata,"a",@progbits
	.p2align	6, 0x0
	.amdhsa_kernel _ZN9rocsolver6v33100L18getri_kernel_smallILi39E19rocblas_complex_numIdEPS3_EEvT1_iilPiilS6_bb
		.amdhsa_group_segment_fixed_size 2280
		.amdhsa_private_segment_fixed_size 640
		.amdhsa_kernarg_size 60
		.amdhsa_user_sgpr_count 4
		.amdhsa_user_sgpr_dispatch_ptr 1
		.amdhsa_user_sgpr_queue_ptr 0
		.amdhsa_user_sgpr_kernarg_segment_ptr 1
		.amdhsa_user_sgpr_dispatch_id 0
		.amdhsa_user_sgpr_kernarg_preload_length 0
		.amdhsa_user_sgpr_kernarg_preload_offset 0
		.amdhsa_user_sgpr_private_segment_size 0
		.amdhsa_wavefront_size32 1
		.amdhsa_uses_dynamic_stack 0
		.amdhsa_enable_private_segment 1
		.amdhsa_system_sgpr_workgroup_id_x 1
		.amdhsa_system_sgpr_workgroup_id_y 0
		.amdhsa_system_sgpr_workgroup_id_z 0
		.amdhsa_system_sgpr_workgroup_info 0
		.amdhsa_system_vgpr_workitem_id 2
		.amdhsa_next_free_vgpr 166
		.amdhsa_next_free_sgpr 69
		.amdhsa_named_barrier_count 0
		.amdhsa_reserve_vcc 1
		.amdhsa_float_round_mode_32 0
		.amdhsa_float_round_mode_16_64 0
		.amdhsa_float_denorm_mode_32 3
		.amdhsa_float_denorm_mode_16_64 3
		.amdhsa_fp16_overflow 0
		.amdhsa_memory_ordered 1
		.amdhsa_forward_progress 1
		.amdhsa_inst_pref_size 255
		.amdhsa_round_robin_scheduling 0
		.amdhsa_exception_fp_ieee_invalid_op 0
		.amdhsa_exception_fp_denorm_src 0
		.amdhsa_exception_fp_ieee_div_zero 0
		.amdhsa_exception_fp_ieee_overflow 0
		.amdhsa_exception_fp_ieee_underflow 0
		.amdhsa_exception_fp_ieee_inexact 0
		.amdhsa_exception_int_div_zero 0
	.end_amdhsa_kernel
	.section	.text._ZN9rocsolver6v33100L18getri_kernel_smallILi39E19rocblas_complex_numIdEPS3_EEvT1_iilPiilS6_bb,"axG",@progbits,_ZN9rocsolver6v33100L18getri_kernel_smallILi39E19rocblas_complex_numIdEPS3_EEvT1_iilPiilS6_bb,comdat
.Lfunc_end38:
	.size	_ZN9rocsolver6v33100L18getri_kernel_smallILi39E19rocblas_complex_numIdEPS3_EEvT1_iilPiilS6_bb, .Lfunc_end38-_ZN9rocsolver6v33100L18getri_kernel_smallILi39E19rocblas_complex_numIdEPS3_EEvT1_iilPiilS6_bb
                                        ; -- End function
	.set _ZN9rocsolver6v33100L18getri_kernel_smallILi39E19rocblas_complex_numIdEPS3_EEvT1_iilPiilS6_bb.num_vgpr, 166
	.set _ZN9rocsolver6v33100L18getri_kernel_smallILi39E19rocblas_complex_numIdEPS3_EEvT1_iilPiilS6_bb.num_agpr, 0
	.set _ZN9rocsolver6v33100L18getri_kernel_smallILi39E19rocblas_complex_numIdEPS3_EEvT1_iilPiilS6_bb.numbered_sgpr, 69
	.set _ZN9rocsolver6v33100L18getri_kernel_smallILi39E19rocblas_complex_numIdEPS3_EEvT1_iilPiilS6_bb.num_named_barrier, 0
	.set _ZN9rocsolver6v33100L18getri_kernel_smallILi39E19rocblas_complex_numIdEPS3_EEvT1_iilPiilS6_bb.private_seg_size, 640
	.set _ZN9rocsolver6v33100L18getri_kernel_smallILi39E19rocblas_complex_numIdEPS3_EEvT1_iilPiilS6_bb.uses_vcc, 1
	.set _ZN9rocsolver6v33100L18getri_kernel_smallILi39E19rocblas_complex_numIdEPS3_EEvT1_iilPiilS6_bb.uses_flat_scratch, 1
	.set _ZN9rocsolver6v33100L18getri_kernel_smallILi39E19rocblas_complex_numIdEPS3_EEvT1_iilPiilS6_bb.has_dyn_sized_stack, 0
	.set _ZN9rocsolver6v33100L18getri_kernel_smallILi39E19rocblas_complex_numIdEPS3_EEvT1_iilPiilS6_bb.has_recursion, 0
	.set _ZN9rocsolver6v33100L18getri_kernel_smallILi39E19rocblas_complex_numIdEPS3_EEvT1_iilPiilS6_bb.has_indirect_call, 0
	.section	.AMDGPU.csdata,"",@progbits
; Kernel info:
; codeLenInByte = 62976
; TotalNumSgprs: 71
; NumVgprs: 166
; ScratchSize: 640
; MemoryBound: 0
; FloatMode: 240
; IeeeMode: 1
; LDSByteSize: 2280 bytes/workgroup (compile time only)
; SGPRBlocks: 0
; VGPRBlocks: 10
; NumSGPRsForWavesPerEU: 71
; NumVGPRsForWavesPerEU: 166
; NamedBarCnt: 0
; Occupancy: 5
; WaveLimiterHint : 1
; COMPUTE_PGM_RSRC2:SCRATCH_EN: 1
; COMPUTE_PGM_RSRC2:USER_SGPR: 4
; COMPUTE_PGM_RSRC2:TRAP_HANDLER: 0
; COMPUTE_PGM_RSRC2:TGID_X_EN: 1
; COMPUTE_PGM_RSRC2:TGID_Y_EN: 0
; COMPUTE_PGM_RSRC2:TGID_Z_EN: 0
; COMPUTE_PGM_RSRC2:TIDIG_COMP_CNT: 2
	.section	.text._ZN9rocsolver6v33100L18getri_kernel_smallILi40E19rocblas_complex_numIdEPS3_EEvT1_iilPiilS6_bb,"axG",@progbits,_ZN9rocsolver6v33100L18getri_kernel_smallILi40E19rocblas_complex_numIdEPS3_EEvT1_iilPiilS6_bb,comdat
	.globl	_ZN9rocsolver6v33100L18getri_kernel_smallILi40E19rocblas_complex_numIdEPS3_EEvT1_iilPiilS6_bb ; -- Begin function _ZN9rocsolver6v33100L18getri_kernel_smallILi40E19rocblas_complex_numIdEPS3_EEvT1_iilPiilS6_bb
	.p2align	8
	.type	_ZN9rocsolver6v33100L18getri_kernel_smallILi40E19rocblas_complex_numIdEPS3_EEvT1_iilPiilS6_bb,@function
_ZN9rocsolver6v33100L18getri_kernel_smallILi40E19rocblas_complex_numIdEPS3_EEvT1_iilPiilS6_bb: ; @_ZN9rocsolver6v33100L18getri_kernel_smallILi40E19rocblas_complex_numIdEPS3_EEvT1_iilPiilS6_bb
; %bb.0:
	v_and_b32_e32 v1, 0x3ff, v0
	s_mov_b32 s4, exec_lo
	s_delay_alu instid0(VALU_DEP_1)
	v_cmpx_gt_u32_e32 40, v1
	s_cbranch_execz .LBB39_174
; %bb.1:
	s_clause 0x2
	s_load_b32 s8, s[2:3], 0x38
	s_load_b128 s[12:15], s[2:3], 0x10
	s_load_b128 s[4:7], s[2:3], 0x28
	s_getreg_b32 s11, hwreg(HW_REG_IB_STS2, 6, 4)
                                        ; implicit-def: $sgpr16_sgpr17
	s_wait_kmcnt 0x0
	s_bitcmp1_b32 s8, 8
	s_cselect_b32 s52, -1, 0
	s_bfe_u32 s9, ttmp6, 0x4000c
	s_and_b32 s10, ttmp6, 15
	s_add_co_i32 s9, s9, 1
	s_delay_alu instid0(SALU_CYCLE_1) | instskip(NEXT) | instid1(SALU_CYCLE_1)
	s_mul_i32 s9, ttmp9, s9
	s_add_co_i32 s10, s10, s9
	s_cmp_eq_u32 s11, 0
	s_cselect_b32 s18, ttmp9, s10
	s_bfe_u32 s8, s8, 0x10008
	s_ashr_i32 s19, s18, 31
	s_cmp_eq_u32 s8, 0
	s_cbranch_scc1 .LBB39_3
; %bb.2:
	s_load_b32 s8, s[2:3], 0x20
	s_mul_u64 s[4:5], s[4:5], s[18:19]
	s_delay_alu instid0(SALU_CYCLE_1) | instskip(NEXT) | instid1(SALU_CYCLE_1)
	s_lshl_b64 s[4:5], s[4:5], 2
	s_add_nc_u64 s[4:5], s[14:15], s[4:5]
	s_wait_kmcnt 0x0
	s_ashr_i32 s9, s8, 31
	s_delay_alu instid0(SALU_CYCLE_1) | instskip(NEXT) | instid1(SALU_CYCLE_1)
	s_lshl_b64 s[8:9], s[8:9], 2
	s_add_nc_u64 s[16:17], s[4:5], s[8:9]
.LBB39_3:
	s_clause 0x1
	s_load_b128 s[8:11], s[2:3], 0x0
	s_load_b32 s53, s[2:3], 0x38
	s_wait_xcnt 0x0
	s_mul_u64 s[2:3], s[12:13], s[18:19]
	s_movk_i32 s21, 0x100
	s_lshl_b64 s[2:3], s[2:3], 4
	s_movk_i32 s22, 0x110
	s_movk_i32 s28, 0x150
	;; [unrolled: 1-line block ×15, first 2 shown]
	s_wait_kmcnt 0x0
	v_add3_u32 v28, s11, s11, v1
	s_ashr_i32 s5, s10, 31
	s_mov_b32 s4, s10
	s_add_nc_u64 s[2:3], s[8:9], s[2:3]
	s_lshl_b64 s[4:5], s[4:5], 4
	v_dual_add_nc_u32 v30, s11, v28 :: v_dual_lshlrev_b32 v14, 4, v1
	s_add_nc_u64 s[4:5], s[2:3], s[4:5]
	s_ashr_i32 s3, s11, 31
	s_mov_b32 s2, s11
	s_delay_alu instid0(VALU_DEP_1)
	v_dual_mov_b32 v15, 0 :: v_dual_add_nc_u32 v32, s11, v30
	s_clause 0x1
	global_load_b128 v[2:5], v1, s[4:5] scale_offset
	global_load_b128 v[6:9], v28, s[4:5] scale_offset
	s_movk_i32 s61, 0x230
	s_clause 0x1
	global_load_b128 v[10:13], v30, s[4:5] scale_offset
	global_load_b128 v[16:19], v32, s[4:5] scale_offset
	v_add_nc_u32_e32 v34, s11, v32
	v_add_nc_u64_e32 v[24:25], s[4:5], v[14:15]
	s_movk_i32 s62, 0x240
	s_movk_i32 s63, 0x250
	;; [unrolled: 1-line block ×3, first 2 shown]
	v_add_nc_u32_e32 v36, s11, v34
	s_movk_i32 s65, 0x270
	s_mov_b32 s39, 16
	v_lshl_add_u64 v[26:27], s[2:3], 4, v[24:25]
	s_mov_b32 s36, 32
	v_add_nc_u32_e32 v38, s11, v36
	s_mov_b32 s37, 48
	s_mov_b32 s38, 64
	s_movk_i32 s43, 0x50
	s_movk_i32 s45, 0x60
	v_add_nc_u32_e32 v40, s11, v38
	s_movk_i32 s48, 0x70
	s_movk_i32 s41, 0x80
	s_movk_i32 s42, 0x90
	s_movk_i32 s44, 0xa0
	v_add_nc_u32_e32 v42, s11, v40
	s_clause 0x2
	global_load_b128 v[20:23], v[26:27], off
	global_load_b128 v[98:101], v34, s[4:5] scale_offset
	global_load_b128 v[102:105], v36, s[4:5] scale_offset
	s_movk_i32 s47, 0xb0
	s_movk_i32 s49, 0xc0
	;; [unrolled: 1-line block ×3, first 2 shown]
	v_add_nc_u32_e32 v44, s11, v42
	s_clause 0x1
	global_load_b128 v[106:109], v38, s[4:5] scale_offset
	global_load_b128 v[110:113], v40, s[4:5] scale_offset
	s_movk_i32 s51, 0xe0
	s_movk_i32 s46, 0xf0
	s_clause 0x1
	global_load_b128 v[114:117], v42, s[4:5] scale_offset
	global_load_b128 v[118:121], v44, s[4:5] scale_offset
	v_add_nc_u32_e32 v46, s11, v44
	s_movk_i32 s24, 0x120
	s_movk_i32 s26, 0x130
	;; [unrolled: 1-line block ×3, first 2 shown]
	s_mov_b32 s13, s21
	v_add_nc_u32_e32 v48, s11, v46
	s_mov_b32 s20, s22
	s_mov_b32 s21, s28
	;; [unrolled: 1-line block ×4, first 2 shown]
	v_add_nc_u32_e32 v50, s11, v48
	s_mov_b32 s31, s33
	s_mov_b32 s15, s34
	;; [unrolled: 1-line block ×4, first 2 shown]
	v_add_nc_u32_e32 v52, s11, v50
	global_load_b128 v[122:125], v46, s[4:5] scale_offset
	s_mov_b32 s14, s54
	s_mov_b32 s10, s55
	;; [unrolled: 1-line block ×3, first 2 shown]
	v_add_nc_u32_e32 v54, s11, v52
	s_mov_b32 s9, s58
	s_mov_b32 s34, s59
	;; [unrolled: 1-line block ×4, first 2 shown]
	v_add_nc_u32_e32 v56, s11, v54
	s_clause 0x3
	global_load_b128 v[126:129], v48, s[4:5] scale_offset
	global_load_b128 v[130:133], v50, s[4:5] scale_offset
	;; [unrolled: 1-line block ×4, first 2 shown]
	s_mov_b32 s33, s62
	s_mov_b32 s25, s63
	v_add_nc_u32_e32 v58, s11, v56
	s_mov_b32 s28, s64
	s_mov_b32 s40, s65
	s_bitcmp0_b32 s53, 0
	s_mov_b32 s3, -1
	v_add_nc_u32_e32 v60, s11, v58
	s_delay_alu instid0(VALU_DEP_1) | instskip(NEXT) | instid1(VALU_DEP_1)
	v_add_nc_u32_e32 v62, s11, v60
	v_add_nc_u32_e32 v64, s11, v62
	s_delay_alu instid0(VALU_DEP_1) | instskip(NEXT) | instid1(VALU_DEP_1)
	v_add_nc_u32_e32 v66, s11, v64
	v_add_nc_u32_e32 v68, s11, v66
	s_clause 0x3
	global_load_b128 v[142:145], v56, s[4:5] scale_offset
	global_load_b128 v[146:149], v58, s[4:5] scale_offset
	;; [unrolled: 1-line block ×4, first 2 shown]
	v_add_nc_u32_e32 v70, s11, v68
	s_delay_alu instid0(VALU_DEP_1) | instskip(NEXT) | instid1(VALU_DEP_1)
	v_add_nc_u32_e32 v72, s11, v70
	v_add_nc_u32_e32 v74, s11, v72
	s_delay_alu instid0(VALU_DEP_1)
	v_add_nc_u32_e32 v76, s11, v74
	s_clause 0x3
	global_load_b128 v[158:161], v64, s[4:5] scale_offset
	global_load_b128 v[162:165], v66, s[4:5] scale_offset
	;; [unrolled: 1-line block ×4, first 2 shown]
	v_add_nc_u32_e32 v78, s11, v76
	s_delay_alu instid0(VALU_DEP_1)
	v_add_nc_u32_e32 v80, s11, v78
	s_clause 0x3
	global_load_b128 v[174:177], v72, s[4:5] scale_offset
	global_load_b128 v[178:181], v74, s[4:5] scale_offset
	;; [unrolled: 1-line block ×4, first 2 shown]
	s_wait_loadcnt 0x1b
	scratch_store_b128 off, v[2:5], off
	s_wait_loadcnt 0x1a
	scratch_store_b128 off, v[6:9], off offset:32
	v_add_nc_u32_e32 v82, s11, v80
	s_delay_alu instid0(VALU_DEP_1) | instskip(NEXT) | instid1(VALU_DEP_1)
	v_add_nc_u32_e32 v84, s11, v82
	v_add_nc_u32_e32 v86, s11, v84
	s_delay_alu instid0(VALU_DEP_1)
	v_add_nc_u32_e32 v88, s11, v86
	s_clause 0x1
	global_load_b128 v[2:5], v80, s[4:5] scale_offset
	global_load_b128 v[6:9], v82, s[4:5] scale_offset
	s_wait_loadcnt 0x1b
	scratch_store_b128 off, v[10:13], off offset:48
	s_wait_loadcnt 0x1a
	scratch_store_b128 off, v[16:19], off offset:64
	v_add_nc_u32_e32 v90, s11, v88
	s_delay_alu instid0(VALU_DEP_1)
	v_add_nc_u32_e32 v92, s11, v90
	s_clause 0x1
	global_load_b128 v[10:13], v84, s[4:5] scale_offset
	global_load_b128 v[16:19], v86, s[4:5] scale_offset
	s_wait_loadcnt 0x1b
	scratch_store_b128 off, v[20:23], off offset:16
	s_wait_loadcnt 0x1a
	scratch_store_b128 off, v[98:101], off offset:80
	;; [unrolled: 2-line block ×3, first 2 shown]
	s_clause 0x1
	global_load_b128 v[20:23], v88, s[4:5] scale_offset
	global_load_b128 v[190:193], v90, s[4:5] scale_offset
	v_add_nc_u32_e32 v94, s11, v92
	s_wait_loadcnt 0x1a
	scratch_store_b128 off, v[106:109], off offset:112
	s_wait_loadcnt 0x19
	scratch_store_b128 off, v[110:113], off offset:128
	v_add_nc_u32_e32 v96, s11, v94
	s_wait_xcnt 0x5
	s_delay_alu instid0(VALU_DEP_1) | instskip(NEXT) | instid1(VALU_DEP_1)
	v_add_nc_u32_e32 v98, s11, v96
	v_add_nc_u32_e32 v100, s11, v98
	s_clause 0x1
	global_load_b128 v[104:107], v92, s[4:5] scale_offset
	global_load_b128 v[108:111], v94, s[4:5] scale_offset
	s_wait_loadcnt 0x1a
	scratch_store_b128 off, v[114:117], off offset:144
	s_wait_loadcnt 0x19
	scratch_store_b128 off, v[118:121], off offset:160
	v_add_nc_u32_e32 v102, s11, v100
	s_clause 0x1
	global_load_b128 v[112:115], v96, s[4:5] scale_offset
	global_load_b128 v[116:119], v98, s[4:5] scale_offset
	s_wait_loadcnt 0x1a
	scratch_store_b128 off, v[122:125], off offset:176
	s_mov_b32 s11, s56
	s_wait_loadcnt 0x19
	scratch_store_b128 off, v[126:129], off offset:192
	s_wait_loadcnt 0x18
	scratch_store_b128 off, v[130:133], off offset:208
	s_clause 0x1
	global_load_b128 v[120:123], v100, s[4:5] scale_offset
	global_load_b128 v[124:127], v102, s[4:5] scale_offset
	s_wait_loadcnt 0x19
	scratch_store_b128 off, v[134:137], off offset:224
	s_wait_loadcnt 0x18
	scratch_store_b128 off, v[138:141], off offset:240
	;; [unrolled: 2-line block ×26, first 2 shown]
	s_cbranch_scc1 .LBB39_172
; %bb.4:
	v_cmp_eq_u32_e64 s2, 0, v1
	s_wait_xcnt 0x0
	s_and_saveexec_b32 s3, s2
; %bb.5:
	v_mov_b32_e32 v2, 0
	ds_store_b32 v2, v2 offset:1280
; %bb.6:
	s_or_b32 exec_lo, exec_lo, s3
	s_wait_storecnt_dscnt 0x0
	s_barrier_signal -1
	s_barrier_wait -1
	scratch_load_b128 v[2:5], v1, off scale_offset
	s_wait_loadcnt 0x0
	v_cmp_eq_f64_e32 vcc_lo, 0, v[2:3]
	v_cmp_eq_f64_e64 s3, 0, v[4:5]
	s_and_b32 s3, vcc_lo, s3
	s_delay_alu instid0(SALU_CYCLE_1)
	s_and_saveexec_b32 s53, s3
	s_cbranch_execz .LBB39_10
; %bb.7:
	v_mov_b32_e32 v2, 0
	s_mov_b32 s54, 0
	ds_load_b32 v3, v2 offset:1280
	s_wait_dscnt 0x0
	v_readfirstlane_b32 s3, v3
	v_add_nc_u32_e32 v3, 1, v1
	s_cmp_eq_u32 s3, 0
	s_delay_alu instid0(VALU_DEP_1) | instskip(SKIP_1) | instid1(SALU_CYCLE_1)
	v_cmp_gt_i32_e32 vcc_lo, s3, v3
	s_cselect_b32 s55, -1, 0
	s_or_b32 s55, s55, vcc_lo
	s_delay_alu instid0(SALU_CYCLE_1)
	s_and_b32 exec_lo, exec_lo, s55
	s_cbranch_execz .LBB39_10
; %bb.8:
	v_mov_b32_e32 v4, s3
.LBB39_9:                               ; =>This Inner Loop Header: Depth=1
	ds_cmpstore_rtn_b32 v4, v2, v3, v4 offset:1280
	s_wait_dscnt 0x0
	v_cmp_ne_u32_e32 vcc_lo, 0, v4
	v_cmp_le_i32_e64 s3, v4, v3
	s_and_b32 s3, vcc_lo, s3
	s_delay_alu instid0(SALU_CYCLE_1) | instskip(NEXT) | instid1(SALU_CYCLE_1)
	s_and_b32 s3, exec_lo, s3
	s_or_b32 s54, s3, s54
	s_delay_alu instid0(SALU_CYCLE_1)
	s_and_not1_b32 exec_lo, exec_lo, s54
	s_cbranch_execnz .LBB39_9
.LBB39_10:
	s_or_b32 exec_lo, exec_lo, s53
	v_mov_b32_e32 v2, 0
	s_barrier_signal -1
	s_barrier_wait -1
	ds_load_b32 v3, v2 offset:1280
	s_and_saveexec_b32 s3, s2
	s_cbranch_execz .LBB39_12
; %bb.11:
	s_lshl_b64 s[54:55], s[18:19], 2
	s_delay_alu instid0(SALU_CYCLE_1)
	s_add_nc_u64 s[54:55], s[6:7], s[54:55]
	s_wait_dscnt 0x0
	global_store_b32 v2, v3, s[54:55]
.LBB39_12:
	s_wait_xcnt 0x0
	s_or_b32 exec_lo, exec_lo, s3
	s_wait_dscnt 0x0
	v_cmp_ne_u32_e32 vcc_lo, 0, v3
	s_mov_b32 s3, 0
	s_cbranch_vccnz .LBB39_172
; %bb.13:
	v_lshl_add_u32 v15, v1, 4, 0
                                        ; implicit-def: $vgpr6_vgpr7
                                        ; implicit-def: $vgpr10_vgpr11
	scratch_load_b128 v[2:5], v15, off
	s_wait_loadcnt 0x0
	v_cmp_ngt_f64_e64 s3, |v[2:3]|, |v[4:5]|
	s_wait_xcnt 0x0
	s_and_saveexec_b32 s53, s3
	s_delay_alu instid0(SALU_CYCLE_1)
	s_xor_b32 s3, exec_lo, s53
	s_cbranch_execz .LBB39_15
; %bb.14:
	v_div_scale_f64 v[6:7], null, v[4:5], v[4:5], v[2:3]
	v_div_scale_f64 v[12:13], vcc_lo, v[2:3], v[4:5], v[2:3]
	s_delay_alu instid0(VALU_DEP_2) | instskip(SKIP_1) | instid1(TRANS32_DEP_1)
	v_rcp_f64_e32 v[8:9], v[6:7]
	v_nop
	v_fma_f64 v[10:11], -v[6:7], v[8:9], 1.0
	s_delay_alu instid0(VALU_DEP_1) | instskip(NEXT) | instid1(VALU_DEP_1)
	v_fmac_f64_e32 v[8:9], v[8:9], v[10:11]
	v_fma_f64 v[10:11], -v[6:7], v[8:9], 1.0
	s_delay_alu instid0(VALU_DEP_1) | instskip(NEXT) | instid1(VALU_DEP_1)
	v_fmac_f64_e32 v[8:9], v[8:9], v[10:11]
	v_mul_f64_e32 v[10:11], v[12:13], v[8:9]
	s_delay_alu instid0(VALU_DEP_1) | instskip(NEXT) | instid1(VALU_DEP_1)
	v_fma_f64 v[6:7], -v[6:7], v[10:11], v[12:13]
	v_div_fmas_f64 v[6:7], v[6:7], v[8:9], v[10:11]
	s_delay_alu instid0(VALU_DEP_1) | instskip(NEXT) | instid1(VALU_DEP_1)
	v_div_fixup_f64 v[6:7], v[6:7], v[4:5], v[2:3]
	v_fmac_f64_e32 v[4:5], v[2:3], v[6:7]
	s_delay_alu instid0(VALU_DEP_1) | instskip(SKIP_1) | instid1(VALU_DEP_2)
	v_div_scale_f64 v[2:3], null, v[4:5], v[4:5], 1.0
	v_div_scale_f64 v[12:13], vcc_lo, 1.0, v[4:5], 1.0
	v_rcp_f64_e32 v[8:9], v[2:3]
	v_nop
	s_delay_alu instid0(TRANS32_DEP_1) | instskip(NEXT) | instid1(VALU_DEP_1)
	v_fma_f64 v[10:11], -v[2:3], v[8:9], 1.0
	v_fmac_f64_e32 v[8:9], v[8:9], v[10:11]
	s_delay_alu instid0(VALU_DEP_1) | instskip(NEXT) | instid1(VALU_DEP_1)
	v_fma_f64 v[10:11], -v[2:3], v[8:9], 1.0
	v_fmac_f64_e32 v[8:9], v[8:9], v[10:11]
	s_delay_alu instid0(VALU_DEP_1) | instskip(NEXT) | instid1(VALU_DEP_1)
	v_mul_f64_e32 v[10:11], v[12:13], v[8:9]
	v_fma_f64 v[2:3], -v[2:3], v[10:11], v[12:13]
	s_delay_alu instid0(VALU_DEP_1) | instskip(NEXT) | instid1(VALU_DEP_1)
	v_div_fmas_f64 v[2:3], v[2:3], v[8:9], v[10:11]
	v_div_fixup_f64 v[8:9], v[2:3], v[4:5], 1.0
                                        ; implicit-def: $vgpr2_vgpr3
	s_delay_alu instid0(VALU_DEP_1) | instskip(SKIP_1) | instid1(VALU_DEP_2)
	v_mul_f64_e32 v[6:7], v[6:7], v[8:9]
	v_xor_b32_e32 v9, 0x80000000, v9
	v_xor_b32_e32 v11, 0x80000000, v7
	s_delay_alu instid0(VALU_DEP_3)
	v_mov_b32_e32 v10, v6
.LBB39_15:
	s_and_not1_saveexec_b32 s3, s3
	s_cbranch_execz .LBB39_17
; %bb.16:
	v_div_scale_f64 v[6:7], null, v[2:3], v[2:3], v[4:5]
	v_div_scale_f64 v[12:13], vcc_lo, v[4:5], v[2:3], v[4:5]
	s_delay_alu instid0(VALU_DEP_2) | instskip(SKIP_1) | instid1(TRANS32_DEP_1)
	v_rcp_f64_e32 v[8:9], v[6:7]
	v_nop
	v_fma_f64 v[10:11], -v[6:7], v[8:9], 1.0
	s_delay_alu instid0(VALU_DEP_1) | instskip(NEXT) | instid1(VALU_DEP_1)
	v_fmac_f64_e32 v[8:9], v[8:9], v[10:11]
	v_fma_f64 v[10:11], -v[6:7], v[8:9], 1.0
	s_delay_alu instid0(VALU_DEP_1) | instskip(NEXT) | instid1(VALU_DEP_1)
	v_fmac_f64_e32 v[8:9], v[8:9], v[10:11]
	v_mul_f64_e32 v[10:11], v[12:13], v[8:9]
	s_delay_alu instid0(VALU_DEP_1) | instskip(NEXT) | instid1(VALU_DEP_1)
	v_fma_f64 v[6:7], -v[6:7], v[10:11], v[12:13]
	v_div_fmas_f64 v[6:7], v[6:7], v[8:9], v[10:11]
	s_delay_alu instid0(VALU_DEP_1) | instskip(NEXT) | instid1(VALU_DEP_1)
	v_div_fixup_f64 v[8:9], v[6:7], v[2:3], v[4:5]
	v_fmac_f64_e32 v[2:3], v[4:5], v[8:9]
	s_delay_alu instid0(VALU_DEP_1) | instskip(NEXT) | instid1(VALU_DEP_1)
	v_div_scale_f64 v[4:5], null, v[2:3], v[2:3], 1.0
	v_rcp_f64_e32 v[6:7], v[4:5]
	v_nop
	s_delay_alu instid0(TRANS32_DEP_1) | instskip(NEXT) | instid1(VALU_DEP_1)
	v_fma_f64 v[10:11], -v[4:5], v[6:7], 1.0
	v_fmac_f64_e32 v[6:7], v[6:7], v[10:11]
	s_delay_alu instid0(VALU_DEP_1) | instskip(NEXT) | instid1(VALU_DEP_1)
	v_fma_f64 v[10:11], -v[4:5], v[6:7], 1.0
	v_fmac_f64_e32 v[6:7], v[6:7], v[10:11]
	v_div_scale_f64 v[10:11], vcc_lo, 1.0, v[2:3], 1.0
	s_delay_alu instid0(VALU_DEP_1) | instskip(NEXT) | instid1(VALU_DEP_1)
	v_mul_f64_e32 v[12:13], v[10:11], v[6:7]
	v_fma_f64 v[4:5], -v[4:5], v[12:13], v[10:11]
	s_delay_alu instid0(VALU_DEP_1) | instskip(NEXT) | instid1(VALU_DEP_1)
	v_div_fmas_f64 v[4:5], v[4:5], v[6:7], v[12:13]
	v_div_fixup_f64 v[6:7], v[4:5], v[2:3], 1.0
	s_delay_alu instid0(VALU_DEP_1)
	v_mul_f64_e64 v[8:9], v[8:9], -v[6:7]
	v_xor_b32_e32 v11, 0x80000000, v7
	v_mov_b32_e32 v10, v6
.LBB39_17:
	s_or_b32 exec_lo, exec_lo, s3
	s_clause 0x1
	scratch_store_b128 v15, v[6:9], off
	scratch_load_b128 v[2:5], off, s39
	v_xor_b32_e32 v13, 0x80000000, v9
	v_mov_b32_e32 v12, v8
	s_wait_xcnt 0x1
	v_add_nc_u32_e32 v6, 0x280, v14
	ds_store_b128 v14, v[10:13]
	s_wait_loadcnt 0x0
	ds_store_b128 v14, v[2:5] offset:640
	s_wait_storecnt_dscnt 0x0
	s_barrier_signal -1
	s_barrier_wait -1
	s_wait_xcnt 0x0
	s_and_saveexec_b32 s3, s2
	s_cbranch_execz .LBB39_19
; %bb.18:
	scratch_load_b128 v[2:5], v15, off
	ds_load_b128 v[8:11], v6
	v_mov_b32_e32 v7, 0
	ds_load_b128 v[16:19], v7 offset:16
	s_wait_loadcnt_dscnt 0x1
	v_mul_f64_e32 v[12:13], v[8:9], v[4:5]
	v_mul_f64_e32 v[4:5], v[10:11], v[4:5]
	s_delay_alu instid0(VALU_DEP_2) | instskip(NEXT) | instid1(VALU_DEP_2)
	v_fmac_f64_e32 v[12:13], v[10:11], v[2:3]
	v_fma_f64 v[2:3], v[8:9], v[2:3], -v[4:5]
	s_delay_alu instid0(VALU_DEP_2) | instskip(NEXT) | instid1(VALU_DEP_2)
	v_add_f64_e32 v[8:9], 0, v[12:13]
	v_add_f64_e32 v[2:3], 0, v[2:3]
	s_wait_dscnt 0x0
	s_delay_alu instid0(VALU_DEP_2) | instskip(NEXT) | instid1(VALU_DEP_2)
	v_mul_f64_e32 v[10:11], v[8:9], v[18:19]
	v_mul_f64_e32 v[4:5], v[2:3], v[18:19]
	s_delay_alu instid0(VALU_DEP_2) | instskip(NEXT) | instid1(VALU_DEP_2)
	v_fma_f64 v[2:3], v[2:3], v[16:17], -v[10:11]
	v_fmac_f64_e32 v[4:5], v[8:9], v[16:17]
	scratch_store_b128 off, v[2:5], off offset:16
.LBB39_19:
	s_wait_xcnt 0x0
	s_or_b32 exec_lo, exec_lo, s3
	s_wait_storecnt 0x0
	s_barrier_signal -1
	s_barrier_wait -1
	scratch_load_b128 v[2:5], off, s36
	s_mov_b32 s3, exec_lo
	s_wait_loadcnt 0x0
	ds_store_b128 v6, v[2:5]
	s_wait_dscnt 0x0
	s_barrier_signal -1
	s_barrier_wait -1
	v_cmpx_gt_u32_e32 2, v1
	s_cbranch_execz .LBB39_23
; %bb.20:
	scratch_load_b128 v[2:5], v15, off
	ds_load_b128 v[8:11], v6
	s_wait_loadcnt_dscnt 0x0
	v_mul_f64_e32 v[12:13], v[10:11], v[4:5]
	v_mul_f64_e32 v[16:17], v[8:9], v[4:5]
	s_delay_alu instid0(VALU_DEP_2) | instskip(NEXT) | instid1(VALU_DEP_2)
	v_fma_f64 v[4:5], v[8:9], v[2:3], -v[12:13]
	v_fmac_f64_e32 v[16:17], v[10:11], v[2:3]
	s_delay_alu instid0(VALU_DEP_2) | instskip(NEXT) | instid1(VALU_DEP_2)
	v_add_f64_e32 v[4:5], 0, v[4:5]
	v_add_f64_e32 v[2:3], 0, v[16:17]
	s_and_saveexec_b32 s53, s2
	s_cbranch_execz .LBB39_22
; %bb.21:
	scratch_load_b128 v[8:11], off, off offset:16
	v_mov_b32_e32 v7, 0
	ds_load_b128 v[16:19], v7 offset:656
	s_wait_loadcnt_dscnt 0x0
	v_mul_f64_e32 v[12:13], v[16:17], v[10:11]
	v_mul_f64_e32 v[10:11], v[18:19], v[10:11]
	s_delay_alu instid0(VALU_DEP_2) | instskip(NEXT) | instid1(VALU_DEP_2)
	v_fmac_f64_e32 v[12:13], v[18:19], v[8:9]
	v_fma_f64 v[8:9], v[16:17], v[8:9], -v[10:11]
	s_delay_alu instid0(VALU_DEP_2) | instskip(NEXT) | instid1(VALU_DEP_2)
	v_add_f64_e32 v[2:3], v[2:3], v[12:13]
	v_add_f64_e32 v[4:5], v[4:5], v[8:9]
.LBB39_22:
	s_or_b32 exec_lo, exec_lo, s53
	v_mov_b32_e32 v7, 0
	ds_load_b128 v[8:11], v7 offset:32
	s_wait_dscnt 0x0
	v_mul_f64_e32 v[16:17], v[2:3], v[10:11]
	v_mul_f64_e32 v[12:13], v[4:5], v[10:11]
	s_delay_alu instid0(VALU_DEP_2) | instskip(NEXT) | instid1(VALU_DEP_2)
	v_fma_f64 v[10:11], v[4:5], v[8:9], -v[16:17]
	v_fmac_f64_e32 v[12:13], v[2:3], v[8:9]
	scratch_store_b128 off, v[10:13], off offset:32
.LBB39_23:
	s_wait_xcnt 0x0
	s_or_b32 exec_lo, exec_lo, s3
	s_wait_storecnt 0x0
	s_barrier_signal -1
	s_barrier_wait -1
	scratch_load_b128 v[2:5], off, s37
	v_add_nc_u32_e32 v7, -1, v1
	s_mov_b32 s2, exec_lo
	s_wait_loadcnt 0x0
	ds_store_b128 v6, v[2:5]
	s_wait_dscnt 0x0
	s_barrier_signal -1
	s_barrier_wait -1
	v_cmpx_gt_u32_e32 3, v1
	s_cbranch_execz .LBB39_27
; %bb.24:
	v_dual_mov_b32 v10, v14 :: v_dual_add_nc_u32 v8, -1, v1
	v_mov_b64_e32 v[2:3], 0
	v_mov_b64_e32 v[4:5], 0
	v_add_nc_u32_e32 v9, 0x280, v14
	s_delay_alu instid0(VALU_DEP_4)
	v_or_b32_e32 v10, 8, v10
	s_mov_b32 s3, 0
.LBB39_25:                              ; =>This Inner Loop Header: Depth=1
	scratch_load_b128 v[16:19], v10, off offset:-8
	ds_load_b128 v[20:23], v9
	v_dual_add_nc_u32 v8, 1, v8 :: v_dual_add_nc_u32 v9, 16, v9
	s_wait_xcnt 0x0
	v_add_nc_u32_e32 v10, 16, v10
	s_delay_alu instid0(VALU_DEP_2) | instskip(SKIP_4) | instid1(VALU_DEP_2)
	v_cmp_lt_u32_e32 vcc_lo, 1, v8
	s_or_b32 s3, vcc_lo, s3
	s_wait_loadcnt_dscnt 0x0
	v_mul_f64_e32 v[12:13], v[22:23], v[18:19]
	v_mul_f64_e32 v[18:19], v[20:21], v[18:19]
	v_fma_f64 v[12:13], v[20:21], v[16:17], -v[12:13]
	s_delay_alu instid0(VALU_DEP_2) | instskip(NEXT) | instid1(VALU_DEP_2)
	v_fmac_f64_e32 v[18:19], v[22:23], v[16:17]
	v_add_f64_e32 v[4:5], v[4:5], v[12:13]
	s_delay_alu instid0(VALU_DEP_2)
	v_add_f64_e32 v[2:3], v[2:3], v[18:19]
	s_and_not1_b32 exec_lo, exec_lo, s3
	s_cbranch_execnz .LBB39_25
; %bb.26:
	s_or_b32 exec_lo, exec_lo, s3
	v_mov_b32_e32 v8, 0
	ds_load_b128 v[8:11], v8 offset:48
	s_wait_dscnt 0x0
	v_mul_f64_e32 v[16:17], v[2:3], v[10:11]
	v_mul_f64_e32 v[12:13], v[4:5], v[10:11]
	s_delay_alu instid0(VALU_DEP_2) | instskip(NEXT) | instid1(VALU_DEP_2)
	v_fma_f64 v[10:11], v[4:5], v[8:9], -v[16:17]
	v_fmac_f64_e32 v[12:13], v[2:3], v[8:9]
	scratch_store_b128 off, v[10:13], off offset:48
.LBB39_27:
	s_wait_xcnt 0x0
	s_or_b32 exec_lo, exec_lo, s2
	s_wait_storecnt 0x0
	s_barrier_signal -1
	s_barrier_wait -1
	scratch_load_b128 v[2:5], off, s38
	s_mov_b32 s2, exec_lo
	s_wait_loadcnt 0x0
	ds_store_b128 v6, v[2:5]
	s_wait_dscnt 0x0
	s_barrier_signal -1
	s_barrier_wait -1
	v_cmpx_gt_u32_e32 4, v1
	s_cbranch_execz .LBB39_31
; %bb.28:
	v_dual_mov_b32 v10, v14 :: v_dual_add_nc_u32 v8, -1, v1
	v_mov_b64_e32 v[2:3], 0
	v_mov_b64_e32 v[4:5], 0
	v_add_nc_u32_e32 v9, 0x280, v14
	s_delay_alu instid0(VALU_DEP_4)
	v_or_b32_e32 v10, 8, v10
	s_mov_b32 s3, 0
.LBB39_29:                              ; =>This Inner Loop Header: Depth=1
	scratch_load_b128 v[16:19], v10, off offset:-8
	ds_load_b128 v[20:23], v9
	v_dual_add_nc_u32 v8, 1, v8 :: v_dual_add_nc_u32 v9, 16, v9
	s_wait_xcnt 0x0
	v_add_nc_u32_e32 v10, 16, v10
	s_delay_alu instid0(VALU_DEP_2) | instskip(SKIP_4) | instid1(VALU_DEP_2)
	v_cmp_lt_u32_e32 vcc_lo, 2, v8
	s_or_b32 s3, vcc_lo, s3
	s_wait_loadcnt_dscnt 0x0
	v_mul_f64_e32 v[12:13], v[22:23], v[18:19]
	v_mul_f64_e32 v[18:19], v[20:21], v[18:19]
	v_fma_f64 v[12:13], v[20:21], v[16:17], -v[12:13]
	s_delay_alu instid0(VALU_DEP_2) | instskip(NEXT) | instid1(VALU_DEP_2)
	v_fmac_f64_e32 v[18:19], v[22:23], v[16:17]
	v_add_f64_e32 v[4:5], v[4:5], v[12:13]
	s_delay_alu instid0(VALU_DEP_2)
	v_add_f64_e32 v[2:3], v[2:3], v[18:19]
	s_and_not1_b32 exec_lo, exec_lo, s3
	s_cbranch_execnz .LBB39_29
; %bb.30:
	s_or_b32 exec_lo, exec_lo, s3
	v_mov_b32_e32 v8, 0
	ds_load_b128 v[8:11], v8 offset:64
	s_wait_dscnt 0x0
	v_mul_f64_e32 v[16:17], v[2:3], v[10:11]
	v_mul_f64_e32 v[12:13], v[4:5], v[10:11]
	s_delay_alu instid0(VALU_DEP_2) | instskip(NEXT) | instid1(VALU_DEP_2)
	v_fma_f64 v[10:11], v[4:5], v[8:9], -v[16:17]
	v_fmac_f64_e32 v[12:13], v[2:3], v[8:9]
	scratch_store_b128 off, v[10:13], off offset:64
.LBB39_31:
	s_wait_xcnt 0x0
	s_or_b32 exec_lo, exec_lo, s2
	s_wait_storecnt 0x0
	s_barrier_signal -1
	s_barrier_wait -1
	scratch_load_b128 v[2:5], off, s43
	;; [unrolled: 54-line block ×19, first 2 shown]
	s_mov_b32 s2, exec_lo
	s_wait_loadcnt 0x0
	ds_store_b128 v6, v[2:5]
	s_wait_dscnt 0x0
	s_barrier_signal -1
	s_barrier_wait -1
	v_cmpx_gt_u32_e32 22, v1
	s_cbranch_execz .LBB39_103
; %bb.100:
	v_dual_mov_b32 v10, v14 :: v_dual_add_nc_u32 v8, -1, v1
	v_mov_b64_e32 v[2:3], 0
	v_mov_b64_e32 v[4:5], 0
	v_add_nc_u32_e32 v9, 0x280, v14
	s_delay_alu instid0(VALU_DEP_4)
	v_or_b32_e32 v10, 8, v10
	s_mov_b32 s3, 0
.LBB39_101:                             ; =>This Inner Loop Header: Depth=1
	scratch_load_b128 v[16:19], v10, off offset:-8
	ds_load_b128 v[20:23], v9
	v_dual_add_nc_u32 v8, 1, v8 :: v_dual_add_nc_u32 v9, 16, v9
	s_wait_xcnt 0x0
	v_add_nc_u32_e32 v10, 16, v10
	s_delay_alu instid0(VALU_DEP_2) | instskip(SKIP_4) | instid1(VALU_DEP_2)
	v_cmp_lt_u32_e32 vcc_lo, 20, v8
	s_or_b32 s3, vcc_lo, s3
	s_wait_loadcnt_dscnt 0x0
	v_mul_f64_e32 v[12:13], v[22:23], v[18:19]
	v_mul_f64_e32 v[18:19], v[20:21], v[18:19]
	v_fma_f64 v[12:13], v[20:21], v[16:17], -v[12:13]
	s_delay_alu instid0(VALU_DEP_2) | instskip(NEXT) | instid1(VALU_DEP_2)
	v_fmac_f64_e32 v[18:19], v[22:23], v[16:17]
	v_add_f64_e32 v[4:5], v[4:5], v[12:13]
	s_delay_alu instid0(VALU_DEP_2)
	v_add_f64_e32 v[2:3], v[2:3], v[18:19]
	s_and_not1_b32 exec_lo, exec_lo, s3
	s_cbranch_execnz .LBB39_101
; %bb.102:
	s_or_b32 exec_lo, exec_lo, s3
	v_mov_b32_e32 v8, 0
	ds_load_b128 v[8:11], v8 offset:352
	s_wait_dscnt 0x0
	v_mul_f64_e32 v[16:17], v[2:3], v[10:11]
	v_mul_f64_e32 v[12:13], v[4:5], v[10:11]
	s_delay_alu instid0(VALU_DEP_2) | instskip(NEXT) | instid1(VALU_DEP_2)
	v_fma_f64 v[10:11], v[4:5], v[8:9], -v[16:17]
	v_fmac_f64_e32 v[12:13], v[2:3], v[8:9]
	scratch_store_b128 off, v[10:13], off offset:352
.LBB39_103:
	s_wait_xcnt 0x0
	s_or_b32 exec_lo, exec_lo, s2
	s_wait_storecnt 0x0
	s_barrier_signal -1
	s_barrier_wait -1
	scratch_load_b128 v[2:5], off, s27
	s_mov_b32 s2, exec_lo
	s_wait_loadcnt 0x0
	ds_store_b128 v6, v[2:5]
	s_wait_dscnt 0x0
	s_barrier_signal -1
	s_barrier_wait -1
	v_cmpx_gt_u32_e32 23, v1
	s_cbranch_execz .LBB39_107
; %bb.104:
	v_dual_mov_b32 v10, v14 :: v_dual_add_nc_u32 v8, -1, v1
	v_mov_b64_e32 v[2:3], 0
	v_mov_b64_e32 v[4:5], 0
	v_add_nc_u32_e32 v9, 0x280, v14
	s_delay_alu instid0(VALU_DEP_4)
	v_or_b32_e32 v10, 8, v10
	s_mov_b32 s3, 0
.LBB39_105:                             ; =>This Inner Loop Header: Depth=1
	scratch_load_b128 v[16:19], v10, off offset:-8
	ds_load_b128 v[20:23], v9
	v_dual_add_nc_u32 v8, 1, v8 :: v_dual_add_nc_u32 v9, 16, v9
	s_wait_xcnt 0x0
	v_add_nc_u32_e32 v10, 16, v10
	s_delay_alu instid0(VALU_DEP_2) | instskip(SKIP_4) | instid1(VALU_DEP_2)
	v_cmp_lt_u32_e32 vcc_lo, 21, v8
	s_or_b32 s3, vcc_lo, s3
	s_wait_loadcnt_dscnt 0x0
	v_mul_f64_e32 v[12:13], v[22:23], v[18:19]
	v_mul_f64_e32 v[18:19], v[20:21], v[18:19]
	v_fma_f64 v[12:13], v[20:21], v[16:17], -v[12:13]
	s_delay_alu instid0(VALU_DEP_2) | instskip(NEXT) | instid1(VALU_DEP_2)
	v_fmac_f64_e32 v[18:19], v[22:23], v[16:17]
	v_add_f64_e32 v[4:5], v[4:5], v[12:13]
	s_delay_alu instid0(VALU_DEP_2)
	v_add_f64_e32 v[2:3], v[2:3], v[18:19]
	s_and_not1_b32 exec_lo, exec_lo, s3
	s_cbranch_execnz .LBB39_105
; %bb.106:
	s_or_b32 exec_lo, exec_lo, s3
	v_mov_b32_e32 v8, 0
	ds_load_b128 v[8:11], v8 offset:368
	s_wait_dscnt 0x0
	v_mul_f64_e32 v[16:17], v[2:3], v[10:11]
	v_mul_f64_e32 v[12:13], v[4:5], v[10:11]
	s_delay_alu instid0(VALU_DEP_2) | instskip(NEXT) | instid1(VALU_DEP_2)
	v_fma_f64 v[10:11], v[4:5], v[8:9], -v[16:17]
	v_fmac_f64_e32 v[12:13], v[2:3], v[8:9]
	scratch_store_b128 off, v[10:13], off offset:368
.LBB39_107:
	s_wait_xcnt 0x0
	s_or_b32 exec_lo, exec_lo, s2
	s_wait_storecnt 0x0
	s_barrier_signal -1
	s_barrier_wait -1
	scratch_load_b128 v[2:5], off, s31
	;; [unrolled: 54-line block ×17, first 2 shown]
	s_mov_b32 s2, exec_lo
	s_wait_loadcnt 0x0
	ds_store_b128 v6, v[2:5]
	s_wait_dscnt 0x0
	s_barrier_signal -1
	s_barrier_wait -1
	v_cmpx_ne_u32_e32 39, v1
	s_cbranch_execz .LBB39_171
; %bb.168:
	v_mov_b32_e32 v8, v14
	v_mov_b64_e32 v[2:3], 0
	v_mov_b64_e32 v[4:5], 0
	s_mov_b32 s3, 0
	s_delay_alu instid0(VALU_DEP_3)
	v_or_b32_e32 v8, 8, v8
.LBB39_169:                             ; =>This Inner Loop Header: Depth=1
	scratch_load_b128 v[10:13], v8, off offset:-8
	ds_load_b128 v[14:17], v6
	v_dual_add_nc_u32 v7, 1, v7 :: v_dual_add_nc_u32 v6, 16, v6
	s_wait_xcnt 0x0
	v_add_nc_u32_e32 v8, 16, v8
	s_delay_alu instid0(VALU_DEP_2) | instskip(SKIP_4) | instid1(VALU_DEP_2)
	v_cmp_lt_u32_e32 vcc_lo, 37, v7
	s_or_b32 s3, vcc_lo, s3
	s_wait_loadcnt_dscnt 0x0
	v_mul_f64_e32 v[18:19], v[16:17], v[12:13]
	v_mul_f64_e32 v[12:13], v[14:15], v[12:13]
	v_fma_f64 v[14:15], v[14:15], v[10:11], -v[18:19]
	s_delay_alu instid0(VALU_DEP_2) | instskip(NEXT) | instid1(VALU_DEP_2)
	v_fmac_f64_e32 v[12:13], v[16:17], v[10:11]
	v_add_f64_e32 v[4:5], v[4:5], v[14:15]
	s_delay_alu instid0(VALU_DEP_2)
	v_add_f64_e32 v[2:3], v[2:3], v[12:13]
	s_and_not1_b32 exec_lo, exec_lo, s3
	s_cbranch_execnz .LBB39_169
; %bb.170:
	s_or_b32 exec_lo, exec_lo, s3
	v_mov_b32_e32 v6, 0
	ds_load_b128 v[6:9], v6 offset:624
	s_wait_dscnt 0x0
	v_mul_f64_e32 v[12:13], v[2:3], v[8:9]
	v_mul_f64_e32 v[10:11], v[4:5], v[8:9]
	s_delay_alu instid0(VALU_DEP_2) | instskip(NEXT) | instid1(VALU_DEP_2)
	v_fma_f64 v[8:9], v[4:5], v[6:7], -v[12:13]
	v_fmac_f64_e32 v[10:11], v[2:3], v[6:7]
	scratch_store_b128 off, v[8:11], off offset:624
.LBB39_171:
	s_wait_xcnt 0x0
	s_or_b32 exec_lo, exec_lo, s2
	s_mov_b32 s3, -1
	s_wait_storecnt 0x0
	s_barrier_signal -1
	s_barrier_wait -1
.LBB39_172:
	s_and_b32 vcc_lo, exec_lo, s3
	s_cbranch_vccz .LBB39_174
; %bb.173:
	s_wait_xcnt 0xb
	v_mov_b32_e32 v2, 0
	s_lshl_b64 s[2:3], s[18:19], 2
	s_delay_alu instid0(SALU_CYCLE_1)
	s_add_nc_u64 s[2:3], s[6:7], s[2:3]
	global_load_b32 v2, v2, s[2:3]
	s_wait_loadcnt 0x0
	v_cmp_ne_u32_e32 vcc_lo, 0, v2
	s_cbranch_vccz .LBB39_175
.LBB39_174:
	s_sendmsg sendmsg(MSG_DEALLOC_VGPRS)
	s_endpgm
.LBB39_175:
	s_wait_xcnt 0x6
	v_lshl_add_u32 v104, v1, 4, 0x280
	s_wait_xcnt 0x0
	s_mov_b32 s2, exec_lo
	v_cmpx_eq_u32_e32 39, v1
	s_cbranch_execz .LBB39_177
; %bb.176:
	scratch_load_b128 v[2:5], off, s28
	v_mov_b32_e32 v6, 0
	s_delay_alu instid0(VALU_DEP_1)
	v_dual_mov_b32 v7, v6 :: v_dual_mov_b32 v8, v6
	v_mov_b32_e32 v9, v6
	scratch_store_b128 off, v[6:9], off offset:608
	s_wait_loadcnt 0x0
	ds_store_b128 v104, v[2:5]
.LBB39_177:
	s_wait_xcnt 0x0
	s_or_b32 exec_lo, exec_lo, s2
	s_wait_storecnt_dscnt 0x0
	s_barrier_signal -1
	s_barrier_wait -1
	s_clause 0x1
	scratch_load_b128 v[4:7], off, off offset:624
	scratch_load_b128 v[8:11], off, off offset:608
	v_mov_b32_e32 v2, 0
	s_mov_b32 s2, exec_lo
	ds_load_b128 v[12:15], v2 offset:1264
	s_wait_loadcnt_dscnt 0x100
	v_mul_f64_e32 v[16:17], v[14:15], v[6:7]
	v_mul_f64_e32 v[6:7], v[12:13], v[6:7]
	s_delay_alu instid0(VALU_DEP_2) | instskip(NEXT) | instid1(VALU_DEP_2)
	v_fma_f64 v[12:13], v[12:13], v[4:5], -v[16:17]
	v_fmac_f64_e32 v[6:7], v[14:15], v[4:5]
	s_delay_alu instid0(VALU_DEP_2) | instskip(NEXT) | instid1(VALU_DEP_2)
	v_add_f64_e32 v[4:5], 0, v[12:13]
	v_add_f64_e32 v[6:7], 0, v[6:7]
	s_wait_loadcnt 0x0
	s_delay_alu instid0(VALU_DEP_2) | instskip(NEXT) | instid1(VALU_DEP_2)
	v_add_f64_e64 v[4:5], v[8:9], -v[4:5]
	v_add_f64_e64 v[6:7], v[10:11], -v[6:7]
	scratch_store_b128 off, v[4:7], off offset:608
	s_wait_xcnt 0x0
	v_cmpx_lt_u32_e32 37, v1
	s_cbranch_execz .LBB39_179
; %bb.178:
	scratch_load_b128 v[6:9], off, s25
	v_dual_mov_b32 v3, v2 :: v_dual_mov_b32 v4, v2
	v_mov_b32_e32 v5, v2
	scratch_store_b128 off, v[2:5], off offset:592
	s_wait_loadcnt 0x0
	ds_store_b128 v104, v[6:9]
.LBB39_179:
	s_wait_xcnt 0x0
	s_or_b32 exec_lo, exec_lo, s2
	s_wait_storecnt_dscnt 0x0
	s_barrier_signal -1
	s_barrier_wait -1
	s_clause 0x2
	scratch_load_b128 v[4:7], off, off offset:608
	scratch_load_b128 v[8:11], off, off offset:624
	;; [unrolled: 1-line block ×3, first 2 shown]
	ds_load_b128 v[16:19], v2 offset:1248
	ds_load_b128 v[20:23], v2 offset:1264
	s_mov_b32 s2, exec_lo
	s_wait_loadcnt_dscnt 0x201
	v_mul_f64_e32 v[2:3], v[18:19], v[6:7]
	v_mul_f64_e32 v[6:7], v[16:17], v[6:7]
	s_wait_loadcnt_dscnt 0x100
	v_mul_f64_e32 v[106:107], v[20:21], v[10:11]
	v_mul_f64_e32 v[10:11], v[22:23], v[10:11]
	s_delay_alu instid0(VALU_DEP_4) | instskip(NEXT) | instid1(VALU_DEP_4)
	v_fma_f64 v[2:3], v[16:17], v[4:5], -v[2:3]
	v_fmac_f64_e32 v[6:7], v[18:19], v[4:5]
	s_delay_alu instid0(VALU_DEP_4) | instskip(NEXT) | instid1(VALU_DEP_4)
	v_fmac_f64_e32 v[106:107], v[22:23], v[8:9]
	v_fma_f64 v[4:5], v[20:21], v[8:9], -v[10:11]
	s_delay_alu instid0(VALU_DEP_4) | instskip(NEXT) | instid1(VALU_DEP_4)
	v_add_f64_e32 v[2:3], 0, v[2:3]
	v_add_f64_e32 v[6:7], 0, v[6:7]
	s_delay_alu instid0(VALU_DEP_2) | instskip(NEXT) | instid1(VALU_DEP_2)
	v_add_f64_e32 v[2:3], v[2:3], v[4:5]
	v_add_f64_e32 v[4:5], v[6:7], v[106:107]
	s_wait_loadcnt 0x0
	s_delay_alu instid0(VALU_DEP_2) | instskip(NEXT) | instid1(VALU_DEP_2)
	v_add_f64_e64 v[2:3], v[12:13], -v[2:3]
	v_add_f64_e64 v[4:5], v[14:15], -v[4:5]
	scratch_store_b128 off, v[2:5], off offset:592
	s_wait_xcnt 0x0
	v_cmpx_lt_u32_e32 36, v1
	s_cbranch_execz .LBB39_181
; %bb.180:
	scratch_load_b128 v[2:5], off, s33
	v_mov_b32_e32 v6, 0
	s_delay_alu instid0(VALU_DEP_1)
	v_dual_mov_b32 v7, v6 :: v_dual_mov_b32 v8, v6
	v_mov_b32_e32 v9, v6
	scratch_store_b128 off, v[6:9], off offset:576
	s_wait_loadcnt 0x0
	ds_store_b128 v104, v[2:5]
.LBB39_181:
	s_wait_xcnt 0x0
	s_or_b32 exec_lo, exec_lo, s2
	s_wait_storecnt_dscnt 0x0
	s_barrier_signal -1
	s_barrier_wait -1
	s_clause 0x3
	scratch_load_b128 v[4:7], off, off offset:592
	scratch_load_b128 v[8:11], off, off offset:608
	;; [unrolled: 1-line block ×4, first 2 shown]
	v_mov_b32_e32 v2, 0
	ds_load_b128 v[20:23], v2 offset:1232
	ds_load_b128 v[106:109], v2 offset:1248
	s_mov_b32 s2, exec_lo
	s_wait_loadcnt_dscnt 0x301
	v_mul_f64_e32 v[110:111], v[22:23], v[6:7]
	v_mul_f64_e32 v[112:113], v[20:21], v[6:7]
	s_wait_loadcnt_dscnt 0x200
	v_mul_f64_e32 v[114:115], v[106:107], v[10:11]
	v_mul_f64_e32 v[10:11], v[108:109], v[10:11]
	s_delay_alu instid0(VALU_DEP_4) | instskip(NEXT) | instid1(VALU_DEP_4)
	v_fma_f64 v[20:21], v[20:21], v[4:5], -v[110:111]
	v_fmac_f64_e32 v[112:113], v[22:23], v[4:5]
	ds_load_b128 v[4:7], v2 offset:1264
	v_fmac_f64_e32 v[114:115], v[108:109], v[8:9]
	v_fma_f64 v[8:9], v[106:107], v[8:9], -v[10:11]
	s_wait_loadcnt_dscnt 0x100
	v_mul_f64_e32 v[22:23], v[4:5], v[14:15]
	v_mul_f64_e32 v[14:15], v[6:7], v[14:15]
	v_add_f64_e32 v[10:11], 0, v[20:21]
	v_add_f64_e32 v[20:21], 0, v[112:113]
	s_delay_alu instid0(VALU_DEP_4) | instskip(NEXT) | instid1(VALU_DEP_4)
	v_fmac_f64_e32 v[22:23], v[6:7], v[12:13]
	v_fma_f64 v[4:5], v[4:5], v[12:13], -v[14:15]
	s_delay_alu instid0(VALU_DEP_4) | instskip(NEXT) | instid1(VALU_DEP_4)
	v_add_f64_e32 v[6:7], v[10:11], v[8:9]
	v_add_f64_e32 v[8:9], v[20:21], v[114:115]
	s_delay_alu instid0(VALU_DEP_2) | instskip(NEXT) | instid1(VALU_DEP_2)
	v_add_f64_e32 v[4:5], v[6:7], v[4:5]
	v_add_f64_e32 v[6:7], v[8:9], v[22:23]
	s_wait_loadcnt 0x0
	s_delay_alu instid0(VALU_DEP_2) | instskip(NEXT) | instid1(VALU_DEP_2)
	v_add_f64_e64 v[4:5], v[16:17], -v[4:5]
	v_add_f64_e64 v[6:7], v[18:19], -v[6:7]
	scratch_store_b128 off, v[4:7], off offset:576
	s_wait_xcnt 0x0
	v_cmpx_lt_u32_e32 35, v1
	s_cbranch_execz .LBB39_183
; %bb.182:
	scratch_load_b128 v[6:9], off, s29
	v_dual_mov_b32 v3, v2 :: v_dual_mov_b32 v4, v2
	v_mov_b32_e32 v5, v2
	scratch_store_b128 off, v[2:5], off offset:560
	s_wait_loadcnt 0x0
	ds_store_b128 v104, v[6:9]
.LBB39_183:
	s_wait_xcnt 0x0
	s_or_b32 exec_lo, exec_lo, s2
	s_wait_storecnt_dscnt 0x0
	s_barrier_signal -1
	s_barrier_wait -1
	s_clause 0x4
	scratch_load_b128 v[4:7], off, off offset:576
	scratch_load_b128 v[8:11], off, off offset:592
	;; [unrolled: 1-line block ×5, first 2 shown]
	ds_load_b128 v[106:109], v2 offset:1216
	ds_load_b128 v[110:113], v2 offset:1232
	s_mov_b32 s2, exec_lo
	s_wait_loadcnt_dscnt 0x401
	v_mul_f64_e32 v[114:115], v[108:109], v[6:7]
	v_mul_f64_e32 v[116:117], v[106:107], v[6:7]
	s_wait_loadcnt_dscnt 0x300
	v_mul_f64_e32 v[118:119], v[110:111], v[10:11]
	v_mul_f64_e32 v[10:11], v[112:113], v[10:11]
	s_delay_alu instid0(VALU_DEP_4) | instskip(NEXT) | instid1(VALU_DEP_4)
	v_fma_f64 v[114:115], v[106:107], v[4:5], -v[114:115]
	v_fmac_f64_e32 v[116:117], v[108:109], v[4:5]
	ds_load_b128 v[4:7], v2 offset:1248
	ds_load_b128 v[106:109], v2 offset:1264
	v_fmac_f64_e32 v[118:119], v[112:113], v[8:9]
	v_fma_f64 v[8:9], v[110:111], v[8:9], -v[10:11]
	s_wait_loadcnt_dscnt 0x201
	v_mul_f64_e32 v[2:3], v[4:5], v[14:15]
	v_mul_f64_e32 v[14:15], v[6:7], v[14:15]
	s_wait_loadcnt_dscnt 0x100
	v_mul_f64_e32 v[112:113], v[106:107], v[18:19]
	v_mul_f64_e32 v[18:19], v[108:109], v[18:19]
	v_add_f64_e32 v[10:11], 0, v[114:115]
	v_add_f64_e32 v[110:111], 0, v[116:117]
	v_fmac_f64_e32 v[2:3], v[6:7], v[12:13]
	v_fma_f64 v[4:5], v[4:5], v[12:13], -v[14:15]
	v_fmac_f64_e32 v[112:113], v[108:109], v[16:17]
	v_add_f64_e32 v[6:7], v[10:11], v[8:9]
	v_add_f64_e32 v[8:9], v[110:111], v[118:119]
	v_fma_f64 v[10:11], v[106:107], v[16:17], -v[18:19]
	s_delay_alu instid0(VALU_DEP_3) | instskip(NEXT) | instid1(VALU_DEP_3)
	v_add_f64_e32 v[4:5], v[6:7], v[4:5]
	v_add_f64_e32 v[2:3], v[8:9], v[2:3]
	s_delay_alu instid0(VALU_DEP_2) | instskip(NEXT) | instid1(VALU_DEP_2)
	v_add_f64_e32 v[4:5], v[4:5], v[10:11]
	v_add_f64_e32 v[6:7], v[2:3], v[112:113]
	s_wait_loadcnt 0x0
	s_delay_alu instid0(VALU_DEP_2) | instskip(NEXT) | instid1(VALU_DEP_2)
	v_add_f64_e64 v[2:3], v[20:21], -v[4:5]
	v_add_f64_e64 v[4:5], v[22:23], -v[6:7]
	scratch_store_b128 off, v[2:5], off offset:560
	s_wait_xcnt 0x0
	v_cmpx_lt_u32_e32 34, v1
	s_cbranch_execz .LBB39_185
; %bb.184:
	scratch_load_b128 v[2:5], off, s35
	v_mov_b32_e32 v6, 0
	s_delay_alu instid0(VALU_DEP_1)
	v_dual_mov_b32 v7, v6 :: v_dual_mov_b32 v8, v6
	v_mov_b32_e32 v9, v6
	scratch_store_b128 off, v[6:9], off offset:544
	s_wait_loadcnt 0x0
	ds_store_b128 v104, v[2:5]
.LBB39_185:
	s_wait_xcnt 0x0
	s_or_b32 exec_lo, exec_lo, s2
	s_wait_storecnt_dscnt 0x0
	s_barrier_signal -1
	s_barrier_wait -1
	s_clause 0x5
	scratch_load_b128 v[4:7], off, off offset:560
	scratch_load_b128 v[8:11], off, off offset:576
	;; [unrolled: 1-line block ×6, first 2 shown]
	v_mov_b32_e32 v2, 0
	ds_load_b128 v[110:113], v2 offset:1200
	ds_load_b128 v[114:117], v2 offset:1216
	s_mov_b32 s2, exec_lo
	s_wait_loadcnt_dscnt 0x501
	v_mul_f64_e32 v[118:119], v[112:113], v[6:7]
	v_mul_f64_e32 v[120:121], v[110:111], v[6:7]
	s_wait_loadcnt_dscnt 0x400
	v_mul_f64_e32 v[122:123], v[114:115], v[10:11]
	v_mul_f64_e32 v[10:11], v[116:117], v[10:11]
	s_delay_alu instid0(VALU_DEP_4) | instskip(NEXT) | instid1(VALU_DEP_4)
	v_fma_f64 v[118:119], v[110:111], v[4:5], -v[118:119]
	v_fmac_f64_e32 v[120:121], v[112:113], v[4:5]
	ds_load_b128 v[4:7], v2 offset:1232
	ds_load_b128 v[110:113], v2 offset:1248
	v_fmac_f64_e32 v[122:123], v[116:117], v[8:9]
	v_fma_f64 v[8:9], v[114:115], v[8:9], -v[10:11]
	s_wait_loadcnt_dscnt 0x301
	v_mul_f64_e32 v[124:125], v[4:5], v[14:15]
	v_mul_f64_e32 v[14:15], v[6:7], v[14:15]
	s_wait_loadcnt_dscnt 0x200
	v_mul_f64_e32 v[116:117], v[110:111], v[18:19]
	v_mul_f64_e32 v[18:19], v[112:113], v[18:19]
	v_add_f64_e32 v[10:11], 0, v[118:119]
	v_add_f64_e32 v[114:115], 0, v[120:121]
	v_fmac_f64_e32 v[124:125], v[6:7], v[12:13]
	v_fma_f64 v[12:13], v[4:5], v[12:13], -v[14:15]
	ds_load_b128 v[4:7], v2 offset:1264
	v_fmac_f64_e32 v[116:117], v[112:113], v[16:17]
	v_fma_f64 v[16:17], v[110:111], v[16:17], -v[18:19]
	v_add_f64_e32 v[8:9], v[10:11], v[8:9]
	v_add_f64_e32 v[10:11], v[114:115], v[122:123]
	s_wait_loadcnt_dscnt 0x100
	v_mul_f64_e32 v[14:15], v[4:5], v[22:23]
	v_mul_f64_e32 v[22:23], v[6:7], v[22:23]
	s_delay_alu instid0(VALU_DEP_4) | instskip(NEXT) | instid1(VALU_DEP_4)
	v_add_f64_e32 v[8:9], v[8:9], v[12:13]
	v_add_f64_e32 v[10:11], v[10:11], v[124:125]
	s_delay_alu instid0(VALU_DEP_4) | instskip(NEXT) | instid1(VALU_DEP_4)
	v_fmac_f64_e32 v[14:15], v[6:7], v[20:21]
	v_fma_f64 v[4:5], v[4:5], v[20:21], -v[22:23]
	s_delay_alu instid0(VALU_DEP_4) | instskip(NEXT) | instid1(VALU_DEP_4)
	v_add_f64_e32 v[6:7], v[8:9], v[16:17]
	v_add_f64_e32 v[8:9], v[10:11], v[116:117]
	s_delay_alu instid0(VALU_DEP_2) | instskip(NEXT) | instid1(VALU_DEP_2)
	v_add_f64_e32 v[4:5], v[6:7], v[4:5]
	v_add_f64_e32 v[6:7], v[8:9], v[14:15]
	s_wait_loadcnt 0x0
	s_delay_alu instid0(VALU_DEP_2) | instskip(NEXT) | instid1(VALU_DEP_2)
	v_add_f64_e64 v[4:5], v[106:107], -v[4:5]
	v_add_f64_e64 v[6:7], v[108:109], -v[6:7]
	scratch_store_b128 off, v[4:7], off offset:544
	s_wait_xcnt 0x0
	v_cmpx_lt_u32_e32 33, v1
	s_cbranch_execz .LBB39_187
; %bb.186:
	scratch_load_b128 v[6:9], off, s34
	v_dual_mov_b32 v3, v2 :: v_dual_mov_b32 v4, v2
	v_mov_b32_e32 v5, v2
	scratch_store_b128 off, v[2:5], off offset:528
	s_wait_loadcnt 0x0
	ds_store_b128 v104, v[6:9]
.LBB39_187:
	s_wait_xcnt 0x0
	s_or_b32 exec_lo, exec_lo, s2
	s_wait_storecnt_dscnt 0x0
	s_barrier_signal -1
	s_barrier_wait -1
	s_clause 0x6
	scratch_load_b128 v[4:7], off, off offset:544
	scratch_load_b128 v[8:11], off, off offset:560
	;; [unrolled: 1-line block ×7, first 2 shown]
	ds_load_b128 v[114:117], v2 offset:1184
	ds_load_b128 v[118:121], v2 offset:1200
	s_mov_b32 s2, exec_lo
	s_wait_loadcnt_dscnt 0x601
	v_mul_f64_e32 v[122:123], v[116:117], v[6:7]
	v_mul_f64_e32 v[124:125], v[114:115], v[6:7]
	s_wait_loadcnt_dscnt 0x500
	v_mul_f64_e32 v[126:127], v[118:119], v[10:11]
	v_mul_f64_e32 v[10:11], v[120:121], v[10:11]
	s_delay_alu instid0(VALU_DEP_4) | instskip(NEXT) | instid1(VALU_DEP_4)
	v_fma_f64 v[122:123], v[114:115], v[4:5], -v[122:123]
	v_fmac_f64_e32 v[124:125], v[116:117], v[4:5]
	ds_load_b128 v[4:7], v2 offset:1216
	ds_load_b128 v[114:117], v2 offset:1232
	v_fmac_f64_e32 v[126:127], v[120:121], v[8:9]
	v_fma_f64 v[8:9], v[118:119], v[8:9], -v[10:11]
	s_wait_loadcnt_dscnt 0x401
	v_mul_f64_e32 v[128:129], v[4:5], v[14:15]
	v_mul_f64_e32 v[14:15], v[6:7], v[14:15]
	s_wait_loadcnt_dscnt 0x300
	v_mul_f64_e32 v[120:121], v[114:115], v[18:19]
	v_mul_f64_e32 v[18:19], v[116:117], v[18:19]
	v_add_f64_e32 v[10:11], 0, v[122:123]
	v_add_f64_e32 v[118:119], 0, v[124:125]
	v_fmac_f64_e32 v[128:129], v[6:7], v[12:13]
	v_fma_f64 v[12:13], v[4:5], v[12:13], -v[14:15]
	v_fmac_f64_e32 v[120:121], v[116:117], v[16:17]
	v_fma_f64 v[16:17], v[114:115], v[16:17], -v[18:19]
	v_add_f64_e32 v[14:15], v[10:11], v[8:9]
	v_add_f64_e32 v[118:119], v[118:119], v[126:127]
	ds_load_b128 v[4:7], v2 offset:1248
	ds_load_b128 v[8:11], v2 offset:1264
	s_wait_loadcnt_dscnt 0x201
	v_mul_f64_e32 v[2:3], v[4:5], v[22:23]
	v_mul_f64_e32 v[22:23], v[6:7], v[22:23]
	s_wait_loadcnt_dscnt 0x100
	v_mul_f64_e32 v[18:19], v[8:9], v[108:109]
	v_mul_f64_e32 v[108:109], v[10:11], v[108:109]
	v_add_f64_e32 v[12:13], v[14:15], v[12:13]
	v_add_f64_e32 v[14:15], v[118:119], v[128:129]
	v_fmac_f64_e32 v[2:3], v[6:7], v[20:21]
	v_fma_f64 v[4:5], v[4:5], v[20:21], -v[22:23]
	v_fmac_f64_e32 v[18:19], v[10:11], v[106:107]
	v_fma_f64 v[8:9], v[8:9], v[106:107], -v[108:109]
	v_add_f64_e32 v[6:7], v[12:13], v[16:17]
	v_add_f64_e32 v[12:13], v[14:15], v[120:121]
	s_delay_alu instid0(VALU_DEP_2) | instskip(NEXT) | instid1(VALU_DEP_2)
	v_add_f64_e32 v[4:5], v[6:7], v[4:5]
	v_add_f64_e32 v[2:3], v[12:13], v[2:3]
	s_delay_alu instid0(VALU_DEP_2) | instskip(NEXT) | instid1(VALU_DEP_2)
	v_add_f64_e32 v[4:5], v[4:5], v[8:9]
	v_add_f64_e32 v[6:7], v[2:3], v[18:19]
	s_wait_loadcnt 0x0
	s_delay_alu instid0(VALU_DEP_2) | instskip(NEXT) | instid1(VALU_DEP_2)
	v_add_f64_e64 v[2:3], v[110:111], -v[4:5]
	v_add_f64_e64 v[4:5], v[112:113], -v[6:7]
	scratch_store_b128 off, v[2:5], off offset:528
	s_wait_xcnt 0x0
	v_cmpx_lt_u32_e32 32, v1
	s_cbranch_execz .LBB39_189
; %bb.188:
	scratch_load_b128 v[2:5], off, s9
	v_mov_b32_e32 v6, 0
	s_delay_alu instid0(VALU_DEP_1)
	v_dual_mov_b32 v7, v6 :: v_dual_mov_b32 v8, v6
	v_mov_b32_e32 v9, v6
	scratch_store_b128 off, v[6:9], off offset:512
	s_wait_loadcnt 0x0
	ds_store_b128 v104, v[2:5]
.LBB39_189:
	s_wait_xcnt 0x0
	s_or_b32 exec_lo, exec_lo, s2
	s_wait_storecnt_dscnt 0x0
	s_barrier_signal -1
	s_barrier_wait -1
	s_clause 0x7
	scratch_load_b128 v[4:7], off, off offset:528
	scratch_load_b128 v[8:11], off, off offset:544
	;; [unrolled: 1-line block ×8, first 2 shown]
	v_mov_b32_e32 v2, 0
	ds_load_b128 v[118:121], v2 offset:1168
	ds_load_b128 v[122:125], v2 offset:1184
	s_mov_b32 s2, exec_lo
	s_wait_loadcnt_dscnt 0x701
	v_mul_f64_e32 v[126:127], v[120:121], v[6:7]
	v_mul_f64_e32 v[128:129], v[118:119], v[6:7]
	s_wait_loadcnt_dscnt 0x600
	v_mul_f64_e32 v[130:131], v[122:123], v[10:11]
	v_mul_f64_e32 v[10:11], v[124:125], v[10:11]
	s_delay_alu instid0(VALU_DEP_4) | instskip(NEXT) | instid1(VALU_DEP_4)
	v_fma_f64 v[126:127], v[118:119], v[4:5], -v[126:127]
	v_fmac_f64_e32 v[128:129], v[120:121], v[4:5]
	ds_load_b128 v[4:7], v2 offset:1200
	ds_load_b128 v[118:121], v2 offset:1216
	v_fmac_f64_e32 v[130:131], v[124:125], v[8:9]
	v_fma_f64 v[8:9], v[122:123], v[8:9], -v[10:11]
	s_wait_loadcnt_dscnt 0x501
	v_mul_f64_e32 v[132:133], v[4:5], v[14:15]
	v_mul_f64_e32 v[14:15], v[6:7], v[14:15]
	s_wait_loadcnt_dscnt 0x400
	v_mul_f64_e32 v[124:125], v[118:119], v[18:19]
	v_mul_f64_e32 v[18:19], v[120:121], v[18:19]
	v_add_f64_e32 v[10:11], 0, v[126:127]
	v_add_f64_e32 v[122:123], 0, v[128:129]
	v_fmac_f64_e32 v[132:133], v[6:7], v[12:13]
	v_fma_f64 v[12:13], v[4:5], v[12:13], -v[14:15]
	v_fmac_f64_e32 v[124:125], v[120:121], v[16:17]
	v_fma_f64 v[16:17], v[118:119], v[16:17], -v[18:19]
	v_add_f64_e32 v[14:15], v[10:11], v[8:9]
	v_add_f64_e32 v[122:123], v[122:123], v[130:131]
	ds_load_b128 v[4:7], v2 offset:1232
	ds_load_b128 v[8:11], v2 offset:1248
	s_wait_loadcnt_dscnt 0x301
	v_mul_f64_e32 v[126:127], v[4:5], v[22:23]
	v_mul_f64_e32 v[22:23], v[6:7], v[22:23]
	s_wait_loadcnt_dscnt 0x200
	v_mul_f64_e32 v[18:19], v[8:9], v[108:109]
	v_mul_f64_e32 v[108:109], v[10:11], v[108:109]
	v_add_f64_e32 v[12:13], v[14:15], v[12:13]
	v_add_f64_e32 v[14:15], v[122:123], v[132:133]
	v_fmac_f64_e32 v[126:127], v[6:7], v[20:21]
	v_fma_f64 v[20:21], v[4:5], v[20:21], -v[22:23]
	ds_load_b128 v[4:7], v2 offset:1264
	v_fmac_f64_e32 v[18:19], v[10:11], v[106:107]
	v_fma_f64 v[8:9], v[8:9], v[106:107], -v[108:109]
	v_add_f64_e32 v[12:13], v[12:13], v[16:17]
	v_add_f64_e32 v[14:15], v[14:15], v[124:125]
	s_wait_loadcnt_dscnt 0x100
	v_mul_f64_e32 v[16:17], v[4:5], v[112:113]
	v_mul_f64_e32 v[22:23], v[6:7], v[112:113]
	s_delay_alu instid0(VALU_DEP_4) | instskip(NEXT) | instid1(VALU_DEP_4)
	v_add_f64_e32 v[10:11], v[12:13], v[20:21]
	v_add_f64_e32 v[12:13], v[14:15], v[126:127]
	s_delay_alu instid0(VALU_DEP_4) | instskip(NEXT) | instid1(VALU_DEP_4)
	v_fmac_f64_e32 v[16:17], v[6:7], v[110:111]
	v_fma_f64 v[4:5], v[4:5], v[110:111], -v[22:23]
	s_delay_alu instid0(VALU_DEP_4) | instskip(NEXT) | instid1(VALU_DEP_4)
	v_add_f64_e32 v[6:7], v[10:11], v[8:9]
	v_add_f64_e32 v[8:9], v[12:13], v[18:19]
	s_delay_alu instid0(VALU_DEP_2) | instskip(NEXT) | instid1(VALU_DEP_2)
	v_add_f64_e32 v[4:5], v[6:7], v[4:5]
	v_add_f64_e32 v[6:7], v[8:9], v[16:17]
	s_wait_loadcnt 0x0
	s_delay_alu instid0(VALU_DEP_2) | instskip(NEXT) | instid1(VALU_DEP_2)
	v_add_f64_e64 v[4:5], v[114:115], -v[4:5]
	v_add_f64_e64 v[6:7], v[116:117], -v[6:7]
	scratch_store_b128 off, v[4:7], off offset:512
	s_wait_xcnt 0x0
	v_cmpx_lt_u32_e32 31, v1
	s_cbranch_execz .LBB39_191
; %bb.190:
	scratch_load_b128 v[6:9], off, s8
	v_dual_mov_b32 v3, v2 :: v_dual_mov_b32 v4, v2
	v_mov_b32_e32 v5, v2
	scratch_store_b128 off, v[2:5], off offset:496
	s_wait_loadcnt 0x0
	ds_store_b128 v104, v[6:9]
.LBB39_191:
	s_wait_xcnt 0x0
	s_or_b32 exec_lo, exec_lo, s2
	s_wait_storecnt_dscnt 0x0
	s_barrier_signal -1
	s_barrier_wait -1
	s_clause 0x7
	scratch_load_b128 v[4:7], off, off offset:512
	scratch_load_b128 v[8:11], off, off offset:528
	;; [unrolled: 1-line block ×8, first 2 shown]
	ds_load_b128 v[118:121], v2 offset:1152
	ds_load_b128 v[122:125], v2 offset:1168
	scratch_load_b128 v[126:129], off, off offset:496
	s_mov_b32 s2, exec_lo
	s_wait_loadcnt_dscnt 0x801
	v_mul_f64_e32 v[130:131], v[120:121], v[6:7]
	v_mul_f64_e32 v[132:133], v[118:119], v[6:7]
	s_wait_loadcnt_dscnt 0x700
	v_mul_f64_e32 v[134:135], v[122:123], v[10:11]
	v_mul_f64_e32 v[10:11], v[124:125], v[10:11]
	s_delay_alu instid0(VALU_DEP_4) | instskip(NEXT) | instid1(VALU_DEP_4)
	v_fma_f64 v[130:131], v[118:119], v[4:5], -v[130:131]
	v_fmac_f64_e32 v[132:133], v[120:121], v[4:5]
	ds_load_b128 v[4:7], v2 offset:1184
	ds_load_b128 v[118:121], v2 offset:1200
	v_fmac_f64_e32 v[134:135], v[124:125], v[8:9]
	v_fma_f64 v[8:9], v[122:123], v[8:9], -v[10:11]
	s_wait_loadcnt_dscnt 0x601
	v_mul_f64_e32 v[136:137], v[4:5], v[14:15]
	v_mul_f64_e32 v[14:15], v[6:7], v[14:15]
	s_wait_loadcnt_dscnt 0x500
	v_mul_f64_e32 v[124:125], v[118:119], v[18:19]
	v_mul_f64_e32 v[18:19], v[120:121], v[18:19]
	v_add_f64_e32 v[10:11], 0, v[130:131]
	v_add_f64_e32 v[122:123], 0, v[132:133]
	v_fmac_f64_e32 v[136:137], v[6:7], v[12:13]
	v_fma_f64 v[12:13], v[4:5], v[12:13], -v[14:15]
	v_fmac_f64_e32 v[124:125], v[120:121], v[16:17]
	v_fma_f64 v[16:17], v[118:119], v[16:17], -v[18:19]
	v_add_f64_e32 v[14:15], v[10:11], v[8:9]
	v_add_f64_e32 v[122:123], v[122:123], v[134:135]
	ds_load_b128 v[4:7], v2 offset:1216
	ds_load_b128 v[8:11], v2 offset:1232
	s_wait_loadcnt_dscnt 0x401
	v_mul_f64_e32 v[130:131], v[4:5], v[22:23]
	v_mul_f64_e32 v[22:23], v[6:7], v[22:23]
	s_wait_loadcnt_dscnt 0x300
	v_mul_f64_e32 v[18:19], v[8:9], v[108:109]
	v_mul_f64_e32 v[108:109], v[10:11], v[108:109]
	v_add_f64_e32 v[12:13], v[14:15], v[12:13]
	v_add_f64_e32 v[14:15], v[122:123], v[136:137]
	v_fmac_f64_e32 v[130:131], v[6:7], v[20:21]
	v_fma_f64 v[20:21], v[4:5], v[20:21], -v[22:23]
	v_fmac_f64_e32 v[18:19], v[10:11], v[106:107]
	v_fma_f64 v[8:9], v[8:9], v[106:107], -v[108:109]
	v_add_f64_e32 v[16:17], v[12:13], v[16:17]
	v_add_f64_e32 v[22:23], v[14:15], v[124:125]
	ds_load_b128 v[4:7], v2 offset:1248
	ds_load_b128 v[12:15], v2 offset:1264
	s_wait_loadcnt_dscnt 0x201
	v_mul_f64_e32 v[2:3], v[4:5], v[112:113]
	v_mul_f64_e32 v[112:113], v[6:7], v[112:113]
	v_add_f64_e32 v[10:11], v[16:17], v[20:21]
	v_add_f64_e32 v[16:17], v[22:23], v[130:131]
	s_wait_loadcnt_dscnt 0x100
	v_mul_f64_e32 v[20:21], v[12:13], v[116:117]
	v_mul_f64_e32 v[22:23], v[14:15], v[116:117]
	v_fmac_f64_e32 v[2:3], v[6:7], v[110:111]
	v_fma_f64 v[4:5], v[4:5], v[110:111], -v[112:113]
	v_add_f64_e32 v[6:7], v[10:11], v[8:9]
	v_add_f64_e32 v[8:9], v[16:17], v[18:19]
	v_fmac_f64_e32 v[20:21], v[14:15], v[114:115]
	v_fma_f64 v[10:11], v[12:13], v[114:115], -v[22:23]
	s_delay_alu instid0(VALU_DEP_4) | instskip(NEXT) | instid1(VALU_DEP_4)
	v_add_f64_e32 v[4:5], v[6:7], v[4:5]
	v_add_f64_e32 v[2:3], v[8:9], v[2:3]
	s_delay_alu instid0(VALU_DEP_2) | instskip(NEXT) | instid1(VALU_DEP_2)
	v_add_f64_e32 v[4:5], v[4:5], v[10:11]
	v_add_f64_e32 v[6:7], v[2:3], v[20:21]
	s_wait_loadcnt 0x0
	s_delay_alu instid0(VALU_DEP_2) | instskip(NEXT) | instid1(VALU_DEP_2)
	v_add_f64_e64 v[2:3], v[126:127], -v[4:5]
	v_add_f64_e64 v[4:5], v[128:129], -v[6:7]
	scratch_store_b128 off, v[2:5], off offset:496
	s_wait_xcnt 0x0
	v_cmpx_lt_u32_e32 30, v1
	s_cbranch_execz .LBB39_193
; %bb.192:
	scratch_load_b128 v[2:5], off, s11
	v_mov_b32_e32 v6, 0
	s_delay_alu instid0(VALU_DEP_1)
	v_dual_mov_b32 v7, v6 :: v_dual_mov_b32 v8, v6
	v_mov_b32_e32 v9, v6
	scratch_store_b128 off, v[6:9], off offset:480
	s_wait_loadcnt 0x0
	ds_store_b128 v104, v[2:5]
.LBB39_193:
	s_wait_xcnt 0x0
	s_or_b32 exec_lo, exec_lo, s2
	s_wait_storecnt_dscnt 0x0
	s_barrier_signal -1
	s_barrier_wait -1
	s_clause 0x8
	scratch_load_b128 v[4:7], off, off offset:496
	scratch_load_b128 v[8:11], off, off offset:512
	;; [unrolled: 1-line block ×9, first 2 shown]
	v_mov_b32_e32 v2, 0
	scratch_load_b128 v[126:129], off, off offset:480
	s_mov_b32 s2, exec_lo
	ds_load_b128 v[122:125], v2 offset:1136
	ds_load_b128 v[130:133], v2 offset:1152
	s_wait_loadcnt_dscnt 0x901
	v_mul_f64_e32 v[134:135], v[124:125], v[6:7]
	v_mul_f64_e32 v[136:137], v[122:123], v[6:7]
	s_wait_loadcnt_dscnt 0x800
	v_mul_f64_e32 v[138:139], v[130:131], v[10:11]
	v_mul_f64_e32 v[10:11], v[132:133], v[10:11]
	s_delay_alu instid0(VALU_DEP_4) | instskip(NEXT) | instid1(VALU_DEP_4)
	v_fma_f64 v[134:135], v[122:123], v[4:5], -v[134:135]
	v_fmac_f64_e32 v[136:137], v[124:125], v[4:5]
	ds_load_b128 v[4:7], v2 offset:1168
	ds_load_b128 v[122:125], v2 offset:1184
	v_fmac_f64_e32 v[138:139], v[132:133], v[8:9]
	v_fma_f64 v[8:9], v[130:131], v[8:9], -v[10:11]
	s_wait_loadcnt_dscnt 0x701
	v_mul_f64_e32 v[140:141], v[4:5], v[14:15]
	v_mul_f64_e32 v[14:15], v[6:7], v[14:15]
	s_wait_loadcnt_dscnt 0x600
	v_mul_f64_e32 v[132:133], v[122:123], v[18:19]
	v_mul_f64_e32 v[18:19], v[124:125], v[18:19]
	v_add_f64_e32 v[10:11], 0, v[134:135]
	v_add_f64_e32 v[130:131], 0, v[136:137]
	v_fmac_f64_e32 v[140:141], v[6:7], v[12:13]
	v_fma_f64 v[12:13], v[4:5], v[12:13], -v[14:15]
	v_fmac_f64_e32 v[132:133], v[124:125], v[16:17]
	v_fma_f64 v[16:17], v[122:123], v[16:17], -v[18:19]
	v_add_f64_e32 v[14:15], v[10:11], v[8:9]
	v_add_f64_e32 v[130:131], v[130:131], v[138:139]
	ds_load_b128 v[4:7], v2 offset:1200
	ds_load_b128 v[8:11], v2 offset:1216
	s_wait_loadcnt_dscnt 0x501
	v_mul_f64_e32 v[134:135], v[4:5], v[22:23]
	v_mul_f64_e32 v[22:23], v[6:7], v[22:23]
	s_wait_loadcnt_dscnt 0x400
	v_mul_f64_e32 v[18:19], v[8:9], v[108:109]
	v_mul_f64_e32 v[108:109], v[10:11], v[108:109]
	v_add_f64_e32 v[12:13], v[14:15], v[12:13]
	v_add_f64_e32 v[14:15], v[130:131], v[140:141]
	v_fmac_f64_e32 v[134:135], v[6:7], v[20:21]
	v_fma_f64 v[20:21], v[4:5], v[20:21], -v[22:23]
	v_fmac_f64_e32 v[18:19], v[10:11], v[106:107]
	v_fma_f64 v[8:9], v[8:9], v[106:107], -v[108:109]
	v_add_f64_e32 v[16:17], v[12:13], v[16:17]
	v_add_f64_e32 v[22:23], v[14:15], v[132:133]
	ds_load_b128 v[4:7], v2 offset:1232
	ds_load_b128 v[12:15], v2 offset:1248
	s_wait_loadcnt_dscnt 0x301
	v_mul_f64_e32 v[122:123], v[4:5], v[112:113]
	v_mul_f64_e32 v[112:113], v[6:7], v[112:113]
	v_add_f64_e32 v[10:11], v[16:17], v[20:21]
	v_add_f64_e32 v[16:17], v[22:23], v[134:135]
	s_wait_loadcnt_dscnt 0x200
	v_mul_f64_e32 v[20:21], v[12:13], v[116:117]
	v_mul_f64_e32 v[22:23], v[14:15], v[116:117]
	v_fmac_f64_e32 v[122:123], v[6:7], v[110:111]
	v_fma_f64 v[106:107], v[4:5], v[110:111], -v[112:113]
	ds_load_b128 v[4:7], v2 offset:1264
	v_add_f64_e32 v[8:9], v[10:11], v[8:9]
	v_add_f64_e32 v[10:11], v[16:17], v[18:19]
	v_fmac_f64_e32 v[20:21], v[14:15], v[114:115]
	v_fma_f64 v[12:13], v[12:13], v[114:115], -v[22:23]
	s_wait_loadcnt_dscnt 0x100
	v_mul_f64_e32 v[16:17], v[4:5], v[120:121]
	v_mul_f64_e32 v[18:19], v[6:7], v[120:121]
	v_add_f64_e32 v[8:9], v[8:9], v[106:107]
	v_add_f64_e32 v[10:11], v[10:11], v[122:123]
	s_delay_alu instid0(VALU_DEP_4) | instskip(NEXT) | instid1(VALU_DEP_4)
	v_fmac_f64_e32 v[16:17], v[6:7], v[118:119]
	v_fma_f64 v[4:5], v[4:5], v[118:119], -v[18:19]
	s_delay_alu instid0(VALU_DEP_4) | instskip(NEXT) | instid1(VALU_DEP_4)
	v_add_f64_e32 v[6:7], v[8:9], v[12:13]
	v_add_f64_e32 v[8:9], v[10:11], v[20:21]
	s_delay_alu instid0(VALU_DEP_2) | instskip(NEXT) | instid1(VALU_DEP_2)
	v_add_f64_e32 v[4:5], v[6:7], v[4:5]
	v_add_f64_e32 v[6:7], v[8:9], v[16:17]
	s_wait_loadcnt 0x0
	s_delay_alu instid0(VALU_DEP_2) | instskip(NEXT) | instid1(VALU_DEP_2)
	v_add_f64_e64 v[4:5], v[126:127], -v[4:5]
	v_add_f64_e64 v[6:7], v[128:129], -v[6:7]
	scratch_store_b128 off, v[4:7], off offset:480
	s_wait_xcnt 0x0
	v_cmpx_lt_u32_e32 29, v1
	s_cbranch_execz .LBB39_195
; %bb.194:
	scratch_load_b128 v[6:9], off, s10
	v_dual_mov_b32 v3, v2 :: v_dual_mov_b32 v4, v2
	v_mov_b32_e32 v5, v2
	scratch_store_b128 off, v[2:5], off offset:464
	s_wait_loadcnt 0x0
	ds_store_b128 v104, v[6:9]
.LBB39_195:
	s_wait_xcnt 0x0
	s_or_b32 exec_lo, exec_lo, s2
	s_wait_storecnt_dscnt 0x0
	s_barrier_signal -1
	s_barrier_wait -1
	s_clause 0x9
	scratch_load_b128 v[4:7], off, off offset:480
	scratch_load_b128 v[8:11], off, off offset:496
	;; [unrolled: 1-line block ×10, first 2 shown]
	ds_load_b128 v[126:129], v2 offset:1120
	ds_load_b128 v[130:133], v2 offset:1136
	scratch_load_b128 v[134:137], off, off offset:464
	s_mov_b32 s2, exec_lo
	s_wait_loadcnt_dscnt 0xa01
	v_mul_f64_e32 v[138:139], v[128:129], v[6:7]
	v_mul_f64_e32 v[140:141], v[126:127], v[6:7]
	s_wait_loadcnt_dscnt 0x900
	v_mul_f64_e32 v[142:143], v[130:131], v[10:11]
	v_mul_f64_e32 v[10:11], v[132:133], v[10:11]
	s_delay_alu instid0(VALU_DEP_4) | instskip(NEXT) | instid1(VALU_DEP_4)
	v_fma_f64 v[138:139], v[126:127], v[4:5], -v[138:139]
	v_fmac_f64_e32 v[140:141], v[128:129], v[4:5]
	ds_load_b128 v[4:7], v2 offset:1152
	ds_load_b128 v[126:129], v2 offset:1168
	v_fmac_f64_e32 v[142:143], v[132:133], v[8:9]
	v_fma_f64 v[8:9], v[130:131], v[8:9], -v[10:11]
	s_wait_loadcnt_dscnt 0x801
	v_mul_f64_e32 v[144:145], v[4:5], v[14:15]
	v_mul_f64_e32 v[14:15], v[6:7], v[14:15]
	s_wait_loadcnt_dscnt 0x700
	v_mul_f64_e32 v[132:133], v[126:127], v[18:19]
	v_mul_f64_e32 v[18:19], v[128:129], v[18:19]
	v_add_f64_e32 v[10:11], 0, v[138:139]
	v_add_f64_e32 v[130:131], 0, v[140:141]
	v_fmac_f64_e32 v[144:145], v[6:7], v[12:13]
	v_fma_f64 v[12:13], v[4:5], v[12:13], -v[14:15]
	v_fmac_f64_e32 v[132:133], v[128:129], v[16:17]
	v_fma_f64 v[16:17], v[126:127], v[16:17], -v[18:19]
	v_add_f64_e32 v[14:15], v[10:11], v[8:9]
	v_add_f64_e32 v[130:131], v[130:131], v[142:143]
	ds_load_b128 v[4:7], v2 offset:1184
	ds_load_b128 v[8:11], v2 offset:1200
	s_wait_loadcnt_dscnt 0x601
	v_mul_f64_e32 v[138:139], v[4:5], v[22:23]
	v_mul_f64_e32 v[22:23], v[6:7], v[22:23]
	s_wait_loadcnt_dscnt 0x500
	v_mul_f64_e32 v[18:19], v[8:9], v[108:109]
	v_mul_f64_e32 v[108:109], v[10:11], v[108:109]
	v_add_f64_e32 v[12:13], v[14:15], v[12:13]
	v_add_f64_e32 v[14:15], v[130:131], v[144:145]
	v_fmac_f64_e32 v[138:139], v[6:7], v[20:21]
	v_fma_f64 v[20:21], v[4:5], v[20:21], -v[22:23]
	v_fmac_f64_e32 v[18:19], v[10:11], v[106:107]
	v_fma_f64 v[8:9], v[8:9], v[106:107], -v[108:109]
	v_add_f64_e32 v[16:17], v[12:13], v[16:17]
	v_add_f64_e32 v[22:23], v[14:15], v[132:133]
	ds_load_b128 v[4:7], v2 offset:1216
	ds_load_b128 v[12:15], v2 offset:1232
	s_wait_loadcnt_dscnt 0x401
	v_mul_f64_e32 v[126:127], v[4:5], v[112:113]
	v_mul_f64_e32 v[112:113], v[6:7], v[112:113]
	v_add_f64_e32 v[10:11], v[16:17], v[20:21]
	v_add_f64_e32 v[16:17], v[22:23], v[138:139]
	s_wait_loadcnt_dscnt 0x300
	v_mul_f64_e32 v[20:21], v[12:13], v[116:117]
	v_mul_f64_e32 v[22:23], v[14:15], v[116:117]
	v_fmac_f64_e32 v[126:127], v[6:7], v[110:111]
	v_fma_f64 v[106:107], v[4:5], v[110:111], -v[112:113]
	v_add_f64_e32 v[108:109], v[10:11], v[8:9]
	v_add_f64_e32 v[16:17], v[16:17], v[18:19]
	ds_load_b128 v[4:7], v2 offset:1248
	ds_load_b128 v[8:11], v2 offset:1264
	v_fmac_f64_e32 v[20:21], v[14:15], v[114:115]
	v_fma_f64 v[12:13], v[12:13], v[114:115], -v[22:23]
	s_wait_loadcnt_dscnt 0x201
	v_mul_f64_e32 v[2:3], v[4:5], v[120:121]
	v_mul_f64_e32 v[18:19], v[6:7], v[120:121]
	s_wait_loadcnt_dscnt 0x100
	v_mul_f64_e32 v[22:23], v[8:9], v[124:125]
	v_add_f64_e32 v[14:15], v[108:109], v[106:107]
	v_add_f64_e32 v[16:17], v[16:17], v[126:127]
	v_mul_f64_e32 v[106:107], v[10:11], v[124:125]
	v_fmac_f64_e32 v[2:3], v[6:7], v[118:119]
	v_fma_f64 v[4:5], v[4:5], v[118:119], -v[18:19]
	v_fmac_f64_e32 v[22:23], v[10:11], v[122:123]
	v_add_f64_e32 v[6:7], v[14:15], v[12:13]
	v_add_f64_e32 v[12:13], v[16:17], v[20:21]
	v_fma_f64 v[8:9], v[8:9], v[122:123], -v[106:107]
	s_delay_alu instid0(VALU_DEP_3) | instskip(NEXT) | instid1(VALU_DEP_3)
	v_add_f64_e32 v[4:5], v[6:7], v[4:5]
	v_add_f64_e32 v[2:3], v[12:13], v[2:3]
	s_delay_alu instid0(VALU_DEP_2) | instskip(NEXT) | instid1(VALU_DEP_2)
	v_add_f64_e32 v[4:5], v[4:5], v[8:9]
	v_add_f64_e32 v[6:7], v[2:3], v[22:23]
	s_wait_loadcnt 0x0
	s_delay_alu instid0(VALU_DEP_2) | instskip(NEXT) | instid1(VALU_DEP_2)
	v_add_f64_e64 v[2:3], v[134:135], -v[4:5]
	v_add_f64_e64 v[4:5], v[136:137], -v[6:7]
	scratch_store_b128 off, v[2:5], off offset:464
	s_wait_xcnt 0x0
	v_cmpx_lt_u32_e32 28, v1
	s_cbranch_execz .LBB39_197
; %bb.196:
	scratch_load_b128 v[2:5], off, s14
	v_mov_b32_e32 v6, 0
	s_delay_alu instid0(VALU_DEP_1)
	v_dual_mov_b32 v7, v6 :: v_dual_mov_b32 v8, v6
	v_mov_b32_e32 v9, v6
	scratch_store_b128 off, v[6:9], off offset:448
	s_wait_loadcnt 0x0
	ds_store_b128 v104, v[2:5]
.LBB39_197:
	s_wait_xcnt 0x0
	s_or_b32 exec_lo, exec_lo, s2
	s_wait_storecnt_dscnt 0x0
	s_barrier_signal -1
	s_barrier_wait -1
	s_clause 0x9
	scratch_load_b128 v[4:7], off, off offset:464
	scratch_load_b128 v[8:11], off, off offset:480
	scratch_load_b128 v[12:15], off, off offset:496
	scratch_load_b128 v[16:19], off, off offset:512
	scratch_load_b128 v[20:23], off, off offset:528
	scratch_load_b128 v[106:109], off, off offset:544
	scratch_load_b128 v[110:113], off, off offset:560
	scratch_load_b128 v[114:117], off, off offset:576
	scratch_load_b128 v[118:121], off, off offset:592
	scratch_load_b128 v[122:125], off, off offset:608
	v_mov_b32_e32 v2, 0
	s_mov_b32 s2, exec_lo
	ds_load_b128 v[126:129], v2 offset:1104
	s_clause 0x1
	scratch_load_b128 v[130:133], off, off offset:624
	scratch_load_b128 v[134:137], off, off offset:448
	s_wait_loadcnt_dscnt 0xb00
	v_mul_f64_e32 v[142:143], v[128:129], v[6:7]
	v_mul_f64_e32 v[144:145], v[126:127], v[6:7]
	ds_load_b128 v[138:141], v2 offset:1120
	s_wait_loadcnt_dscnt 0xa00
	v_mul_f64_e32 v[146:147], v[138:139], v[10:11]
	v_mul_f64_e32 v[10:11], v[140:141], v[10:11]
	v_fma_f64 v[142:143], v[126:127], v[4:5], -v[142:143]
	v_fmac_f64_e32 v[144:145], v[128:129], v[4:5]
	ds_load_b128 v[4:7], v2 offset:1136
	ds_load_b128 v[126:129], v2 offset:1152
	s_wait_loadcnt_dscnt 0x901
	v_mul_f64_e32 v[148:149], v[4:5], v[14:15]
	v_mul_f64_e32 v[14:15], v[6:7], v[14:15]
	v_fmac_f64_e32 v[146:147], v[140:141], v[8:9]
	v_fma_f64 v[8:9], v[138:139], v[8:9], -v[10:11]
	s_wait_loadcnt_dscnt 0x800
	v_mul_f64_e32 v[140:141], v[126:127], v[18:19]
	v_mul_f64_e32 v[18:19], v[128:129], v[18:19]
	v_add_f64_e32 v[10:11], 0, v[142:143]
	v_add_f64_e32 v[138:139], 0, v[144:145]
	v_fmac_f64_e32 v[148:149], v[6:7], v[12:13]
	v_fma_f64 v[12:13], v[4:5], v[12:13], -v[14:15]
	v_fmac_f64_e32 v[140:141], v[128:129], v[16:17]
	v_fma_f64 v[16:17], v[126:127], v[16:17], -v[18:19]
	v_add_f64_e32 v[14:15], v[10:11], v[8:9]
	v_add_f64_e32 v[138:139], v[138:139], v[146:147]
	ds_load_b128 v[4:7], v2 offset:1168
	ds_load_b128 v[8:11], v2 offset:1184
	s_wait_loadcnt_dscnt 0x701
	v_mul_f64_e32 v[142:143], v[4:5], v[22:23]
	v_mul_f64_e32 v[22:23], v[6:7], v[22:23]
	s_wait_loadcnt_dscnt 0x600
	v_mul_f64_e32 v[18:19], v[8:9], v[108:109]
	v_mul_f64_e32 v[108:109], v[10:11], v[108:109]
	v_add_f64_e32 v[12:13], v[14:15], v[12:13]
	v_add_f64_e32 v[14:15], v[138:139], v[148:149]
	v_fmac_f64_e32 v[142:143], v[6:7], v[20:21]
	v_fma_f64 v[20:21], v[4:5], v[20:21], -v[22:23]
	v_fmac_f64_e32 v[18:19], v[10:11], v[106:107]
	v_fma_f64 v[8:9], v[8:9], v[106:107], -v[108:109]
	v_add_f64_e32 v[16:17], v[12:13], v[16:17]
	v_add_f64_e32 v[22:23], v[14:15], v[140:141]
	ds_load_b128 v[4:7], v2 offset:1200
	ds_load_b128 v[12:15], v2 offset:1216
	s_wait_loadcnt_dscnt 0x501
	v_mul_f64_e32 v[126:127], v[4:5], v[112:113]
	v_mul_f64_e32 v[112:113], v[6:7], v[112:113]
	v_add_f64_e32 v[10:11], v[16:17], v[20:21]
	v_add_f64_e32 v[16:17], v[22:23], v[142:143]
	s_wait_loadcnt_dscnt 0x400
	v_mul_f64_e32 v[20:21], v[12:13], v[116:117]
	v_mul_f64_e32 v[22:23], v[14:15], v[116:117]
	v_fmac_f64_e32 v[126:127], v[6:7], v[110:111]
	v_fma_f64 v[106:107], v[4:5], v[110:111], -v[112:113]
	v_add_f64_e32 v[108:109], v[10:11], v[8:9]
	v_add_f64_e32 v[16:17], v[16:17], v[18:19]
	ds_load_b128 v[4:7], v2 offset:1232
	ds_load_b128 v[8:11], v2 offset:1248
	v_fmac_f64_e32 v[20:21], v[14:15], v[114:115]
	v_fma_f64 v[12:13], v[12:13], v[114:115], -v[22:23]
	s_wait_loadcnt_dscnt 0x301
	v_mul_f64_e32 v[18:19], v[4:5], v[120:121]
	v_mul_f64_e32 v[110:111], v[6:7], v[120:121]
	s_wait_loadcnt_dscnt 0x200
	v_mul_f64_e32 v[22:23], v[8:9], v[124:125]
	v_add_f64_e32 v[14:15], v[108:109], v[106:107]
	v_add_f64_e32 v[16:17], v[16:17], v[126:127]
	v_mul_f64_e32 v[106:107], v[10:11], v[124:125]
	v_fmac_f64_e32 v[18:19], v[6:7], v[118:119]
	v_fma_f64 v[108:109], v[4:5], v[118:119], -v[110:111]
	ds_load_b128 v[4:7], v2 offset:1264
	v_fmac_f64_e32 v[22:23], v[10:11], v[122:123]
	v_add_f64_e32 v[12:13], v[14:15], v[12:13]
	v_add_f64_e32 v[14:15], v[16:17], v[20:21]
	v_fma_f64 v[8:9], v[8:9], v[122:123], -v[106:107]
	s_wait_loadcnt_dscnt 0x100
	v_mul_f64_e32 v[16:17], v[4:5], v[132:133]
	v_mul_f64_e32 v[20:21], v[6:7], v[132:133]
	v_add_f64_e32 v[10:11], v[12:13], v[108:109]
	v_add_f64_e32 v[12:13], v[14:15], v[18:19]
	s_delay_alu instid0(VALU_DEP_4) | instskip(NEXT) | instid1(VALU_DEP_4)
	v_fmac_f64_e32 v[16:17], v[6:7], v[130:131]
	v_fma_f64 v[4:5], v[4:5], v[130:131], -v[20:21]
	s_delay_alu instid0(VALU_DEP_4) | instskip(NEXT) | instid1(VALU_DEP_4)
	v_add_f64_e32 v[6:7], v[10:11], v[8:9]
	v_add_f64_e32 v[8:9], v[12:13], v[22:23]
	s_delay_alu instid0(VALU_DEP_2) | instskip(NEXT) | instid1(VALU_DEP_2)
	v_add_f64_e32 v[4:5], v[6:7], v[4:5]
	v_add_f64_e32 v[6:7], v[8:9], v[16:17]
	s_wait_loadcnt 0x0
	s_delay_alu instid0(VALU_DEP_2) | instskip(NEXT) | instid1(VALU_DEP_2)
	v_add_f64_e64 v[4:5], v[134:135], -v[4:5]
	v_add_f64_e64 v[6:7], v[136:137], -v[6:7]
	scratch_store_b128 off, v[4:7], off offset:448
	s_wait_xcnt 0x0
	v_cmpx_lt_u32_e32 27, v1
	s_cbranch_execz .LBB39_199
; %bb.198:
	scratch_load_b128 v[6:9], off, s12
	v_dual_mov_b32 v3, v2 :: v_dual_mov_b32 v4, v2
	v_mov_b32_e32 v5, v2
	scratch_store_b128 off, v[2:5], off offset:432
	s_wait_loadcnt 0x0
	ds_store_b128 v104, v[6:9]
.LBB39_199:
	s_wait_xcnt 0x0
	s_or_b32 exec_lo, exec_lo, s2
	s_wait_storecnt_dscnt 0x0
	s_barrier_signal -1
	s_barrier_wait -1
	s_clause 0x9
	scratch_load_b128 v[4:7], off, off offset:448
	scratch_load_b128 v[8:11], off, off offset:464
	;; [unrolled: 1-line block ×10, first 2 shown]
	ds_load_b128 v[126:129], v2 offset:1088
	ds_load_b128 v[134:137], v2 offset:1104
	s_clause 0x2
	scratch_load_b128 v[130:133], off, off offset:608
	scratch_load_b128 v[138:141], off, off offset:432
	;; [unrolled: 1-line block ×3, first 2 shown]
	s_mov_b32 s2, exec_lo
	s_wait_loadcnt_dscnt 0xc01
	v_mul_f64_e32 v[146:147], v[128:129], v[6:7]
	v_mul_f64_e32 v[148:149], v[126:127], v[6:7]
	s_wait_loadcnt_dscnt 0xb00
	v_mul_f64_e32 v[150:151], v[134:135], v[10:11]
	v_mul_f64_e32 v[10:11], v[136:137], v[10:11]
	s_delay_alu instid0(VALU_DEP_4) | instskip(NEXT) | instid1(VALU_DEP_4)
	v_fma_f64 v[146:147], v[126:127], v[4:5], -v[146:147]
	v_fmac_f64_e32 v[148:149], v[128:129], v[4:5]
	ds_load_b128 v[4:7], v2 offset:1120
	ds_load_b128 v[126:129], v2 offset:1136
	v_fmac_f64_e32 v[150:151], v[136:137], v[8:9]
	v_fma_f64 v[8:9], v[134:135], v[8:9], -v[10:11]
	s_wait_loadcnt_dscnt 0xa01
	v_mul_f64_e32 v[152:153], v[4:5], v[14:15]
	v_mul_f64_e32 v[14:15], v[6:7], v[14:15]
	s_wait_loadcnt_dscnt 0x900
	v_mul_f64_e32 v[136:137], v[126:127], v[18:19]
	v_mul_f64_e32 v[18:19], v[128:129], v[18:19]
	v_add_f64_e32 v[10:11], 0, v[146:147]
	v_add_f64_e32 v[134:135], 0, v[148:149]
	v_fmac_f64_e32 v[152:153], v[6:7], v[12:13]
	v_fma_f64 v[12:13], v[4:5], v[12:13], -v[14:15]
	v_fmac_f64_e32 v[136:137], v[128:129], v[16:17]
	v_fma_f64 v[16:17], v[126:127], v[16:17], -v[18:19]
	v_add_f64_e32 v[14:15], v[10:11], v[8:9]
	v_add_f64_e32 v[134:135], v[134:135], v[150:151]
	ds_load_b128 v[4:7], v2 offset:1152
	ds_load_b128 v[8:11], v2 offset:1168
	s_wait_loadcnt_dscnt 0x801
	v_mul_f64_e32 v[146:147], v[4:5], v[22:23]
	v_mul_f64_e32 v[22:23], v[6:7], v[22:23]
	s_wait_loadcnt_dscnt 0x700
	v_mul_f64_e32 v[18:19], v[8:9], v[108:109]
	v_mul_f64_e32 v[108:109], v[10:11], v[108:109]
	v_add_f64_e32 v[12:13], v[14:15], v[12:13]
	v_add_f64_e32 v[14:15], v[134:135], v[152:153]
	v_fmac_f64_e32 v[146:147], v[6:7], v[20:21]
	v_fma_f64 v[20:21], v[4:5], v[20:21], -v[22:23]
	v_fmac_f64_e32 v[18:19], v[10:11], v[106:107]
	v_fma_f64 v[8:9], v[8:9], v[106:107], -v[108:109]
	v_add_f64_e32 v[16:17], v[12:13], v[16:17]
	v_add_f64_e32 v[22:23], v[14:15], v[136:137]
	ds_load_b128 v[4:7], v2 offset:1184
	ds_load_b128 v[12:15], v2 offset:1200
	s_wait_loadcnt_dscnt 0x601
	v_mul_f64_e32 v[126:127], v[4:5], v[112:113]
	v_mul_f64_e32 v[112:113], v[6:7], v[112:113]
	v_add_f64_e32 v[10:11], v[16:17], v[20:21]
	v_add_f64_e32 v[16:17], v[22:23], v[146:147]
	s_wait_loadcnt_dscnt 0x500
	v_mul_f64_e32 v[20:21], v[12:13], v[116:117]
	v_mul_f64_e32 v[22:23], v[14:15], v[116:117]
	v_fmac_f64_e32 v[126:127], v[6:7], v[110:111]
	v_fma_f64 v[106:107], v[4:5], v[110:111], -v[112:113]
	v_add_f64_e32 v[108:109], v[10:11], v[8:9]
	v_add_f64_e32 v[16:17], v[16:17], v[18:19]
	ds_load_b128 v[4:7], v2 offset:1216
	ds_load_b128 v[8:11], v2 offset:1232
	v_fmac_f64_e32 v[20:21], v[14:15], v[114:115]
	v_fma_f64 v[12:13], v[12:13], v[114:115], -v[22:23]
	s_wait_loadcnt_dscnt 0x401
	v_mul_f64_e32 v[18:19], v[4:5], v[120:121]
	v_mul_f64_e32 v[110:111], v[6:7], v[120:121]
	s_wait_loadcnt_dscnt 0x300
	v_mul_f64_e32 v[22:23], v[8:9], v[124:125]
	v_add_f64_e32 v[14:15], v[108:109], v[106:107]
	v_add_f64_e32 v[16:17], v[16:17], v[126:127]
	v_mul_f64_e32 v[106:107], v[10:11], v[124:125]
	v_fmac_f64_e32 v[18:19], v[6:7], v[118:119]
	v_fma_f64 v[108:109], v[4:5], v[118:119], -v[110:111]
	v_fmac_f64_e32 v[22:23], v[10:11], v[122:123]
	v_add_f64_e32 v[110:111], v[14:15], v[12:13]
	v_add_f64_e32 v[16:17], v[16:17], v[20:21]
	ds_load_b128 v[4:7], v2 offset:1248
	ds_load_b128 v[12:15], v2 offset:1264
	v_fma_f64 v[8:9], v[8:9], v[122:123], -v[106:107]
	s_wait_loadcnt_dscnt 0x201
	v_mul_f64_e32 v[2:3], v[4:5], v[132:133]
	v_mul_f64_e32 v[20:21], v[6:7], v[132:133]
	s_wait_loadcnt_dscnt 0x0
	v_mul_f64_e32 v[106:107], v[14:15], v[144:145]
	v_add_f64_e32 v[10:11], v[110:111], v[108:109]
	v_add_f64_e32 v[16:17], v[16:17], v[18:19]
	v_mul_f64_e32 v[18:19], v[12:13], v[144:145]
	v_fmac_f64_e32 v[2:3], v[6:7], v[130:131]
	v_fma_f64 v[4:5], v[4:5], v[130:131], -v[20:21]
	v_add_f64_e32 v[6:7], v[10:11], v[8:9]
	v_add_f64_e32 v[8:9], v[16:17], v[22:23]
	v_fmac_f64_e32 v[18:19], v[14:15], v[142:143]
	v_fma_f64 v[10:11], v[12:13], v[142:143], -v[106:107]
	s_delay_alu instid0(VALU_DEP_4) | instskip(NEXT) | instid1(VALU_DEP_4)
	v_add_f64_e32 v[4:5], v[6:7], v[4:5]
	v_add_f64_e32 v[2:3], v[8:9], v[2:3]
	s_delay_alu instid0(VALU_DEP_2) | instskip(NEXT) | instid1(VALU_DEP_2)
	v_add_f64_e32 v[4:5], v[4:5], v[10:11]
	v_add_f64_e32 v[6:7], v[2:3], v[18:19]
	s_delay_alu instid0(VALU_DEP_2) | instskip(NEXT) | instid1(VALU_DEP_2)
	v_add_f64_e64 v[2:3], v[138:139], -v[4:5]
	v_add_f64_e64 v[4:5], v[140:141], -v[6:7]
	scratch_store_b128 off, v[2:5], off offset:432
	s_wait_xcnt 0x0
	v_cmpx_lt_u32_e32 26, v1
	s_cbranch_execz .LBB39_201
; %bb.200:
	scratch_load_b128 v[2:5], off, s22
	v_mov_b32_e32 v6, 0
	s_delay_alu instid0(VALU_DEP_1)
	v_dual_mov_b32 v7, v6 :: v_dual_mov_b32 v8, v6
	v_mov_b32_e32 v9, v6
	scratch_store_b128 off, v[6:9], off offset:416
	s_wait_loadcnt 0x0
	ds_store_b128 v104, v[2:5]
.LBB39_201:
	s_wait_xcnt 0x0
	s_or_b32 exec_lo, exec_lo, s2
	s_wait_storecnt_dscnt 0x0
	s_barrier_signal -1
	s_barrier_wait -1
	s_clause 0x9
	scratch_load_b128 v[4:7], off, off offset:432
	scratch_load_b128 v[8:11], off, off offset:448
	;; [unrolled: 1-line block ×10, first 2 shown]
	v_mov_b32_e32 v2, 0
	s_mov_b32 s2, exec_lo
	ds_load_b128 v[126:129], v2 offset:1072
	s_clause 0x2
	scratch_load_b128 v[130:133], off, off offset:592
	scratch_load_b128 v[134:137], off, off offset:416
	;; [unrolled: 1-line block ×3, first 2 shown]
	s_wait_loadcnt_dscnt 0xc00
	v_mul_f64_e32 v[146:147], v[128:129], v[6:7]
	v_mul_f64_e32 v[150:151], v[126:127], v[6:7]
	ds_load_b128 v[138:141], v2 offset:1088
	v_fma_f64 v[154:155], v[126:127], v[4:5], -v[146:147]
	v_fmac_f64_e32 v[150:151], v[128:129], v[4:5]
	ds_load_b128 v[4:7], v2 offset:1104
	s_wait_loadcnt_dscnt 0xb01
	v_mul_f64_e32 v[152:153], v[138:139], v[10:11]
	v_mul_f64_e32 v[10:11], v[140:141], v[10:11]
	scratch_load_b128 v[126:129], off, off offset:624
	ds_load_b128 v[146:149], v2 offset:1120
	s_wait_loadcnt_dscnt 0xb01
	v_mul_f64_e32 v[156:157], v[4:5], v[14:15]
	v_mul_f64_e32 v[14:15], v[6:7], v[14:15]
	v_fmac_f64_e32 v[152:153], v[140:141], v[8:9]
	v_fma_f64 v[8:9], v[138:139], v[8:9], -v[10:11]
	v_add_f64_e32 v[10:11], 0, v[154:155]
	v_add_f64_e32 v[138:139], 0, v[150:151]
	s_wait_loadcnt_dscnt 0xa00
	v_mul_f64_e32 v[140:141], v[146:147], v[18:19]
	v_mul_f64_e32 v[18:19], v[148:149], v[18:19]
	v_fmac_f64_e32 v[156:157], v[6:7], v[12:13]
	v_fma_f64 v[12:13], v[4:5], v[12:13], -v[14:15]
	v_add_f64_e32 v[14:15], v[10:11], v[8:9]
	v_add_f64_e32 v[138:139], v[138:139], v[152:153]
	ds_load_b128 v[4:7], v2 offset:1136
	ds_load_b128 v[8:11], v2 offset:1152
	v_fmac_f64_e32 v[140:141], v[148:149], v[16:17]
	v_fma_f64 v[16:17], v[146:147], v[16:17], -v[18:19]
	s_wait_loadcnt_dscnt 0x901
	v_mul_f64_e32 v[150:151], v[4:5], v[22:23]
	v_mul_f64_e32 v[22:23], v[6:7], v[22:23]
	s_wait_loadcnt_dscnt 0x800
	v_mul_f64_e32 v[18:19], v[8:9], v[108:109]
	v_mul_f64_e32 v[108:109], v[10:11], v[108:109]
	v_add_f64_e32 v[12:13], v[14:15], v[12:13]
	v_add_f64_e32 v[14:15], v[138:139], v[156:157]
	v_fmac_f64_e32 v[150:151], v[6:7], v[20:21]
	v_fma_f64 v[20:21], v[4:5], v[20:21], -v[22:23]
	v_fmac_f64_e32 v[18:19], v[10:11], v[106:107]
	v_fma_f64 v[8:9], v[8:9], v[106:107], -v[108:109]
	v_add_f64_e32 v[16:17], v[12:13], v[16:17]
	v_add_f64_e32 v[22:23], v[14:15], v[140:141]
	ds_load_b128 v[4:7], v2 offset:1168
	ds_load_b128 v[12:15], v2 offset:1184
	s_wait_loadcnt_dscnt 0x701
	v_mul_f64_e32 v[138:139], v[4:5], v[112:113]
	v_mul_f64_e32 v[112:113], v[6:7], v[112:113]
	v_add_f64_e32 v[10:11], v[16:17], v[20:21]
	v_add_f64_e32 v[16:17], v[22:23], v[150:151]
	s_wait_loadcnt_dscnt 0x600
	v_mul_f64_e32 v[20:21], v[12:13], v[116:117]
	v_mul_f64_e32 v[22:23], v[14:15], v[116:117]
	v_fmac_f64_e32 v[138:139], v[6:7], v[110:111]
	v_fma_f64 v[106:107], v[4:5], v[110:111], -v[112:113]
	v_add_f64_e32 v[108:109], v[10:11], v[8:9]
	v_add_f64_e32 v[16:17], v[16:17], v[18:19]
	ds_load_b128 v[4:7], v2 offset:1200
	ds_load_b128 v[8:11], v2 offset:1216
	v_fmac_f64_e32 v[20:21], v[14:15], v[114:115]
	v_fma_f64 v[12:13], v[12:13], v[114:115], -v[22:23]
	s_wait_loadcnt_dscnt 0x501
	v_mul_f64_e32 v[18:19], v[4:5], v[120:121]
	v_mul_f64_e32 v[110:111], v[6:7], v[120:121]
	s_wait_loadcnt_dscnt 0x400
	v_mul_f64_e32 v[22:23], v[8:9], v[124:125]
	v_add_f64_e32 v[14:15], v[108:109], v[106:107]
	v_add_f64_e32 v[16:17], v[16:17], v[138:139]
	v_mul_f64_e32 v[106:107], v[10:11], v[124:125]
	v_fmac_f64_e32 v[18:19], v[6:7], v[118:119]
	v_fma_f64 v[108:109], v[4:5], v[118:119], -v[110:111]
	v_fmac_f64_e32 v[22:23], v[10:11], v[122:123]
	v_add_f64_e32 v[110:111], v[14:15], v[12:13]
	v_add_f64_e32 v[16:17], v[16:17], v[20:21]
	ds_load_b128 v[4:7], v2 offset:1232
	ds_load_b128 v[12:15], v2 offset:1248
	v_fma_f64 v[8:9], v[8:9], v[122:123], -v[106:107]
	s_wait_loadcnt_dscnt 0x301
	v_mul_f64_e32 v[20:21], v[4:5], v[132:133]
	v_mul_f64_e32 v[112:113], v[6:7], v[132:133]
	s_wait_loadcnt_dscnt 0x100
	v_mul_f64_e32 v[106:107], v[14:15], v[144:145]
	v_add_f64_e32 v[10:11], v[110:111], v[108:109]
	v_add_f64_e32 v[16:17], v[16:17], v[18:19]
	v_mul_f64_e32 v[18:19], v[12:13], v[144:145]
	v_fmac_f64_e32 v[20:21], v[6:7], v[130:131]
	v_fma_f64 v[108:109], v[4:5], v[130:131], -v[112:113]
	ds_load_b128 v[4:7], v2 offset:1264
	v_fma_f64 v[12:13], v[12:13], v[142:143], -v[106:107]
	v_add_f64_e32 v[8:9], v[10:11], v[8:9]
	v_add_f64_e32 v[10:11], v[16:17], v[22:23]
	v_fmac_f64_e32 v[18:19], v[14:15], v[142:143]
	s_wait_loadcnt_dscnt 0x0
	v_mul_f64_e32 v[16:17], v[4:5], v[128:129]
	v_mul_f64_e32 v[22:23], v[6:7], v[128:129]
	v_add_f64_e32 v[8:9], v[8:9], v[108:109]
	v_add_f64_e32 v[10:11], v[10:11], v[20:21]
	s_delay_alu instid0(VALU_DEP_4) | instskip(NEXT) | instid1(VALU_DEP_4)
	v_fmac_f64_e32 v[16:17], v[6:7], v[126:127]
	v_fma_f64 v[4:5], v[4:5], v[126:127], -v[22:23]
	s_delay_alu instid0(VALU_DEP_4) | instskip(NEXT) | instid1(VALU_DEP_4)
	v_add_f64_e32 v[6:7], v[8:9], v[12:13]
	v_add_f64_e32 v[8:9], v[10:11], v[18:19]
	s_delay_alu instid0(VALU_DEP_2) | instskip(NEXT) | instid1(VALU_DEP_2)
	v_add_f64_e32 v[4:5], v[6:7], v[4:5]
	v_add_f64_e32 v[6:7], v[8:9], v[16:17]
	s_delay_alu instid0(VALU_DEP_2) | instskip(NEXT) | instid1(VALU_DEP_2)
	v_add_f64_e64 v[4:5], v[134:135], -v[4:5]
	v_add_f64_e64 v[6:7], v[136:137], -v[6:7]
	scratch_store_b128 off, v[4:7], off offset:416
	s_wait_xcnt 0x0
	v_cmpx_lt_u32_e32 25, v1
	s_cbranch_execz .LBB39_203
; %bb.202:
	scratch_load_b128 v[6:9], off, s15
	v_dual_mov_b32 v3, v2 :: v_dual_mov_b32 v4, v2
	v_mov_b32_e32 v5, v2
	scratch_store_b128 off, v[2:5], off offset:400
	s_wait_loadcnt 0x0
	ds_store_b128 v104, v[6:9]
.LBB39_203:
	s_wait_xcnt 0x0
	s_or_b32 exec_lo, exec_lo, s2
	s_wait_storecnt_dscnt 0x0
	s_barrier_signal -1
	s_barrier_wait -1
	s_clause 0x9
	scratch_load_b128 v[4:7], off, off offset:416
	scratch_load_b128 v[8:11], off, off offset:432
	;; [unrolled: 1-line block ×10, first 2 shown]
	ds_load_b128 v[126:129], v2 offset:1056
	ds_load_b128 v[134:137], v2 offset:1072
	s_clause 0x2
	scratch_load_b128 v[130:133], off, off offset:576
	scratch_load_b128 v[138:141], off, off offset:400
	;; [unrolled: 1-line block ×3, first 2 shown]
	s_mov_b32 s2, exec_lo
	s_wait_loadcnt_dscnt 0xc01
	v_mul_f64_e32 v[146:147], v[128:129], v[6:7]
	v_mul_f64_e32 v[150:151], v[126:127], v[6:7]
	s_wait_loadcnt_dscnt 0xb00
	v_mul_f64_e32 v[152:153], v[134:135], v[10:11]
	v_mul_f64_e32 v[10:11], v[136:137], v[10:11]
	s_delay_alu instid0(VALU_DEP_4) | instskip(NEXT) | instid1(VALU_DEP_4)
	v_fma_f64 v[154:155], v[126:127], v[4:5], -v[146:147]
	v_fmac_f64_e32 v[150:151], v[128:129], v[4:5]
	ds_load_b128 v[4:7], v2 offset:1088
	ds_load_b128 v[126:129], v2 offset:1104
	scratch_load_b128 v[146:149], off, off offset:608
	v_fmac_f64_e32 v[152:153], v[136:137], v[8:9]
	v_fma_f64 v[134:135], v[134:135], v[8:9], -v[10:11]
	scratch_load_b128 v[8:11], off, off offset:624
	s_wait_loadcnt_dscnt 0xc01
	v_mul_f64_e32 v[156:157], v[4:5], v[14:15]
	v_mul_f64_e32 v[14:15], v[6:7], v[14:15]
	v_add_f64_e32 v[136:137], 0, v[154:155]
	v_add_f64_e32 v[150:151], 0, v[150:151]
	s_wait_loadcnt_dscnt 0xb00
	v_mul_f64_e32 v[154:155], v[126:127], v[18:19]
	v_mul_f64_e32 v[18:19], v[128:129], v[18:19]
	v_fmac_f64_e32 v[156:157], v[6:7], v[12:13]
	v_fma_f64 v[158:159], v[4:5], v[12:13], -v[14:15]
	ds_load_b128 v[4:7], v2 offset:1120
	ds_load_b128 v[12:15], v2 offset:1136
	v_add_f64_e32 v[134:135], v[136:137], v[134:135]
	v_add_f64_e32 v[136:137], v[150:151], v[152:153]
	v_fmac_f64_e32 v[154:155], v[128:129], v[16:17]
	v_fma_f64 v[16:17], v[126:127], v[16:17], -v[18:19]
	s_wait_loadcnt_dscnt 0xa01
	v_mul_f64_e32 v[150:151], v[4:5], v[22:23]
	v_mul_f64_e32 v[22:23], v[6:7], v[22:23]
	s_wait_loadcnt_dscnt 0x900
	v_mul_f64_e32 v[128:129], v[12:13], v[108:109]
	v_mul_f64_e32 v[108:109], v[14:15], v[108:109]
	v_add_f64_e32 v[18:19], v[134:135], v[158:159]
	v_add_f64_e32 v[126:127], v[136:137], v[156:157]
	v_fmac_f64_e32 v[150:151], v[6:7], v[20:21]
	v_fma_f64 v[20:21], v[4:5], v[20:21], -v[22:23]
	v_fmac_f64_e32 v[128:129], v[14:15], v[106:107]
	v_fma_f64 v[12:13], v[12:13], v[106:107], -v[108:109]
	v_add_f64_e32 v[22:23], v[18:19], v[16:17]
	v_add_f64_e32 v[126:127], v[126:127], v[154:155]
	ds_load_b128 v[4:7], v2 offset:1152
	ds_load_b128 v[16:19], v2 offset:1168
	s_wait_loadcnt_dscnt 0x801
	v_mul_f64_e32 v[134:135], v[4:5], v[112:113]
	v_mul_f64_e32 v[112:113], v[6:7], v[112:113]
	s_wait_loadcnt_dscnt 0x700
	v_mul_f64_e32 v[106:107], v[18:19], v[116:117]
	v_add_f64_e32 v[14:15], v[22:23], v[20:21]
	v_add_f64_e32 v[20:21], v[126:127], v[150:151]
	v_mul_f64_e32 v[22:23], v[16:17], v[116:117]
	v_fmac_f64_e32 v[134:135], v[6:7], v[110:111]
	v_fma_f64 v[108:109], v[4:5], v[110:111], -v[112:113]
	v_fma_f64 v[16:17], v[16:17], v[114:115], -v[106:107]
	v_add_f64_e32 v[110:111], v[14:15], v[12:13]
	v_add_f64_e32 v[20:21], v[20:21], v[128:129]
	ds_load_b128 v[4:7], v2 offset:1184
	ds_load_b128 v[12:15], v2 offset:1200
	v_fmac_f64_e32 v[22:23], v[18:19], v[114:115]
	s_wait_loadcnt_dscnt 0x601
	v_mul_f64_e32 v[112:113], v[4:5], v[120:121]
	v_mul_f64_e32 v[116:117], v[6:7], v[120:121]
	s_wait_loadcnt_dscnt 0x500
	v_mul_f64_e32 v[106:107], v[12:13], v[124:125]
	v_add_f64_e32 v[18:19], v[110:111], v[108:109]
	v_add_f64_e32 v[20:21], v[20:21], v[134:135]
	v_mul_f64_e32 v[108:109], v[14:15], v[124:125]
	v_fmac_f64_e32 v[112:113], v[6:7], v[118:119]
	v_fma_f64 v[110:111], v[4:5], v[118:119], -v[116:117]
	v_fmac_f64_e32 v[106:107], v[14:15], v[122:123]
	v_add_f64_e32 v[114:115], v[18:19], v[16:17]
	v_add_f64_e32 v[20:21], v[20:21], v[22:23]
	ds_load_b128 v[4:7], v2 offset:1216
	ds_load_b128 v[16:19], v2 offset:1232
	v_fma_f64 v[12:13], v[12:13], v[122:123], -v[108:109]
	s_wait_loadcnt_dscnt 0x401
	v_mul_f64_e32 v[22:23], v[4:5], v[132:133]
	v_mul_f64_e32 v[116:117], v[6:7], v[132:133]
	s_wait_loadcnt_dscnt 0x200
	v_mul_f64_e32 v[108:109], v[16:17], v[144:145]
	v_add_f64_e32 v[14:15], v[114:115], v[110:111]
	v_add_f64_e32 v[20:21], v[20:21], v[112:113]
	v_mul_f64_e32 v[110:111], v[18:19], v[144:145]
	v_fmac_f64_e32 v[22:23], v[6:7], v[130:131]
	v_fma_f64 v[112:113], v[4:5], v[130:131], -v[116:117]
	v_fmac_f64_e32 v[108:109], v[18:19], v[142:143]
	v_add_f64_e32 v[114:115], v[14:15], v[12:13]
	v_add_f64_e32 v[20:21], v[20:21], v[106:107]
	ds_load_b128 v[4:7], v2 offset:1248
	ds_load_b128 v[12:15], v2 offset:1264
	v_fma_f64 v[16:17], v[16:17], v[142:143], -v[110:111]
	s_wait_loadcnt_dscnt 0x101
	v_mul_f64_e32 v[2:3], v[4:5], v[148:149]
	v_mul_f64_e32 v[106:107], v[6:7], v[148:149]
	v_add_f64_e32 v[18:19], v[114:115], v[112:113]
	v_add_f64_e32 v[20:21], v[20:21], v[22:23]
	s_wait_loadcnt_dscnt 0x0
	v_mul_f64_e32 v[22:23], v[12:13], v[10:11]
	v_mul_f64_e32 v[10:11], v[14:15], v[10:11]
	v_fmac_f64_e32 v[2:3], v[6:7], v[146:147]
	v_fma_f64 v[4:5], v[4:5], v[146:147], -v[106:107]
	v_add_f64_e32 v[6:7], v[18:19], v[16:17]
	v_add_f64_e32 v[16:17], v[20:21], v[108:109]
	v_fmac_f64_e32 v[22:23], v[14:15], v[8:9]
	v_fma_f64 v[8:9], v[12:13], v[8:9], -v[10:11]
	s_delay_alu instid0(VALU_DEP_4) | instskip(NEXT) | instid1(VALU_DEP_4)
	v_add_f64_e32 v[4:5], v[6:7], v[4:5]
	v_add_f64_e32 v[2:3], v[16:17], v[2:3]
	s_delay_alu instid0(VALU_DEP_2) | instskip(NEXT) | instid1(VALU_DEP_2)
	v_add_f64_e32 v[4:5], v[4:5], v[8:9]
	v_add_f64_e32 v[6:7], v[2:3], v[22:23]
	s_delay_alu instid0(VALU_DEP_2) | instskip(NEXT) | instid1(VALU_DEP_2)
	v_add_f64_e64 v[2:3], v[138:139], -v[4:5]
	v_add_f64_e64 v[4:5], v[140:141], -v[6:7]
	scratch_store_b128 off, v[2:5], off offset:400
	s_wait_xcnt 0x0
	v_cmpx_lt_u32_e32 24, v1
	s_cbranch_execz .LBB39_205
; %bb.204:
	scratch_load_b128 v[2:5], off, s31
	v_mov_b32_e32 v6, 0
	s_delay_alu instid0(VALU_DEP_1)
	v_dual_mov_b32 v7, v6 :: v_dual_mov_b32 v8, v6
	v_mov_b32_e32 v9, v6
	scratch_store_b128 off, v[6:9], off offset:384
	s_wait_loadcnt 0x0
	ds_store_b128 v104, v[2:5]
.LBB39_205:
	s_wait_xcnt 0x0
	s_or_b32 exec_lo, exec_lo, s2
	s_wait_storecnt_dscnt 0x0
	s_barrier_signal -1
	s_barrier_wait -1
	s_clause 0x9
	scratch_load_b128 v[4:7], off, off offset:400
	scratch_load_b128 v[8:11], off, off offset:416
	;; [unrolled: 1-line block ×10, first 2 shown]
	v_mov_b32_e32 v2, 0
	s_mov_b32 s2, exec_lo
	ds_load_b128 v[126:129], v2 offset:1040
	s_clause 0x2
	scratch_load_b128 v[130:133], off, off offset:560
	scratch_load_b128 v[134:137], off, off offset:384
	;; [unrolled: 1-line block ×3, first 2 shown]
	s_wait_loadcnt_dscnt 0xc00
	v_mul_f64_e32 v[146:147], v[128:129], v[6:7]
	v_mul_f64_e32 v[150:151], v[126:127], v[6:7]
	ds_load_b128 v[138:141], v2 offset:1056
	v_fma_f64 v[154:155], v[126:127], v[4:5], -v[146:147]
	v_fmac_f64_e32 v[150:151], v[128:129], v[4:5]
	ds_load_b128 v[4:7], v2 offset:1072
	s_wait_loadcnt_dscnt 0xb01
	v_mul_f64_e32 v[152:153], v[138:139], v[10:11]
	v_mul_f64_e32 v[10:11], v[140:141], v[10:11]
	scratch_load_b128 v[126:129], off, off offset:592
	ds_load_b128 v[146:149], v2 offset:1088
	s_wait_loadcnt_dscnt 0xb01
	v_mul_f64_e32 v[156:157], v[4:5], v[14:15]
	v_mul_f64_e32 v[14:15], v[6:7], v[14:15]
	v_add_f64_e32 v[150:151], 0, v[150:151]
	v_fmac_f64_e32 v[152:153], v[140:141], v[8:9]
	v_fma_f64 v[138:139], v[138:139], v[8:9], -v[10:11]
	v_add_f64_e32 v[140:141], 0, v[154:155]
	scratch_load_b128 v[8:11], off, off offset:608
	v_fmac_f64_e32 v[156:157], v[6:7], v[12:13]
	v_fma_f64 v[158:159], v[4:5], v[12:13], -v[14:15]
	ds_load_b128 v[4:7], v2 offset:1104
	s_wait_loadcnt_dscnt 0xb01
	v_mul_f64_e32 v[154:155], v[146:147], v[18:19]
	v_mul_f64_e32 v[18:19], v[148:149], v[18:19]
	scratch_load_b128 v[12:15], off, off offset:624
	v_add_f64_e32 v[150:151], v[150:151], v[152:153]
	v_add_f64_e32 v[160:161], v[140:141], v[138:139]
	ds_load_b128 v[138:141], v2 offset:1120
	s_wait_loadcnt_dscnt 0xb01
	v_mul_f64_e32 v[152:153], v[4:5], v[22:23]
	v_mul_f64_e32 v[22:23], v[6:7], v[22:23]
	v_fmac_f64_e32 v[154:155], v[148:149], v[16:17]
	v_fma_f64 v[16:17], v[146:147], v[16:17], -v[18:19]
	s_wait_loadcnt_dscnt 0xa00
	v_mul_f64_e32 v[148:149], v[138:139], v[108:109]
	v_mul_f64_e32 v[108:109], v[140:141], v[108:109]
	v_add_f64_e32 v[146:147], v[150:151], v[156:157]
	v_add_f64_e32 v[18:19], v[160:161], v[158:159]
	v_fmac_f64_e32 v[152:153], v[6:7], v[20:21]
	v_fma_f64 v[20:21], v[4:5], v[20:21], -v[22:23]
	v_fmac_f64_e32 v[148:149], v[140:141], v[106:107]
	v_fma_f64 v[106:107], v[138:139], v[106:107], -v[108:109]
	v_add_f64_e32 v[146:147], v[146:147], v[154:155]
	v_add_f64_e32 v[22:23], v[18:19], v[16:17]
	ds_load_b128 v[4:7], v2 offset:1136
	ds_load_b128 v[16:19], v2 offset:1152
	s_wait_loadcnt_dscnt 0x901
	v_mul_f64_e32 v[150:151], v[4:5], v[112:113]
	v_mul_f64_e32 v[112:113], v[6:7], v[112:113]
	s_wait_loadcnt_dscnt 0x800
	v_mul_f64_e32 v[108:109], v[16:17], v[116:117]
	v_mul_f64_e32 v[116:117], v[18:19], v[116:117]
	v_add_f64_e32 v[20:21], v[22:23], v[20:21]
	v_add_f64_e32 v[22:23], v[146:147], v[152:153]
	v_fmac_f64_e32 v[150:151], v[6:7], v[110:111]
	v_fma_f64 v[110:111], v[4:5], v[110:111], -v[112:113]
	v_fmac_f64_e32 v[108:109], v[18:19], v[114:115]
	v_fma_f64 v[16:17], v[16:17], v[114:115], -v[116:117]
	v_add_f64_e32 v[106:107], v[20:21], v[106:107]
	v_add_f64_e32 v[112:113], v[22:23], v[148:149]
	ds_load_b128 v[4:7], v2 offset:1168
	ds_load_b128 v[20:23], v2 offset:1184
	s_wait_loadcnt_dscnt 0x701
	v_mul_f64_e32 v[138:139], v[4:5], v[120:121]
	v_mul_f64_e32 v[120:121], v[6:7], v[120:121]
	v_add_f64_e32 v[18:19], v[106:107], v[110:111]
	v_add_f64_e32 v[106:107], v[112:113], v[150:151]
	s_wait_loadcnt_dscnt 0x600
	v_mul_f64_e32 v[110:111], v[20:21], v[124:125]
	v_mul_f64_e32 v[112:113], v[22:23], v[124:125]
	v_fmac_f64_e32 v[138:139], v[6:7], v[118:119]
	v_fma_f64 v[114:115], v[4:5], v[118:119], -v[120:121]
	v_add_f64_e32 v[116:117], v[18:19], v[16:17]
	v_add_f64_e32 v[106:107], v[106:107], v[108:109]
	ds_load_b128 v[4:7], v2 offset:1200
	ds_load_b128 v[16:19], v2 offset:1216
	v_fmac_f64_e32 v[110:111], v[22:23], v[122:123]
	v_fma_f64 v[20:21], v[20:21], v[122:123], -v[112:113]
	s_wait_loadcnt_dscnt 0x501
	v_mul_f64_e32 v[108:109], v[4:5], v[132:133]
	v_mul_f64_e32 v[118:119], v[6:7], v[132:133]
	s_wait_loadcnt_dscnt 0x300
	v_mul_f64_e32 v[112:113], v[16:17], v[144:145]
	v_add_f64_e32 v[22:23], v[116:117], v[114:115]
	v_add_f64_e32 v[106:107], v[106:107], v[138:139]
	v_mul_f64_e32 v[114:115], v[18:19], v[144:145]
	v_fmac_f64_e32 v[108:109], v[6:7], v[130:131]
	v_fma_f64 v[116:117], v[4:5], v[130:131], -v[118:119]
	v_fmac_f64_e32 v[112:113], v[18:19], v[142:143]
	v_add_f64_e32 v[118:119], v[22:23], v[20:21]
	v_add_f64_e32 v[106:107], v[106:107], v[110:111]
	ds_load_b128 v[4:7], v2 offset:1232
	ds_load_b128 v[20:23], v2 offset:1248
	v_fma_f64 v[16:17], v[16:17], v[142:143], -v[114:115]
	s_wait_loadcnt_dscnt 0x201
	v_mul_f64_e32 v[110:111], v[4:5], v[128:129]
	v_mul_f64_e32 v[120:121], v[6:7], v[128:129]
	v_add_f64_e32 v[18:19], v[118:119], v[116:117]
	v_add_f64_e32 v[106:107], v[106:107], v[108:109]
	s_wait_loadcnt_dscnt 0x100
	v_mul_f64_e32 v[108:109], v[20:21], v[10:11]
	v_mul_f64_e32 v[10:11], v[22:23], v[10:11]
	v_fmac_f64_e32 v[110:111], v[6:7], v[126:127]
	v_fma_f64 v[114:115], v[4:5], v[126:127], -v[120:121]
	ds_load_b128 v[4:7], v2 offset:1264
	v_add_f64_e32 v[16:17], v[18:19], v[16:17]
	v_add_f64_e32 v[18:19], v[106:107], v[112:113]
	v_fmac_f64_e32 v[108:109], v[22:23], v[8:9]
	v_fma_f64 v[8:9], v[20:21], v[8:9], -v[10:11]
	s_wait_loadcnt_dscnt 0x0
	v_mul_f64_e32 v[106:107], v[4:5], v[14:15]
	v_mul_f64_e32 v[14:15], v[6:7], v[14:15]
	v_add_f64_e32 v[10:11], v[16:17], v[114:115]
	v_add_f64_e32 v[16:17], v[18:19], v[110:111]
	s_delay_alu instid0(VALU_DEP_4) | instskip(NEXT) | instid1(VALU_DEP_4)
	v_fmac_f64_e32 v[106:107], v[6:7], v[12:13]
	v_fma_f64 v[4:5], v[4:5], v[12:13], -v[14:15]
	s_delay_alu instid0(VALU_DEP_4) | instskip(NEXT) | instid1(VALU_DEP_4)
	v_add_f64_e32 v[6:7], v[10:11], v[8:9]
	v_add_f64_e32 v[8:9], v[16:17], v[108:109]
	s_delay_alu instid0(VALU_DEP_2) | instskip(NEXT) | instid1(VALU_DEP_2)
	v_add_f64_e32 v[4:5], v[6:7], v[4:5]
	v_add_f64_e32 v[6:7], v[8:9], v[106:107]
	s_delay_alu instid0(VALU_DEP_2) | instskip(NEXT) | instid1(VALU_DEP_2)
	v_add_f64_e64 v[4:5], v[134:135], -v[4:5]
	v_add_f64_e64 v[6:7], v[136:137], -v[6:7]
	scratch_store_b128 off, v[4:7], off offset:384
	s_wait_xcnt 0x0
	v_cmpx_lt_u32_e32 23, v1
	s_cbranch_execz .LBB39_207
; %bb.206:
	scratch_load_b128 v[6:9], off, s27
	v_dual_mov_b32 v3, v2 :: v_dual_mov_b32 v4, v2
	v_mov_b32_e32 v5, v2
	scratch_store_b128 off, v[2:5], off offset:368
	s_wait_loadcnt 0x0
	ds_store_b128 v104, v[6:9]
.LBB39_207:
	s_wait_xcnt 0x0
	s_or_b32 exec_lo, exec_lo, s2
	s_wait_storecnt_dscnt 0x0
	s_barrier_signal -1
	s_barrier_wait -1
	s_clause 0x9
	scratch_load_b128 v[4:7], off, off offset:384
	scratch_load_b128 v[8:11], off, off offset:400
	;; [unrolled: 1-line block ×10, first 2 shown]
	ds_load_b128 v[126:129], v2 offset:1024
	ds_load_b128 v[134:137], v2 offset:1040
	s_clause 0x2
	scratch_load_b128 v[130:133], off, off offset:544
	scratch_load_b128 v[138:141], off, off offset:368
	;; [unrolled: 1-line block ×3, first 2 shown]
	s_mov_b32 s2, exec_lo
	s_wait_loadcnt_dscnt 0xc01
	v_mul_f64_e32 v[146:147], v[128:129], v[6:7]
	v_mul_f64_e32 v[150:151], v[126:127], v[6:7]
	s_wait_loadcnt_dscnt 0xb00
	v_mul_f64_e32 v[152:153], v[134:135], v[10:11]
	v_mul_f64_e32 v[10:11], v[136:137], v[10:11]
	s_delay_alu instid0(VALU_DEP_4) | instskip(NEXT) | instid1(VALU_DEP_4)
	v_fma_f64 v[154:155], v[126:127], v[4:5], -v[146:147]
	v_fmac_f64_e32 v[150:151], v[128:129], v[4:5]
	ds_load_b128 v[4:7], v2 offset:1056
	ds_load_b128 v[126:129], v2 offset:1072
	scratch_load_b128 v[146:149], off, off offset:576
	v_fmac_f64_e32 v[152:153], v[136:137], v[8:9]
	v_fma_f64 v[134:135], v[134:135], v[8:9], -v[10:11]
	scratch_load_b128 v[8:11], off, off offset:592
	s_wait_loadcnt_dscnt 0xc01
	v_mul_f64_e32 v[156:157], v[4:5], v[14:15]
	v_mul_f64_e32 v[14:15], v[6:7], v[14:15]
	v_add_f64_e32 v[136:137], 0, v[154:155]
	v_add_f64_e32 v[150:151], 0, v[150:151]
	s_wait_loadcnt_dscnt 0xb00
	v_mul_f64_e32 v[154:155], v[126:127], v[18:19]
	v_mul_f64_e32 v[18:19], v[128:129], v[18:19]
	v_fmac_f64_e32 v[156:157], v[6:7], v[12:13]
	v_fma_f64 v[158:159], v[4:5], v[12:13], -v[14:15]
	ds_load_b128 v[4:7], v2 offset:1088
	ds_load_b128 v[12:15], v2 offset:1104
	v_add_f64_e32 v[160:161], v[136:137], v[134:135]
	v_add_f64_e32 v[150:151], v[150:151], v[152:153]
	scratch_load_b128 v[134:137], off, off offset:608
	v_fmac_f64_e32 v[154:155], v[128:129], v[16:17]
	v_fma_f64 v[126:127], v[126:127], v[16:17], -v[18:19]
	scratch_load_b128 v[16:19], off, off offset:624
	s_wait_loadcnt_dscnt 0xc01
	v_mul_f64_e32 v[152:153], v[4:5], v[22:23]
	v_mul_f64_e32 v[22:23], v[6:7], v[22:23]
	v_add_f64_e32 v[128:129], v[160:161], v[158:159]
	v_add_f64_e32 v[150:151], v[150:151], v[156:157]
	s_wait_loadcnt_dscnt 0xb00
	v_mul_f64_e32 v[156:157], v[12:13], v[108:109]
	v_mul_f64_e32 v[108:109], v[14:15], v[108:109]
	v_fmac_f64_e32 v[152:153], v[6:7], v[20:21]
	v_fma_f64 v[158:159], v[4:5], v[20:21], -v[22:23]
	ds_load_b128 v[4:7], v2 offset:1120
	ds_load_b128 v[20:23], v2 offset:1136
	v_add_f64_e32 v[126:127], v[128:129], v[126:127]
	v_add_f64_e32 v[128:129], v[150:151], v[154:155]
	s_wait_loadcnt_dscnt 0xa01
	v_mul_f64_e32 v[150:151], v[4:5], v[112:113]
	v_mul_f64_e32 v[112:113], v[6:7], v[112:113]
	v_fmac_f64_e32 v[156:157], v[14:15], v[106:107]
	v_fma_f64 v[12:13], v[12:13], v[106:107], -v[108:109]
	s_wait_loadcnt_dscnt 0x900
	v_mul_f64_e32 v[108:109], v[20:21], v[116:117]
	v_mul_f64_e32 v[116:117], v[22:23], v[116:117]
	v_add_f64_e32 v[14:15], v[126:127], v[158:159]
	v_add_f64_e32 v[106:107], v[128:129], v[152:153]
	v_fmac_f64_e32 v[150:151], v[6:7], v[110:111]
	v_fma_f64 v[110:111], v[4:5], v[110:111], -v[112:113]
	v_fmac_f64_e32 v[108:109], v[22:23], v[114:115]
	v_fma_f64 v[20:21], v[20:21], v[114:115], -v[116:117]
	v_add_f64_e32 v[112:113], v[14:15], v[12:13]
	v_add_f64_e32 v[106:107], v[106:107], v[156:157]
	ds_load_b128 v[4:7], v2 offset:1152
	ds_load_b128 v[12:15], v2 offset:1168
	s_wait_loadcnt_dscnt 0x801
	v_mul_f64_e32 v[126:127], v[4:5], v[120:121]
	v_mul_f64_e32 v[120:121], v[6:7], v[120:121]
	v_add_f64_e32 v[22:23], v[112:113], v[110:111]
	v_add_f64_e32 v[106:107], v[106:107], v[150:151]
	s_wait_loadcnt_dscnt 0x700
	v_mul_f64_e32 v[110:111], v[12:13], v[124:125]
	v_mul_f64_e32 v[112:113], v[14:15], v[124:125]
	v_fmac_f64_e32 v[126:127], v[6:7], v[118:119]
	v_fma_f64 v[114:115], v[4:5], v[118:119], -v[120:121]
	v_add_f64_e32 v[116:117], v[22:23], v[20:21]
	v_add_f64_e32 v[106:107], v[106:107], v[108:109]
	ds_load_b128 v[4:7], v2 offset:1184
	ds_load_b128 v[20:23], v2 offset:1200
	v_fmac_f64_e32 v[110:111], v[14:15], v[122:123]
	v_fma_f64 v[12:13], v[12:13], v[122:123], -v[112:113]
	s_wait_loadcnt_dscnt 0x601
	v_mul_f64_e32 v[108:109], v[4:5], v[132:133]
	v_mul_f64_e32 v[118:119], v[6:7], v[132:133]
	s_wait_loadcnt_dscnt 0x400
	v_mul_f64_e32 v[112:113], v[20:21], v[144:145]
	v_add_f64_e32 v[14:15], v[116:117], v[114:115]
	v_add_f64_e32 v[106:107], v[106:107], v[126:127]
	v_mul_f64_e32 v[114:115], v[22:23], v[144:145]
	v_fmac_f64_e32 v[108:109], v[6:7], v[130:131]
	v_fma_f64 v[116:117], v[4:5], v[130:131], -v[118:119]
	v_fmac_f64_e32 v[112:113], v[22:23], v[142:143]
	v_add_f64_e32 v[118:119], v[14:15], v[12:13]
	v_add_f64_e32 v[106:107], v[106:107], v[110:111]
	ds_load_b128 v[4:7], v2 offset:1216
	ds_load_b128 v[12:15], v2 offset:1232
	v_fma_f64 v[20:21], v[20:21], v[142:143], -v[114:115]
	s_wait_loadcnt_dscnt 0x301
	v_mul_f64_e32 v[110:111], v[4:5], v[148:149]
	v_mul_f64_e32 v[120:121], v[6:7], v[148:149]
	v_add_f64_e32 v[22:23], v[118:119], v[116:117]
	v_add_f64_e32 v[106:107], v[106:107], v[108:109]
	s_wait_loadcnt_dscnt 0x200
	v_mul_f64_e32 v[108:109], v[12:13], v[10:11]
	v_mul_f64_e32 v[10:11], v[14:15], v[10:11]
	v_fmac_f64_e32 v[110:111], v[6:7], v[146:147]
	v_fma_f64 v[114:115], v[4:5], v[146:147], -v[120:121]
	v_add_f64_e32 v[116:117], v[22:23], v[20:21]
	v_add_f64_e32 v[106:107], v[106:107], v[112:113]
	ds_load_b128 v[4:7], v2 offset:1248
	ds_load_b128 v[20:23], v2 offset:1264
	v_fmac_f64_e32 v[108:109], v[14:15], v[8:9]
	v_fma_f64 v[8:9], v[12:13], v[8:9], -v[10:11]
	s_wait_loadcnt_dscnt 0x101
	v_mul_f64_e32 v[2:3], v[4:5], v[136:137]
	v_mul_f64_e32 v[112:113], v[6:7], v[136:137]
	s_wait_loadcnt_dscnt 0x0
	v_mul_f64_e32 v[14:15], v[20:21], v[18:19]
	v_mul_f64_e32 v[18:19], v[22:23], v[18:19]
	v_add_f64_e32 v[10:11], v[116:117], v[114:115]
	v_add_f64_e32 v[12:13], v[106:107], v[110:111]
	v_fmac_f64_e32 v[2:3], v[6:7], v[134:135]
	v_fma_f64 v[4:5], v[4:5], v[134:135], -v[112:113]
	v_fmac_f64_e32 v[14:15], v[22:23], v[16:17]
	v_add_f64_e32 v[6:7], v[10:11], v[8:9]
	v_add_f64_e32 v[8:9], v[12:13], v[108:109]
	v_fma_f64 v[10:11], v[20:21], v[16:17], -v[18:19]
	s_delay_alu instid0(VALU_DEP_3) | instskip(NEXT) | instid1(VALU_DEP_3)
	v_add_f64_e32 v[4:5], v[6:7], v[4:5]
	v_add_f64_e32 v[2:3], v[8:9], v[2:3]
	s_delay_alu instid0(VALU_DEP_2) | instskip(NEXT) | instid1(VALU_DEP_2)
	v_add_f64_e32 v[4:5], v[4:5], v[10:11]
	v_add_f64_e32 v[6:7], v[2:3], v[14:15]
	s_delay_alu instid0(VALU_DEP_2) | instskip(NEXT) | instid1(VALU_DEP_2)
	v_add_f64_e64 v[2:3], v[138:139], -v[4:5]
	v_add_f64_e64 v[4:5], v[140:141], -v[6:7]
	scratch_store_b128 off, v[2:5], off offset:368
	s_wait_xcnt 0x0
	v_cmpx_lt_u32_e32 22, v1
	s_cbranch_execz .LBB39_209
; %bb.208:
	scratch_load_b128 v[2:5], off, s23
	v_mov_b32_e32 v6, 0
	s_delay_alu instid0(VALU_DEP_1)
	v_dual_mov_b32 v7, v6 :: v_dual_mov_b32 v8, v6
	v_mov_b32_e32 v9, v6
	scratch_store_b128 off, v[6:9], off offset:352
	s_wait_loadcnt 0x0
	ds_store_b128 v104, v[2:5]
.LBB39_209:
	s_wait_xcnt 0x0
	s_or_b32 exec_lo, exec_lo, s2
	s_wait_storecnt_dscnt 0x0
	s_barrier_signal -1
	s_barrier_wait -1
	s_clause 0x9
	scratch_load_b128 v[4:7], off, off offset:368
	scratch_load_b128 v[8:11], off, off offset:384
	;; [unrolled: 1-line block ×10, first 2 shown]
	v_mov_b32_e32 v2, 0
	s_mov_b32 s2, exec_lo
	ds_load_b128 v[126:129], v2 offset:1008
	s_clause 0x2
	scratch_load_b128 v[130:133], off, off offset:528
	scratch_load_b128 v[134:137], off, off offset:352
	scratch_load_b128 v[142:145], off, off offset:544
	s_wait_loadcnt_dscnt 0xc00
	v_mul_f64_e32 v[146:147], v[128:129], v[6:7]
	v_mul_f64_e32 v[150:151], v[126:127], v[6:7]
	ds_load_b128 v[138:141], v2 offset:1024
	v_fma_f64 v[154:155], v[126:127], v[4:5], -v[146:147]
	v_fmac_f64_e32 v[150:151], v[128:129], v[4:5]
	ds_load_b128 v[4:7], v2 offset:1040
	s_wait_loadcnt_dscnt 0xb01
	v_mul_f64_e32 v[152:153], v[138:139], v[10:11]
	v_mul_f64_e32 v[10:11], v[140:141], v[10:11]
	scratch_load_b128 v[126:129], off, off offset:560
	ds_load_b128 v[146:149], v2 offset:1056
	s_wait_loadcnt_dscnt 0xb01
	v_mul_f64_e32 v[156:157], v[4:5], v[14:15]
	v_mul_f64_e32 v[14:15], v[6:7], v[14:15]
	v_add_f64_e32 v[150:151], 0, v[150:151]
	v_fmac_f64_e32 v[152:153], v[140:141], v[8:9]
	v_fma_f64 v[138:139], v[138:139], v[8:9], -v[10:11]
	v_add_f64_e32 v[140:141], 0, v[154:155]
	scratch_load_b128 v[8:11], off, off offset:576
	v_fmac_f64_e32 v[156:157], v[6:7], v[12:13]
	v_fma_f64 v[158:159], v[4:5], v[12:13], -v[14:15]
	ds_load_b128 v[4:7], v2 offset:1072
	s_wait_loadcnt_dscnt 0xb01
	v_mul_f64_e32 v[154:155], v[146:147], v[18:19]
	v_mul_f64_e32 v[18:19], v[148:149], v[18:19]
	scratch_load_b128 v[12:15], off, off offset:592
	v_add_f64_e32 v[150:151], v[150:151], v[152:153]
	v_add_f64_e32 v[160:161], v[140:141], v[138:139]
	ds_load_b128 v[138:141], v2 offset:1088
	s_wait_loadcnt_dscnt 0xb01
	v_mul_f64_e32 v[152:153], v[4:5], v[22:23]
	v_mul_f64_e32 v[22:23], v[6:7], v[22:23]
	v_fmac_f64_e32 v[154:155], v[148:149], v[16:17]
	v_fma_f64 v[146:147], v[146:147], v[16:17], -v[18:19]
	scratch_load_b128 v[16:19], off, off offset:608
	v_add_f64_e32 v[150:151], v[150:151], v[156:157]
	v_add_f64_e32 v[148:149], v[160:161], v[158:159]
	v_fmac_f64_e32 v[152:153], v[6:7], v[20:21]
	v_fma_f64 v[158:159], v[4:5], v[20:21], -v[22:23]
	ds_load_b128 v[4:7], v2 offset:1104
	s_wait_loadcnt_dscnt 0xb01
	v_mul_f64_e32 v[156:157], v[138:139], v[108:109]
	v_mul_f64_e32 v[108:109], v[140:141], v[108:109]
	scratch_load_b128 v[20:23], off, off offset:624
	v_add_f64_e32 v[150:151], v[150:151], v[154:155]
	s_wait_loadcnt_dscnt 0xb00
	v_mul_f64_e32 v[154:155], v[4:5], v[112:113]
	v_add_f64_e32 v[160:161], v[148:149], v[146:147]
	v_mul_f64_e32 v[112:113], v[6:7], v[112:113]
	ds_load_b128 v[146:149], v2 offset:1120
	v_fmac_f64_e32 v[156:157], v[140:141], v[106:107]
	v_fma_f64 v[106:107], v[138:139], v[106:107], -v[108:109]
	s_wait_loadcnt_dscnt 0xa00
	v_mul_f64_e32 v[140:141], v[146:147], v[116:117]
	v_mul_f64_e32 v[116:117], v[148:149], v[116:117]
	v_add_f64_e32 v[138:139], v[150:151], v[152:153]
	v_fmac_f64_e32 v[154:155], v[6:7], v[110:111]
	v_add_f64_e32 v[108:109], v[160:161], v[158:159]
	v_fma_f64 v[110:111], v[4:5], v[110:111], -v[112:113]
	v_fmac_f64_e32 v[140:141], v[148:149], v[114:115]
	v_fma_f64 v[114:115], v[146:147], v[114:115], -v[116:117]
	v_add_f64_e32 v[138:139], v[138:139], v[156:157]
	v_add_f64_e32 v[112:113], v[108:109], v[106:107]
	ds_load_b128 v[4:7], v2 offset:1136
	ds_load_b128 v[106:109], v2 offset:1152
	s_wait_loadcnt_dscnt 0x901
	v_mul_f64_e32 v[150:151], v[4:5], v[120:121]
	v_mul_f64_e32 v[120:121], v[6:7], v[120:121]
	s_wait_loadcnt_dscnt 0x800
	v_mul_f64_e32 v[116:117], v[106:107], v[124:125]
	v_mul_f64_e32 v[124:125], v[108:109], v[124:125]
	v_add_f64_e32 v[110:111], v[112:113], v[110:111]
	v_add_f64_e32 v[112:113], v[138:139], v[154:155]
	v_fmac_f64_e32 v[150:151], v[6:7], v[118:119]
	v_fma_f64 v[118:119], v[4:5], v[118:119], -v[120:121]
	v_fmac_f64_e32 v[116:117], v[108:109], v[122:123]
	v_fma_f64 v[106:107], v[106:107], v[122:123], -v[124:125]
	v_add_f64_e32 v[114:115], v[110:111], v[114:115]
	v_add_f64_e32 v[120:121], v[112:113], v[140:141]
	ds_load_b128 v[4:7], v2 offset:1168
	ds_load_b128 v[110:113], v2 offset:1184
	s_wait_loadcnt_dscnt 0x701
	v_mul_f64_e32 v[138:139], v[4:5], v[132:133]
	v_mul_f64_e32 v[132:133], v[6:7], v[132:133]
	v_add_f64_e32 v[108:109], v[114:115], v[118:119]
	v_add_f64_e32 v[114:115], v[120:121], v[150:151]
	s_wait_loadcnt_dscnt 0x500
	v_mul_f64_e32 v[118:119], v[110:111], v[144:145]
	v_mul_f64_e32 v[120:121], v[112:113], v[144:145]
	v_fmac_f64_e32 v[138:139], v[6:7], v[130:131]
	v_fma_f64 v[122:123], v[4:5], v[130:131], -v[132:133]
	v_add_f64_e32 v[124:125], v[108:109], v[106:107]
	v_add_f64_e32 v[114:115], v[114:115], v[116:117]
	ds_load_b128 v[4:7], v2 offset:1200
	ds_load_b128 v[106:109], v2 offset:1216
	v_fmac_f64_e32 v[118:119], v[112:113], v[142:143]
	v_fma_f64 v[110:111], v[110:111], v[142:143], -v[120:121]
	s_wait_loadcnt_dscnt 0x401
	v_mul_f64_e32 v[116:117], v[4:5], v[128:129]
	v_mul_f64_e32 v[128:129], v[6:7], v[128:129]
	v_add_f64_e32 v[112:113], v[124:125], v[122:123]
	v_add_f64_e32 v[114:115], v[114:115], v[138:139]
	s_wait_loadcnt_dscnt 0x300
	v_mul_f64_e32 v[120:121], v[106:107], v[10:11]
	v_mul_f64_e32 v[10:11], v[108:109], v[10:11]
	v_fmac_f64_e32 v[116:117], v[6:7], v[126:127]
	v_fma_f64 v[122:123], v[4:5], v[126:127], -v[128:129]
	v_add_f64_e32 v[124:125], v[112:113], v[110:111]
	v_add_f64_e32 v[114:115], v[114:115], v[118:119]
	ds_load_b128 v[4:7], v2 offset:1232
	ds_load_b128 v[110:113], v2 offset:1248
	v_fmac_f64_e32 v[120:121], v[108:109], v[8:9]
	v_fma_f64 v[8:9], v[106:107], v[8:9], -v[10:11]
	s_wait_loadcnt_dscnt 0x201
	v_mul_f64_e32 v[118:119], v[4:5], v[14:15]
	v_mul_f64_e32 v[14:15], v[6:7], v[14:15]
	s_wait_loadcnt_dscnt 0x100
	v_mul_f64_e32 v[108:109], v[110:111], v[18:19]
	v_mul_f64_e32 v[18:19], v[112:113], v[18:19]
	v_add_f64_e32 v[10:11], v[124:125], v[122:123]
	v_add_f64_e32 v[106:107], v[114:115], v[116:117]
	v_fmac_f64_e32 v[118:119], v[6:7], v[12:13]
	v_fma_f64 v[12:13], v[4:5], v[12:13], -v[14:15]
	ds_load_b128 v[4:7], v2 offset:1264
	v_fmac_f64_e32 v[108:109], v[112:113], v[16:17]
	v_fma_f64 v[16:17], v[110:111], v[16:17], -v[18:19]
	v_add_f64_e32 v[8:9], v[10:11], v[8:9]
	v_add_f64_e32 v[10:11], v[106:107], v[120:121]
	s_wait_loadcnt_dscnt 0x0
	v_mul_f64_e32 v[14:15], v[4:5], v[22:23]
	v_mul_f64_e32 v[22:23], v[6:7], v[22:23]
	s_delay_alu instid0(VALU_DEP_4) | instskip(NEXT) | instid1(VALU_DEP_4)
	v_add_f64_e32 v[8:9], v[8:9], v[12:13]
	v_add_f64_e32 v[10:11], v[10:11], v[118:119]
	s_delay_alu instid0(VALU_DEP_4) | instskip(NEXT) | instid1(VALU_DEP_4)
	v_fmac_f64_e32 v[14:15], v[6:7], v[20:21]
	v_fma_f64 v[4:5], v[4:5], v[20:21], -v[22:23]
	s_delay_alu instid0(VALU_DEP_4) | instskip(NEXT) | instid1(VALU_DEP_4)
	v_add_f64_e32 v[6:7], v[8:9], v[16:17]
	v_add_f64_e32 v[8:9], v[10:11], v[108:109]
	s_delay_alu instid0(VALU_DEP_2) | instskip(NEXT) | instid1(VALU_DEP_2)
	v_add_f64_e32 v[4:5], v[6:7], v[4:5]
	v_add_f64_e32 v[6:7], v[8:9], v[14:15]
	s_delay_alu instid0(VALU_DEP_2) | instskip(NEXT) | instid1(VALU_DEP_2)
	v_add_f64_e64 v[4:5], v[134:135], -v[4:5]
	v_add_f64_e64 v[6:7], v[136:137], -v[6:7]
	scratch_store_b128 off, v[4:7], off offset:352
	s_wait_xcnt 0x0
	v_cmpx_lt_u32_e32 21, v1
	s_cbranch_execz .LBB39_211
; %bb.210:
	scratch_load_b128 v[6:9], off, s21
	v_dual_mov_b32 v3, v2 :: v_dual_mov_b32 v4, v2
	v_mov_b32_e32 v5, v2
	scratch_store_b128 off, v[2:5], off offset:336
	s_wait_loadcnt 0x0
	ds_store_b128 v104, v[6:9]
.LBB39_211:
	s_wait_xcnt 0x0
	s_or_b32 exec_lo, exec_lo, s2
	s_wait_storecnt_dscnt 0x0
	s_barrier_signal -1
	s_barrier_wait -1
	s_clause 0x9
	scratch_load_b128 v[4:7], off, off offset:352
	scratch_load_b128 v[8:11], off, off offset:368
	;; [unrolled: 1-line block ×10, first 2 shown]
	ds_load_b128 v[126:129], v2 offset:992
	ds_load_b128 v[134:137], v2 offset:1008
	s_clause 0x2
	scratch_load_b128 v[130:133], off, off offset:512
	scratch_load_b128 v[138:141], off, off offset:336
	scratch_load_b128 v[142:145], off, off offset:528
	s_mov_b32 s2, exec_lo
	s_wait_loadcnt_dscnt 0xc01
	v_mul_f64_e32 v[146:147], v[128:129], v[6:7]
	v_mul_f64_e32 v[150:151], v[126:127], v[6:7]
	s_wait_loadcnt_dscnt 0xb00
	v_mul_f64_e32 v[152:153], v[134:135], v[10:11]
	v_mul_f64_e32 v[10:11], v[136:137], v[10:11]
	s_delay_alu instid0(VALU_DEP_4) | instskip(NEXT) | instid1(VALU_DEP_4)
	v_fma_f64 v[154:155], v[126:127], v[4:5], -v[146:147]
	v_fmac_f64_e32 v[150:151], v[128:129], v[4:5]
	ds_load_b128 v[4:7], v2 offset:1024
	ds_load_b128 v[126:129], v2 offset:1040
	scratch_load_b128 v[146:149], off, off offset:544
	v_fmac_f64_e32 v[152:153], v[136:137], v[8:9]
	v_fma_f64 v[134:135], v[134:135], v[8:9], -v[10:11]
	scratch_load_b128 v[8:11], off, off offset:560
	s_wait_loadcnt_dscnt 0xc01
	v_mul_f64_e32 v[156:157], v[4:5], v[14:15]
	v_mul_f64_e32 v[14:15], v[6:7], v[14:15]
	v_add_f64_e32 v[136:137], 0, v[154:155]
	v_add_f64_e32 v[150:151], 0, v[150:151]
	s_wait_loadcnt_dscnt 0xb00
	v_mul_f64_e32 v[154:155], v[126:127], v[18:19]
	v_mul_f64_e32 v[18:19], v[128:129], v[18:19]
	v_fmac_f64_e32 v[156:157], v[6:7], v[12:13]
	v_fma_f64 v[158:159], v[4:5], v[12:13], -v[14:15]
	ds_load_b128 v[4:7], v2 offset:1056
	ds_load_b128 v[12:15], v2 offset:1072
	v_add_f64_e32 v[160:161], v[136:137], v[134:135]
	v_add_f64_e32 v[150:151], v[150:151], v[152:153]
	scratch_load_b128 v[134:137], off, off offset:576
	v_fmac_f64_e32 v[154:155], v[128:129], v[16:17]
	v_fma_f64 v[126:127], v[126:127], v[16:17], -v[18:19]
	scratch_load_b128 v[16:19], off, off offset:592
	s_wait_loadcnt_dscnt 0xc01
	v_mul_f64_e32 v[152:153], v[4:5], v[22:23]
	v_mul_f64_e32 v[22:23], v[6:7], v[22:23]
	v_add_f64_e32 v[128:129], v[160:161], v[158:159]
	v_add_f64_e32 v[150:151], v[150:151], v[156:157]
	s_wait_loadcnt_dscnt 0xb00
	v_mul_f64_e32 v[156:157], v[12:13], v[108:109]
	v_mul_f64_e32 v[108:109], v[14:15], v[108:109]
	v_fmac_f64_e32 v[152:153], v[6:7], v[20:21]
	v_fma_f64 v[158:159], v[4:5], v[20:21], -v[22:23]
	ds_load_b128 v[4:7], v2 offset:1088
	ds_load_b128 v[20:23], v2 offset:1104
	v_add_f64_e32 v[160:161], v[128:129], v[126:127]
	v_add_f64_e32 v[150:151], v[150:151], v[154:155]
	scratch_load_b128 v[126:129], off, off offset:608
	s_wait_loadcnt_dscnt 0xb01
	v_mul_f64_e32 v[154:155], v[4:5], v[112:113]
	v_mul_f64_e32 v[112:113], v[6:7], v[112:113]
	v_fmac_f64_e32 v[156:157], v[14:15], v[106:107]
	v_fma_f64 v[106:107], v[12:13], v[106:107], -v[108:109]
	scratch_load_b128 v[12:15], off, off offset:624
	v_add_f64_e32 v[108:109], v[160:161], v[158:159]
	v_add_f64_e32 v[150:151], v[150:151], v[152:153]
	s_wait_loadcnt_dscnt 0xb00
	v_mul_f64_e32 v[152:153], v[20:21], v[116:117]
	v_mul_f64_e32 v[116:117], v[22:23], v[116:117]
	v_fmac_f64_e32 v[154:155], v[6:7], v[110:111]
	v_fma_f64 v[110:111], v[4:5], v[110:111], -v[112:113]
	v_add_f64_e32 v[112:113], v[108:109], v[106:107]
	v_add_f64_e32 v[150:151], v[150:151], v[156:157]
	ds_load_b128 v[4:7], v2 offset:1120
	ds_load_b128 v[106:109], v2 offset:1136
	v_fmac_f64_e32 v[152:153], v[22:23], v[114:115]
	v_fma_f64 v[20:21], v[20:21], v[114:115], -v[116:117]
	s_wait_loadcnt_dscnt 0xa01
	v_mul_f64_e32 v[156:157], v[4:5], v[120:121]
	v_mul_f64_e32 v[120:121], v[6:7], v[120:121]
	s_wait_loadcnt_dscnt 0x900
	v_mul_f64_e32 v[114:115], v[108:109], v[124:125]
	v_add_f64_e32 v[22:23], v[112:113], v[110:111]
	v_add_f64_e32 v[110:111], v[150:151], v[154:155]
	v_mul_f64_e32 v[112:113], v[106:107], v[124:125]
	v_fmac_f64_e32 v[156:157], v[6:7], v[118:119]
	v_fma_f64 v[116:117], v[4:5], v[118:119], -v[120:121]
	v_fma_f64 v[106:107], v[106:107], v[122:123], -v[114:115]
	v_add_f64_e32 v[118:119], v[22:23], v[20:21]
	v_add_f64_e32 v[110:111], v[110:111], v[152:153]
	ds_load_b128 v[4:7], v2 offset:1152
	ds_load_b128 v[20:23], v2 offset:1168
	v_fmac_f64_e32 v[112:113], v[108:109], v[122:123]
	s_wait_loadcnt_dscnt 0x801
	v_mul_f64_e32 v[120:121], v[4:5], v[132:133]
	v_mul_f64_e32 v[124:125], v[6:7], v[132:133]
	s_wait_loadcnt_dscnt 0x600
	v_mul_f64_e32 v[114:115], v[20:21], v[144:145]
	v_add_f64_e32 v[108:109], v[118:119], v[116:117]
	v_add_f64_e32 v[110:111], v[110:111], v[156:157]
	v_mul_f64_e32 v[116:117], v[22:23], v[144:145]
	v_fmac_f64_e32 v[120:121], v[6:7], v[130:131]
	v_fma_f64 v[118:119], v[4:5], v[130:131], -v[124:125]
	v_fmac_f64_e32 v[114:115], v[22:23], v[142:143]
	v_add_f64_e32 v[122:123], v[108:109], v[106:107]
	v_add_f64_e32 v[110:111], v[110:111], v[112:113]
	ds_load_b128 v[4:7], v2 offset:1184
	ds_load_b128 v[106:109], v2 offset:1200
	v_fma_f64 v[20:21], v[20:21], v[142:143], -v[116:117]
	s_wait_loadcnt_dscnt 0x501
	v_mul_f64_e32 v[112:113], v[4:5], v[148:149]
	v_mul_f64_e32 v[124:125], v[6:7], v[148:149]
	s_wait_loadcnt_dscnt 0x400
	v_mul_f64_e32 v[116:117], v[106:107], v[10:11]
	v_mul_f64_e32 v[10:11], v[108:109], v[10:11]
	v_add_f64_e32 v[22:23], v[122:123], v[118:119]
	v_add_f64_e32 v[110:111], v[110:111], v[120:121]
	v_fmac_f64_e32 v[112:113], v[6:7], v[146:147]
	v_fma_f64 v[118:119], v[4:5], v[146:147], -v[124:125]
	v_fmac_f64_e32 v[116:117], v[108:109], v[8:9]
	v_fma_f64 v[8:9], v[106:107], v[8:9], -v[10:11]
	v_add_f64_e32 v[120:121], v[22:23], v[20:21]
	v_add_f64_e32 v[110:111], v[110:111], v[114:115]
	ds_load_b128 v[4:7], v2 offset:1216
	ds_load_b128 v[20:23], v2 offset:1232
	s_wait_loadcnt_dscnt 0x301
	v_mul_f64_e32 v[114:115], v[4:5], v[136:137]
	v_mul_f64_e32 v[122:123], v[6:7], v[136:137]
	s_wait_loadcnt_dscnt 0x200
	v_mul_f64_e32 v[108:109], v[20:21], v[18:19]
	v_mul_f64_e32 v[18:19], v[22:23], v[18:19]
	v_add_f64_e32 v[10:11], v[120:121], v[118:119]
	v_add_f64_e32 v[106:107], v[110:111], v[112:113]
	v_fmac_f64_e32 v[114:115], v[6:7], v[134:135]
	v_fma_f64 v[110:111], v[4:5], v[134:135], -v[122:123]
	v_fmac_f64_e32 v[108:109], v[22:23], v[16:17]
	v_fma_f64 v[16:17], v[20:21], v[16:17], -v[18:19]
	v_add_f64_e32 v[112:113], v[10:11], v[8:9]
	v_add_f64_e32 v[106:107], v[106:107], v[116:117]
	ds_load_b128 v[4:7], v2 offset:1248
	ds_load_b128 v[8:11], v2 offset:1264
	s_wait_loadcnt_dscnt 0x101
	v_mul_f64_e32 v[2:3], v[4:5], v[128:129]
	v_mul_f64_e32 v[116:117], v[6:7], v[128:129]
	s_wait_loadcnt_dscnt 0x0
	v_mul_f64_e32 v[22:23], v[8:9], v[14:15]
	v_mul_f64_e32 v[14:15], v[10:11], v[14:15]
	v_add_f64_e32 v[18:19], v[112:113], v[110:111]
	v_add_f64_e32 v[20:21], v[106:107], v[114:115]
	v_fmac_f64_e32 v[2:3], v[6:7], v[126:127]
	v_fma_f64 v[4:5], v[4:5], v[126:127], -v[116:117]
	v_fmac_f64_e32 v[22:23], v[10:11], v[12:13]
	v_fma_f64 v[8:9], v[8:9], v[12:13], -v[14:15]
	v_add_f64_e32 v[6:7], v[18:19], v[16:17]
	v_add_f64_e32 v[16:17], v[20:21], v[108:109]
	s_delay_alu instid0(VALU_DEP_2) | instskip(NEXT) | instid1(VALU_DEP_2)
	v_add_f64_e32 v[4:5], v[6:7], v[4:5]
	v_add_f64_e32 v[2:3], v[16:17], v[2:3]
	s_delay_alu instid0(VALU_DEP_2) | instskip(NEXT) | instid1(VALU_DEP_2)
	;; [unrolled: 3-line block ×3, first 2 shown]
	v_add_f64_e64 v[2:3], v[138:139], -v[4:5]
	v_add_f64_e64 v[4:5], v[140:141], -v[6:7]
	scratch_store_b128 off, v[2:5], off offset:336
	s_wait_xcnt 0x0
	v_cmpx_lt_u32_e32 20, v1
	s_cbranch_execz .LBB39_213
; %bb.212:
	scratch_load_b128 v[2:5], off, s30
	v_mov_b32_e32 v6, 0
	s_delay_alu instid0(VALU_DEP_1)
	v_dual_mov_b32 v7, v6 :: v_dual_mov_b32 v8, v6
	v_mov_b32_e32 v9, v6
	scratch_store_b128 off, v[6:9], off offset:320
	s_wait_loadcnt 0x0
	ds_store_b128 v104, v[2:5]
.LBB39_213:
	s_wait_xcnt 0x0
	s_or_b32 exec_lo, exec_lo, s2
	s_wait_storecnt_dscnt 0x0
	s_barrier_signal -1
	s_barrier_wait -1
	s_clause 0x9
	scratch_load_b128 v[4:7], off, off offset:336
	scratch_load_b128 v[8:11], off, off offset:352
	;; [unrolled: 1-line block ×10, first 2 shown]
	v_mov_b32_e32 v2, 0
	s_mov_b32 s2, exec_lo
	ds_load_b128 v[126:129], v2 offset:976
	s_clause 0x2
	scratch_load_b128 v[130:133], off, off offset:496
	scratch_load_b128 v[134:137], off, off offset:320
	scratch_load_b128 v[142:145], off, off offset:512
	s_wait_loadcnt_dscnt 0xc00
	v_mul_f64_e32 v[146:147], v[128:129], v[6:7]
	v_mul_f64_e32 v[150:151], v[126:127], v[6:7]
	ds_load_b128 v[138:141], v2 offset:992
	v_fma_f64 v[154:155], v[126:127], v[4:5], -v[146:147]
	v_fmac_f64_e32 v[150:151], v[128:129], v[4:5]
	ds_load_b128 v[4:7], v2 offset:1008
	s_wait_loadcnt_dscnt 0xb01
	v_mul_f64_e32 v[152:153], v[138:139], v[10:11]
	v_mul_f64_e32 v[10:11], v[140:141], v[10:11]
	scratch_load_b128 v[126:129], off, off offset:528
	ds_load_b128 v[146:149], v2 offset:1024
	s_wait_loadcnt_dscnt 0xb01
	v_mul_f64_e32 v[156:157], v[4:5], v[14:15]
	v_mul_f64_e32 v[14:15], v[6:7], v[14:15]
	v_add_f64_e32 v[150:151], 0, v[150:151]
	v_fmac_f64_e32 v[152:153], v[140:141], v[8:9]
	v_fma_f64 v[138:139], v[138:139], v[8:9], -v[10:11]
	v_add_f64_e32 v[140:141], 0, v[154:155]
	scratch_load_b128 v[8:11], off, off offset:544
	v_fmac_f64_e32 v[156:157], v[6:7], v[12:13]
	v_fma_f64 v[158:159], v[4:5], v[12:13], -v[14:15]
	ds_load_b128 v[4:7], v2 offset:1040
	s_wait_loadcnt_dscnt 0xb01
	v_mul_f64_e32 v[154:155], v[146:147], v[18:19]
	v_mul_f64_e32 v[18:19], v[148:149], v[18:19]
	scratch_load_b128 v[12:15], off, off offset:560
	v_add_f64_e32 v[150:151], v[150:151], v[152:153]
	v_add_f64_e32 v[160:161], v[140:141], v[138:139]
	ds_load_b128 v[138:141], v2 offset:1056
	s_wait_loadcnt_dscnt 0xb01
	v_mul_f64_e32 v[152:153], v[4:5], v[22:23]
	v_mul_f64_e32 v[22:23], v[6:7], v[22:23]
	v_fmac_f64_e32 v[154:155], v[148:149], v[16:17]
	v_fma_f64 v[146:147], v[146:147], v[16:17], -v[18:19]
	scratch_load_b128 v[16:19], off, off offset:576
	v_add_f64_e32 v[150:151], v[150:151], v[156:157]
	v_add_f64_e32 v[148:149], v[160:161], v[158:159]
	v_fmac_f64_e32 v[152:153], v[6:7], v[20:21]
	v_fma_f64 v[158:159], v[4:5], v[20:21], -v[22:23]
	ds_load_b128 v[4:7], v2 offset:1072
	s_wait_loadcnt_dscnt 0xb01
	v_mul_f64_e32 v[156:157], v[138:139], v[108:109]
	v_mul_f64_e32 v[108:109], v[140:141], v[108:109]
	scratch_load_b128 v[20:23], off, off offset:592
	v_add_f64_e32 v[150:151], v[150:151], v[154:155]
	s_wait_loadcnt_dscnt 0xb00
	v_mul_f64_e32 v[154:155], v[4:5], v[112:113]
	v_add_f64_e32 v[160:161], v[148:149], v[146:147]
	v_mul_f64_e32 v[112:113], v[6:7], v[112:113]
	ds_load_b128 v[146:149], v2 offset:1088
	v_fmac_f64_e32 v[156:157], v[140:141], v[106:107]
	v_fma_f64 v[138:139], v[138:139], v[106:107], -v[108:109]
	scratch_load_b128 v[106:109], off, off offset:608
	v_add_f64_e32 v[150:151], v[150:151], v[152:153]
	v_fmac_f64_e32 v[154:155], v[6:7], v[110:111]
	v_add_f64_e32 v[140:141], v[160:161], v[158:159]
	v_fma_f64 v[158:159], v[4:5], v[110:111], -v[112:113]
	ds_load_b128 v[4:7], v2 offset:1104
	s_wait_loadcnt_dscnt 0xb01
	v_mul_f64_e32 v[152:153], v[146:147], v[116:117]
	v_mul_f64_e32 v[116:117], v[148:149], v[116:117]
	scratch_load_b128 v[110:113], off, off offset:624
	v_add_f64_e32 v[150:151], v[150:151], v[156:157]
	s_wait_loadcnt_dscnt 0xb00
	v_mul_f64_e32 v[156:157], v[4:5], v[120:121]
	v_add_f64_e32 v[160:161], v[140:141], v[138:139]
	v_mul_f64_e32 v[120:121], v[6:7], v[120:121]
	ds_load_b128 v[138:141], v2 offset:1120
	v_fmac_f64_e32 v[152:153], v[148:149], v[114:115]
	v_fma_f64 v[114:115], v[146:147], v[114:115], -v[116:117]
	s_wait_loadcnt_dscnt 0xa00
	v_mul_f64_e32 v[148:149], v[138:139], v[124:125]
	v_mul_f64_e32 v[124:125], v[140:141], v[124:125]
	v_add_f64_e32 v[146:147], v[150:151], v[154:155]
	v_fmac_f64_e32 v[156:157], v[6:7], v[118:119]
	v_add_f64_e32 v[116:117], v[160:161], v[158:159]
	v_fma_f64 v[118:119], v[4:5], v[118:119], -v[120:121]
	v_fmac_f64_e32 v[148:149], v[140:141], v[122:123]
	v_fma_f64 v[122:123], v[138:139], v[122:123], -v[124:125]
	v_add_f64_e32 v[146:147], v[146:147], v[152:153]
	v_add_f64_e32 v[120:121], v[116:117], v[114:115]
	ds_load_b128 v[4:7], v2 offset:1136
	ds_load_b128 v[114:117], v2 offset:1152
	s_wait_loadcnt_dscnt 0x901
	v_mul_f64_e32 v[150:151], v[4:5], v[132:133]
	v_mul_f64_e32 v[132:133], v[6:7], v[132:133]
	s_wait_loadcnt_dscnt 0x700
	v_mul_f64_e32 v[124:125], v[114:115], v[144:145]
	v_mul_f64_e32 v[138:139], v[116:117], v[144:145]
	v_add_f64_e32 v[118:119], v[120:121], v[118:119]
	v_add_f64_e32 v[120:121], v[146:147], v[156:157]
	v_fmac_f64_e32 v[150:151], v[6:7], v[130:131]
	v_fma_f64 v[130:131], v[4:5], v[130:131], -v[132:133]
	v_fmac_f64_e32 v[124:125], v[116:117], v[142:143]
	v_fma_f64 v[114:115], v[114:115], v[142:143], -v[138:139]
	v_add_f64_e32 v[122:123], v[118:119], v[122:123]
	v_add_f64_e32 v[132:133], v[120:121], v[148:149]
	ds_load_b128 v[4:7], v2 offset:1168
	ds_load_b128 v[118:121], v2 offset:1184
	s_wait_loadcnt_dscnt 0x601
	v_mul_f64_e32 v[140:141], v[4:5], v[128:129]
	v_mul_f64_e32 v[128:129], v[6:7], v[128:129]
	v_add_f64_e32 v[116:117], v[122:123], v[130:131]
	v_add_f64_e32 v[122:123], v[132:133], v[150:151]
	s_wait_loadcnt_dscnt 0x500
	v_mul_f64_e32 v[130:131], v[118:119], v[10:11]
	v_mul_f64_e32 v[10:11], v[120:121], v[10:11]
	v_fmac_f64_e32 v[140:141], v[6:7], v[126:127]
	v_fma_f64 v[126:127], v[4:5], v[126:127], -v[128:129]
	v_add_f64_e32 v[128:129], v[116:117], v[114:115]
	v_add_f64_e32 v[122:123], v[122:123], v[124:125]
	ds_load_b128 v[4:7], v2 offset:1200
	ds_load_b128 v[114:117], v2 offset:1216
	v_fmac_f64_e32 v[130:131], v[120:121], v[8:9]
	v_fma_f64 v[8:9], v[118:119], v[8:9], -v[10:11]
	s_wait_loadcnt_dscnt 0x401
	v_mul_f64_e32 v[124:125], v[4:5], v[14:15]
	v_mul_f64_e32 v[14:15], v[6:7], v[14:15]
	s_wait_loadcnt_dscnt 0x300
	v_mul_f64_e32 v[120:121], v[114:115], v[18:19]
	v_mul_f64_e32 v[18:19], v[116:117], v[18:19]
	v_add_f64_e32 v[10:11], v[128:129], v[126:127]
	v_add_f64_e32 v[118:119], v[122:123], v[140:141]
	v_fmac_f64_e32 v[124:125], v[6:7], v[12:13]
	v_fma_f64 v[12:13], v[4:5], v[12:13], -v[14:15]
	v_fmac_f64_e32 v[120:121], v[116:117], v[16:17]
	v_fma_f64 v[16:17], v[114:115], v[16:17], -v[18:19]
	v_add_f64_e32 v[14:15], v[10:11], v[8:9]
	v_add_f64_e32 v[118:119], v[118:119], v[130:131]
	ds_load_b128 v[4:7], v2 offset:1232
	ds_load_b128 v[8:11], v2 offset:1248
	s_wait_loadcnt_dscnt 0x201
	v_mul_f64_e32 v[122:123], v[4:5], v[22:23]
	v_mul_f64_e32 v[22:23], v[6:7], v[22:23]
	s_wait_loadcnt_dscnt 0x100
	v_mul_f64_e32 v[18:19], v[8:9], v[108:109]
	v_mul_f64_e32 v[108:109], v[10:11], v[108:109]
	v_add_f64_e32 v[12:13], v[14:15], v[12:13]
	v_add_f64_e32 v[14:15], v[118:119], v[124:125]
	v_fmac_f64_e32 v[122:123], v[6:7], v[20:21]
	v_fma_f64 v[20:21], v[4:5], v[20:21], -v[22:23]
	ds_load_b128 v[4:7], v2 offset:1264
	v_fmac_f64_e32 v[18:19], v[10:11], v[106:107]
	v_fma_f64 v[8:9], v[8:9], v[106:107], -v[108:109]
	v_add_f64_e32 v[12:13], v[12:13], v[16:17]
	v_add_f64_e32 v[14:15], v[14:15], v[120:121]
	s_wait_loadcnt_dscnt 0x0
	v_mul_f64_e32 v[16:17], v[4:5], v[112:113]
	v_mul_f64_e32 v[22:23], v[6:7], v[112:113]
	s_delay_alu instid0(VALU_DEP_4) | instskip(NEXT) | instid1(VALU_DEP_4)
	v_add_f64_e32 v[10:11], v[12:13], v[20:21]
	v_add_f64_e32 v[12:13], v[14:15], v[122:123]
	s_delay_alu instid0(VALU_DEP_4) | instskip(NEXT) | instid1(VALU_DEP_4)
	v_fmac_f64_e32 v[16:17], v[6:7], v[110:111]
	v_fma_f64 v[4:5], v[4:5], v[110:111], -v[22:23]
	s_delay_alu instid0(VALU_DEP_4) | instskip(NEXT) | instid1(VALU_DEP_4)
	v_add_f64_e32 v[6:7], v[10:11], v[8:9]
	v_add_f64_e32 v[8:9], v[12:13], v[18:19]
	s_delay_alu instid0(VALU_DEP_2) | instskip(NEXT) | instid1(VALU_DEP_2)
	v_add_f64_e32 v[4:5], v[6:7], v[4:5]
	v_add_f64_e32 v[6:7], v[8:9], v[16:17]
	s_delay_alu instid0(VALU_DEP_2) | instskip(NEXT) | instid1(VALU_DEP_2)
	v_add_f64_e64 v[4:5], v[134:135], -v[4:5]
	v_add_f64_e64 v[6:7], v[136:137], -v[6:7]
	scratch_store_b128 off, v[4:7], off offset:320
	s_wait_xcnt 0x0
	v_cmpx_lt_u32_e32 19, v1
	s_cbranch_execz .LBB39_215
; %bb.214:
	scratch_load_b128 v[6:9], off, s26
	v_dual_mov_b32 v3, v2 :: v_dual_mov_b32 v4, v2
	v_mov_b32_e32 v5, v2
	scratch_store_b128 off, v[2:5], off offset:304
	s_wait_loadcnt 0x0
	ds_store_b128 v104, v[6:9]
.LBB39_215:
	s_wait_xcnt 0x0
	s_or_b32 exec_lo, exec_lo, s2
	s_wait_storecnt_dscnt 0x0
	s_barrier_signal -1
	s_barrier_wait -1
	s_clause 0x9
	scratch_load_b128 v[4:7], off, off offset:320
	scratch_load_b128 v[8:11], off, off offset:336
	;; [unrolled: 1-line block ×10, first 2 shown]
	ds_load_b128 v[126:129], v2 offset:960
	ds_load_b128 v[134:137], v2 offset:976
	s_clause 0x2
	scratch_load_b128 v[130:133], off, off offset:480
	scratch_load_b128 v[138:141], off, off offset:304
	;; [unrolled: 1-line block ×3, first 2 shown]
	s_mov_b32 s2, exec_lo
	s_wait_loadcnt_dscnt 0xc01
	v_mul_f64_e32 v[146:147], v[128:129], v[6:7]
	v_mul_f64_e32 v[150:151], v[126:127], v[6:7]
	s_wait_loadcnt_dscnt 0xb00
	v_mul_f64_e32 v[152:153], v[134:135], v[10:11]
	v_mul_f64_e32 v[10:11], v[136:137], v[10:11]
	s_delay_alu instid0(VALU_DEP_4) | instskip(NEXT) | instid1(VALU_DEP_4)
	v_fma_f64 v[154:155], v[126:127], v[4:5], -v[146:147]
	v_fmac_f64_e32 v[150:151], v[128:129], v[4:5]
	ds_load_b128 v[4:7], v2 offset:992
	ds_load_b128 v[126:129], v2 offset:1008
	scratch_load_b128 v[146:149], off, off offset:512
	v_fmac_f64_e32 v[152:153], v[136:137], v[8:9]
	v_fma_f64 v[134:135], v[134:135], v[8:9], -v[10:11]
	scratch_load_b128 v[8:11], off, off offset:528
	s_wait_loadcnt_dscnt 0xc01
	v_mul_f64_e32 v[156:157], v[4:5], v[14:15]
	v_mul_f64_e32 v[14:15], v[6:7], v[14:15]
	v_add_f64_e32 v[136:137], 0, v[154:155]
	v_add_f64_e32 v[150:151], 0, v[150:151]
	s_wait_loadcnt_dscnt 0xb00
	v_mul_f64_e32 v[154:155], v[126:127], v[18:19]
	v_mul_f64_e32 v[18:19], v[128:129], v[18:19]
	v_fmac_f64_e32 v[156:157], v[6:7], v[12:13]
	v_fma_f64 v[158:159], v[4:5], v[12:13], -v[14:15]
	ds_load_b128 v[4:7], v2 offset:1024
	ds_load_b128 v[12:15], v2 offset:1040
	v_add_f64_e32 v[160:161], v[136:137], v[134:135]
	v_add_f64_e32 v[150:151], v[150:151], v[152:153]
	scratch_load_b128 v[134:137], off, off offset:544
	v_fmac_f64_e32 v[154:155], v[128:129], v[16:17]
	v_fma_f64 v[126:127], v[126:127], v[16:17], -v[18:19]
	scratch_load_b128 v[16:19], off, off offset:560
	s_wait_loadcnt_dscnt 0xc01
	v_mul_f64_e32 v[152:153], v[4:5], v[22:23]
	v_mul_f64_e32 v[22:23], v[6:7], v[22:23]
	v_add_f64_e32 v[128:129], v[160:161], v[158:159]
	v_add_f64_e32 v[150:151], v[150:151], v[156:157]
	s_wait_loadcnt_dscnt 0xb00
	v_mul_f64_e32 v[156:157], v[12:13], v[108:109]
	v_mul_f64_e32 v[108:109], v[14:15], v[108:109]
	v_fmac_f64_e32 v[152:153], v[6:7], v[20:21]
	v_fma_f64 v[158:159], v[4:5], v[20:21], -v[22:23]
	ds_load_b128 v[4:7], v2 offset:1056
	ds_load_b128 v[20:23], v2 offset:1072
	v_add_f64_e32 v[160:161], v[128:129], v[126:127]
	v_add_f64_e32 v[150:151], v[150:151], v[154:155]
	scratch_load_b128 v[126:129], off, off offset:576
	s_wait_loadcnt_dscnt 0xb01
	v_mul_f64_e32 v[154:155], v[4:5], v[112:113]
	v_mul_f64_e32 v[112:113], v[6:7], v[112:113]
	v_fmac_f64_e32 v[156:157], v[14:15], v[106:107]
	v_fma_f64 v[106:107], v[12:13], v[106:107], -v[108:109]
	scratch_load_b128 v[12:15], off, off offset:592
	v_add_f64_e32 v[108:109], v[160:161], v[158:159]
	v_add_f64_e32 v[150:151], v[150:151], v[152:153]
	s_wait_loadcnt_dscnt 0xb00
	v_mul_f64_e32 v[152:153], v[20:21], v[116:117]
	v_mul_f64_e32 v[116:117], v[22:23], v[116:117]
	v_fmac_f64_e32 v[154:155], v[6:7], v[110:111]
	v_fma_f64 v[158:159], v[4:5], v[110:111], -v[112:113]
	v_add_f64_e32 v[160:161], v[108:109], v[106:107]
	v_add_f64_e32 v[150:151], v[150:151], v[156:157]
	ds_load_b128 v[4:7], v2 offset:1088
	ds_load_b128 v[106:109], v2 offset:1104
	scratch_load_b128 v[110:113], off, off offset:608
	v_fmac_f64_e32 v[152:153], v[22:23], v[114:115]
	v_fma_f64 v[114:115], v[20:21], v[114:115], -v[116:117]
	scratch_load_b128 v[20:23], off, off offset:624
	s_wait_loadcnt_dscnt 0xc01
	v_mul_f64_e32 v[156:157], v[4:5], v[120:121]
	v_mul_f64_e32 v[120:121], v[6:7], v[120:121]
	v_add_f64_e32 v[116:117], v[160:161], v[158:159]
	v_add_f64_e32 v[150:151], v[150:151], v[154:155]
	s_wait_loadcnt_dscnt 0xb00
	v_mul_f64_e32 v[154:155], v[106:107], v[124:125]
	v_mul_f64_e32 v[124:125], v[108:109], v[124:125]
	v_fmac_f64_e32 v[156:157], v[6:7], v[118:119]
	v_fma_f64 v[118:119], v[4:5], v[118:119], -v[120:121]
	v_add_f64_e32 v[120:121], v[116:117], v[114:115]
	v_add_f64_e32 v[150:151], v[150:151], v[152:153]
	ds_load_b128 v[4:7], v2 offset:1120
	ds_load_b128 v[114:117], v2 offset:1136
	v_fmac_f64_e32 v[154:155], v[108:109], v[122:123]
	v_fma_f64 v[106:107], v[106:107], v[122:123], -v[124:125]
	s_wait_loadcnt_dscnt 0xa01
	v_mul_f64_e32 v[152:153], v[4:5], v[132:133]
	v_mul_f64_e32 v[132:133], v[6:7], v[132:133]
	s_wait_loadcnt_dscnt 0x800
	v_mul_f64_e32 v[122:123], v[116:117], v[144:145]
	v_add_f64_e32 v[108:109], v[120:121], v[118:119]
	v_add_f64_e32 v[118:119], v[150:151], v[156:157]
	v_mul_f64_e32 v[120:121], v[114:115], v[144:145]
	v_fmac_f64_e32 v[152:153], v[6:7], v[130:131]
	v_fma_f64 v[124:125], v[4:5], v[130:131], -v[132:133]
	v_fma_f64 v[114:115], v[114:115], v[142:143], -v[122:123]
	v_add_f64_e32 v[130:131], v[108:109], v[106:107]
	v_add_f64_e32 v[118:119], v[118:119], v[154:155]
	ds_load_b128 v[4:7], v2 offset:1152
	ds_load_b128 v[106:109], v2 offset:1168
	v_fmac_f64_e32 v[120:121], v[116:117], v[142:143]
	s_wait_loadcnt_dscnt 0x701
	v_mul_f64_e32 v[132:133], v[4:5], v[148:149]
	v_mul_f64_e32 v[144:145], v[6:7], v[148:149]
	s_wait_loadcnt_dscnt 0x600
	v_mul_f64_e32 v[122:123], v[106:107], v[10:11]
	v_mul_f64_e32 v[10:11], v[108:109], v[10:11]
	v_add_f64_e32 v[116:117], v[130:131], v[124:125]
	v_add_f64_e32 v[118:119], v[118:119], v[152:153]
	v_fmac_f64_e32 v[132:133], v[6:7], v[146:147]
	v_fma_f64 v[124:125], v[4:5], v[146:147], -v[144:145]
	v_fmac_f64_e32 v[122:123], v[108:109], v[8:9]
	v_fma_f64 v[8:9], v[106:107], v[8:9], -v[10:11]
	v_add_f64_e32 v[130:131], v[116:117], v[114:115]
	v_add_f64_e32 v[118:119], v[118:119], v[120:121]
	ds_load_b128 v[4:7], v2 offset:1184
	ds_load_b128 v[114:117], v2 offset:1200
	s_wait_loadcnt_dscnt 0x501
	v_mul_f64_e32 v[120:121], v[4:5], v[136:137]
	v_mul_f64_e32 v[136:137], v[6:7], v[136:137]
	s_wait_loadcnt_dscnt 0x400
	v_mul_f64_e32 v[108:109], v[114:115], v[18:19]
	v_mul_f64_e32 v[18:19], v[116:117], v[18:19]
	v_add_f64_e32 v[10:11], v[130:131], v[124:125]
	v_add_f64_e32 v[106:107], v[118:119], v[132:133]
	v_fmac_f64_e32 v[120:121], v[6:7], v[134:135]
	v_fma_f64 v[118:119], v[4:5], v[134:135], -v[136:137]
	v_fmac_f64_e32 v[108:109], v[116:117], v[16:17]
	v_fma_f64 v[16:17], v[114:115], v[16:17], -v[18:19]
	v_add_f64_e32 v[124:125], v[10:11], v[8:9]
	v_add_f64_e32 v[106:107], v[106:107], v[122:123]
	ds_load_b128 v[4:7], v2 offset:1216
	ds_load_b128 v[8:11], v2 offset:1232
	;; [unrolled: 16-line block ×3, first 2 shown]
	s_wait_loadcnt_dscnt 0x101
	v_mul_f64_e32 v[2:3], v[4:5], v[112:113]
	v_mul_f64_e32 v[108:109], v[6:7], v[112:113]
	v_add_f64_e32 v[10:11], v[18:19], v[118:119]
	v_add_f64_e32 v[12:13], v[106:107], v[122:123]
	s_wait_loadcnt_dscnt 0x0
	v_mul_f64_e32 v[18:19], v[14:15], v[22:23]
	v_mul_f64_e32 v[22:23], v[16:17], v[22:23]
	v_fmac_f64_e32 v[2:3], v[6:7], v[110:111]
	v_fma_f64 v[4:5], v[4:5], v[110:111], -v[108:109]
	v_add_f64_e32 v[6:7], v[10:11], v[8:9]
	v_add_f64_e32 v[8:9], v[12:13], v[114:115]
	v_fmac_f64_e32 v[18:19], v[16:17], v[20:21]
	v_fma_f64 v[10:11], v[14:15], v[20:21], -v[22:23]
	s_delay_alu instid0(VALU_DEP_4) | instskip(NEXT) | instid1(VALU_DEP_4)
	v_add_f64_e32 v[4:5], v[6:7], v[4:5]
	v_add_f64_e32 v[2:3], v[8:9], v[2:3]
	s_delay_alu instid0(VALU_DEP_2) | instskip(NEXT) | instid1(VALU_DEP_2)
	v_add_f64_e32 v[4:5], v[4:5], v[10:11]
	v_add_f64_e32 v[6:7], v[2:3], v[18:19]
	s_delay_alu instid0(VALU_DEP_2) | instskip(NEXT) | instid1(VALU_DEP_2)
	v_add_f64_e64 v[2:3], v[138:139], -v[4:5]
	v_add_f64_e64 v[4:5], v[140:141], -v[6:7]
	scratch_store_b128 off, v[2:5], off offset:304
	s_wait_xcnt 0x0
	v_cmpx_lt_u32_e32 18, v1
	s_cbranch_execz .LBB39_217
; %bb.216:
	scratch_load_b128 v[2:5], off, s24
	v_mov_b32_e32 v6, 0
	s_delay_alu instid0(VALU_DEP_1)
	v_dual_mov_b32 v7, v6 :: v_dual_mov_b32 v8, v6
	v_mov_b32_e32 v9, v6
	scratch_store_b128 off, v[6:9], off offset:288
	s_wait_loadcnt 0x0
	ds_store_b128 v104, v[2:5]
.LBB39_217:
	s_wait_xcnt 0x0
	s_or_b32 exec_lo, exec_lo, s2
	s_wait_storecnt_dscnt 0x0
	s_barrier_signal -1
	s_barrier_wait -1
	s_clause 0x9
	scratch_load_b128 v[4:7], off, off offset:304
	scratch_load_b128 v[8:11], off, off offset:320
	;; [unrolled: 1-line block ×10, first 2 shown]
	v_mov_b32_e32 v2, 0
	s_mov_b32 s2, exec_lo
	ds_load_b128 v[126:129], v2 offset:944
	s_clause 0x2
	scratch_load_b128 v[130:133], off, off offset:464
	scratch_load_b128 v[134:137], off, off offset:288
	;; [unrolled: 1-line block ×3, first 2 shown]
	s_wait_loadcnt_dscnt 0xc00
	v_mul_f64_e32 v[146:147], v[128:129], v[6:7]
	v_mul_f64_e32 v[150:151], v[126:127], v[6:7]
	ds_load_b128 v[138:141], v2 offset:960
	v_fma_f64 v[154:155], v[126:127], v[4:5], -v[146:147]
	v_fmac_f64_e32 v[150:151], v[128:129], v[4:5]
	ds_load_b128 v[4:7], v2 offset:976
	s_wait_loadcnt_dscnt 0xb01
	v_mul_f64_e32 v[152:153], v[138:139], v[10:11]
	v_mul_f64_e32 v[10:11], v[140:141], v[10:11]
	scratch_load_b128 v[126:129], off, off offset:496
	ds_load_b128 v[146:149], v2 offset:992
	s_wait_loadcnt_dscnt 0xb01
	v_mul_f64_e32 v[156:157], v[4:5], v[14:15]
	v_mul_f64_e32 v[14:15], v[6:7], v[14:15]
	v_add_f64_e32 v[150:151], 0, v[150:151]
	v_fmac_f64_e32 v[152:153], v[140:141], v[8:9]
	v_fma_f64 v[138:139], v[138:139], v[8:9], -v[10:11]
	v_add_f64_e32 v[140:141], 0, v[154:155]
	scratch_load_b128 v[8:11], off, off offset:512
	v_fmac_f64_e32 v[156:157], v[6:7], v[12:13]
	v_fma_f64 v[158:159], v[4:5], v[12:13], -v[14:15]
	ds_load_b128 v[4:7], v2 offset:1008
	s_wait_loadcnt_dscnt 0xb01
	v_mul_f64_e32 v[154:155], v[146:147], v[18:19]
	v_mul_f64_e32 v[18:19], v[148:149], v[18:19]
	scratch_load_b128 v[12:15], off, off offset:528
	v_add_f64_e32 v[150:151], v[150:151], v[152:153]
	v_add_f64_e32 v[160:161], v[140:141], v[138:139]
	ds_load_b128 v[138:141], v2 offset:1024
	s_wait_loadcnt_dscnt 0xb01
	v_mul_f64_e32 v[152:153], v[4:5], v[22:23]
	v_mul_f64_e32 v[22:23], v[6:7], v[22:23]
	v_fmac_f64_e32 v[154:155], v[148:149], v[16:17]
	v_fma_f64 v[146:147], v[146:147], v[16:17], -v[18:19]
	scratch_load_b128 v[16:19], off, off offset:544
	v_add_f64_e32 v[150:151], v[150:151], v[156:157]
	v_add_f64_e32 v[148:149], v[160:161], v[158:159]
	v_fmac_f64_e32 v[152:153], v[6:7], v[20:21]
	v_fma_f64 v[158:159], v[4:5], v[20:21], -v[22:23]
	ds_load_b128 v[4:7], v2 offset:1040
	s_wait_loadcnt_dscnt 0xb01
	v_mul_f64_e32 v[156:157], v[138:139], v[108:109]
	v_mul_f64_e32 v[108:109], v[140:141], v[108:109]
	scratch_load_b128 v[20:23], off, off offset:560
	v_add_f64_e32 v[150:151], v[150:151], v[154:155]
	s_wait_loadcnt_dscnt 0xb00
	v_mul_f64_e32 v[154:155], v[4:5], v[112:113]
	v_add_f64_e32 v[160:161], v[148:149], v[146:147]
	v_mul_f64_e32 v[112:113], v[6:7], v[112:113]
	ds_load_b128 v[146:149], v2 offset:1056
	v_fmac_f64_e32 v[156:157], v[140:141], v[106:107]
	v_fma_f64 v[138:139], v[138:139], v[106:107], -v[108:109]
	scratch_load_b128 v[106:109], off, off offset:576
	v_add_f64_e32 v[150:151], v[150:151], v[152:153]
	v_fmac_f64_e32 v[154:155], v[6:7], v[110:111]
	v_add_f64_e32 v[140:141], v[160:161], v[158:159]
	v_fma_f64 v[158:159], v[4:5], v[110:111], -v[112:113]
	ds_load_b128 v[4:7], v2 offset:1072
	s_wait_loadcnt_dscnt 0xb01
	v_mul_f64_e32 v[152:153], v[146:147], v[116:117]
	v_mul_f64_e32 v[116:117], v[148:149], v[116:117]
	scratch_load_b128 v[110:113], off, off offset:592
	v_add_f64_e32 v[150:151], v[150:151], v[156:157]
	s_wait_loadcnt_dscnt 0xb00
	v_mul_f64_e32 v[156:157], v[4:5], v[120:121]
	v_add_f64_e32 v[160:161], v[140:141], v[138:139]
	v_mul_f64_e32 v[120:121], v[6:7], v[120:121]
	ds_load_b128 v[138:141], v2 offset:1088
	v_fmac_f64_e32 v[152:153], v[148:149], v[114:115]
	v_fma_f64 v[146:147], v[146:147], v[114:115], -v[116:117]
	scratch_load_b128 v[114:117], off, off offset:608
	v_add_f64_e32 v[150:151], v[150:151], v[154:155]
	v_fmac_f64_e32 v[156:157], v[6:7], v[118:119]
	v_add_f64_e32 v[148:149], v[160:161], v[158:159]
	v_fma_f64 v[158:159], v[4:5], v[118:119], -v[120:121]
	ds_load_b128 v[4:7], v2 offset:1104
	s_wait_loadcnt_dscnt 0xb01
	v_mul_f64_e32 v[154:155], v[138:139], v[124:125]
	v_mul_f64_e32 v[124:125], v[140:141], v[124:125]
	scratch_load_b128 v[118:121], off, off offset:624
	v_add_f64_e32 v[150:151], v[150:151], v[152:153]
	s_wait_loadcnt_dscnt 0xb00
	v_mul_f64_e32 v[152:153], v[4:5], v[132:133]
	v_add_f64_e32 v[160:161], v[148:149], v[146:147]
	v_mul_f64_e32 v[132:133], v[6:7], v[132:133]
	ds_load_b128 v[146:149], v2 offset:1120
	v_fmac_f64_e32 v[154:155], v[140:141], v[122:123]
	v_fma_f64 v[122:123], v[138:139], v[122:123], -v[124:125]
	s_wait_loadcnt_dscnt 0x900
	v_mul_f64_e32 v[140:141], v[146:147], v[144:145]
	v_mul_f64_e32 v[144:145], v[148:149], v[144:145]
	v_add_f64_e32 v[138:139], v[150:151], v[156:157]
	v_fmac_f64_e32 v[152:153], v[6:7], v[130:131]
	v_add_f64_e32 v[124:125], v[160:161], v[158:159]
	v_fma_f64 v[130:131], v[4:5], v[130:131], -v[132:133]
	v_fmac_f64_e32 v[140:141], v[148:149], v[142:143]
	v_fma_f64 v[142:143], v[146:147], v[142:143], -v[144:145]
	v_add_f64_e32 v[138:139], v[138:139], v[154:155]
	v_add_f64_e32 v[132:133], v[124:125], v[122:123]
	ds_load_b128 v[4:7], v2 offset:1136
	ds_load_b128 v[122:125], v2 offset:1152
	s_wait_loadcnt_dscnt 0x801
	v_mul_f64_e32 v[150:151], v[4:5], v[128:129]
	v_mul_f64_e32 v[128:129], v[6:7], v[128:129]
	v_add_f64_e32 v[130:131], v[132:133], v[130:131]
	v_add_f64_e32 v[132:133], v[138:139], v[152:153]
	s_wait_loadcnt_dscnt 0x700
	v_mul_f64_e32 v[138:139], v[122:123], v[10:11]
	v_mul_f64_e32 v[10:11], v[124:125], v[10:11]
	v_fmac_f64_e32 v[150:151], v[6:7], v[126:127]
	v_fma_f64 v[144:145], v[4:5], v[126:127], -v[128:129]
	ds_load_b128 v[4:7], v2 offset:1168
	ds_load_b128 v[126:129], v2 offset:1184
	v_add_f64_e32 v[130:131], v[130:131], v[142:143]
	v_add_f64_e32 v[132:133], v[132:133], v[140:141]
	v_fmac_f64_e32 v[138:139], v[124:125], v[8:9]
	v_fma_f64 v[8:9], v[122:123], v[8:9], -v[10:11]
	s_wait_loadcnt_dscnt 0x601
	v_mul_f64_e32 v[140:141], v[4:5], v[14:15]
	v_mul_f64_e32 v[14:15], v[6:7], v[14:15]
	s_wait_loadcnt_dscnt 0x500
	v_mul_f64_e32 v[124:125], v[126:127], v[18:19]
	v_mul_f64_e32 v[18:19], v[128:129], v[18:19]
	v_add_f64_e32 v[10:11], v[130:131], v[144:145]
	v_add_f64_e32 v[122:123], v[132:133], v[150:151]
	v_fmac_f64_e32 v[140:141], v[6:7], v[12:13]
	v_fma_f64 v[12:13], v[4:5], v[12:13], -v[14:15]
	v_fmac_f64_e32 v[124:125], v[128:129], v[16:17]
	v_fma_f64 v[16:17], v[126:127], v[16:17], -v[18:19]
	v_add_f64_e32 v[14:15], v[10:11], v[8:9]
	v_add_f64_e32 v[122:123], v[122:123], v[138:139]
	ds_load_b128 v[4:7], v2 offset:1200
	ds_load_b128 v[8:11], v2 offset:1216
	s_wait_loadcnt_dscnt 0x401
	v_mul_f64_e32 v[130:131], v[4:5], v[22:23]
	v_mul_f64_e32 v[22:23], v[6:7], v[22:23]
	s_wait_loadcnt_dscnt 0x300
	v_mul_f64_e32 v[18:19], v[8:9], v[108:109]
	v_mul_f64_e32 v[108:109], v[10:11], v[108:109]
	v_add_f64_e32 v[12:13], v[14:15], v[12:13]
	v_add_f64_e32 v[14:15], v[122:123], v[140:141]
	v_fmac_f64_e32 v[130:131], v[6:7], v[20:21]
	v_fma_f64 v[20:21], v[4:5], v[20:21], -v[22:23]
	v_fmac_f64_e32 v[18:19], v[10:11], v[106:107]
	v_fma_f64 v[8:9], v[8:9], v[106:107], -v[108:109]
	v_add_f64_e32 v[16:17], v[12:13], v[16:17]
	v_add_f64_e32 v[22:23], v[14:15], v[124:125]
	ds_load_b128 v[4:7], v2 offset:1232
	ds_load_b128 v[12:15], v2 offset:1248
	s_wait_loadcnt_dscnt 0x201
	v_mul_f64_e32 v[122:123], v[4:5], v[112:113]
	v_mul_f64_e32 v[112:113], v[6:7], v[112:113]
	v_add_f64_e32 v[10:11], v[16:17], v[20:21]
	v_add_f64_e32 v[16:17], v[22:23], v[130:131]
	s_wait_loadcnt_dscnt 0x100
	v_mul_f64_e32 v[20:21], v[12:13], v[116:117]
	v_mul_f64_e32 v[22:23], v[14:15], v[116:117]
	v_fmac_f64_e32 v[122:123], v[6:7], v[110:111]
	v_fma_f64 v[106:107], v[4:5], v[110:111], -v[112:113]
	ds_load_b128 v[4:7], v2 offset:1264
	v_add_f64_e32 v[8:9], v[10:11], v[8:9]
	v_add_f64_e32 v[10:11], v[16:17], v[18:19]
	v_fmac_f64_e32 v[20:21], v[14:15], v[114:115]
	v_fma_f64 v[12:13], v[12:13], v[114:115], -v[22:23]
	s_wait_loadcnt_dscnt 0x0
	v_mul_f64_e32 v[16:17], v[4:5], v[120:121]
	v_mul_f64_e32 v[18:19], v[6:7], v[120:121]
	v_add_f64_e32 v[8:9], v[8:9], v[106:107]
	v_add_f64_e32 v[10:11], v[10:11], v[122:123]
	s_delay_alu instid0(VALU_DEP_4) | instskip(NEXT) | instid1(VALU_DEP_4)
	v_fmac_f64_e32 v[16:17], v[6:7], v[118:119]
	v_fma_f64 v[4:5], v[4:5], v[118:119], -v[18:19]
	s_delay_alu instid0(VALU_DEP_4) | instskip(NEXT) | instid1(VALU_DEP_4)
	v_add_f64_e32 v[6:7], v[8:9], v[12:13]
	v_add_f64_e32 v[8:9], v[10:11], v[20:21]
	s_delay_alu instid0(VALU_DEP_2) | instskip(NEXT) | instid1(VALU_DEP_2)
	v_add_f64_e32 v[4:5], v[6:7], v[4:5]
	v_add_f64_e32 v[6:7], v[8:9], v[16:17]
	s_delay_alu instid0(VALU_DEP_2) | instskip(NEXT) | instid1(VALU_DEP_2)
	v_add_f64_e64 v[4:5], v[134:135], -v[4:5]
	v_add_f64_e64 v[6:7], v[136:137], -v[6:7]
	scratch_store_b128 off, v[4:7], off offset:288
	s_wait_xcnt 0x0
	v_cmpx_lt_u32_e32 17, v1
	s_cbranch_execz .LBB39_219
; %bb.218:
	scratch_load_b128 v[6:9], off, s20
	v_dual_mov_b32 v3, v2 :: v_dual_mov_b32 v4, v2
	v_mov_b32_e32 v5, v2
	scratch_store_b128 off, v[2:5], off offset:272
	s_wait_loadcnt 0x0
	ds_store_b128 v104, v[6:9]
.LBB39_219:
	s_wait_xcnt 0x0
	s_or_b32 exec_lo, exec_lo, s2
	s_wait_storecnt_dscnt 0x0
	s_barrier_signal -1
	s_barrier_wait -1
	s_clause 0x9
	scratch_load_b128 v[4:7], off, off offset:288
	scratch_load_b128 v[8:11], off, off offset:304
	;; [unrolled: 1-line block ×10, first 2 shown]
	ds_load_b128 v[126:129], v2 offset:928
	ds_load_b128 v[134:137], v2 offset:944
	s_clause 0x2
	scratch_load_b128 v[130:133], off, off offset:448
	scratch_load_b128 v[138:141], off, off offset:272
	;; [unrolled: 1-line block ×3, first 2 shown]
	s_mov_b32 s2, exec_lo
	s_wait_loadcnt_dscnt 0xc01
	v_mul_f64_e32 v[146:147], v[128:129], v[6:7]
	v_mul_f64_e32 v[150:151], v[126:127], v[6:7]
	s_wait_loadcnt_dscnt 0xb00
	v_mul_f64_e32 v[152:153], v[134:135], v[10:11]
	v_mul_f64_e32 v[10:11], v[136:137], v[10:11]
	s_delay_alu instid0(VALU_DEP_4) | instskip(NEXT) | instid1(VALU_DEP_4)
	v_fma_f64 v[154:155], v[126:127], v[4:5], -v[146:147]
	v_fmac_f64_e32 v[150:151], v[128:129], v[4:5]
	ds_load_b128 v[4:7], v2 offset:960
	ds_load_b128 v[126:129], v2 offset:976
	scratch_load_b128 v[146:149], off, off offset:480
	v_fmac_f64_e32 v[152:153], v[136:137], v[8:9]
	v_fma_f64 v[134:135], v[134:135], v[8:9], -v[10:11]
	scratch_load_b128 v[8:11], off, off offset:496
	s_wait_loadcnt_dscnt 0xc01
	v_mul_f64_e32 v[156:157], v[4:5], v[14:15]
	v_mul_f64_e32 v[14:15], v[6:7], v[14:15]
	v_add_f64_e32 v[136:137], 0, v[154:155]
	v_add_f64_e32 v[150:151], 0, v[150:151]
	s_wait_loadcnt_dscnt 0xb00
	v_mul_f64_e32 v[154:155], v[126:127], v[18:19]
	v_mul_f64_e32 v[18:19], v[128:129], v[18:19]
	v_fmac_f64_e32 v[156:157], v[6:7], v[12:13]
	v_fma_f64 v[158:159], v[4:5], v[12:13], -v[14:15]
	ds_load_b128 v[4:7], v2 offset:992
	ds_load_b128 v[12:15], v2 offset:1008
	v_add_f64_e32 v[160:161], v[136:137], v[134:135]
	v_add_f64_e32 v[150:151], v[150:151], v[152:153]
	scratch_load_b128 v[134:137], off, off offset:512
	v_fmac_f64_e32 v[154:155], v[128:129], v[16:17]
	v_fma_f64 v[126:127], v[126:127], v[16:17], -v[18:19]
	scratch_load_b128 v[16:19], off, off offset:528
	s_wait_loadcnt_dscnt 0xc01
	v_mul_f64_e32 v[152:153], v[4:5], v[22:23]
	v_mul_f64_e32 v[22:23], v[6:7], v[22:23]
	v_add_f64_e32 v[128:129], v[160:161], v[158:159]
	v_add_f64_e32 v[150:151], v[150:151], v[156:157]
	s_wait_loadcnt_dscnt 0xb00
	v_mul_f64_e32 v[156:157], v[12:13], v[108:109]
	v_mul_f64_e32 v[108:109], v[14:15], v[108:109]
	v_fmac_f64_e32 v[152:153], v[6:7], v[20:21]
	v_fma_f64 v[158:159], v[4:5], v[20:21], -v[22:23]
	ds_load_b128 v[4:7], v2 offset:1024
	ds_load_b128 v[20:23], v2 offset:1040
	v_add_f64_e32 v[160:161], v[128:129], v[126:127]
	v_add_f64_e32 v[150:151], v[150:151], v[154:155]
	scratch_load_b128 v[126:129], off, off offset:544
	s_wait_loadcnt_dscnt 0xb01
	v_mul_f64_e32 v[154:155], v[4:5], v[112:113]
	v_mul_f64_e32 v[112:113], v[6:7], v[112:113]
	v_fmac_f64_e32 v[156:157], v[14:15], v[106:107]
	v_fma_f64 v[106:107], v[12:13], v[106:107], -v[108:109]
	scratch_load_b128 v[12:15], off, off offset:560
	v_add_f64_e32 v[108:109], v[160:161], v[158:159]
	v_add_f64_e32 v[150:151], v[150:151], v[152:153]
	s_wait_loadcnt_dscnt 0xb00
	v_mul_f64_e32 v[152:153], v[20:21], v[116:117]
	v_mul_f64_e32 v[116:117], v[22:23], v[116:117]
	v_fmac_f64_e32 v[154:155], v[6:7], v[110:111]
	v_fma_f64 v[158:159], v[4:5], v[110:111], -v[112:113]
	v_add_f64_e32 v[160:161], v[108:109], v[106:107]
	v_add_f64_e32 v[150:151], v[150:151], v[156:157]
	ds_load_b128 v[4:7], v2 offset:1056
	ds_load_b128 v[106:109], v2 offset:1072
	scratch_load_b128 v[110:113], off, off offset:576
	v_fmac_f64_e32 v[152:153], v[22:23], v[114:115]
	v_fma_f64 v[114:115], v[20:21], v[114:115], -v[116:117]
	scratch_load_b128 v[20:23], off, off offset:592
	s_wait_loadcnt_dscnt 0xc01
	v_mul_f64_e32 v[156:157], v[4:5], v[120:121]
	v_mul_f64_e32 v[120:121], v[6:7], v[120:121]
	v_add_f64_e32 v[116:117], v[160:161], v[158:159]
	v_add_f64_e32 v[150:151], v[150:151], v[154:155]
	s_wait_loadcnt_dscnt 0xb00
	v_mul_f64_e32 v[154:155], v[106:107], v[124:125]
	v_mul_f64_e32 v[124:125], v[108:109], v[124:125]
	v_fmac_f64_e32 v[156:157], v[6:7], v[118:119]
	v_fma_f64 v[158:159], v[4:5], v[118:119], -v[120:121]
	v_add_f64_e32 v[160:161], v[116:117], v[114:115]
	v_add_f64_e32 v[150:151], v[150:151], v[152:153]
	ds_load_b128 v[4:7], v2 offset:1088
	ds_load_b128 v[114:117], v2 offset:1104
	scratch_load_b128 v[118:121], off, off offset:608
	v_fmac_f64_e32 v[154:155], v[108:109], v[122:123]
	v_fma_f64 v[122:123], v[106:107], v[122:123], -v[124:125]
	scratch_load_b128 v[106:109], off, off offset:624
	s_wait_loadcnt_dscnt 0xc01
	v_mul_f64_e32 v[152:153], v[4:5], v[132:133]
	v_mul_f64_e32 v[132:133], v[6:7], v[132:133]
	v_add_f64_e32 v[124:125], v[160:161], v[158:159]
	v_add_f64_e32 v[150:151], v[150:151], v[156:157]
	s_wait_loadcnt_dscnt 0xa00
	v_mul_f64_e32 v[156:157], v[114:115], v[144:145]
	v_mul_f64_e32 v[144:145], v[116:117], v[144:145]
	v_fmac_f64_e32 v[152:153], v[6:7], v[130:131]
	v_fma_f64 v[130:131], v[4:5], v[130:131], -v[132:133]
	v_add_f64_e32 v[132:133], v[124:125], v[122:123]
	v_add_f64_e32 v[150:151], v[150:151], v[154:155]
	ds_load_b128 v[4:7], v2 offset:1120
	ds_load_b128 v[122:125], v2 offset:1136
	v_fmac_f64_e32 v[156:157], v[116:117], v[142:143]
	v_fma_f64 v[114:115], v[114:115], v[142:143], -v[144:145]
	s_wait_loadcnt_dscnt 0x901
	v_mul_f64_e32 v[154:155], v[4:5], v[148:149]
	v_mul_f64_e32 v[148:149], v[6:7], v[148:149]
	v_add_f64_e32 v[116:117], v[132:133], v[130:131]
	v_add_f64_e32 v[130:131], v[150:151], v[152:153]
	s_wait_loadcnt_dscnt 0x800
	v_mul_f64_e32 v[132:133], v[122:123], v[10:11]
	v_mul_f64_e32 v[10:11], v[124:125], v[10:11]
	v_fmac_f64_e32 v[154:155], v[6:7], v[146:147]
	v_fma_f64 v[142:143], v[4:5], v[146:147], -v[148:149]
	v_add_f64_e32 v[144:145], v[116:117], v[114:115]
	v_add_f64_e32 v[130:131], v[130:131], v[156:157]
	ds_load_b128 v[4:7], v2 offset:1152
	ds_load_b128 v[114:117], v2 offset:1168
	v_fmac_f64_e32 v[132:133], v[124:125], v[8:9]
	v_fma_f64 v[8:9], v[122:123], v[8:9], -v[10:11]
	s_wait_loadcnt_dscnt 0x701
	v_mul_f64_e32 v[146:147], v[4:5], v[136:137]
	v_mul_f64_e32 v[136:137], v[6:7], v[136:137]
	s_wait_loadcnt_dscnt 0x600
	v_mul_f64_e32 v[124:125], v[114:115], v[18:19]
	v_mul_f64_e32 v[18:19], v[116:117], v[18:19]
	v_add_f64_e32 v[10:11], v[144:145], v[142:143]
	v_add_f64_e32 v[122:123], v[130:131], v[154:155]
	v_fmac_f64_e32 v[146:147], v[6:7], v[134:135]
	v_fma_f64 v[130:131], v[4:5], v[134:135], -v[136:137]
	v_fmac_f64_e32 v[124:125], v[116:117], v[16:17]
	v_fma_f64 v[16:17], v[114:115], v[16:17], -v[18:19]
	v_add_f64_e32 v[134:135], v[10:11], v[8:9]
	v_add_f64_e32 v[122:123], v[122:123], v[132:133]
	ds_load_b128 v[4:7], v2 offset:1184
	ds_load_b128 v[8:11], v2 offset:1200
	s_wait_loadcnt_dscnt 0x501
	v_mul_f64_e32 v[132:133], v[4:5], v[128:129]
	v_mul_f64_e32 v[128:129], v[6:7], v[128:129]
	s_wait_loadcnt_dscnt 0x400
	v_mul_f64_e32 v[116:117], v[8:9], v[14:15]
	v_add_f64_e32 v[18:19], v[134:135], v[130:131]
	v_add_f64_e32 v[114:115], v[122:123], v[146:147]
	v_mul_f64_e32 v[122:123], v[10:11], v[14:15]
	v_fmac_f64_e32 v[132:133], v[6:7], v[126:127]
	v_fma_f64 v[126:127], v[4:5], v[126:127], -v[128:129]
	v_fmac_f64_e32 v[116:117], v[10:11], v[12:13]
	v_add_f64_e32 v[18:19], v[18:19], v[16:17]
	v_add_f64_e32 v[114:115], v[114:115], v[124:125]
	ds_load_b128 v[4:7], v2 offset:1216
	ds_load_b128 v[14:17], v2 offset:1232
	v_fma_f64 v[8:9], v[8:9], v[12:13], -v[122:123]
	s_wait_loadcnt_dscnt 0x301
	v_mul_f64_e32 v[124:125], v[4:5], v[112:113]
	v_mul_f64_e32 v[112:113], v[6:7], v[112:113]
	v_add_f64_e32 v[10:11], v[18:19], v[126:127]
	v_add_f64_e32 v[12:13], v[114:115], v[132:133]
	s_wait_loadcnt_dscnt 0x200
	v_mul_f64_e32 v[18:19], v[14:15], v[22:23]
	v_mul_f64_e32 v[22:23], v[16:17], v[22:23]
	v_fmac_f64_e32 v[124:125], v[6:7], v[110:111]
	v_fma_f64 v[110:111], v[4:5], v[110:111], -v[112:113]
	v_add_f64_e32 v[112:113], v[10:11], v[8:9]
	v_add_f64_e32 v[12:13], v[12:13], v[116:117]
	ds_load_b128 v[4:7], v2 offset:1248
	ds_load_b128 v[8:11], v2 offset:1264
	v_fmac_f64_e32 v[18:19], v[16:17], v[20:21]
	v_fma_f64 v[14:15], v[14:15], v[20:21], -v[22:23]
	s_wait_loadcnt_dscnt 0x101
	v_mul_f64_e32 v[2:3], v[4:5], v[120:121]
	v_mul_f64_e32 v[114:115], v[6:7], v[120:121]
	s_wait_loadcnt_dscnt 0x0
	v_mul_f64_e32 v[20:21], v[8:9], v[108:109]
	v_mul_f64_e32 v[22:23], v[10:11], v[108:109]
	v_add_f64_e32 v[16:17], v[112:113], v[110:111]
	v_add_f64_e32 v[12:13], v[12:13], v[124:125]
	v_fmac_f64_e32 v[2:3], v[6:7], v[118:119]
	v_fma_f64 v[4:5], v[4:5], v[118:119], -v[114:115]
	v_fmac_f64_e32 v[20:21], v[10:11], v[106:107]
	v_fma_f64 v[8:9], v[8:9], v[106:107], -v[22:23]
	v_add_f64_e32 v[6:7], v[16:17], v[14:15]
	v_add_f64_e32 v[12:13], v[12:13], v[18:19]
	s_delay_alu instid0(VALU_DEP_2) | instskip(NEXT) | instid1(VALU_DEP_2)
	v_add_f64_e32 v[4:5], v[6:7], v[4:5]
	v_add_f64_e32 v[2:3], v[12:13], v[2:3]
	s_delay_alu instid0(VALU_DEP_2) | instskip(NEXT) | instid1(VALU_DEP_2)
	;; [unrolled: 3-line block ×3, first 2 shown]
	v_add_f64_e64 v[2:3], v[138:139], -v[4:5]
	v_add_f64_e64 v[4:5], v[140:141], -v[6:7]
	scratch_store_b128 off, v[2:5], off offset:272
	s_wait_xcnt 0x0
	v_cmpx_lt_u32_e32 16, v1
	s_cbranch_execz .LBB39_221
; %bb.220:
	scratch_load_b128 v[2:5], off, s13
	v_mov_b32_e32 v6, 0
	s_delay_alu instid0(VALU_DEP_1)
	v_dual_mov_b32 v7, v6 :: v_dual_mov_b32 v8, v6
	v_mov_b32_e32 v9, v6
	scratch_store_b128 off, v[6:9], off offset:256
	s_wait_loadcnt 0x0
	ds_store_b128 v104, v[2:5]
.LBB39_221:
	s_wait_xcnt 0x0
	s_or_b32 exec_lo, exec_lo, s2
	s_wait_storecnt_dscnt 0x0
	s_barrier_signal -1
	s_barrier_wait -1
	s_clause 0x9
	scratch_load_b128 v[4:7], off, off offset:272
	scratch_load_b128 v[8:11], off, off offset:288
	;; [unrolled: 1-line block ×10, first 2 shown]
	v_mov_b32_e32 v2, 0
	s_mov_b32 s2, exec_lo
	ds_load_b128 v[126:129], v2 offset:912
	s_clause 0x2
	scratch_load_b128 v[130:133], off, off offset:432
	scratch_load_b128 v[134:137], off, off offset:256
	;; [unrolled: 1-line block ×3, first 2 shown]
	s_wait_loadcnt_dscnt 0xc00
	v_mul_f64_e32 v[146:147], v[128:129], v[6:7]
	v_mul_f64_e32 v[150:151], v[126:127], v[6:7]
	ds_load_b128 v[138:141], v2 offset:928
	v_fma_f64 v[154:155], v[126:127], v[4:5], -v[146:147]
	v_fmac_f64_e32 v[150:151], v[128:129], v[4:5]
	ds_load_b128 v[4:7], v2 offset:944
	s_wait_loadcnt_dscnt 0xb01
	v_mul_f64_e32 v[152:153], v[138:139], v[10:11]
	v_mul_f64_e32 v[10:11], v[140:141], v[10:11]
	scratch_load_b128 v[126:129], off, off offset:464
	ds_load_b128 v[146:149], v2 offset:960
	s_wait_loadcnt_dscnt 0xb01
	v_mul_f64_e32 v[156:157], v[4:5], v[14:15]
	v_mul_f64_e32 v[14:15], v[6:7], v[14:15]
	v_add_f64_e32 v[150:151], 0, v[150:151]
	v_fmac_f64_e32 v[152:153], v[140:141], v[8:9]
	v_fma_f64 v[138:139], v[138:139], v[8:9], -v[10:11]
	v_add_f64_e32 v[140:141], 0, v[154:155]
	scratch_load_b128 v[8:11], off, off offset:480
	v_fmac_f64_e32 v[156:157], v[6:7], v[12:13]
	v_fma_f64 v[158:159], v[4:5], v[12:13], -v[14:15]
	ds_load_b128 v[4:7], v2 offset:976
	s_wait_loadcnt_dscnt 0xb01
	v_mul_f64_e32 v[154:155], v[146:147], v[18:19]
	v_mul_f64_e32 v[18:19], v[148:149], v[18:19]
	scratch_load_b128 v[12:15], off, off offset:496
	v_add_f64_e32 v[150:151], v[150:151], v[152:153]
	v_add_f64_e32 v[160:161], v[140:141], v[138:139]
	ds_load_b128 v[138:141], v2 offset:992
	s_wait_loadcnt_dscnt 0xb01
	v_mul_f64_e32 v[152:153], v[4:5], v[22:23]
	v_mul_f64_e32 v[22:23], v[6:7], v[22:23]
	v_fmac_f64_e32 v[154:155], v[148:149], v[16:17]
	v_fma_f64 v[146:147], v[146:147], v[16:17], -v[18:19]
	scratch_load_b128 v[16:19], off, off offset:512
	v_add_f64_e32 v[150:151], v[150:151], v[156:157]
	v_add_f64_e32 v[148:149], v[160:161], v[158:159]
	v_fmac_f64_e32 v[152:153], v[6:7], v[20:21]
	v_fma_f64 v[158:159], v[4:5], v[20:21], -v[22:23]
	ds_load_b128 v[4:7], v2 offset:1008
	s_wait_loadcnt_dscnt 0xb01
	v_mul_f64_e32 v[156:157], v[138:139], v[108:109]
	v_mul_f64_e32 v[108:109], v[140:141], v[108:109]
	scratch_load_b128 v[20:23], off, off offset:528
	v_add_f64_e32 v[150:151], v[150:151], v[154:155]
	s_wait_loadcnt_dscnt 0xb00
	v_mul_f64_e32 v[154:155], v[4:5], v[112:113]
	v_add_f64_e32 v[160:161], v[148:149], v[146:147]
	v_mul_f64_e32 v[112:113], v[6:7], v[112:113]
	ds_load_b128 v[146:149], v2 offset:1024
	v_fmac_f64_e32 v[156:157], v[140:141], v[106:107]
	v_fma_f64 v[138:139], v[138:139], v[106:107], -v[108:109]
	scratch_load_b128 v[106:109], off, off offset:544
	v_add_f64_e32 v[150:151], v[150:151], v[152:153]
	v_fmac_f64_e32 v[154:155], v[6:7], v[110:111]
	v_add_f64_e32 v[140:141], v[160:161], v[158:159]
	v_fma_f64 v[158:159], v[4:5], v[110:111], -v[112:113]
	ds_load_b128 v[4:7], v2 offset:1040
	s_wait_loadcnt_dscnt 0xb01
	v_mul_f64_e32 v[152:153], v[146:147], v[116:117]
	v_mul_f64_e32 v[116:117], v[148:149], v[116:117]
	scratch_load_b128 v[110:113], off, off offset:560
	v_add_f64_e32 v[150:151], v[150:151], v[156:157]
	s_wait_loadcnt_dscnt 0xb00
	v_mul_f64_e32 v[156:157], v[4:5], v[120:121]
	v_add_f64_e32 v[160:161], v[140:141], v[138:139]
	v_mul_f64_e32 v[120:121], v[6:7], v[120:121]
	ds_load_b128 v[138:141], v2 offset:1056
	v_fmac_f64_e32 v[152:153], v[148:149], v[114:115]
	v_fma_f64 v[146:147], v[146:147], v[114:115], -v[116:117]
	scratch_load_b128 v[114:117], off, off offset:576
	v_add_f64_e32 v[150:151], v[150:151], v[154:155]
	v_fmac_f64_e32 v[156:157], v[6:7], v[118:119]
	v_add_f64_e32 v[148:149], v[160:161], v[158:159]
	;; [unrolled: 18-line block ×3, first 2 shown]
	v_fma_f64 v[158:159], v[4:5], v[130:131], -v[132:133]
	ds_load_b128 v[4:7], v2 offset:1104
	s_wait_loadcnt_dscnt 0xa01
	v_mul_f64_e32 v[156:157], v[146:147], v[144:145]
	v_mul_f64_e32 v[144:145], v[148:149], v[144:145]
	scratch_load_b128 v[130:133], off, off offset:624
	v_add_f64_e32 v[150:151], v[150:151], v[154:155]
	v_add_f64_e32 v[160:161], v[140:141], v[138:139]
	s_wait_loadcnt_dscnt 0xa00
	v_mul_f64_e32 v[154:155], v[4:5], v[128:129]
	v_mul_f64_e32 v[128:129], v[6:7], v[128:129]
	v_fmac_f64_e32 v[156:157], v[148:149], v[142:143]
	v_fma_f64 v[142:143], v[146:147], v[142:143], -v[144:145]
	ds_load_b128 v[138:141], v2 offset:1120
	v_add_f64_e32 v[146:147], v[150:151], v[152:153]
	v_add_f64_e32 v[144:145], v[160:161], v[158:159]
	s_wait_loadcnt_dscnt 0x900
	v_mul_f64_e32 v[148:149], v[138:139], v[10:11]
	v_mul_f64_e32 v[10:11], v[140:141], v[10:11]
	v_fmac_f64_e32 v[154:155], v[6:7], v[126:127]
	v_fma_f64 v[150:151], v[4:5], v[126:127], -v[128:129]
	ds_load_b128 v[4:7], v2 offset:1136
	ds_load_b128 v[126:129], v2 offset:1152
	v_add_f64_e32 v[142:143], v[144:145], v[142:143]
	v_add_f64_e32 v[144:145], v[146:147], v[156:157]
	s_wait_loadcnt_dscnt 0x801
	v_mul_f64_e32 v[146:147], v[4:5], v[14:15]
	v_mul_f64_e32 v[14:15], v[6:7], v[14:15]
	v_fmac_f64_e32 v[148:149], v[140:141], v[8:9]
	v_fma_f64 v[8:9], v[138:139], v[8:9], -v[10:11]
	s_wait_loadcnt_dscnt 0x700
	v_mul_f64_e32 v[140:141], v[126:127], v[18:19]
	v_mul_f64_e32 v[18:19], v[128:129], v[18:19]
	v_add_f64_e32 v[10:11], v[142:143], v[150:151]
	v_add_f64_e32 v[138:139], v[144:145], v[154:155]
	v_fmac_f64_e32 v[146:147], v[6:7], v[12:13]
	v_fma_f64 v[12:13], v[4:5], v[12:13], -v[14:15]
	v_fmac_f64_e32 v[140:141], v[128:129], v[16:17]
	v_fma_f64 v[16:17], v[126:127], v[16:17], -v[18:19]
	v_add_f64_e32 v[14:15], v[10:11], v[8:9]
	v_add_f64_e32 v[138:139], v[138:139], v[148:149]
	ds_load_b128 v[4:7], v2 offset:1168
	ds_load_b128 v[8:11], v2 offset:1184
	s_wait_loadcnt_dscnt 0x601
	v_mul_f64_e32 v[142:143], v[4:5], v[22:23]
	v_mul_f64_e32 v[22:23], v[6:7], v[22:23]
	s_wait_loadcnt_dscnt 0x500
	v_mul_f64_e32 v[18:19], v[8:9], v[108:109]
	v_mul_f64_e32 v[108:109], v[10:11], v[108:109]
	v_add_f64_e32 v[12:13], v[14:15], v[12:13]
	v_add_f64_e32 v[14:15], v[138:139], v[146:147]
	v_fmac_f64_e32 v[142:143], v[6:7], v[20:21]
	v_fma_f64 v[20:21], v[4:5], v[20:21], -v[22:23]
	v_fmac_f64_e32 v[18:19], v[10:11], v[106:107]
	v_fma_f64 v[8:9], v[8:9], v[106:107], -v[108:109]
	v_add_f64_e32 v[16:17], v[12:13], v[16:17]
	v_add_f64_e32 v[22:23], v[14:15], v[140:141]
	ds_load_b128 v[4:7], v2 offset:1200
	ds_load_b128 v[12:15], v2 offset:1216
	s_wait_loadcnt_dscnt 0x401
	v_mul_f64_e32 v[126:127], v[4:5], v[112:113]
	v_mul_f64_e32 v[112:113], v[6:7], v[112:113]
	v_add_f64_e32 v[10:11], v[16:17], v[20:21]
	v_add_f64_e32 v[16:17], v[22:23], v[142:143]
	s_wait_loadcnt_dscnt 0x300
	v_mul_f64_e32 v[20:21], v[12:13], v[116:117]
	v_mul_f64_e32 v[22:23], v[14:15], v[116:117]
	v_fmac_f64_e32 v[126:127], v[6:7], v[110:111]
	v_fma_f64 v[106:107], v[4:5], v[110:111], -v[112:113]
	v_add_f64_e32 v[108:109], v[10:11], v[8:9]
	v_add_f64_e32 v[16:17], v[16:17], v[18:19]
	ds_load_b128 v[4:7], v2 offset:1232
	ds_load_b128 v[8:11], v2 offset:1248
	v_fmac_f64_e32 v[20:21], v[14:15], v[114:115]
	v_fma_f64 v[12:13], v[12:13], v[114:115], -v[22:23]
	s_wait_loadcnt_dscnt 0x201
	v_mul_f64_e32 v[18:19], v[4:5], v[120:121]
	v_mul_f64_e32 v[110:111], v[6:7], v[120:121]
	s_wait_loadcnt_dscnt 0x100
	v_mul_f64_e32 v[22:23], v[8:9], v[124:125]
	v_add_f64_e32 v[14:15], v[108:109], v[106:107]
	v_add_f64_e32 v[16:17], v[16:17], v[126:127]
	v_mul_f64_e32 v[106:107], v[10:11], v[124:125]
	v_fmac_f64_e32 v[18:19], v[6:7], v[118:119]
	v_fma_f64 v[108:109], v[4:5], v[118:119], -v[110:111]
	ds_load_b128 v[4:7], v2 offset:1264
	v_fmac_f64_e32 v[22:23], v[10:11], v[122:123]
	v_add_f64_e32 v[12:13], v[14:15], v[12:13]
	v_add_f64_e32 v[14:15], v[16:17], v[20:21]
	v_fma_f64 v[8:9], v[8:9], v[122:123], -v[106:107]
	s_wait_loadcnt_dscnt 0x0
	v_mul_f64_e32 v[16:17], v[4:5], v[132:133]
	v_mul_f64_e32 v[20:21], v[6:7], v[132:133]
	v_add_f64_e32 v[10:11], v[12:13], v[108:109]
	v_add_f64_e32 v[12:13], v[14:15], v[18:19]
	s_delay_alu instid0(VALU_DEP_4) | instskip(NEXT) | instid1(VALU_DEP_4)
	v_fmac_f64_e32 v[16:17], v[6:7], v[130:131]
	v_fma_f64 v[4:5], v[4:5], v[130:131], -v[20:21]
	s_delay_alu instid0(VALU_DEP_4) | instskip(NEXT) | instid1(VALU_DEP_4)
	v_add_f64_e32 v[6:7], v[10:11], v[8:9]
	v_add_f64_e32 v[8:9], v[12:13], v[22:23]
	s_delay_alu instid0(VALU_DEP_2) | instskip(NEXT) | instid1(VALU_DEP_2)
	v_add_f64_e32 v[4:5], v[6:7], v[4:5]
	v_add_f64_e32 v[6:7], v[8:9], v[16:17]
	s_delay_alu instid0(VALU_DEP_2) | instskip(NEXT) | instid1(VALU_DEP_2)
	v_add_f64_e64 v[4:5], v[134:135], -v[4:5]
	v_add_f64_e64 v[6:7], v[136:137], -v[6:7]
	scratch_store_b128 off, v[4:7], off offset:256
	s_wait_xcnt 0x0
	v_cmpx_lt_u32_e32 15, v1
	s_cbranch_execz .LBB39_223
; %bb.222:
	scratch_load_b128 v[6:9], off, s46
	v_dual_mov_b32 v3, v2 :: v_dual_mov_b32 v4, v2
	v_mov_b32_e32 v5, v2
	scratch_store_b128 off, v[2:5], off offset:240
	s_wait_loadcnt 0x0
	ds_store_b128 v104, v[6:9]
.LBB39_223:
	s_wait_xcnt 0x0
	s_or_b32 exec_lo, exec_lo, s2
	s_wait_storecnt_dscnt 0x0
	s_barrier_signal -1
	s_barrier_wait -1
	s_clause 0x9
	scratch_load_b128 v[4:7], off, off offset:256
	scratch_load_b128 v[8:11], off, off offset:272
	;; [unrolled: 1-line block ×10, first 2 shown]
	ds_load_b128 v[126:129], v2 offset:896
	ds_load_b128 v[134:137], v2 offset:912
	s_clause 0x2
	scratch_load_b128 v[130:133], off, off offset:416
	scratch_load_b128 v[138:141], off, off offset:240
	;; [unrolled: 1-line block ×3, first 2 shown]
	s_mov_b32 s2, exec_lo
	s_wait_loadcnt_dscnt 0xc01
	v_mul_f64_e32 v[146:147], v[128:129], v[6:7]
	v_mul_f64_e32 v[150:151], v[126:127], v[6:7]
	s_wait_loadcnt_dscnt 0xb00
	v_mul_f64_e32 v[152:153], v[134:135], v[10:11]
	v_mul_f64_e32 v[10:11], v[136:137], v[10:11]
	s_delay_alu instid0(VALU_DEP_4) | instskip(NEXT) | instid1(VALU_DEP_4)
	v_fma_f64 v[154:155], v[126:127], v[4:5], -v[146:147]
	v_fmac_f64_e32 v[150:151], v[128:129], v[4:5]
	ds_load_b128 v[4:7], v2 offset:928
	ds_load_b128 v[126:129], v2 offset:944
	scratch_load_b128 v[146:149], off, off offset:448
	v_fmac_f64_e32 v[152:153], v[136:137], v[8:9]
	v_fma_f64 v[134:135], v[134:135], v[8:9], -v[10:11]
	scratch_load_b128 v[8:11], off, off offset:464
	s_wait_loadcnt_dscnt 0xc01
	v_mul_f64_e32 v[156:157], v[4:5], v[14:15]
	v_mul_f64_e32 v[14:15], v[6:7], v[14:15]
	v_add_f64_e32 v[136:137], 0, v[154:155]
	v_add_f64_e32 v[150:151], 0, v[150:151]
	s_wait_loadcnt_dscnt 0xb00
	v_mul_f64_e32 v[154:155], v[126:127], v[18:19]
	v_mul_f64_e32 v[18:19], v[128:129], v[18:19]
	v_fmac_f64_e32 v[156:157], v[6:7], v[12:13]
	v_fma_f64 v[158:159], v[4:5], v[12:13], -v[14:15]
	ds_load_b128 v[4:7], v2 offset:960
	ds_load_b128 v[12:15], v2 offset:976
	v_add_f64_e32 v[160:161], v[136:137], v[134:135]
	v_add_f64_e32 v[150:151], v[150:151], v[152:153]
	scratch_load_b128 v[134:137], off, off offset:480
	v_fmac_f64_e32 v[154:155], v[128:129], v[16:17]
	v_fma_f64 v[126:127], v[126:127], v[16:17], -v[18:19]
	scratch_load_b128 v[16:19], off, off offset:496
	s_wait_loadcnt_dscnt 0xc01
	v_mul_f64_e32 v[152:153], v[4:5], v[22:23]
	v_mul_f64_e32 v[22:23], v[6:7], v[22:23]
	v_add_f64_e32 v[128:129], v[160:161], v[158:159]
	v_add_f64_e32 v[150:151], v[150:151], v[156:157]
	s_wait_loadcnt_dscnt 0xb00
	v_mul_f64_e32 v[156:157], v[12:13], v[108:109]
	v_mul_f64_e32 v[108:109], v[14:15], v[108:109]
	v_fmac_f64_e32 v[152:153], v[6:7], v[20:21]
	v_fma_f64 v[158:159], v[4:5], v[20:21], -v[22:23]
	ds_load_b128 v[4:7], v2 offset:992
	ds_load_b128 v[20:23], v2 offset:1008
	v_add_f64_e32 v[160:161], v[128:129], v[126:127]
	v_add_f64_e32 v[150:151], v[150:151], v[154:155]
	scratch_load_b128 v[126:129], off, off offset:512
	s_wait_loadcnt_dscnt 0xb01
	v_mul_f64_e32 v[154:155], v[4:5], v[112:113]
	v_mul_f64_e32 v[112:113], v[6:7], v[112:113]
	v_fmac_f64_e32 v[156:157], v[14:15], v[106:107]
	v_fma_f64 v[106:107], v[12:13], v[106:107], -v[108:109]
	scratch_load_b128 v[12:15], off, off offset:528
	v_add_f64_e32 v[108:109], v[160:161], v[158:159]
	v_add_f64_e32 v[150:151], v[150:151], v[152:153]
	s_wait_loadcnt_dscnt 0xb00
	v_mul_f64_e32 v[152:153], v[20:21], v[116:117]
	v_mul_f64_e32 v[116:117], v[22:23], v[116:117]
	v_fmac_f64_e32 v[154:155], v[6:7], v[110:111]
	v_fma_f64 v[158:159], v[4:5], v[110:111], -v[112:113]
	v_add_f64_e32 v[160:161], v[108:109], v[106:107]
	v_add_f64_e32 v[150:151], v[150:151], v[156:157]
	ds_load_b128 v[4:7], v2 offset:1024
	ds_load_b128 v[106:109], v2 offset:1040
	scratch_load_b128 v[110:113], off, off offset:544
	v_fmac_f64_e32 v[152:153], v[22:23], v[114:115]
	v_fma_f64 v[114:115], v[20:21], v[114:115], -v[116:117]
	scratch_load_b128 v[20:23], off, off offset:560
	s_wait_loadcnt_dscnt 0xc01
	v_mul_f64_e32 v[156:157], v[4:5], v[120:121]
	v_mul_f64_e32 v[120:121], v[6:7], v[120:121]
	v_add_f64_e32 v[116:117], v[160:161], v[158:159]
	v_add_f64_e32 v[150:151], v[150:151], v[154:155]
	s_wait_loadcnt_dscnt 0xb00
	v_mul_f64_e32 v[154:155], v[106:107], v[124:125]
	v_mul_f64_e32 v[124:125], v[108:109], v[124:125]
	v_fmac_f64_e32 v[156:157], v[6:7], v[118:119]
	v_fma_f64 v[158:159], v[4:5], v[118:119], -v[120:121]
	v_add_f64_e32 v[160:161], v[116:117], v[114:115]
	v_add_f64_e32 v[150:151], v[150:151], v[152:153]
	ds_load_b128 v[4:7], v2 offset:1056
	ds_load_b128 v[114:117], v2 offset:1072
	scratch_load_b128 v[118:121], off, off offset:576
	v_fmac_f64_e32 v[154:155], v[108:109], v[122:123]
	v_fma_f64 v[122:123], v[106:107], v[122:123], -v[124:125]
	scratch_load_b128 v[106:109], off, off offset:592
	s_wait_loadcnt_dscnt 0xc01
	v_mul_f64_e32 v[152:153], v[4:5], v[132:133]
	v_mul_f64_e32 v[132:133], v[6:7], v[132:133]
	;; [unrolled: 18-line block ×3, first 2 shown]
	v_add_f64_e32 v[144:145], v[160:161], v[158:159]
	v_add_f64_e32 v[150:151], v[150:151], v[152:153]
	s_wait_loadcnt_dscnt 0xa00
	v_mul_f64_e32 v[152:153], v[122:123], v[10:11]
	v_mul_f64_e32 v[10:11], v[124:125], v[10:11]
	v_fmac_f64_e32 v[154:155], v[6:7], v[146:147]
	v_fma_f64 v[146:147], v[4:5], v[146:147], -v[148:149]
	v_add_f64_e32 v[148:149], v[144:145], v[142:143]
	v_add_f64_e32 v[150:151], v[150:151], v[156:157]
	ds_load_b128 v[4:7], v2 offset:1120
	ds_load_b128 v[142:145], v2 offset:1136
	v_fmac_f64_e32 v[152:153], v[124:125], v[8:9]
	v_fma_f64 v[8:9], v[122:123], v[8:9], -v[10:11]
	s_wait_loadcnt_dscnt 0x901
	v_mul_f64_e32 v[156:157], v[4:5], v[136:137]
	v_mul_f64_e32 v[136:137], v[6:7], v[136:137]
	s_wait_loadcnt_dscnt 0x800
	v_mul_f64_e32 v[124:125], v[142:143], v[18:19]
	v_mul_f64_e32 v[18:19], v[144:145], v[18:19]
	v_add_f64_e32 v[10:11], v[148:149], v[146:147]
	v_add_f64_e32 v[122:123], v[150:151], v[154:155]
	v_fmac_f64_e32 v[156:157], v[6:7], v[134:135]
	v_fma_f64 v[134:135], v[4:5], v[134:135], -v[136:137]
	v_fmac_f64_e32 v[124:125], v[144:145], v[16:17]
	v_fma_f64 v[16:17], v[142:143], v[16:17], -v[18:19]
	v_add_f64_e32 v[136:137], v[10:11], v[8:9]
	v_add_f64_e32 v[122:123], v[122:123], v[152:153]
	ds_load_b128 v[4:7], v2 offset:1152
	ds_load_b128 v[8:11], v2 offset:1168
	s_wait_loadcnt_dscnt 0x701
	v_mul_f64_e32 v[146:147], v[4:5], v[128:129]
	v_mul_f64_e32 v[128:129], v[6:7], v[128:129]
	v_add_f64_e32 v[18:19], v[136:137], v[134:135]
	v_add_f64_e32 v[122:123], v[122:123], v[156:157]
	s_wait_loadcnt_dscnt 0x600
	v_mul_f64_e32 v[134:135], v[8:9], v[14:15]
	v_mul_f64_e32 v[136:137], v[10:11], v[14:15]
	v_fmac_f64_e32 v[146:147], v[6:7], v[126:127]
	v_fma_f64 v[126:127], v[4:5], v[126:127], -v[128:129]
	v_add_f64_e32 v[18:19], v[18:19], v[16:17]
	v_add_f64_e32 v[122:123], v[122:123], v[124:125]
	ds_load_b128 v[4:7], v2 offset:1184
	ds_load_b128 v[14:17], v2 offset:1200
	v_fmac_f64_e32 v[134:135], v[10:11], v[12:13]
	v_fma_f64 v[8:9], v[8:9], v[12:13], -v[136:137]
	s_wait_loadcnt_dscnt 0x501
	v_mul_f64_e32 v[124:125], v[4:5], v[112:113]
	v_mul_f64_e32 v[112:113], v[6:7], v[112:113]
	v_add_f64_e32 v[10:11], v[18:19], v[126:127]
	v_add_f64_e32 v[12:13], v[122:123], v[146:147]
	s_wait_loadcnt_dscnt 0x400
	v_mul_f64_e32 v[18:19], v[14:15], v[22:23]
	v_mul_f64_e32 v[22:23], v[16:17], v[22:23]
	v_fmac_f64_e32 v[124:125], v[6:7], v[110:111]
	v_fma_f64 v[110:111], v[4:5], v[110:111], -v[112:113]
	v_add_f64_e32 v[112:113], v[10:11], v[8:9]
	v_add_f64_e32 v[12:13], v[12:13], v[134:135]
	ds_load_b128 v[4:7], v2 offset:1216
	ds_load_b128 v[8:11], v2 offset:1232
	v_fmac_f64_e32 v[18:19], v[16:17], v[20:21]
	v_fma_f64 v[14:15], v[14:15], v[20:21], -v[22:23]
	s_wait_loadcnt_dscnt 0x301
	v_mul_f64_e32 v[122:123], v[4:5], v[120:121]
	v_mul_f64_e32 v[120:121], v[6:7], v[120:121]
	s_wait_loadcnt_dscnt 0x200
	v_mul_f64_e32 v[20:21], v[8:9], v[108:109]
	v_mul_f64_e32 v[22:23], v[10:11], v[108:109]
	v_add_f64_e32 v[16:17], v[112:113], v[110:111]
	v_add_f64_e32 v[12:13], v[12:13], v[124:125]
	v_fmac_f64_e32 v[122:123], v[6:7], v[118:119]
	v_fma_f64 v[108:109], v[4:5], v[118:119], -v[120:121]
	v_fmac_f64_e32 v[20:21], v[10:11], v[106:107]
	v_fma_f64 v[8:9], v[8:9], v[106:107], -v[22:23]
	v_add_f64_e32 v[16:17], v[16:17], v[14:15]
	v_add_f64_e32 v[18:19], v[12:13], v[18:19]
	ds_load_b128 v[4:7], v2 offset:1248
	ds_load_b128 v[12:15], v2 offset:1264
	s_wait_loadcnt_dscnt 0x101
	v_mul_f64_e32 v[2:3], v[4:5], v[132:133]
	v_mul_f64_e32 v[110:111], v[6:7], v[132:133]
	s_wait_loadcnt_dscnt 0x0
	v_mul_f64_e32 v[22:23], v[14:15], v[116:117]
	v_add_f64_e32 v[10:11], v[16:17], v[108:109]
	v_add_f64_e32 v[16:17], v[18:19], v[122:123]
	v_mul_f64_e32 v[18:19], v[12:13], v[116:117]
	v_fmac_f64_e32 v[2:3], v[6:7], v[130:131]
	v_fma_f64 v[4:5], v[4:5], v[130:131], -v[110:111]
	v_add_f64_e32 v[6:7], v[10:11], v[8:9]
	v_add_f64_e32 v[8:9], v[16:17], v[20:21]
	v_fmac_f64_e32 v[18:19], v[14:15], v[114:115]
	v_fma_f64 v[10:11], v[12:13], v[114:115], -v[22:23]
	s_delay_alu instid0(VALU_DEP_4) | instskip(NEXT) | instid1(VALU_DEP_4)
	v_add_f64_e32 v[4:5], v[6:7], v[4:5]
	v_add_f64_e32 v[2:3], v[8:9], v[2:3]
	s_delay_alu instid0(VALU_DEP_2) | instskip(NEXT) | instid1(VALU_DEP_2)
	v_add_f64_e32 v[4:5], v[4:5], v[10:11]
	v_add_f64_e32 v[6:7], v[2:3], v[18:19]
	s_delay_alu instid0(VALU_DEP_2) | instskip(NEXT) | instid1(VALU_DEP_2)
	v_add_f64_e64 v[2:3], v[138:139], -v[4:5]
	v_add_f64_e64 v[4:5], v[140:141], -v[6:7]
	scratch_store_b128 off, v[2:5], off offset:240
	s_wait_xcnt 0x0
	v_cmpx_lt_u32_e32 14, v1
	s_cbranch_execz .LBB39_225
; %bb.224:
	scratch_load_b128 v[2:5], off, s51
	v_mov_b32_e32 v6, 0
	s_delay_alu instid0(VALU_DEP_1)
	v_dual_mov_b32 v7, v6 :: v_dual_mov_b32 v8, v6
	v_mov_b32_e32 v9, v6
	scratch_store_b128 off, v[6:9], off offset:224
	s_wait_loadcnt 0x0
	ds_store_b128 v104, v[2:5]
.LBB39_225:
	s_wait_xcnt 0x0
	s_or_b32 exec_lo, exec_lo, s2
	s_wait_storecnt_dscnt 0x0
	s_barrier_signal -1
	s_barrier_wait -1
	s_clause 0x9
	scratch_load_b128 v[4:7], off, off offset:240
	scratch_load_b128 v[8:11], off, off offset:256
	;; [unrolled: 1-line block ×10, first 2 shown]
	v_mov_b32_e32 v2, 0
	s_mov_b32 s2, exec_lo
	ds_load_b128 v[126:129], v2 offset:880
	s_clause 0x2
	scratch_load_b128 v[130:133], off, off offset:400
	scratch_load_b128 v[134:137], off, off offset:224
	;; [unrolled: 1-line block ×3, first 2 shown]
	s_wait_loadcnt_dscnt 0xc00
	v_mul_f64_e32 v[146:147], v[128:129], v[6:7]
	v_mul_f64_e32 v[150:151], v[126:127], v[6:7]
	ds_load_b128 v[138:141], v2 offset:896
	v_fma_f64 v[154:155], v[126:127], v[4:5], -v[146:147]
	v_fmac_f64_e32 v[150:151], v[128:129], v[4:5]
	ds_load_b128 v[4:7], v2 offset:912
	s_wait_loadcnt_dscnt 0xb01
	v_mul_f64_e32 v[152:153], v[138:139], v[10:11]
	v_mul_f64_e32 v[10:11], v[140:141], v[10:11]
	scratch_load_b128 v[126:129], off, off offset:432
	ds_load_b128 v[146:149], v2 offset:928
	s_wait_loadcnt_dscnt 0xb01
	v_mul_f64_e32 v[156:157], v[4:5], v[14:15]
	v_mul_f64_e32 v[14:15], v[6:7], v[14:15]
	v_add_f64_e32 v[150:151], 0, v[150:151]
	v_fmac_f64_e32 v[152:153], v[140:141], v[8:9]
	v_fma_f64 v[138:139], v[138:139], v[8:9], -v[10:11]
	v_add_f64_e32 v[140:141], 0, v[154:155]
	scratch_load_b128 v[8:11], off, off offset:448
	v_fmac_f64_e32 v[156:157], v[6:7], v[12:13]
	v_fma_f64 v[158:159], v[4:5], v[12:13], -v[14:15]
	ds_load_b128 v[4:7], v2 offset:944
	s_wait_loadcnt_dscnt 0xb01
	v_mul_f64_e32 v[154:155], v[146:147], v[18:19]
	v_mul_f64_e32 v[18:19], v[148:149], v[18:19]
	scratch_load_b128 v[12:15], off, off offset:464
	v_add_f64_e32 v[150:151], v[150:151], v[152:153]
	v_add_f64_e32 v[160:161], v[140:141], v[138:139]
	ds_load_b128 v[138:141], v2 offset:960
	s_wait_loadcnt_dscnt 0xb01
	v_mul_f64_e32 v[152:153], v[4:5], v[22:23]
	v_mul_f64_e32 v[22:23], v[6:7], v[22:23]
	v_fmac_f64_e32 v[154:155], v[148:149], v[16:17]
	v_fma_f64 v[146:147], v[146:147], v[16:17], -v[18:19]
	scratch_load_b128 v[16:19], off, off offset:480
	v_add_f64_e32 v[150:151], v[150:151], v[156:157]
	v_add_f64_e32 v[148:149], v[160:161], v[158:159]
	v_fmac_f64_e32 v[152:153], v[6:7], v[20:21]
	v_fma_f64 v[158:159], v[4:5], v[20:21], -v[22:23]
	ds_load_b128 v[4:7], v2 offset:976
	s_wait_loadcnt_dscnt 0xb01
	v_mul_f64_e32 v[156:157], v[138:139], v[108:109]
	v_mul_f64_e32 v[108:109], v[140:141], v[108:109]
	scratch_load_b128 v[20:23], off, off offset:496
	v_add_f64_e32 v[150:151], v[150:151], v[154:155]
	s_wait_loadcnt_dscnt 0xb00
	v_mul_f64_e32 v[154:155], v[4:5], v[112:113]
	v_add_f64_e32 v[160:161], v[148:149], v[146:147]
	v_mul_f64_e32 v[112:113], v[6:7], v[112:113]
	ds_load_b128 v[146:149], v2 offset:992
	v_fmac_f64_e32 v[156:157], v[140:141], v[106:107]
	v_fma_f64 v[138:139], v[138:139], v[106:107], -v[108:109]
	scratch_load_b128 v[106:109], off, off offset:512
	v_add_f64_e32 v[150:151], v[150:151], v[152:153]
	v_fmac_f64_e32 v[154:155], v[6:7], v[110:111]
	v_add_f64_e32 v[140:141], v[160:161], v[158:159]
	v_fma_f64 v[158:159], v[4:5], v[110:111], -v[112:113]
	ds_load_b128 v[4:7], v2 offset:1008
	s_wait_loadcnt_dscnt 0xb01
	v_mul_f64_e32 v[152:153], v[146:147], v[116:117]
	v_mul_f64_e32 v[116:117], v[148:149], v[116:117]
	scratch_load_b128 v[110:113], off, off offset:528
	v_add_f64_e32 v[150:151], v[150:151], v[156:157]
	s_wait_loadcnt_dscnt 0xb00
	v_mul_f64_e32 v[156:157], v[4:5], v[120:121]
	v_add_f64_e32 v[160:161], v[140:141], v[138:139]
	v_mul_f64_e32 v[120:121], v[6:7], v[120:121]
	ds_load_b128 v[138:141], v2 offset:1024
	v_fmac_f64_e32 v[152:153], v[148:149], v[114:115]
	v_fma_f64 v[146:147], v[146:147], v[114:115], -v[116:117]
	scratch_load_b128 v[114:117], off, off offset:544
	v_add_f64_e32 v[150:151], v[150:151], v[154:155]
	v_fmac_f64_e32 v[156:157], v[6:7], v[118:119]
	v_add_f64_e32 v[148:149], v[160:161], v[158:159]
	;; [unrolled: 18-line block ×3, first 2 shown]
	v_fma_f64 v[158:159], v[4:5], v[130:131], -v[132:133]
	ds_load_b128 v[4:7], v2 offset:1072
	s_wait_loadcnt_dscnt 0xa01
	v_mul_f64_e32 v[156:157], v[146:147], v[144:145]
	v_mul_f64_e32 v[144:145], v[148:149], v[144:145]
	scratch_load_b128 v[130:133], off, off offset:592
	v_add_f64_e32 v[150:151], v[150:151], v[154:155]
	v_add_f64_e32 v[160:161], v[140:141], v[138:139]
	s_wait_loadcnt_dscnt 0xa00
	v_mul_f64_e32 v[154:155], v[4:5], v[128:129]
	v_mul_f64_e32 v[128:129], v[6:7], v[128:129]
	v_fmac_f64_e32 v[156:157], v[148:149], v[142:143]
	v_fma_f64 v[146:147], v[146:147], v[142:143], -v[144:145]
	ds_load_b128 v[138:141], v2 offset:1088
	scratch_load_b128 v[142:145], off, off offset:608
	v_add_f64_e32 v[150:151], v[150:151], v[152:153]
	v_add_f64_e32 v[148:149], v[160:161], v[158:159]
	v_fmac_f64_e32 v[154:155], v[6:7], v[126:127]
	v_fma_f64 v[158:159], v[4:5], v[126:127], -v[128:129]
	ds_load_b128 v[4:7], v2 offset:1104
	s_wait_loadcnt_dscnt 0xa01
	v_mul_f64_e32 v[152:153], v[138:139], v[10:11]
	v_mul_f64_e32 v[10:11], v[140:141], v[10:11]
	scratch_load_b128 v[126:129], off, off offset:624
	v_add_f64_e32 v[150:151], v[150:151], v[156:157]
	s_wait_loadcnt_dscnt 0xa00
	v_mul_f64_e32 v[156:157], v[4:5], v[14:15]
	v_add_f64_e32 v[160:161], v[148:149], v[146:147]
	v_mul_f64_e32 v[14:15], v[6:7], v[14:15]
	ds_load_b128 v[146:149], v2 offset:1120
	v_fmac_f64_e32 v[152:153], v[140:141], v[8:9]
	v_fma_f64 v[8:9], v[138:139], v[8:9], -v[10:11]
	s_wait_loadcnt_dscnt 0x900
	v_mul_f64_e32 v[140:141], v[146:147], v[18:19]
	v_mul_f64_e32 v[18:19], v[148:149], v[18:19]
	v_add_f64_e32 v[138:139], v[150:151], v[154:155]
	v_fmac_f64_e32 v[156:157], v[6:7], v[12:13]
	v_add_f64_e32 v[10:11], v[160:161], v[158:159]
	v_fma_f64 v[12:13], v[4:5], v[12:13], -v[14:15]
	v_fmac_f64_e32 v[140:141], v[148:149], v[16:17]
	v_fma_f64 v[16:17], v[146:147], v[16:17], -v[18:19]
	v_add_f64_e32 v[138:139], v[138:139], v[152:153]
	v_add_f64_e32 v[14:15], v[10:11], v[8:9]
	ds_load_b128 v[4:7], v2 offset:1136
	ds_load_b128 v[8:11], v2 offset:1152
	s_wait_loadcnt_dscnt 0x801
	v_mul_f64_e32 v[150:151], v[4:5], v[22:23]
	v_mul_f64_e32 v[22:23], v[6:7], v[22:23]
	s_wait_loadcnt_dscnt 0x700
	v_mul_f64_e32 v[18:19], v[8:9], v[108:109]
	v_mul_f64_e32 v[108:109], v[10:11], v[108:109]
	v_add_f64_e32 v[12:13], v[14:15], v[12:13]
	v_add_f64_e32 v[14:15], v[138:139], v[156:157]
	v_fmac_f64_e32 v[150:151], v[6:7], v[20:21]
	v_fma_f64 v[20:21], v[4:5], v[20:21], -v[22:23]
	v_fmac_f64_e32 v[18:19], v[10:11], v[106:107]
	v_fma_f64 v[8:9], v[8:9], v[106:107], -v[108:109]
	v_add_f64_e32 v[16:17], v[12:13], v[16:17]
	v_add_f64_e32 v[22:23], v[14:15], v[140:141]
	ds_load_b128 v[4:7], v2 offset:1168
	ds_load_b128 v[12:15], v2 offset:1184
	s_wait_loadcnt_dscnt 0x601
	v_mul_f64_e32 v[138:139], v[4:5], v[112:113]
	v_mul_f64_e32 v[112:113], v[6:7], v[112:113]
	v_add_f64_e32 v[10:11], v[16:17], v[20:21]
	v_add_f64_e32 v[16:17], v[22:23], v[150:151]
	s_wait_loadcnt_dscnt 0x500
	v_mul_f64_e32 v[20:21], v[12:13], v[116:117]
	v_mul_f64_e32 v[22:23], v[14:15], v[116:117]
	v_fmac_f64_e32 v[138:139], v[6:7], v[110:111]
	v_fma_f64 v[106:107], v[4:5], v[110:111], -v[112:113]
	v_add_f64_e32 v[108:109], v[10:11], v[8:9]
	v_add_f64_e32 v[16:17], v[16:17], v[18:19]
	ds_load_b128 v[4:7], v2 offset:1200
	ds_load_b128 v[8:11], v2 offset:1216
	v_fmac_f64_e32 v[20:21], v[14:15], v[114:115]
	v_fma_f64 v[12:13], v[12:13], v[114:115], -v[22:23]
	s_wait_loadcnt_dscnt 0x401
	v_mul_f64_e32 v[18:19], v[4:5], v[120:121]
	v_mul_f64_e32 v[110:111], v[6:7], v[120:121]
	s_wait_loadcnt_dscnt 0x300
	v_mul_f64_e32 v[22:23], v[8:9], v[124:125]
	v_add_f64_e32 v[14:15], v[108:109], v[106:107]
	v_add_f64_e32 v[16:17], v[16:17], v[138:139]
	v_mul_f64_e32 v[106:107], v[10:11], v[124:125]
	v_fmac_f64_e32 v[18:19], v[6:7], v[118:119]
	v_fma_f64 v[108:109], v[4:5], v[118:119], -v[110:111]
	v_fmac_f64_e32 v[22:23], v[10:11], v[122:123]
	v_add_f64_e32 v[110:111], v[14:15], v[12:13]
	v_add_f64_e32 v[16:17], v[16:17], v[20:21]
	ds_load_b128 v[4:7], v2 offset:1232
	ds_load_b128 v[12:15], v2 offset:1248
	v_fma_f64 v[8:9], v[8:9], v[122:123], -v[106:107]
	s_wait_loadcnt_dscnt 0x201
	v_mul_f64_e32 v[20:21], v[4:5], v[132:133]
	v_mul_f64_e32 v[112:113], v[6:7], v[132:133]
	s_wait_loadcnt_dscnt 0x100
	v_mul_f64_e32 v[106:107], v[14:15], v[144:145]
	v_add_f64_e32 v[10:11], v[110:111], v[108:109]
	v_add_f64_e32 v[16:17], v[16:17], v[18:19]
	v_mul_f64_e32 v[18:19], v[12:13], v[144:145]
	v_fmac_f64_e32 v[20:21], v[6:7], v[130:131]
	v_fma_f64 v[108:109], v[4:5], v[130:131], -v[112:113]
	ds_load_b128 v[4:7], v2 offset:1264
	v_fma_f64 v[12:13], v[12:13], v[142:143], -v[106:107]
	v_add_f64_e32 v[8:9], v[10:11], v[8:9]
	v_add_f64_e32 v[10:11], v[16:17], v[22:23]
	v_fmac_f64_e32 v[18:19], v[14:15], v[142:143]
	s_wait_loadcnt_dscnt 0x0
	v_mul_f64_e32 v[16:17], v[4:5], v[128:129]
	v_mul_f64_e32 v[22:23], v[6:7], v[128:129]
	v_add_f64_e32 v[8:9], v[8:9], v[108:109]
	v_add_f64_e32 v[10:11], v[10:11], v[20:21]
	s_delay_alu instid0(VALU_DEP_4) | instskip(NEXT) | instid1(VALU_DEP_4)
	v_fmac_f64_e32 v[16:17], v[6:7], v[126:127]
	v_fma_f64 v[4:5], v[4:5], v[126:127], -v[22:23]
	s_delay_alu instid0(VALU_DEP_4) | instskip(NEXT) | instid1(VALU_DEP_4)
	v_add_f64_e32 v[6:7], v[8:9], v[12:13]
	v_add_f64_e32 v[8:9], v[10:11], v[18:19]
	s_delay_alu instid0(VALU_DEP_2) | instskip(NEXT) | instid1(VALU_DEP_2)
	v_add_f64_e32 v[4:5], v[6:7], v[4:5]
	v_add_f64_e32 v[6:7], v[8:9], v[16:17]
	s_delay_alu instid0(VALU_DEP_2) | instskip(NEXT) | instid1(VALU_DEP_2)
	v_add_f64_e64 v[4:5], v[134:135], -v[4:5]
	v_add_f64_e64 v[6:7], v[136:137], -v[6:7]
	scratch_store_b128 off, v[4:7], off offset:224
	s_wait_xcnt 0x0
	v_cmpx_lt_u32_e32 13, v1
	s_cbranch_execz .LBB39_227
; %bb.226:
	scratch_load_b128 v[6:9], off, s50
	v_dual_mov_b32 v3, v2 :: v_dual_mov_b32 v4, v2
	v_mov_b32_e32 v5, v2
	scratch_store_b128 off, v[2:5], off offset:208
	s_wait_loadcnt 0x0
	ds_store_b128 v104, v[6:9]
.LBB39_227:
	s_wait_xcnt 0x0
	s_or_b32 exec_lo, exec_lo, s2
	s_wait_storecnt_dscnt 0x0
	s_barrier_signal -1
	s_barrier_wait -1
	s_clause 0x9
	scratch_load_b128 v[4:7], off, off offset:224
	scratch_load_b128 v[8:11], off, off offset:240
	;; [unrolled: 1-line block ×10, first 2 shown]
	ds_load_b128 v[126:129], v2 offset:864
	ds_load_b128 v[134:137], v2 offset:880
	s_clause 0x2
	scratch_load_b128 v[130:133], off, off offset:384
	scratch_load_b128 v[138:141], off, off offset:208
	;; [unrolled: 1-line block ×3, first 2 shown]
	s_mov_b32 s2, exec_lo
	s_wait_loadcnt_dscnt 0xc01
	v_mul_f64_e32 v[146:147], v[128:129], v[6:7]
	v_mul_f64_e32 v[150:151], v[126:127], v[6:7]
	s_wait_loadcnt_dscnt 0xb00
	v_mul_f64_e32 v[152:153], v[134:135], v[10:11]
	v_mul_f64_e32 v[10:11], v[136:137], v[10:11]
	s_delay_alu instid0(VALU_DEP_4) | instskip(NEXT) | instid1(VALU_DEP_4)
	v_fma_f64 v[154:155], v[126:127], v[4:5], -v[146:147]
	v_fmac_f64_e32 v[150:151], v[128:129], v[4:5]
	ds_load_b128 v[4:7], v2 offset:896
	ds_load_b128 v[126:129], v2 offset:912
	scratch_load_b128 v[146:149], off, off offset:416
	v_fmac_f64_e32 v[152:153], v[136:137], v[8:9]
	v_fma_f64 v[134:135], v[134:135], v[8:9], -v[10:11]
	scratch_load_b128 v[8:11], off, off offset:432
	s_wait_loadcnt_dscnt 0xc01
	v_mul_f64_e32 v[156:157], v[4:5], v[14:15]
	v_mul_f64_e32 v[14:15], v[6:7], v[14:15]
	v_add_f64_e32 v[136:137], 0, v[154:155]
	v_add_f64_e32 v[150:151], 0, v[150:151]
	s_wait_loadcnt_dscnt 0xb00
	v_mul_f64_e32 v[154:155], v[126:127], v[18:19]
	v_mul_f64_e32 v[18:19], v[128:129], v[18:19]
	v_fmac_f64_e32 v[156:157], v[6:7], v[12:13]
	v_fma_f64 v[158:159], v[4:5], v[12:13], -v[14:15]
	ds_load_b128 v[4:7], v2 offset:928
	ds_load_b128 v[12:15], v2 offset:944
	v_add_f64_e32 v[160:161], v[136:137], v[134:135]
	v_add_f64_e32 v[150:151], v[150:151], v[152:153]
	scratch_load_b128 v[134:137], off, off offset:448
	v_fmac_f64_e32 v[154:155], v[128:129], v[16:17]
	v_fma_f64 v[126:127], v[126:127], v[16:17], -v[18:19]
	scratch_load_b128 v[16:19], off, off offset:464
	s_wait_loadcnt_dscnt 0xc01
	v_mul_f64_e32 v[152:153], v[4:5], v[22:23]
	v_mul_f64_e32 v[22:23], v[6:7], v[22:23]
	v_add_f64_e32 v[128:129], v[160:161], v[158:159]
	v_add_f64_e32 v[150:151], v[150:151], v[156:157]
	s_wait_loadcnt_dscnt 0xb00
	v_mul_f64_e32 v[156:157], v[12:13], v[108:109]
	v_mul_f64_e32 v[108:109], v[14:15], v[108:109]
	v_fmac_f64_e32 v[152:153], v[6:7], v[20:21]
	v_fma_f64 v[158:159], v[4:5], v[20:21], -v[22:23]
	ds_load_b128 v[4:7], v2 offset:960
	ds_load_b128 v[20:23], v2 offset:976
	v_add_f64_e32 v[160:161], v[128:129], v[126:127]
	v_add_f64_e32 v[150:151], v[150:151], v[154:155]
	scratch_load_b128 v[126:129], off, off offset:480
	s_wait_loadcnt_dscnt 0xb01
	v_mul_f64_e32 v[154:155], v[4:5], v[112:113]
	v_mul_f64_e32 v[112:113], v[6:7], v[112:113]
	v_fmac_f64_e32 v[156:157], v[14:15], v[106:107]
	v_fma_f64 v[106:107], v[12:13], v[106:107], -v[108:109]
	scratch_load_b128 v[12:15], off, off offset:496
	v_add_f64_e32 v[108:109], v[160:161], v[158:159]
	v_add_f64_e32 v[150:151], v[150:151], v[152:153]
	s_wait_loadcnt_dscnt 0xb00
	v_mul_f64_e32 v[152:153], v[20:21], v[116:117]
	v_mul_f64_e32 v[116:117], v[22:23], v[116:117]
	v_fmac_f64_e32 v[154:155], v[6:7], v[110:111]
	v_fma_f64 v[158:159], v[4:5], v[110:111], -v[112:113]
	v_add_f64_e32 v[160:161], v[108:109], v[106:107]
	v_add_f64_e32 v[150:151], v[150:151], v[156:157]
	ds_load_b128 v[4:7], v2 offset:992
	ds_load_b128 v[106:109], v2 offset:1008
	scratch_load_b128 v[110:113], off, off offset:512
	v_fmac_f64_e32 v[152:153], v[22:23], v[114:115]
	v_fma_f64 v[114:115], v[20:21], v[114:115], -v[116:117]
	scratch_load_b128 v[20:23], off, off offset:528
	s_wait_loadcnt_dscnt 0xc01
	v_mul_f64_e32 v[156:157], v[4:5], v[120:121]
	v_mul_f64_e32 v[120:121], v[6:7], v[120:121]
	v_add_f64_e32 v[116:117], v[160:161], v[158:159]
	v_add_f64_e32 v[150:151], v[150:151], v[154:155]
	s_wait_loadcnt_dscnt 0xb00
	v_mul_f64_e32 v[154:155], v[106:107], v[124:125]
	v_mul_f64_e32 v[124:125], v[108:109], v[124:125]
	v_fmac_f64_e32 v[156:157], v[6:7], v[118:119]
	v_fma_f64 v[158:159], v[4:5], v[118:119], -v[120:121]
	v_add_f64_e32 v[160:161], v[116:117], v[114:115]
	v_add_f64_e32 v[150:151], v[150:151], v[152:153]
	ds_load_b128 v[4:7], v2 offset:1024
	ds_load_b128 v[114:117], v2 offset:1040
	scratch_load_b128 v[118:121], off, off offset:544
	v_fmac_f64_e32 v[154:155], v[108:109], v[122:123]
	v_fma_f64 v[122:123], v[106:107], v[122:123], -v[124:125]
	scratch_load_b128 v[106:109], off, off offset:560
	s_wait_loadcnt_dscnt 0xc01
	v_mul_f64_e32 v[152:153], v[4:5], v[132:133]
	v_mul_f64_e32 v[132:133], v[6:7], v[132:133]
	;; [unrolled: 18-line block ×4, first 2 shown]
	v_add_f64_e32 v[124:125], v[160:161], v[158:159]
	v_add_f64_e32 v[150:151], v[150:151], v[154:155]
	s_wait_loadcnt_dscnt 0xa00
	v_mul_f64_e32 v[154:155], v[142:143], v[18:19]
	v_mul_f64_e32 v[18:19], v[144:145], v[18:19]
	v_fmac_f64_e32 v[156:157], v[6:7], v[134:135]
	v_fma_f64 v[134:135], v[4:5], v[134:135], -v[136:137]
	v_add_f64_e32 v[136:137], v[124:125], v[122:123]
	v_add_f64_e32 v[150:151], v[150:151], v[152:153]
	ds_load_b128 v[4:7], v2 offset:1120
	ds_load_b128 v[122:125], v2 offset:1136
	v_fmac_f64_e32 v[154:155], v[144:145], v[16:17]
	v_fma_f64 v[16:17], v[142:143], v[16:17], -v[18:19]
	s_wait_loadcnt_dscnt 0x901
	v_mul_f64_e32 v[152:153], v[4:5], v[128:129]
	v_mul_f64_e32 v[128:129], v[6:7], v[128:129]
	s_wait_loadcnt_dscnt 0x800
	v_mul_f64_e32 v[142:143], v[124:125], v[14:15]
	v_add_f64_e32 v[18:19], v[136:137], v[134:135]
	v_add_f64_e32 v[134:135], v[150:151], v[156:157]
	v_mul_f64_e32 v[136:137], v[122:123], v[14:15]
	v_fmac_f64_e32 v[152:153], v[6:7], v[126:127]
	v_fma_f64 v[126:127], v[4:5], v[126:127], -v[128:129]
	v_add_f64_e32 v[18:19], v[18:19], v[16:17]
	v_add_f64_e32 v[128:129], v[134:135], v[154:155]
	ds_load_b128 v[4:7], v2 offset:1152
	ds_load_b128 v[14:17], v2 offset:1168
	v_fmac_f64_e32 v[136:137], v[124:125], v[12:13]
	v_fma_f64 v[12:13], v[122:123], v[12:13], -v[142:143]
	s_wait_loadcnt_dscnt 0x701
	v_mul_f64_e32 v[134:135], v[4:5], v[112:113]
	v_mul_f64_e32 v[112:113], v[6:7], v[112:113]
	s_wait_loadcnt_dscnt 0x600
	v_mul_f64_e32 v[124:125], v[14:15], v[22:23]
	v_mul_f64_e32 v[22:23], v[16:17], v[22:23]
	v_add_f64_e32 v[18:19], v[18:19], v[126:127]
	v_add_f64_e32 v[122:123], v[128:129], v[152:153]
	v_fmac_f64_e32 v[134:135], v[6:7], v[110:111]
	v_fma_f64 v[126:127], v[4:5], v[110:111], -v[112:113]
	ds_load_b128 v[4:7], v2 offset:1184
	ds_load_b128 v[110:113], v2 offset:1200
	v_fmac_f64_e32 v[124:125], v[16:17], v[20:21]
	v_fma_f64 v[14:15], v[14:15], v[20:21], -v[22:23]
	v_add_f64_e32 v[12:13], v[18:19], v[12:13]
	v_add_f64_e32 v[18:19], v[122:123], v[136:137]
	s_wait_loadcnt_dscnt 0x501
	v_mul_f64_e32 v[122:123], v[4:5], v[120:121]
	v_mul_f64_e32 v[120:121], v[6:7], v[120:121]
	s_wait_loadcnt_dscnt 0x400
	v_mul_f64_e32 v[20:21], v[112:113], v[108:109]
	v_add_f64_e32 v[12:13], v[12:13], v[126:127]
	v_add_f64_e32 v[16:17], v[18:19], v[134:135]
	v_mul_f64_e32 v[18:19], v[110:111], v[108:109]
	v_fmac_f64_e32 v[122:123], v[6:7], v[118:119]
	v_fma_f64 v[22:23], v[4:5], v[118:119], -v[120:121]
	v_fma_f64 v[20:21], v[110:111], v[106:107], -v[20:21]
	v_add_f64_e32 v[108:109], v[12:13], v[14:15]
	v_add_f64_e32 v[16:17], v[16:17], v[124:125]
	ds_load_b128 v[4:7], v2 offset:1216
	ds_load_b128 v[12:15], v2 offset:1232
	v_fmac_f64_e32 v[18:19], v[112:113], v[106:107]
	s_wait_loadcnt_dscnt 0x301
	v_mul_f64_e32 v[118:119], v[4:5], v[132:133]
	v_mul_f64_e32 v[120:121], v[6:7], v[132:133]
	s_wait_loadcnt_dscnt 0x200
	v_mul_f64_e32 v[106:107], v[12:13], v[116:117]
	v_add_f64_e32 v[22:23], v[108:109], v[22:23]
	v_add_f64_e32 v[16:17], v[16:17], v[122:123]
	v_mul_f64_e32 v[108:109], v[14:15], v[116:117]
	v_fmac_f64_e32 v[118:119], v[6:7], v[130:131]
	v_fma_f64 v[110:111], v[4:5], v[130:131], -v[120:121]
	v_fmac_f64_e32 v[106:107], v[14:15], v[114:115]
	v_add_f64_e32 v[20:21], v[22:23], v[20:21]
	v_add_f64_e32 v[22:23], v[16:17], v[18:19]
	ds_load_b128 v[4:7], v2 offset:1248
	ds_load_b128 v[16:19], v2 offset:1264
	v_fma_f64 v[12:13], v[12:13], v[114:115], -v[108:109]
	s_wait_loadcnt_dscnt 0x101
	v_mul_f64_e32 v[2:3], v[4:5], v[148:149]
	v_mul_f64_e32 v[112:113], v[6:7], v[148:149]
	v_add_f64_e32 v[14:15], v[20:21], v[110:111]
	v_add_f64_e32 v[20:21], v[22:23], v[118:119]
	s_wait_loadcnt_dscnt 0x0
	v_mul_f64_e32 v[22:23], v[16:17], v[10:11]
	v_mul_f64_e32 v[10:11], v[18:19], v[10:11]
	v_fmac_f64_e32 v[2:3], v[6:7], v[146:147]
	v_fma_f64 v[4:5], v[4:5], v[146:147], -v[112:113]
	v_add_f64_e32 v[6:7], v[14:15], v[12:13]
	v_add_f64_e32 v[12:13], v[20:21], v[106:107]
	v_fmac_f64_e32 v[22:23], v[18:19], v[8:9]
	v_fma_f64 v[8:9], v[16:17], v[8:9], -v[10:11]
	s_delay_alu instid0(VALU_DEP_4) | instskip(NEXT) | instid1(VALU_DEP_4)
	v_add_f64_e32 v[4:5], v[6:7], v[4:5]
	v_add_f64_e32 v[2:3], v[12:13], v[2:3]
	s_delay_alu instid0(VALU_DEP_2) | instskip(NEXT) | instid1(VALU_DEP_2)
	v_add_f64_e32 v[4:5], v[4:5], v[8:9]
	v_add_f64_e32 v[6:7], v[2:3], v[22:23]
	s_delay_alu instid0(VALU_DEP_2) | instskip(NEXT) | instid1(VALU_DEP_2)
	v_add_f64_e64 v[2:3], v[138:139], -v[4:5]
	v_add_f64_e64 v[4:5], v[140:141], -v[6:7]
	scratch_store_b128 off, v[2:5], off offset:208
	s_wait_xcnt 0x0
	v_cmpx_lt_u32_e32 12, v1
	s_cbranch_execz .LBB39_229
; %bb.228:
	scratch_load_b128 v[2:5], off, s49
	v_mov_b32_e32 v6, 0
	s_delay_alu instid0(VALU_DEP_1)
	v_dual_mov_b32 v7, v6 :: v_dual_mov_b32 v8, v6
	v_mov_b32_e32 v9, v6
	scratch_store_b128 off, v[6:9], off offset:192
	s_wait_loadcnt 0x0
	ds_store_b128 v104, v[2:5]
.LBB39_229:
	s_wait_xcnt 0x0
	s_or_b32 exec_lo, exec_lo, s2
	s_wait_storecnt_dscnt 0x0
	s_barrier_signal -1
	s_barrier_wait -1
	s_clause 0x9
	scratch_load_b128 v[4:7], off, off offset:208
	scratch_load_b128 v[8:11], off, off offset:224
	;; [unrolled: 1-line block ×10, first 2 shown]
	v_mov_b32_e32 v2, 0
	s_mov_b32 s2, exec_lo
	ds_load_b128 v[126:129], v2 offset:848
	s_clause 0x2
	scratch_load_b128 v[130:133], off, off offset:368
	scratch_load_b128 v[134:137], off, off offset:192
	;; [unrolled: 1-line block ×3, first 2 shown]
	s_wait_loadcnt_dscnt 0xc00
	v_mul_f64_e32 v[146:147], v[128:129], v[6:7]
	v_mul_f64_e32 v[150:151], v[126:127], v[6:7]
	ds_load_b128 v[138:141], v2 offset:864
	v_fma_f64 v[154:155], v[126:127], v[4:5], -v[146:147]
	v_fmac_f64_e32 v[150:151], v[128:129], v[4:5]
	ds_load_b128 v[4:7], v2 offset:880
	s_wait_loadcnt_dscnt 0xb01
	v_mul_f64_e32 v[152:153], v[138:139], v[10:11]
	v_mul_f64_e32 v[10:11], v[140:141], v[10:11]
	scratch_load_b128 v[126:129], off, off offset:400
	ds_load_b128 v[146:149], v2 offset:896
	s_wait_loadcnt_dscnt 0xb01
	v_mul_f64_e32 v[156:157], v[4:5], v[14:15]
	v_mul_f64_e32 v[14:15], v[6:7], v[14:15]
	v_add_f64_e32 v[150:151], 0, v[150:151]
	v_fmac_f64_e32 v[152:153], v[140:141], v[8:9]
	v_fma_f64 v[138:139], v[138:139], v[8:9], -v[10:11]
	v_add_f64_e32 v[140:141], 0, v[154:155]
	scratch_load_b128 v[8:11], off, off offset:416
	v_fmac_f64_e32 v[156:157], v[6:7], v[12:13]
	v_fma_f64 v[158:159], v[4:5], v[12:13], -v[14:15]
	ds_load_b128 v[4:7], v2 offset:912
	s_wait_loadcnt_dscnt 0xb01
	v_mul_f64_e32 v[154:155], v[146:147], v[18:19]
	v_mul_f64_e32 v[18:19], v[148:149], v[18:19]
	scratch_load_b128 v[12:15], off, off offset:432
	v_add_f64_e32 v[150:151], v[150:151], v[152:153]
	v_add_f64_e32 v[160:161], v[140:141], v[138:139]
	ds_load_b128 v[138:141], v2 offset:928
	s_wait_loadcnt_dscnt 0xb01
	v_mul_f64_e32 v[152:153], v[4:5], v[22:23]
	v_mul_f64_e32 v[22:23], v[6:7], v[22:23]
	v_fmac_f64_e32 v[154:155], v[148:149], v[16:17]
	v_fma_f64 v[146:147], v[146:147], v[16:17], -v[18:19]
	scratch_load_b128 v[16:19], off, off offset:448
	v_add_f64_e32 v[150:151], v[150:151], v[156:157]
	v_add_f64_e32 v[148:149], v[160:161], v[158:159]
	v_fmac_f64_e32 v[152:153], v[6:7], v[20:21]
	v_fma_f64 v[158:159], v[4:5], v[20:21], -v[22:23]
	ds_load_b128 v[4:7], v2 offset:944
	s_wait_loadcnt_dscnt 0xb01
	v_mul_f64_e32 v[156:157], v[138:139], v[108:109]
	v_mul_f64_e32 v[108:109], v[140:141], v[108:109]
	scratch_load_b128 v[20:23], off, off offset:464
	v_add_f64_e32 v[150:151], v[150:151], v[154:155]
	s_wait_loadcnt_dscnt 0xb00
	v_mul_f64_e32 v[154:155], v[4:5], v[112:113]
	v_add_f64_e32 v[160:161], v[148:149], v[146:147]
	v_mul_f64_e32 v[112:113], v[6:7], v[112:113]
	ds_load_b128 v[146:149], v2 offset:960
	v_fmac_f64_e32 v[156:157], v[140:141], v[106:107]
	v_fma_f64 v[138:139], v[138:139], v[106:107], -v[108:109]
	scratch_load_b128 v[106:109], off, off offset:480
	v_add_f64_e32 v[150:151], v[150:151], v[152:153]
	v_fmac_f64_e32 v[154:155], v[6:7], v[110:111]
	v_add_f64_e32 v[140:141], v[160:161], v[158:159]
	v_fma_f64 v[158:159], v[4:5], v[110:111], -v[112:113]
	ds_load_b128 v[4:7], v2 offset:976
	s_wait_loadcnt_dscnt 0xb01
	v_mul_f64_e32 v[152:153], v[146:147], v[116:117]
	v_mul_f64_e32 v[116:117], v[148:149], v[116:117]
	scratch_load_b128 v[110:113], off, off offset:496
	v_add_f64_e32 v[150:151], v[150:151], v[156:157]
	s_wait_loadcnt_dscnt 0xb00
	v_mul_f64_e32 v[156:157], v[4:5], v[120:121]
	v_add_f64_e32 v[160:161], v[140:141], v[138:139]
	v_mul_f64_e32 v[120:121], v[6:7], v[120:121]
	ds_load_b128 v[138:141], v2 offset:992
	v_fmac_f64_e32 v[152:153], v[148:149], v[114:115]
	v_fma_f64 v[146:147], v[146:147], v[114:115], -v[116:117]
	scratch_load_b128 v[114:117], off, off offset:512
	v_add_f64_e32 v[150:151], v[150:151], v[154:155]
	v_fmac_f64_e32 v[156:157], v[6:7], v[118:119]
	v_add_f64_e32 v[148:149], v[160:161], v[158:159]
	;; [unrolled: 18-line block ×3, first 2 shown]
	v_fma_f64 v[158:159], v[4:5], v[130:131], -v[132:133]
	ds_load_b128 v[4:7], v2 offset:1040
	s_wait_loadcnt_dscnt 0xa01
	v_mul_f64_e32 v[156:157], v[146:147], v[144:145]
	v_mul_f64_e32 v[144:145], v[148:149], v[144:145]
	scratch_load_b128 v[130:133], off, off offset:560
	v_add_f64_e32 v[150:151], v[150:151], v[154:155]
	v_add_f64_e32 v[160:161], v[140:141], v[138:139]
	s_wait_loadcnt_dscnt 0xa00
	v_mul_f64_e32 v[154:155], v[4:5], v[128:129]
	v_mul_f64_e32 v[128:129], v[6:7], v[128:129]
	v_fmac_f64_e32 v[156:157], v[148:149], v[142:143]
	v_fma_f64 v[146:147], v[146:147], v[142:143], -v[144:145]
	ds_load_b128 v[138:141], v2 offset:1056
	scratch_load_b128 v[142:145], off, off offset:576
	v_add_f64_e32 v[150:151], v[150:151], v[152:153]
	v_add_f64_e32 v[148:149], v[160:161], v[158:159]
	v_fmac_f64_e32 v[154:155], v[6:7], v[126:127]
	v_fma_f64 v[158:159], v[4:5], v[126:127], -v[128:129]
	ds_load_b128 v[4:7], v2 offset:1072
	s_wait_loadcnt_dscnt 0xa01
	v_mul_f64_e32 v[152:153], v[138:139], v[10:11]
	v_mul_f64_e32 v[10:11], v[140:141], v[10:11]
	scratch_load_b128 v[126:129], off, off offset:592
	v_add_f64_e32 v[150:151], v[150:151], v[156:157]
	s_wait_loadcnt_dscnt 0xa00
	v_mul_f64_e32 v[156:157], v[4:5], v[14:15]
	v_add_f64_e32 v[160:161], v[148:149], v[146:147]
	v_mul_f64_e32 v[14:15], v[6:7], v[14:15]
	ds_load_b128 v[146:149], v2 offset:1088
	v_fmac_f64_e32 v[152:153], v[140:141], v[8:9]
	v_fma_f64 v[138:139], v[138:139], v[8:9], -v[10:11]
	scratch_load_b128 v[8:11], off, off offset:608
	v_add_f64_e32 v[150:151], v[150:151], v[154:155]
	v_fmac_f64_e32 v[156:157], v[6:7], v[12:13]
	v_add_f64_e32 v[140:141], v[160:161], v[158:159]
	v_fma_f64 v[158:159], v[4:5], v[12:13], -v[14:15]
	ds_load_b128 v[4:7], v2 offset:1104
	s_wait_loadcnt_dscnt 0xa01
	v_mul_f64_e32 v[154:155], v[146:147], v[18:19]
	v_mul_f64_e32 v[18:19], v[148:149], v[18:19]
	scratch_load_b128 v[12:15], off, off offset:624
	v_add_f64_e32 v[150:151], v[150:151], v[152:153]
	s_wait_loadcnt_dscnt 0xa00
	v_mul_f64_e32 v[152:153], v[4:5], v[22:23]
	v_add_f64_e32 v[160:161], v[140:141], v[138:139]
	v_mul_f64_e32 v[22:23], v[6:7], v[22:23]
	ds_load_b128 v[138:141], v2 offset:1120
	v_fmac_f64_e32 v[154:155], v[148:149], v[16:17]
	v_fma_f64 v[16:17], v[146:147], v[16:17], -v[18:19]
	s_wait_loadcnt_dscnt 0x900
	v_mul_f64_e32 v[148:149], v[138:139], v[108:109]
	v_mul_f64_e32 v[108:109], v[140:141], v[108:109]
	v_add_f64_e32 v[146:147], v[150:151], v[156:157]
	v_fmac_f64_e32 v[152:153], v[6:7], v[20:21]
	v_add_f64_e32 v[18:19], v[160:161], v[158:159]
	v_fma_f64 v[20:21], v[4:5], v[20:21], -v[22:23]
	v_fmac_f64_e32 v[148:149], v[140:141], v[106:107]
	v_fma_f64 v[106:107], v[138:139], v[106:107], -v[108:109]
	v_add_f64_e32 v[146:147], v[146:147], v[154:155]
	v_add_f64_e32 v[22:23], v[18:19], v[16:17]
	ds_load_b128 v[4:7], v2 offset:1136
	ds_load_b128 v[16:19], v2 offset:1152
	s_wait_loadcnt_dscnt 0x801
	v_mul_f64_e32 v[150:151], v[4:5], v[112:113]
	v_mul_f64_e32 v[112:113], v[6:7], v[112:113]
	s_wait_loadcnt_dscnt 0x700
	v_mul_f64_e32 v[108:109], v[16:17], v[116:117]
	v_mul_f64_e32 v[116:117], v[18:19], v[116:117]
	v_add_f64_e32 v[20:21], v[22:23], v[20:21]
	v_add_f64_e32 v[22:23], v[146:147], v[152:153]
	v_fmac_f64_e32 v[150:151], v[6:7], v[110:111]
	v_fma_f64 v[110:111], v[4:5], v[110:111], -v[112:113]
	v_fmac_f64_e32 v[108:109], v[18:19], v[114:115]
	v_fma_f64 v[16:17], v[16:17], v[114:115], -v[116:117]
	v_add_f64_e32 v[106:107], v[20:21], v[106:107]
	v_add_f64_e32 v[112:113], v[22:23], v[148:149]
	ds_load_b128 v[4:7], v2 offset:1168
	ds_load_b128 v[20:23], v2 offset:1184
	s_wait_loadcnt_dscnt 0x601
	v_mul_f64_e32 v[138:139], v[4:5], v[120:121]
	v_mul_f64_e32 v[120:121], v[6:7], v[120:121]
	v_add_f64_e32 v[18:19], v[106:107], v[110:111]
	v_add_f64_e32 v[106:107], v[112:113], v[150:151]
	s_wait_loadcnt_dscnt 0x500
	v_mul_f64_e32 v[110:111], v[20:21], v[124:125]
	v_mul_f64_e32 v[112:113], v[22:23], v[124:125]
	v_fmac_f64_e32 v[138:139], v[6:7], v[118:119]
	v_fma_f64 v[114:115], v[4:5], v[118:119], -v[120:121]
	v_add_f64_e32 v[116:117], v[18:19], v[16:17]
	v_add_f64_e32 v[106:107], v[106:107], v[108:109]
	ds_load_b128 v[4:7], v2 offset:1200
	ds_load_b128 v[16:19], v2 offset:1216
	v_fmac_f64_e32 v[110:111], v[22:23], v[122:123]
	v_fma_f64 v[20:21], v[20:21], v[122:123], -v[112:113]
	s_wait_loadcnt_dscnt 0x401
	v_mul_f64_e32 v[108:109], v[4:5], v[132:133]
	v_mul_f64_e32 v[118:119], v[6:7], v[132:133]
	s_wait_loadcnt_dscnt 0x300
	v_mul_f64_e32 v[112:113], v[16:17], v[144:145]
	v_add_f64_e32 v[22:23], v[116:117], v[114:115]
	v_add_f64_e32 v[106:107], v[106:107], v[138:139]
	v_mul_f64_e32 v[114:115], v[18:19], v[144:145]
	v_fmac_f64_e32 v[108:109], v[6:7], v[130:131]
	v_fma_f64 v[116:117], v[4:5], v[130:131], -v[118:119]
	v_fmac_f64_e32 v[112:113], v[18:19], v[142:143]
	v_add_f64_e32 v[118:119], v[22:23], v[20:21]
	v_add_f64_e32 v[106:107], v[106:107], v[110:111]
	ds_load_b128 v[4:7], v2 offset:1232
	ds_load_b128 v[20:23], v2 offset:1248
	v_fma_f64 v[16:17], v[16:17], v[142:143], -v[114:115]
	s_wait_loadcnt_dscnt 0x201
	v_mul_f64_e32 v[110:111], v[4:5], v[128:129]
	v_mul_f64_e32 v[120:121], v[6:7], v[128:129]
	v_add_f64_e32 v[18:19], v[118:119], v[116:117]
	v_add_f64_e32 v[106:107], v[106:107], v[108:109]
	s_wait_loadcnt_dscnt 0x100
	v_mul_f64_e32 v[108:109], v[20:21], v[10:11]
	v_mul_f64_e32 v[10:11], v[22:23], v[10:11]
	v_fmac_f64_e32 v[110:111], v[6:7], v[126:127]
	v_fma_f64 v[114:115], v[4:5], v[126:127], -v[120:121]
	ds_load_b128 v[4:7], v2 offset:1264
	v_add_f64_e32 v[16:17], v[18:19], v[16:17]
	v_add_f64_e32 v[18:19], v[106:107], v[112:113]
	v_fmac_f64_e32 v[108:109], v[22:23], v[8:9]
	v_fma_f64 v[8:9], v[20:21], v[8:9], -v[10:11]
	s_wait_loadcnt_dscnt 0x0
	v_mul_f64_e32 v[106:107], v[4:5], v[14:15]
	v_mul_f64_e32 v[14:15], v[6:7], v[14:15]
	v_add_f64_e32 v[10:11], v[16:17], v[114:115]
	v_add_f64_e32 v[16:17], v[18:19], v[110:111]
	s_delay_alu instid0(VALU_DEP_4) | instskip(NEXT) | instid1(VALU_DEP_4)
	v_fmac_f64_e32 v[106:107], v[6:7], v[12:13]
	v_fma_f64 v[4:5], v[4:5], v[12:13], -v[14:15]
	s_delay_alu instid0(VALU_DEP_4) | instskip(NEXT) | instid1(VALU_DEP_4)
	v_add_f64_e32 v[6:7], v[10:11], v[8:9]
	v_add_f64_e32 v[8:9], v[16:17], v[108:109]
	s_delay_alu instid0(VALU_DEP_2) | instskip(NEXT) | instid1(VALU_DEP_2)
	v_add_f64_e32 v[4:5], v[6:7], v[4:5]
	v_add_f64_e32 v[6:7], v[8:9], v[106:107]
	s_delay_alu instid0(VALU_DEP_2) | instskip(NEXT) | instid1(VALU_DEP_2)
	v_add_f64_e64 v[4:5], v[134:135], -v[4:5]
	v_add_f64_e64 v[6:7], v[136:137], -v[6:7]
	scratch_store_b128 off, v[4:7], off offset:192
	s_wait_xcnt 0x0
	v_cmpx_lt_u32_e32 11, v1
	s_cbranch_execz .LBB39_231
; %bb.230:
	scratch_load_b128 v[6:9], off, s47
	v_dual_mov_b32 v3, v2 :: v_dual_mov_b32 v4, v2
	v_mov_b32_e32 v5, v2
	scratch_store_b128 off, v[2:5], off offset:176
	s_wait_loadcnt 0x0
	ds_store_b128 v104, v[6:9]
.LBB39_231:
	s_wait_xcnt 0x0
	s_or_b32 exec_lo, exec_lo, s2
	s_wait_storecnt_dscnt 0x0
	s_barrier_signal -1
	s_barrier_wait -1
	s_clause 0x9
	scratch_load_b128 v[4:7], off, off offset:192
	scratch_load_b128 v[8:11], off, off offset:208
	;; [unrolled: 1-line block ×10, first 2 shown]
	ds_load_b128 v[126:129], v2 offset:832
	ds_load_b128 v[134:137], v2 offset:848
	s_clause 0x2
	scratch_load_b128 v[130:133], off, off offset:352
	scratch_load_b128 v[138:141], off, off offset:176
	;; [unrolled: 1-line block ×3, first 2 shown]
	s_mov_b32 s2, exec_lo
	s_wait_loadcnt_dscnt 0xc01
	v_mul_f64_e32 v[146:147], v[128:129], v[6:7]
	v_mul_f64_e32 v[150:151], v[126:127], v[6:7]
	s_wait_loadcnt_dscnt 0xb00
	v_mul_f64_e32 v[152:153], v[134:135], v[10:11]
	v_mul_f64_e32 v[10:11], v[136:137], v[10:11]
	s_delay_alu instid0(VALU_DEP_4) | instskip(NEXT) | instid1(VALU_DEP_4)
	v_fma_f64 v[154:155], v[126:127], v[4:5], -v[146:147]
	v_fmac_f64_e32 v[150:151], v[128:129], v[4:5]
	ds_load_b128 v[4:7], v2 offset:864
	ds_load_b128 v[126:129], v2 offset:880
	scratch_load_b128 v[146:149], off, off offset:384
	v_fmac_f64_e32 v[152:153], v[136:137], v[8:9]
	v_fma_f64 v[134:135], v[134:135], v[8:9], -v[10:11]
	scratch_load_b128 v[8:11], off, off offset:400
	s_wait_loadcnt_dscnt 0xc01
	v_mul_f64_e32 v[156:157], v[4:5], v[14:15]
	v_mul_f64_e32 v[14:15], v[6:7], v[14:15]
	v_add_f64_e32 v[136:137], 0, v[154:155]
	v_add_f64_e32 v[150:151], 0, v[150:151]
	s_wait_loadcnt_dscnt 0xb00
	v_mul_f64_e32 v[154:155], v[126:127], v[18:19]
	v_mul_f64_e32 v[18:19], v[128:129], v[18:19]
	v_fmac_f64_e32 v[156:157], v[6:7], v[12:13]
	v_fma_f64 v[158:159], v[4:5], v[12:13], -v[14:15]
	ds_load_b128 v[4:7], v2 offset:896
	ds_load_b128 v[12:15], v2 offset:912
	v_add_f64_e32 v[160:161], v[136:137], v[134:135]
	v_add_f64_e32 v[150:151], v[150:151], v[152:153]
	scratch_load_b128 v[134:137], off, off offset:416
	v_fmac_f64_e32 v[154:155], v[128:129], v[16:17]
	v_fma_f64 v[126:127], v[126:127], v[16:17], -v[18:19]
	scratch_load_b128 v[16:19], off, off offset:432
	s_wait_loadcnt_dscnt 0xc01
	v_mul_f64_e32 v[152:153], v[4:5], v[22:23]
	v_mul_f64_e32 v[22:23], v[6:7], v[22:23]
	v_add_f64_e32 v[128:129], v[160:161], v[158:159]
	v_add_f64_e32 v[150:151], v[150:151], v[156:157]
	s_wait_loadcnt_dscnt 0xb00
	v_mul_f64_e32 v[156:157], v[12:13], v[108:109]
	v_mul_f64_e32 v[108:109], v[14:15], v[108:109]
	v_fmac_f64_e32 v[152:153], v[6:7], v[20:21]
	v_fma_f64 v[158:159], v[4:5], v[20:21], -v[22:23]
	ds_load_b128 v[4:7], v2 offset:928
	ds_load_b128 v[20:23], v2 offset:944
	v_add_f64_e32 v[160:161], v[128:129], v[126:127]
	v_add_f64_e32 v[150:151], v[150:151], v[154:155]
	scratch_load_b128 v[126:129], off, off offset:448
	s_wait_loadcnt_dscnt 0xb01
	v_mul_f64_e32 v[154:155], v[4:5], v[112:113]
	v_mul_f64_e32 v[112:113], v[6:7], v[112:113]
	v_fmac_f64_e32 v[156:157], v[14:15], v[106:107]
	v_fma_f64 v[106:107], v[12:13], v[106:107], -v[108:109]
	scratch_load_b128 v[12:15], off, off offset:464
	v_add_f64_e32 v[108:109], v[160:161], v[158:159]
	v_add_f64_e32 v[150:151], v[150:151], v[152:153]
	s_wait_loadcnt_dscnt 0xb00
	v_mul_f64_e32 v[152:153], v[20:21], v[116:117]
	v_mul_f64_e32 v[116:117], v[22:23], v[116:117]
	v_fmac_f64_e32 v[154:155], v[6:7], v[110:111]
	v_fma_f64 v[158:159], v[4:5], v[110:111], -v[112:113]
	v_add_f64_e32 v[160:161], v[108:109], v[106:107]
	v_add_f64_e32 v[150:151], v[150:151], v[156:157]
	ds_load_b128 v[4:7], v2 offset:960
	ds_load_b128 v[106:109], v2 offset:976
	scratch_load_b128 v[110:113], off, off offset:480
	v_fmac_f64_e32 v[152:153], v[22:23], v[114:115]
	v_fma_f64 v[114:115], v[20:21], v[114:115], -v[116:117]
	scratch_load_b128 v[20:23], off, off offset:496
	s_wait_loadcnt_dscnt 0xc01
	v_mul_f64_e32 v[156:157], v[4:5], v[120:121]
	v_mul_f64_e32 v[120:121], v[6:7], v[120:121]
	v_add_f64_e32 v[116:117], v[160:161], v[158:159]
	v_add_f64_e32 v[150:151], v[150:151], v[154:155]
	s_wait_loadcnt_dscnt 0xb00
	v_mul_f64_e32 v[154:155], v[106:107], v[124:125]
	v_mul_f64_e32 v[124:125], v[108:109], v[124:125]
	v_fmac_f64_e32 v[156:157], v[6:7], v[118:119]
	v_fma_f64 v[158:159], v[4:5], v[118:119], -v[120:121]
	v_add_f64_e32 v[160:161], v[116:117], v[114:115]
	v_add_f64_e32 v[150:151], v[150:151], v[152:153]
	ds_load_b128 v[4:7], v2 offset:992
	ds_load_b128 v[114:117], v2 offset:1008
	scratch_load_b128 v[118:121], off, off offset:512
	v_fmac_f64_e32 v[154:155], v[108:109], v[122:123]
	v_fma_f64 v[122:123], v[106:107], v[122:123], -v[124:125]
	scratch_load_b128 v[106:109], off, off offset:528
	s_wait_loadcnt_dscnt 0xc01
	v_mul_f64_e32 v[152:153], v[4:5], v[132:133]
	v_mul_f64_e32 v[132:133], v[6:7], v[132:133]
	;; [unrolled: 18-line block ×5, first 2 shown]
	v_add_f64_e32 v[144:145], v[160:161], v[158:159]
	v_add_f64_e32 v[150:151], v[150:151], v[156:157]
	s_wait_loadcnt_dscnt 0xa00
	v_mul_f64_e32 v[156:157], v[122:123], v[14:15]
	v_mul_f64_e32 v[14:15], v[124:125], v[14:15]
	v_fmac_f64_e32 v[152:153], v[6:7], v[126:127]
	v_fma_f64 v[158:159], v[4:5], v[126:127], -v[128:129]
	ds_load_b128 v[4:7], v2 offset:1120
	ds_load_b128 v[126:129], v2 offset:1136
	v_add_f64_e32 v[142:143], v[144:145], v[142:143]
	v_add_f64_e32 v[144:145], v[150:151], v[154:155]
	v_fmac_f64_e32 v[156:157], v[124:125], v[12:13]
	v_fma_f64 v[12:13], v[122:123], v[12:13], -v[14:15]
	s_wait_loadcnt_dscnt 0x901
	v_mul_f64_e32 v[150:151], v[4:5], v[112:113]
	v_mul_f64_e32 v[112:113], v[6:7], v[112:113]
	s_wait_loadcnt_dscnt 0x800
	v_mul_f64_e32 v[124:125], v[126:127], v[22:23]
	v_mul_f64_e32 v[22:23], v[128:129], v[22:23]
	v_add_f64_e32 v[14:15], v[142:143], v[158:159]
	v_add_f64_e32 v[122:123], v[144:145], v[152:153]
	v_fmac_f64_e32 v[150:151], v[6:7], v[110:111]
	v_fma_f64 v[110:111], v[4:5], v[110:111], -v[112:113]
	v_fmac_f64_e32 v[124:125], v[128:129], v[20:21]
	v_fma_f64 v[20:21], v[126:127], v[20:21], -v[22:23]
	v_add_f64_e32 v[112:113], v[14:15], v[12:13]
	v_add_f64_e32 v[122:123], v[122:123], v[156:157]
	ds_load_b128 v[4:7], v2 offset:1152
	ds_load_b128 v[12:15], v2 offset:1168
	s_wait_loadcnt_dscnt 0x701
	v_mul_f64_e32 v[142:143], v[4:5], v[120:121]
	v_mul_f64_e32 v[120:121], v[6:7], v[120:121]
	v_add_f64_e32 v[22:23], v[112:113], v[110:111]
	v_add_f64_e32 v[110:111], v[122:123], v[150:151]
	s_wait_loadcnt_dscnt 0x600
	v_mul_f64_e32 v[112:113], v[12:13], v[108:109]
	v_mul_f64_e32 v[108:109], v[14:15], v[108:109]
	v_fmac_f64_e32 v[142:143], v[6:7], v[118:119]
	v_fma_f64 v[118:119], v[4:5], v[118:119], -v[120:121]
	v_add_f64_e32 v[120:121], v[22:23], v[20:21]
	v_add_f64_e32 v[110:111], v[110:111], v[124:125]
	ds_load_b128 v[4:7], v2 offset:1184
	ds_load_b128 v[20:23], v2 offset:1200
	v_fmac_f64_e32 v[112:113], v[14:15], v[106:107]
	v_fma_f64 v[12:13], v[12:13], v[106:107], -v[108:109]
	s_wait_loadcnt_dscnt 0x501
	v_mul_f64_e32 v[122:123], v[4:5], v[132:133]
	v_mul_f64_e32 v[124:125], v[6:7], v[132:133]
	s_wait_loadcnt_dscnt 0x400
	v_mul_f64_e32 v[108:109], v[20:21], v[116:117]
	v_add_f64_e32 v[14:15], v[120:121], v[118:119]
	v_add_f64_e32 v[106:107], v[110:111], v[142:143]
	v_mul_f64_e32 v[110:111], v[22:23], v[116:117]
	v_fmac_f64_e32 v[122:123], v[6:7], v[130:131]
	v_fma_f64 v[116:117], v[4:5], v[130:131], -v[124:125]
	v_fmac_f64_e32 v[108:109], v[22:23], v[114:115]
	v_add_f64_e32 v[118:119], v[14:15], v[12:13]
	v_add_f64_e32 v[106:107], v[106:107], v[112:113]
	ds_load_b128 v[4:7], v2 offset:1216
	ds_load_b128 v[12:15], v2 offset:1232
	v_fma_f64 v[20:21], v[20:21], v[114:115], -v[110:111]
	s_wait_loadcnt_dscnt 0x301
	v_mul_f64_e32 v[112:113], v[4:5], v[148:149]
	v_mul_f64_e32 v[120:121], v[6:7], v[148:149]
	s_wait_loadcnt_dscnt 0x200
	v_mul_f64_e32 v[110:111], v[12:13], v[10:11]
	v_mul_f64_e32 v[10:11], v[14:15], v[10:11]
	v_add_f64_e32 v[22:23], v[118:119], v[116:117]
	v_add_f64_e32 v[106:107], v[106:107], v[122:123]
	v_fmac_f64_e32 v[112:113], v[6:7], v[146:147]
	v_fma_f64 v[114:115], v[4:5], v[146:147], -v[120:121]
	v_fmac_f64_e32 v[110:111], v[14:15], v[8:9]
	v_fma_f64 v[8:9], v[12:13], v[8:9], -v[10:11]
	v_add_f64_e32 v[116:117], v[22:23], v[20:21]
	v_add_f64_e32 v[106:107], v[106:107], v[108:109]
	ds_load_b128 v[4:7], v2 offset:1248
	ds_load_b128 v[20:23], v2 offset:1264
	s_wait_loadcnt_dscnt 0x101
	v_mul_f64_e32 v[2:3], v[4:5], v[136:137]
	v_mul_f64_e32 v[108:109], v[6:7], v[136:137]
	s_wait_loadcnt_dscnt 0x0
	v_mul_f64_e32 v[14:15], v[20:21], v[18:19]
	v_mul_f64_e32 v[18:19], v[22:23], v[18:19]
	v_add_f64_e32 v[10:11], v[116:117], v[114:115]
	v_add_f64_e32 v[12:13], v[106:107], v[112:113]
	v_fmac_f64_e32 v[2:3], v[6:7], v[134:135]
	v_fma_f64 v[4:5], v[4:5], v[134:135], -v[108:109]
	v_fmac_f64_e32 v[14:15], v[22:23], v[16:17]
	v_add_f64_e32 v[6:7], v[10:11], v[8:9]
	v_add_f64_e32 v[8:9], v[12:13], v[110:111]
	v_fma_f64 v[10:11], v[20:21], v[16:17], -v[18:19]
	s_delay_alu instid0(VALU_DEP_3) | instskip(NEXT) | instid1(VALU_DEP_3)
	v_add_f64_e32 v[4:5], v[6:7], v[4:5]
	v_add_f64_e32 v[2:3], v[8:9], v[2:3]
	s_delay_alu instid0(VALU_DEP_2) | instskip(NEXT) | instid1(VALU_DEP_2)
	v_add_f64_e32 v[4:5], v[4:5], v[10:11]
	v_add_f64_e32 v[6:7], v[2:3], v[14:15]
	s_delay_alu instid0(VALU_DEP_2) | instskip(NEXT) | instid1(VALU_DEP_2)
	v_add_f64_e64 v[2:3], v[138:139], -v[4:5]
	v_add_f64_e64 v[4:5], v[140:141], -v[6:7]
	scratch_store_b128 off, v[2:5], off offset:176
	s_wait_xcnt 0x0
	v_cmpx_lt_u32_e32 10, v1
	s_cbranch_execz .LBB39_233
; %bb.232:
	scratch_load_b128 v[2:5], off, s44
	v_mov_b32_e32 v6, 0
	s_delay_alu instid0(VALU_DEP_1)
	v_dual_mov_b32 v7, v6 :: v_dual_mov_b32 v8, v6
	v_mov_b32_e32 v9, v6
	scratch_store_b128 off, v[6:9], off offset:160
	s_wait_loadcnt 0x0
	ds_store_b128 v104, v[2:5]
.LBB39_233:
	s_wait_xcnt 0x0
	s_or_b32 exec_lo, exec_lo, s2
	s_wait_storecnt_dscnt 0x0
	s_barrier_signal -1
	s_barrier_wait -1
	s_clause 0x9
	scratch_load_b128 v[4:7], off, off offset:176
	scratch_load_b128 v[8:11], off, off offset:192
	;; [unrolled: 1-line block ×10, first 2 shown]
	v_mov_b32_e32 v2, 0
	s_mov_b32 s2, exec_lo
	ds_load_b128 v[126:129], v2 offset:816
	s_clause 0x2
	scratch_load_b128 v[130:133], off, off offset:336
	scratch_load_b128 v[134:137], off, off offset:160
	;; [unrolled: 1-line block ×3, first 2 shown]
	s_wait_loadcnt_dscnt 0xc00
	v_mul_f64_e32 v[146:147], v[128:129], v[6:7]
	v_mul_f64_e32 v[150:151], v[126:127], v[6:7]
	ds_load_b128 v[138:141], v2 offset:832
	v_fma_f64 v[154:155], v[126:127], v[4:5], -v[146:147]
	v_fmac_f64_e32 v[150:151], v[128:129], v[4:5]
	ds_load_b128 v[4:7], v2 offset:848
	s_wait_loadcnt_dscnt 0xb01
	v_mul_f64_e32 v[152:153], v[138:139], v[10:11]
	v_mul_f64_e32 v[10:11], v[140:141], v[10:11]
	scratch_load_b128 v[126:129], off, off offset:368
	ds_load_b128 v[146:149], v2 offset:864
	s_wait_loadcnt_dscnt 0xb01
	v_mul_f64_e32 v[156:157], v[4:5], v[14:15]
	v_mul_f64_e32 v[14:15], v[6:7], v[14:15]
	v_add_f64_e32 v[150:151], 0, v[150:151]
	v_fmac_f64_e32 v[152:153], v[140:141], v[8:9]
	v_fma_f64 v[138:139], v[138:139], v[8:9], -v[10:11]
	v_add_f64_e32 v[140:141], 0, v[154:155]
	scratch_load_b128 v[8:11], off, off offset:384
	v_fmac_f64_e32 v[156:157], v[6:7], v[12:13]
	v_fma_f64 v[158:159], v[4:5], v[12:13], -v[14:15]
	ds_load_b128 v[4:7], v2 offset:880
	s_wait_loadcnt_dscnt 0xb01
	v_mul_f64_e32 v[154:155], v[146:147], v[18:19]
	v_mul_f64_e32 v[18:19], v[148:149], v[18:19]
	scratch_load_b128 v[12:15], off, off offset:400
	v_add_f64_e32 v[150:151], v[150:151], v[152:153]
	v_add_f64_e32 v[160:161], v[140:141], v[138:139]
	ds_load_b128 v[138:141], v2 offset:896
	s_wait_loadcnt_dscnt 0xb01
	v_mul_f64_e32 v[152:153], v[4:5], v[22:23]
	v_mul_f64_e32 v[22:23], v[6:7], v[22:23]
	v_fmac_f64_e32 v[154:155], v[148:149], v[16:17]
	v_fma_f64 v[146:147], v[146:147], v[16:17], -v[18:19]
	scratch_load_b128 v[16:19], off, off offset:416
	v_add_f64_e32 v[150:151], v[150:151], v[156:157]
	v_add_f64_e32 v[148:149], v[160:161], v[158:159]
	v_fmac_f64_e32 v[152:153], v[6:7], v[20:21]
	v_fma_f64 v[158:159], v[4:5], v[20:21], -v[22:23]
	ds_load_b128 v[4:7], v2 offset:912
	s_wait_loadcnt_dscnt 0xb01
	v_mul_f64_e32 v[156:157], v[138:139], v[108:109]
	v_mul_f64_e32 v[108:109], v[140:141], v[108:109]
	scratch_load_b128 v[20:23], off, off offset:432
	v_add_f64_e32 v[150:151], v[150:151], v[154:155]
	s_wait_loadcnt_dscnt 0xb00
	v_mul_f64_e32 v[154:155], v[4:5], v[112:113]
	v_add_f64_e32 v[160:161], v[148:149], v[146:147]
	v_mul_f64_e32 v[112:113], v[6:7], v[112:113]
	ds_load_b128 v[146:149], v2 offset:928
	v_fmac_f64_e32 v[156:157], v[140:141], v[106:107]
	v_fma_f64 v[138:139], v[138:139], v[106:107], -v[108:109]
	scratch_load_b128 v[106:109], off, off offset:448
	v_add_f64_e32 v[150:151], v[150:151], v[152:153]
	v_fmac_f64_e32 v[154:155], v[6:7], v[110:111]
	v_add_f64_e32 v[140:141], v[160:161], v[158:159]
	v_fma_f64 v[158:159], v[4:5], v[110:111], -v[112:113]
	ds_load_b128 v[4:7], v2 offset:944
	s_wait_loadcnt_dscnt 0xb01
	v_mul_f64_e32 v[152:153], v[146:147], v[116:117]
	v_mul_f64_e32 v[116:117], v[148:149], v[116:117]
	scratch_load_b128 v[110:113], off, off offset:464
	v_add_f64_e32 v[150:151], v[150:151], v[156:157]
	s_wait_loadcnt_dscnt 0xb00
	v_mul_f64_e32 v[156:157], v[4:5], v[120:121]
	v_add_f64_e32 v[160:161], v[140:141], v[138:139]
	v_mul_f64_e32 v[120:121], v[6:7], v[120:121]
	ds_load_b128 v[138:141], v2 offset:960
	v_fmac_f64_e32 v[152:153], v[148:149], v[114:115]
	v_fma_f64 v[146:147], v[146:147], v[114:115], -v[116:117]
	scratch_load_b128 v[114:117], off, off offset:480
	v_add_f64_e32 v[150:151], v[150:151], v[154:155]
	v_fmac_f64_e32 v[156:157], v[6:7], v[118:119]
	v_add_f64_e32 v[148:149], v[160:161], v[158:159]
	;; [unrolled: 18-line block ×3, first 2 shown]
	v_fma_f64 v[158:159], v[4:5], v[130:131], -v[132:133]
	ds_load_b128 v[4:7], v2 offset:1008
	s_wait_loadcnt_dscnt 0xa01
	v_mul_f64_e32 v[156:157], v[146:147], v[144:145]
	v_mul_f64_e32 v[144:145], v[148:149], v[144:145]
	scratch_load_b128 v[130:133], off, off offset:528
	v_add_f64_e32 v[150:151], v[150:151], v[154:155]
	v_add_f64_e32 v[160:161], v[140:141], v[138:139]
	s_wait_loadcnt_dscnt 0xa00
	v_mul_f64_e32 v[154:155], v[4:5], v[128:129]
	v_mul_f64_e32 v[128:129], v[6:7], v[128:129]
	v_fmac_f64_e32 v[156:157], v[148:149], v[142:143]
	v_fma_f64 v[146:147], v[146:147], v[142:143], -v[144:145]
	ds_load_b128 v[138:141], v2 offset:1024
	scratch_load_b128 v[142:145], off, off offset:544
	v_add_f64_e32 v[150:151], v[150:151], v[152:153]
	v_add_f64_e32 v[148:149], v[160:161], v[158:159]
	v_fmac_f64_e32 v[154:155], v[6:7], v[126:127]
	v_fma_f64 v[158:159], v[4:5], v[126:127], -v[128:129]
	ds_load_b128 v[4:7], v2 offset:1040
	s_wait_loadcnt_dscnt 0xa01
	v_mul_f64_e32 v[152:153], v[138:139], v[10:11]
	v_mul_f64_e32 v[10:11], v[140:141], v[10:11]
	scratch_load_b128 v[126:129], off, off offset:560
	v_add_f64_e32 v[150:151], v[150:151], v[156:157]
	s_wait_loadcnt_dscnt 0xa00
	v_mul_f64_e32 v[156:157], v[4:5], v[14:15]
	v_add_f64_e32 v[160:161], v[148:149], v[146:147]
	v_mul_f64_e32 v[14:15], v[6:7], v[14:15]
	ds_load_b128 v[146:149], v2 offset:1056
	v_fmac_f64_e32 v[152:153], v[140:141], v[8:9]
	v_fma_f64 v[138:139], v[138:139], v[8:9], -v[10:11]
	scratch_load_b128 v[8:11], off, off offset:576
	v_add_f64_e32 v[150:151], v[150:151], v[154:155]
	v_fmac_f64_e32 v[156:157], v[6:7], v[12:13]
	v_add_f64_e32 v[140:141], v[160:161], v[158:159]
	v_fma_f64 v[158:159], v[4:5], v[12:13], -v[14:15]
	ds_load_b128 v[4:7], v2 offset:1072
	s_wait_loadcnt_dscnt 0xa01
	v_mul_f64_e32 v[154:155], v[146:147], v[18:19]
	v_mul_f64_e32 v[18:19], v[148:149], v[18:19]
	scratch_load_b128 v[12:15], off, off offset:592
	v_add_f64_e32 v[150:151], v[150:151], v[152:153]
	s_wait_loadcnt_dscnt 0xa00
	v_mul_f64_e32 v[152:153], v[4:5], v[22:23]
	v_add_f64_e32 v[160:161], v[140:141], v[138:139]
	v_mul_f64_e32 v[22:23], v[6:7], v[22:23]
	ds_load_b128 v[138:141], v2 offset:1088
	v_fmac_f64_e32 v[154:155], v[148:149], v[16:17]
	v_fma_f64 v[146:147], v[146:147], v[16:17], -v[18:19]
	scratch_load_b128 v[16:19], off, off offset:608
	v_add_f64_e32 v[150:151], v[150:151], v[156:157]
	v_fmac_f64_e32 v[152:153], v[6:7], v[20:21]
	v_add_f64_e32 v[148:149], v[160:161], v[158:159]
	v_fma_f64 v[158:159], v[4:5], v[20:21], -v[22:23]
	ds_load_b128 v[4:7], v2 offset:1104
	s_wait_loadcnt_dscnt 0xa01
	v_mul_f64_e32 v[156:157], v[138:139], v[108:109]
	v_mul_f64_e32 v[108:109], v[140:141], v[108:109]
	scratch_load_b128 v[20:23], off, off offset:624
	v_add_f64_e32 v[150:151], v[150:151], v[154:155]
	s_wait_loadcnt_dscnt 0xa00
	v_mul_f64_e32 v[154:155], v[4:5], v[112:113]
	v_add_f64_e32 v[160:161], v[148:149], v[146:147]
	v_mul_f64_e32 v[112:113], v[6:7], v[112:113]
	ds_load_b128 v[146:149], v2 offset:1120
	v_fmac_f64_e32 v[156:157], v[140:141], v[106:107]
	v_fma_f64 v[106:107], v[138:139], v[106:107], -v[108:109]
	s_wait_loadcnt_dscnt 0x900
	v_mul_f64_e32 v[140:141], v[146:147], v[116:117]
	v_mul_f64_e32 v[116:117], v[148:149], v[116:117]
	v_add_f64_e32 v[138:139], v[150:151], v[152:153]
	v_fmac_f64_e32 v[154:155], v[6:7], v[110:111]
	v_add_f64_e32 v[108:109], v[160:161], v[158:159]
	v_fma_f64 v[110:111], v[4:5], v[110:111], -v[112:113]
	v_fmac_f64_e32 v[140:141], v[148:149], v[114:115]
	v_fma_f64 v[114:115], v[146:147], v[114:115], -v[116:117]
	v_add_f64_e32 v[138:139], v[138:139], v[156:157]
	v_add_f64_e32 v[112:113], v[108:109], v[106:107]
	ds_load_b128 v[4:7], v2 offset:1136
	ds_load_b128 v[106:109], v2 offset:1152
	s_wait_loadcnt_dscnt 0x801
	v_mul_f64_e32 v[150:151], v[4:5], v[120:121]
	v_mul_f64_e32 v[120:121], v[6:7], v[120:121]
	s_wait_loadcnt_dscnt 0x700
	v_mul_f64_e32 v[116:117], v[106:107], v[124:125]
	v_mul_f64_e32 v[124:125], v[108:109], v[124:125]
	v_add_f64_e32 v[110:111], v[112:113], v[110:111]
	v_add_f64_e32 v[112:113], v[138:139], v[154:155]
	v_fmac_f64_e32 v[150:151], v[6:7], v[118:119]
	v_fma_f64 v[118:119], v[4:5], v[118:119], -v[120:121]
	v_fmac_f64_e32 v[116:117], v[108:109], v[122:123]
	v_fma_f64 v[106:107], v[106:107], v[122:123], -v[124:125]
	v_add_f64_e32 v[114:115], v[110:111], v[114:115]
	v_add_f64_e32 v[120:121], v[112:113], v[140:141]
	ds_load_b128 v[4:7], v2 offset:1168
	ds_load_b128 v[110:113], v2 offset:1184
	s_wait_loadcnt_dscnt 0x601
	v_mul_f64_e32 v[138:139], v[4:5], v[132:133]
	v_mul_f64_e32 v[132:133], v[6:7], v[132:133]
	v_add_f64_e32 v[108:109], v[114:115], v[118:119]
	v_add_f64_e32 v[114:115], v[120:121], v[150:151]
	s_wait_loadcnt_dscnt 0x500
	v_mul_f64_e32 v[118:119], v[110:111], v[144:145]
	v_mul_f64_e32 v[120:121], v[112:113], v[144:145]
	v_fmac_f64_e32 v[138:139], v[6:7], v[130:131]
	v_fma_f64 v[122:123], v[4:5], v[130:131], -v[132:133]
	v_add_f64_e32 v[124:125], v[108:109], v[106:107]
	v_add_f64_e32 v[114:115], v[114:115], v[116:117]
	ds_load_b128 v[4:7], v2 offset:1200
	ds_load_b128 v[106:109], v2 offset:1216
	v_fmac_f64_e32 v[118:119], v[112:113], v[142:143]
	v_fma_f64 v[110:111], v[110:111], v[142:143], -v[120:121]
	s_wait_loadcnt_dscnt 0x401
	v_mul_f64_e32 v[116:117], v[4:5], v[128:129]
	v_mul_f64_e32 v[128:129], v[6:7], v[128:129]
	s_wait_loadcnt_dscnt 0x300
	v_mul_f64_e32 v[120:121], v[106:107], v[10:11]
	v_mul_f64_e32 v[10:11], v[108:109], v[10:11]
	v_add_f64_e32 v[112:113], v[124:125], v[122:123]
	v_add_f64_e32 v[114:115], v[114:115], v[138:139]
	v_fmac_f64_e32 v[116:117], v[6:7], v[126:127]
	v_fma_f64 v[122:123], v[4:5], v[126:127], -v[128:129]
	v_fmac_f64_e32 v[120:121], v[108:109], v[8:9]
	v_fma_f64 v[8:9], v[106:107], v[8:9], -v[10:11]
	v_add_f64_e32 v[124:125], v[112:113], v[110:111]
	v_add_f64_e32 v[114:115], v[114:115], v[118:119]
	ds_load_b128 v[4:7], v2 offset:1232
	ds_load_b128 v[110:113], v2 offset:1248
	s_wait_loadcnt_dscnt 0x201
	v_mul_f64_e32 v[118:119], v[4:5], v[14:15]
	v_mul_f64_e32 v[14:15], v[6:7], v[14:15]
	s_wait_loadcnt_dscnt 0x100
	v_mul_f64_e32 v[108:109], v[110:111], v[18:19]
	v_mul_f64_e32 v[18:19], v[112:113], v[18:19]
	v_add_f64_e32 v[10:11], v[124:125], v[122:123]
	v_add_f64_e32 v[106:107], v[114:115], v[116:117]
	v_fmac_f64_e32 v[118:119], v[6:7], v[12:13]
	v_fma_f64 v[12:13], v[4:5], v[12:13], -v[14:15]
	ds_load_b128 v[4:7], v2 offset:1264
	v_fmac_f64_e32 v[108:109], v[112:113], v[16:17]
	v_fma_f64 v[16:17], v[110:111], v[16:17], -v[18:19]
	v_add_f64_e32 v[8:9], v[10:11], v[8:9]
	v_add_f64_e32 v[10:11], v[106:107], v[120:121]
	s_wait_loadcnt_dscnt 0x0
	v_mul_f64_e32 v[14:15], v[4:5], v[22:23]
	v_mul_f64_e32 v[22:23], v[6:7], v[22:23]
	s_delay_alu instid0(VALU_DEP_4) | instskip(NEXT) | instid1(VALU_DEP_4)
	v_add_f64_e32 v[8:9], v[8:9], v[12:13]
	v_add_f64_e32 v[10:11], v[10:11], v[118:119]
	s_delay_alu instid0(VALU_DEP_4) | instskip(NEXT) | instid1(VALU_DEP_4)
	v_fmac_f64_e32 v[14:15], v[6:7], v[20:21]
	v_fma_f64 v[4:5], v[4:5], v[20:21], -v[22:23]
	s_delay_alu instid0(VALU_DEP_4) | instskip(NEXT) | instid1(VALU_DEP_4)
	v_add_f64_e32 v[6:7], v[8:9], v[16:17]
	v_add_f64_e32 v[8:9], v[10:11], v[108:109]
	s_delay_alu instid0(VALU_DEP_2) | instskip(NEXT) | instid1(VALU_DEP_2)
	v_add_f64_e32 v[4:5], v[6:7], v[4:5]
	v_add_f64_e32 v[6:7], v[8:9], v[14:15]
	s_delay_alu instid0(VALU_DEP_2) | instskip(NEXT) | instid1(VALU_DEP_2)
	v_add_f64_e64 v[4:5], v[134:135], -v[4:5]
	v_add_f64_e64 v[6:7], v[136:137], -v[6:7]
	scratch_store_b128 off, v[4:7], off offset:160
	s_wait_xcnt 0x0
	v_cmpx_lt_u32_e32 9, v1
	s_cbranch_execz .LBB39_235
; %bb.234:
	scratch_load_b128 v[6:9], off, s42
	v_dual_mov_b32 v3, v2 :: v_dual_mov_b32 v4, v2
	v_mov_b32_e32 v5, v2
	scratch_store_b128 off, v[2:5], off offset:144
	s_wait_loadcnt 0x0
	ds_store_b128 v104, v[6:9]
.LBB39_235:
	s_wait_xcnt 0x0
	s_or_b32 exec_lo, exec_lo, s2
	s_wait_storecnt_dscnt 0x0
	s_barrier_signal -1
	s_barrier_wait -1
	s_clause 0x9
	scratch_load_b128 v[4:7], off, off offset:160
	scratch_load_b128 v[8:11], off, off offset:176
	;; [unrolled: 1-line block ×10, first 2 shown]
	ds_load_b128 v[126:129], v2 offset:800
	ds_load_b128 v[134:137], v2 offset:816
	s_clause 0x2
	scratch_load_b128 v[130:133], off, off offset:320
	scratch_load_b128 v[138:141], off, off offset:144
	;; [unrolled: 1-line block ×3, first 2 shown]
	s_mov_b32 s2, exec_lo
	s_wait_loadcnt_dscnt 0xc01
	v_mul_f64_e32 v[146:147], v[128:129], v[6:7]
	v_mul_f64_e32 v[150:151], v[126:127], v[6:7]
	s_wait_loadcnt_dscnt 0xb00
	v_mul_f64_e32 v[152:153], v[134:135], v[10:11]
	v_mul_f64_e32 v[10:11], v[136:137], v[10:11]
	s_delay_alu instid0(VALU_DEP_4) | instskip(NEXT) | instid1(VALU_DEP_4)
	v_fma_f64 v[154:155], v[126:127], v[4:5], -v[146:147]
	v_fmac_f64_e32 v[150:151], v[128:129], v[4:5]
	ds_load_b128 v[4:7], v2 offset:832
	ds_load_b128 v[126:129], v2 offset:848
	scratch_load_b128 v[146:149], off, off offset:352
	v_fmac_f64_e32 v[152:153], v[136:137], v[8:9]
	v_fma_f64 v[134:135], v[134:135], v[8:9], -v[10:11]
	scratch_load_b128 v[8:11], off, off offset:368
	s_wait_loadcnt_dscnt 0xc01
	v_mul_f64_e32 v[156:157], v[4:5], v[14:15]
	v_mul_f64_e32 v[14:15], v[6:7], v[14:15]
	v_add_f64_e32 v[136:137], 0, v[154:155]
	v_add_f64_e32 v[150:151], 0, v[150:151]
	s_wait_loadcnt_dscnt 0xb00
	v_mul_f64_e32 v[154:155], v[126:127], v[18:19]
	v_mul_f64_e32 v[18:19], v[128:129], v[18:19]
	v_fmac_f64_e32 v[156:157], v[6:7], v[12:13]
	v_fma_f64 v[158:159], v[4:5], v[12:13], -v[14:15]
	ds_load_b128 v[4:7], v2 offset:864
	ds_load_b128 v[12:15], v2 offset:880
	v_add_f64_e32 v[160:161], v[136:137], v[134:135]
	v_add_f64_e32 v[150:151], v[150:151], v[152:153]
	scratch_load_b128 v[134:137], off, off offset:384
	v_fmac_f64_e32 v[154:155], v[128:129], v[16:17]
	v_fma_f64 v[126:127], v[126:127], v[16:17], -v[18:19]
	scratch_load_b128 v[16:19], off, off offset:400
	s_wait_loadcnt_dscnt 0xc01
	v_mul_f64_e32 v[152:153], v[4:5], v[22:23]
	v_mul_f64_e32 v[22:23], v[6:7], v[22:23]
	v_add_f64_e32 v[128:129], v[160:161], v[158:159]
	v_add_f64_e32 v[150:151], v[150:151], v[156:157]
	s_wait_loadcnt_dscnt 0xb00
	v_mul_f64_e32 v[156:157], v[12:13], v[108:109]
	v_mul_f64_e32 v[108:109], v[14:15], v[108:109]
	v_fmac_f64_e32 v[152:153], v[6:7], v[20:21]
	v_fma_f64 v[158:159], v[4:5], v[20:21], -v[22:23]
	ds_load_b128 v[4:7], v2 offset:896
	ds_load_b128 v[20:23], v2 offset:912
	v_add_f64_e32 v[160:161], v[128:129], v[126:127]
	v_add_f64_e32 v[150:151], v[150:151], v[154:155]
	scratch_load_b128 v[126:129], off, off offset:416
	s_wait_loadcnt_dscnt 0xb01
	v_mul_f64_e32 v[154:155], v[4:5], v[112:113]
	v_mul_f64_e32 v[112:113], v[6:7], v[112:113]
	v_fmac_f64_e32 v[156:157], v[14:15], v[106:107]
	v_fma_f64 v[106:107], v[12:13], v[106:107], -v[108:109]
	scratch_load_b128 v[12:15], off, off offset:432
	v_add_f64_e32 v[108:109], v[160:161], v[158:159]
	v_add_f64_e32 v[150:151], v[150:151], v[152:153]
	s_wait_loadcnt_dscnt 0xb00
	v_mul_f64_e32 v[152:153], v[20:21], v[116:117]
	v_mul_f64_e32 v[116:117], v[22:23], v[116:117]
	v_fmac_f64_e32 v[154:155], v[6:7], v[110:111]
	v_fma_f64 v[158:159], v[4:5], v[110:111], -v[112:113]
	v_add_f64_e32 v[160:161], v[108:109], v[106:107]
	v_add_f64_e32 v[150:151], v[150:151], v[156:157]
	ds_load_b128 v[4:7], v2 offset:928
	ds_load_b128 v[106:109], v2 offset:944
	scratch_load_b128 v[110:113], off, off offset:448
	v_fmac_f64_e32 v[152:153], v[22:23], v[114:115]
	v_fma_f64 v[114:115], v[20:21], v[114:115], -v[116:117]
	scratch_load_b128 v[20:23], off, off offset:464
	s_wait_loadcnt_dscnt 0xc01
	v_mul_f64_e32 v[156:157], v[4:5], v[120:121]
	v_mul_f64_e32 v[120:121], v[6:7], v[120:121]
	v_add_f64_e32 v[116:117], v[160:161], v[158:159]
	v_add_f64_e32 v[150:151], v[150:151], v[154:155]
	s_wait_loadcnt_dscnt 0xb00
	v_mul_f64_e32 v[154:155], v[106:107], v[124:125]
	v_mul_f64_e32 v[124:125], v[108:109], v[124:125]
	v_fmac_f64_e32 v[156:157], v[6:7], v[118:119]
	v_fma_f64 v[158:159], v[4:5], v[118:119], -v[120:121]
	v_add_f64_e32 v[160:161], v[116:117], v[114:115]
	v_add_f64_e32 v[150:151], v[150:151], v[152:153]
	ds_load_b128 v[4:7], v2 offset:960
	ds_load_b128 v[114:117], v2 offset:976
	scratch_load_b128 v[118:121], off, off offset:480
	v_fmac_f64_e32 v[154:155], v[108:109], v[122:123]
	v_fma_f64 v[122:123], v[106:107], v[122:123], -v[124:125]
	scratch_load_b128 v[106:109], off, off offset:496
	s_wait_loadcnt_dscnt 0xc01
	v_mul_f64_e32 v[152:153], v[4:5], v[132:133]
	v_mul_f64_e32 v[132:133], v[6:7], v[132:133]
	;; [unrolled: 18-line block ×5, first 2 shown]
	v_add_f64_e32 v[144:145], v[160:161], v[158:159]
	v_add_f64_e32 v[150:151], v[150:151], v[156:157]
	s_wait_loadcnt_dscnt 0xa00
	v_mul_f64_e32 v[156:157], v[122:123], v[14:15]
	v_mul_f64_e32 v[14:15], v[124:125], v[14:15]
	v_fmac_f64_e32 v[152:153], v[6:7], v[126:127]
	v_fma_f64 v[158:159], v[4:5], v[126:127], -v[128:129]
	ds_load_b128 v[4:7], v2 offset:1088
	ds_load_b128 v[126:129], v2 offset:1104
	v_add_f64_e32 v[160:161], v[144:145], v[142:143]
	v_add_f64_e32 v[150:151], v[150:151], v[154:155]
	scratch_load_b128 v[142:145], off, off offset:608
	v_fmac_f64_e32 v[156:157], v[124:125], v[12:13]
	v_fma_f64 v[122:123], v[122:123], v[12:13], -v[14:15]
	scratch_load_b128 v[12:15], off, off offset:624
	s_wait_loadcnt_dscnt 0xb01
	v_mul_f64_e32 v[154:155], v[4:5], v[112:113]
	v_mul_f64_e32 v[112:113], v[6:7], v[112:113]
	v_add_f64_e32 v[124:125], v[160:161], v[158:159]
	v_add_f64_e32 v[150:151], v[150:151], v[152:153]
	s_wait_loadcnt_dscnt 0xa00
	v_mul_f64_e32 v[152:153], v[126:127], v[22:23]
	v_mul_f64_e32 v[22:23], v[128:129], v[22:23]
	v_fmac_f64_e32 v[154:155], v[6:7], v[110:111]
	v_fma_f64 v[158:159], v[4:5], v[110:111], -v[112:113]
	ds_load_b128 v[4:7], v2 offset:1120
	ds_load_b128 v[110:113], v2 offset:1136
	v_add_f64_e32 v[122:123], v[124:125], v[122:123]
	v_add_f64_e32 v[124:125], v[150:151], v[156:157]
	v_fmac_f64_e32 v[152:153], v[128:129], v[20:21]
	s_wait_loadcnt_dscnt 0x901
	v_mul_f64_e32 v[150:151], v[4:5], v[120:121]
	v_mul_f64_e32 v[120:121], v[6:7], v[120:121]
	v_fma_f64 v[20:21], v[126:127], v[20:21], -v[22:23]
	v_add_f64_e32 v[22:23], v[122:123], v[158:159]
	v_add_f64_e32 v[122:123], v[124:125], v[154:155]
	s_wait_loadcnt_dscnt 0x800
	v_mul_f64_e32 v[124:125], v[110:111], v[108:109]
	v_mul_f64_e32 v[108:109], v[112:113], v[108:109]
	v_fmac_f64_e32 v[150:151], v[6:7], v[118:119]
	v_fma_f64 v[118:119], v[4:5], v[118:119], -v[120:121]
	v_add_f64_e32 v[120:121], v[22:23], v[20:21]
	v_add_f64_e32 v[122:123], v[122:123], v[152:153]
	ds_load_b128 v[4:7], v2 offset:1152
	ds_load_b128 v[20:23], v2 offset:1168
	v_fmac_f64_e32 v[124:125], v[112:113], v[106:107]
	v_fma_f64 v[106:107], v[110:111], v[106:107], -v[108:109]
	s_wait_loadcnt_dscnt 0x701
	v_mul_f64_e32 v[126:127], v[4:5], v[132:133]
	v_mul_f64_e32 v[128:129], v[6:7], v[132:133]
	s_wait_loadcnt_dscnt 0x600
	v_mul_f64_e32 v[112:113], v[20:21], v[116:117]
	v_mul_f64_e32 v[116:117], v[22:23], v[116:117]
	v_add_f64_e32 v[108:109], v[120:121], v[118:119]
	v_add_f64_e32 v[110:111], v[122:123], v[150:151]
	v_fmac_f64_e32 v[126:127], v[6:7], v[130:131]
	v_fma_f64 v[118:119], v[4:5], v[130:131], -v[128:129]
	v_fmac_f64_e32 v[112:113], v[22:23], v[114:115]
	v_fma_f64 v[20:21], v[20:21], v[114:115], -v[116:117]
	v_add_f64_e32 v[120:121], v[108:109], v[106:107]
	v_add_f64_e32 v[110:111], v[110:111], v[124:125]
	ds_load_b128 v[4:7], v2 offset:1184
	ds_load_b128 v[106:109], v2 offset:1200
	s_wait_loadcnt_dscnt 0x501
	v_mul_f64_e32 v[122:123], v[4:5], v[148:149]
	v_mul_f64_e32 v[124:125], v[6:7], v[148:149]
	s_wait_loadcnt_dscnt 0x400
	v_mul_f64_e32 v[114:115], v[106:107], v[10:11]
	v_mul_f64_e32 v[10:11], v[108:109], v[10:11]
	v_add_f64_e32 v[22:23], v[120:121], v[118:119]
	v_add_f64_e32 v[110:111], v[110:111], v[126:127]
	v_fmac_f64_e32 v[122:123], v[6:7], v[146:147]
	v_fma_f64 v[116:117], v[4:5], v[146:147], -v[124:125]
	v_fmac_f64_e32 v[114:115], v[108:109], v[8:9]
	v_fma_f64 v[8:9], v[106:107], v[8:9], -v[10:11]
	v_add_f64_e32 v[118:119], v[22:23], v[20:21]
	v_add_f64_e32 v[110:111], v[110:111], v[112:113]
	ds_load_b128 v[4:7], v2 offset:1216
	ds_load_b128 v[20:23], v2 offset:1232
	s_wait_loadcnt_dscnt 0x301
	v_mul_f64_e32 v[112:113], v[4:5], v[136:137]
	v_mul_f64_e32 v[120:121], v[6:7], v[136:137]
	s_wait_loadcnt_dscnt 0x200
	v_mul_f64_e32 v[108:109], v[20:21], v[18:19]
	v_mul_f64_e32 v[18:19], v[22:23], v[18:19]
	v_add_f64_e32 v[10:11], v[118:119], v[116:117]
	v_add_f64_e32 v[106:107], v[110:111], v[122:123]
	v_fmac_f64_e32 v[112:113], v[6:7], v[134:135]
	v_fma_f64 v[110:111], v[4:5], v[134:135], -v[120:121]
	v_fmac_f64_e32 v[108:109], v[22:23], v[16:17]
	v_fma_f64 v[16:17], v[20:21], v[16:17], -v[18:19]
	v_add_f64_e32 v[116:117], v[10:11], v[8:9]
	v_add_f64_e32 v[106:107], v[106:107], v[114:115]
	ds_load_b128 v[4:7], v2 offset:1248
	ds_load_b128 v[8:11], v2 offset:1264
	s_wait_loadcnt_dscnt 0x101
	v_mul_f64_e32 v[2:3], v[4:5], v[144:145]
	v_mul_f64_e32 v[114:115], v[6:7], v[144:145]
	s_wait_loadcnt_dscnt 0x0
	v_mul_f64_e32 v[22:23], v[8:9], v[14:15]
	v_mul_f64_e32 v[14:15], v[10:11], v[14:15]
	v_add_f64_e32 v[18:19], v[116:117], v[110:111]
	v_add_f64_e32 v[20:21], v[106:107], v[112:113]
	v_fmac_f64_e32 v[2:3], v[6:7], v[142:143]
	v_fma_f64 v[4:5], v[4:5], v[142:143], -v[114:115]
	v_fmac_f64_e32 v[22:23], v[10:11], v[12:13]
	v_fma_f64 v[8:9], v[8:9], v[12:13], -v[14:15]
	v_add_f64_e32 v[6:7], v[18:19], v[16:17]
	v_add_f64_e32 v[16:17], v[20:21], v[108:109]
	s_delay_alu instid0(VALU_DEP_2) | instskip(NEXT) | instid1(VALU_DEP_2)
	v_add_f64_e32 v[4:5], v[6:7], v[4:5]
	v_add_f64_e32 v[2:3], v[16:17], v[2:3]
	s_delay_alu instid0(VALU_DEP_2) | instskip(NEXT) | instid1(VALU_DEP_2)
	;; [unrolled: 3-line block ×3, first 2 shown]
	v_add_f64_e64 v[2:3], v[138:139], -v[4:5]
	v_add_f64_e64 v[4:5], v[140:141], -v[6:7]
	scratch_store_b128 off, v[2:5], off offset:144
	s_wait_xcnt 0x0
	v_cmpx_lt_u32_e32 8, v1
	s_cbranch_execz .LBB39_237
; %bb.236:
	scratch_load_b128 v[2:5], off, s41
	v_mov_b32_e32 v6, 0
	s_delay_alu instid0(VALU_DEP_1)
	v_dual_mov_b32 v7, v6 :: v_dual_mov_b32 v8, v6
	v_mov_b32_e32 v9, v6
	scratch_store_b128 off, v[6:9], off offset:128
	s_wait_loadcnt 0x0
	ds_store_b128 v104, v[2:5]
.LBB39_237:
	s_wait_xcnt 0x0
	s_or_b32 exec_lo, exec_lo, s2
	s_wait_storecnt_dscnt 0x0
	s_barrier_signal -1
	s_barrier_wait -1
	s_clause 0x9
	scratch_load_b128 v[4:7], off, off offset:144
	scratch_load_b128 v[8:11], off, off offset:160
	;; [unrolled: 1-line block ×10, first 2 shown]
	v_mov_b32_e32 v2, 0
	s_mov_b32 s2, exec_lo
	ds_load_b128 v[126:129], v2 offset:784
	s_clause 0x2
	scratch_load_b128 v[130:133], off, off offset:304
	scratch_load_b128 v[134:137], off, off offset:128
	;; [unrolled: 1-line block ×3, first 2 shown]
	s_wait_loadcnt_dscnt 0xc00
	v_mul_f64_e32 v[146:147], v[128:129], v[6:7]
	v_mul_f64_e32 v[150:151], v[126:127], v[6:7]
	ds_load_b128 v[138:141], v2 offset:800
	v_fma_f64 v[154:155], v[126:127], v[4:5], -v[146:147]
	v_fmac_f64_e32 v[150:151], v[128:129], v[4:5]
	ds_load_b128 v[4:7], v2 offset:816
	s_wait_loadcnt_dscnt 0xb01
	v_mul_f64_e32 v[152:153], v[138:139], v[10:11]
	v_mul_f64_e32 v[10:11], v[140:141], v[10:11]
	scratch_load_b128 v[126:129], off, off offset:336
	ds_load_b128 v[146:149], v2 offset:832
	s_wait_loadcnt_dscnt 0xb01
	v_mul_f64_e32 v[156:157], v[4:5], v[14:15]
	v_mul_f64_e32 v[14:15], v[6:7], v[14:15]
	v_add_f64_e32 v[150:151], 0, v[150:151]
	v_fmac_f64_e32 v[152:153], v[140:141], v[8:9]
	v_fma_f64 v[138:139], v[138:139], v[8:9], -v[10:11]
	v_add_f64_e32 v[140:141], 0, v[154:155]
	scratch_load_b128 v[8:11], off, off offset:352
	v_fmac_f64_e32 v[156:157], v[6:7], v[12:13]
	v_fma_f64 v[158:159], v[4:5], v[12:13], -v[14:15]
	ds_load_b128 v[4:7], v2 offset:848
	s_wait_loadcnt_dscnt 0xb01
	v_mul_f64_e32 v[154:155], v[146:147], v[18:19]
	v_mul_f64_e32 v[18:19], v[148:149], v[18:19]
	scratch_load_b128 v[12:15], off, off offset:368
	v_add_f64_e32 v[150:151], v[150:151], v[152:153]
	v_add_f64_e32 v[160:161], v[140:141], v[138:139]
	ds_load_b128 v[138:141], v2 offset:864
	s_wait_loadcnt_dscnt 0xb01
	v_mul_f64_e32 v[152:153], v[4:5], v[22:23]
	v_mul_f64_e32 v[22:23], v[6:7], v[22:23]
	v_fmac_f64_e32 v[154:155], v[148:149], v[16:17]
	v_fma_f64 v[146:147], v[146:147], v[16:17], -v[18:19]
	scratch_load_b128 v[16:19], off, off offset:384
	v_add_f64_e32 v[150:151], v[150:151], v[156:157]
	v_add_f64_e32 v[148:149], v[160:161], v[158:159]
	v_fmac_f64_e32 v[152:153], v[6:7], v[20:21]
	v_fma_f64 v[158:159], v[4:5], v[20:21], -v[22:23]
	ds_load_b128 v[4:7], v2 offset:880
	s_wait_loadcnt_dscnt 0xb01
	v_mul_f64_e32 v[156:157], v[138:139], v[108:109]
	v_mul_f64_e32 v[108:109], v[140:141], v[108:109]
	scratch_load_b128 v[20:23], off, off offset:400
	v_add_f64_e32 v[150:151], v[150:151], v[154:155]
	s_wait_loadcnt_dscnt 0xb00
	v_mul_f64_e32 v[154:155], v[4:5], v[112:113]
	v_add_f64_e32 v[160:161], v[148:149], v[146:147]
	v_mul_f64_e32 v[112:113], v[6:7], v[112:113]
	ds_load_b128 v[146:149], v2 offset:896
	v_fmac_f64_e32 v[156:157], v[140:141], v[106:107]
	v_fma_f64 v[138:139], v[138:139], v[106:107], -v[108:109]
	scratch_load_b128 v[106:109], off, off offset:416
	v_add_f64_e32 v[150:151], v[150:151], v[152:153]
	v_fmac_f64_e32 v[154:155], v[6:7], v[110:111]
	v_add_f64_e32 v[140:141], v[160:161], v[158:159]
	v_fma_f64 v[158:159], v[4:5], v[110:111], -v[112:113]
	ds_load_b128 v[4:7], v2 offset:912
	s_wait_loadcnt_dscnt 0xb01
	v_mul_f64_e32 v[152:153], v[146:147], v[116:117]
	v_mul_f64_e32 v[116:117], v[148:149], v[116:117]
	scratch_load_b128 v[110:113], off, off offset:432
	v_add_f64_e32 v[150:151], v[150:151], v[156:157]
	s_wait_loadcnt_dscnt 0xb00
	v_mul_f64_e32 v[156:157], v[4:5], v[120:121]
	v_add_f64_e32 v[160:161], v[140:141], v[138:139]
	v_mul_f64_e32 v[120:121], v[6:7], v[120:121]
	ds_load_b128 v[138:141], v2 offset:928
	v_fmac_f64_e32 v[152:153], v[148:149], v[114:115]
	v_fma_f64 v[146:147], v[146:147], v[114:115], -v[116:117]
	scratch_load_b128 v[114:117], off, off offset:448
	v_add_f64_e32 v[150:151], v[150:151], v[154:155]
	v_fmac_f64_e32 v[156:157], v[6:7], v[118:119]
	v_add_f64_e32 v[148:149], v[160:161], v[158:159]
	;; [unrolled: 18-line block ×3, first 2 shown]
	v_fma_f64 v[158:159], v[4:5], v[130:131], -v[132:133]
	ds_load_b128 v[4:7], v2 offset:976
	s_wait_loadcnt_dscnt 0xa01
	v_mul_f64_e32 v[156:157], v[146:147], v[144:145]
	v_mul_f64_e32 v[144:145], v[148:149], v[144:145]
	scratch_load_b128 v[130:133], off, off offset:496
	v_add_f64_e32 v[150:151], v[150:151], v[154:155]
	v_add_f64_e32 v[160:161], v[140:141], v[138:139]
	s_wait_loadcnt_dscnt 0xa00
	v_mul_f64_e32 v[154:155], v[4:5], v[128:129]
	v_mul_f64_e32 v[128:129], v[6:7], v[128:129]
	v_fmac_f64_e32 v[156:157], v[148:149], v[142:143]
	v_fma_f64 v[146:147], v[146:147], v[142:143], -v[144:145]
	ds_load_b128 v[138:141], v2 offset:992
	scratch_load_b128 v[142:145], off, off offset:512
	v_add_f64_e32 v[150:151], v[150:151], v[152:153]
	v_add_f64_e32 v[148:149], v[160:161], v[158:159]
	v_fmac_f64_e32 v[154:155], v[6:7], v[126:127]
	v_fma_f64 v[158:159], v[4:5], v[126:127], -v[128:129]
	ds_load_b128 v[4:7], v2 offset:1008
	s_wait_loadcnt_dscnt 0xa01
	v_mul_f64_e32 v[152:153], v[138:139], v[10:11]
	v_mul_f64_e32 v[10:11], v[140:141], v[10:11]
	scratch_load_b128 v[126:129], off, off offset:528
	v_add_f64_e32 v[150:151], v[150:151], v[156:157]
	s_wait_loadcnt_dscnt 0xa00
	v_mul_f64_e32 v[156:157], v[4:5], v[14:15]
	v_add_f64_e32 v[160:161], v[148:149], v[146:147]
	v_mul_f64_e32 v[14:15], v[6:7], v[14:15]
	ds_load_b128 v[146:149], v2 offset:1024
	v_fmac_f64_e32 v[152:153], v[140:141], v[8:9]
	v_fma_f64 v[138:139], v[138:139], v[8:9], -v[10:11]
	scratch_load_b128 v[8:11], off, off offset:544
	v_add_f64_e32 v[150:151], v[150:151], v[154:155]
	v_fmac_f64_e32 v[156:157], v[6:7], v[12:13]
	v_add_f64_e32 v[140:141], v[160:161], v[158:159]
	v_fma_f64 v[158:159], v[4:5], v[12:13], -v[14:15]
	ds_load_b128 v[4:7], v2 offset:1040
	s_wait_loadcnt_dscnt 0xa01
	v_mul_f64_e32 v[154:155], v[146:147], v[18:19]
	v_mul_f64_e32 v[18:19], v[148:149], v[18:19]
	scratch_load_b128 v[12:15], off, off offset:560
	v_add_f64_e32 v[150:151], v[150:151], v[152:153]
	s_wait_loadcnt_dscnt 0xa00
	v_mul_f64_e32 v[152:153], v[4:5], v[22:23]
	v_add_f64_e32 v[160:161], v[140:141], v[138:139]
	v_mul_f64_e32 v[22:23], v[6:7], v[22:23]
	ds_load_b128 v[138:141], v2 offset:1056
	v_fmac_f64_e32 v[154:155], v[148:149], v[16:17]
	v_fma_f64 v[146:147], v[146:147], v[16:17], -v[18:19]
	scratch_load_b128 v[16:19], off, off offset:576
	v_add_f64_e32 v[150:151], v[150:151], v[156:157]
	v_fmac_f64_e32 v[152:153], v[6:7], v[20:21]
	v_add_f64_e32 v[148:149], v[160:161], v[158:159]
	v_fma_f64 v[158:159], v[4:5], v[20:21], -v[22:23]
	ds_load_b128 v[4:7], v2 offset:1072
	s_wait_loadcnt_dscnt 0xa01
	v_mul_f64_e32 v[156:157], v[138:139], v[108:109]
	v_mul_f64_e32 v[108:109], v[140:141], v[108:109]
	scratch_load_b128 v[20:23], off, off offset:592
	v_add_f64_e32 v[150:151], v[150:151], v[154:155]
	s_wait_loadcnt_dscnt 0xa00
	v_mul_f64_e32 v[154:155], v[4:5], v[112:113]
	v_add_f64_e32 v[160:161], v[148:149], v[146:147]
	v_mul_f64_e32 v[112:113], v[6:7], v[112:113]
	ds_load_b128 v[146:149], v2 offset:1088
	v_fmac_f64_e32 v[156:157], v[140:141], v[106:107]
	v_fma_f64 v[138:139], v[138:139], v[106:107], -v[108:109]
	scratch_load_b128 v[106:109], off, off offset:608
	v_add_f64_e32 v[150:151], v[150:151], v[152:153]
	v_fmac_f64_e32 v[154:155], v[6:7], v[110:111]
	v_add_f64_e32 v[140:141], v[160:161], v[158:159]
	v_fma_f64 v[158:159], v[4:5], v[110:111], -v[112:113]
	ds_load_b128 v[4:7], v2 offset:1104
	s_wait_loadcnt_dscnt 0xa01
	v_mul_f64_e32 v[152:153], v[146:147], v[116:117]
	v_mul_f64_e32 v[116:117], v[148:149], v[116:117]
	scratch_load_b128 v[110:113], off, off offset:624
	v_add_f64_e32 v[150:151], v[150:151], v[156:157]
	s_wait_loadcnt_dscnt 0xa00
	v_mul_f64_e32 v[156:157], v[4:5], v[120:121]
	v_add_f64_e32 v[160:161], v[140:141], v[138:139]
	v_mul_f64_e32 v[120:121], v[6:7], v[120:121]
	ds_load_b128 v[138:141], v2 offset:1120
	v_fmac_f64_e32 v[152:153], v[148:149], v[114:115]
	v_fma_f64 v[114:115], v[146:147], v[114:115], -v[116:117]
	s_wait_loadcnt_dscnt 0x900
	v_mul_f64_e32 v[148:149], v[138:139], v[124:125]
	v_mul_f64_e32 v[124:125], v[140:141], v[124:125]
	v_add_f64_e32 v[146:147], v[150:151], v[154:155]
	v_fmac_f64_e32 v[156:157], v[6:7], v[118:119]
	v_add_f64_e32 v[116:117], v[160:161], v[158:159]
	v_fma_f64 v[118:119], v[4:5], v[118:119], -v[120:121]
	v_fmac_f64_e32 v[148:149], v[140:141], v[122:123]
	v_fma_f64 v[122:123], v[138:139], v[122:123], -v[124:125]
	v_add_f64_e32 v[146:147], v[146:147], v[152:153]
	v_add_f64_e32 v[120:121], v[116:117], v[114:115]
	ds_load_b128 v[4:7], v2 offset:1136
	ds_load_b128 v[114:117], v2 offset:1152
	s_wait_loadcnt_dscnt 0x801
	v_mul_f64_e32 v[150:151], v[4:5], v[132:133]
	v_mul_f64_e32 v[132:133], v[6:7], v[132:133]
	s_wait_loadcnt_dscnt 0x700
	v_mul_f64_e32 v[124:125], v[114:115], v[144:145]
	v_mul_f64_e32 v[138:139], v[116:117], v[144:145]
	v_add_f64_e32 v[118:119], v[120:121], v[118:119]
	v_add_f64_e32 v[120:121], v[146:147], v[156:157]
	v_fmac_f64_e32 v[150:151], v[6:7], v[130:131]
	v_fma_f64 v[130:131], v[4:5], v[130:131], -v[132:133]
	v_fmac_f64_e32 v[124:125], v[116:117], v[142:143]
	v_fma_f64 v[114:115], v[114:115], v[142:143], -v[138:139]
	v_add_f64_e32 v[122:123], v[118:119], v[122:123]
	v_add_f64_e32 v[132:133], v[120:121], v[148:149]
	ds_load_b128 v[4:7], v2 offset:1168
	ds_load_b128 v[118:121], v2 offset:1184
	s_wait_loadcnt_dscnt 0x601
	v_mul_f64_e32 v[140:141], v[4:5], v[128:129]
	v_mul_f64_e32 v[128:129], v[6:7], v[128:129]
	v_add_f64_e32 v[116:117], v[122:123], v[130:131]
	v_add_f64_e32 v[122:123], v[132:133], v[150:151]
	s_wait_loadcnt_dscnt 0x500
	v_mul_f64_e32 v[130:131], v[118:119], v[10:11]
	v_mul_f64_e32 v[10:11], v[120:121], v[10:11]
	v_fmac_f64_e32 v[140:141], v[6:7], v[126:127]
	v_fma_f64 v[126:127], v[4:5], v[126:127], -v[128:129]
	v_add_f64_e32 v[128:129], v[116:117], v[114:115]
	v_add_f64_e32 v[122:123], v[122:123], v[124:125]
	ds_load_b128 v[4:7], v2 offset:1200
	ds_load_b128 v[114:117], v2 offset:1216
	v_fmac_f64_e32 v[130:131], v[120:121], v[8:9]
	v_fma_f64 v[8:9], v[118:119], v[8:9], -v[10:11]
	s_wait_loadcnt_dscnt 0x401
	v_mul_f64_e32 v[124:125], v[4:5], v[14:15]
	v_mul_f64_e32 v[14:15], v[6:7], v[14:15]
	s_wait_loadcnt_dscnt 0x300
	v_mul_f64_e32 v[120:121], v[114:115], v[18:19]
	v_mul_f64_e32 v[18:19], v[116:117], v[18:19]
	v_add_f64_e32 v[10:11], v[128:129], v[126:127]
	v_add_f64_e32 v[118:119], v[122:123], v[140:141]
	v_fmac_f64_e32 v[124:125], v[6:7], v[12:13]
	v_fma_f64 v[12:13], v[4:5], v[12:13], -v[14:15]
	v_fmac_f64_e32 v[120:121], v[116:117], v[16:17]
	v_fma_f64 v[16:17], v[114:115], v[16:17], -v[18:19]
	v_add_f64_e32 v[14:15], v[10:11], v[8:9]
	v_add_f64_e32 v[118:119], v[118:119], v[130:131]
	ds_load_b128 v[4:7], v2 offset:1232
	ds_load_b128 v[8:11], v2 offset:1248
	s_wait_loadcnt_dscnt 0x201
	v_mul_f64_e32 v[122:123], v[4:5], v[22:23]
	v_mul_f64_e32 v[22:23], v[6:7], v[22:23]
	s_wait_loadcnt_dscnt 0x100
	v_mul_f64_e32 v[18:19], v[8:9], v[108:109]
	v_mul_f64_e32 v[108:109], v[10:11], v[108:109]
	v_add_f64_e32 v[12:13], v[14:15], v[12:13]
	v_add_f64_e32 v[14:15], v[118:119], v[124:125]
	v_fmac_f64_e32 v[122:123], v[6:7], v[20:21]
	v_fma_f64 v[20:21], v[4:5], v[20:21], -v[22:23]
	ds_load_b128 v[4:7], v2 offset:1264
	v_fmac_f64_e32 v[18:19], v[10:11], v[106:107]
	v_fma_f64 v[8:9], v[8:9], v[106:107], -v[108:109]
	v_add_f64_e32 v[12:13], v[12:13], v[16:17]
	v_add_f64_e32 v[14:15], v[14:15], v[120:121]
	s_wait_loadcnt_dscnt 0x0
	v_mul_f64_e32 v[16:17], v[4:5], v[112:113]
	v_mul_f64_e32 v[22:23], v[6:7], v[112:113]
	s_delay_alu instid0(VALU_DEP_4) | instskip(NEXT) | instid1(VALU_DEP_4)
	v_add_f64_e32 v[10:11], v[12:13], v[20:21]
	v_add_f64_e32 v[12:13], v[14:15], v[122:123]
	s_delay_alu instid0(VALU_DEP_4) | instskip(NEXT) | instid1(VALU_DEP_4)
	v_fmac_f64_e32 v[16:17], v[6:7], v[110:111]
	v_fma_f64 v[4:5], v[4:5], v[110:111], -v[22:23]
	s_delay_alu instid0(VALU_DEP_4) | instskip(NEXT) | instid1(VALU_DEP_4)
	v_add_f64_e32 v[6:7], v[10:11], v[8:9]
	v_add_f64_e32 v[8:9], v[12:13], v[18:19]
	s_delay_alu instid0(VALU_DEP_2) | instskip(NEXT) | instid1(VALU_DEP_2)
	v_add_f64_e32 v[4:5], v[6:7], v[4:5]
	v_add_f64_e32 v[6:7], v[8:9], v[16:17]
	s_delay_alu instid0(VALU_DEP_2) | instskip(NEXT) | instid1(VALU_DEP_2)
	v_add_f64_e64 v[4:5], v[134:135], -v[4:5]
	v_add_f64_e64 v[6:7], v[136:137], -v[6:7]
	scratch_store_b128 off, v[4:7], off offset:128
	s_wait_xcnt 0x0
	v_cmpx_lt_u32_e32 7, v1
	s_cbranch_execz .LBB39_239
; %bb.238:
	scratch_load_b128 v[6:9], off, s48
	v_dual_mov_b32 v3, v2 :: v_dual_mov_b32 v4, v2
	v_mov_b32_e32 v5, v2
	scratch_store_b128 off, v[2:5], off offset:112
	s_wait_loadcnt 0x0
	ds_store_b128 v104, v[6:9]
.LBB39_239:
	s_wait_xcnt 0x0
	s_or_b32 exec_lo, exec_lo, s2
	s_wait_storecnt_dscnt 0x0
	s_barrier_signal -1
	s_barrier_wait -1
	s_clause 0x9
	scratch_load_b128 v[4:7], off, off offset:128
	scratch_load_b128 v[8:11], off, off offset:144
	;; [unrolled: 1-line block ×10, first 2 shown]
	ds_load_b128 v[126:129], v2 offset:768
	ds_load_b128 v[134:137], v2 offset:784
	s_clause 0x2
	scratch_load_b128 v[130:133], off, off offset:288
	scratch_load_b128 v[138:141], off, off offset:112
	;; [unrolled: 1-line block ×3, first 2 shown]
	s_mov_b32 s2, exec_lo
	s_wait_loadcnt_dscnt 0xc01
	v_mul_f64_e32 v[146:147], v[128:129], v[6:7]
	v_mul_f64_e32 v[150:151], v[126:127], v[6:7]
	s_wait_loadcnt_dscnt 0xb00
	v_mul_f64_e32 v[152:153], v[134:135], v[10:11]
	v_mul_f64_e32 v[10:11], v[136:137], v[10:11]
	s_delay_alu instid0(VALU_DEP_4) | instskip(NEXT) | instid1(VALU_DEP_4)
	v_fma_f64 v[154:155], v[126:127], v[4:5], -v[146:147]
	v_fmac_f64_e32 v[150:151], v[128:129], v[4:5]
	ds_load_b128 v[4:7], v2 offset:800
	ds_load_b128 v[126:129], v2 offset:816
	scratch_load_b128 v[146:149], off, off offset:320
	v_fmac_f64_e32 v[152:153], v[136:137], v[8:9]
	v_fma_f64 v[134:135], v[134:135], v[8:9], -v[10:11]
	scratch_load_b128 v[8:11], off, off offset:336
	s_wait_loadcnt_dscnt 0xc01
	v_mul_f64_e32 v[156:157], v[4:5], v[14:15]
	v_mul_f64_e32 v[14:15], v[6:7], v[14:15]
	v_add_f64_e32 v[136:137], 0, v[154:155]
	v_add_f64_e32 v[150:151], 0, v[150:151]
	s_wait_loadcnt_dscnt 0xb00
	v_mul_f64_e32 v[154:155], v[126:127], v[18:19]
	v_mul_f64_e32 v[18:19], v[128:129], v[18:19]
	v_fmac_f64_e32 v[156:157], v[6:7], v[12:13]
	v_fma_f64 v[158:159], v[4:5], v[12:13], -v[14:15]
	ds_load_b128 v[4:7], v2 offset:832
	ds_load_b128 v[12:15], v2 offset:848
	v_add_f64_e32 v[160:161], v[136:137], v[134:135]
	v_add_f64_e32 v[150:151], v[150:151], v[152:153]
	scratch_load_b128 v[134:137], off, off offset:352
	v_fmac_f64_e32 v[154:155], v[128:129], v[16:17]
	v_fma_f64 v[126:127], v[126:127], v[16:17], -v[18:19]
	scratch_load_b128 v[16:19], off, off offset:368
	s_wait_loadcnt_dscnt 0xc01
	v_mul_f64_e32 v[152:153], v[4:5], v[22:23]
	v_mul_f64_e32 v[22:23], v[6:7], v[22:23]
	v_add_f64_e32 v[128:129], v[160:161], v[158:159]
	v_add_f64_e32 v[150:151], v[150:151], v[156:157]
	s_wait_loadcnt_dscnt 0xb00
	v_mul_f64_e32 v[156:157], v[12:13], v[108:109]
	v_mul_f64_e32 v[108:109], v[14:15], v[108:109]
	v_fmac_f64_e32 v[152:153], v[6:7], v[20:21]
	v_fma_f64 v[158:159], v[4:5], v[20:21], -v[22:23]
	ds_load_b128 v[4:7], v2 offset:864
	ds_load_b128 v[20:23], v2 offset:880
	v_add_f64_e32 v[160:161], v[128:129], v[126:127]
	v_add_f64_e32 v[150:151], v[150:151], v[154:155]
	scratch_load_b128 v[126:129], off, off offset:384
	s_wait_loadcnt_dscnt 0xb01
	v_mul_f64_e32 v[154:155], v[4:5], v[112:113]
	v_mul_f64_e32 v[112:113], v[6:7], v[112:113]
	v_fmac_f64_e32 v[156:157], v[14:15], v[106:107]
	v_fma_f64 v[106:107], v[12:13], v[106:107], -v[108:109]
	scratch_load_b128 v[12:15], off, off offset:400
	v_add_f64_e32 v[108:109], v[160:161], v[158:159]
	v_add_f64_e32 v[150:151], v[150:151], v[152:153]
	s_wait_loadcnt_dscnt 0xb00
	v_mul_f64_e32 v[152:153], v[20:21], v[116:117]
	v_mul_f64_e32 v[116:117], v[22:23], v[116:117]
	v_fmac_f64_e32 v[154:155], v[6:7], v[110:111]
	v_fma_f64 v[158:159], v[4:5], v[110:111], -v[112:113]
	v_add_f64_e32 v[160:161], v[108:109], v[106:107]
	v_add_f64_e32 v[150:151], v[150:151], v[156:157]
	ds_load_b128 v[4:7], v2 offset:896
	ds_load_b128 v[106:109], v2 offset:912
	scratch_load_b128 v[110:113], off, off offset:416
	v_fmac_f64_e32 v[152:153], v[22:23], v[114:115]
	v_fma_f64 v[114:115], v[20:21], v[114:115], -v[116:117]
	scratch_load_b128 v[20:23], off, off offset:432
	s_wait_loadcnt_dscnt 0xc01
	v_mul_f64_e32 v[156:157], v[4:5], v[120:121]
	v_mul_f64_e32 v[120:121], v[6:7], v[120:121]
	v_add_f64_e32 v[116:117], v[160:161], v[158:159]
	v_add_f64_e32 v[150:151], v[150:151], v[154:155]
	s_wait_loadcnt_dscnt 0xb00
	v_mul_f64_e32 v[154:155], v[106:107], v[124:125]
	v_mul_f64_e32 v[124:125], v[108:109], v[124:125]
	v_fmac_f64_e32 v[156:157], v[6:7], v[118:119]
	v_fma_f64 v[158:159], v[4:5], v[118:119], -v[120:121]
	v_add_f64_e32 v[160:161], v[116:117], v[114:115]
	v_add_f64_e32 v[150:151], v[150:151], v[152:153]
	ds_load_b128 v[4:7], v2 offset:928
	ds_load_b128 v[114:117], v2 offset:944
	scratch_load_b128 v[118:121], off, off offset:448
	v_fmac_f64_e32 v[154:155], v[108:109], v[122:123]
	v_fma_f64 v[122:123], v[106:107], v[122:123], -v[124:125]
	scratch_load_b128 v[106:109], off, off offset:464
	s_wait_loadcnt_dscnt 0xc01
	v_mul_f64_e32 v[152:153], v[4:5], v[132:133]
	v_mul_f64_e32 v[132:133], v[6:7], v[132:133]
	;; [unrolled: 18-line block ×5, first 2 shown]
	v_add_f64_e32 v[144:145], v[160:161], v[158:159]
	v_add_f64_e32 v[150:151], v[150:151], v[156:157]
	s_wait_loadcnt_dscnt 0xa00
	v_mul_f64_e32 v[156:157], v[122:123], v[14:15]
	v_mul_f64_e32 v[14:15], v[124:125], v[14:15]
	v_fmac_f64_e32 v[152:153], v[6:7], v[126:127]
	v_fma_f64 v[158:159], v[4:5], v[126:127], -v[128:129]
	ds_load_b128 v[4:7], v2 offset:1056
	ds_load_b128 v[126:129], v2 offset:1072
	v_add_f64_e32 v[160:161], v[144:145], v[142:143]
	v_add_f64_e32 v[150:151], v[150:151], v[154:155]
	scratch_load_b128 v[142:145], off, off offset:576
	v_fmac_f64_e32 v[156:157], v[124:125], v[12:13]
	v_fma_f64 v[122:123], v[122:123], v[12:13], -v[14:15]
	scratch_load_b128 v[12:15], off, off offset:592
	s_wait_loadcnt_dscnt 0xb01
	v_mul_f64_e32 v[154:155], v[4:5], v[112:113]
	v_mul_f64_e32 v[112:113], v[6:7], v[112:113]
	v_add_f64_e32 v[124:125], v[160:161], v[158:159]
	v_add_f64_e32 v[150:151], v[150:151], v[152:153]
	s_wait_loadcnt_dscnt 0xa00
	v_mul_f64_e32 v[152:153], v[126:127], v[22:23]
	v_mul_f64_e32 v[22:23], v[128:129], v[22:23]
	v_fmac_f64_e32 v[154:155], v[6:7], v[110:111]
	v_fma_f64 v[158:159], v[4:5], v[110:111], -v[112:113]
	ds_load_b128 v[4:7], v2 offset:1088
	ds_load_b128 v[110:113], v2 offset:1104
	v_add_f64_e32 v[160:161], v[124:125], v[122:123]
	v_add_f64_e32 v[150:151], v[150:151], v[156:157]
	scratch_load_b128 v[122:125], off, off offset:608
	s_wait_loadcnt_dscnt 0xa01
	v_mul_f64_e32 v[156:157], v[4:5], v[120:121]
	v_mul_f64_e32 v[120:121], v[6:7], v[120:121]
	v_fmac_f64_e32 v[152:153], v[128:129], v[20:21]
	v_fma_f64 v[126:127], v[126:127], v[20:21], -v[22:23]
	scratch_load_b128 v[20:23], off, off offset:624
	v_add_f64_e32 v[128:129], v[160:161], v[158:159]
	v_add_f64_e32 v[150:151], v[150:151], v[154:155]
	s_wait_loadcnt_dscnt 0xa00
	v_mul_f64_e32 v[154:155], v[110:111], v[108:109]
	v_mul_f64_e32 v[108:109], v[112:113], v[108:109]
	v_fmac_f64_e32 v[156:157], v[6:7], v[118:119]
	v_fma_f64 v[158:159], v[4:5], v[118:119], -v[120:121]
	ds_load_b128 v[4:7], v2 offset:1120
	ds_load_b128 v[118:121], v2 offset:1136
	v_add_f64_e32 v[126:127], v[128:129], v[126:127]
	v_add_f64_e32 v[128:129], v[150:151], v[152:153]
	v_fmac_f64_e32 v[154:155], v[112:113], v[106:107]
	s_wait_loadcnt_dscnt 0x901
	v_mul_f64_e32 v[150:151], v[4:5], v[132:133]
	v_mul_f64_e32 v[132:133], v[6:7], v[132:133]
	v_fma_f64 v[106:107], v[110:111], v[106:107], -v[108:109]
	s_wait_loadcnt_dscnt 0x800
	v_mul_f64_e32 v[112:113], v[118:119], v[116:117]
	v_mul_f64_e32 v[116:117], v[120:121], v[116:117]
	v_add_f64_e32 v[108:109], v[126:127], v[158:159]
	v_add_f64_e32 v[110:111], v[128:129], v[156:157]
	v_fmac_f64_e32 v[150:151], v[6:7], v[130:131]
	v_fma_f64 v[126:127], v[4:5], v[130:131], -v[132:133]
	v_fmac_f64_e32 v[112:113], v[120:121], v[114:115]
	v_fma_f64 v[114:115], v[118:119], v[114:115], -v[116:117]
	v_add_f64_e32 v[128:129], v[108:109], v[106:107]
	v_add_f64_e32 v[110:111], v[110:111], v[154:155]
	ds_load_b128 v[4:7], v2 offset:1152
	ds_load_b128 v[106:109], v2 offset:1168
	s_wait_loadcnt_dscnt 0x701
	v_mul_f64_e32 v[130:131], v[4:5], v[148:149]
	v_mul_f64_e32 v[132:133], v[6:7], v[148:149]
	s_wait_loadcnt_dscnt 0x600
	v_mul_f64_e32 v[118:119], v[106:107], v[10:11]
	v_mul_f64_e32 v[10:11], v[108:109], v[10:11]
	v_add_f64_e32 v[116:117], v[128:129], v[126:127]
	v_add_f64_e32 v[110:111], v[110:111], v[150:151]
	v_fmac_f64_e32 v[130:131], v[6:7], v[146:147]
	v_fma_f64 v[120:121], v[4:5], v[146:147], -v[132:133]
	v_fmac_f64_e32 v[118:119], v[108:109], v[8:9]
	v_fma_f64 v[8:9], v[106:107], v[8:9], -v[10:11]
	v_add_f64_e32 v[114:115], v[116:117], v[114:115]
	v_add_f64_e32 v[116:117], v[110:111], v[112:113]
	ds_load_b128 v[4:7], v2 offset:1184
	ds_load_b128 v[110:113], v2 offset:1200
	s_wait_loadcnt_dscnt 0x501
	v_mul_f64_e32 v[126:127], v[4:5], v[136:137]
	v_mul_f64_e32 v[128:129], v[6:7], v[136:137]
	;; [unrolled: 16-line block ×4, first 2 shown]
	v_add_f64_e32 v[10:11], v[18:19], v[114:115]
	v_add_f64_e32 v[12:13], v[106:107], v[118:119]
	s_wait_loadcnt_dscnt 0x0
	v_mul_f64_e32 v[18:19], v[14:15], v[22:23]
	v_mul_f64_e32 v[22:23], v[16:17], v[22:23]
	v_fmac_f64_e32 v[2:3], v[6:7], v[122:123]
	v_fma_f64 v[4:5], v[4:5], v[122:123], -v[108:109]
	v_add_f64_e32 v[6:7], v[10:11], v[8:9]
	v_add_f64_e32 v[8:9], v[12:13], v[110:111]
	v_fmac_f64_e32 v[18:19], v[16:17], v[20:21]
	v_fma_f64 v[10:11], v[14:15], v[20:21], -v[22:23]
	s_delay_alu instid0(VALU_DEP_4) | instskip(NEXT) | instid1(VALU_DEP_4)
	v_add_f64_e32 v[4:5], v[6:7], v[4:5]
	v_add_f64_e32 v[2:3], v[8:9], v[2:3]
	s_delay_alu instid0(VALU_DEP_2) | instskip(NEXT) | instid1(VALU_DEP_2)
	v_add_f64_e32 v[4:5], v[4:5], v[10:11]
	v_add_f64_e32 v[6:7], v[2:3], v[18:19]
	s_delay_alu instid0(VALU_DEP_2) | instskip(NEXT) | instid1(VALU_DEP_2)
	v_add_f64_e64 v[2:3], v[138:139], -v[4:5]
	v_add_f64_e64 v[4:5], v[140:141], -v[6:7]
	scratch_store_b128 off, v[2:5], off offset:112
	s_wait_xcnt 0x0
	v_cmpx_lt_u32_e32 6, v1
	s_cbranch_execz .LBB39_241
; %bb.240:
	scratch_load_b128 v[2:5], off, s45
	v_mov_b32_e32 v6, 0
	s_delay_alu instid0(VALU_DEP_1)
	v_dual_mov_b32 v7, v6 :: v_dual_mov_b32 v8, v6
	v_mov_b32_e32 v9, v6
	scratch_store_b128 off, v[6:9], off offset:96
	s_wait_loadcnt 0x0
	ds_store_b128 v104, v[2:5]
.LBB39_241:
	s_wait_xcnt 0x0
	s_or_b32 exec_lo, exec_lo, s2
	s_wait_storecnt_dscnt 0x0
	s_barrier_signal -1
	s_barrier_wait -1
	s_clause 0x9
	scratch_load_b128 v[4:7], off, off offset:112
	scratch_load_b128 v[8:11], off, off offset:128
	;; [unrolled: 1-line block ×10, first 2 shown]
	v_mov_b32_e32 v2, 0
	s_mov_b32 s2, exec_lo
	ds_load_b128 v[126:129], v2 offset:752
	s_clause 0x2
	scratch_load_b128 v[130:133], off, off offset:272
	scratch_load_b128 v[134:137], off, off offset:96
	;; [unrolled: 1-line block ×3, first 2 shown]
	s_wait_loadcnt_dscnt 0xc00
	v_mul_f64_e32 v[146:147], v[128:129], v[6:7]
	v_mul_f64_e32 v[150:151], v[126:127], v[6:7]
	ds_load_b128 v[138:141], v2 offset:768
	v_fma_f64 v[154:155], v[126:127], v[4:5], -v[146:147]
	v_fmac_f64_e32 v[150:151], v[128:129], v[4:5]
	ds_load_b128 v[4:7], v2 offset:784
	s_wait_loadcnt_dscnt 0xb01
	v_mul_f64_e32 v[152:153], v[138:139], v[10:11]
	v_mul_f64_e32 v[10:11], v[140:141], v[10:11]
	scratch_load_b128 v[126:129], off, off offset:304
	ds_load_b128 v[146:149], v2 offset:800
	s_wait_loadcnt_dscnt 0xb01
	v_mul_f64_e32 v[156:157], v[4:5], v[14:15]
	v_mul_f64_e32 v[14:15], v[6:7], v[14:15]
	v_add_f64_e32 v[150:151], 0, v[150:151]
	v_fmac_f64_e32 v[152:153], v[140:141], v[8:9]
	v_fma_f64 v[138:139], v[138:139], v[8:9], -v[10:11]
	v_add_f64_e32 v[140:141], 0, v[154:155]
	scratch_load_b128 v[8:11], off, off offset:320
	v_fmac_f64_e32 v[156:157], v[6:7], v[12:13]
	v_fma_f64 v[158:159], v[4:5], v[12:13], -v[14:15]
	ds_load_b128 v[4:7], v2 offset:816
	s_wait_loadcnt_dscnt 0xb01
	v_mul_f64_e32 v[154:155], v[146:147], v[18:19]
	v_mul_f64_e32 v[18:19], v[148:149], v[18:19]
	scratch_load_b128 v[12:15], off, off offset:336
	v_add_f64_e32 v[150:151], v[150:151], v[152:153]
	v_add_f64_e32 v[160:161], v[140:141], v[138:139]
	ds_load_b128 v[138:141], v2 offset:832
	s_wait_loadcnt_dscnt 0xb01
	v_mul_f64_e32 v[152:153], v[4:5], v[22:23]
	v_mul_f64_e32 v[22:23], v[6:7], v[22:23]
	v_fmac_f64_e32 v[154:155], v[148:149], v[16:17]
	v_fma_f64 v[146:147], v[146:147], v[16:17], -v[18:19]
	scratch_load_b128 v[16:19], off, off offset:352
	v_add_f64_e32 v[150:151], v[150:151], v[156:157]
	v_add_f64_e32 v[148:149], v[160:161], v[158:159]
	v_fmac_f64_e32 v[152:153], v[6:7], v[20:21]
	v_fma_f64 v[158:159], v[4:5], v[20:21], -v[22:23]
	ds_load_b128 v[4:7], v2 offset:848
	s_wait_loadcnt_dscnt 0xb01
	v_mul_f64_e32 v[156:157], v[138:139], v[108:109]
	v_mul_f64_e32 v[108:109], v[140:141], v[108:109]
	scratch_load_b128 v[20:23], off, off offset:368
	v_add_f64_e32 v[150:151], v[150:151], v[154:155]
	s_wait_loadcnt_dscnt 0xb00
	v_mul_f64_e32 v[154:155], v[4:5], v[112:113]
	v_add_f64_e32 v[160:161], v[148:149], v[146:147]
	v_mul_f64_e32 v[112:113], v[6:7], v[112:113]
	ds_load_b128 v[146:149], v2 offset:864
	v_fmac_f64_e32 v[156:157], v[140:141], v[106:107]
	v_fma_f64 v[138:139], v[138:139], v[106:107], -v[108:109]
	scratch_load_b128 v[106:109], off, off offset:384
	v_add_f64_e32 v[150:151], v[150:151], v[152:153]
	v_fmac_f64_e32 v[154:155], v[6:7], v[110:111]
	v_add_f64_e32 v[140:141], v[160:161], v[158:159]
	v_fma_f64 v[158:159], v[4:5], v[110:111], -v[112:113]
	ds_load_b128 v[4:7], v2 offset:880
	s_wait_loadcnt_dscnt 0xb01
	v_mul_f64_e32 v[152:153], v[146:147], v[116:117]
	v_mul_f64_e32 v[116:117], v[148:149], v[116:117]
	scratch_load_b128 v[110:113], off, off offset:400
	v_add_f64_e32 v[150:151], v[150:151], v[156:157]
	s_wait_loadcnt_dscnt 0xb00
	v_mul_f64_e32 v[156:157], v[4:5], v[120:121]
	v_add_f64_e32 v[160:161], v[140:141], v[138:139]
	v_mul_f64_e32 v[120:121], v[6:7], v[120:121]
	ds_load_b128 v[138:141], v2 offset:896
	v_fmac_f64_e32 v[152:153], v[148:149], v[114:115]
	v_fma_f64 v[146:147], v[146:147], v[114:115], -v[116:117]
	scratch_load_b128 v[114:117], off, off offset:416
	v_add_f64_e32 v[150:151], v[150:151], v[154:155]
	v_fmac_f64_e32 v[156:157], v[6:7], v[118:119]
	v_add_f64_e32 v[148:149], v[160:161], v[158:159]
	;; [unrolled: 18-line block ×3, first 2 shown]
	v_fma_f64 v[158:159], v[4:5], v[130:131], -v[132:133]
	ds_load_b128 v[4:7], v2 offset:944
	s_wait_loadcnt_dscnt 0xa01
	v_mul_f64_e32 v[156:157], v[146:147], v[144:145]
	v_mul_f64_e32 v[144:145], v[148:149], v[144:145]
	scratch_load_b128 v[130:133], off, off offset:464
	v_add_f64_e32 v[150:151], v[150:151], v[154:155]
	v_add_f64_e32 v[160:161], v[140:141], v[138:139]
	s_wait_loadcnt_dscnt 0xa00
	v_mul_f64_e32 v[154:155], v[4:5], v[128:129]
	v_mul_f64_e32 v[128:129], v[6:7], v[128:129]
	v_fmac_f64_e32 v[156:157], v[148:149], v[142:143]
	v_fma_f64 v[146:147], v[146:147], v[142:143], -v[144:145]
	ds_load_b128 v[138:141], v2 offset:960
	scratch_load_b128 v[142:145], off, off offset:480
	v_add_f64_e32 v[150:151], v[150:151], v[152:153]
	v_add_f64_e32 v[148:149], v[160:161], v[158:159]
	v_fmac_f64_e32 v[154:155], v[6:7], v[126:127]
	v_fma_f64 v[158:159], v[4:5], v[126:127], -v[128:129]
	ds_load_b128 v[4:7], v2 offset:976
	s_wait_loadcnt_dscnt 0xa01
	v_mul_f64_e32 v[152:153], v[138:139], v[10:11]
	v_mul_f64_e32 v[10:11], v[140:141], v[10:11]
	scratch_load_b128 v[126:129], off, off offset:496
	v_add_f64_e32 v[150:151], v[150:151], v[156:157]
	s_wait_loadcnt_dscnt 0xa00
	v_mul_f64_e32 v[156:157], v[4:5], v[14:15]
	v_add_f64_e32 v[160:161], v[148:149], v[146:147]
	v_mul_f64_e32 v[14:15], v[6:7], v[14:15]
	ds_load_b128 v[146:149], v2 offset:992
	v_fmac_f64_e32 v[152:153], v[140:141], v[8:9]
	v_fma_f64 v[138:139], v[138:139], v[8:9], -v[10:11]
	scratch_load_b128 v[8:11], off, off offset:512
	v_add_f64_e32 v[150:151], v[150:151], v[154:155]
	v_fmac_f64_e32 v[156:157], v[6:7], v[12:13]
	v_add_f64_e32 v[140:141], v[160:161], v[158:159]
	v_fma_f64 v[158:159], v[4:5], v[12:13], -v[14:15]
	ds_load_b128 v[4:7], v2 offset:1008
	s_wait_loadcnt_dscnt 0xa01
	v_mul_f64_e32 v[154:155], v[146:147], v[18:19]
	v_mul_f64_e32 v[18:19], v[148:149], v[18:19]
	scratch_load_b128 v[12:15], off, off offset:528
	v_add_f64_e32 v[150:151], v[150:151], v[152:153]
	s_wait_loadcnt_dscnt 0xa00
	v_mul_f64_e32 v[152:153], v[4:5], v[22:23]
	v_add_f64_e32 v[160:161], v[140:141], v[138:139]
	v_mul_f64_e32 v[22:23], v[6:7], v[22:23]
	ds_load_b128 v[138:141], v2 offset:1024
	v_fmac_f64_e32 v[154:155], v[148:149], v[16:17]
	v_fma_f64 v[146:147], v[146:147], v[16:17], -v[18:19]
	scratch_load_b128 v[16:19], off, off offset:544
	v_add_f64_e32 v[150:151], v[150:151], v[156:157]
	v_fmac_f64_e32 v[152:153], v[6:7], v[20:21]
	v_add_f64_e32 v[148:149], v[160:161], v[158:159]
	;; [unrolled: 18-line block ×4, first 2 shown]
	v_fma_f64 v[158:159], v[4:5], v[118:119], -v[120:121]
	ds_load_b128 v[4:7], v2 offset:1104
	s_wait_loadcnt_dscnt 0xa01
	v_mul_f64_e32 v[154:155], v[138:139], v[124:125]
	v_mul_f64_e32 v[124:125], v[140:141], v[124:125]
	scratch_load_b128 v[118:121], off, off offset:624
	v_add_f64_e32 v[150:151], v[150:151], v[152:153]
	s_wait_loadcnt_dscnt 0xa00
	v_mul_f64_e32 v[152:153], v[4:5], v[132:133]
	v_add_f64_e32 v[160:161], v[148:149], v[146:147]
	v_mul_f64_e32 v[132:133], v[6:7], v[132:133]
	ds_load_b128 v[146:149], v2 offset:1120
	v_fmac_f64_e32 v[154:155], v[140:141], v[122:123]
	v_fma_f64 v[122:123], v[138:139], v[122:123], -v[124:125]
	s_wait_loadcnt_dscnt 0x900
	v_mul_f64_e32 v[140:141], v[146:147], v[144:145]
	v_mul_f64_e32 v[144:145], v[148:149], v[144:145]
	v_add_f64_e32 v[138:139], v[150:151], v[156:157]
	v_fmac_f64_e32 v[152:153], v[6:7], v[130:131]
	v_add_f64_e32 v[124:125], v[160:161], v[158:159]
	v_fma_f64 v[130:131], v[4:5], v[130:131], -v[132:133]
	v_fmac_f64_e32 v[140:141], v[148:149], v[142:143]
	v_fma_f64 v[142:143], v[146:147], v[142:143], -v[144:145]
	v_add_f64_e32 v[138:139], v[138:139], v[154:155]
	v_add_f64_e32 v[132:133], v[124:125], v[122:123]
	ds_load_b128 v[4:7], v2 offset:1136
	ds_load_b128 v[122:125], v2 offset:1152
	s_wait_loadcnt_dscnt 0x801
	v_mul_f64_e32 v[150:151], v[4:5], v[128:129]
	v_mul_f64_e32 v[128:129], v[6:7], v[128:129]
	v_add_f64_e32 v[130:131], v[132:133], v[130:131]
	v_add_f64_e32 v[132:133], v[138:139], v[152:153]
	s_wait_loadcnt_dscnt 0x700
	v_mul_f64_e32 v[138:139], v[122:123], v[10:11]
	v_mul_f64_e32 v[10:11], v[124:125], v[10:11]
	v_fmac_f64_e32 v[150:151], v[6:7], v[126:127]
	v_fma_f64 v[144:145], v[4:5], v[126:127], -v[128:129]
	ds_load_b128 v[4:7], v2 offset:1168
	ds_load_b128 v[126:129], v2 offset:1184
	v_add_f64_e32 v[130:131], v[130:131], v[142:143]
	v_add_f64_e32 v[132:133], v[132:133], v[140:141]
	v_fmac_f64_e32 v[138:139], v[124:125], v[8:9]
	v_fma_f64 v[8:9], v[122:123], v[8:9], -v[10:11]
	s_wait_loadcnt_dscnt 0x601
	v_mul_f64_e32 v[140:141], v[4:5], v[14:15]
	v_mul_f64_e32 v[14:15], v[6:7], v[14:15]
	s_wait_loadcnt_dscnt 0x500
	v_mul_f64_e32 v[124:125], v[126:127], v[18:19]
	v_mul_f64_e32 v[18:19], v[128:129], v[18:19]
	v_add_f64_e32 v[10:11], v[130:131], v[144:145]
	v_add_f64_e32 v[122:123], v[132:133], v[150:151]
	v_fmac_f64_e32 v[140:141], v[6:7], v[12:13]
	v_fma_f64 v[12:13], v[4:5], v[12:13], -v[14:15]
	v_fmac_f64_e32 v[124:125], v[128:129], v[16:17]
	v_fma_f64 v[16:17], v[126:127], v[16:17], -v[18:19]
	v_add_f64_e32 v[14:15], v[10:11], v[8:9]
	v_add_f64_e32 v[122:123], v[122:123], v[138:139]
	ds_load_b128 v[4:7], v2 offset:1200
	ds_load_b128 v[8:11], v2 offset:1216
	s_wait_loadcnt_dscnt 0x401
	v_mul_f64_e32 v[130:131], v[4:5], v[22:23]
	v_mul_f64_e32 v[22:23], v[6:7], v[22:23]
	s_wait_loadcnt_dscnt 0x300
	v_mul_f64_e32 v[18:19], v[8:9], v[108:109]
	v_mul_f64_e32 v[108:109], v[10:11], v[108:109]
	v_add_f64_e32 v[12:13], v[14:15], v[12:13]
	v_add_f64_e32 v[14:15], v[122:123], v[140:141]
	v_fmac_f64_e32 v[130:131], v[6:7], v[20:21]
	v_fma_f64 v[20:21], v[4:5], v[20:21], -v[22:23]
	v_fmac_f64_e32 v[18:19], v[10:11], v[106:107]
	v_fma_f64 v[8:9], v[8:9], v[106:107], -v[108:109]
	v_add_f64_e32 v[16:17], v[12:13], v[16:17]
	v_add_f64_e32 v[22:23], v[14:15], v[124:125]
	ds_load_b128 v[4:7], v2 offset:1232
	ds_load_b128 v[12:15], v2 offset:1248
	s_wait_loadcnt_dscnt 0x201
	v_mul_f64_e32 v[122:123], v[4:5], v[112:113]
	v_mul_f64_e32 v[112:113], v[6:7], v[112:113]
	v_add_f64_e32 v[10:11], v[16:17], v[20:21]
	v_add_f64_e32 v[16:17], v[22:23], v[130:131]
	s_wait_loadcnt_dscnt 0x100
	v_mul_f64_e32 v[20:21], v[12:13], v[116:117]
	v_mul_f64_e32 v[22:23], v[14:15], v[116:117]
	v_fmac_f64_e32 v[122:123], v[6:7], v[110:111]
	v_fma_f64 v[106:107], v[4:5], v[110:111], -v[112:113]
	ds_load_b128 v[4:7], v2 offset:1264
	v_add_f64_e32 v[8:9], v[10:11], v[8:9]
	v_add_f64_e32 v[10:11], v[16:17], v[18:19]
	v_fmac_f64_e32 v[20:21], v[14:15], v[114:115]
	v_fma_f64 v[12:13], v[12:13], v[114:115], -v[22:23]
	s_wait_loadcnt_dscnt 0x0
	v_mul_f64_e32 v[16:17], v[4:5], v[120:121]
	v_mul_f64_e32 v[18:19], v[6:7], v[120:121]
	v_add_f64_e32 v[8:9], v[8:9], v[106:107]
	v_add_f64_e32 v[10:11], v[10:11], v[122:123]
	s_delay_alu instid0(VALU_DEP_4) | instskip(NEXT) | instid1(VALU_DEP_4)
	v_fmac_f64_e32 v[16:17], v[6:7], v[118:119]
	v_fma_f64 v[4:5], v[4:5], v[118:119], -v[18:19]
	s_delay_alu instid0(VALU_DEP_4) | instskip(NEXT) | instid1(VALU_DEP_4)
	v_add_f64_e32 v[6:7], v[8:9], v[12:13]
	v_add_f64_e32 v[8:9], v[10:11], v[20:21]
	s_delay_alu instid0(VALU_DEP_2) | instskip(NEXT) | instid1(VALU_DEP_2)
	v_add_f64_e32 v[4:5], v[6:7], v[4:5]
	v_add_f64_e32 v[6:7], v[8:9], v[16:17]
	s_delay_alu instid0(VALU_DEP_2) | instskip(NEXT) | instid1(VALU_DEP_2)
	v_add_f64_e64 v[4:5], v[134:135], -v[4:5]
	v_add_f64_e64 v[6:7], v[136:137], -v[6:7]
	scratch_store_b128 off, v[4:7], off offset:96
	s_wait_xcnt 0x0
	v_cmpx_lt_u32_e32 5, v1
	s_cbranch_execz .LBB39_243
; %bb.242:
	scratch_load_b128 v[6:9], off, s43
	v_dual_mov_b32 v3, v2 :: v_dual_mov_b32 v4, v2
	v_mov_b32_e32 v5, v2
	scratch_store_b128 off, v[2:5], off offset:80
	s_wait_loadcnt 0x0
	ds_store_b128 v104, v[6:9]
.LBB39_243:
	s_wait_xcnt 0x0
	s_or_b32 exec_lo, exec_lo, s2
	s_wait_storecnt_dscnt 0x0
	s_barrier_signal -1
	s_barrier_wait -1
	s_clause 0x9
	scratch_load_b128 v[4:7], off, off offset:96
	scratch_load_b128 v[8:11], off, off offset:112
	;; [unrolled: 1-line block ×10, first 2 shown]
	ds_load_b128 v[126:129], v2 offset:736
	ds_load_b128 v[134:137], v2 offset:752
	s_clause 0x2
	scratch_load_b128 v[130:133], off, off offset:256
	scratch_load_b128 v[138:141], off, off offset:80
	scratch_load_b128 v[142:145], off, off offset:272
	s_mov_b32 s2, exec_lo
	s_wait_loadcnt_dscnt 0xc01
	v_mul_f64_e32 v[146:147], v[128:129], v[6:7]
	v_mul_f64_e32 v[150:151], v[126:127], v[6:7]
	s_wait_loadcnt_dscnt 0xb00
	v_mul_f64_e32 v[152:153], v[134:135], v[10:11]
	v_mul_f64_e32 v[10:11], v[136:137], v[10:11]
	s_delay_alu instid0(VALU_DEP_4) | instskip(NEXT) | instid1(VALU_DEP_4)
	v_fma_f64 v[154:155], v[126:127], v[4:5], -v[146:147]
	v_fmac_f64_e32 v[150:151], v[128:129], v[4:5]
	ds_load_b128 v[4:7], v2 offset:768
	ds_load_b128 v[126:129], v2 offset:784
	scratch_load_b128 v[146:149], off, off offset:288
	v_fmac_f64_e32 v[152:153], v[136:137], v[8:9]
	v_fma_f64 v[134:135], v[134:135], v[8:9], -v[10:11]
	scratch_load_b128 v[8:11], off, off offset:304
	s_wait_loadcnt_dscnt 0xc01
	v_mul_f64_e32 v[156:157], v[4:5], v[14:15]
	v_mul_f64_e32 v[14:15], v[6:7], v[14:15]
	v_add_f64_e32 v[136:137], 0, v[154:155]
	v_add_f64_e32 v[150:151], 0, v[150:151]
	s_wait_loadcnt_dscnt 0xb00
	v_mul_f64_e32 v[154:155], v[126:127], v[18:19]
	v_mul_f64_e32 v[18:19], v[128:129], v[18:19]
	v_fmac_f64_e32 v[156:157], v[6:7], v[12:13]
	v_fma_f64 v[158:159], v[4:5], v[12:13], -v[14:15]
	ds_load_b128 v[4:7], v2 offset:800
	ds_load_b128 v[12:15], v2 offset:816
	v_add_f64_e32 v[160:161], v[136:137], v[134:135]
	v_add_f64_e32 v[150:151], v[150:151], v[152:153]
	scratch_load_b128 v[134:137], off, off offset:320
	v_fmac_f64_e32 v[154:155], v[128:129], v[16:17]
	v_fma_f64 v[126:127], v[126:127], v[16:17], -v[18:19]
	scratch_load_b128 v[16:19], off, off offset:336
	s_wait_loadcnt_dscnt 0xc01
	v_mul_f64_e32 v[152:153], v[4:5], v[22:23]
	v_mul_f64_e32 v[22:23], v[6:7], v[22:23]
	v_add_f64_e32 v[128:129], v[160:161], v[158:159]
	v_add_f64_e32 v[150:151], v[150:151], v[156:157]
	s_wait_loadcnt_dscnt 0xb00
	v_mul_f64_e32 v[156:157], v[12:13], v[108:109]
	v_mul_f64_e32 v[108:109], v[14:15], v[108:109]
	v_fmac_f64_e32 v[152:153], v[6:7], v[20:21]
	v_fma_f64 v[158:159], v[4:5], v[20:21], -v[22:23]
	ds_load_b128 v[4:7], v2 offset:832
	ds_load_b128 v[20:23], v2 offset:848
	v_add_f64_e32 v[160:161], v[128:129], v[126:127]
	v_add_f64_e32 v[150:151], v[150:151], v[154:155]
	scratch_load_b128 v[126:129], off, off offset:352
	s_wait_loadcnt_dscnt 0xb01
	v_mul_f64_e32 v[154:155], v[4:5], v[112:113]
	v_mul_f64_e32 v[112:113], v[6:7], v[112:113]
	v_fmac_f64_e32 v[156:157], v[14:15], v[106:107]
	v_fma_f64 v[106:107], v[12:13], v[106:107], -v[108:109]
	scratch_load_b128 v[12:15], off, off offset:368
	v_add_f64_e32 v[108:109], v[160:161], v[158:159]
	v_add_f64_e32 v[150:151], v[150:151], v[152:153]
	s_wait_loadcnt_dscnt 0xb00
	v_mul_f64_e32 v[152:153], v[20:21], v[116:117]
	v_mul_f64_e32 v[116:117], v[22:23], v[116:117]
	v_fmac_f64_e32 v[154:155], v[6:7], v[110:111]
	v_fma_f64 v[158:159], v[4:5], v[110:111], -v[112:113]
	v_add_f64_e32 v[160:161], v[108:109], v[106:107]
	v_add_f64_e32 v[150:151], v[150:151], v[156:157]
	ds_load_b128 v[4:7], v2 offset:864
	ds_load_b128 v[106:109], v2 offset:880
	scratch_load_b128 v[110:113], off, off offset:384
	v_fmac_f64_e32 v[152:153], v[22:23], v[114:115]
	v_fma_f64 v[114:115], v[20:21], v[114:115], -v[116:117]
	scratch_load_b128 v[20:23], off, off offset:400
	s_wait_loadcnt_dscnt 0xc01
	v_mul_f64_e32 v[156:157], v[4:5], v[120:121]
	v_mul_f64_e32 v[120:121], v[6:7], v[120:121]
	v_add_f64_e32 v[116:117], v[160:161], v[158:159]
	v_add_f64_e32 v[150:151], v[150:151], v[154:155]
	s_wait_loadcnt_dscnt 0xb00
	v_mul_f64_e32 v[154:155], v[106:107], v[124:125]
	v_mul_f64_e32 v[124:125], v[108:109], v[124:125]
	v_fmac_f64_e32 v[156:157], v[6:7], v[118:119]
	v_fma_f64 v[158:159], v[4:5], v[118:119], -v[120:121]
	v_add_f64_e32 v[160:161], v[116:117], v[114:115]
	v_add_f64_e32 v[150:151], v[150:151], v[152:153]
	ds_load_b128 v[4:7], v2 offset:896
	ds_load_b128 v[114:117], v2 offset:912
	scratch_load_b128 v[118:121], off, off offset:416
	v_fmac_f64_e32 v[154:155], v[108:109], v[122:123]
	v_fma_f64 v[122:123], v[106:107], v[122:123], -v[124:125]
	scratch_load_b128 v[106:109], off, off offset:432
	s_wait_loadcnt_dscnt 0xc01
	v_mul_f64_e32 v[152:153], v[4:5], v[132:133]
	v_mul_f64_e32 v[132:133], v[6:7], v[132:133]
	;; [unrolled: 18-line block ×5, first 2 shown]
	v_add_f64_e32 v[144:145], v[160:161], v[158:159]
	v_add_f64_e32 v[150:151], v[150:151], v[156:157]
	s_wait_loadcnt_dscnt 0xa00
	v_mul_f64_e32 v[156:157], v[122:123], v[14:15]
	v_mul_f64_e32 v[14:15], v[124:125], v[14:15]
	v_fmac_f64_e32 v[152:153], v[6:7], v[126:127]
	v_fma_f64 v[158:159], v[4:5], v[126:127], -v[128:129]
	ds_load_b128 v[4:7], v2 offset:1024
	ds_load_b128 v[126:129], v2 offset:1040
	v_add_f64_e32 v[160:161], v[144:145], v[142:143]
	v_add_f64_e32 v[150:151], v[150:151], v[154:155]
	scratch_load_b128 v[142:145], off, off offset:544
	v_fmac_f64_e32 v[156:157], v[124:125], v[12:13]
	v_fma_f64 v[122:123], v[122:123], v[12:13], -v[14:15]
	scratch_load_b128 v[12:15], off, off offset:560
	s_wait_loadcnt_dscnt 0xb01
	v_mul_f64_e32 v[154:155], v[4:5], v[112:113]
	v_mul_f64_e32 v[112:113], v[6:7], v[112:113]
	v_add_f64_e32 v[124:125], v[160:161], v[158:159]
	v_add_f64_e32 v[150:151], v[150:151], v[152:153]
	s_wait_loadcnt_dscnt 0xa00
	v_mul_f64_e32 v[152:153], v[126:127], v[22:23]
	v_mul_f64_e32 v[22:23], v[128:129], v[22:23]
	v_fmac_f64_e32 v[154:155], v[6:7], v[110:111]
	v_fma_f64 v[158:159], v[4:5], v[110:111], -v[112:113]
	ds_load_b128 v[4:7], v2 offset:1056
	ds_load_b128 v[110:113], v2 offset:1072
	v_add_f64_e32 v[160:161], v[124:125], v[122:123]
	v_add_f64_e32 v[150:151], v[150:151], v[156:157]
	scratch_load_b128 v[122:125], off, off offset:576
	s_wait_loadcnt_dscnt 0xa01
	v_mul_f64_e32 v[156:157], v[4:5], v[120:121]
	v_mul_f64_e32 v[120:121], v[6:7], v[120:121]
	v_fmac_f64_e32 v[152:153], v[128:129], v[20:21]
	v_fma_f64 v[126:127], v[126:127], v[20:21], -v[22:23]
	scratch_load_b128 v[20:23], off, off offset:592
	v_add_f64_e32 v[128:129], v[160:161], v[158:159]
	v_add_f64_e32 v[150:151], v[150:151], v[154:155]
	s_wait_loadcnt_dscnt 0xa00
	v_mul_f64_e32 v[154:155], v[110:111], v[108:109]
	v_mul_f64_e32 v[108:109], v[112:113], v[108:109]
	v_fmac_f64_e32 v[156:157], v[6:7], v[118:119]
	v_fma_f64 v[158:159], v[4:5], v[118:119], -v[120:121]
	ds_load_b128 v[4:7], v2 offset:1088
	ds_load_b128 v[118:121], v2 offset:1104
	v_add_f64_e32 v[160:161], v[128:129], v[126:127]
	v_add_f64_e32 v[150:151], v[150:151], v[152:153]
	scratch_load_b128 v[126:129], off, off offset:608
	s_wait_loadcnt_dscnt 0xa01
	v_mul_f64_e32 v[152:153], v[4:5], v[132:133]
	v_mul_f64_e32 v[132:133], v[6:7], v[132:133]
	v_fmac_f64_e32 v[154:155], v[112:113], v[106:107]
	v_fma_f64 v[110:111], v[110:111], v[106:107], -v[108:109]
	scratch_load_b128 v[106:109], off, off offset:624
	v_add_f64_e32 v[112:113], v[160:161], v[158:159]
	v_add_f64_e32 v[150:151], v[150:151], v[156:157]
	s_wait_loadcnt_dscnt 0xa00
	v_mul_f64_e32 v[156:157], v[118:119], v[116:117]
	v_mul_f64_e32 v[116:117], v[120:121], v[116:117]
	v_fmac_f64_e32 v[152:153], v[6:7], v[130:131]
	v_fma_f64 v[130:131], v[4:5], v[130:131], -v[132:133]
	v_add_f64_e32 v[132:133], v[112:113], v[110:111]
	v_add_f64_e32 v[150:151], v[150:151], v[154:155]
	ds_load_b128 v[4:7], v2 offset:1120
	ds_load_b128 v[110:113], v2 offset:1136
	v_fmac_f64_e32 v[156:157], v[120:121], v[114:115]
	v_fma_f64 v[114:115], v[118:119], v[114:115], -v[116:117]
	s_wait_loadcnt_dscnt 0x901
	v_mul_f64_e32 v[154:155], v[4:5], v[148:149]
	v_mul_f64_e32 v[148:149], v[6:7], v[148:149]
	s_wait_loadcnt_dscnt 0x800
	v_mul_f64_e32 v[120:121], v[110:111], v[10:11]
	v_mul_f64_e32 v[10:11], v[112:113], v[10:11]
	v_add_f64_e32 v[116:117], v[132:133], v[130:131]
	v_add_f64_e32 v[118:119], v[150:151], v[152:153]
	v_fmac_f64_e32 v[154:155], v[6:7], v[146:147]
	v_fma_f64 v[130:131], v[4:5], v[146:147], -v[148:149]
	v_fmac_f64_e32 v[120:121], v[112:113], v[8:9]
	v_fma_f64 v[8:9], v[110:111], v[8:9], -v[10:11]
	v_add_f64_e32 v[132:133], v[116:117], v[114:115]
	v_add_f64_e32 v[118:119], v[118:119], v[156:157]
	ds_load_b128 v[4:7], v2 offset:1152
	ds_load_b128 v[114:117], v2 offset:1168
	s_wait_loadcnt_dscnt 0x701
	v_mul_f64_e32 v[146:147], v[4:5], v[136:137]
	v_mul_f64_e32 v[136:137], v[6:7], v[136:137]
	s_wait_loadcnt_dscnt 0x600
	v_mul_f64_e32 v[112:113], v[114:115], v[18:19]
	v_mul_f64_e32 v[18:19], v[116:117], v[18:19]
	v_add_f64_e32 v[10:11], v[132:133], v[130:131]
	v_add_f64_e32 v[110:111], v[118:119], v[154:155]
	v_fmac_f64_e32 v[146:147], v[6:7], v[134:135]
	v_fma_f64 v[118:119], v[4:5], v[134:135], -v[136:137]
	v_fmac_f64_e32 v[112:113], v[116:117], v[16:17]
	v_fma_f64 v[16:17], v[114:115], v[16:17], -v[18:19]
	v_add_f64_e32 v[130:131], v[10:11], v[8:9]
	v_add_f64_e32 v[110:111], v[110:111], v[120:121]
	ds_load_b128 v[4:7], v2 offset:1184
	ds_load_b128 v[8:11], v2 offset:1200
	s_wait_loadcnt_dscnt 0x501
	v_mul_f64_e32 v[120:121], v[4:5], v[144:145]
	v_mul_f64_e32 v[132:133], v[6:7], v[144:145]
	s_wait_loadcnt_dscnt 0x400
	v_mul_f64_e32 v[114:115], v[8:9], v[14:15]
	v_mul_f64_e32 v[116:117], v[10:11], v[14:15]
	v_add_f64_e32 v[18:19], v[130:131], v[118:119]
	v_add_f64_e32 v[110:111], v[110:111], v[146:147]
	v_fmac_f64_e32 v[120:121], v[6:7], v[142:143]
	v_fma_f64 v[118:119], v[4:5], v[142:143], -v[132:133]
	v_fmac_f64_e32 v[114:115], v[10:11], v[12:13]
	v_fma_f64 v[8:9], v[8:9], v[12:13], -v[116:117]
	v_add_f64_e32 v[18:19], v[18:19], v[16:17]
	v_add_f64_e32 v[110:111], v[110:111], v[112:113]
	ds_load_b128 v[4:7], v2 offset:1216
	ds_load_b128 v[14:17], v2 offset:1232
	s_wait_loadcnt_dscnt 0x301
	v_mul_f64_e32 v[112:113], v[4:5], v[124:125]
	v_mul_f64_e32 v[124:125], v[6:7], v[124:125]
	v_add_f64_e32 v[10:11], v[18:19], v[118:119]
	v_add_f64_e32 v[12:13], v[110:111], v[120:121]
	s_wait_loadcnt_dscnt 0x200
	v_mul_f64_e32 v[18:19], v[14:15], v[22:23]
	v_mul_f64_e32 v[22:23], v[16:17], v[22:23]
	v_fmac_f64_e32 v[112:113], v[6:7], v[122:123]
	v_fma_f64 v[110:111], v[4:5], v[122:123], -v[124:125]
	v_add_f64_e32 v[116:117], v[10:11], v[8:9]
	v_add_f64_e32 v[12:13], v[12:13], v[114:115]
	ds_load_b128 v[4:7], v2 offset:1248
	ds_load_b128 v[8:11], v2 offset:1264
	v_fmac_f64_e32 v[18:19], v[16:17], v[20:21]
	v_fma_f64 v[14:15], v[14:15], v[20:21], -v[22:23]
	s_wait_loadcnt_dscnt 0x101
	v_mul_f64_e32 v[2:3], v[4:5], v[128:129]
	v_mul_f64_e32 v[114:115], v[6:7], v[128:129]
	s_wait_loadcnt_dscnt 0x0
	v_mul_f64_e32 v[20:21], v[8:9], v[108:109]
	v_mul_f64_e32 v[22:23], v[10:11], v[108:109]
	v_add_f64_e32 v[16:17], v[116:117], v[110:111]
	v_add_f64_e32 v[12:13], v[12:13], v[112:113]
	v_fmac_f64_e32 v[2:3], v[6:7], v[126:127]
	v_fma_f64 v[4:5], v[4:5], v[126:127], -v[114:115]
	v_fmac_f64_e32 v[20:21], v[10:11], v[106:107]
	v_fma_f64 v[8:9], v[8:9], v[106:107], -v[22:23]
	v_add_f64_e32 v[6:7], v[16:17], v[14:15]
	v_add_f64_e32 v[12:13], v[12:13], v[18:19]
	s_delay_alu instid0(VALU_DEP_2) | instskip(NEXT) | instid1(VALU_DEP_2)
	v_add_f64_e32 v[4:5], v[6:7], v[4:5]
	v_add_f64_e32 v[2:3], v[12:13], v[2:3]
	s_delay_alu instid0(VALU_DEP_2) | instskip(NEXT) | instid1(VALU_DEP_2)
	;; [unrolled: 3-line block ×3, first 2 shown]
	v_add_f64_e64 v[2:3], v[138:139], -v[4:5]
	v_add_f64_e64 v[4:5], v[140:141], -v[6:7]
	scratch_store_b128 off, v[2:5], off offset:80
	s_wait_xcnt 0x0
	v_cmpx_lt_u32_e32 4, v1
	s_cbranch_execz .LBB39_245
; %bb.244:
	scratch_load_b128 v[2:5], off, s38
	v_mov_b32_e32 v6, 0
	s_delay_alu instid0(VALU_DEP_1)
	v_dual_mov_b32 v7, v6 :: v_dual_mov_b32 v8, v6
	v_mov_b32_e32 v9, v6
	scratch_store_b128 off, v[6:9], off offset:64
	s_wait_loadcnt 0x0
	ds_store_b128 v104, v[2:5]
.LBB39_245:
	s_wait_xcnt 0x0
	s_or_b32 exec_lo, exec_lo, s2
	s_wait_storecnt_dscnt 0x0
	s_barrier_signal -1
	s_barrier_wait -1
	s_clause 0x9
	scratch_load_b128 v[4:7], off, off offset:80
	scratch_load_b128 v[8:11], off, off offset:96
	;; [unrolled: 1-line block ×10, first 2 shown]
	v_mov_b32_e32 v2, 0
	s_mov_b32 s2, exec_lo
	ds_load_b128 v[126:129], v2 offset:720
	s_clause 0x2
	scratch_load_b128 v[130:133], off, off offset:240
	scratch_load_b128 v[134:137], off, off offset:64
	;; [unrolled: 1-line block ×3, first 2 shown]
	s_wait_loadcnt_dscnt 0xc00
	v_mul_f64_e32 v[146:147], v[128:129], v[6:7]
	v_mul_f64_e32 v[150:151], v[126:127], v[6:7]
	ds_load_b128 v[138:141], v2 offset:736
	v_fma_f64 v[154:155], v[126:127], v[4:5], -v[146:147]
	v_fmac_f64_e32 v[150:151], v[128:129], v[4:5]
	ds_load_b128 v[4:7], v2 offset:752
	s_wait_loadcnt_dscnt 0xb01
	v_mul_f64_e32 v[152:153], v[138:139], v[10:11]
	v_mul_f64_e32 v[10:11], v[140:141], v[10:11]
	scratch_load_b128 v[126:129], off, off offset:272
	ds_load_b128 v[146:149], v2 offset:768
	s_wait_loadcnt_dscnt 0xb01
	v_mul_f64_e32 v[156:157], v[4:5], v[14:15]
	v_mul_f64_e32 v[14:15], v[6:7], v[14:15]
	v_add_f64_e32 v[150:151], 0, v[150:151]
	v_fmac_f64_e32 v[152:153], v[140:141], v[8:9]
	v_fma_f64 v[138:139], v[138:139], v[8:9], -v[10:11]
	v_add_f64_e32 v[140:141], 0, v[154:155]
	scratch_load_b128 v[8:11], off, off offset:288
	v_fmac_f64_e32 v[156:157], v[6:7], v[12:13]
	v_fma_f64 v[158:159], v[4:5], v[12:13], -v[14:15]
	ds_load_b128 v[4:7], v2 offset:784
	s_wait_loadcnt_dscnt 0xb01
	v_mul_f64_e32 v[154:155], v[146:147], v[18:19]
	v_mul_f64_e32 v[18:19], v[148:149], v[18:19]
	scratch_load_b128 v[12:15], off, off offset:304
	v_add_f64_e32 v[150:151], v[150:151], v[152:153]
	v_add_f64_e32 v[160:161], v[140:141], v[138:139]
	ds_load_b128 v[138:141], v2 offset:800
	s_wait_loadcnt_dscnt 0xb01
	v_mul_f64_e32 v[152:153], v[4:5], v[22:23]
	v_mul_f64_e32 v[22:23], v[6:7], v[22:23]
	v_fmac_f64_e32 v[154:155], v[148:149], v[16:17]
	v_fma_f64 v[146:147], v[146:147], v[16:17], -v[18:19]
	scratch_load_b128 v[16:19], off, off offset:320
	v_add_f64_e32 v[150:151], v[150:151], v[156:157]
	v_add_f64_e32 v[148:149], v[160:161], v[158:159]
	v_fmac_f64_e32 v[152:153], v[6:7], v[20:21]
	v_fma_f64 v[158:159], v[4:5], v[20:21], -v[22:23]
	ds_load_b128 v[4:7], v2 offset:816
	s_wait_loadcnt_dscnt 0xb01
	v_mul_f64_e32 v[156:157], v[138:139], v[108:109]
	v_mul_f64_e32 v[108:109], v[140:141], v[108:109]
	scratch_load_b128 v[20:23], off, off offset:336
	v_add_f64_e32 v[150:151], v[150:151], v[154:155]
	s_wait_loadcnt_dscnt 0xb00
	v_mul_f64_e32 v[154:155], v[4:5], v[112:113]
	v_add_f64_e32 v[160:161], v[148:149], v[146:147]
	v_mul_f64_e32 v[112:113], v[6:7], v[112:113]
	ds_load_b128 v[146:149], v2 offset:832
	v_fmac_f64_e32 v[156:157], v[140:141], v[106:107]
	v_fma_f64 v[138:139], v[138:139], v[106:107], -v[108:109]
	scratch_load_b128 v[106:109], off, off offset:352
	v_add_f64_e32 v[150:151], v[150:151], v[152:153]
	v_fmac_f64_e32 v[154:155], v[6:7], v[110:111]
	v_add_f64_e32 v[140:141], v[160:161], v[158:159]
	v_fma_f64 v[158:159], v[4:5], v[110:111], -v[112:113]
	ds_load_b128 v[4:7], v2 offset:848
	s_wait_loadcnt_dscnt 0xb01
	v_mul_f64_e32 v[152:153], v[146:147], v[116:117]
	v_mul_f64_e32 v[116:117], v[148:149], v[116:117]
	scratch_load_b128 v[110:113], off, off offset:368
	v_add_f64_e32 v[150:151], v[150:151], v[156:157]
	s_wait_loadcnt_dscnt 0xb00
	v_mul_f64_e32 v[156:157], v[4:5], v[120:121]
	v_add_f64_e32 v[160:161], v[140:141], v[138:139]
	v_mul_f64_e32 v[120:121], v[6:7], v[120:121]
	ds_load_b128 v[138:141], v2 offset:864
	v_fmac_f64_e32 v[152:153], v[148:149], v[114:115]
	v_fma_f64 v[146:147], v[146:147], v[114:115], -v[116:117]
	scratch_load_b128 v[114:117], off, off offset:384
	v_add_f64_e32 v[150:151], v[150:151], v[154:155]
	v_fmac_f64_e32 v[156:157], v[6:7], v[118:119]
	v_add_f64_e32 v[148:149], v[160:161], v[158:159]
	;; [unrolled: 18-line block ×3, first 2 shown]
	v_fma_f64 v[158:159], v[4:5], v[130:131], -v[132:133]
	ds_load_b128 v[4:7], v2 offset:912
	s_wait_loadcnt_dscnt 0xa01
	v_mul_f64_e32 v[156:157], v[146:147], v[144:145]
	v_mul_f64_e32 v[144:145], v[148:149], v[144:145]
	scratch_load_b128 v[130:133], off, off offset:432
	v_add_f64_e32 v[150:151], v[150:151], v[154:155]
	v_add_f64_e32 v[160:161], v[140:141], v[138:139]
	s_wait_loadcnt_dscnt 0xa00
	v_mul_f64_e32 v[154:155], v[4:5], v[128:129]
	v_mul_f64_e32 v[128:129], v[6:7], v[128:129]
	v_fmac_f64_e32 v[156:157], v[148:149], v[142:143]
	v_fma_f64 v[146:147], v[146:147], v[142:143], -v[144:145]
	ds_load_b128 v[138:141], v2 offset:928
	scratch_load_b128 v[142:145], off, off offset:448
	v_add_f64_e32 v[150:151], v[150:151], v[152:153]
	v_add_f64_e32 v[148:149], v[160:161], v[158:159]
	v_fmac_f64_e32 v[154:155], v[6:7], v[126:127]
	v_fma_f64 v[158:159], v[4:5], v[126:127], -v[128:129]
	ds_load_b128 v[4:7], v2 offset:944
	s_wait_loadcnt_dscnt 0xa01
	v_mul_f64_e32 v[152:153], v[138:139], v[10:11]
	v_mul_f64_e32 v[10:11], v[140:141], v[10:11]
	scratch_load_b128 v[126:129], off, off offset:464
	v_add_f64_e32 v[150:151], v[150:151], v[156:157]
	s_wait_loadcnt_dscnt 0xa00
	v_mul_f64_e32 v[156:157], v[4:5], v[14:15]
	v_add_f64_e32 v[160:161], v[148:149], v[146:147]
	v_mul_f64_e32 v[14:15], v[6:7], v[14:15]
	ds_load_b128 v[146:149], v2 offset:960
	v_fmac_f64_e32 v[152:153], v[140:141], v[8:9]
	v_fma_f64 v[138:139], v[138:139], v[8:9], -v[10:11]
	scratch_load_b128 v[8:11], off, off offset:480
	v_add_f64_e32 v[150:151], v[150:151], v[154:155]
	v_fmac_f64_e32 v[156:157], v[6:7], v[12:13]
	v_add_f64_e32 v[140:141], v[160:161], v[158:159]
	v_fma_f64 v[158:159], v[4:5], v[12:13], -v[14:15]
	ds_load_b128 v[4:7], v2 offset:976
	s_wait_loadcnt_dscnt 0xa01
	v_mul_f64_e32 v[154:155], v[146:147], v[18:19]
	v_mul_f64_e32 v[18:19], v[148:149], v[18:19]
	scratch_load_b128 v[12:15], off, off offset:496
	v_add_f64_e32 v[150:151], v[150:151], v[152:153]
	s_wait_loadcnt_dscnt 0xa00
	v_mul_f64_e32 v[152:153], v[4:5], v[22:23]
	v_add_f64_e32 v[160:161], v[140:141], v[138:139]
	v_mul_f64_e32 v[22:23], v[6:7], v[22:23]
	ds_load_b128 v[138:141], v2 offset:992
	v_fmac_f64_e32 v[154:155], v[148:149], v[16:17]
	v_fma_f64 v[146:147], v[146:147], v[16:17], -v[18:19]
	scratch_load_b128 v[16:19], off, off offset:512
	v_add_f64_e32 v[150:151], v[150:151], v[156:157]
	v_fmac_f64_e32 v[152:153], v[6:7], v[20:21]
	v_add_f64_e32 v[148:149], v[160:161], v[158:159]
	;; [unrolled: 18-line block ×5, first 2 shown]
	v_fma_f64 v[158:159], v[4:5], v[130:131], -v[132:133]
	ds_load_b128 v[4:7], v2 offset:1104
	s_wait_loadcnt_dscnt 0xa01
	v_mul_f64_e32 v[156:157], v[146:147], v[144:145]
	v_mul_f64_e32 v[144:145], v[148:149], v[144:145]
	scratch_load_b128 v[130:133], off, off offset:624
	v_add_f64_e32 v[150:151], v[150:151], v[154:155]
	s_wait_loadcnt_dscnt 0xa00
	v_mul_f64_e32 v[154:155], v[4:5], v[128:129]
	v_add_f64_e32 v[160:161], v[140:141], v[138:139]
	v_mul_f64_e32 v[128:129], v[6:7], v[128:129]
	ds_load_b128 v[138:141], v2 offset:1120
	v_fmac_f64_e32 v[156:157], v[148:149], v[142:143]
	v_fma_f64 v[142:143], v[146:147], v[142:143], -v[144:145]
	s_wait_loadcnt_dscnt 0x900
	v_mul_f64_e32 v[148:149], v[138:139], v[10:11]
	v_mul_f64_e32 v[10:11], v[140:141], v[10:11]
	v_add_f64_e32 v[146:147], v[150:151], v[152:153]
	v_fmac_f64_e32 v[154:155], v[6:7], v[126:127]
	v_add_f64_e32 v[144:145], v[160:161], v[158:159]
	v_fma_f64 v[150:151], v[4:5], v[126:127], -v[128:129]
	ds_load_b128 v[4:7], v2 offset:1136
	ds_load_b128 v[126:129], v2 offset:1152
	v_fmac_f64_e32 v[148:149], v[140:141], v[8:9]
	v_fma_f64 v[8:9], v[138:139], v[8:9], -v[10:11]
	v_add_f64_e32 v[142:143], v[144:145], v[142:143]
	v_add_f64_e32 v[144:145], v[146:147], v[156:157]
	s_wait_loadcnt_dscnt 0x801
	v_mul_f64_e32 v[146:147], v[4:5], v[14:15]
	v_mul_f64_e32 v[14:15], v[6:7], v[14:15]
	s_wait_loadcnt_dscnt 0x700
	v_mul_f64_e32 v[140:141], v[126:127], v[18:19]
	v_mul_f64_e32 v[18:19], v[128:129], v[18:19]
	v_add_f64_e32 v[10:11], v[142:143], v[150:151]
	v_add_f64_e32 v[138:139], v[144:145], v[154:155]
	v_fmac_f64_e32 v[146:147], v[6:7], v[12:13]
	v_fma_f64 v[12:13], v[4:5], v[12:13], -v[14:15]
	v_fmac_f64_e32 v[140:141], v[128:129], v[16:17]
	v_fma_f64 v[16:17], v[126:127], v[16:17], -v[18:19]
	v_add_f64_e32 v[14:15], v[10:11], v[8:9]
	v_add_f64_e32 v[138:139], v[138:139], v[148:149]
	ds_load_b128 v[4:7], v2 offset:1168
	ds_load_b128 v[8:11], v2 offset:1184
	s_wait_loadcnt_dscnt 0x601
	v_mul_f64_e32 v[142:143], v[4:5], v[22:23]
	v_mul_f64_e32 v[22:23], v[6:7], v[22:23]
	s_wait_loadcnt_dscnt 0x500
	v_mul_f64_e32 v[18:19], v[8:9], v[108:109]
	v_mul_f64_e32 v[108:109], v[10:11], v[108:109]
	v_add_f64_e32 v[12:13], v[14:15], v[12:13]
	v_add_f64_e32 v[14:15], v[138:139], v[146:147]
	v_fmac_f64_e32 v[142:143], v[6:7], v[20:21]
	v_fma_f64 v[20:21], v[4:5], v[20:21], -v[22:23]
	v_fmac_f64_e32 v[18:19], v[10:11], v[106:107]
	v_fma_f64 v[8:9], v[8:9], v[106:107], -v[108:109]
	v_add_f64_e32 v[16:17], v[12:13], v[16:17]
	v_add_f64_e32 v[22:23], v[14:15], v[140:141]
	ds_load_b128 v[4:7], v2 offset:1200
	ds_load_b128 v[12:15], v2 offset:1216
	s_wait_loadcnt_dscnt 0x401
	v_mul_f64_e32 v[126:127], v[4:5], v[112:113]
	v_mul_f64_e32 v[112:113], v[6:7], v[112:113]
	v_add_f64_e32 v[10:11], v[16:17], v[20:21]
	v_add_f64_e32 v[16:17], v[22:23], v[142:143]
	s_wait_loadcnt_dscnt 0x300
	v_mul_f64_e32 v[20:21], v[12:13], v[116:117]
	v_mul_f64_e32 v[22:23], v[14:15], v[116:117]
	v_fmac_f64_e32 v[126:127], v[6:7], v[110:111]
	v_fma_f64 v[106:107], v[4:5], v[110:111], -v[112:113]
	v_add_f64_e32 v[108:109], v[10:11], v[8:9]
	v_add_f64_e32 v[16:17], v[16:17], v[18:19]
	ds_load_b128 v[4:7], v2 offset:1232
	ds_load_b128 v[8:11], v2 offset:1248
	v_fmac_f64_e32 v[20:21], v[14:15], v[114:115]
	v_fma_f64 v[12:13], v[12:13], v[114:115], -v[22:23]
	s_wait_loadcnt_dscnt 0x201
	v_mul_f64_e32 v[18:19], v[4:5], v[120:121]
	v_mul_f64_e32 v[110:111], v[6:7], v[120:121]
	s_wait_loadcnt_dscnt 0x100
	v_mul_f64_e32 v[22:23], v[8:9], v[124:125]
	v_add_f64_e32 v[14:15], v[108:109], v[106:107]
	v_add_f64_e32 v[16:17], v[16:17], v[126:127]
	v_mul_f64_e32 v[106:107], v[10:11], v[124:125]
	v_fmac_f64_e32 v[18:19], v[6:7], v[118:119]
	v_fma_f64 v[108:109], v[4:5], v[118:119], -v[110:111]
	ds_load_b128 v[4:7], v2 offset:1264
	v_fmac_f64_e32 v[22:23], v[10:11], v[122:123]
	v_add_f64_e32 v[12:13], v[14:15], v[12:13]
	v_add_f64_e32 v[14:15], v[16:17], v[20:21]
	v_fma_f64 v[8:9], v[8:9], v[122:123], -v[106:107]
	s_wait_loadcnt_dscnt 0x0
	v_mul_f64_e32 v[16:17], v[4:5], v[132:133]
	v_mul_f64_e32 v[20:21], v[6:7], v[132:133]
	v_add_f64_e32 v[10:11], v[12:13], v[108:109]
	v_add_f64_e32 v[12:13], v[14:15], v[18:19]
	s_delay_alu instid0(VALU_DEP_4) | instskip(NEXT) | instid1(VALU_DEP_4)
	v_fmac_f64_e32 v[16:17], v[6:7], v[130:131]
	v_fma_f64 v[4:5], v[4:5], v[130:131], -v[20:21]
	s_delay_alu instid0(VALU_DEP_4) | instskip(NEXT) | instid1(VALU_DEP_4)
	v_add_f64_e32 v[6:7], v[10:11], v[8:9]
	v_add_f64_e32 v[8:9], v[12:13], v[22:23]
	s_delay_alu instid0(VALU_DEP_2) | instskip(NEXT) | instid1(VALU_DEP_2)
	v_add_f64_e32 v[4:5], v[6:7], v[4:5]
	v_add_f64_e32 v[6:7], v[8:9], v[16:17]
	s_delay_alu instid0(VALU_DEP_2) | instskip(NEXT) | instid1(VALU_DEP_2)
	v_add_f64_e64 v[4:5], v[134:135], -v[4:5]
	v_add_f64_e64 v[6:7], v[136:137], -v[6:7]
	scratch_store_b128 off, v[4:7], off offset:64
	s_wait_xcnt 0x0
	v_cmpx_lt_u32_e32 3, v1
	s_cbranch_execz .LBB39_247
; %bb.246:
	scratch_load_b128 v[6:9], off, s37
	v_dual_mov_b32 v3, v2 :: v_dual_mov_b32 v4, v2
	v_mov_b32_e32 v5, v2
	scratch_store_b128 off, v[2:5], off offset:48
	s_wait_loadcnt 0x0
	ds_store_b128 v104, v[6:9]
.LBB39_247:
	s_wait_xcnt 0x0
	s_or_b32 exec_lo, exec_lo, s2
	s_wait_storecnt_dscnt 0x0
	s_barrier_signal -1
	s_barrier_wait -1
	s_clause 0x9
	scratch_load_b128 v[4:7], off, off offset:64
	scratch_load_b128 v[8:11], off, off offset:80
	;; [unrolled: 1-line block ×10, first 2 shown]
	ds_load_b128 v[126:129], v2 offset:704
	ds_load_b128 v[134:137], v2 offset:720
	s_clause 0x2
	scratch_load_b128 v[130:133], off, off offset:224
	scratch_load_b128 v[138:141], off, off offset:48
	;; [unrolled: 1-line block ×3, first 2 shown]
	s_mov_b32 s2, exec_lo
	s_wait_loadcnt_dscnt 0xc01
	v_mul_f64_e32 v[146:147], v[128:129], v[6:7]
	v_mul_f64_e32 v[150:151], v[126:127], v[6:7]
	s_wait_loadcnt_dscnt 0xb00
	v_mul_f64_e32 v[152:153], v[134:135], v[10:11]
	v_mul_f64_e32 v[10:11], v[136:137], v[10:11]
	s_delay_alu instid0(VALU_DEP_4) | instskip(NEXT) | instid1(VALU_DEP_4)
	v_fma_f64 v[154:155], v[126:127], v[4:5], -v[146:147]
	v_fmac_f64_e32 v[150:151], v[128:129], v[4:5]
	ds_load_b128 v[4:7], v2 offset:736
	ds_load_b128 v[126:129], v2 offset:752
	scratch_load_b128 v[146:149], off, off offset:256
	v_fmac_f64_e32 v[152:153], v[136:137], v[8:9]
	v_fma_f64 v[134:135], v[134:135], v[8:9], -v[10:11]
	scratch_load_b128 v[8:11], off, off offset:272
	s_wait_loadcnt_dscnt 0xc01
	v_mul_f64_e32 v[156:157], v[4:5], v[14:15]
	v_mul_f64_e32 v[14:15], v[6:7], v[14:15]
	v_add_f64_e32 v[136:137], 0, v[154:155]
	v_add_f64_e32 v[150:151], 0, v[150:151]
	s_wait_loadcnt_dscnt 0xb00
	v_mul_f64_e32 v[154:155], v[126:127], v[18:19]
	v_mul_f64_e32 v[18:19], v[128:129], v[18:19]
	v_fmac_f64_e32 v[156:157], v[6:7], v[12:13]
	v_fma_f64 v[158:159], v[4:5], v[12:13], -v[14:15]
	ds_load_b128 v[4:7], v2 offset:768
	ds_load_b128 v[12:15], v2 offset:784
	v_add_f64_e32 v[160:161], v[136:137], v[134:135]
	v_add_f64_e32 v[150:151], v[150:151], v[152:153]
	scratch_load_b128 v[134:137], off, off offset:288
	v_fmac_f64_e32 v[154:155], v[128:129], v[16:17]
	v_fma_f64 v[126:127], v[126:127], v[16:17], -v[18:19]
	scratch_load_b128 v[16:19], off, off offset:304
	s_wait_loadcnt_dscnt 0xc01
	v_mul_f64_e32 v[152:153], v[4:5], v[22:23]
	v_mul_f64_e32 v[22:23], v[6:7], v[22:23]
	v_add_f64_e32 v[128:129], v[160:161], v[158:159]
	v_add_f64_e32 v[150:151], v[150:151], v[156:157]
	s_wait_loadcnt_dscnt 0xb00
	v_mul_f64_e32 v[156:157], v[12:13], v[108:109]
	v_mul_f64_e32 v[108:109], v[14:15], v[108:109]
	v_fmac_f64_e32 v[152:153], v[6:7], v[20:21]
	v_fma_f64 v[158:159], v[4:5], v[20:21], -v[22:23]
	ds_load_b128 v[4:7], v2 offset:800
	ds_load_b128 v[20:23], v2 offset:816
	v_add_f64_e32 v[160:161], v[128:129], v[126:127]
	v_add_f64_e32 v[150:151], v[150:151], v[154:155]
	scratch_load_b128 v[126:129], off, off offset:320
	s_wait_loadcnt_dscnt 0xb01
	v_mul_f64_e32 v[154:155], v[4:5], v[112:113]
	v_mul_f64_e32 v[112:113], v[6:7], v[112:113]
	v_fmac_f64_e32 v[156:157], v[14:15], v[106:107]
	v_fma_f64 v[106:107], v[12:13], v[106:107], -v[108:109]
	scratch_load_b128 v[12:15], off, off offset:336
	v_add_f64_e32 v[108:109], v[160:161], v[158:159]
	v_add_f64_e32 v[150:151], v[150:151], v[152:153]
	s_wait_loadcnt_dscnt 0xb00
	v_mul_f64_e32 v[152:153], v[20:21], v[116:117]
	v_mul_f64_e32 v[116:117], v[22:23], v[116:117]
	v_fmac_f64_e32 v[154:155], v[6:7], v[110:111]
	v_fma_f64 v[158:159], v[4:5], v[110:111], -v[112:113]
	v_add_f64_e32 v[160:161], v[108:109], v[106:107]
	v_add_f64_e32 v[150:151], v[150:151], v[156:157]
	ds_load_b128 v[4:7], v2 offset:832
	ds_load_b128 v[106:109], v2 offset:848
	scratch_load_b128 v[110:113], off, off offset:352
	v_fmac_f64_e32 v[152:153], v[22:23], v[114:115]
	v_fma_f64 v[114:115], v[20:21], v[114:115], -v[116:117]
	scratch_load_b128 v[20:23], off, off offset:368
	s_wait_loadcnt_dscnt 0xc01
	v_mul_f64_e32 v[156:157], v[4:5], v[120:121]
	v_mul_f64_e32 v[120:121], v[6:7], v[120:121]
	v_add_f64_e32 v[116:117], v[160:161], v[158:159]
	v_add_f64_e32 v[150:151], v[150:151], v[154:155]
	s_wait_loadcnt_dscnt 0xb00
	v_mul_f64_e32 v[154:155], v[106:107], v[124:125]
	v_mul_f64_e32 v[124:125], v[108:109], v[124:125]
	v_fmac_f64_e32 v[156:157], v[6:7], v[118:119]
	v_fma_f64 v[158:159], v[4:5], v[118:119], -v[120:121]
	v_add_f64_e32 v[160:161], v[116:117], v[114:115]
	v_add_f64_e32 v[150:151], v[150:151], v[152:153]
	ds_load_b128 v[4:7], v2 offset:864
	ds_load_b128 v[114:117], v2 offset:880
	scratch_load_b128 v[118:121], off, off offset:384
	v_fmac_f64_e32 v[154:155], v[108:109], v[122:123]
	v_fma_f64 v[122:123], v[106:107], v[122:123], -v[124:125]
	scratch_load_b128 v[106:109], off, off offset:400
	s_wait_loadcnt_dscnt 0xc01
	v_mul_f64_e32 v[152:153], v[4:5], v[132:133]
	v_mul_f64_e32 v[132:133], v[6:7], v[132:133]
	;; [unrolled: 18-line block ×5, first 2 shown]
	v_add_f64_e32 v[144:145], v[160:161], v[158:159]
	v_add_f64_e32 v[150:151], v[150:151], v[156:157]
	s_wait_loadcnt_dscnt 0xa00
	v_mul_f64_e32 v[156:157], v[122:123], v[14:15]
	v_mul_f64_e32 v[14:15], v[124:125], v[14:15]
	v_fmac_f64_e32 v[152:153], v[6:7], v[126:127]
	v_fma_f64 v[158:159], v[4:5], v[126:127], -v[128:129]
	ds_load_b128 v[4:7], v2 offset:992
	ds_load_b128 v[126:129], v2 offset:1008
	v_add_f64_e32 v[160:161], v[144:145], v[142:143]
	v_add_f64_e32 v[150:151], v[150:151], v[154:155]
	scratch_load_b128 v[142:145], off, off offset:512
	v_fmac_f64_e32 v[156:157], v[124:125], v[12:13]
	v_fma_f64 v[122:123], v[122:123], v[12:13], -v[14:15]
	scratch_load_b128 v[12:15], off, off offset:528
	s_wait_loadcnt_dscnt 0xb01
	v_mul_f64_e32 v[154:155], v[4:5], v[112:113]
	v_mul_f64_e32 v[112:113], v[6:7], v[112:113]
	v_add_f64_e32 v[124:125], v[160:161], v[158:159]
	v_add_f64_e32 v[150:151], v[150:151], v[152:153]
	s_wait_loadcnt_dscnt 0xa00
	v_mul_f64_e32 v[152:153], v[126:127], v[22:23]
	v_mul_f64_e32 v[22:23], v[128:129], v[22:23]
	v_fmac_f64_e32 v[154:155], v[6:7], v[110:111]
	v_fma_f64 v[158:159], v[4:5], v[110:111], -v[112:113]
	ds_load_b128 v[4:7], v2 offset:1024
	ds_load_b128 v[110:113], v2 offset:1040
	v_add_f64_e32 v[160:161], v[124:125], v[122:123]
	v_add_f64_e32 v[150:151], v[150:151], v[156:157]
	scratch_load_b128 v[122:125], off, off offset:544
	s_wait_loadcnt_dscnt 0xa01
	v_mul_f64_e32 v[156:157], v[4:5], v[120:121]
	v_mul_f64_e32 v[120:121], v[6:7], v[120:121]
	v_fmac_f64_e32 v[152:153], v[128:129], v[20:21]
	v_fma_f64 v[126:127], v[126:127], v[20:21], -v[22:23]
	scratch_load_b128 v[20:23], off, off offset:560
	v_add_f64_e32 v[128:129], v[160:161], v[158:159]
	v_add_f64_e32 v[150:151], v[150:151], v[154:155]
	s_wait_loadcnt_dscnt 0xa00
	v_mul_f64_e32 v[154:155], v[110:111], v[108:109]
	v_mul_f64_e32 v[108:109], v[112:113], v[108:109]
	v_fmac_f64_e32 v[156:157], v[6:7], v[118:119]
	v_fma_f64 v[158:159], v[4:5], v[118:119], -v[120:121]
	ds_load_b128 v[4:7], v2 offset:1056
	ds_load_b128 v[118:121], v2 offset:1072
	v_add_f64_e32 v[160:161], v[128:129], v[126:127]
	v_add_f64_e32 v[150:151], v[150:151], v[152:153]
	scratch_load_b128 v[126:129], off, off offset:576
	s_wait_loadcnt_dscnt 0xa01
	v_mul_f64_e32 v[152:153], v[4:5], v[132:133]
	v_mul_f64_e32 v[132:133], v[6:7], v[132:133]
	v_fmac_f64_e32 v[154:155], v[112:113], v[106:107]
	v_fma_f64 v[110:111], v[110:111], v[106:107], -v[108:109]
	scratch_load_b128 v[106:109], off, off offset:592
	v_add_f64_e32 v[112:113], v[160:161], v[158:159]
	v_add_f64_e32 v[150:151], v[150:151], v[156:157]
	s_wait_loadcnt_dscnt 0xa00
	v_mul_f64_e32 v[156:157], v[118:119], v[116:117]
	v_mul_f64_e32 v[116:117], v[120:121], v[116:117]
	v_fmac_f64_e32 v[152:153], v[6:7], v[130:131]
	v_fma_f64 v[158:159], v[4:5], v[130:131], -v[132:133]
	v_add_f64_e32 v[160:161], v[112:113], v[110:111]
	v_add_f64_e32 v[150:151], v[150:151], v[154:155]
	ds_load_b128 v[4:7], v2 offset:1088
	ds_load_b128 v[110:113], v2 offset:1104
	scratch_load_b128 v[130:133], off, off offset:608
	v_fmac_f64_e32 v[156:157], v[120:121], v[114:115]
	v_fma_f64 v[118:119], v[118:119], v[114:115], -v[116:117]
	scratch_load_b128 v[114:117], off, off offset:624
	s_wait_loadcnt_dscnt 0xb01
	v_mul_f64_e32 v[154:155], v[4:5], v[148:149]
	v_mul_f64_e32 v[148:149], v[6:7], v[148:149]
	v_add_f64_e32 v[120:121], v[160:161], v[158:159]
	v_add_f64_e32 v[150:151], v[150:151], v[152:153]
	s_wait_loadcnt_dscnt 0xa00
	v_mul_f64_e32 v[152:153], v[110:111], v[10:11]
	v_mul_f64_e32 v[10:11], v[112:113], v[10:11]
	v_fmac_f64_e32 v[154:155], v[6:7], v[146:147]
	v_fma_f64 v[146:147], v[4:5], v[146:147], -v[148:149]
	v_add_f64_e32 v[148:149], v[120:121], v[118:119]
	v_add_f64_e32 v[150:151], v[150:151], v[156:157]
	ds_load_b128 v[4:7], v2 offset:1120
	ds_load_b128 v[118:121], v2 offset:1136
	v_fmac_f64_e32 v[152:153], v[112:113], v[8:9]
	v_fma_f64 v[8:9], v[110:111], v[8:9], -v[10:11]
	s_wait_loadcnt_dscnt 0x901
	v_mul_f64_e32 v[156:157], v[4:5], v[136:137]
	v_mul_f64_e32 v[136:137], v[6:7], v[136:137]
	s_wait_loadcnt_dscnt 0x800
	v_mul_f64_e32 v[112:113], v[118:119], v[18:19]
	v_mul_f64_e32 v[18:19], v[120:121], v[18:19]
	v_add_f64_e32 v[10:11], v[148:149], v[146:147]
	v_add_f64_e32 v[110:111], v[150:151], v[154:155]
	v_fmac_f64_e32 v[156:157], v[6:7], v[134:135]
	v_fma_f64 v[134:135], v[4:5], v[134:135], -v[136:137]
	v_fmac_f64_e32 v[112:113], v[120:121], v[16:17]
	v_fma_f64 v[16:17], v[118:119], v[16:17], -v[18:19]
	v_add_f64_e32 v[136:137], v[10:11], v[8:9]
	v_add_f64_e32 v[110:111], v[110:111], v[152:153]
	ds_load_b128 v[4:7], v2 offset:1152
	ds_load_b128 v[8:11], v2 offset:1168
	s_wait_loadcnt_dscnt 0x701
	v_mul_f64_e32 v[146:147], v[4:5], v[144:145]
	v_mul_f64_e32 v[144:145], v[6:7], v[144:145]
	s_wait_loadcnt_dscnt 0x600
	v_mul_f64_e32 v[118:119], v[8:9], v[14:15]
	v_mul_f64_e32 v[120:121], v[10:11], v[14:15]
	v_add_f64_e32 v[18:19], v[136:137], v[134:135]
	v_add_f64_e32 v[110:111], v[110:111], v[156:157]
	v_fmac_f64_e32 v[146:147], v[6:7], v[142:143]
	v_fma_f64 v[134:135], v[4:5], v[142:143], -v[144:145]
	v_fmac_f64_e32 v[118:119], v[10:11], v[12:13]
	v_fma_f64 v[8:9], v[8:9], v[12:13], -v[120:121]
	v_add_f64_e32 v[18:19], v[18:19], v[16:17]
	v_add_f64_e32 v[110:111], v[110:111], v[112:113]
	ds_load_b128 v[4:7], v2 offset:1184
	ds_load_b128 v[14:17], v2 offset:1200
	s_wait_loadcnt_dscnt 0x501
	v_mul_f64_e32 v[112:113], v[4:5], v[124:125]
	v_mul_f64_e32 v[124:125], v[6:7], v[124:125]
	v_add_f64_e32 v[10:11], v[18:19], v[134:135]
	v_add_f64_e32 v[12:13], v[110:111], v[146:147]
	s_wait_loadcnt_dscnt 0x400
	v_mul_f64_e32 v[18:19], v[14:15], v[22:23]
	v_mul_f64_e32 v[22:23], v[16:17], v[22:23]
	v_fmac_f64_e32 v[112:113], v[6:7], v[122:123]
	v_fma_f64 v[110:111], v[4:5], v[122:123], -v[124:125]
	v_add_f64_e32 v[120:121], v[10:11], v[8:9]
	v_add_f64_e32 v[12:13], v[12:13], v[118:119]
	ds_load_b128 v[4:7], v2 offset:1216
	ds_load_b128 v[8:11], v2 offset:1232
	v_fmac_f64_e32 v[18:19], v[16:17], v[20:21]
	v_fma_f64 v[14:15], v[14:15], v[20:21], -v[22:23]
	s_wait_loadcnt_dscnt 0x301
	v_mul_f64_e32 v[118:119], v[4:5], v[128:129]
	v_mul_f64_e32 v[122:123], v[6:7], v[128:129]
	s_wait_loadcnt_dscnt 0x200
	v_mul_f64_e32 v[20:21], v[8:9], v[108:109]
	v_mul_f64_e32 v[22:23], v[10:11], v[108:109]
	v_add_f64_e32 v[16:17], v[120:121], v[110:111]
	v_add_f64_e32 v[12:13], v[12:13], v[112:113]
	v_fmac_f64_e32 v[118:119], v[6:7], v[126:127]
	v_fma_f64 v[108:109], v[4:5], v[126:127], -v[122:123]
	v_fmac_f64_e32 v[20:21], v[10:11], v[106:107]
	v_fma_f64 v[8:9], v[8:9], v[106:107], -v[22:23]
	v_add_f64_e32 v[16:17], v[16:17], v[14:15]
	v_add_f64_e32 v[18:19], v[12:13], v[18:19]
	ds_load_b128 v[4:7], v2 offset:1248
	ds_load_b128 v[12:15], v2 offset:1264
	s_wait_loadcnt_dscnt 0x101
	v_mul_f64_e32 v[2:3], v[4:5], v[132:133]
	v_mul_f64_e32 v[110:111], v[6:7], v[132:133]
	s_wait_loadcnt_dscnt 0x0
	v_mul_f64_e32 v[22:23], v[14:15], v[116:117]
	v_add_f64_e32 v[10:11], v[16:17], v[108:109]
	v_add_f64_e32 v[16:17], v[18:19], v[118:119]
	v_mul_f64_e32 v[18:19], v[12:13], v[116:117]
	v_fmac_f64_e32 v[2:3], v[6:7], v[130:131]
	v_fma_f64 v[4:5], v[4:5], v[130:131], -v[110:111]
	v_add_f64_e32 v[6:7], v[10:11], v[8:9]
	v_add_f64_e32 v[8:9], v[16:17], v[20:21]
	v_fmac_f64_e32 v[18:19], v[14:15], v[114:115]
	v_fma_f64 v[10:11], v[12:13], v[114:115], -v[22:23]
	s_delay_alu instid0(VALU_DEP_4) | instskip(NEXT) | instid1(VALU_DEP_4)
	v_add_f64_e32 v[4:5], v[6:7], v[4:5]
	v_add_f64_e32 v[2:3], v[8:9], v[2:3]
	s_delay_alu instid0(VALU_DEP_2) | instskip(NEXT) | instid1(VALU_DEP_2)
	v_add_f64_e32 v[4:5], v[4:5], v[10:11]
	v_add_f64_e32 v[6:7], v[2:3], v[18:19]
	s_delay_alu instid0(VALU_DEP_2) | instskip(NEXT) | instid1(VALU_DEP_2)
	v_add_f64_e64 v[2:3], v[138:139], -v[4:5]
	v_add_f64_e64 v[4:5], v[140:141], -v[6:7]
	scratch_store_b128 off, v[2:5], off offset:48
	s_wait_xcnt 0x0
	v_cmpx_lt_u32_e32 2, v1
	s_cbranch_execz .LBB39_249
; %bb.248:
	scratch_load_b128 v[2:5], off, s36
	v_mov_b32_e32 v6, 0
	s_delay_alu instid0(VALU_DEP_1)
	v_dual_mov_b32 v7, v6 :: v_dual_mov_b32 v8, v6
	v_mov_b32_e32 v9, v6
	scratch_store_b128 off, v[6:9], off offset:32
	s_wait_loadcnt 0x0
	ds_store_b128 v104, v[2:5]
.LBB39_249:
	s_wait_xcnt 0x0
	s_or_b32 exec_lo, exec_lo, s2
	s_wait_storecnt_dscnt 0x0
	s_barrier_signal -1
	s_barrier_wait -1
	s_clause 0x9
	scratch_load_b128 v[4:7], off, off offset:48
	scratch_load_b128 v[8:11], off, off offset:64
	;; [unrolled: 1-line block ×10, first 2 shown]
	v_mov_b32_e32 v2, 0
	s_mov_b32 s2, exec_lo
	v_dual_ashrrev_i32 v29, 31, v28 :: v_dual_ashrrev_i32 v31, 31, v30
	v_ashrrev_i32_e32 v33, 31, v32
	ds_load_b128 v[126:129], v2 offset:688
	s_clause 0x2
	scratch_load_b128 v[130:133], off, off offset:208
	scratch_load_b128 v[134:137], off, off offset:32
	;; [unrolled: 1-line block ×3, first 2 shown]
	v_ashrrev_i32_e32 v37, 31, v36
	v_ashrrev_i32_e32 v41, 31, v40
	v_dual_ashrrev_i32 v45, 31, v44 :: v_dual_ashrrev_i32 v35, 31, v34
	v_ashrrev_i32_e32 v49, 31, v48
	v_dual_ashrrev_i32 v53, 31, v52 :: v_dual_ashrrev_i32 v39, 31, v38
	;; [unrolled: 2-line block ×3, first 2 shown]
	v_ashrrev_i32_e32 v65, 31, v64
	v_ashrrev_i32_e32 v69, 31, v68
	v_dual_ashrrev_i32 v73, 31, v72 :: v_dual_ashrrev_i32 v47, 31, v46
	v_dual_ashrrev_i32 v51, 31, v50 :: v_dual_ashrrev_i32 v77, 31, v76
	v_ashrrev_i32_e32 v55, 31, v54
	v_ashrrev_i32_e32 v59, 31, v58
	v_dual_ashrrev_i32 v63, 31, v62 :: v_dual_ashrrev_i32 v81, 31, v80
	v_dual_ashrrev_i32 v85, 31, v84 :: v_dual_ashrrev_i32 v67, 31, v66
	v_dual_ashrrev_i32 v71, 31, v70 :: v_dual_ashrrev_i32 v89, 31, v88
	v_dual_ashrrev_i32 v75, 31, v74 :: v_dual_ashrrev_i32 v93, 31, v92
	v_ashrrev_i32_e32 v79, 31, v78
	v_dual_ashrrev_i32 v83, 31, v82 :: v_dual_ashrrev_i32 v97, 31, v96
	v_dual_ashrrev_i32 v87, 31, v86 :: v_dual_ashrrev_i32 v101, 31, v100
	v_ashrrev_i32_e32 v91, 31, v90
	v_ashrrev_i32_e32 v95, 31, v94
	v_ashrrev_i32_e32 v99, 31, v98
	v_ashrrev_i32_e32 v103, 31, v102
	s_wait_loadcnt_dscnt 0xc00
	v_mul_f64_e32 v[146:147], v[128:129], v[6:7]
	v_mul_f64_e32 v[150:151], v[126:127], v[6:7]
	ds_load_b128 v[138:141], v2 offset:704
	v_fma_f64 v[154:155], v[126:127], v[4:5], -v[146:147]
	v_fmac_f64_e32 v[150:151], v[128:129], v[4:5]
	ds_load_b128 v[4:7], v2 offset:720
	s_wait_loadcnt_dscnt 0xb01
	v_mul_f64_e32 v[152:153], v[138:139], v[10:11]
	v_mul_f64_e32 v[10:11], v[140:141], v[10:11]
	scratch_load_b128 v[126:129], off, off offset:240
	ds_load_b128 v[146:149], v2 offset:736
	s_wait_loadcnt_dscnt 0xb01
	v_mul_f64_e32 v[156:157], v[4:5], v[14:15]
	v_mul_f64_e32 v[14:15], v[6:7], v[14:15]
	v_add_f64_e32 v[150:151], 0, v[150:151]
	v_fmac_f64_e32 v[152:153], v[140:141], v[8:9]
	v_fma_f64 v[138:139], v[138:139], v[8:9], -v[10:11]
	v_add_f64_e32 v[140:141], 0, v[154:155]
	scratch_load_b128 v[8:11], off, off offset:256
	v_fmac_f64_e32 v[156:157], v[6:7], v[12:13]
	v_fma_f64 v[158:159], v[4:5], v[12:13], -v[14:15]
	ds_load_b128 v[4:7], v2 offset:752
	s_wait_loadcnt_dscnt 0xb01
	v_mul_f64_e32 v[154:155], v[146:147], v[18:19]
	v_mul_f64_e32 v[18:19], v[148:149], v[18:19]
	scratch_load_b128 v[12:15], off, off offset:272
	v_add_f64_e32 v[150:151], v[150:151], v[152:153]
	v_add_f64_e32 v[160:161], v[140:141], v[138:139]
	ds_load_b128 v[138:141], v2 offset:768
	s_wait_loadcnt_dscnt 0xb01
	v_mul_f64_e32 v[152:153], v[4:5], v[22:23]
	v_mul_f64_e32 v[22:23], v[6:7], v[22:23]
	v_fmac_f64_e32 v[154:155], v[148:149], v[16:17]
	v_fma_f64 v[146:147], v[146:147], v[16:17], -v[18:19]
	scratch_load_b128 v[16:19], off, off offset:288
	v_add_f64_e32 v[150:151], v[150:151], v[156:157]
	v_add_f64_e32 v[148:149], v[160:161], v[158:159]
	v_fmac_f64_e32 v[152:153], v[6:7], v[20:21]
	v_fma_f64 v[158:159], v[4:5], v[20:21], -v[22:23]
	ds_load_b128 v[4:7], v2 offset:784
	s_wait_loadcnt_dscnt 0xb01
	v_mul_f64_e32 v[156:157], v[138:139], v[108:109]
	v_mul_f64_e32 v[108:109], v[140:141], v[108:109]
	scratch_load_b128 v[20:23], off, off offset:304
	v_add_f64_e32 v[150:151], v[150:151], v[154:155]
	s_wait_loadcnt_dscnt 0xb00
	v_mul_f64_e32 v[154:155], v[4:5], v[112:113]
	v_add_f64_e32 v[160:161], v[148:149], v[146:147]
	v_mul_f64_e32 v[112:113], v[6:7], v[112:113]
	ds_load_b128 v[146:149], v2 offset:800
	v_fmac_f64_e32 v[156:157], v[140:141], v[106:107]
	v_fma_f64 v[138:139], v[138:139], v[106:107], -v[108:109]
	scratch_load_b128 v[106:109], off, off offset:320
	v_add_f64_e32 v[150:151], v[150:151], v[152:153]
	v_fmac_f64_e32 v[154:155], v[6:7], v[110:111]
	v_add_f64_e32 v[140:141], v[160:161], v[158:159]
	v_fma_f64 v[158:159], v[4:5], v[110:111], -v[112:113]
	ds_load_b128 v[4:7], v2 offset:816
	s_wait_loadcnt_dscnt 0xb01
	v_mul_f64_e32 v[152:153], v[146:147], v[116:117]
	v_mul_f64_e32 v[116:117], v[148:149], v[116:117]
	scratch_load_b128 v[110:113], off, off offset:336
	v_add_f64_e32 v[150:151], v[150:151], v[156:157]
	s_wait_loadcnt_dscnt 0xb00
	v_mul_f64_e32 v[156:157], v[4:5], v[120:121]
	v_add_f64_e32 v[160:161], v[140:141], v[138:139]
	v_mul_f64_e32 v[120:121], v[6:7], v[120:121]
	ds_load_b128 v[138:141], v2 offset:832
	v_fmac_f64_e32 v[152:153], v[148:149], v[114:115]
	v_fma_f64 v[146:147], v[146:147], v[114:115], -v[116:117]
	scratch_load_b128 v[114:117], off, off offset:352
	v_add_f64_e32 v[150:151], v[150:151], v[154:155]
	v_fmac_f64_e32 v[156:157], v[6:7], v[118:119]
	v_add_f64_e32 v[148:149], v[160:161], v[158:159]
	v_fma_f64 v[158:159], v[4:5], v[118:119], -v[120:121]
	ds_load_b128 v[4:7], v2 offset:848
	s_wait_loadcnt_dscnt 0xb01
	v_mul_f64_e32 v[154:155], v[138:139], v[124:125]
	v_mul_f64_e32 v[124:125], v[140:141], v[124:125]
	scratch_load_b128 v[118:121], off, off offset:368
	v_add_f64_e32 v[150:151], v[150:151], v[152:153]
	s_wait_loadcnt_dscnt 0xb00
	v_mul_f64_e32 v[152:153], v[4:5], v[132:133]
	v_add_f64_e32 v[160:161], v[148:149], v[146:147]
	v_mul_f64_e32 v[132:133], v[6:7], v[132:133]
	ds_load_b128 v[146:149], v2 offset:864
	v_fmac_f64_e32 v[154:155], v[140:141], v[122:123]
	v_fma_f64 v[138:139], v[138:139], v[122:123], -v[124:125]
	scratch_load_b128 v[122:125], off, off offset:384
	v_add_f64_e32 v[150:151], v[150:151], v[156:157]
	v_fmac_f64_e32 v[152:153], v[6:7], v[130:131]
	v_add_f64_e32 v[140:141], v[160:161], v[158:159]
	v_fma_f64 v[158:159], v[4:5], v[130:131], -v[132:133]
	ds_load_b128 v[4:7], v2 offset:880
	s_wait_loadcnt_dscnt 0xa01
	v_mul_f64_e32 v[156:157], v[146:147], v[144:145]
	v_mul_f64_e32 v[144:145], v[148:149], v[144:145]
	scratch_load_b128 v[130:133], off, off offset:400
	v_add_f64_e32 v[150:151], v[150:151], v[154:155]
	v_add_f64_e32 v[160:161], v[140:141], v[138:139]
	s_wait_loadcnt_dscnt 0xa00
	v_mul_f64_e32 v[154:155], v[4:5], v[128:129]
	v_mul_f64_e32 v[128:129], v[6:7], v[128:129]
	v_fmac_f64_e32 v[156:157], v[148:149], v[142:143]
	v_fma_f64 v[146:147], v[146:147], v[142:143], -v[144:145]
	ds_load_b128 v[138:141], v2 offset:896
	scratch_load_b128 v[142:145], off, off offset:416
	v_add_f64_e32 v[150:151], v[150:151], v[152:153]
	v_add_f64_e32 v[148:149], v[160:161], v[158:159]
	v_fmac_f64_e32 v[154:155], v[6:7], v[126:127]
	v_fma_f64 v[158:159], v[4:5], v[126:127], -v[128:129]
	ds_load_b128 v[4:7], v2 offset:912
	s_wait_loadcnt_dscnt 0xa01
	v_mul_f64_e32 v[152:153], v[138:139], v[10:11]
	v_mul_f64_e32 v[10:11], v[140:141], v[10:11]
	scratch_load_b128 v[126:129], off, off offset:432
	v_add_f64_e32 v[150:151], v[150:151], v[156:157]
	s_wait_loadcnt_dscnt 0xa00
	v_mul_f64_e32 v[156:157], v[4:5], v[14:15]
	v_add_f64_e32 v[160:161], v[148:149], v[146:147]
	v_mul_f64_e32 v[14:15], v[6:7], v[14:15]
	ds_load_b128 v[146:149], v2 offset:928
	v_fmac_f64_e32 v[152:153], v[140:141], v[8:9]
	v_fma_f64 v[138:139], v[138:139], v[8:9], -v[10:11]
	scratch_load_b128 v[8:11], off, off offset:448
	v_add_f64_e32 v[150:151], v[150:151], v[154:155]
	v_fmac_f64_e32 v[156:157], v[6:7], v[12:13]
	v_add_f64_e32 v[140:141], v[160:161], v[158:159]
	v_fma_f64 v[158:159], v[4:5], v[12:13], -v[14:15]
	ds_load_b128 v[4:7], v2 offset:944
	s_wait_loadcnt_dscnt 0xa01
	v_mul_f64_e32 v[154:155], v[146:147], v[18:19]
	v_mul_f64_e32 v[18:19], v[148:149], v[18:19]
	scratch_load_b128 v[12:15], off, off offset:464
	v_add_f64_e32 v[150:151], v[150:151], v[152:153]
	s_wait_loadcnt_dscnt 0xa00
	v_mul_f64_e32 v[152:153], v[4:5], v[22:23]
	v_add_f64_e32 v[160:161], v[140:141], v[138:139]
	v_mul_f64_e32 v[22:23], v[6:7], v[22:23]
	ds_load_b128 v[138:141], v2 offset:960
	v_fmac_f64_e32 v[154:155], v[148:149], v[16:17]
	v_fma_f64 v[146:147], v[146:147], v[16:17], -v[18:19]
	scratch_load_b128 v[16:19], off, off offset:480
	v_add_f64_e32 v[150:151], v[150:151], v[156:157]
	v_fmac_f64_e32 v[152:153], v[6:7], v[20:21]
	v_add_f64_e32 v[148:149], v[160:161], v[158:159]
	;; [unrolled: 18-line block ×6, first 2 shown]
	v_fma_f64 v[158:159], v[4:5], v[126:127], -v[128:129]
	ds_load_b128 v[4:7], v2 offset:1104
	s_wait_loadcnt_dscnt 0xa01
	v_mul_f64_e32 v[152:153], v[138:139], v[10:11]
	v_mul_f64_e32 v[10:11], v[140:141], v[10:11]
	scratch_load_b128 v[126:129], off, off offset:624
	v_add_f64_e32 v[150:151], v[150:151], v[156:157]
	s_wait_loadcnt_dscnt 0xa00
	v_mul_f64_e32 v[156:157], v[4:5], v[14:15]
	v_add_f64_e32 v[160:161], v[148:149], v[146:147]
	v_mul_f64_e32 v[14:15], v[6:7], v[14:15]
	ds_load_b128 v[146:149], v2 offset:1120
	v_fmac_f64_e32 v[152:153], v[140:141], v[8:9]
	v_fma_f64 v[8:9], v[138:139], v[8:9], -v[10:11]
	s_wait_loadcnt_dscnt 0x900
	v_mul_f64_e32 v[140:141], v[146:147], v[18:19]
	v_mul_f64_e32 v[18:19], v[148:149], v[18:19]
	v_add_f64_e32 v[138:139], v[150:151], v[154:155]
	v_fmac_f64_e32 v[156:157], v[6:7], v[12:13]
	v_add_f64_e32 v[10:11], v[160:161], v[158:159]
	v_fma_f64 v[12:13], v[4:5], v[12:13], -v[14:15]
	v_fmac_f64_e32 v[140:141], v[148:149], v[16:17]
	v_fma_f64 v[16:17], v[146:147], v[16:17], -v[18:19]
	v_add_f64_e32 v[138:139], v[138:139], v[152:153]
	v_add_f64_e32 v[14:15], v[10:11], v[8:9]
	ds_load_b128 v[4:7], v2 offset:1136
	ds_load_b128 v[8:11], v2 offset:1152
	s_wait_loadcnt_dscnt 0x801
	v_mul_f64_e32 v[150:151], v[4:5], v[22:23]
	v_mul_f64_e32 v[22:23], v[6:7], v[22:23]
	s_wait_loadcnt_dscnt 0x700
	v_mul_f64_e32 v[18:19], v[8:9], v[108:109]
	v_mul_f64_e32 v[108:109], v[10:11], v[108:109]
	v_add_f64_e32 v[12:13], v[14:15], v[12:13]
	v_add_f64_e32 v[14:15], v[138:139], v[156:157]
	v_fmac_f64_e32 v[150:151], v[6:7], v[20:21]
	v_fma_f64 v[20:21], v[4:5], v[20:21], -v[22:23]
	v_fmac_f64_e32 v[18:19], v[10:11], v[106:107]
	v_fma_f64 v[8:9], v[8:9], v[106:107], -v[108:109]
	v_add_f64_e32 v[16:17], v[12:13], v[16:17]
	v_add_f64_e32 v[22:23], v[14:15], v[140:141]
	ds_load_b128 v[4:7], v2 offset:1168
	ds_load_b128 v[12:15], v2 offset:1184
	s_wait_loadcnt_dscnt 0x601
	v_mul_f64_e32 v[138:139], v[4:5], v[112:113]
	v_mul_f64_e32 v[112:113], v[6:7], v[112:113]
	v_add_f64_e32 v[10:11], v[16:17], v[20:21]
	v_add_f64_e32 v[16:17], v[22:23], v[150:151]
	s_wait_loadcnt_dscnt 0x500
	v_mul_f64_e32 v[20:21], v[12:13], v[116:117]
	v_mul_f64_e32 v[22:23], v[14:15], v[116:117]
	v_fmac_f64_e32 v[138:139], v[6:7], v[110:111]
	v_fma_f64 v[106:107], v[4:5], v[110:111], -v[112:113]
	v_add_f64_e32 v[108:109], v[10:11], v[8:9]
	v_add_f64_e32 v[16:17], v[16:17], v[18:19]
	ds_load_b128 v[4:7], v2 offset:1200
	ds_load_b128 v[8:11], v2 offset:1216
	v_fmac_f64_e32 v[20:21], v[14:15], v[114:115]
	v_fma_f64 v[12:13], v[12:13], v[114:115], -v[22:23]
	s_wait_loadcnt_dscnt 0x401
	v_mul_f64_e32 v[18:19], v[4:5], v[120:121]
	v_mul_f64_e32 v[110:111], v[6:7], v[120:121]
	s_wait_loadcnt_dscnt 0x300
	v_mul_f64_e32 v[22:23], v[8:9], v[124:125]
	v_add_f64_e32 v[14:15], v[108:109], v[106:107]
	v_add_f64_e32 v[16:17], v[16:17], v[138:139]
	v_mul_f64_e32 v[106:107], v[10:11], v[124:125]
	v_fmac_f64_e32 v[18:19], v[6:7], v[118:119]
	v_fma_f64 v[108:109], v[4:5], v[118:119], -v[110:111]
	v_fmac_f64_e32 v[22:23], v[10:11], v[122:123]
	v_add_f64_e32 v[110:111], v[14:15], v[12:13]
	v_add_f64_e32 v[16:17], v[16:17], v[20:21]
	ds_load_b128 v[4:7], v2 offset:1232
	ds_load_b128 v[12:15], v2 offset:1248
	v_fma_f64 v[8:9], v[8:9], v[122:123], -v[106:107]
	s_wait_loadcnt_dscnt 0x201
	v_mul_f64_e32 v[20:21], v[4:5], v[132:133]
	v_mul_f64_e32 v[112:113], v[6:7], v[132:133]
	s_wait_loadcnt_dscnt 0x100
	v_mul_f64_e32 v[106:107], v[14:15], v[144:145]
	v_add_f64_e32 v[10:11], v[110:111], v[108:109]
	v_add_f64_e32 v[16:17], v[16:17], v[18:19]
	v_mul_f64_e32 v[18:19], v[12:13], v[144:145]
	v_fmac_f64_e32 v[20:21], v[6:7], v[130:131]
	v_fma_f64 v[108:109], v[4:5], v[130:131], -v[112:113]
	ds_load_b128 v[4:7], v2 offset:1264
	v_fma_f64 v[12:13], v[12:13], v[142:143], -v[106:107]
	v_add_f64_e32 v[8:9], v[10:11], v[8:9]
	v_add_f64_e32 v[10:11], v[16:17], v[22:23]
	v_fmac_f64_e32 v[18:19], v[14:15], v[142:143]
	s_wait_loadcnt_dscnt 0x0
	v_mul_f64_e32 v[16:17], v[4:5], v[128:129]
	v_mul_f64_e32 v[22:23], v[6:7], v[128:129]
	v_add_f64_e32 v[8:9], v[8:9], v[108:109]
	v_add_f64_e32 v[10:11], v[10:11], v[20:21]
	s_delay_alu instid0(VALU_DEP_4) | instskip(NEXT) | instid1(VALU_DEP_4)
	v_fmac_f64_e32 v[16:17], v[6:7], v[126:127]
	v_fma_f64 v[4:5], v[4:5], v[126:127], -v[22:23]
	s_delay_alu instid0(VALU_DEP_4) | instskip(NEXT) | instid1(VALU_DEP_4)
	v_add_f64_e32 v[6:7], v[8:9], v[12:13]
	v_add_f64_e32 v[8:9], v[10:11], v[18:19]
	s_delay_alu instid0(VALU_DEP_2) | instskip(NEXT) | instid1(VALU_DEP_2)
	v_add_f64_e32 v[4:5], v[6:7], v[4:5]
	v_add_f64_e32 v[6:7], v[8:9], v[16:17]
	s_delay_alu instid0(VALU_DEP_2) | instskip(NEXT) | instid1(VALU_DEP_2)
	v_add_f64_e64 v[4:5], v[134:135], -v[4:5]
	v_add_f64_e64 v[6:7], v[136:137], -v[6:7]
	scratch_store_b128 off, v[4:7], off offset:32
	s_wait_xcnt 0x0
	v_cmpx_lt_u32_e32 1, v1
	s_cbranch_execz .LBB39_251
; %bb.250:
	scratch_load_b128 v[6:9], off, s39
	v_dual_mov_b32 v3, v2 :: v_dual_mov_b32 v4, v2
	v_mov_b32_e32 v5, v2
	scratch_store_b128 off, v[2:5], off offset:16
	s_wait_loadcnt 0x0
	ds_store_b128 v104, v[6:9]
.LBB39_251:
	s_wait_xcnt 0x0
	s_or_b32 exec_lo, exec_lo, s2
	s_wait_storecnt_dscnt 0x0
	s_barrier_signal -1
	s_barrier_wait -1
	s_clause 0x9
	scratch_load_b128 v[4:7], off, off offset:32
	scratch_load_b128 v[8:11], off, off offset:48
	;; [unrolled: 1-line block ×10, first 2 shown]
	ds_load_b128 v[126:129], v2 offset:672
	ds_load_b128 v[134:137], v2 offset:688
	s_clause 0x2
	scratch_load_b128 v[130:133], off, off offset:192
	scratch_load_b128 v[138:141], off, off offset:16
	;; [unrolled: 1-line block ×3, first 2 shown]
	s_mov_b32 s2, exec_lo
	s_wait_loadcnt_dscnt 0xc01
	v_mul_f64_e32 v[146:147], v[128:129], v[6:7]
	v_mul_f64_e32 v[150:151], v[126:127], v[6:7]
	s_wait_loadcnt_dscnt 0xb00
	v_mul_f64_e32 v[152:153], v[134:135], v[10:11]
	v_mul_f64_e32 v[10:11], v[136:137], v[10:11]
	s_delay_alu instid0(VALU_DEP_4) | instskip(NEXT) | instid1(VALU_DEP_4)
	v_fma_f64 v[154:155], v[126:127], v[4:5], -v[146:147]
	v_fmac_f64_e32 v[150:151], v[128:129], v[4:5]
	ds_load_b128 v[4:7], v2 offset:704
	ds_load_b128 v[126:129], v2 offset:720
	scratch_load_b128 v[146:149], off, off offset:224
	v_fmac_f64_e32 v[152:153], v[136:137], v[8:9]
	v_fma_f64 v[134:135], v[134:135], v[8:9], -v[10:11]
	scratch_load_b128 v[8:11], off, off offset:240
	s_wait_loadcnt_dscnt 0xc01
	v_mul_f64_e32 v[156:157], v[4:5], v[14:15]
	v_mul_f64_e32 v[14:15], v[6:7], v[14:15]
	v_add_f64_e32 v[136:137], 0, v[154:155]
	v_add_f64_e32 v[150:151], 0, v[150:151]
	s_wait_loadcnt_dscnt 0xb00
	v_mul_f64_e32 v[154:155], v[126:127], v[18:19]
	v_mul_f64_e32 v[18:19], v[128:129], v[18:19]
	v_fmac_f64_e32 v[156:157], v[6:7], v[12:13]
	v_fma_f64 v[158:159], v[4:5], v[12:13], -v[14:15]
	ds_load_b128 v[4:7], v2 offset:736
	ds_load_b128 v[12:15], v2 offset:752
	v_add_f64_e32 v[160:161], v[136:137], v[134:135]
	v_add_f64_e32 v[150:151], v[150:151], v[152:153]
	scratch_load_b128 v[134:137], off, off offset:256
	v_fmac_f64_e32 v[154:155], v[128:129], v[16:17]
	v_fma_f64 v[126:127], v[126:127], v[16:17], -v[18:19]
	scratch_load_b128 v[16:19], off, off offset:272
	s_wait_loadcnt_dscnt 0xc01
	v_mul_f64_e32 v[152:153], v[4:5], v[22:23]
	v_mul_f64_e32 v[22:23], v[6:7], v[22:23]
	v_add_f64_e32 v[128:129], v[160:161], v[158:159]
	v_add_f64_e32 v[150:151], v[150:151], v[156:157]
	s_wait_loadcnt_dscnt 0xb00
	v_mul_f64_e32 v[156:157], v[12:13], v[108:109]
	v_mul_f64_e32 v[108:109], v[14:15], v[108:109]
	v_fmac_f64_e32 v[152:153], v[6:7], v[20:21]
	v_fma_f64 v[158:159], v[4:5], v[20:21], -v[22:23]
	ds_load_b128 v[4:7], v2 offset:768
	ds_load_b128 v[20:23], v2 offset:784
	v_add_f64_e32 v[160:161], v[128:129], v[126:127]
	v_add_f64_e32 v[150:151], v[150:151], v[154:155]
	scratch_load_b128 v[126:129], off, off offset:288
	s_wait_loadcnt_dscnt 0xb01
	v_mul_f64_e32 v[154:155], v[4:5], v[112:113]
	v_mul_f64_e32 v[112:113], v[6:7], v[112:113]
	v_fmac_f64_e32 v[156:157], v[14:15], v[106:107]
	v_fma_f64 v[106:107], v[12:13], v[106:107], -v[108:109]
	scratch_load_b128 v[12:15], off, off offset:304
	v_add_f64_e32 v[108:109], v[160:161], v[158:159]
	v_add_f64_e32 v[150:151], v[150:151], v[152:153]
	s_wait_loadcnt_dscnt 0xb00
	v_mul_f64_e32 v[152:153], v[20:21], v[116:117]
	v_mul_f64_e32 v[116:117], v[22:23], v[116:117]
	v_fmac_f64_e32 v[154:155], v[6:7], v[110:111]
	v_fma_f64 v[158:159], v[4:5], v[110:111], -v[112:113]
	v_add_f64_e32 v[160:161], v[108:109], v[106:107]
	v_add_f64_e32 v[150:151], v[150:151], v[156:157]
	ds_load_b128 v[4:7], v2 offset:800
	ds_load_b128 v[106:109], v2 offset:816
	scratch_load_b128 v[110:113], off, off offset:320
	v_fmac_f64_e32 v[152:153], v[22:23], v[114:115]
	v_fma_f64 v[114:115], v[20:21], v[114:115], -v[116:117]
	scratch_load_b128 v[20:23], off, off offset:336
	s_wait_loadcnt_dscnt 0xc01
	v_mul_f64_e32 v[156:157], v[4:5], v[120:121]
	v_mul_f64_e32 v[120:121], v[6:7], v[120:121]
	v_add_f64_e32 v[116:117], v[160:161], v[158:159]
	v_add_f64_e32 v[150:151], v[150:151], v[154:155]
	s_wait_loadcnt_dscnt 0xb00
	v_mul_f64_e32 v[154:155], v[106:107], v[124:125]
	v_mul_f64_e32 v[124:125], v[108:109], v[124:125]
	v_fmac_f64_e32 v[156:157], v[6:7], v[118:119]
	v_fma_f64 v[158:159], v[4:5], v[118:119], -v[120:121]
	v_add_f64_e32 v[160:161], v[116:117], v[114:115]
	v_add_f64_e32 v[150:151], v[150:151], v[152:153]
	ds_load_b128 v[4:7], v2 offset:832
	ds_load_b128 v[114:117], v2 offset:848
	scratch_load_b128 v[118:121], off, off offset:352
	v_fmac_f64_e32 v[154:155], v[108:109], v[122:123]
	v_fma_f64 v[122:123], v[106:107], v[122:123], -v[124:125]
	scratch_load_b128 v[106:109], off, off offset:368
	s_wait_loadcnt_dscnt 0xc01
	v_mul_f64_e32 v[152:153], v[4:5], v[132:133]
	v_mul_f64_e32 v[132:133], v[6:7], v[132:133]
	;; [unrolled: 18-line block ×5, first 2 shown]
	v_add_f64_e32 v[144:145], v[160:161], v[158:159]
	v_add_f64_e32 v[150:151], v[150:151], v[156:157]
	s_wait_loadcnt_dscnt 0xa00
	v_mul_f64_e32 v[156:157], v[122:123], v[14:15]
	v_mul_f64_e32 v[14:15], v[124:125], v[14:15]
	v_fmac_f64_e32 v[152:153], v[6:7], v[126:127]
	v_fma_f64 v[158:159], v[4:5], v[126:127], -v[128:129]
	ds_load_b128 v[4:7], v2 offset:960
	ds_load_b128 v[126:129], v2 offset:976
	v_add_f64_e32 v[160:161], v[144:145], v[142:143]
	v_add_f64_e32 v[150:151], v[150:151], v[154:155]
	scratch_load_b128 v[142:145], off, off offset:480
	v_fmac_f64_e32 v[156:157], v[124:125], v[12:13]
	v_fma_f64 v[122:123], v[122:123], v[12:13], -v[14:15]
	scratch_load_b128 v[12:15], off, off offset:496
	s_wait_loadcnt_dscnt 0xb01
	v_mul_f64_e32 v[154:155], v[4:5], v[112:113]
	v_mul_f64_e32 v[112:113], v[6:7], v[112:113]
	v_add_f64_e32 v[124:125], v[160:161], v[158:159]
	v_add_f64_e32 v[150:151], v[150:151], v[152:153]
	s_wait_loadcnt_dscnt 0xa00
	v_mul_f64_e32 v[152:153], v[126:127], v[22:23]
	v_mul_f64_e32 v[22:23], v[128:129], v[22:23]
	v_fmac_f64_e32 v[154:155], v[6:7], v[110:111]
	v_fma_f64 v[158:159], v[4:5], v[110:111], -v[112:113]
	ds_load_b128 v[4:7], v2 offset:992
	ds_load_b128 v[110:113], v2 offset:1008
	v_add_f64_e32 v[160:161], v[124:125], v[122:123]
	v_add_f64_e32 v[150:151], v[150:151], v[156:157]
	scratch_load_b128 v[122:125], off, off offset:512
	s_wait_loadcnt_dscnt 0xa01
	v_mul_f64_e32 v[156:157], v[4:5], v[120:121]
	v_mul_f64_e32 v[120:121], v[6:7], v[120:121]
	v_fmac_f64_e32 v[152:153], v[128:129], v[20:21]
	v_fma_f64 v[126:127], v[126:127], v[20:21], -v[22:23]
	scratch_load_b128 v[20:23], off, off offset:528
	v_add_f64_e32 v[128:129], v[160:161], v[158:159]
	v_add_f64_e32 v[150:151], v[150:151], v[154:155]
	s_wait_loadcnt_dscnt 0xa00
	v_mul_f64_e32 v[154:155], v[110:111], v[108:109]
	v_mul_f64_e32 v[108:109], v[112:113], v[108:109]
	v_fmac_f64_e32 v[156:157], v[6:7], v[118:119]
	v_fma_f64 v[158:159], v[4:5], v[118:119], -v[120:121]
	ds_load_b128 v[4:7], v2 offset:1024
	ds_load_b128 v[118:121], v2 offset:1040
	v_add_f64_e32 v[160:161], v[128:129], v[126:127]
	v_add_f64_e32 v[150:151], v[150:151], v[152:153]
	scratch_load_b128 v[126:129], off, off offset:544
	s_wait_loadcnt_dscnt 0xa01
	v_mul_f64_e32 v[152:153], v[4:5], v[132:133]
	v_mul_f64_e32 v[132:133], v[6:7], v[132:133]
	v_fmac_f64_e32 v[154:155], v[112:113], v[106:107]
	v_fma_f64 v[110:111], v[110:111], v[106:107], -v[108:109]
	scratch_load_b128 v[106:109], off, off offset:560
	v_add_f64_e32 v[112:113], v[160:161], v[158:159]
	v_add_f64_e32 v[150:151], v[150:151], v[156:157]
	s_wait_loadcnt_dscnt 0xa00
	v_mul_f64_e32 v[156:157], v[118:119], v[116:117]
	v_mul_f64_e32 v[116:117], v[120:121], v[116:117]
	v_fmac_f64_e32 v[152:153], v[6:7], v[130:131]
	v_fma_f64 v[158:159], v[4:5], v[130:131], -v[132:133]
	v_add_f64_e32 v[160:161], v[112:113], v[110:111]
	v_add_f64_e32 v[150:151], v[150:151], v[154:155]
	ds_load_b128 v[4:7], v2 offset:1056
	ds_load_b128 v[110:113], v2 offset:1072
	scratch_load_b128 v[130:133], off, off offset:576
	v_fmac_f64_e32 v[156:157], v[120:121], v[114:115]
	v_fma_f64 v[118:119], v[118:119], v[114:115], -v[116:117]
	scratch_load_b128 v[114:117], off, off offset:592
	s_wait_loadcnt_dscnt 0xb01
	v_mul_f64_e32 v[154:155], v[4:5], v[148:149]
	v_mul_f64_e32 v[148:149], v[6:7], v[148:149]
	v_add_f64_e32 v[120:121], v[160:161], v[158:159]
	v_add_f64_e32 v[150:151], v[150:151], v[152:153]
	s_wait_loadcnt_dscnt 0xa00
	v_mul_f64_e32 v[152:153], v[110:111], v[10:11]
	v_mul_f64_e32 v[10:11], v[112:113], v[10:11]
	v_fmac_f64_e32 v[154:155], v[6:7], v[146:147]
	v_fma_f64 v[158:159], v[4:5], v[146:147], -v[148:149]
	v_add_f64_e32 v[160:161], v[120:121], v[118:119]
	v_add_f64_e32 v[150:151], v[150:151], v[156:157]
	ds_load_b128 v[4:7], v2 offset:1088
	ds_load_b128 v[118:121], v2 offset:1104
	scratch_load_b128 v[146:149], off, off offset:608
	v_fmac_f64_e32 v[152:153], v[112:113], v[8:9]
	v_fma_f64 v[110:111], v[110:111], v[8:9], -v[10:11]
	scratch_load_b128 v[8:11], off, off offset:624
	s_wait_loadcnt_dscnt 0xb01
	v_mul_f64_e32 v[156:157], v[4:5], v[136:137]
	v_mul_f64_e32 v[136:137], v[6:7], v[136:137]
	v_add_f64_e32 v[112:113], v[160:161], v[158:159]
	v_add_f64_e32 v[150:151], v[150:151], v[154:155]
	s_wait_loadcnt_dscnt 0xa00
	v_mul_f64_e32 v[154:155], v[118:119], v[18:19]
	v_mul_f64_e32 v[18:19], v[120:121], v[18:19]
	v_fmac_f64_e32 v[156:157], v[6:7], v[134:135]
	v_fma_f64 v[134:135], v[4:5], v[134:135], -v[136:137]
	v_add_f64_e32 v[136:137], v[112:113], v[110:111]
	v_add_f64_e32 v[150:151], v[150:151], v[152:153]
	ds_load_b128 v[4:7], v2 offset:1120
	ds_load_b128 v[110:113], v2 offset:1136
	v_fmac_f64_e32 v[154:155], v[120:121], v[16:17]
	v_fma_f64 v[16:17], v[118:119], v[16:17], -v[18:19]
	s_wait_loadcnt_dscnt 0x901
	v_mul_f64_e32 v[152:153], v[4:5], v[144:145]
	v_mul_f64_e32 v[144:145], v[6:7], v[144:145]
	s_wait_loadcnt_dscnt 0x800
	v_mul_f64_e32 v[120:121], v[110:111], v[14:15]
	v_add_f64_e32 v[18:19], v[136:137], v[134:135]
	v_add_f64_e32 v[118:119], v[150:151], v[156:157]
	v_mul_f64_e32 v[134:135], v[112:113], v[14:15]
	v_fmac_f64_e32 v[152:153], v[6:7], v[142:143]
	v_fma_f64 v[136:137], v[4:5], v[142:143], -v[144:145]
	v_fmac_f64_e32 v[120:121], v[112:113], v[12:13]
	v_add_f64_e32 v[18:19], v[18:19], v[16:17]
	v_add_f64_e32 v[118:119], v[118:119], v[154:155]
	ds_load_b128 v[4:7], v2 offset:1152
	ds_load_b128 v[14:17], v2 offset:1168
	v_fma_f64 v[12:13], v[110:111], v[12:13], -v[134:135]
	s_wait_loadcnt_dscnt 0x701
	v_mul_f64_e32 v[142:143], v[4:5], v[124:125]
	v_mul_f64_e32 v[124:125], v[6:7], v[124:125]
	v_add_f64_e32 v[18:19], v[18:19], v[136:137]
	v_add_f64_e32 v[110:111], v[118:119], v[152:153]
	s_wait_loadcnt_dscnt 0x600
	v_mul_f64_e32 v[118:119], v[14:15], v[22:23]
	v_mul_f64_e32 v[22:23], v[16:17], v[22:23]
	v_fmac_f64_e32 v[142:143], v[6:7], v[122:123]
	v_fma_f64 v[122:123], v[4:5], v[122:123], -v[124:125]
	v_add_f64_e32 v[12:13], v[18:19], v[12:13]
	v_add_f64_e32 v[18:19], v[110:111], v[120:121]
	ds_load_b128 v[4:7], v2 offset:1184
	ds_load_b128 v[110:113], v2 offset:1200
	v_fmac_f64_e32 v[118:119], v[16:17], v[20:21]
	v_fma_f64 v[14:15], v[14:15], v[20:21], -v[22:23]
	s_wait_loadcnt_dscnt 0x501
	v_mul_f64_e32 v[120:121], v[4:5], v[128:129]
	v_mul_f64_e32 v[124:125], v[6:7], v[128:129]
	s_wait_loadcnt_dscnt 0x400
	v_mul_f64_e32 v[20:21], v[112:113], v[108:109]
	v_add_f64_e32 v[12:13], v[12:13], v[122:123]
	v_add_f64_e32 v[16:17], v[18:19], v[142:143]
	v_mul_f64_e32 v[18:19], v[110:111], v[108:109]
	v_fmac_f64_e32 v[120:121], v[6:7], v[126:127]
	v_fma_f64 v[22:23], v[4:5], v[126:127], -v[124:125]
	v_fma_f64 v[20:21], v[110:111], v[106:107], -v[20:21]
	v_add_f64_e32 v[108:109], v[12:13], v[14:15]
	v_add_f64_e32 v[16:17], v[16:17], v[118:119]
	ds_load_b128 v[4:7], v2 offset:1216
	ds_load_b128 v[12:15], v2 offset:1232
	v_fmac_f64_e32 v[18:19], v[112:113], v[106:107]
	s_wait_loadcnt_dscnt 0x301
	v_mul_f64_e32 v[118:119], v[4:5], v[132:133]
	v_mul_f64_e32 v[122:123], v[6:7], v[132:133]
	s_wait_loadcnt_dscnt 0x200
	v_mul_f64_e32 v[106:107], v[12:13], v[116:117]
	v_add_f64_e32 v[22:23], v[108:109], v[22:23]
	v_add_f64_e32 v[16:17], v[16:17], v[120:121]
	v_mul_f64_e32 v[108:109], v[14:15], v[116:117]
	v_fmac_f64_e32 v[118:119], v[6:7], v[130:131]
	v_fma_f64 v[110:111], v[4:5], v[130:131], -v[122:123]
	v_fmac_f64_e32 v[106:107], v[14:15], v[114:115]
	v_add_f64_e32 v[20:21], v[22:23], v[20:21]
	v_add_f64_e32 v[22:23], v[16:17], v[18:19]
	ds_load_b128 v[4:7], v2 offset:1248
	ds_load_b128 v[16:19], v2 offset:1264
	v_fma_f64 v[12:13], v[12:13], v[114:115], -v[108:109]
	s_wait_loadcnt_dscnt 0x101
	v_mul_f64_e32 v[2:3], v[4:5], v[148:149]
	v_mul_f64_e32 v[112:113], v[6:7], v[148:149]
	v_add_f64_e32 v[14:15], v[20:21], v[110:111]
	v_add_f64_e32 v[20:21], v[22:23], v[118:119]
	s_wait_loadcnt_dscnt 0x0
	v_mul_f64_e32 v[22:23], v[16:17], v[10:11]
	v_mul_f64_e32 v[10:11], v[18:19], v[10:11]
	v_fmac_f64_e32 v[2:3], v[6:7], v[146:147]
	v_fma_f64 v[4:5], v[4:5], v[146:147], -v[112:113]
	v_add_f64_e32 v[6:7], v[14:15], v[12:13]
	v_add_f64_e32 v[12:13], v[20:21], v[106:107]
	v_fmac_f64_e32 v[22:23], v[18:19], v[8:9]
	v_fma_f64 v[8:9], v[16:17], v[8:9], -v[10:11]
	s_delay_alu instid0(VALU_DEP_4) | instskip(NEXT) | instid1(VALU_DEP_4)
	v_add_f64_e32 v[4:5], v[6:7], v[4:5]
	v_add_f64_e32 v[2:3], v[12:13], v[2:3]
	s_delay_alu instid0(VALU_DEP_2) | instskip(NEXT) | instid1(VALU_DEP_2)
	v_add_f64_e32 v[4:5], v[4:5], v[8:9]
	v_add_f64_e32 v[6:7], v[2:3], v[22:23]
	s_delay_alu instid0(VALU_DEP_2) | instskip(NEXT) | instid1(VALU_DEP_2)
	v_add_f64_e64 v[2:3], v[138:139], -v[4:5]
	v_add_f64_e64 v[4:5], v[140:141], -v[6:7]
	scratch_store_b128 off, v[2:5], off offset:16
	s_wait_xcnt 0x0
	v_cmpx_ne_u32_e32 0, v1
	s_cbranch_execz .LBB39_253
; %bb.252:
	scratch_load_b128 v[2:5], off, off
	v_mov_b32_e32 v6, 0
	s_delay_alu instid0(VALU_DEP_1)
	v_dual_mov_b32 v7, v6 :: v_dual_mov_b32 v8, v6
	v_mov_b32_e32 v9, v6
	scratch_store_b128 off, v[6:9], off
	s_wait_loadcnt 0x0
	ds_store_b128 v104, v[2:5]
.LBB39_253:
	s_wait_xcnt 0x0
	s_or_b32 exec_lo, exec_lo, s2
	s_wait_storecnt_dscnt 0x0
	s_barrier_signal -1
	s_barrier_wait -1
	s_clause 0x9
	scratch_load_b128 v[2:5], off, off offset:16
	scratch_load_b128 v[6:9], off, off offset:32
	;; [unrolled: 1-line block ×10, first 2 shown]
	v_mov_b32_e32 v116, 0
	s_and_b32 vcc_lo, exec_lo, s52
	ds_load_b128 v[126:129], v116 offset:656
	s_clause 0x2
	scratch_load_b128 v[130:133], off, off offset:176
	scratch_load_b128 v[134:137], off, off
	scratch_load_b128 v[142:145], off, off offset:192
	s_wait_loadcnt_dscnt 0xc00
	v_mul_f64_e32 v[22:23], v[128:129], v[4:5]
	v_mul_f64_e32 v[150:151], v[126:127], v[4:5]
	ds_load_b128 v[138:141], v116 offset:672
	ds_load_b128 v[146:149], v116 offset:704
	v_fma_f64 v[22:23], v[126:127], v[2:3], -v[22:23]
	v_fmac_f64_e32 v[150:151], v[128:129], v[2:3]
	ds_load_b128 v[2:5], v116 offset:688
	s_wait_loadcnt_dscnt 0xb02
	v_mul_f64_e32 v[152:153], v[138:139], v[8:9]
	v_mul_f64_e32 v[8:9], v[140:141], v[8:9]
	scratch_load_b128 v[126:129], off, off offset:208
	s_wait_loadcnt_dscnt 0xb00
	v_mul_f64_e32 v[154:155], v[2:3], v[12:13]
	v_mul_f64_e32 v[12:13], v[4:5], v[12:13]
	v_add_f64_e32 v[22:23], 0, v[22:23]
	v_fmac_f64_e32 v[152:153], v[140:141], v[6:7]
	v_fma_f64 v[138:139], v[138:139], v[6:7], -v[8:9]
	v_add_f64_e32 v[140:141], 0, v[150:151]
	scratch_load_b128 v[6:9], off, off offset:224
	v_fmac_f64_e32 v[154:155], v[4:5], v[10:11]
	v_fma_f64 v[156:157], v[2:3], v[10:11], -v[12:13]
	ds_load_b128 v[2:5], v116 offset:720
	s_wait_loadcnt 0xb
	v_mul_f64_e32 v[150:151], v[146:147], v[16:17]
	v_mul_f64_e32 v[16:17], v[148:149], v[16:17]
	scratch_load_b128 v[10:13], off, off offset:240
	v_add_f64_e32 v[22:23], v[22:23], v[138:139]
	v_add_f64_e32 v[152:153], v[140:141], v[152:153]
	ds_load_b128 v[138:141], v116 offset:736
	s_wait_loadcnt_dscnt 0xb01
	v_mul_f64_e32 v[158:159], v[2:3], v[20:21]
	v_mul_f64_e32 v[20:21], v[4:5], v[20:21]
	v_fmac_f64_e32 v[150:151], v[148:149], v[14:15]
	v_fma_f64 v[146:147], v[146:147], v[14:15], -v[16:17]
	scratch_load_b128 v[14:17], off, off offset:256
	v_add_f64_e32 v[22:23], v[22:23], v[156:157]
	v_add_f64_e32 v[148:149], v[152:153], v[154:155]
	v_fmac_f64_e32 v[158:159], v[4:5], v[18:19]
	v_fma_f64 v[154:155], v[2:3], v[18:19], -v[20:21]
	ds_load_b128 v[2:5], v116 offset:752
	s_wait_loadcnt_dscnt 0xb01
	v_mul_f64_e32 v[152:153], v[138:139], v[106:107]
	v_mul_f64_e32 v[106:107], v[140:141], v[106:107]
	scratch_load_b128 v[18:21], off, off offset:272
	s_wait_loadcnt_dscnt 0xb00
	v_mul_f64_e32 v[156:157], v[2:3], v[110:111]
	v_mul_f64_e32 v[110:111], v[4:5], v[110:111]
	v_add_f64_e32 v[22:23], v[22:23], v[146:147]
	v_add_f64_e32 v[150:151], v[148:149], v[150:151]
	ds_load_b128 v[146:149], v116 offset:768
	v_fmac_f64_e32 v[152:153], v[140:141], v[104:105]
	v_fma_f64 v[138:139], v[138:139], v[104:105], -v[106:107]
	scratch_load_b128 v[104:107], off, off offset:288
	v_fmac_f64_e32 v[156:157], v[4:5], v[108:109]
	v_add_f64_e32 v[22:23], v[22:23], v[154:155]
	v_add_f64_e32 v[140:141], v[150:151], v[158:159]
	v_fma_f64 v[154:155], v[2:3], v[108:109], -v[110:111]
	ds_load_b128 v[2:5], v116 offset:784
	s_wait_loadcnt_dscnt 0xb01
	v_mul_f64_e32 v[150:151], v[146:147], v[114:115]
	v_mul_f64_e32 v[114:115], v[148:149], v[114:115]
	scratch_load_b128 v[108:111], off, off offset:304
	s_wait_loadcnt_dscnt 0xb00
	v_mul_f64_e32 v[158:159], v[2:3], v[120:121]
	v_mul_f64_e32 v[120:121], v[4:5], v[120:121]
	v_add_f64_e32 v[22:23], v[22:23], v[138:139]
	v_add_f64_e32 v[152:153], v[140:141], v[152:153]
	ds_load_b128 v[138:141], v116 offset:800
	v_fmac_f64_e32 v[150:151], v[148:149], v[112:113]
	v_fma_f64 v[146:147], v[146:147], v[112:113], -v[114:115]
	scratch_load_b128 v[112:115], off, off offset:320
	v_fmac_f64_e32 v[158:159], v[4:5], v[118:119]
	v_add_f64_e32 v[22:23], v[22:23], v[154:155]
	v_add_f64_e32 v[148:149], v[152:153], v[156:157]
	;; [unrolled: 18-line block ×3, first 2 shown]
	v_fma_f64 v[154:155], v[2:3], v[130:131], -v[132:133]
	ds_load_b128 v[2:5], v116 offset:848
	s_wait_loadcnt_dscnt 0xa01
	v_mul_f64_e32 v[150:151], v[146:147], v[144:145]
	v_mul_f64_e32 v[144:145], v[148:149], v[144:145]
	scratch_load_b128 v[130:133], off, off offset:368
	v_add_f64_e32 v[22:23], v[22:23], v[138:139]
	v_add_f64_e32 v[152:153], v[140:141], v[152:153]
	s_wait_loadcnt_dscnt 0xa00
	v_mul_f64_e32 v[158:159], v[2:3], v[128:129]
	v_mul_f64_e32 v[128:129], v[4:5], v[128:129]
	v_fmac_f64_e32 v[150:151], v[148:149], v[142:143]
	v_fma_f64 v[146:147], v[146:147], v[142:143], -v[144:145]
	ds_load_b128 v[138:141], v116 offset:864
	scratch_load_b128 v[142:145], off, off offset:384
	v_add_f64_e32 v[22:23], v[22:23], v[154:155]
	v_add_f64_e32 v[148:149], v[152:153], v[156:157]
	v_fmac_f64_e32 v[158:159], v[4:5], v[126:127]
	v_fma_f64 v[154:155], v[2:3], v[126:127], -v[128:129]
	ds_load_b128 v[2:5], v116 offset:880
	s_wait_loadcnt_dscnt 0xa01
	v_mul_f64_e32 v[152:153], v[138:139], v[8:9]
	v_mul_f64_e32 v[8:9], v[140:141], v[8:9]
	scratch_load_b128 v[126:129], off, off offset:400
	s_wait_loadcnt_dscnt 0xa00
	v_mul_f64_e32 v[156:157], v[2:3], v[12:13]
	v_mul_f64_e32 v[12:13], v[4:5], v[12:13]
	v_add_f64_e32 v[22:23], v[22:23], v[146:147]
	v_add_f64_e32 v[150:151], v[148:149], v[150:151]
	ds_load_b128 v[146:149], v116 offset:896
	v_fmac_f64_e32 v[152:153], v[140:141], v[6:7]
	v_fma_f64 v[138:139], v[138:139], v[6:7], -v[8:9]
	scratch_load_b128 v[6:9], off, off offset:416
	v_fmac_f64_e32 v[156:157], v[4:5], v[10:11]
	v_add_f64_e32 v[22:23], v[22:23], v[154:155]
	v_add_f64_e32 v[140:141], v[150:151], v[158:159]
	v_fma_f64 v[154:155], v[2:3], v[10:11], -v[12:13]
	ds_load_b128 v[2:5], v116 offset:912
	s_wait_loadcnt_dscnt 0xa01
	v_mul_f64_e32 v[150:151], v[146:147], v[16:17]
	v_mul_f64_e32 v[16:17], v[148:149], v[16:17]
	scratch_load_b128 v[10:13], off, off offset:432
	s_wait_loadcnt_dscnt 0xa00
	v_mul_f64_e32 v[158:159], v[2:3], v[20:21]
	v_mul_f64_e32 v[20:21], v[4:5], v[20:21]
	v_add_f64_e32 v[22:23], v[22:23], v[138:139]
	v_add_f64_e32 v[152:153], v[140:141], v[152:153]
	ds_load_b128 v[138:141], v116 offset:928
	v_fmac_f64_e32 v[150:151], v[148:149], v[14:15]
	v_fma_f64 v[146:147], v[146:147], v[14:15], -v[16:17]
	scratch_load_b128 v[14:17], off, off offset:448
	v_fmac_f64_e32 v[158:159], v[4:5], v[18:19]
	v_add_f64_e32 v[22:23], v[22:23], v[154:155]
	v_add_f64_e32 v[148:149], v[152:153], v[156:157]
	;; [unrolled: 18-line block ×7, first 2 shown]
	v_fma_f64 v[154:155], v[2:3], v[10:11], -v[12:13]
	ds_load_b128 v[2:5], v116 offset:1104
	s_wait_loadcnt_dscnt 0xa01
	v_mul_f64_e32 v[150:151], v[146:147], v[16:17]
	v_mul_f64_e32 v[16:17], v[148:149], v[16:17]
	scratch_load_b128 v[10:13], off, off offset:624
	s_wait_loadcnt_dscnt 0xa00
	v_mul_f64_e32 v[158:159], v[2:3], v[20:21]
	v_mul_f64_e32 v[20:21], v[4:5], v[20:21]
	v_add_f64_e32 v[22:23], v[22:23], v[138:139]
	v_add_f64_e32 v[152:153], v[140:141], v[152:153]
	ds_load_b128 v[138:141], v116 offset:1120
	v_fmac_f64_e32 v[150:151], v[148:149], v[14:15]
	v_fma_f64 v[14:15], v[146:147], v[14:15], -v[16:17]
	s_wait_loadcnt_dscnt 0x900
	v_mul_f64_e32 v[146:147], v[138:139], v[106:107]
	v_mul_f64_e32 v[106:107], v[140:141], v[106:107]
	v_fmac_f64_e32 v[158:159], v[4:5], v[18:19]
	v_fma_f64 v[18:19], v[2:3], v[18:19], -v[20:21]
	v_add_f64_e32 v[16:17], v[22:23], v[154:155]
	v_add_f64_e32 v[22:23], v[152:153], v[156:157]
	v_fmac_f64_e32 v[146:147], v[140:141], v[104:105]
	v_fma_f64 v[104:105], v[138:139], v[104:105], -v[106:107]
	s_delay_alu instid0(VALU_DEP_4) | instskip(NEXT) | instid1(VALU_DEP_4)
	v_add_f64_e32 v[20:21], v[16:17], v[14:15]
	v_add_f64_e32 v[22:23], v[22:23], v[150:151]
	ds_load_b128 v[2:5], v116 offset:1136
	ds_load_b128 v[14:17], v116 offset:1152
	s_wait_loadcnt_dscnt 0x801
	v_mul_f64_e32 v[148:149], v[2:3], v[110:111]
	v_mul_f64_e32 v[110:111], v[4:5], v[110:111]
	s_wait_loadcnt_dscnt 0x700
	v_mul_f64_e32 v[106:107], v[16:17], v[114:115]
	v_add_f64_e32 v[18:19], v[20:21], v[18:19]
	v_add_f64_e32 v[20:21], v[22:23], v[158:159]
	v_mul_f64_e32 v[22:23], v[14:15], v[114:115]
	v_fmac_f64_e32 v[148:149], v[4:5], v[108:109]
	v_fma_f64 v[108:109], v[2:3], v[108:109], -v[110:111]
	v_fma_f64 v[14:15], v[14:15], v[112:113], -v[106:107]
	v_add_f64_e32 v[104:105], v[18:19], v[104:105]
	v_add_f64_e32 v[110:111], v[20:21], v[146:147]
	ds_load_b128 v[2:5], v116 offset:1168
	ds_load_b128 v[18:21], v116 offset:1184
	v_fmac_f64_e32 v[22:23], v[16:17], v[112:113]
	s_wait_loadcnt_dscnt 0x601
	v_mul_f64_e32 v[114:115], v[2:3], v[120:121]
	v_mul_f64_e32 v[120:121], v[4:5], v[120:121]
	s_wait_loadcnt_dscnt 0x500
	v_mul_f64_e32 v[106:107], v[18:19], v[124:125]
	v_add_f64_e32 v[16:17], v[104:105], v[108:109]
	v_add_f64_e32 v[104:105], v[110:111], v[148:149]
	v_mul_f64_e32 v[108:109], v[20:21], v[124:125]
	v_fmac_f64_e32 v[114:115], v[4:5], v[118:119]
	v_fma_f64 v[110:111], v[2:3], v[118:119], -v[120:121]
	v_fmac_f64_e32 v[106:107], v[20:21], v[122:123]
	v_add_f64_e32 v[112:113], v[16:17], v[14:15]
	v_add_f64_e32 v[22:23], v[104:105], v[22:23]
	ds_load_b128 v[2:5], v116 offset:1200
	ds_load_b128 v[14:17], v116 offset:1216
	v_fma_f64 v[18:19], v[18:19], v[122:123], -v[108:109]
	s_wait_loadcnt_dscnt 0x401
	v_mul_f64_e32 v[104:105], v[2:3], v[132:133]
	v_mul_f64_e32 v[118:119], v[4:5], v[132:133]
	s_wait_loadcnt_dscnt 0x300
	v_mul_f64_e32 v[108:109], v[14:15], v[144:145]
	v_add_f64_e32 v[20:21], v[112:113], v[110:111]
	v_add_f64_e32 v[22:23], v[22:23], v[114:115]
	v_mul_f64_e32 v[110:111], v[16:17], v[144:145]
	v_fmac_f64_e32 v[104:105], v[4:5], v[130:131]
	v_fma_f64 v[112:113], v[2:3], v[130:131], -v[118:119]
	v_fmac_f64_e32 v[108:109], v[16:17], v[142:143]
	v_add_f64_e32 v[114:115], v[20:21], v[18:19]
	v_add_f64_e32 v[22:23], v[22:23], v[106:107]
	ds_load_b128 v[2:5], v116 offset:1232
	ds_load_b128 v[18:21], v116 offset:1248
	v_fma_f64 v[14:15], v[14:15], v[142:143], -v[110:111]
	s_wait_loadcnt_dscnt 0x201
	v_mul_f64_e32 v[106:107], v[2:3], v[128:129]
	v_mul_f64_e32 v[118:119], v[4:5], v[128:129]
	v_add_f64_e32 v[16:17], v[114:115], v[112:113]
	v_add_f64_e32 v[22:23], v[22:23], v[104:105]
	s_wait_loadcnt_dscnt 0x100
	v_mul_f64_e32 v[104:105], v[18:19], v[8:9]
	v_mul_f64_e32 v[8:9], v[20:21], v[8:9]
	v_lshl_add_u64 v[112:113], v[28:29], 4, s[4:5]
	v_lshl_add_u64 v[114:115], v[30:31], 4, s[4:5]
	;; [unrolled: 1-line block ×6, first 2 shown]
	v_fmac_f64_e32 v[106:107], v[4:5], v[126:127]
	v_fma_f64 v[110:111], v[2:3], v[126:127], -v[118:119]
	ds_load_b128 v[2:5], v116 offset:1264
	v_add_f64_e32 v[14:15], v[16:17], v[14:15]
	v_add_f64_e32 v[16:17], v[22:23], v[108:109]
	v_fmac_f64_e32 v[104:105], v[20:21], v[6:7]
	v_fma_f64 v[6:7], v[18:19], v[6:7], -v[8:9]
	v_lshl_add_u64 v[108:109], v[34:35], 4, s[4:5]
	v_lshl_add_u64 v[18:19], v[56:57], 4, s[4:5]
	;; [unrolled: 1-line block ×7, first 2 shown]
	s_wait_loadcnt_dscnt 0x0
	v_mul_f64_e32 v[22:23], v[2:3], v[12:13]
	v_mul_f64_e32 v[12:13], v[4:5], v[12:13]
	v_add_f64_e32 v[8:9], v[14:15], v[110:111]
	v_add_f64_e32 v[14:15], v[16:17], v[106:107]
	v_lshl_add_u64 v[110:111], v[32:33], 4, s[4:5]
	v_lshl_add_u64 v[106:107], v[38:39], 4, s[4:5]
	;; [unrolled: 1-line block ×7, first 2 shown]
	v_fmac_f64_e32 v[22:23], v[4:5], v[10:11]
	v_fma_f64 v[2:3], v[2:3], v[10:11], -v[12:13]
	v_lshl_add_u64 v[10:11], v[48:49], 4, s[4:5]
	v_lshl_add_u64 v[12:13], v[50:51], 4, s[4:5]
	;; [unrolled: 1-line block ×4, first 2 shown]
	v_add_f64_e32 v[4:5], v[8:9], v[6:7]
	v_add_f64_e32 v[6:7], v[14:15], v[104:105]
	v_lshl_add_u64 v[104:105], v[36:37], 4, s[4:5]
	v_lshl_add_u64 v[14:15], v[52:53], 4, s[4:5]
	;; [unrolled: 1-line block ×4, first 2 shown]
	v_add_f64_e32 v[8:9], v[4:5], v[2:3]
	v_add_f64_e32 v[6:7], v[6:7], v[22:23]
	v_lshl_add_u64 v[4:5], v[40:41], 4, s[4:5]
	v_lshl_add_u64 v[2:3], v[42:43], 4, s[4:5]
	;; [unrolled: 1-line block ×6, first 2 shown]
	v_add_f64_e64 v[118:119], v[134:135], -v[8:9]
	v_add_f64_e64 v[120:121], v[136:137], -v[6:7]
	v_lshl_add_u64 v[6:7], v[44:45], 4, s[4:5]
	v_lshl_add_u64 v[8:9], v[46:47], 4, s[4:5]
	;; [unrolled: 1-line block ×4, first 2 shown]
	scratch_store_b128 off, v[118:121], off
	s_cbranch_vccz .LBB39_332
; %bb.254:
	global_load_b32 v70, v116, s[16:17] offset:152
	s_load_b64 s[2:3], s[0:1], 0x4
	v_bfe_u32 v71, v0, 10, 10
	v_bfe_u32 v0, v0, 20, 10
	s_wait_kmcnt 0x0
	s_lshr_b32 s0, s2, 16
	s_delay_alu instid0(VALU_DEP_2) | instskip(SKIP_1) | instid1(SALU_CYCLE_1)
	v_mul_u32_u24_e32 v71, s3, v71
	s_mul_i32 s0, s0, s3
	v_mul_u32_u24_e32 v1, s0, v1
	s_delay_alu instid0(VALU_DEP_1) | instskip(NEXT) | instid1(VALU_DEP_1)
	v_add3_u32 v0, v1, v71, v0
	v_lshl_add_u32 v0, v0, 4, 0x508
	s_wait_loadcnt 0x0
	v_cmp_ne_u32_e32 vcc_lo, 39, v70
	s_cbranch_vccz .LBB39_256
; %bb.255:
	v_lshlrev_b32_e32 v1, 4, v70
	s_clause 0x1
	scratch_load_b128 v[70:73], off, s28
	scratch_load_b128 v[74:77], v1, off offset:-16
	s_wait_loadcnt 0x1
	ds_store_2addr_b64 v0, v[70:71], v[72:73] offset1:1
	s_wait_loadcnt 0x0
	s_clause 0x1
	scratch_store_b128 off, v[74:77], s28
	scratch_store_b128 v1, v[70:73], off offset:-16
.LBB39_256:
	s_wait_xcnt 0x0
	v_mov_b32_e32 v1, 0
	global_load_b32 v70, v1, s[16:17] offset:148
	s_wait_loadcnt 0x0
	v_cmp_eq_u32_e32 vcc_lo, 38, v70
	s_cbranch_vccnz .LBB39_258
; %bb.257:
	v_lshlrev_b32_e32 v70, 4, v70
	s_delay_alu instid0(VALU_DEP_1)
	v_mov_b32_e32 v78, v70
	s_clause 0x1
	scratch_load_b128 v[70:73], off, s25
	scratch_load_b128 v[74:77], v78, off offset:-16
	s_wait_loadcnt 0x1
	ds_store_2addr_b64 v0, v[70:71], v[72:73] offset1:1
	s_wait_loadcnt 0x0
	s_clause 0x1
	scratch_store_b128 off, v[74:77], s25
	scratch_store_b128 v78, v[70:73], off offset:-16
.LBB39_258:
	global_load_b32 v1, v1, s[16:17] offset:144
	s_wait_loadcnt 0x0
	v_cmp_eq_u32_e32 vcc_lo, 37, v1
	s_cbranch_vccnz .LBB39_260
; %bb.259:
	s_wait_xcnt 0x0
	v_lshlrev_b32_e32 v1, 4, v1
	s_clause 0x1
	scratch_load_b128 v[70:73], off, s33
	scratch_load_b128 v[74:77], v1, off offset:-16
	s_wait_loadcnt 0x1
	ds_store_2addr_b64 v0, v[70:71], v[72:73] offset1:1
	s_wait_loadcnt 0x0
	s_clause 0x1
	scratch_store_b128 off, v[74:77], s33
	scratch_store_b128 v1, v[70:73], off offset:-16
.LBB39_260:
	s_wait_xcnt 0x0
	v_mov_b32_e32 v1, 0
	global_load_b32 v70, v1, s[16:17] offset:140
	s_wait_loadcnt 0x0
	v_cmp_eq_u32_e32 vcc_lo, 36, v70
	s_cbranch_vccnz .LBB39_262
; %bb.261:
	v_lshlrev_b32_e32 v70, 4, v70
	s_delay_alu instid0(VALU_DEP_1)
	v_mov_b32_e32 v78, v70
	s_clause 0x1
	scratch_load_b128 v[70:73], off, s29
	scratch_load_b128 v[74:77], v78, off offset:-16
	s_wait_loadcnt 0x1
	ds_store_2addr_b64 v0, v[70:71], v[72:73] offset1:1
	s_wait_loadcnt 0x0
	s_clause 0x1
	scratch_store_b128 off, v[74:77], s29
	scratch_store_b128 v78, v[70:73], off offset:-16
.LBB39_262:
	global_load_b32 v1, v1, s[16:17] offset:136
	s_wait_loadcnt 0x0
	v_cmp_eq_u32_e32 vcc_lo, 35, v1
	s_cbranch_vccnz .LBB39_264
; %bb.263:
	s_wait_xcnt 0x0
	v_lshlrev_b32_e32 v1, 4, v1
	s_clause 0x1
	scratch_load_b128 v[70:73], off, s35
	scratch_load_b128 v[74:77], v1, off offset:-16
	s_wait_loadcnt 0x1
	ds_store_2addr_b64 v0, v[70:71], v[72:73] offset1:1
	s_wait_loadcnt 0x0
	s_clause 0x1
	scratch_store_b128 off, v[74:77], s35
	scratch_store_b128 v1, v[70:73], off offset:-16
.LBB39_264:
	s_wait_xcnt 0x0
	v_mov_b32_e32 v1, 0
	global_load_b32 v70, v1, s[16:17] offset:132
	s_wait_loadcnt 0x0
	v_cmp_eq_u32_e32 vcc_lo, 34, v70
	s_cbranch_vccnz .LBB39_266
; %bb.265:
	v_lshlrev_b32_e32 v70, 4, v70
	s_delay_alu instid0(VALU_DEP_1)
	v_mov_b32_e32 v78, v70
	s_clause 0x1
	scratch_load_b128 v[70:73], off, s34
	scratch_load_b128 v[74:77], v78, off offset:-16
	s_wait_loadcnt 0x1
	ds_store_2addr_b64 v0, v[70:71], v[72:73] offset1:1
	s_wait_loadcnt 0x0
	s_clause 0x1
	scratch_store_b128 off, v[74:77], s34
	scratch_store_b128 v78, v[70:73], off offset:-16
.LBB39_266:
	global_load_b32 v1, v1, s[16:17] offset:128
	s_wait_loadcnt 0x0
	v_cmp_eq_u32_e32 vcc_lo, 33, v1
	s_cbranch_vccnz .LBB39_268
; %bb.267:
	s_wait_xcnt 0x0
	v_lshlrev_b32_e32 v1, 4, v1
	s_clause 0x1
	scratch_load_b128 v[70:73], off, s9
	scratch_load_b128 v[74:77], v1, off offset:-16
	s_wait_loadcnt 0x1
	ds_store_2addr_b64 v0, v[70:71], v[72:73] offset1:1
	s_wait_loadcnt 0x0
	s_clause 0x1
	scratch_store_b128 off, v[74:77], s9
	scratch_store_b128 v1, v[70:73], off offset:-16
.LBB39_268:
	s_wait_xcnt 0x0
	v_mov_b32_e32 v1, 0
	global_load_b32 v70, v1, s[16:17] offset:124
	s_wait_loadcnt 0x0
	v_cmp_eq_u32_e32 vcc_lo, 32, v70
	s_cbranch_vccnz .LBB39_270
; %bb.269:
	v_lshlrev_b32_e32 v70, 4, v70
	s_delay_alu instid0(VALU_DEP_1)
	v_mov_b32_e32 v78, v70
	s_clause 0x1
	scratch_load_b128 v[70:73], off, s8
	scratch_load_b128 v[74:77], v78, off offset:-16
	s_wait_loadcnt 0x1
	ds_store_2addr_b64 v0, v[70:71], v[72:73] offset1:1
	s_wait_loadcnt 0x0
	s_clause 0x1
	scratch_store_b128 off, v[74:77], s8
	scratch_store_b128 v78, v[70:73], off offset:-16
.LBB39_270:
	global_load_b32 v1, v1, s[16:17] offset:120
	s_wait_loadcnt 0x0
	v_cmp_eq_u32_e32 vcc_lo, 31, v1
	s_cbranch_vccnz .LBB39_272
; %bb.271:
	s_wait_xcnt 0x0
	v_lshlrev_b32_e32 v1, 4, v1
	s_clause 0x1
	scratch_load_b128 v[70:73], off, s11
	scratch_load_b128 v[74:77], v1, off offset:-16
	s_wait_loadcnt 0x1
	ds_store_2addr_b64 v0, v[70:71], v[72:73] offset1:1
	s_wait_loadcnt 0x0
	s_clause 0x1
	scratch_store_b128 off, v[74:77], s11
	scratch_store_b128 v1, v[70:73], off offset:-16
.LBB39_272:
	s_wait_xcnt 0x0
	v_mov_b32_e32 v1, 0
	global_load_b32 v70, v1, s[16:17] offset:116
	s_wait_loadcnt 0x0
	v_cmp_eq_u32_e32 vcc_lo, 30, v70
	s_cbranch_vccnz .LBB39_274
; %bb.273:
	v_lshlrev_b32_e32 v70, 4, v70
	s_delay_alu instid0(VALU_DEP_1)
	v_mov_b32_e32 v78, v70
	s_clause 0x1
	scratch_load_b128 v[70:73], off, s10
	scratch_load_b128 v[74:77], v78, off offset:-16
	s_wait_loadcnt 0x1
	ds_store_2addr_b64 v0, v[70:71], v[72:73] offset1:1
	s_wait_loadcnt 0x0
	s_clause 0x1
	scratch_store_b128 off, v[74:77], s10
	scratch_store_b128 v78, v[70:73], off offset:-16
.LBB39_274:
	global_load_b32 v1, v1, s[16:17] offset:112
	s_wait_loadcnt 0x0
	v_cmp_eq_u32_e32 vcc_lo, 29, v1
	s_cbranch_vccnz .LBB39_276
; %bb.275:
	s_wait_xcnt 0x0
	v_lshlrev_b32_e32 v1, 4, v1
	s_clause 0x1
	scratch_load_b128 v[70:73], off, s14
	scratch_load_b128 v[74:77], v1, off offset:-16
	s_wait_loadcnt 0x1
	ds_store_2addr_b64 v0, v[70:71], v[72:73] offset1:1
	s_wait_loadcnt 0x0
	s_clause 0x1
	scratch_store_b128 off, v[74:77], s14
	scratch_store_b128 v1, v[70:73], off offset:-16
.LBB39_276:
	s_wait_xcnt 0x0
	v_mov_b32_e32 v1, 0
	global_load_b32 v70, v1, s[16:17] offset:108
	s_wait_loadcnt 0x0
	v_cmp_eq_u32_e32 vcc_lo, 28, v70
	s_cbranch_vccnz .LBB39_278
; %bb.277:
	v_lshlrev_b32_e32 v70, 4, v70
	s_delay_alu instid0(VALU_DEP_1)
	v_mov_b32_e32 v78, v70
	s_clause 0x1
	scratch_load_b128 v[70:73], off, s12
	scratch_load_b128 v[74:77], v78, off offset:-16
	s_wait_loadcnt 0x1
	ds_store_2addr_b64 v0, v[70:71], v[72:73] offset1:1
	s_wait_loadcnt 0x0
	s_clause 0x1
	scratch_store_b128 off, v[74:77], s12
	scratch_store_b128 v78, v[70:73], off offset:-16
.LBB39_278:
	global_load_b32 v1, v1, s[16:17] offset:104
	s_wait_loadcnt 0x0
	v_cmp_eq_u32_e32 vcc_lo, 27, v1
	s_cbranch_vccnz .LBB39_280
; %bb.279:
	s_wait_xcnt 0x0
	v_lshlrev_b32_e32 v1, 4, v1
	s_clause 0x1
	scratch_load_b128 v[70:73], off, s22
	scratch_load_b128 v[74:77], v1, off offset:-16
	s_wait_loadcnt 0x1
	ds_store_2addr_b64 v0, v[70:71], v[72:73] offset1:1
	s_wait_loadcnt 0x0
	s_clause 0x1
	scratch_store_b128 off, v[74:77], s22
	scratch_store_b128 v1, v[70:73], off offset:-16
.LBB39_280:
	s_wait_xcnt 0x0
	v_mov_b32_e32 v1, 0
	global_load_b32 v70, v1, s[16:17] offset:100
	s_wait_loadcnt 0x0
	v_cmp_eq_u32_e32 vcc_lo, 26, v70
	s_cbranch_vccnz .LBB39_282
; %bb.281:
	v_lshlrev_b32_e32 v70, 4, v70
	s_delay_alu instid0(VALU_DEP_1)
	v_mov_b32_e32 v78, v70
	s_clause 0x1
	scratch_load_b128 v[70:73], off, s15
	scratch_load_b128 v[74:77], v78, off offset:-16
	s_wait_loadcnt 0x1
	ds_store_2addr_b64 v0, v[70:71], v[72:73] offset1:1
	s_wait_loadcnt 0x0
	s_clause 0x1
	scratch_store_b128 off, v[74:77], s15
	scratch_store_b128 v78, v[70:73], off offset:-16
.LBB39_282:
	global_load_b32 v1, v1, s[16:17] offset:96
	s_wait_loadcnt 0x0
	v_cmp_eq_u32_e32 vcc_lo, 25, v1
	s_cbranch_vccnz .LBB39_284
; %bb.283:
	s_wait_xcnt 0x0
	v_lshlrev_b32_e32 v1, 4, v1
	s_clause 0x1
	scratch_load_b128 v[70:73], off, s31
	scratch_load_b128 v[74:77], v1, off offset:-16
	s_wait_loadcnt 0x1
	ds_store_2addr_b64 v0, v[70:71], v[72:73] offset1:1
	s_wait_loadcnt 0x0
	s_clause 0x1
	scratch_store_b128 off, v[74:77], s31
	scratch_store_b128 v1, v[70:73], off offset:-16
.LBB39_284:
	s_wait_xcnt 0x0
	v_mov_b32_e32 v1, 0
	global_load_b32 v70, v1, s[16:17] offset:92
	s_wait_loadcnt 0x0
	v_cmp_eq_u32_e32 vcc_lo, 24, v70
	s_cbranch_vccnz .LBB39_286
; %bb.285:
	v_lshlrev_b32_e32 v70, 4, v70
	s_delay_alu instid0(VALU_DEP_1)
	v_mov_b32_e32 v78, v70
	s_clause 0x1
	scratch_load_b128 v[70:73], off, s27
	scratch_load_b128 v[74:77], v78, off offset:-16
	s_wait_loadcnt 0x1
	ds_store_2addr_b64 v0, v[70:71], v[72:73] offset1:1
	s_wait_loadcnt 0x0
	s_clause 0x1
	scratch_store_b128 off, v[74:77], s27
	scratch_store_b128 v78, v[70:73], off offset:-16
.LBB39_286:
	global_load_b32 v1, v1, s[16:17] offset:88
	s_wait_loadcnt 0x0
	v_cmp_eq_u32_e32 vcc_lo, 23, v1
	s_cbranch_vccnz .LBB39_288
; %bb.287:
	s_wait_xcnt 0x0
	v_lshlrev_b32_e32 v1, 4, v1
	s_clause 0x1
	scratch_load_b128 v[70:73], off, s23
	scratch_load_b128 v[74:77], v1, off offset:-16
	s_wait_loadcnt 0x1
	ds_store_2addr_b64 v0, v[70:71], v[72:73] offset1:1
	s_wait_loadcnt 0x0
	s_clause 0x1
	scratch_store_b128 off, v[74:77], s23
	scratch_store_b128 v1, v[70:73], off offset:-16
.LBB39_288:
	s_wait_xcnt 0x0
	v_mov_b32_e32 v1, 0
	global_load_b32 v70, v1, s[16:17] offset:84
	s_wait_loadcnt 0x0
	v_cmp_eq_u32_e32 vcc_lo, 22, v70
	s_cbranch_vccnz .LBB39_290
; %bb.289:
	v_lshlrev_b32_e32 v70, 4, v70
	s_delay_alu instid0(VALU_DEP_1)
	v_mov_b32_e32 v78, v70
	s_clause 0x1
	scratch_load_b128 v[70:73], off, s21
	scratch_load_b128 v[74:77], v78, off offset:-16
	s_wait_loadcnt 0x1
	ds_store_2addr_b64 v0, v[70:71], v[72:73] offset1:1
	s_wait_loadcnt 0x0
	s_clause 0x1
	scratch_store_b128 off, v[74:77], s21
	scratch_store_b128 v78, v[70:73], off offset:-16
.LBB39_290:
	global_load_b32 v1, v1, s[16:17] offset:80
	s_wait_loadcnt 0x0
	v_cmp_eq_u32_e32 vcc_lo, 21, v1
	s_cbranch_vccnz .LBB39_292
; %bb.291:
	s_wait_xcnt 0x0
	v_lshlrev_b32_e32 v1, 4, v1
	s_clause 0x1
	scratch_load_b128 v[70:73], off, s30
	scratch_load_b128 v[74:77], v1, off offset:-16
	s_wait_loadcnt 0x1
	ds_store_2addr_b64 v0, v[70:71], v[72:73] offset1:1
	s_wait_loadcnt 0x0
	s_clause 0x1
	scratch_store_b128 off, v[74:77], s30
	scratch_store_b128 v1, v[70:73], off offset:-16
.LBB39_292:
	s_wait_xcnt 0x0
	v_mov_b32_e32 v1, 0
	global_load_b32 v70, v1, s[16:17] offset:76
	s_wait_loadcnt 0x0
	v_cmp_eq_u32_e32 vcc_lo, 20, v70
	s_cbranch_vccnz .LBB39_294
; %bb.293:
	v_lshlrev_b32_e32 v70, 4, v70
	s_delay_alu instid0(VALU_DEP_1)
	v_mov_b32_e32 v78, v70
	s_clause 0x1
	scratch_load_b128 v[70:73], off, s26
	scratch_load_b128 v[74:77], v78, off offset:-16
	s_wait_loadcnt 0x1
	ds_store_2addr_b64 v0, v[70:71], v[72:73] offset1:1
	s_wait_loadcnt 0x0
	s_clause 0x1
	scratch_store_b128 off, v[74:77], s26
	scratch_store_b128 v78, v[70:73], off offset:-16
.LBB39_294:
	global_load_b32 v1, v1, s[16:17] offset:72
	s_wait_loadcnt 0x0
	v_cmp_eq_u32_e32 vcc_lo, 19, v1
	s_cbranch_vccnz .LBB39_296
; %bb.295:
	s_wait_xcnt 0x0
	v_lshlrev_b32_e32 v1, 4, v1
	s_clause 0x1
	scratch_load_b128 v[70:73], off, s24
	scratch_load_b128 v[74:77], v1, off offset:-16
	s_wait_loadcnt 0x1
	ds_store_2addr_b64 v0, v[70:71], v[72:73] offset1:1
	s_wait_loadcnt 0x0
	s_clause 0x1
	scratch_store_b128 off, v[74:77], s24
	scratch_store_b128 v1, v[70:73], off offset:-16
.LBB39_296:
	s_wait_xcnt 0x0
	v_mov_b32_e32 v1, 0
	global_load_b32 v70, v1, s[16:17] offset:68
	s_wait_loadcnt 0x0
	v_cmp_eq_u32_e32 vcc_lo, 18, v70
	s_cbranch_vccnz .LBB39_298
; %bb.297:
	v_lshlrev_b32_e32 v70, 4, v70
	s_delay_alu instid0(VALU_DEP_1)
	v_mov_b32_e32 v78, v70
	s_clause 0x1
	scratch_load_b128 v[70:73], off, s20
	scratch_load_b128 v[74:77], v78, off offset:-16
	s_wait_loadcnt 0x1
	ds_store_2addr_b64 v0, v[70:71], v[72:73] offset1:1
	s_wait_loadcnt 0x0
	s_clause 0x1
	scratch_store_b128 off, v[74:77], s20
	scratch_store_b128 v78, v[70:73], off offset:-16
.LBB39_298:
	global_load_b32 v1, v1, s[16:17] offset:64
	s_wait_loadcnt 0x0
	v_cmp_eq_u32_e32 vcc_lo, 17, v1
	s_cbranch_vccnz .LBB39_300
; %bb.299:
	s_wait_xcnt 0x0
	v_lshlrev_b32_e32 v1, 4, v1
	s_clause 0x1
	scratch_load_b128 v[70:73], off, s13
	scratch_load_b128 v[74:77], v1, off offset:-16
	s_wait_loadcnt 0x1
	ds_store_2addr_b64 v0, v[70:71], v[72:73] offset1:1
	s_wait_loadcnt 0x0
	s_clause 0x1
	scratch_store_b128 off, v[74:77], s13
	scratch_store_b128 v1, v[70:73], off offset:-16
.LBB39_300:
	s_wait_xcnt 0x0
	v_mov_b32_e32 v1, 0
	global_load_b32 v70, v1, s[16:17] offset:60
	s_wait_loadcnt 0x0
	v_cmp_eq_u32_e32 vcc_lo, 16, v70
	s_cbranch_vccnz .LBB39_302
; %bb.301:
	v_lshlrev_b32_e32 v70, 4, v70
	s_delay_alu instid0(VALU_DEP_1)
	v_mov_b32_e32 v78, v70
	s_clause 0x1
	scratch_load_b128 v[70:73], off, s46
	scratch_load_b128 v[74:77], v78, off offset:-16
	s_wait_loadcnt 0x1
	ds_store_2addr_b64 v0, v[70:71], v[72:73] offset1:1
	s_wait_loadcnt 0x0
	s_clause 0x1
	scratch_store_b128 off, v[74:77], s46
	scratch_store_b128 v78, v[70:73], off offset:-16
.LBB39_302:
	global_load_b32 v1, v1, s[16:17] offset:56
	s_wait_loadcnt 0x0
	v_cmp_eq_u32_e32 vcc_lo, 15, v1
	s_cbranch_vccnz .LBB39_304
; %bb.303:
	s_wait_xcnt 0x0
	v_lshlrev_b32_e32 v1, 4, v1
	s_clause 0x1
	scratch_load_b128 v[70:73], off, s51
	scratch_load_b128 v[74:77], v1, off offset:-16
	s_wait_loadcnt 0x1
	ds_store_2addr_b64 v0, v[70:71], v[72:73] offset1:1
	s_wait_loadcnt 0x0
	s_clause 0x1
	scratch_store_b128 off, v[74:77], s51
	scratch_store_b128 v1, v[70:73], off offset:-16
.LBB39_304:
	s_wait_xcnt 0x0
	v_mov_b32_e32 v1, 0
	global_load_b32 v70, v1, s[16:17] offset:52
	s_wait_loadcnt 0x0
	v_cmp_eq_u32_e32 vcc_lo, 14, v70
	s_cbranch_vccnz .LBB39_306
; %bb.305:
	v_lshlrev_b32_e32 v70, 4, v70
	s_delay_alu instid0(VALU_DEP_1)
	v_mov_b32_e32 v78, v70
	s_clause 0x1
	scratch_load_b128 v[70:73], off, s50
	scratch_load_b128 v[74:77], v78, off offset:-16
	s_wait_loadcnt 0x1
	ds_store_2addr_b64 v0, v[70:71], v[72:73] offset1:1
	s_wait_loadcnt 0x0
	s_clause 0x1
	scratch_store_b128 off, v[74:77], s50
	scratch_store_b128 v78, v[70:73], off offset:-16
.LBB39_306:
	global_load_b32 v1, v1, s[16:17] offset:48
	s_wait_loadcnt 0x0
	v_cmp_eq_u32_e32 vcc_lo, 13, v1
	s_cbranch_vccnz .LBB39_308
; %bb.307:
	s_wait_xcnt 0x0
	v_lshlrev_b32_e32 v1, 4, v1
	s_clause 0x1
	scratch_load_b128 v[70:73], off, s49
	scratch_load_b128 v[74:77], v1, off offset:-16
	s_wait_loadcnt 0x1
	ds_store_2addr_b64 v0, v[70:71], v[72:73] offset1:1
	s_wait_loadcnt 0x0
	s_clause 0x1
	scratch_store_b128 off, v[74:77], s49
	scratch_store_b128 v1, v[70:73], off offset:-16
.LBB39_308:
	s_wait_xcnt 0x0
	v_mov_b32_e32 v1, 0
	global_load_b32 v70, v1, s[16:17] offset:44
	s_wait_loadcnt 0x0
	v_cmp_eq_u32_e32 vcc_lo, 12, v70
	s_cbranch_vccnz .LBB39_310
; %bb.309:
	v_lshlrev_b32_e32 v70, 4, v70
	s_delay_alu instid0(VALU_DEP_1)
	v_mov_b32_e32 v78, v70
	s_clause 0x1
	scratch_load_b128 v[70:73], off, s47
	scratch_load_b128 v[74:77], v78, off offset:-16
	s_wait_loadcnt 0x1
	ds_store_2addr_b64 v0, v[70:71], v[72:73] offset1:1
	s_wait_loadcnt 0x0
	s_clause 0x1
	scratch_store_b128 off, v[74:77], s47
	scratch_store_b128 v78, v[70:73], off offset:-16
.LBB39_310:
	global_load_b32 v1, v1, s[16:17] offset:40
	s_wait_loadcnt 0x0
	v_cmp_eq_u32_e32 vcc_lo, 11, v1
	s_cbranch_vccnz .LBB39_312
; %bb.311:
	s_wait_xcnt 0x0
	v_lshlrev_b32_e32 v1, 4, v1
	s_clause 0x1
	scratch_load_b128 v[70:73], off, s44
	scratch_load_b128 v[74:77], v1, off offset:-16
	s_wait_loadcnt 0x1
	ds_store_2addr_b64 v0, v[70:71], v[72:73] offset1:1
	s_wait_loadcnt 0x0
	s_clause 0x1
	scratch_store_b128 off, v[74:77], s44
	scratch_store_b128 v1, v[70:73], off offset:-16
.LBB39_312:
	s_wait_xcnt 0x0
	v_mov_b32_e32 v1, 0
	global_load_b32 v70, v1, s[16:17] offset:36
	s_wait_loadcnt 0x0
	v_cmp_eq_u32_e32 vcc_lo, 10, v70
	s_cbranch_vccnz .LBB39_314
; %bb.313:
	v_lshlrev_b32_e32 v70, 4, v70
	s_delay_alu instid0(VALU_DEP_1)
	v_mov_b32_e32 v78, v70
	s_clause 0x1
	scratch_load_b128 v[70:73], off, s42
	scratch_load_b128 v[74:77], v78, off offset:-16
	s_wait_loadcnt 0x1
	ds_store_2addr_b64 v0, v[70:71], v[72:73] offset1:1
	s_wait_loadcnt 0x0
	s_clause 0x1
	scratch_store_b128 off, v[74:77], s42
	scratch_store_b128 v78, v[70:73], off offset:-16
.LBB39_314:
	global_load_b32 v1, v1, s[16:17] offset:32
	s_wait_loadcnt 0x0
	v_cmp_eq_u32_e32 vcc_lo, 9, v1
	s_cbranch_vccnz .LBB39_316
; %bb.315:
	s_wait_xcnt 0x0
	v_lshlrev_b32_e32 v1, 4, v1
	s_clause 0x1
	scratch_load_b128 v[70:73], off, s41
	scratch_load_b128 v[74:77], v1, off offset:-16
	s_wait_loadcnt 0x1
	ds_store_2addr_b64 v0, v[70:71], v[72:73] offset1:1
	s_wait_loadcnt 0x0
	s_clause 0x1
	scratch_store_b128 off, v[74:77], s41
	scratch_store_b128 v1, v[70:73], off offset:-16
.LBB39_316:
	s_wait_xcnt 0x0
	v_mov_b32_e32 v1, 0
	global_load_b32 v70, v1, s[16:17] offset:28
	s_wait_loadcnt 0x0
	v_cmp_eq_u32_e32 vcc_lo, 8, v70
	s_cbranch_vccnz .LBB39_318
; %bb.317:
	v_lshlrev_b32_e32 v70, 4, v70
	s_delay_alu instid0(VALU_DEP_1)
	v_mov_b32_e32 v78, v70
	s_clause 0x1
	scratch_load_b128 v[70:73], off, s48
	scratch_load_b128 v[74:77], v78, off offset:-16
	s_wait_loadcnt 0x1
	ds_store_2addr_b64 v0, v[70:71], v[72:73] offset1:1
	s_wait_loadcnt 0x0
	s_clause 0x1
	scratch_store_b128 off, v[74:77], s48
	scratch_store_b128 v78, v[70:73], off offset:-16
.LBB39_318:
	global_load_b32 v1, v1, s[16:17] offset:24
	s_wait_loadcnt 0x0
	v_cmp_eq_u32_e32 vcc_lo, 7, v1
	s_cbranch_vccnz .LBB39_320
; %bb.319:
	s_wait_xcnt 0x0
	v_lshlrev_b32_e32 v1, 4, v1
	s_clause 0x1
	scratch_load_b128 v[70:73], off, s45
	scratch_load_b128 v[74:77], v1, off offset:-16
	s_wait_loadcnt 0x1
	ds_store_2addr_b64 v0, v[70:71], v[72:73] offset1:1
	s_wait_loadcnt 0x0
	s_clause 0x1
	scratch_store_b128 off, v[74:77], s45
	scratch_store_b128 v1, v[70:73], off offset:-16
.LBB39_320:
	s_wait_xcnt 0x0
	v_mov_b32_e32 v1, 0
	global_load_b32 v70, v1, s[16:17] offset:20
	s_wait_loadcnt 0x0
	v_cmp_eq_u32_e32 vcc_lo, 6, v70
	s_cbranch_vccnz .LBB39_322
; %bb.321:
	v_lshlrev_b32_e32 v70, 4, v70
	s_delay_alu instid0(VALU_DEP_1)
	v_mov_b32_e32 v78, v70
	s_clause 0x1
	scratch_load_b128 v[70:73], off, s43
	scratch_load_b128 v[74:77], v78, off offset:-16
	s_wait_loadcnt 0x1
	ds_store_2addr_b64 v0, v[70:71], v[72:73] offset1:1
	s_wait_loadcnt 0x0
	s_clause 0x1
	scratch_store_b128 off, v[74:77], s43
	scratch_store_b128 v78, v[70:73], off offset:-16
.LBB39_322:
	global_load_b32 v1, v1, s[16:17] offset:16
	s_wait_loadcnt 0x0
	v_cmp_eq_u32_e32 vcc_lo, 5, v1
	s_cbranch_vccnz .LBB39_324
; %bb.323:
	s_wait_xcnt 0x0
	v_lshlrev_b32_e32 v1, 4, v1
	s_clause 0x1
	scratch_load_b128 v[70:73], off, s38
	scratch_load_b128 v[74:77], v1, off offset:-16
	s_wait_loadcnt 0x1
	ds_store_2addr_b64 v0, v[70:71], v[72:73] offset1:1
	s_wait_loadcnt 0x0
	s_clause 0x1
	scratch_store_b128 off, v[74:77], s38
	scratch_store_b128 v1, v[70:73], off offset:-16
.LBB39_324:
	s_wait_xcnt 0x0
	v_mov_b32_e32 v1, 0
	global_load_b32 v70, v1, s[16:17] offset:12
	s_wait_loadcnt 0x0
	v_cmp_eq_u32_e32 vcc_lo, 4, v70
	s_cbranch_vccnz .LBB39_326
; %bb.325:
	v_lshlrev_b32_e32 v70, 4, v70
	s_delay_alu instid0(VALU_DEP_1)
	v_mov_b32_e32 v78, v70
	s_clause 0x1
	scratch_load_b128 v[70:73], off, s37
	scratch_load_b128 v[74:77], v78, off offset:-16
	s_wait_loadcnt 0x1
	ds_store_2addr_b64 v0, v[70:71], v[72:73] offset1:1
	s_wait_loadcnt 0x0
	s_clause 0x1
	scratch_store_b128 off, v[74:77], s37
	scratch_store_b128 v78, v[70:73], off offset:-16
.LBB39_326:
	global_load_b32 v1, v1, s[16:17] offset:8
	s_wait_loadcnt 0x0
	v_cmp_eq_u32_e32 vcc_lo, 3, v1
	s_cbranch_vccnz .LBB39_328
; %bb.327:
	s_wait_xcnt 0x0
	v_lshlrev_b32_e32 v1, 4, v1
	s_clause 0x1
	scratch_load_b128 v[70:73], off, s36
	scratch_load_b128 v[74:77], v1, off offset:-16
	s_wait_loadcnt 0x1
	ds_store_2addr_b64 v0, v[70:71], v[72:73] offset1:1
	s_wait_loadcnt 0x0
	s_clause 0x1
	scratch_store_b128 off, v[74:77], s36
	scratch_store_b128 v1, v[70:73], off offset:-16
.LBB39_328:
	s_wait_xcnt 0x0
	v_mov_b32_e32 v1, 0
	global_load_b32 v70, v1, s[16:17] offset:4
	s_wait_loadcnt 0x0
	v_cmp_eq_u32_e32 vcc_lo, 2, v70
	s_cbranch_vccnz .LBB39_330
; %bb.329:
	v_lshlrev_b32_e32 v70, 4, v70
	s_delay_alu instid0(VALU_DEP_1)
	v_mov_b32_e32 v78, v70
	s_clause 0x1
	scratch_load_b128 v[70:73], off, s39
	scratch_load_b128 v[74:77], v78, off offset:-16
	s_wait_loadcnt 0x1
	ds_store_2addr_b64 v0, v[70:71], v[72:73] offset1:1
	s_wait_loadcnt 0x0
	s_clause 0x1
	scratch_store_b128 off, v[74:77], s39
	scratch_store_b128 v78, v[70:73], off offset:-16
.LBB39_330:
	global_load_b32 v1, v1, s[16:17]
	s_wait_loadcnt 0x0
	v_cmp_eq_u32_e32 vcc_lo, 1, v1
	s_cbranch_vccnz .LBB39_332
; %bb.331:
	s_wait_xcnt 0x0
	v_lshlrev_b32_e32 v1, 4, v1
	scratch_load_b128 v[70:73], off, off
	scratch_load_b128 v[74:77], v1, off offset:-16
	s_wait_loadcnt 0x1
	ds_store_2addr_b64 v0, v[70:71], v[72:73] offset1:1
	s_wait_loadcnt 0x0
	scratch_store_b128 off, v[74:77], off
	scratch_store_b128 v1, v[70:73], off offset:-16
.LBB39_332:
	scratch_load_b128 v[70:73], off, off
	s_clause 0x18
	scratch_load_b128 v[74:77], off, s39
	scratch_load_b128 v[78:81], off, s36
	;; [unrolled: 1-line block ×15, first 2 shown]
	; meta instruction
	; meta instruction
	;; [unrolled: 1-line block ×15, first 2 shown]
	scratch_load_b128 v[148:151], off, s13
	scratch_load_b128 v[152:155], off, s20
	;; [unrolled: 1-line block ×10, first 2 shown]
	s_wait_loadcnt 0x19
	global_store_b128 v[24:25], v[70:73], off
	s_clause 0x1
	scratch_load_b128 v[70:73], off, s15
	scratch_load_b128 v[188:191], off, s22
	s_wait_loadcnt 0x1a
	global_store_b128 v[26:27], v[74:77], off
	s_clause 0x1
	scratch_load_b128 v[24:27], off, s12
	scratch_load_b128 v[74:77], off, s14
	s_wait_loadcnt 0x1b
	global_store_b128 v[112:113], v[78:81], off
	s_wait_loadcnt 0x1a
	global_store_b128 v[114:115], v[82:85], off
	s_clause 0x1
	scratch_load_b128 v[78:81], off, s10
	scratch_load_b128 v[82:85], off, s11
	s_wait_loadcnt 0x1b
	global_store_b128 v[110:111], v[86:89], off
	s_clause 0x1
	scratch_load_b128 v[86:89], off, s8
	scratch_load_b128 v[110:113], off, s9
	;; [unrolled: 5-line block ×3, first 2 shown]
	s_wait_loadcnt 0x1d
	global_store_b128 v[104:105], v[94:97], off
	s_wait_loadcnt 0x1c
	global_store_b128 v[106:107], v[98:101], off
	s_clause 0x1
	scratch_load_b128 v[94:97], off, s29
	scratch_load_b128 v[98:101], off, s33
	s_wait_loadcnt 0x1d
	global_store_b128 v[4:5], v[116:119], off
	s_clause 0x1
	scratch_load_b128 v[102:105], off, s25
	scratch_load_b128 v[106:109], off, s28
	s_wait_loadcnt 0x1e
	global_store_b128 v[2:3], v[120:123], off
	s_wait_loadcnt 0x1d
	global_store_b128 v[6:7], v[124:127], off
	;; [unrolled: 2-line block ×29, first 2 shown]
	s_wait_loadcnt 0x0
	s_clause 0x1
	global_store_b128 v[66:67], v[106:109], off
	global_store_b128 v[68:69], v[184:187], off
	s_sendmsg sendmsg(MSG_DEALLOC_VGPRS)
	s_endpgm
	.section	.rodata,"a",@progbits
	.p2align	6, 0x0
	.amdhsa_kernel _ZN9rocsolver6v33100L18getri_kernel_smallILi40E19rocblas_complex_numIdEPS3_EEvT1_iilPiilS6_bb
		.amdhsa_group_segment_fixed_size 2312
		.amdhsa_private_segment_fixed_size 656
		.amdhsa_kernarg_size 60
		.amdhsa_user_sgpr_count 4
		.amdhsa_user_sgpr_dispatch_ptr 1
		.amdhsa_user_sgpr_queue_ptr 0
		.amdhsa_user_sgpr_kernarg_segment_ptr 1
		.amdhsa_user_sgpr_dispatch_id 0
		.amdhsa_user_sgpr_kernarg_preload_length 0
		.amdhsa_user_sgpr_kernarg_preload_offset 0
		.amdhsa_user_sgpr_private_segment_size 0
		.amdhsa_wavefront_size32 1
		.amdhsa_uses_dynamic_stack 0
		.amdhsa_enable_private_segment 1
		.amdhsa_system_sgpr_workgroup_id_x 1
		.amdhsa_system_sgpr_workgroup_id_y 0
		.amdhsa_system_sgpr_workgroup_id_z 0
		.amdhsa_system_sgpr_workgroup_info 0
		.amdhsa_system_vgpr_workitem_id 2
		.amdhsa_next_free_vgpr 196
		.amdhsa_next_free_sgpr 66
		.amdhsa_named_barrier_count 0
		.amdhsa_reserve_vcc 1
		.amdhsa_float_round_mode_32 0
		.amdhsa_float_round_mode_16_64 0
		.amdhsa_float_denorm_mode_32 3
		.amdhsa_float_denorm_mode_16_64 3
		.amdhsa_fp16_overflow 0
		.amdhsa_memory_ordered 1
		.amdhsa_forward_progress 1
		.amdhsa_inst_pref_size 255
		.amdhsa_round_robin_scheduling 0
		.amdhsa_exception_fp_ieee_invalid_op 0
		.amdhsa_exception_fp_denorm_src 0
		.amdhsa_exception_fp_ieee_div_zero 0
		.amdhsa_exception_fp_ieee_overflow 0
		.amdhsa_exception_fp_ieee_underflow 0
		.amdhsa_exception_fp_ieee_inexact 0
		.amdhsa_exception_int_div_zero 0
	.end_amdhsa_kernel
	.section	.text._ZN9rocsolver6v33100L18getri_kernel_smallILi40E19rocblas_complex_numIdEPS3_EEvT1_iilPiilS6_bb,"axG",@progbits,_ZN9rocsolver6v33100L18getri_kernel_smallILi40E19rocblas_complex_numIdEPS3_EEvT1_iilPiilS6_bb,comdat
.Lfunc_end39:
	.size	_ZN9rocsolver6v33100L18getri_kernel_smallILi40E19rocblas_complex_numIdEPS3_EEvT1_iilPiilS6_bb, .Lfunc_end39-_ZN9rocsolver6v33100L18getri_kernel_smallILi40E19rocblas_complex_numIdEPS3_EEvT1_iilPiilS6_bb
                                        ; -- End function
	.set _ZN9rocsolver6v33100L18getri_kernel_smallILi40E19rocblas_complex_numIdEPS3_EEvT1_iilPiilS6_bb.num_vgpr, 196
	.set _ZN9rocsolver6v33100L18getri_kernel_smallILi40E19rocblas_complex_numIdEPS3_EEvT1_iilPiilS6_bb.num_agpr, 0
	.set _ZN9rocsolver6v33100L18getri_kernel_smallILi40E19rocblas_complex_numIdEPS3_EEvT1_iilPiilS6_bb.numbered_sgpr, 66
	.set _ZN9rocsolver6v33100L18getri_kernel_smallILi40E19rocblas_complex_numIdEPS3_EEvT1_iilPiilS6_bb.num_named_barrier, 0
	.set _ZN9rocsolver6v33100L18getri_kernel_smallILi40E19rocblas_complex_numIdEPS3_EEvT1_iilPiilS6_bb.private_seg_size, 656
	.set _ZN9rocsolver6v33100L18getri_kernel_smallILi40E19rocblas_complex_numIdEPS3_EEvT1_iilPiilS6_bb.uses_vcc, 1
	.set _ZN9rocsolver6v33100L18getri_kernel_smallILi40E19rocblas_complex_numIdEPS3_EEvT1_iilPiilS6_bb.uses_flat_scratch, 1
	.set _ZN9rocsolver6v33100L18getri_kernel_smallILi40E19rocblas_complex_numIdEPS3_EEvT1_iilPiilS6_bb.has_dyn_sized_stack, 0
	.set _ZN9rocsolver6v33100L18getri_kernel_smallILi40E19rocblas_complex_numIdEPS3_EEvT1_iilPiilS6_bb.has_recursion, 0
	.set _ZN9rocsolver6v33100L18getri_kernel_smallILi40E19rocblas_complex_numIdEPS3_EEvT1_iilPiilS6_bb.has_indirect_call, 0
	.section	.AMDGPU.csdata,"",@progbits
; Kernel info:
; codeLenInByte = 65632
; TotalNumSgprs: 68
; NumVgprs: 196
; ScratchSize: 656
; MemoryBound: 0
; FloatMode: 240
; IeeeMode: 1
; LDSByteSize: 2312 bytes/workgroup (compile time only)
; SGPRBlocks: 0
; VGPRBlocks: 12
; NumSGPRsForWavesPerEU: 68
; NumVGPRsForWavesPerEU: 196
; NamedBarCnt: 0
; Occupancy: 4
; WaveLimiterHint : 1
; COMPUTE_PGM_RSRC2:SCRATCH_EN: 1
; COMPUTE_PGM_RSRC2:USER_SGPR: 4
; COMPUTE_PGM_RSRC2:TRAP_HANDLER: 0
; COMPUTE_PGM_RSRC2:TGID_X_EN: 1
; COMPUTE_PGM_RSRC2:TGID_Y_EN: 0
; COMPUTE_PGM_RSRC2:TGID_Z_EN: 0
; COMPUTE_PGM_RSRC2:TIDIG_COMP_CNT: 2
	.section	.text._ZN9rocsolver6v33100L18getri_kernel_smallILi41E19rocblas_complex_numIdEPS3_EEvT1_iilPiilS6_bb,"axG",@progbits,_ZN9rocsolver6v33100L18getri_kernel_smallILi41E19rocblas_complex_numIdEPS3_EEvT1_iilPiilS6_bb,comdat
	.globl	_ZN9rocsolver6v33100L18getri_kernel_smallILi41E19rocblas_complex_numIdEPS3_EEvT1_iilPiilS6_bb ; -- Begin function _ZN9rocsolver6v33100L18getri_kernel_smallILi41E19rocblas_complex_numIdEPS3_EEvT1_iilPiilS6_bb
	.p2align	8
	.type	_ZN9rocsolver6v33100L18getri_kernel_smallILi41E19rocblas_complex_numIdEPS3_EEvT1_iilPiilS6_bb,@function
_ZN9rocsolver6v33100L18getri_kernel_smallILi41E19rocblas_complex_numIdEPS3_EEvT1_iilPiilS6_bb: ; @_ZN9rocsolver6v33100L18getri_kernel_smallILi41E19rocblas_complex_numIdEPS3_EEvT1_iilPiilS6_bb
; %bb.0:
	v_and_b32_e32 v1, 0x3ff, v0
	s_mov_b32 s4, exec_lo
	s_delay_alu instid0(VALU_DEP_1)
	v_cmpx_gt_u32_e32 41, v1
	s_cbranch_execz .LBB40_178
; %bb.1:
	s_clause 0x2
	s_load_b32 s8, s[2:3], 0x38
	s_load_b128 s[12:15], s[2:3], 0x10
	s_load_b128 s[4:7], s[2:3], 0x28
	s_getreg_b32 s11, hwreg(HW_REG_IB_STS2, 6, 4)
                                        ; implicit-def: $sgpr16_sgpr17
	s_wait_kmcnt 0x0
	s_bitcmp1_b32 s8, 8
	s_cselect_b32 s53, -1, 0
	s_bfe_u32 s9, ttmp6, 0x4000c
	s_and_b32 s10, ttmp6, 15
	s_add_co_i32 s9, s9, 1
	s_delay_alu instid0(SALU_CYCLE_1) | instskip(NEXT) | instid1(SALU_CYCLE_1)
	s_mul_i32 s9, ttmp9, s9
	s_add_co_i32 s10, s10, s9
	s_cmp_eq_u32 s11, 0
	s_cselect_b32 s18, ttmp9, s10
	s_bfe_u32 s8, s8, 0x10008
	s_ashr_i32 s19, s18, 31
	s_cmp_eq_u32 s8, 0
	s_cbranch_scc1 .LBB40_3
; %bb.2:
	s_load_b32 s8, s[2:3], 0x20
	s_mul_u64 s[4:5], s[4:5], s[18:19]
	s_delay_alu instid0(SALU_CYCLE_1) | instskip(NEXT) | instid1(SALU_CYCLE_1)
	s_lshl_b64 s[4:5], s[4:5], 2
	s_add_nc_u64 s[4:5], s[14:15], s[4:5]
	s_wait_kmcnt 0x0
	s_ashr_i32 s9, s8, 31
	s_delay_alu instid0(SALU_CYCLE_1) | instskip(NEXT) | instid1(SALU_CYCLE_1)
	s_lshl_b64 s[8:9], s[8:9], 2
	s_add_nc_u64 s[16:17], s[4:5], s[8:9]
.LBB40_3:
	s_clause 0x1
	s_load_b128 s[8:11], s[2:3], 0x0
	s_load_b32 s54, s[2:3], 0x38
	s_wait_xcnt 0x0
	s_mul_u64 s[2:3], s[12:13], s[18:19]
	s_movk_i32 s55, 0x190
	s_lshl_b64 s[2:3], s[2:3], 4
	s_movk_i32 s56, 0x1a0
	s_movk_i32 s57, 0x1b0
	;; [unrolled: 1-line block ×15, first 2 shown]
	s_wait_kmcnt 0x0
	v_add3_u32 v28, s11, s11, v1
	s_ashr_i32 s5, s10, 31
	s_mov_b32 s4, s10
	s_add_nc_u64 s[2:3], s[8:9], s[2:3]
	s_lshl_b64 s[4:5], s[4:5], 4
	v_dual_add_nc_u32 v30, s11, v28 :: v_dual_lshlrev_b32 v14, 4, v1
	s_add_nc_u64 s[4:5], s[2:3], s[4:5]
	s_ashr_i32 s3, s11, 31
	s_mov_b32 s2, s11
	s_delay_alu instid0(VALU_DEP_1)
	v_dual_mov_b32 v15, 0 :: v_dual_add_nc_u32 v32, s11, v30
	s_clause 0x1
	global_load_b128 v[2:5], v28, s[4:5] scale_offset
	global_load_b128 v[6:9], v30, s[4:5] scale_offset
	s_mov_b32 s41, 16
	s_mov_b32 s36, 32
	v_add_nc_u32_e32 v34, s11, v32
	v_add_nc_u64_e32 v[24:25], s[4:5], v[14:15]
	global_load_b128 v[10:13], v32, s[4:5] scale_offset
	s_mov_b32 s39, 48
	s_mov_b32 s40, 64
	v_add_nc_u32_e32 v36, s11, v34
	s_movk_i32 s44, 0x50
	s_movk_i32 s46, 0x60
	v_lshl_add_u64 v[26:27], s[2:3], 4, v[24:25]
	s_movk_i32 s49, 0x70
	v_add_nc_u32_e32 v38, s11, v36
	s_clause 0x1
	global_load_b128 v[16:19], v1, s[4:5] scale_offset
	global_load_b128 v[20:23], v[26:27], off
	s_movk_i32 s42, 0x80
	s_movk_i32 s43, 0x90
	v_add_nc_u32_e32 v40, s11, v38
	s_movk_i32 s45, 0xa0
	s_movk_i32 s48, 0xb0
	;; [unrolled: 1-line block ×4, first 2 shown]
	v_add_nc_u32_e32 v42, s11, v40
	s_clause 0x1
	global_load_b128 v[100:103], v34, s[4:5] scale_offset
	global_load_b128 v[104:107], v36, s[4:5] scale_offset
	s_movk_i32 s52, 0xe0
	s_movk_i32 s47, 0xf0
	;; [unrolled: 1-line block ×3, first 2 shown]
	v_add_nc_u32_e32 v44, s11, v42
	s_clause 0x2
	global_load_b128 v[108:111], v38, s[4:5] scale_offset
	global_load_b128 v[112:115], v40, s[4:5] scale_offset
	;; [unrolled: 1-line block ×3, first 2 shown]
	s_movk_i32 s28, 0x110
	s_movk_i32 s33, 0x120
	;; [unrolled: 1-line block ×3, first 2 shown]
	v_add_nc_u32_e32 v46, s11, v44
	s_movk_i32 s37, 0x140
	s_movk_i32 s29, 0x150
	;; [unrolled: 1-line block ×4, first 2 shown]
	v_add_nc_u32_e32 v48, s11, v46
	s_movk_i32 s38, 0x180
	s_mov_b32 s27, s55
	s_mov_b32 s30, s56
	;; [unrolled: 1-line block ×3, first 2 shown]
	v_add_nc_u32_e32 v50, s11, v48
	s_mov_b32 s24, s58
	s_mov_b32 s15, s59
	;; [unrolled: 1-line block ×4, first 2 shown]
	v_add_nc_u32_e32 v52, s11, v50
	s_clause 0x1
	global_load_b128 v[120:123], v44, s[4:5] scale_offset
	global_load_b128 v[124:127], v46, s[4:5] scale_offset
	s_mov_b32 s14, s62
	s_mov_b32 s12, s64
	;; [unrolled: 1-line block ×3, first 2 shown]
	v_add_nc_u32_e32 v54, s11, v52
	s_mov_b32 s10, s66
	s_mov_b32 s8, s67
	;; [unrolled: 1-line block ×4, first 2 shown]
	v_add_nc_u32_e32 v56, s11, v54
	s_clause 0x3
	global_load_b128 v[128:131], v48, s[4:5] scale_offset
	global_load_b128 v[132:135], v50, s[4:5] scale_offset
	global_load_b128 v[136:139], v52, s[4:5] scale_offset
	global_load_b128 v[140:143], v54, s[4:5] scale_offset
	s_mov_b32 s22, s70
	s_bitcmp0_b32 s54, 0
	v_add_nc_u32_e32 v58, s11, v56
	s_mov_b32 s3, -1
	s_delay_alu instid0(VALU_DEP_1) | instskip(NEXT) | instid1(VALU_DEP_1)
	v_add_nc_u32_e32 v60, s11, v58
	v_add_nc_u32_e32 v62, s11, v60
	s_delay_alu instid0(VALU_DEP_1) | instskip(NEXT) | instid1(VALU_DEP_1)
	v_add_nc_u32_e32 v64, s11, v62
	v_add_nc_u32_e32 v66, s11, v64
	s_delay_alu instid0(VALU_DEP_1)
	v_add_nc_u32_e32 v68, s11, v66
	s_clause 0x3
	global_load_b128 v[144:147], v56, s[4:5] scale_offset
	global_load_b128 v[148:151], v58, s[4:5] scale_offset
	;; [unrolled: 1-line block ×4, first 2 shown]
	v_add_nc_u32_e32 v70, s11, v68
	s_delay_alu instid0(VALU_DEP_1) | instskip(NEXT) | instid1(VALU_DEP_1)
	v_add_nc_u32_e32 v72, s11, v70
	v_add_nc_u32_e32 v74, s11, v72
	s_delay_alu instid0(VALU_DEP_1)
	v_add_nc_u32_e32 v76, s11, v74
	s_clause 0x3
	global_load_b128 v[160:163], v64, s[4:5] scale_offset
	global_load_b128 v[164:167], v66, s[4:5] scale_offset
	;; [unrolled: 1-line block ×4, first 2 shown]
	v_add_nc_u32_e32 v78, s11, v76
	s_delay_alu instid0(VALU_DEP_1)
	v_add_nc_u32_e32 v80, s11, v78
	s_clause 0x3
	global_load_b128 v[176:179], v72, s[4:5] scale_offset
	global_load_b128 v[180:183], v74, s[4:5] scale_offset
	;; [unrolled: 1-line block ×4, first 2 shown]
	s_wait_loadcnt 0x1b
	scratch_store_b128 off, v[2:5], off offset:32
	s_wait_loadcnt 0x1a
	scratch_store_b128 off, v[6:9], off offset:48
	v_add_nc_u32_e32 v82, s11, v80
	s_delay_alu instid0(VALU_DEP_1) | instskip(NEXT) | instid1(VALU_DEP_1)
	v_add_nc_u32_e32 v84, s11, v82
	v_add_nc_u32_e32 v86, s11, v84
	s_delay_alu instid0(VALU_DEP_1)
	v_add_nc_u32_e32 v88, s11, v86
	s_clause 0x1
	global_load_b128 v[2:5], v80, s[4:5] scale_offset
	global_load_b128 v[6:9], v82, s[4:5] scale_offset
	s_wait_loadcnt 0x1b
	scratch_store_b128 off, v[10:13], off offset:64
	s_wait_loadcnt 0x1a
	scratch_store_b128 off, v[16:19], off
	s_wait_loadcnt 0x19
	scratch_store_b128 off, v[20:23], off offset:16
	v_add_nc_u32_e32 v90, s11, v88
	s_delay_alu instid0(VALU_DEP_1)
	v_add_nc_u32_e32 v92, s11, v90
	s_clause 0x1
	global_load_b128 v[10:13], v84, s[4:5] scale_offset
	global_load_b128 v[16:19], v86, s[4:5] scale_offset
	s_wait_loadcnt 0x1a
	scratch_store_b128 off, v[100:103], off offset:80
	s_wait_loadcnt 0x19
	scratch_store_b128 off, v[104:107], off offset:96
	s_clause 0x1
	global_load_b128 v[20:23], v88, s[4:5] scale_offset
	global_load_b128 v[192:195], v90, s[4:5] scale_offset
	s_wait_loadcnt 0x1a
	scratch_store_b128 off, v[108:111], off offset:112
	v_add_nc_u32_e32 v94, s11, v92
	s_wait_loadcnt 0x19
	scratch_store_b128 off, v[112:115], off offset:128
	s_wait_loadcnt 0x18
	scratch_store_b128 off, v[116:119], off offset:144
	v_add_nc_u32_e32 v96, s11, v94
	s_delay_alu instid0(VALU_DEP_1) | instskip(SKIP_1) | instid1(VALU_DEP_1)
	v_add_nc_u32_e32 v98, s11, v96
	s_wait_xcnt 0x6
	v_add_nc_u32_e32 v100, s11, v98
	s_clause 0x1
	global_load_b128 v[106:109], v92, s[4:5] scale_offset
	global_load_b128 v[110:113], v94, s[4:5] scale_offset
	s_wait_loadcnt 0x19
	scratch_store_b128 off, v[120:123], off offset:160
	s_wait_loadcnt 0x18
	scratch_store_b128 off, v[124:127], off offset:176
	v_add_nc_u32_e32 v102, s11, v100
	s_delay_alu instid0(VALU_DEP_1)
	v_add_nc_u32_e32 v104, s11, v102
	s_clause 0x1
	global_load_b128 v[114:117], v96, s[4:5] scale_offset
	global_load_b128 v[118:121], v98, s[4:5] scale_offset
	s_wait_loadcnt 0x19
	scratch_store_b128 off, v[128:131], off offset:192
	s_wait_loadcnt 0x18
	scratch_store_b128 off, v[132:135], off offset:208
	s_clause 0x2
	global_load_b128 v[122:125], v100, s[4:5] scale_offset
	global_load_b128 v[126:129], v102, s[4:5] scale_offset
	;; [unrolled: 1-line block ×3, first 2 shown]
	s_mov_b32 s11, s63
	s_wait_loadcnt 0x1a
	scratch_store_b128 off, v[136:139], off offset:224
	s_wait_loadcnt 0x19
	scratch_store_b128 off, v[140:143], off offset:240
	;; [unrolled: 2-line block ×27, first 2 shown]
	s_cbranch_scc1 .LBB40_176
; %bb.4:
	v_cmp_eq_u32_e64 s2, 0, v1
	s_wait_xcnt 0x0
	s_and_saveexec_b32 s3, s2
; %bb.5:
	v_mov_b32_e32 v2, 0
	ds_store_b32 v2, v2 offset:1312
; %bb.6:
	s_or_b32 exec_lo, exec_lo, s3
	s_wait_storecnt_dscnt 0x0
	s_barrier_signal -1
	s_barrier_wait -1
	scratch_load_b128 v[2:5], v1, off scale_offset
	s_wait_loadcnt 0x0
	v_cmp_eq_f64_e32 vcc_lo, 0, v[2:3]
	v_cmp_eq_f64_e64 s3, 0, v[4:5]
	s_and_b32 s3, vcc_lo, s3
	s_delay_alu instid0(SALU_CYCLE_1)
	s_and_saveexec_b32 s54, s3
	s_cbranch_execz .LBB40_10
; %bb.7:
	v_mov_b32_e32 v2, 0
	s_mov_b32 s55, 0
	ds_load_b32 v3, v2 offset:1312
	s_wait_dscnt 0x0
	v_readfirstlane_b32 s3, v3
	v_add_nc_u32_e32 v3, 1, v1
	s_cmp_eq_u32 s3, 0
	s_delay_alu instid0(VALU_DEP_1) | instskip(SKIP_1) | instid1(SALU_CYCLE_1)
	v_cmp_gt_i32_e32 vcc_lo, s3, v3
	s_cselect_b32 s56, -1, 0
	s_or_b32 s56, s56, vcc_lo
	s_delay_alu instid0(SALU_CYCLE_1)
	s_and_b32 exec_lo, exec_lo, s56
	s_cbranch_execz .LBB40_10
; %bb.8:
	v_mov_b32_e32 v4, s3
.LBB40_9:                               ; =>This Inner Loop Header: Depth=1
	ds_cmpstore_rtn_b32 v4, v2, v3, v4 offset:1312
	s_wait_dscnt 0x0
	v_cmp_ne_u32_e32 vcc_lo, 0, v4
	v_cmp_le_i32_e64 s3, v4, v3
	s_and_b32 s3, vcc_lo, s3
	s_delay_alu instid0(SALU_CYCLE_1) | instskip(NEXT) | instid1(SALU_CYCLE_1)
	s_and_b32 s3, exec_lo, s3
	s_or_b32 s55, s3, s55
	s_delay_alu instid0(SALU_CYCLE_1)
	s_and_not1_b32 exec_lo, exec_lo, s55
	s_cbranch_execnz .LBB40_9
.LBB40_10:
	s_or_b32 exec_lo, exec_lo, s54
	v_mov_b32_e32 v2, 0
	s_barrier_signal -1
	s_barrier_wait -1
	ds_load_b32 v3, v2 offset:1312
	s_and_saveexec_b32 s3, s2
	s_cbranch_execz .LBB40_12
; %bb.11:
	s_lshl_b64 s[54:55], s[18:19], 2
	s_delay_alu instid0(SALU_CYCLE_1)
	s_add_nc_u64 s[54:55], s[6:7], s[54:55]
	s_wait_dscnt 0x0
	global_store_b32 v2, v3, s[54:55]
.LBB40_12:
	s_wait_xcnt 0x0
	s_or_b32 exec_lo, exec_lo, s3
	s_wait_dscnt 0x0
	v_cmp_ne_u32_e32 vcc_lo, 0, v3
	s_mov_b32 s3, 0
	s_cbranch_vccnz .LBB40_176
; %bb.13:
	v_lshl_add_u32 v15, v1, 4, 0
                                        ; implicit-def: $vgpr6_vgpr7
                                        ; implicit-def: $vgpr10_vgpr11
	scratch_load_b128 v[2:5], v15, off
	s_wait_loadcnt 0x0
	v_cmp_ngt_f64_e64 s3, |v[2:3]|, |v[4:5]|
	s_wait_xcnt 0x0
	s_and_saveexec_b32 s54, s3
	s_delay_alu instid0(SALU_CYCLE_1)
	s_xor_b32 s3, exec_lo, s54
	s_cbranch_execz .LBB40_15
; %bb.14:
	v_div_scale_f64 v[6:7], null, v[4:5], v[4:5], v[2:3]
	v_div_scale_f64 v[12:13], vcc_lo, v[2:3], v[4:5], v[2:3]
	s_delay_alu instid0(VALU_DEP_2) | instskip(SKIP_1) | instid1(TRANS32_DEP_1)
	v_rcp_f64_e32 v[8:9], v[6:7]
	v_nop
	v_fma_f64 v[10:11], -v[6:7], v[8:9], 1.0
	s_delay_alu instid0(VALU_DEP_1) | instskip(NEXT) | instid1(VALU_DEP_1)
	v_fmac_f64_e32 v[8:9], v[8:9], v[10:11]
	v_fma_f64 v[10:11], -v[6:7], v[8:9], 1.0
	s_delay_alu instid0(VALU_DEP_1) | instskip(NEXT) | instid1(VALU_DEP_1)
	v_fmac_f64_e32 v[8:9], v[8:9], v[10:11]
	v_mul_f64_e32 v[10:11], v[12:13], v[8:9]
	s_delay_alu instid0(VALU_DEP_1) | instskip(NEXT) | instid1(VALU_DEP_1)
	v_fma_f64 v[6:7], -v[6:7], v[10:11], v[12:13]
	v_div_fmas_f64 v[6:7], v[6:7], v[8:9], v[10:11]
	s_delay_alu instid0(VALU_DEP_1) | instskip(NEXT) | instid1(VALU_DEP_1)
	v_div_fixup_f64 v[6:7], v[6:7], v[4:5], v[2:3]
	v_fmac_f64_e32 v[4:5], v[2:3], v[6:7]
	s_delay_alu instid0(VALU_DEP_1) | instskip(SKIP_1) | instid1(VALU_DEP_2)
	v_div_scale_f64 v[2:3], null, v[4:5], v[4:5], 1.0
	v_div_scale_f64 v[12:13], vcc_lo, 1.0, v[4:5], 1.0
	v_rcp_f64_e32 v[8:9], v[2:3]
	v_nop
	s_delay_alu instid0(TRANS32_DEP_1) | instskip(NEXT) | instid1(VALU_DEP_1)
	v_fma_f64 v[10:11], -v[2:3], v[8:9], 1.0
	v_fmac_f64_e32 v[8:9], v[8:9], v[10:11]
	s_delay_alu instid0(VALU_DEP_1) | instskip(NEXT) | instid1(VALU_DEP_1)
	v_fma_f64 v[10:11], -v[2:3], v[8:9], 1.0
	v_fmac_f64_e32 v[8:9], v[8:9], v[10:11]
	s_delay_alu instid0(VALU_DEP_1) | instskip(NEXT) | instid1(VALU_DEP_1)
	v_mul_f64_e32 v[10:11], v[12:13], v[8:9]
	v_fma_f64 v[2:3], -v[2:3], v[10:11], v[12:13]
	s_delay_alu instid0(VALU_DEP_1) | instskip(NEXT) | instid1(VALU_DEP_1)
	v_div_fmas_f64 v[2:3], v[2:3], v[8:9], v[10:11]
	v_div_fixup_f64 v[8:9], v[2:3], v[4:5], 1.0
                                        ; implicit-def: $vgpr2_vgpr3
	s_delay_alu instid0(VALU_DEP_1) | instskip(SKIP_1) | instid1(VALU_DEP_2)
	v_mul_f64_e32 v[6:7], v[6:7], v[8:9]
	v_xor_b32_e32 v9, 0x80000000, v9
	v_xor_b32_e32 v11, 0x80000000, v7
	s_delay_alu instid0(VALU_DEP_3)
	v_mov_b32_e32 v10, v6
.LBB40_15:
	s_and_not1_saveexec_b32 s3, s3
	s_cbranch_execz .LBB40_17
; %bb.16:
	v_div_scale_f64 v[6:7], null, v[2:3], v[2:3], v[4:5]
	v_div_scale_f64 v[12:13], vcc_lo, v[4:5], v[2:3], v[4:5]
	s_delay_alu instid0(VALU_DEP_2) | instskip(SKIP_1) | instid1(TRANS32_DEP_1)
	v_rcp_f64_e32 v[8:9], v[6:7]
	v_nop
	v_fma_f64 v[10:11], -v[6:7], v[8:9], 1.0
	s_delay_alu instid0(VALU_DEP_1) | instskip(NEXT) | instid1(VALU_DEP_1)
	v_fmac_f64_e32 v[8:9], v[8:9], v[10:11]
	v_fma_f64 v[10:11], -v[6:7], v[8:9], 1.0
	s_delay_alu instid0(VALU_DEP_1) | instskip(NEXT) | instid1(VALU_DEP_1)
	v_fmac_f64_e32 v[8:9], v[8:9], v[10:11]
	v_mul_f64_e32 v[10:11], v[12:13], v[8:9]
	s_delay_alu instid0(VALU_DEP_1) | instskip(NEXT) | instid1(VALU_DEP_1)
	v_fma_f64 v[6:7], -v[6:7], v[10:11], v[12:13]
	v_div_fmas_f64 v[6:7], v[6:7], v[8:9], v[10:11]
	s_delay_alu instid0(VALU_DEP_1) | instskip(NEXT) | instid1(VALU_DEP_1)
	v_div_fixup_f64 v[8:9], v[6:7], v[2:3], v[4:5]
	v_fmac_f64_e32 v[2:3], v[4:5], v[8:9]
	s_delay_alu instid0(VALU_DEP_1) | instskip(NEXT) | instid1(VALU_DEP_1)
	v_div_scale_f64 v[4:5], null, v[2:3], v[2:3], 1.0
	v_rcp_f64_e32 v[6:7], v[4:5]
	v_nop
	s_delay_alu instid0(TRANS32_DEP_1) | instskip(NEXT) | instid1(VALU_DEP_1)
	v_fma_f64 v[10:11], -v[4:5], v[6:7], 1.0
	v_fmac_f64_e32 v[6:7], v[6:7], v[10:11]
	s_delay_alu instid0(VALU_DEP_1) | instskip(NEXT) | instid1(VALU_DEP_1)
	v_fma_f64 v[10:11], -v[4:5], v[6:7], 1.0
	v_fmac_f64_e32 v[6:7], v[6:7], v[10:11]
	v_div_scale_f64 v[10:11], vcc_lo, 1.0, v[2:3], 1.0
	s_delay_alu instid0(VALU_DEP_1) | instskip(NEXT) | instid1(VALU_DEP_1)
	v_mul_f64_e32 v[12:13], v[10:11], v[6:7]
	v_fma_f64 v[4:5], -v[4:5], v[12:13], v[10:11]
	s_delay_alu instid0(VALU_DEP_1) | instskip(NEXT) | instid1(VALU_DEP_1)
	v_div_fmas_f64 v[4:5], v[4:5], v[6:7], v[12:13]
	v_div_fixup_f64 v[6:7], v[4:5], v[2:3], 1.0
	s_delay_alu instid0(VALU_DEP_1)
	v_mul_f64_e64 v[8:9], v[8:9], -v[6:7]
	v_xor_b32_e32 v11, 0x80000000, v7
	v_mov_b32_e32 v10, v6
.LBB40_17:
	s_or_b32 exec_lo, exec_lo, s3
	s_clause 0x1
	scratch_store_b128 v15, v[6:9], off
	scratch_load_b128 v[2:5], off, s41
	v_xor_b32_e32 v13, 0x80000000, v9
	v_mov_b32_e32 v12, v8
	s_wait_xcnt 0x1
	v_add_nc_u32_e32 v6, 0x290, v14
	ds_store_b128 v14, v[10:13]
	s_wait_loadcnt 0x0
	ds_store_b128 v14, v[2:5] offset:656
	s_wait_storecnt_dscnt 0x0
	s_barrier_signal -1
	s_barrier_wait -1
	s_wait_xcnt 0x0
	s_and_saveexec_b32 s3, s2
	s_cbranch_execz .LBB40_19
; %bb.18:
	scratch_load_b128 v[2:5], v15, off
	ds_load_b128 v[8:11], v6
	v_mov_b32_e32 v7, 0
	ds_load_b128 v[16:19], v7 offset:16
	s_wait_loadcnt_dscnt 0x1
	v_mul_f64_e32 v[12:13], v[8:9], v[4:5]
	v_mul_f64_e32 v[4:5], v[10:11], v[4:5]
	s_delay_alu instid0(VALU_DEP_2) | instskip(NEXT) | instid1(VALU_DEP_2)
	v_fmac_f64_e32 v[12:13], v[10:11], v[2:3]
	v_fma_f64 v[2:3], v[8:9], v[2:3], -v[4:5]
	s_delay_alu instid0(VALU_DEP_2) | instskip(NEXT) | instid1(VALU_DEP_2)
	v_add_f64_e32 v[8:9], 0, v[12:13]
	v_add_f64_e32 v[2:3], 0, v[2:3]
	s_wait_dscnt 0x0
	s_delay_alu instid0(VALU_DEP_2) | instskip(NEXT) | instid1(VALU_DEP_2)
	v_mul_f64_e32 v[10:11], v[8:9], v[18:19]
	v_mul_f64_e32 v[4:5], v[2:3], v[18:19]
	s_delay_alu instid0(VALU_DEP_2) | instskip(NEXT) | instid1(VALU_DEP_2)
	v_fma_f64 v[2:3], v[2:3], v[16:17], -v[10:11]
	v_fmac_f64_e32 v[4:5], v[8:9], v[16:17]
	scratch_store_b128 off, v[2:5], off offset:16
.LBB40_19:
	s_wait_xcnt 0x0
	s_or_b32 exec_lo, exec_lo, s3
	s_wait_storecnt 0x0
	s_barrier_signal -1
	s_barrier_wait -1
	scratch_load_b128 v[2:5], off, s36
	s_mov_b32 s3, exec_lo
	s_wait_loadcnt 0x0
	ds_store_b128 v6, v[2:5]
	s_wait_dscnt 0x0
	s_barrier_signal -1
	s_barrier_wait -1
	v_cmpx_gt_u32_e32 2, v1
	s_cbranch_execz .LBB40_23
; %bb.20:
	scratch_load_b128 v[2:5], v15, off
	ds_load_b128 v[8:11], v6
	s_wait_loadcnt_dscnt 0x0
	v_mul_f64_e32 v[12:13], v[10:11], v[4:5]
	v_mul_f64_e32 v[16:17], v[8:9], v[4:5]
	s_delay_alu instid0(VALU_DEP_2) | instskip(NEXT) | instid1(VALU_DEP_2)
	v_fma_f64 v[4:5], v[8:9], v[2:3], -v[12:13]
	v_fmac_f64_e32 v[16:17], v[10:11], v[2:3]
	s_delay_alu instid0(VALU_DEP_2) | instskip(NEXT) | instid1(VALU_DEP_2)
	v_add_f64_e32 v[4:5], 0, v[4:5]
	v_add_f64_e32 v[2:3], 0, v[16:17]
	s_and_saveexec_b32 s54, s2
	s_cbranch_execz .LBB40_22
; %bb.21:
	scratch_load_b128 v[8:11], off, off offset:16
	v_mov_b32_e32 v7, 0
	ds_load_b128 v[16:19], v7 offset:672
	s_wait_loadcnt_dscnt 0x0
	v_mul_f64_e32 v[12:13], v[16:17], v[10:11]
	v_mul_f64_e32 v[10:11], v[18:19], v[10:11]
	s_delay_alu instid0(VALU_DEP_2) | instskip(NEXT) | instid1(VALU_DEP_2)
	v_fmac_f64_e32 v[12:13], v[18:19], v[8:9]
	v_fma_f64 v[8:9], v[16:17], v[8:9], -v[10:11]
	s_delay_alu instid0(VALU_DEP_2) | instskip(NEXT) | instid1(VALU_DEP_2)
	v_add_f64_e32 v[2:3], v[2:3], v[12:13]
	v_add_f64_e32 v[4:5], v[4:5], v[8:9]
.LBB40_22:
	s_or_b32 exec_lo, exec_lo, s54
	v_mov_b32_e32 v7, 0
	ds_load_b128 v[8:11], v7 offset:32
	s_wait_dscnt 0x0
	v_mul_f64_e32 v[16:17], v[2:3], v[10:11]
	v_mul_f64_e32 v[12:13], v[4:5], v[10:11]
	s_delay_alu instid0(VALU_DEP_2) | instskip(NEXT) | instid1(VALU_DEP_2)
	v_fma_f64 v[10:11], v[4:5], v[8:9], -v[16:17]
	v_fmac_f64_e32 v[12:13], v[2:3], v[8:9]
	scratch_store_b128 off, v[10:13], off offset:32
.LBB40_23:
	s_wait_xcnt 0x0
	s_or_b32 exec_lo, exec_lo, s3
	s_wait_storecnt 0x0
	s_barrier_signal -1
	s_barrier_wait -1
	scratch_load_b128 v[2:5], off, s39
	v_add_nc_u32_e32 v7, -1, v1
	s_mov_b32 s2, exec_lo
	s_wait_loadcnt 0x0
	ds_store_b128 v6, v[2:5]
	s_wait_dscnt 0x0
	s_barrier_signal -1
	s_barrier_wait -1
	v_cmpx_gt_u32_e32 3, v1
	s_cbranch_execz .LBB40_27
; %bb.24:
	v_dual_mov_b32 v10, v14 :: v_dual_add_nc_u32 v8, -1, v1
	v_mov_b64_e32 v[2:3], 0
	v_mov_b64_e32 v[4:5], 0
	v_add_nc_u32_e32 v9, 0x290, v14
	s_delay_alu instid0(VALU_DEP_4)
	v_or_b32_e32 v10, 8, v10
	s_mov_b32 s3, 0
.LBB40_25:                              ; =>This Inner Loop Header: Depth=1
	scratch_load_b128 v[16:19], v10, off offset:-8
	ds_load_b128 v[20:23], v9
	v_dual_add_nc_u32 v8, 1, v8 :: v_dual_add_nc_u32 v9, 16, v9
	s_wait_xcnt 0x0
	v_add_nc_u32_e32 v10, 16, v10
	s_delay_alu instid0(VALU_DEP_2) | instskip(SKIP_4) | instid1(VALU_DEP_2)
	v_cmp_lt_u32_e32 vcc_lo, 1, v8
	s_or_b32 s3, vcc_lo, s3
	s_wait_loadcnt_dscnt 0x0
	v_mul_f64_e32 v[12:13], v[22:23], v[18:19]
	v_mul_f64_e32 v[18:19], v[20:21], v[18:19]
	v_fma_f64 v[12:13], v[20:21], v[16:17], -v[12:13]
	s_delay_alu instid0(VALU_DEP_2) | instskip(NEXT) | instid1(VALU_DEP_2)
	v_fmac_f64_e32 v[18:19], v[22:23], v[16:17]
	v_add_f64_e32 v[4:5], v[4:5], v[12:13]
	s_delay_alu instid0(VALU_DEP_2)
	v_add_f64_e32 v[2:3], v[2:3], v[18:19]
	s_and_not1_b32 exec_lo, exec_lo, s3
	s_cbranch_execnz .LBB40_25
; %bb.26:
	s_or_b32 exec_lo, exec_lo, s3
	v_mov_b32_e32 v8, 0
	ds_load_b128 v[8:11], v8 offset:48
	s_wait_dscnt 0x0
	v_mul_f64_e32 v[16:17], v[2:3], v[10:11]
	v_mul_f64_e32 v[12:13], v[4:5], v[10:11]
	s_delay_alu instid0(VALU_DEP_2) | instskip(NEXT) | instid1(VALU_DEP_2)
	v_fma_f64 v[10:11], v[4:5], v[8:9], -v[16:17]
	v_fmac_f64_e32 v[12:13], v[2:3], v[8:9]
	scratch_store_b128 off, v[10:13], off offset:48
.LBB40_27:
	s_wait_xcnt 0x0
	s_or_b32 exec_lo, exec_lo, s2
	s_wait_storecnt 0x0
	s_barrier_signal -1
	s_barrier_wait -1
	scratch_load_b128 v[2:5], off, s40
	s_mov_b32 s2, exec_lo
	s_wait_loadcnt 0x0
	ds_store_b128 v6, v[2:5]
	s_wait_dscnt 0x0
	s_barrier_signal -1
	s_barrier_wait -1
	v_cmpx_gt_u32_e32 4, v1
	s_cbranch_execz .LBB40_31
; %bb.28:
	v_dual_mov_b32 v10, v14 :: v_dual_add_nc_u32 v8, -1, v1
	v_mov_b64_e32 v[2:3], 0
	v_mov_b64_e32 v[4:5], 0
	v_add_nc_u32_e32 v9, 0x290, v14
	s_delay_alu instid0(VALU_DEP_4)
	v_or_b32_e32 v10, 8, v10
	s_mov_b32 s3, 0
.LBB40_29:                              ; =>This Inner Loop Header: Depth=1
	scratch_load_b128 v[16:19], v10, off offset:-8
	ds_load_b128 v[20:23], v9
	v_dual_add_nc_u32 v8, 1, v8 :: v_dual_add_nc_u32 v9, 16, v9
	s_wait_xcnt 0x0
	v_add_nc_u32_e32 v10, 16, v10
	s_delay_alu instid0(VALU_DEP_2) | instskip(SKIP_4) | instid1(VALU_DEP_2)
	v_cmp_lt_u32_e32 vcc_lo, 2, v8
	s_or_b32 s3, vcc_lo, s3
	s_wait_loadcnt_dscnt 0x0
	v_mul_f64_e32 v[12:13], v[22:23], v[18:19]
	v_mul_f64_e32 v[18:19], v[20:21], v[18:19]
	v_fma_f64 v[12:13], v[20:21], v[16:17], -v[12:13]
	s_delay_alu instid0(VALU_DEP_2) | instskip(NEXT) | instid1(VALU_DEP_2)
	v_fmac_f64_e32 v[18:19], v[22:23], v[16:17]
	v_add_f64_e32 v[4:5], v[4:5], v[12:13]
	s_delay_alu instid0(VALU_DEP_2)
	v_add_f64_e32 v[2:3], v[2:3], v[18:19]
	s_and_not1_b32 exec_lo, exec_lo, s3
	s_cbranch_execnz .LBB40_29
; %bb.30:
	s_or_b32 exec_lo, exec_lo, s3
	v_mov_b32_e32 v8, 0
	ds_load_b128 v[8:11], v8 offset:64
	s_wait_dscnt 0x0
	v_mul_f64_e32 v[16:17], v[2:3], v[10:11]
	v_mul_f64_e32 v[12:13], v[4:5], v[10:11]
	s_delay_alu instid0(VALU_DEP_2) | instskip(NEXT) | instid1(VALU_DEP_2)
	v_fma_f64 v[10:11], v[4:5], v[8:9], -v[16:17]
	v_fmac_f64_e32 v[12:13], v[2:3], v[8:9]
	scratch_store_b128 off, v[10:13], off offset:64
.LBB40_31:
	s_wait_xcnt 0x0
	s_or_b32 exec_lo, exec_lo, s2
	s_wait_storecnt 0x0
	s_barrier_signal -1
	s_barrier_wait -1
	scratch_load_b128 v[2:5], off, s44
	;; [unrolled: 54-line block ×19, first 2 shown]
	s_mov_b32 s2, exec_lo
	s_wait_loadcnt 0x0
	ds_store_b128 v6, v[2:5]
	s_wait_dscnt 0x0
	s_barrier_signal -1
	s_barrier_wait -1
	v_cmpx_gt_u32_e32 22, v1
	s_cbranch_execz .LBB40_103
; %bb.100:
	v_dual_mov_b32 v10, v14 :: v_dual_add_nc_u32 v8, -1, v1
	v_mov_b64_e32 v[2:3], 0
	v_mov_b64_e32 v[4:5], 0
	v_add_nc_u32_e32 v9, 0x290, v14
	s_delay_alu instid0(VALU_DEP_4)
	v_or_b32_e32 v10, 8, v10
	s_mov_b32 s3, 0
.LBB40_101:                             ; =>This Inner Loop Header: Depth=1
	scratch_load_b128 v[16:19], v10, off offset:-8
	ds_load_b128 v[20:23], v9
	v_dual_add_nc_u32 v8, 1, v8 :: v_dual_add_nc_u32 v9, 16, v9
	s_wait_xcnt 0x0
	v_add_nc_u32_e32 v10, 16, v10
	s_delay_alu instid0(VALU_DEP_2) | instskip(SKIP_4) | instid1(VALU_DEP_2)
	v_cmp_lt_u32_e32 vcc_lo, 20, v8
	s_or_b32 s3, vcc_lo, s3
	s_wait_loadcnt_dscnt 0x0
	v_mul_f64_e32 v[12:13], v[22:23], v[18:19]
	v_mul_f64_e32 v[18:19], v[20:21], v[18:19]
	v_fma_f64 v[12:13], v[20:21], v[16:17], -v[12:13]
	s_delay_alu instid0(VALU_DEP_2) | instskip(NEXT) | instid1(VALU_DEP_2)
	v_fmac_f64_e32 v[18:19], v[22:23], v[16:17]
	v_add_f64_e32 v[4:5], v[4:5], v[12:13]
	s_delay_alu instid0(VALU_DEP_2)
	v_add_f64_e32 v[2:3], v[2:3], v[18:19]
	s_and_not1_b32 exec_lo, exec_lo, s3
	s_cbranch_execnz .LBB40_101
; %bb.102:
	s_or_b32 exec_lo, exec_lo, s3
	v_mov_b32_e32 v8, 0
	ds_load_b128 v[8:11], v8 offset:352
	s_wait_dscnt 0x0
	v_mul_f64_e32 v[16:17], v[2:3], v[10:11]
	v_mul_f64_e32 v[12:13], v[4:5], v[10:11]
	s_delay_alu instid0(VALU_DEP_2) | instskip(NEXT) | instid1(VALU_DEP_2)
	v_fma_f64 v[10:11], v[4:5], v[8:9], -v[16:17]
	v_fmac_f64_e32 v[12:13], v[2:3], v[8:9]
	scratch_store_b128 off, v[10:13], off offset:352
.LBB40_103:
	s_wait_xcnt 0x0
	s_or_b32 exec_lo, exec_lo, s2
	s_wait_storecnt 0x0
	s_barrier_signal -1
	s_barrier_wait -1
	scratch_load_b128 v[2:5], off, s35
	s_mov_b32 s2, exec_lo
	s_wait_loadcnt 0x0
	ds_store_b128 v6, v[2:5]
	s_wait_dscnt 0x0
	s_barrier_signal -1
	s_barrier_wait -1
	v_cmpx_gt_u32_e32 23, v1
	s_cbranch_execz .LBB40_107
; %bb.104:
	v_dual_mov_b32 v10, v14 :: v_dual_add_nc_u32 v8, -1, v1
	v_mov_b64_e32 v[2:3], 0
	v_mov_b64_e32 v[4:5], 0
	v_add_nc_u32_e32 v9, 0x290, v14
	s_delay_alu instid0(VALU_DEP_4)
	v_or_b32_e32 v10, 8, v10
	s_mov_b32 s3, 0
.LBB40_105:                             ; =>This Inner Loop Header: Depth=1
	scratch_load_b128 v[16:19], v10, off offset:-8
	ds_load_b128 v[20:23], v9
	v_dual_add_nc_u32 v8, 1, v8 :: v_dual_add_nc_u32 v9, 16, v9
	s_wait_xcnt 0x0
	v_add_nc_u32_e32 v10, 16, v10
	s_delay_alu instid0(VALU_DEP_2) | instskip(SKIP_4) | instid1(VALU_DEP_2)
	v_cmp_lt_u32_e32 vcc_lo, 21, v8
	s_or_b32 s3, vcc_lo, s3
	s_wait_loadcnt_dscnt 0x0
	v_mul_f64_e32 v[12:13], v[22:23], v[18:19]
	v_mul_f64_e32 v[18:19], v[20:21], v[18:19]
	v_fma_f64 v[12:13], v[20:21], v[16:17], -v[12:13]
	s_delay_alu instid0(VALU_DEP_2) | instskip(NEXT) | instid1(VALU_DEP_2)
	v_fmac_f64_e32 v[18:19], v[22:23], v[16:17]
	v_add_f64_e32 v[4:5], v[4:5], v[12:13]
	s_delay_alu instid0(VALU_DEP_2)
	v_add_f64_e32 v[2:3], v[2:3], v[18:19]
	s_and_not1_b32 exec_lo, exec_lo, s3
	s_cbranch_execnz .LBB40_105
; %bb.106:
	s_or_b32 exec_lo, exec_lo, s3
	v_mov_b32_e32 v8, 0
	ds_load_b128 v[8:11], v8 offset:368
	s_wait_dscnt 0x0
	v_mul_f64_e32 v[16:17], v[2:3], v[10:11]
	v_mul_f64_e32 v[12:13], v[4:5], v[10:11]
	s_delay_alu instid0(VALU_DEP_2) | instskip(NEXT) | instid1(VALU_DEP_2)
	v_fma_f64 v[10:11], v[4:5], v[8:9], -v[16:17]
	v_fmac_f64_e32 v[12:13], v[2:3], v[8:9]
	scratch_store_b128 off, v[10:13], off offset:368
.LBB40_107:
	s_wait_xcnt 0x0
	s_or_b32 exec_lo, exec_lo, s2
	s_wait_storecnt 0x0
	s_barrier_signal -1
	s_barrier_wait -1
	scratch_load_b128 v[2:5], off, s38
	;; [unrolled: 54-line block ×18, first 2 shown]
	s_mov_b32 s2, exec_lo
	s_wait_loadcnt 0x0
	ds_store_b128 v6, v[2:5]
	s_wait_dscnt 0x0
	s_barrier_signal -1
	s_barrier_wait -1
	v_cmpx_ne_u32_e32 40, v1
	s_cbranch_execz .LBB40_175
; %bb.172:
	v_mov_b32_e32 v8, v14
	v_mov_b64_e32 v[2:3], 0
	v_mov_b64_e32 v[4:5], 0
	s_mov_b32 s3, 0
	s_delay_alu instid0(VALU_DEP_3)
	v_or_b32_e32 v8, 8, v8
.LBB40_173:                             ; =>This Inner Loop Header: Depth=1
	scratch_load_b128 v[10:13], v8, off offset:-8
	ds_load_b128 v[14:17], v6
	v_dual_add_nc_u32 v7, 1, v7 :: v_dual_add_nc_u32 v6, 16, v6
	s_wait_xcnt 0x0
	v_add_nc_u32_e32 v8, 16, v8
	s_delay_alu instid0(VALU_DEP_2) | instskip(SKIP_4) | instid1(VALU_DEP_2)
	v_cmp_lt_u32_e32 vcc_lo, 38, v7
	s_or_b32 s3, vcc_lo, s3
	s_wait_loadcnt_dscnt 0x0
	v_mul_f64_e32 v[18:19], v[16:17], v[12:13]
	v_mul_f64_e32 v[12:13], v[14:15], v[12:13]
	v_fma_f64 v[14:15], v[14:15], v[10:11], -v[18:19]
	s_delay_alu instid0(VALU_DEP_2) | instskip(NEXT) | instid1(VALU_DEP_2)
	v_fmac_f64_e32 v[12:13], v[16:17], v[10:11]
	v_add_f64_e32 v[4:5], v[4:5], v[14:15]
	s_delay_alu instid0(VALU_DEP_2)
	v_add_f64_e32 v[2:3], v[2:3], v[12:13]
	s_and_not1_b32 exec_lo, exec_lo, s3
	s_cbranch_execnz .LBB40_173
; %bb.174:
	s_or_b32 exec_lo, exec_lo, s3
	v_mov_b32_e32 v6, 0
	ds_load_b128 v[6:9], v6 offset:640
	s_wait_dscnt 0x0
	v_mul_f64_e32 v[12:13], v[2:3], v[8:9]
	v_mul_f64_e32 v[10:11], v[4:5], v[8:9]
	s_delay_alu instid0(VALU_DEP_2) | instskip(NEXT) | instid1(VALU_DEP_2)
	v_fma_f64 v[8:9], v[4:5], v[6:7], -v[12:13]
	v_fmac_f64_e32 v[10:11], v[2:3], v[6:7]
	scratch_store_b128 off, v[8:11], off offset:640
.LBB40_175:
	s_wait_xcnt 0x0
	s_or_b32 exec_lo, exec_lo, s2
	s_mov_b32 s3, -1
	s_wait_storecnt 0x0
	s_barrier_signal -1
	s_barrier_wait -1
.LBB40_176:
	s_and_b32 vcc_lo, exec_lo, s3
	s_cbranch_vccz .LBB40_178
; %bb.177:
	s_wait_xcnt 0xc
	v_mov_b32_e32 v2, 0
	s_lshl_b64 s[2:3], s[18:19], 2
	s_delay_alu instid0(SALU_CYCLE_1)
	s_add_nc_u64 s[2:3], s[6:7], s[2:3]
	global_load_b32 v2, v2, s[2:3]
	s_wait_loadcnt 0x0
	v_cmp_ne_u32_e32 vcc_lo, 0, v2
	s_cbranch_vccz .LBB40_179
.LBB40_178:
	s_sendmsg sendmsg(MSG_DEALLOC_VGPRS)
	s_endpgm
.LBB40_179:
	s_wait_xcnt 0x7
	v_lshl_add_u32 v106, v1, 4, 0x290
	s_wait_xcnt 0x0
	s_mov_b32 s2, exec_lo
	v_cmpx_eq_u32_e32 40, v1
	s_cbranch_execz .LBB40_181
; %bb.180:
	scratch_load_b128 v[2:5], off, s21
	v_mov_b32_e32 v6, 0
	s_delay_alu instid0(VALU_DEP_1)
	v_dual_mov_b32 v7, v6 :: v_dual_mov_b32 v8, v6
	v_mov_b32_e32 v9, v6
	scratch_store_b128 off, v[6:9], off offset:624
	s_wait_loadcnt 0x0
	ds_store_b128 v106, v[2:5]
.LBB40_181:
	s_wait_xcnt 0x0
	s_or_b32 exec_lo, exec_lo, s2
	s_wait_storecnt_dscnt 0x0
	s_barrier_signal -1
	s_barrier_wait -1
	s_clause 0x1
	scratch_load_b128 v[4:7], off, off offset:640
	scratch_load_b128 v[8:11], off, off offset:624
	v_mov_b32_e32 v2, 0
	s_mov_b32 s2, exec_lo
	ds_load_b128 v[12:15], v2 offset:1296
	s_wait_loadcnt_dscnt 0x100
	v_mul_f64_e32 v[16:17], v[14:15], v[6:7]
	v_mul_f64_e32 v[6:7], v[12:13], v[6:7]
	s_delay_alu instid0(VALU_DEP_2) | instskip(NEXT) | instid1(VALU_DEP_2)
	v_fma_f64 v[12:13], v[12:13], v[4:5], -v[16:17]
	v_fmac_f64_e32 v[6:7], v[14:15], v[4:5]
	s_delay_alu instid0(VALU_DEP_2) | instskip(NEXT) | instid1(VALU_DEP_2)
	v_add_f64_e32 v[4:5], 0, v[12:13]
	v_add_f64_e32 v[6:7], 0, v[6:7]
	s_wait_loadcnt 0x0
	s_delay_alu instid0(VALU_DEP_2) | instskip(NEXT) | instid1(VALU_DEP_2)
	v_add_f64_e64 v[4:5], v[8:9], -v[4:5]
	v_add_f64_e64 v[6:7], v[10:11], -v[6:7]
	scratch_store_b128 off, v[4:7], off offset:624
	s_wait_xcnt 0x0
	v_cmpx_lt_u32_e32 38, v1
	s_cbranch_execz .LBB40_183
; %bb.182:
	scratch_load_b128 v[6:9], off, s25
	v_dual_mov_b32 v3, v2 :: v_dual_mov_b32 v4, v2
	v_mov_b32_e32 v5, v2
	scratch_store_b128 off, v[2:5], off offset:608
	s_wait_loadcnt 0x0
	ds_store_b128 v106, v[6:9]
.LBB40_183:
	s_wait_xcnt 0x0
	s_or_b32 exec_lo, exec_lo, s2
	s_wait_storecnt_dscnt 0x0
	s_barrier_signal -1
	s_barrier_wait -1
	s_clause 0x2
	scratch_load_b128 v[4:7], off, off offset:624
	scratch_load_b128 v[8:11], off, off offset:640
	;; [unrolled: 1-line block ×3, first 2 shown]
	ds_load_b128 v[16:19], v2 offset:1280
	ds_load_b128 v[20:23], v2 offset:1296
	s_mov_b32 s2, exec_lo
	s_wait_loadcnt_dscnt 0x201
	v_mul_f64_e32 v[2:3], v[18:19], v[6:7]
	v_mul_f64_e32 v[6:7], v[16:17], v[6:7]
	s_wait_loadcnt_dscnt 0x100
	v_mul_f64_e32 v[108:109], v[20:21], v[10:11]
	v_mul_f64_e32 v[10:11], v[22:23], v[10:11]
	s_delay_alu instid0(VALU_DEP_4) | instskip(NEXT) | instid1(VALU_DEP_4)
	v_fma_f64 v[2:3], v[16:17], v[4:5], -v[2:3]
	v_fmac_f64_e32 v[6:7], v[18:19], v[4:5]
	s_delay_alu instid0(VALU_DEP_4) | instskip(NEXT) | instid1(VALU_DEP_4)
	v_fmac_f64_e32 v[108:109], v[22:23], v[8:9]
	v_fma_f64 v[4:5], v[20:21], v[8:9], -v[10:11]
	s_delay_alu instid0(VALU_DEP_4) | instskip(NEXT) | instid1(VALU_DEP_4)
	v_add_f64_e32 v[2:3], 0, v[2:3]
	v_add_f64_e32 v[6:7], 0, v[6:7]
	s_delay_alu instid0(VALU_DEP_2) | instskip(NEXT) | instid1(VALU_DEP_2)
	v_add_f64_e32 v[2:3], v[2:3], v[4:5]
	v_add_f64_e32 v[4:5], v[6:7], v[108:109]
	s_wait_loadcnt 0x0
	s_delay_alu instid0(VALU_DEP_2) | instskip(NEXT) | instid1(VALU_DEP_2)
	v_add_f64_e64 v[2:3], v[12:13], -v[2:3]
	v_add_f64_e64 v[4:5], v[14:15], -v[4:5]
	scratch_store_b128 off, v[2:5], off offset:608
	s_wait_xcnt 0x0
	v_cmpx_lt_u32_e32 37, v1
	s_cbranch_execz .LBB40_185
; %bb.184:
	scratch_load_b128 v[2:5], off, s8
	v_mov_b32_e32 v6, 0
	s_delay_alu instid0(VALU_DEP_1)
	v_dual_mov_b32 v7, v6 :: v_dual_mov_b32 v8, v6
	v_mov_b32_e32 v9, v6
	scratch_store_b128 off, v[6:9], off offset:592
	s_wait_loadcnt 0x0
	ds_store_b128 v106, v[2:5]
.LBB40_185:
	s_wait_xcnt 0x0
	s_or_b32 exec_lo, exec_lo, s2
	s_wait_storecnt_dscnt 0x0
	s_barrier_signal -1
	s_barrier_wait -1
	s_clause 0x3
	scratch_load_b128 v[4:7], off, off offset:608
	scratch_load_b128 v[8:11], off, off offset:624
	;; [unrolled: 1-line block ×4, first 2 shown]
	v_mov_b32_e32 v2, 0
	ds_load_b128 v[20:23], v2 offset:1264
	ds_load_b128 v[108:111], v2 offset:1280
	s_mov_b32 s2, exec_lo
	s_wait_loadcnt_dscnt 0x301
	v_mul_f64_e32 v[112:113], v[22:23], v[6:7]
	v_mul_f64_e32 v[114:115], v[20:21], v[6:7]
	s_wait_loadcnt_dscnt 0x200
	v_mul_f64_e32 v[116:117], v[108:109], v[10:11]
	v_mul_f64_e32 v[10:11], v[110:111], v[10:11]
	s_delay_alu instid0(VALU_DEP_4) | instskip(NEXT) | instid1(VALU_DEP_4)
	v_fma_f64 v[20:21], v[20:21], v[4:5], -v[112:113]
	v_fmac_f64_e32 v[114:115], v[22:23], v[4:5]
	ds_load_b128 v[4:7], v2 offset:1296
	v_fmac_f64_e32 v[116:117], v[110:111], v[8:9]
	v_fma_f64 v[8:9], v[108:109], v[8:9], -v[10:11]
	s_wait_loadcnt_dscnt 0x100
	v_mul_f64_e32 v[22:23], v[4:5], v[14:15]
	v_mul_f64_e32 v[14:15], v[6:7], v[14:15]
	v_add_f64_e32 v[10:11], 0, v[20:21]
	v_add_f64_e32 v[20:21], 0, v[114:115]
	s_delay_alu instid0(VALU_DEP_4) | instskip(NEXT) | instid1(VALU_DEP_4)
	v_fmac_f64_e32 v[22:23], v[6:7], v[12:13]
	v_fma_f64 v[4:5], v[4:5], v[12:13], -v[14:15]
	s_delay_alu instid0(VALU_DEP_4) | instskip(NEXT) | instid1(VALU_DEP_4)
	v_add_f64_e32 v[6:7], v[10:11], v[8:9]
	v_add_f64_e32 v[8:9], v[20:21], v[116:117]
	s_delay_alu instid0(VALU_DEP_2) | instskip(NEXT) | instid1(VALU_DEP_2)
	v_add_f64_e32 v[4:5], v[6:7], v[4:5]
	v_add_f64_e32 v[6:7], v[8:9], v[22:23]
	s_wait_loadcnt 0x0
	s_delay_alu instid0(VALU_DEP_2) | instskip(NEXT) | instid1(VALU_DEP_2)
	v_add_f64_e64 v[4:5], v[16:17], -v[4:5]
	v_add_f64_e64 v[6:7], v[18:19], -v[6:7]
	scratch_store_b128 off, v[4:7], off offset:592
	s_wait_xcnt 0x0
	v_cmpx_lt_u32_e32 36, v1
	s_cbranch_execz .LBB40_187
; %bb.186:
	scratch_load_b128 v[6:9], off, s10
	v_dual_mov_b32 v3, v2 :: v_dual_mov_b32 v4, v2
	v_mov_b32_e32 v5, v2
	scratch_store_b128 off, v[2:5], off offset:576
	s_wait_loadcnt 0x0
	ds_store_b128 v106, v[6:9]
.LBB40_187:
	s_wait_xcnt 0x0
	s_or_b32 exec_lo, exec_lo, s2
	s_wait_storecnt_dscnt 0x0
	s_barrier_signal -1
	s_barrier_wait -1
	s_clause 0x4
	scratch_load_b128 v[4:7], off, off offset:592
	scratch_load_b128 v[8:11], off, off offset:608
	;; [unrolled: 1-line block ×5, first 2 shown]
	ds_load_b128 v[108:111], v2 offset:1248
	ds_load_b128 v[112:115], v2 offset:1264
	s_mov_b32 s2, exec_lo
	s_wait_loadcnt_dscnt 0x401
	v_mul_f64_e32 v[116:117], v[110:111], v[6:7]
	v_mul_f64_e32 v[118:119], v[108:109], v[6:7]
	s_wait_loadcnt_dscnt 0x300
	v_mul_f64_e32 v[120:121], v[112:113], v[10:11]
	v_mul_f64_e32 v[10:11], v[114:115], v[10:11]
	s_delay_alu instid0(VALU_DEP_4) | instskip(NEXT) | instid1(VALU_DEP_4)
	v_fma_f64 v[116:117], v[108:109], v[4:5], -v[116:117]
	v_fmac_f64_e32 v[118:119], v[110:111], v[4:5]
	ds_load_b128 v[4:7], v2 offset:1280
	ds_load_b128 v[108:111], v2 offset:1296
	v_fmac_f64_e32 v[120:121], v[114:115], v[8:9]
	v_fma_f64 v[8:9], v[112:113], v[8:9], -v[10:11]
	s_wait_loadcnt_dscnt 0x201
	v_mul_f64_e32 v[2:3], v[4:5], v[14:15]
	v_mul_f64_e32 v[14:15], v[6:7], v[14:15]
	s_wait_loadcnt_dscnt 0x100
	v_mul_f64_e32 v[114:115], v[108:109], v[18:19]
	v_mul_f64_e32 v[18:19], v[110:111], v[18:19]
	v_add_f64_e32 v[10:11], 0, v[116:117]
	v_add_f64_e32 v[112:113], 0, v[118:119]
	v_fmac_f64_e32 v[2:3], v[6:7], v[12:13]
	v_fma_f64 v[4:5], v[4:5], v[12:13], -v[14:15]
	v_fmac_f64_e32 v[114:115], v[110:111], v[16:17]
	v_add_f64_e32 v[6:7], v[10:11], v[8:9]
	v_add_f64_e32 v[8:9], v[112:113], v[120:121]
	v_fma_f64 v[10:11], v[108:109], v[16:17], -v[18:19]
	s_delay_alu instid0(VALU_DEP_3) | instskip(NEXT) | instid1(VALU_DEP_3)
	v_add_f64_e32 v[4:5], v[6:7], v[4:5]
	v_add_f64_e32 v[2:3], v[8:9], v[2:3]
	s_delay_alu instid0(VALU_DEP_2) | instskip(NEXT) | instid1(VALU_DEP_2)
	v_add_f64_e32 v[4:5], v[4:5], v[10:11]
	v_add_f64_e32 v[6:7], v[2:3], v[114:115]
	s_wait_loadcnt 0x0
	s_delay_alu instid0(VALU_DEP_2) | instskip(NEXT) | instid1(VALU_DEP_2)
	v_add_f64_e64 v[2:3], v[20:21], -v[4:5]
	v_add_f64_e64 v[4:5], v[22:23], -v[6:7]
	scratch_store_b128 off, v[2:5], off offset:576
	s_wait_xcnt 0x0
	v_cmpx_lt_u32_e32 35, v1
	s_cbranch_execz .LBB40_189
; %bb.188:
	scratch_load_b128 v[2:5], off, s9
	v_mov_b32_e32 v6, 0
	s_delay_alu instid0(VALU_DEP_1)
	v_dual_mov_b32 v7, v6 :: v_dual_mov_b32 v8, v6
	v_mov_b32_e32 v9, v6
	scratch_store_b128 off, v[6:9], off offset:560
	s_wait_loadcnt 0x0
	ds_store_b128 v106, v[2:5]
.LBB40_189:
	s_wait_xcnt 0x0
	s_or_b32 exec_lo, exec_lo, s2
	s_wait_storecnt_dscnt 0x0
	s_barrier_signal -1
	s_barrier_wait -1
	s_clause 0x5
	scratch_load_b128 v[4:7], off, off offset:576
	scratch_load_b128 v[8:11], off, off offset:592
	;; [unrolled: 1-line block ×6, first 2 shown]
	v_mov_b32_e32 v2, 0
	ds_load_b128 v[112:115], v2 offset:1232
	ds_load_b128 v[116:119], v2 offset:1248
	s_mov_b32 s2, exec_lo
	s_wait_loadcnt_dscnt 0x501
	v_mul_f64_e32 v[120:121], v[114:115], v[6:7]
	v_mul_f64_e32 v[122:123], v[112:113], v[6:7]
	s_wait_loadcnt_dscnt 0x400
	v_mul_f64_e32 v[124:125], v[116:117], v[10:11]
	v_mul_f64_e32 v[10:11], v[118:119], v[10:11]
	s_delay_alu instid0(VALU_DEP_4) | instskip(NEXT) | instid1(VALU_DEP_4)
	v_fma_f64 v[120:121], v[112:113], v[4:5], -v[120:121]
	v_fmac_f64_e32 v[122:123], v[114:115], v[4:5]
	ds_load_b128 v[4:7], v2 offset:1264
	ds_load_b128 v[112:115], v2 offset:1280
	v_fmac_f64_e32 v[124:125], v[118:119], v[8:9]
	v_fma_f64 v[8:9], v[116:117], v[8:9], -v[10:11]
	s_wait_loadcnt_dscnt 0x301
	v_mul_f64_e32 v[126:127], v[4:5], v[14:15]
	v_mul_f64_e32 v[14:15], v[6:7], v[14:15]
	s_wait_loadcnt_dscnt 0x200
	v_mul_f64_e32 v[118:119], v[112:113], v[18:19]
	v_mul_f64_e32 v[18:19], v[114:115], v[18:19]
	v_add_f64_e32 v[10:11], 0, v[120:121]
	v_add_f64_e32 v[116:117], 0, v[122:123]
	v_fmac_f64_e32 v[126:127], v[6:7], v[12:13]
	v_fma_f64 v[12:13], v[4:5], v[12:13], -v[14:15]
	ds_load_b128 v[4:7], v2 offset:1296
	v_fmac_f64_e32 v[118:119], v[114:115], v[16:17]
	v_fma_f64 v[16:17], v[112:113], v[16:17], -v[18:19]
	v_add_f64_e32 v[8:9], v[10:11], v[8:9]
	v_add_f64_e32 v[10:11], v[116:117], v[124:125]
	s_wait_loadcnt_dscnt 0x100
	v_mul_f64_e32 v[14:15], v[4:5], v[22:23]
	v_mul_f64_e32 v[22:23], v[6:7], v[22:23]
	s_delay_alu instid0(VALU_DEP_4) | instskip(NEXT) | instid1(VALU_DEP_4)
	v_add_f64_e32 v[8:9], v[8:9], v[12:13]
	v_add_f64_e32 v[10:11], v[10:11], v[126:127]
	s_delay_alu instid0(VALU_DEP_4) | instskip(NEXT) | instid1(VALU_DEP_4)
	v_fmac_f64_e32 v[14:15], v[6:7], v[20:21]
	v_fma_f64 v[4:5], v[4:5], v[20:21], -v[22:23]
	s_delay_alu instid0(VALU_DEP_4) | instskip(NEXT) | instid1(VALU_DEP_4)
	v_add_f64_e32 v[6:7], v[8:9], v[16:17]
	v_add_f64_e32 v[8:9], v[10:11], v[118:119]
	s_delay_alu instid0(VALU_DEP_2) | instskip(NEXT) | instid1(VALU_DEP_2)
	v_add_f64_e32 v[4:5], v[6:7], v[4:5]
	v_add_f64_e32 v[6:7], v[8:9], v[14:15]
	s_wait_loadcnt 0x0
	s_delay_alu instid0(VALU_DEP_2) | instskip(NEXT) | instid1(VALU_DEP_2)
	v_add_f64_e64 v[4:5], v[108:109], -v[4:5]
	v_add_f64_e64 v[6:7], v[110:111], -v[6:7]
	scratch_store_b128 off, v[4:7], off offset:560
	s_wait_xcnt 0x0
	v_cmpx_lt_u32_e32 34, v1
	s_cbranch_execz .LBB40_191
; %bb.190:
	scratch_load_b128 v[6:9], off, s12
	v_dual_mov_b32 v3, v2 :: v_dual_mov_b32 v4, v2
	v_mov_b32_e32 v5, v2
	scratch_store_b128 off, v[2:5], off offset:544
	s_wait_loadcnt 0x0
	ds_store_b128 v106, v[6:9]
.LBB40_191:
	s_wait_xcnt 0x0
	s_or_b32 exec_lo, exec_lo, s2
	s_wait_storecnt_dscnt 0x0
	s_barrier_signal -1
	s_barrier_wait -1
	s_clause 0x6
	scratch_load_b128 v[4:7], off, off offset:560
	scratch_load_b128 v[8:11], off, off offset:576
	;; [unrolled: 1-line block ×7, first 2 shown]
	ds_load_b128 v[116:119], v2 offset:1216
	ds_load_b128 v[120:123], v2 offset:1232
	s_mov_b32 s2, exec_lo
	s_wait_loadcnt_dscnt 0x601
	v_mul_f64_e32 v[124:125], v[118:119], v[6:7]
	v_mul_f64_e32 v[126:127], v[116:117], v[6:7]
	s_wait_loadcnt_dscnt 0x500
	v_mul_f64_e32 v[128:129], v[120:121], v[10:11]
	v_mul_f64_e32 v[10:11], v[122:123], v[10:11]
	s_delay_alu instid0(VALU_DEP_4) | instskip(NEXT) | instid1(VALU_DEP_4)
	v_fma_f64 v[124:125], v[116:117], v[4:5], -v[124:125]
	v_fmac_f64_e32 v[126:127], v[118:119], v[4:5]
	ds_load_b128 v[4:7], v2 offset:1248
	ds_load_b128 v[116:119], v2 offset:1264
	v_fmac_f64_e32 v[128:129], v[122:123], v[8:9]
	v_fma_f64 v[8:9], v[120:121], v[8:9], -v[10:11]
	s_wait_loadcnt_dscnt 0x401
	v_mul_f64_e32 v[130:131], v[4:5], v[14:15]
	v_mul_f64_e32 v[14:15], v[6:7], v[14:15]
	s_wait_loadcnt_dscnt 0x300
	v_mul_f64_e32 v[122:123], v[116:117], v[18:19]
	v_mul_f64_e32 v[18:19], v[118:119], v[18:19]
	v_add_f64_e32 v[10:11], 0, v[124:125]
	v_add_f64_e32 v[120:121], 0, v[126:127]
	v_fmac_f64_e32 v[130:131], v[6:7], v[12:13]
	v_fma_f64 v[12:13], v[4:5], v[12:13], -v[14:15]
	v_fmac_f64_e32 v[122:123], v[118:119], v[16:17]
	v_fma_f64 v[16:17], v[116:117], v[16:17], -v[18:19]
	v_add_f64_e32 v[14:15], v[10:11], v[8:9]
	v_add_f64_e32 v[120:121], v[120:121], v[128:129]
	ds_load_b128 v[4:7], v2 offset:1280
	ds_load_b128 v[8:11], v2 offset:1296
	s_wait_loadcnt_dscnt 0x201
	v_mul_f64_e32 v[2:3], v[4:5], v[22:23]
	v_mul_f64_e32 v[22:23], v[6:7], v[22:23]
	s_wait_loadcnt_dscnt 0x100
	v_mul_f64_e32 v[18:19], v[8:9], v[110:111]
	v_mul_f64_e32 v[110:111], v[10:11], v[110:111]
	v_add_f64_e32 v[12:13], v[14:15], v[12:13]
	v_add_f64_e32 v[14:15], v[120:121], v[130:131]
	v_fmac_f64_e32 v[2:3], v[6:7], v[20:21]
	v_fma_f64 v[4:5], v[4:5], v[20:21], -v[22:23]
	v_fmac_f64_e32 v[18:19], v[10:11], v[108:109]
	v_fma_f64 v[8:9], v[8:9], v[108:109], -v[110:111]
	v_add_f64_e32 v[6:7], v[12:13], v[16:17]
	v_add_f64_e32 v[12:13], v[14:15], v[122:123]
	s_delay_alu instid0(VALU_DEP_2) | instskip(NEXT) | instid1(VALU_DEP_2)
	v_add_f64_e32 v[4:5], v[6:7], v[4:5]
	v_add_f64_e32 v[2:3], v[12:13], v[2:3]
	s_delay_alu instid0(VALU_DEP_2) | instskip(NEXT) | instid1(VALU_DEP_2)
	v_add_f64_e32 v[4:5], v[4:5], v[8:9]
	v_add_f64_e32 v[6:7], v[2:3], v[18:19]
	s_wait_loadcnt 0x0
	s_delay_alu instid0(VALU_DEP_2) | instskip(NEXT) | instid1(VALU_DEP_2)
	v_add_f64_e64 v[2:3], v[112:113], -v[4:5]
	v_add_f64_e64 v[4:5], v[114:115], -v[6:7]
	scratch_store_b128 off, v[2:5], off offset:544
	s_wait_xcnt 0x0
	v_cmpx_lt_u32_e32 33, v1
	s_cbranch_execz .LBB40_193
; %bb.192:
	scratch_load_b128 v[2:5], off, s11
	v_mov_b32_e32 v6, 0
	s_delay_alu instid0(VALU_DEP_1)
	v_dual_mov_b32 v7, v6 :: v_dual_mov_b32 v8, v6
	v_mov_b32_e32 v9, v6
	scratch_store_b128 off, v[6:9], off offset:528
	s_wait_loadcnt 0x0
	ds_store_b128 v106, v[2:5]
.LBB40_193:
	s_wait_xcnt 0x0
	s_or_b32 exec_lo, exec_lo, s2
	s_wait_storecnt_dscnt 0x0
	s_barrier_signal -1
	s_barrier_wait -1
	s_clause 0x7
	scratch_load_b128 v[4:7], off, off offset:544
	scratch_load_b128 v[8:11], off, off offset:560
	;; [unrolled: 1-line block ×8, first 2 shown]
	v_mov_b32_e32 v2, 0
	ds_load_b128 v[120:123], v2 offset:1200
	ds_load_b128 v[124:127], v2 offset:1216
	s_mov_b32 s2, exec_lo
	s_wait_loadcnt_dscnt 0x701
	v_mul_f64_e32 v[128:129], v[122:123], v[6:7]
	v_mul_f64_e32 v[130:131], v[120:121], v[6:7]
	s_wait_loadcnt_dscnt 0x600
	v_mul_f64_e32 v[132:133], v[124:125], v[10:11]
	v_mul_f64_e32 v[10:11], v[126:127], v[10:11]
	s_delay_alu instid0(VALU_DEP_4) | instskip(NEXT) | instid1(VALU_DEP_4)
	v_fma_f64 v[128:129], v[120:121], v[4:5], -v[128:129]
	v_fmac_f64_e32 v[130:131], v[122:123], v[4:5]
	ds_load_b128 v[4:7], v2 offset:1232
	ds_load_b128 v[120:123], v2 offset:1248
	v_fmac_f64_e32 v[132:133], v[126:127], v[8:9]
	v_fma_f64 v[8:9], v[124:125], v[8:9], -v[10:11]
	s_wait_loadcnt_dscnt 0x501
	v_mul_f64_e32 v[134:135], v[4:5], v[14:15]
	v_mul_f64_e32 v[14:15], v[6:7], v[14:15]
	s_wait_loadcnt_dscnt 0x400
	v_mul_f64_e32 v[126:127], v[120:121], v[18:19]
	v_mul_f64_e32 v[18:19], v[122:123], v[18:19]
	v_add_f64_e32 v[10:11], 0, v[128:129]
	v_add_f64_e32 v[124:125], 0, v[130:131]
	v_fmac_f64_e32 v[134:135], v[6:7], v[12:13]
	v_fma_f64 v[12:13], v[4:5], v[12:13], -v[14:15]
	v_fmac_f64_e32 v[126:127], v[122:123], v[16:17]
	v_fma_f64 v[16:17], v[120:121], v[16:17], -v[18:19]
	v_add_f64_e32 v[14:15], v[10:11], v[8:9]
	v_add_f64_e32 v[124:125], v[124:125], v[132:133]
	ds_load_b128 v[4:7], v2 offset:1264
	ds_load_b128 v[8:11], v2 offset:1280
	s_wait_loadcnt_dscnt 0x301
	v_mul_f64_e32 v[128:129], v[4:5], v[22:23]
	v_mul_f64_e32 v[22:23], v[6:7], v[22:23]
	s_wait_loadcnt_dscnt 0x200
	v_mul_f64_e32 v[18:19], v[8:9], v[110:111]
	v_mul_f64_e32 v[110:111], v[10:11], v[110:111]
	v_add_f64_e32 v[12:13], v[14:15], v[12:13]
	v_add_f64_e32 v[14:15], v[124:125], v[134:135]
	v_fmac_f64_e32 v[128:129], v[6:7], v[20:21]
	v_fma_f64 v[20:21], v[4:5], v[20:21], -v[22:23]
	ds_load_b128 v[4:7], v2 offset:1296
	v_fmac_f64_e32 v[18:19], v[10:11], v[108:109]
	v_fma_f64 v[8:9], v[8:9], v[108:109], -v[110:111]
	v_add_f64_e32 v[12:13], v[12:13], v[16:17]
	v_add_f64_e32 v[14:15], v[14:15], v[126:127]
	s_wait_loadcnt_dscnt 0x100
	v_mul_f64_e32 v[16:17], v[4:5], v[114:115]
	v_mul_f64_e32 v[22:23], v[6:7], v[114:115]
	s_delay_alu instid0(VALU_DEP_4) | instskip(NEXT) | instid1(VALU_DEP_4)
	v_add_f64_e32 v[10:11], v[12:13], v[20:21]
	v_add_f64_e32 v[12:13], v[14:15], v[128:129]
	s_delay_alu instid0(VALU_DEP_4) | instskip(NEXT) | instid1(VALU_DEP_4)
	v_fmac_f64_e32 v[16:17], v[6:7], v[112:113]
	v_fma_f64 v[4:5], v[4:5], v[112:113], -v[22:23]
	s_delay_alu instid0(VALU_DEP_4) | instskip(NEXT) | instid1(VALU_DEP_4)
	v_add_f64_e32 v[6:7], v[10:11], v[8:9]
	v_add_f64_e32 v[8:9], v[12:13], v[18:19]
	s_delay_alu instid0(VALU_DEP_2) | instskip(NEXT) | instid1(VALU_DEP_2)
	v_add_f64_e32 v[4:5], v[6:7], v[4:5]
	v_add_f64_e32 v[6:7], v[8:9], v[16:17]
	s_wait_loadcnt 0x0
	s_delay_alu instid0(VALU_DEP_2) | instskip(NEXT) | instid1(VALU_DEP_2)
	v_add_f64_e64 v[4:5], v[116:117], -v[4:5]
	v_add_f64_e64 v[6:7], v[118:119], -v[6:7]
	scratch_store_b128 off, v[4:7], off offset:528
	s_wait_xcnt 0x0
	v_cmpx_lt_u32_e32 32, v1
	s_cbranch_execz .LBB40_195
; %bb.194:
	scratch_load_b128 v[6:9], off, s14
	v_dual_mov_b32 v3, v2 :: v_dual_mov_b32 v4, v2
	v_mov_b32_e32 v5, v2
	scratch_store_b128 off, v[2:5], off offset:512
	s_wait_loadcnt 0x0
	ds_store_b128 v106, v[6:9]
.LBB40_195:
	s_wait_xcnt 0x0
	s_or_b32 exec_lo, exec_lo, s2
	s_wait_storecnt_dscnt 0x0
	s_barrier_signal -1
	s_barrier_wait -1
	s_clause 0x7
	scratch_load_b128 v[4:7], off, off offset:528
	scratch_load_b128 v[8:11], off, off offset:544
	;; [unrolled: 1-line block ×8, first 2 shown]
	ds_load_b128 v[120:123], v2 offset:1184
	ds_load_b128 v[124:127], v2 offset:1200
	scratch_load_b128 v[128:131], off, off offset:512
	s_mov_b32 s2, exec_lo
	s_wait_loadcnt_dscnt 0x801
	v_mul_f64_e32 v[132:133], v[122:123], v[6:7]
	v_mul_f64_e32 v[134:135], v[120:121], v[6:7]
	s_wait_loadcnt_dscnt 0x700
	v_mul_f64_e32 v[136:137], v[124:125], v[10:11]
	v_mul_f64_e32 v[10:11], v[126:127], v[10:11]
	s_delay_alu instid0(VALU_DEP_4) | instskip(NEXT) | instid1(VALU_DEP_4)
	v_fma_f64 v[132:133], v[120:121], v[4:5], -v[132:133]
	v_fmac_f64_e32 v[134:135], v[122:123], v[4:5]
	ds_load_b128 v[4:7], v2 offset:1216
	ds_load_b128 v[120:123], v2 offset:1232
	v_fmac_f64_e32 v[136:137], v[126:127], v[8:9]
	v_fma_f64 v[8:9], v[124:125], v[8:9], -v[10:11]
	s_wait_loadcnt_dscnt 0x601
	v_mul_f64_e32 v[138:139], v[4:5], v[14:15]
	v_mul_f64_e32 v[14:15], v[6:7], v[14:15]
	s_wait_loadcnt_dscnt 0x500
	v_mul_f64_e32 v[126:127], v[120:121], v[18:19]
	v_mul_f64_e32 v[18:19], v[122:123], v[18:19]
	v_add_f64_e32 v[10:11], 0, v[132:133]
	v_add_f64_e32 v[124:125], 0, v[134:135]
	v_fmac_f64_e32 v[138:139], v[6:7], v[12:13]
	v_fma_f64 v[12:13], v[4:5], v[12:13], -v[14:15]
	v_fmac_f64_e32 v[126:127], v[122:123], v[16:17]
	v_fma_f64 v[16:17], v[120:121], v[16:17], -v[18:19]
	v_add_f64_e32 v[14:15], v[10:11], v[8:9]
	v_add_f64_e32 v[124:125], v[124:125], v[136:137]
	ds_load_b128 v[4:7], v2 offset:1248
	ds_load_b128 v[8:11], v2 offset:1264
	s_wait_loadcnt_dscnt 0x401
	v_mul_f64_e32 v[132:133], v[4:5], v[22:23]
	v_mul_f64_e32 v[22:23], v[6:7], v[22:23]
	s_wait_loadcnt_dscnt 0x300
	v_mul_f64_e32 v[18:19], v[8:9], v[110:111]
	v_mul_f64_e32 v[110:111], v[10:11], v[110:111]
	v_add_f64_e32 v[12:13], v[14:15], v[12:13]
	v_add_f64_e32 v[14:15], v[124:125], v[138:139]
	v_fmac_f64_e32 v[132:133], v[6:7], v[20:21]
	v_fma_f64 v[20:21], v[4:5], v[20:21], -v[22:23]
	v_fmac_f64_e32 v[18:19], v[10:11], v[108:109]
	v_fma_f64 v[8:9], v[8:9], v[108:109], -v[110:111]
	v_add_f64_e32 v[16:17], v[12:13], v[16:17]
	v_add_f64_e32 v[22:23], v[14:15], v[126:127]
	ds_load_b128 v[4:7], v2 offset:1280
	ds_load_b128 v[12:15], v2 offset:1296
	s_wait_loadcnt_dscnt 0x201
	v_mul_f64_e32 v[2:3], v[4:5], v[114:115]
	v_mul_f64_e32 v[114:115], v[6:7], v[114:115]
	v_add_f64_e32 v[10:11], v[16:17], v[20:21]
	v_add_f64_e32 v[16:17], v[22:23], v[132:133]
	s_wait_loadcnt_dscnt 0x100
	v_mul_f64_e32 v[20:21], v[12:13], v[118:119]
	v_mul_f64_e32 v[22:23], v[14:15], v[118:119]
	v_fmac_f64_e32 v[2:3], v[6:7], v[112:113]
	v_fma_f64 v[4:5], v[4:5], v[112:113], -v[114:115]
	v_add_f64_e32 v[6:7], v[10:11], v[8:9]
	v_add_f64_e32 v[8:9], v[16:17], v[18:19]
	v_fmac_f64_e32 v[20:21], v[14:15], v[116:117]
	v_fma_f64 v[10:11], v[12:13], v[116:117], -v[22:23]
	s_delay_alu instid0(VALU_DEP_4) | instskip(NEXT) | instid1(VALU_DEP_4)
	v_add_f64_e32 v[4:5], v[6:7], v[4:5]
	v_add_f64_e32 v[2:3], v[8:9], v[2:3]
	s_delay_alu instid0(VALU_DEP_2) | instskip(NEXT) | instid1(VALU_DEP_2)
	v_add_f64_e32 v[4:5], v[4:5], v[10:11]
	v_add_f64_e32 v[6:7], v[2:3], v[20:21]
	s_wait_loadcnt 0x0
	s_delay_alu instid0(VALU_DEP_2) | instskip(NEXT) | instid1(VALU_DEP_2)
	v_add_f64_e64 v[2:3], v[128:129], -v[4:5]
	v_add_f64_e64 v[4:5], v[130:131], -v[6:7]
	scratch_store_b128 off, v[2:5], off offset:512
	s_wait_xcnt 0x0
	v_cmpx_lt_u32_e32 31, v1
	s_cbranch_execz .LBB40_197
; %bb.196:
	scratch_load_b128 v[2:5], off, s13
	v_mov_b32_e32 v6, 0
	s_delay_alu instid0(VALU_DEP_1)
	v_dual_mov_b32 v7, v6 :: v_dual_mov_b32 v8, v6
	v_mov_b32_e32 v9, v6
	scratch_store_b128 off, v[6:9], off offset:496
	s_wait_loadcnt 0x0
	ds_store_b128 v106, v[2:5]
.LBB40_197:
	s_wait_xcnt 0x0
	s_or_b32 exec_lo, exec_lo, s2
	s_wait_storecnt_dscnt 0x0
	s_barrier_signal -1
	s_barrier_wait -1
	s_clause 0x8
	scratch_load_b128 v[4:7], off, off offset:512
	scratch_load_b128 v[8:11], off, off offset:528
	;; [unrolled: 1-line block ×9, first 2 shown]
	v_mov_b32_e32 v2, 0
	scratch_load_b128 v[128:131], off, off offset:496
	s_mov_b32 s2, exec_lo
	ds_load_b128 v[124:127], v2 offset:1168
	ds_load_b128 v[132:135], v2 offset:1184
	s_wait_loadcnt_dscnt 0x901
	v_mul_f64_e32 v[136:137], v[126:127], v[6:7]
	v_mul_f64_e32 v[138:139], v[124:125], v[6:7]
	s_wait_loadcnt_dscnt 0x800
	v_mul_f64_e32 v[140:141], v[132:133], v[10:11]
	v_mul_f64_e32 v[10:11], v[134:135], v[10:11]
	s_delay_alu instid0(VALU_DEP_4) | instskip(NEXT) | instid1(VALU_DEP_4)
	v_fma_f64 v[136:137], v[124:125], v[4:5], -v[136:137]
	v_fmac_f64_e32 v[138:139], v[126:127], v[4:5]
	ds_load_b128 v[4:7], v2 offset:1200
	ds_load_b128 v[124:127], v2 offset:1216
	v_fmac_f64_e32 v[140:141], v[134:135], v[8:9]
	v_fma_f64 v[8:9], v[132:133], v[8:9], -v[10:11]
	s_wait_loadcnt_dscnt 0x701
	v_mul_f64_e32 v[142:143], v[4:5], v[14:15]
	v_mul_f64_e32 v[14:15], v[6:7], v[14:15]
	s_wait_loadcnt_dscnt 0x600
	v_mul_f64_e32 v[134:135], v[124:125], v[18:19]
	v_mul_f64_e32 v[18:19], v[126:127], v[18:19]
	v_add_f64_e32 v[10:11], 0, v[136:137]
	v_add_f64_e32 v[132:133], 0, v[138:139]
	v_fmac_f64_e32 v[142:143], v[6:7], v[12:13]
	v_fma_f64 v[12:13], v[4:5], v[12:13], -v[14:15]
	v_fmac_f64_e32 v[134:135], v[126:127], v[16:17]
	v_fma_f64 v[16:17], v[124:125], v[16:17], -v[18:19]
	v_add_f64_e32 v[14:15], v[10:11], v[8:9]
	v_add_f64_e32 v[132:133], v[132:133], v[140:141]
	ds_load_b128 v[4:7], v2 offset:1232
	ds_load_b128 v[8:11], v2 offset:1248
	s_wait_loadcnt_dscnt 0x501
	v_mul_f64_e32 v[136:137], v[4:5], v[22:23]
	v_mul_f64_e32 v[22:23], v[6:7], v[22:23]
	s_wait_loadcnt_dscnt 0x400
	v_mul_f64_e32 v[18:19], v[8:9], v[110:111]
	v_mul_f64_e32 v[110:111], v[10:11], v[110:111]
	v_add_f64_e32 v[12:13], v[14:15], v[12:13]
	v_add_f64_e32 v[14:15], v[132:133], v[142:143]
	v_fmac_f64_e32 v[136:137], v[6:7], v[20:21]
	v_fma_f64 v[20:21], v[4:5], v[20:21], -v[22:23]
	v_fmac_f64_e32 v[18:19], v[10:11], v[108:109]
	v_fma_f64 v[8:9], v[8:9], v[108:109], -v[110:111]
	v_add_f64_e32 v[16:17], v[12:13], v[16:17]
	v_add_f64_e32 v[22:23], v[14:15], v[134:135]
	ds_load_b128 v[4:7], v2 offset:1264
	ds_load_b128 v[12:15], v2 offset:1280
	s_wait_loadcnt_dscnt 0x301
	v_mul_f64_e32 v[124:125], v[4:5], v[114:115]
	v_mul_f64_e32 v[114:115], v[6:7], v[114:115]
	v_add_f64_e32 v[10:11], v[16:17], v[20:21]
	v_add_f64_e32 v[16:17], v[22:23], v[136:137]
	s_wait_loadcnt_dscnt 0x200
	v_mul_f64_e32 v[20:21], v[12:13], v[118:119]
	v_mul_f64_e32 v[22:23], v[14:15], v[118:119]
	v_fmac_f64_e32 v[124:125], v[6:7], v[112:113]
	v_fma_f64 v[108:109], v[4:5], v[112:113], -v[114:115]
	ds_load_b128 v[4:7], v2 offset:1296
	v_add_f64_e32 v[8:9], v[10:11], v[8:9]
	v_add_f64_e32 v[10:11], v[16:17], v[18:19]
	v_fmac_f64_e32 v[20:21], v[14:15], v[116:117]
	v_fma_f64 v[12:13], v[12:13], v[116:117], -v[22:23]
	s_wait_loadcnt_dscnt 0x100
	v_mul_f64_e32 v[16:17], v[4:5], v[122:123]
	v_mul_f64_e32 v[18:19], v[6:7], v[122:123]
	v_add_f64_e32 v[8:9], v[8:9], v[108:109]
	v_add_f64_e32 v[10:11], v[10:11], v[124:125]
	s_delay_alu instid0(VALU_DEP_4) | instskip(NEXT) | instid1(VALU_DEP_4)
	v_fmac_f64_e32 v[16:17], v[6:7], v[120:121]
	v_fma_f64 v[4:5], v[4:5], v[120:121], -v[18:19]
	s_delay_alu instid0(VALU_DEP_4) | instskip(NEXT) | instid1(VALU_DEP_4)
	v_add_f64_e32 v[6:7], v[8:9], v[12:13]
	v_add_f64_e32 v[8:9], v[10:11], v[20:21]
	s_delay_alu instid0(VALU_DEP_2) | instskip(NEXT) | instid1(VALU_DEP_2)
	v_add_f64_e32 v[4:5], v[6:7], v[4:5]
	v_add_f64_e32 v[6:7], v[8:9], v[16:17]
	s_wait_loadcnt 0x0
	s_delay_alu instid0(VALU_DEP_2) | instskip(NEXT) | instid1(VALU_DEP_2)
	v_add_f64_e64 v[4:5], v[128:129], -v[4:5]
	v_add_f64_e64 v[6:7], v[130:131], -v[6:7]
	scratch_store_b128 off, v[4:7], off offset:496
	s_wait_xcnt 0x0
	v_cmpx_lt_u32_e32 30, v1
	s_cbranch_execz .LBB40_199
; %bb.198:
	scratch_load_b128 v[6:9], off, s20
	v_dual_mov_b32 v3, v2 :: v_dual_mov_b32 v4, v2
	v_mov_b32_e32 v5, v2
	scratch_store_b128 off, v[2:5], off offset:480
	s_wait_loadcnt 0x0
	ds_store_b128 v106, v[6:9]
.LBB40_199:
	s_wait_xcnt 0x0
	s_or_b32 exec_lo, exec_lo, s2
	s_wait_storecnt_dscnt 0x0
	s_barrier_signal -1
	s_barrier_wait -1
	s_clause 0x9
	scratch_load_b128 v[4:7], off, off offset:496
	scratch_load_b128 v[8:11], off, off offset:512
	;; [unrolled: 1-line block ×10, first 2 shown]
	ds_load_b128 v[128:131], v2 offset:1152
	ds_load_b128 v[132:135], v2 offset:1168
	scratch_load_b128 v[136:139], off, off offset:480
	s_mov_b32 s2, exec_lo
	s_wait_loadcnt_dscnt 0xa01
	v_mul_f64_e32 v[140:141], v[130:131], v[6:7]
	v_mul_f64_e32 v[142:143], v[128:129], v[6:7]
	s_wait_loadcnt_dscnt 0x900
	v_mul_f64_e32 v[144:145], v[132:133], v[10:11]
	v_mul_f64_e32 v[10:11], v[134:135], v[10:11]
	s_delay_alu instid0(VALU_DEP_4) | instskip(NEXT) | instid1(VALU_DEP_4)
	v_fma_f64 v[140:141], v[128:129], v[4:5], -v[140:141]
	v_fmac_f64_e32 v[142:143], v[130:131], v[4:5]
	ds_load_b128 v[4:7], v2 offset:1184
	ds_load_b128 v[128:131], v2 offset:1200
	v_fmac_f64_e32 v[144:145], v[134:135], v[8:9]
	v_fma_f64 v[8:9], v[132:133], v[8:9], -v[10:11]
	s_wait_loadcnt_dscnt 0x801
	v_mul_f64_e32 v[146:147], v[4:5], v[14:15]
	v_mul_f64_e32 v[14:15], v[6:7], v[14:15]
	s_wait_loadcnt_dscnt 0x700
	v_mul_f64_e32 v[134:135], v[128:129], v[18:19]
	v_mul_f64_e32 v[18:19], v[130:131], v[18:19]
	v_add_f64_e32 v[10:11], 0, v[140:141]
	v_add_f64_e32 v[132:133], 0, v[142:143]
	v_fmac_f64_e32 v[146:147], v[6:7], v[12:13]
	v_fma_f64 v[12:13], v[4:5], v[12:13], -v[14:15]
	v_fmac_f64_e32 v[134:135], v[130:131], v[16:17]
	v_fma_f64 v[16:17], v[128:129], v[16:17], -v[18:19]
	v_add_f64_e32 v[14:15], v[10:11], v[8:9]
	v_add_f64_e32 v[132:133], v[132:133], v[144:145]
	ds_load_b128 v[4:7], v2 offset:1216
	ds_load_b128 v[8:11], v2 offset:1232
	s_wait_loadcnt_dscnt 0x601
	v_mul_f64_e32 v[140:141], v[4:5], v[22:23]
	v_mul_f64_e32 v[22:23], v[6:7], v[22:23]
	s_wait_loadcnt_dscnt 0x500
	v_mul_f64_e32 v[18:19], v[8:9], v[110:111]
	v_mul_f64_e32 v[110:111], v[10:11], v[110:111]
	v_add_f64_e32 v[12:13], v[14:15], v[12:13]
	v_add_f64_e32 v[14:15], v[132:133], v[146:147]
	v_fmac_f64_e32 v[140:141], v[6:7], v[20:21]
	v_fma_f64 v[20:21], v[4:5], v[20:21], -v[22:23]
	v_fmac_f64_e32 v[18:19], v[10:11], v[108:109]
	v_fma_f64 v[8:9], v[8:9], v[108:109], -v[110:111]
	v_add_f64_e32 v[16:17], v[12:13], v[16:17]
	v_add_f64_e32 v[22:23], v[14:15], v[134:135]
	ds_load_b128 v[4:7], v2 offset:1248
	ds_load_b128 v[12:15], v2 offset:1264
	s_wait_loadcnt_dscnt 0x401
	v_mul_f64_e32 v[128:129], v[4:5], v[114:115]
	v_mul_f64_e32 v[114:115], v[6:7], v[114:115]
	v_add_f64_e32 v[10:11], v[16:17], v[20:21]
	v_add_f64_e32 v[16:17], v[22:23], v[140:141]
	s_wait_loadcnt_dscnt 0x300
	v_mul_f64_e32 v[20:21], v[12:13], v[118:119]
	v_mul_f64_e32 v[22:23], v[14:15], v[118:119]
	v_fmac_f64_e32 v[128:129], v[6:7], v[112:113]
	v_fma_f64 v[108:109], v[4:5], v[112:113], -v[114:115]
	v_add_f64_e32 v[110:111], v[10:11], v[8:9]
	v_add_f64_e32 v[16:17], v[16:17], v[18:19]
	ds_load_b128 v[4:7], v2 offset:1280
	ds_load_b128 v[8:11], v2 offset:1296
	v_fmac_f64_e32 v[20:21], v[14:15], v[116:117]
	v_fma_f64 v[12:13], v[12:13], v[116:117], -v[22:23]
	s_wait_loadcnt_dscnt 0x201
	v_mul_f64_e32 v[2:3], v[4:5], v[122:123]
	v_mul_f64_e32 v[18:19], v[6:7], v[122:123]
	s_wait_loadcnt_dscnt 0x100
	v_mul_f64_e32 v[22:23], v[8:9], v[126:127]
	v_add_f64_e32 v[14:15], v[110:111], v[108:109]
	v_add_f64_e32 v[16:17], v[16:17], v[128:129]
	v_mul_f64_e32 v[108:109], v[10:11], v[126:127]
	v_fmac_f64_e32 v[2:3], v[6:7], v[120:121]
	v_fma_f64 v[4:5], v[4:5], v[120:121], -v[18:19]
	v_fmac_f64_e32 v[22:23], v[10:11], v[124:125]
	v_add_f64_e32 v[6:7], v[14:15], v[12:13]
	v_add_f64_e32 v[12:13], v[16:17], v[20:21]
	v_fma_f64 v[8:9], v[8:9], v[124:125], -v[108:109]
	s_delay_alu instid0(VALU_DEP_3) | instskip(NEXT) | instid1(VALU_DEP_3)
	v_add_f64_e32 v[4:5], v[6:7], v[4:5]
	v_add_f64_e32 v[2:3], v[12:13], v[2:3]
	s_delay_alu instid0(VALU_DEP_2) | instskip(NEXT) | instid1(VALU_DEP_2)
	v_add_f64_e32 v[4:5], v[4:5], v[8:9]
	v_add_f64_e32 v[6:7], v[2:3], v[22:23]
	s_wait_loadcnt 0x0
	s_delay_alu instid0(VALU_DEP_2) | instskip(NEXT) | instid1(VALU_DEP_2)
	v_add_f64_e64 v[2:3], v[136:137], -v[4:5]
	v_add_f64_e64 v[4:5], v[138:139], -v[6:7]
	scratch_store_b128 off, v[2:5], off offset:480
	s_wait_xcnt 0x0
	v_cmpx_lt_u32_e32 29, v1
	s_cbranch_execz .LBB40_201
; %bb.200:
	scratch_load_b128 v[2:5], off, s15
	v_mov_b32_e32 v6, 0
	s_delay_alu instid0(VALU_DEP_1)
	v_dual_mov_b32 v7, v6 :: v_dual_mov_b32 v8, v6
	v_mov_b32_e32 v9, v6
	scratch_store_b128 off, v[6:9], off offset:464
	s_wait_loadcnt 0x0
	ds_store_b128 v106, v[2:5]
.LBB40_201:
	s_wait_xcnt 0x0
	s_or_b32 exec_lo, exec_lo, s2
	s_wait_storecnt_dscnt 0x0
	s_barrier_signal -1
	s_barrier_wait -1
	s_clause 0x9
	scratch_load_b128 v[4:7], off, off offset:480
	scratch_load_b128 v[8:11], off, off offset:496
	;; [unrolled: 1-line block ×10, first 2 shown]
	v_mov_b32_e32 v2, 0
	s_mov_b32 s2, exec_lo
	ds_load_b128 v[128:131], v2 offset:1136
	s_clause 0x1
	scratch_load_b128 v[132:135], off, off offset:640
	scratch_load_b128 v[136:139], off, off offset:464
	s_wait_loadcnt_dscnt 0xb00
	v_mul_f64_e32 v[144:145], v[130:131], v[6:7]
	v_mul_f64_e32 v[146:147], v[128:129], v[6:7]
	ds_load_b128 v[140:143], v2 offset:1152
	s_wait_loadcnt_dscnt 0xa00
	v_mul_f64_e32 v[148:149], v[140:141], v[10:11]
	v_mul_f64_e32 v[10:11], v[142:143], v[10:11]
	v_fma_f64 v[144:145], v[128:129], v[4:5], -v[144:145]
	v_fmac_f64_e32 v[146:147], v[130:131], v[4:5]
	ds_load_b128 v[4:7], v2 offset:1168
	ds_load_b128 v[128:131], v2 offset:1184
	s_wait_loadcnt_dscnt 0x901
	v_mul_f64_e32 v[150:151], v[4:5], v[14:15]
	v_mul_f64_e32 v[14:15], v[6:7], v[14:15]
	v_fmac_f64_e32 v[148:149], v[142:143], v[8:9]
	v_fma_f64 v[8:9], v[140:141], v[8:9], -v[10:11]
	s_wait_loadcnt_dscnt 0x800
	v_mul_f64_e32 v[142:143], v[128:129], v[18:19]
	v_mul_f64_e32 v[18:19], v[130:131], v[18:19]
	v_add_f64_e32 v[10:11], 0, v[144:145]
	v_add_f64_e32 v[140:141], 0, v[146:147]
	v_fmac_f64_e32 v[150:151], v[6:7], v[12:13]
	v_fma_f64 v[12:13], v[4:5], v[12:13], -v[14:15]
	v_fmac_f64_e32 v[142:143], v[130:131], v[16:17]
	v_fma_f64 v[16:17], v[128:129], v[16:17], -v[18:19]
	v_add_f64_e32 v[14:15], v[10:11], v[8:9]
	v_add_f64_e32 v[140:141], v[140:141], v[148:149]
	ds_load_b128 v[4:7], v2 offset:1200
	ds_load_b128 v[8:11], v2 offset:1216
	s_wait_loadcnt_dscnt 0x701
	v_mul_f64_e32 v[144:145], v[4:5], v[22:23]
	v_mul_f64_e32 v[22:23], v[6:7], v[22:23]
	s_wait_loadcnt_dscnt 0x600
	v_mul_f64_e32 v[18:19], v[8:9], v[110:111]
	v_mul_f64_e32 v[110:111], v[10:11], v[110:111]
	v_add_f64_e32 v[12:13], v[14:15], v[12:13]
	v_add_f64_e32 v[14:15], v[140:141], v[150:151]
	v_fmac_f64_e32 v[144:145], v[6:7], v[20:21]
	v_fma_f64 v[20:21], v[4:5], v[20:21], -v[22:23]
	v_fmac_f64_e32 v[18:19], v[10:11], v[108:109]
	v_fma_f64 v[8:9], v[8:9], v[108:109], -v[110:111]
	v_add_f64_e32 v[16:17], v[12:13], v[16:17]
	v_add_f64_e32 v[22:23], v[14:15], v[142:143]
	ds_load_b128 v[4:7], v2 offset:1232
	ds_load_b128 v[12:15], v2 offset:1248
	s_wait_loadcnt_dscnt 0x501
	v_mul_f64_e32 v[128:129], v[4:5], v[114:115]
	v_mul_f64_e32 v[114:115], v[6:7], v[114:115]
	v_add_f64_e32 v[10:11], v[16:17], v[20:21]
	v_add_f64_e32 v[16:17], v[22:23], v[144:145]
	s_wait_loadcnt_dscnt 0x400
	v_mul_f64_e32 v[20:21], v[12:13], v[118:119]
	v_mul_f64_e32 v[22:23], v[14:15], v[118:119]
	v_fmac_f64_e32 v[128:129], v[6:7], v[112:113]
	v_fma_f64 v[108:109], v[4:5], v[112:113], -v[114:115]
	v_add_f64_e32 v[110:111], v[10:11], v[8:9]
	v_add_f64_e32 v[16:17], v[16:17], v[18:19]
	ds_load_b128 v[4:7], v2 offset:1264
	ds_load_b128 v[8:11], v2 offset:1280
	v_fmac_f64_e32 v[20:21], v[14:15], v[116:117]
	v_fma_f64 v[12:13], v[12:13], v[116:117], -v[22:23]
	s_wait_loadcnt_dscnt 0x301
	v_mul_f64_e32 v[18:19], v[4:5], v[122:123]
	v_mul_f64_e32 v[112:113], v[6:7], v[122:123]
	s_wait_loadcnt_dscnt 0x200
	v_mul_f64_e32 v[22:23], v[8:9], v[126:127]
	v_add_f64_e32 v[14:15], v[110:111], v[108:109]
	v_add_f64_e32 v[16:17], v[16:17], v[128:129]
	v_mul_f64_e32 v[108:109], v[10:11], v[126:127]
	v_fmac_f64_e32 v[18:19], v[6:7], v[120:121]
	v_fma_f64 v[110:111], v[4:5], v[120:121], -v[112:113]
	ds_load_b128 v[4:7], v2 offset:1296
	v_fmac_f64_e32 v[22:23], v[10:11], v[124:125]
	v_add_f64_e32 v[12:13], v[14:15], v[12:13]
	v_add_f64_e32 v[14:15], v[16:17], v[20:21]
	v_fma_f64 v[8:9], v[8:9], v[124:125], -v[108:109]
	s_wait_loadcnt_dscnt 0x100
	v_mul_f64_e32 v[16:17], v[4:5], v[134:135]
	v_mul_f64_e32 v[20:21], v[6:7], v[134:135]
	v_add_f64_e32 v[10:11], v[12:13], v[110:111]
	v_add_f64_e32 v[12:13], v[14:15], v[18:19]
	s_delay_alu instid0(VALU_DEP_4) | instskip(NEXT) | instid1(VALU_DEP_4)
	v_fmac_f64_e32 v[16:17], v[6:7], v[132:133]
	v_fma_f64 v[4:5], v[4:5], v[132:133], -v[20:21]
	s_delay_alu instid0(VALU_DEP_4) | instskip(NEXT) | instid1(VALU_DEP_4)
	v_add_f64_e32 v[6:7], v[10:11], v[8:9]
	v_add_f64_e32 v[8:9], v[12:13], v[22:23]
	s_delay_alu instid0(VALU_DEP_2) | instskip(NEXT) | instid1(VALU_DEP_2)
	v_add_f64_e32 v[4:5], v[6:7], v[4:5]
	v_add_f64_e32 v[6:7], v[8:9], v[16:17]
	s_wait_loadcnt 0x0
	s_delay_alu instid0(VALU_DEP_2) | instskip(NEXT) | instid1(VALU_DEP_2)
	v_add_f64_e64 v[4:5], v[136:137], -v[4:5]
	v_add_f64_e64 v[6:7], v[138:139], -v[6:7]
	scratch_store_b128 off, v[4:7], off offset:464
	s_wait_xcnt 0x0
	v_cmpx_lt_u32_e32 28, v1
	s_cbranch_execz .LBB40_203
; %bb.202:
	scratch_load_b128 v[6:9], off, s24
	v_dual_mov_b32 v3, v2 :: v_dual_mov_b32 v4, v2
	v_mov_b32_e32 v5, v2
	scratch_store_b128 off, v[2:5], off offset:448
	s_wait_loadcnt 0x0
	ds_store_b128 v106, v[6:9]
.LBB40_203:
	s_wait_xcnt 0x0
	s_or_b32 exec_lo, exec_lo, s2
	s_wait_storecnt_dscnt 0x0
	s_barrier_signal -1
	s_barrier_wait -1
	s_clause 0x9
	scratch_load_b128 v[4:7], off, off offset:464
	scratch_load_b128 v[8:11], off, off offset:480
	scratch_load_b128 v[12:15], off, off offset:496
	scratch_load_b128 v[16:19], off, off offset:512
	scratch_load_b128 v[20:23], off, off offset:528
	scratch_load_b128 v[108:111], off, off offset:544
	scratch_load_b128 v[112:115], off, off offset:560
	scratch_load_b128 v[116:119], off, off offset:576
	scratch_load_b128 v[120:123], off, off offset:592
	scratch_load_b128 v[124:127], off, off offset:608
	ds_load_b128 v[128:131], v2 offset:1120
	ds_load_b128 v[136:139], v2 offset:1136
	s_clause 0x2
	scratch_load_b128 v[132:135], off, off offset:624
	scratch_load_b128 v[140:143], off, off offset:448
	;; [unrolled: 1-line block ×3, first 2 shown]
	s_mov_b32 s2, exec_lo
	s_wait_loadcnt_dscnt 0xc01
	v_mul_f64_e32 v[148:149], v[130:131], v[6:7]
	v_mul_f64_e32 v[150:151], v[128:129], v[6:7]
	s_wait_loadcnt_dscnt 0xb00
	v_mul_f64_e32 v[152:153], v[136:137], v[10:11]
	v_mul_f64_e32 v[10:11], v[138:139], v[10:11]
	s_delay_alu instid0(VALU_DEP_4) | instskip(NEXT) | instid1(VALU_DEP_4)
	v_fma_f64 v[148:149], v[128:129], v[4:5], -v[148:149]
	v_fmac_f64_e32 v[150:151], v[130:131], v[4:5]
	ds_load_b128 v[4:7], v2 offset:1152
	ds_load_b128 v[128:131], v2 offset:1168
	v_fmac_f64_e32 v[152:153], v[138:139], v[8:9]
	v_fma_f64 v[8:9], v[136:137], v[8:9], -v[10:11]
	s_wait_loadcnt_dscnt 0xa01
	v_mul_f64_e32 v[154:155], v[4:5], v[14:15]
	v_mul_f64_e32 v[14:15], v[6:7], v[14:15]
	s_wait_loadcnt_dscnt 0x900
	v_mul_f64_e32 v[138:139], v[128:129], v[18:19]
	v_mul_f64_e32 v[18:19], v[130:131], v[18:19]
	v_add_f64_e32 v[10:11], 0, v[148:149]
	v_add_f64_e32 v[136:137], 0, v[150:151]
	v_fmac_f64_e32 v[154:155], v[6:7], v[12:13]
	v_fma_f64 v[12:13], v[4:5], v[12:13], -v[14:15]
	v_fmac_f64_e32 v[138:139], v[130:131], v[16:17]
	v_fma_f64 v[16:17], v[128:129], v[16:17], -v[18:19]
	v_add_f64_e32 v[14:15], v[10:11], v[8:9]
	v_add_f64_e32 v[136:137], v[136:137], v[152:153]
	ds_load_b128 v[4:7], v2 offset:1184
	ds_load_b128 v[8:11], v2 offset:1200
	s_wait_loadcnt_dscnt 0x801
	v_mul_f64_e32 v[148:149], v[4:5], v[22:23]
	v_mul_f64_e32 v[22:23], v[6:7], v[22:23]
	s_wait_loadcnt_dscnt 0x700
	v_mul_f64_e32 v[18:19], v[8:9], v[110:111]
	v_mul_f64_e32 v[110:111], v[10:11], v[110:111]
	v_add_f64_e32 v[12:13], v[14:15], v[12:13]
	v_add_f64_e32 v[14:15], v[136:137], v[154:155]
	v_fmac_f64_e32 v[148:149], v[6:7], v[20:21]
	v_fma_f64 v[20:21], v[4:5], v[20:21], -v[22:23]
	v_fmac_f64_e32 v[18:19], v[10:11], v[108:109]
	v_fma_f64 v[8:9], v[8:9], v[108:109], -v[110:111]
	v_add_f64_e32 v[16:17], v[12:13], v[16:17]
	v_add_f64_e32 v[22:23], v[14:15], v[138:139]
	ds_load_b128 v[4:7], v2 offset:1216
	ds_load_b128 v[12:15], v2 offset:1232
	s_wait_loadcnt_dscnt 0x601
	v_mul_f64_e32 v[128:129], v[4:5], v[114:115]
	v_mul_f64_e32 v[114:115], v[6:7], v[114:115]
	v_add_f64_e32 v[10:11], v[16:17], v[20:21]
	v_add_f64_e32 v[16:17], v[22:23], v[148:149]
	s_wait_loadcnt_dscnt 0x500
	v_mul_f64_e32 v[20:21], v[12:13], v[118:119]
	v_mul_f64_e32 v[22:23], v[14:15], v[118:119]
	v_fmac_f64_e32 v[128:129], v[6:7], v[112:113]
	v_fma_f64 v[108:109], v[4:5], v[112:113], -v[114:115]
	v_add_f64_e32 v[110:111], v[10:11], v[8:9]
	v_add_f64_e32 v[16:17], v[16:17], v[18:19]
	ds_load_b128 v[4:7], v2 offset:1248
	ds_load_b128 v[8:11], v2 offset:1264
	v_fmac_f64_e32 v[20:21], v[14:15], v[116:117]
	v_fma_f64 v[12:13], v[12:13], v[116:117], -v[22:23]
	s_wait_loadcnt_dscnt 0x401
	v_mul_f64_e32 v[18:19], v[4:5], v[122:123]
	v_mul_f64_e32 v[112:113], v[6:7], v[122:123]
	s_wait_loadcnt_dscnt 0x300
	v_mul_f64_e32 v[22:23], v[8:9], v[126:127]
	v_add_f64_e32 v[14:15], v[110:111], v[108:109]
	v_add_f64_e32 v[16:17], v[16:17], v[128:129]
	v_mul_f64_e32 v[108:109], v[10:11], v[126:127]
	v_fmac_f64_e32 v[18:19], v[6:7], v[120:121]
	v_fma_f64 v[110:111], v[4:5], v[120:121], -v[112:113]
	v_fmac_f64_e32 v[22:23], v[10:11], v[124:125]
	v_add_f64_e32 v[112:113], v[14:15], v[12:13]
	v_add_f64_e32 v[16:17], v[16:17], v[20:21]
	ds_load_b128 v[4:7], v2 offset:1280
	ds_load_b128 v[12:15], v2 offset:1296
	v_fma_f64 v[8:9], v[8:9], v[124:125], -v[108:109]
	s_wait_loadcnt_dscnt 0x201
	v_mul_f64_e32 v[2:3], v[4:5], v[134:135]
	v_mul_f64_e32 v[20:21], v[6:7], v[134:135]
	s_wait_loadcnt_dscnt 0x0
	v_mul_f64_e32 v[108:109], v[14:15], v[146:147]
	v_add_f64_e32 v[10:11], v[112:113], v[110:111]
	v_add_f64_e32 v[16:17], v[16:17], v[18:19]
	v_mul_f64_e32 v[18:19], v[12:13], v[146:147]
	v_fmac_f64_e32 v[2:3], v[6:7], v[132:133]
	v_fma_f64 v[4:5], v[4:5], v[132:133], -v[20:21]
	v_add_f64_e32 v[6:7], v[10:11], v[8:9]
	v_add_f64_e32 v[8:9], v[16:17], v[22:23]
	v_fmac_f64_e32 v[18:19], v[14:15], v[144:145]
	v_fma_f64 v[10:11], v[12:13], v[144:145], -v[108:109]
	s_delay_alu instid0(VALU_DEP_4) | instskip(NEXT) | instid1(VALU_DEP_4)
	v_add_f64_e32 v[4:5], v[6:7], v[4:5]
	v_add_f64_e32 v[2:3], v[8:9], v[2:3]
	s_delay_alu instid0(VALU_DEP_2) | instskip(NEXT) | instid1(VALU_DEP_2)
	v_add_f64_e32 v[4:5], v[4:5], v[10:11]
	v_add_f64_e32 v[6:7], v[2:3], v[18:19]
	s_delay_alu instid0(VALU_DEP_2) | instskip(NEXT) | instid1(VALU_DEP_2)
	v_add_f64_e64 v[2:3], v[140:141], -v[4:5]
	v_add_f64_e64 v[4:5], v[142:143], -v[6:7]
	scratch_store_b128 off, v[2:5], off offset:448
	s_wait_xcnt 0x0
	v_cmpx_lt_u32_e32 27, v1
	s_cbranch_execz .LBB40_205
; %bb.204:
	scratch_load_b128 v[2:5], off, s23
	v_mov_b32_e32 v6, 0
	s_delay_alu instid0(VALU_DEP_1)
	v_dual_mov_b32 v7, v6 :: v_dual_mov_b32 v8, v6
	v_mov_b32_e32 v9, v6
	scratch_store_b128 off, v[6:9], off offset:432
	s_wait_loadcnt 0x0
	ds_store_b128 v106, v[2:5]
.LBB40_205:
	s_wait_xcnt 0x0
	s_or_b32 exec_lo, exec_lo, s2
	s_wait_storecnt_dscnt 0x0
	s_barrier_signal -1
	s_barrier_wait -1
	s_clause 0x9
	scratch_load_b128 v[4:7], off, off offset:448
	scratch_load_b128 v[8:11], off, off offset:464
	;; [unrolled: 1-line block ×10, first 2 shown]
	v_mov_b32_e32 v2, 0
	s_mov_b32 s2, exec_lo
	ds_load_b128 v[128:131], v2 offset:1104
	s_clause 0x2
	scratch_load_b128 v[132:135], off, off offset:608
	scratch_load_b128 v[136:139], off, off offset:432
	scratch_load_b128 v[144:147], off, off offset:624
	s_wait_loadcnt_dscnt 0xc00
	v_mul_f64_e32 v[148:149], v[130:131], v[6:7]
	v_mul_f64_e32 v[152:153], v[128:129], v[6:7]
	ds_load_b128 v[140:143], v2 offset:1120
	v_fma_f64 v[156:157], v[128:129], v[4:5], -v[148:149]
	v_fmac_f64_e32 v[152:153], v[130:131], v[4:5]
	ds_load_b128 v[4:7], v2 offset:1136
	s_wait_loadcnt_dscnt 0xb01
	v_mul_f64_e32 v[154:155], v[140:141], v[10:11]
	v_mul_f64_e32 v[10:11], v[142:143], v[10:11]
	scratch_load_b128 v[128:131], off, off offset:640
	ds_load_b128 v[148:151], v2 offset:1152
	s_wait_loadcnt_dscnt 0xb01
	v_mul_f64_e32 v[158:159], v[4:5], v[14:15]
	v_mul_f64_e32 v[14:15], v[6:7], v[14:15]
	v_fmac_f64_e32 v[154:155], v[142:143], v[8:9]
	v_fma_f64 v[8:9], v[140:141], v[8:9], -v[10:11]
	v_add_f64_e32 v[10:11], 0, v[156:157]
	v_add_f64_e32 v[140:141], 0, v[152:153]
	s_wait_loadcnt_dscnt 0xa00
	v_mul_f64_e32 v[142:143], v[148:149], v[18:19]
	v_mul_f64_e32 v[18:19], v[150:151], v[18:19]
	v_fmac_f64_e32 v[158:159], v[6:7], v[12:13]
	v_fma_f64 v[12:13], v[4:5], v[12:13], -v[14:15]
	v_add_f64_e32 v[14:15], v[10:11], v[8:9]
	v_add_f64_e32 v[140:141], v[140:141], v[154:155]
	ds_load_b128 v[4:7], v2 offset:1168
	ds_load_b128 v[8:11], v2 offset:1184
	v_fmac_f64_e32 v[142:143], v[150:151], v[16:17]
	v_fma_f64 v[16:17], v[148:149], v[16:17], -v[18:19]
	s_wait_loadcnt_dscnt 0x901
	v_mul_f64_e32 v[152:153], v[4:5], v[22:23]
	v_mul_f64_e32 v[22:23], v[6:7], v[22:23]
	s_wait_loadcnt_dscnt 0x800
	v_mul_f64_e32 v[18:19], v[8:9], v[110:111]
	v_mul_f64_e32 v[110:111], v[10:11], v[110:111]
	v_add_f64_e32 v[12:13], v[14:15], v[12:13]
	v_add_f64_e32 v[14:15], v[140:141], v[158:159]
	v_fmac_f64_e32 v[152:153], v[6:7], v[20:21]
	v_fma_f64 v[20:21], v[4:5], v[20:21], -v[22:23]
	v_fmac_f64_e32 v[18:19], v[10:11], v[108:109]
	v_fma_f64 v[8:9], v[8:9], v[108:109], -v[110:111]
	v_add_f64_e32 v[16:17], v[12:13], v[16:17]
	v_add_f64_e32 v[22:23], v[14:15], v[142:143]
	ds_load_b128 v[4:7], v2 offset:1200
	ds_load_b128 v[12:15], v2 offset:1216
	s_wait_loadcnt_dscnt 0x701
	v_mul_f64_e32 v[140:141], v[4:5], v[114:115]
	v_mul_f64_e32 v[114:115], v[6:7], v[114:115]
	v_add_f64_e32 v[10:11], v[16:17], v[20:21]
	v_add_f64_e32 v[16:17], v[22:23], v[152:153]
	s_wait_loadcnt_dscnt 0x600
	v_mul_f64_e32 v[20:21], v[12:13], v[118:119]
	v_mul_f64_e32 v[22:23], v[14:15], v[118:119]
	v_fmac_f64_e32 v[140:141], v[6:7], v[112:113]
	v_fma_f64 v[108:109], v[4:5], v[112:113], -v[114:115]
	v_add_f64_e32 v[110:111], v[10:11], v[8:9]
	v_add_f64_e32 v[16:17], v[16:17], v[18:19]
	ds_load_b128 v[4:7], v2 offset:1232
	ds_load_b128 v[8:11], v2 offset:1248
	v_fmac_f64_e32 v[20:21], v[14:15], v[116:117]
	v_fma_f64 v[12:13], v[12:13], v[116:117], -v[22:23]
	s_wait_loadcnt_dscnt 0x501
	v_mul_f64_e32 v[18:19], v[4:5], v[122:123]
	v_mul_f64_e32 v[112:113], v[6:7], v[122:123]
	s_wait_loadcnt_dscnt 0x400
	v_mul_f64_e32 v[22:23], v[8:9], v[126:127]
	v_add_f64_e32 v[14:15], v[110:111], v[108:109]
	v_add_f64_e32 v[16:17], v[16:17], v[140:141]
	v_mul_f64_e32 v[108:109], v[10:11], v[126:127]
	v_fmac_f64_e32 v[18:19], v[6:7], v[120:121]
	v_fma_f64 v[110:111], v[4:5], v[120:121], -v[112:113]
	v_fmac_f64_e32 v[22:23], v[10:11], v[124:125]
	v_add_f64_e32 v[112:113], v[14:15], v[12:13]
	v_add_f64_e32 v[16:17], v[16:17], v[20:21]
	ds_load_b128 v[4:7], v2 offset:1264
	ds_load_b128 v[12:15], v2 offset:1280
	v_fma_f64 v[8:9], v[8:9], v[124:125], -v[108:109]
	s_wait_loadcnt_dscnt 0x301
	v_mul_f64_e32 v[20:21], v[4:5], v[134:135]
	v_mul_f64_e32 v[114:115], v[6:7], v[134:135]
	s_wait_loadcnt_dscnt 0x100
	v_mul_f64_e32 v[108:109], v[14:15], v[146:147]
	v_add_f64_e32 v[10:11], v[112:113], v[110:111]
	v_add_f64_e32 v[16:17], v[16:17], v[18:19]
	v_mul_f64_e32 v[18:19], v[12:13], v[146:147]
	v_fmac_f64_e32 v[20:21], v[6:7], v[132:133]
	v_fma_f64 v[110:111], v[4:5], v[132:133], -v[114:115]
	ds_load_b128 v[4:7], v2 offset:1296
	v_fma_f64 v[12:13], v[12:13], v[144:145], -v[108:109]
	v_add_f64_e32 v[8:9], v[10:11], v[8:9]
	v_add_f64_e32 v[10:11], v[16:17], v[22:23]
	v_fmac_f64_e32 v[18:19], v[14:15], v[144:145]
	s_wait_loadcnt_dscnt 0x0
	v_mul_f64_e32 v[16:17], v[4:5], v[130:131]
	v_mul_f64_e32 v[22:23], v[6:7], v[130:131]
	v_add_f64_e32 v[8:9], v[8:9], v[110:111]
	v_add_f64_e32 v[10:11], v[10:11], v[20:21]
	s_delay_alu instid0(VALU_DEP_4) | instskip(NEXT) | instid1(VALU_DEP_4)
	v_fmac_f64_e32 v[16:17], v[6:7], v[128:129]
	v_fma_f64 v[4:5], v[4:5], v[128:129], -v[22:23]
	s_delay_alu instid0(VALU_DEP_4) | instskip(NEXT) | instid1(VALU_DEP_4)
	v_add_f64_e32 v[6:7], v[8:9], v[12:13]
	v_add_f64_e32 v[8:9], v[10:11], v[18:19]
	s_delay_alu instid0(VALU_DEP_2) | instskip(NEXT) | instid1(VALU_DEP_2)
	v_add_f64_e32 v[4:5], v[6:7], v[4:5]
	v_add_f64_e32 v[6:7], v[8:9], v[16:17]
	s_delay_alu instid0(VALU_DEP_2) | instskip(NEXT) | instid1(VALU_DEP_2)
	v_add_f64_e64 v[4:5], v[136:137], -v[4:5]
	v_add_f64_e64 v[6:7], v[138:139], -v[6:7]
	scratch_store_b128 off, v[4:7], off offset:432
	s_wait_xcnt 0x0
	v_cmpx_lt_u32_e32 26, v1
	s_cbranch_execz .LBB40_207
; %bb.206:
	scratch_load_b128 v[6:9], off, s30
	v_dual_mov_b32 v3, v2 :: v_dual_mov_b32 v4, v2
	v_mov_b32_e32 v5, v2
	scratch_store_b128 off, v[2:5], off offset:416
	s_wait_loadcnt 0x0
	ds_store_b128 v106, v[6:9]
.LBB40_207:
	s_wait_xcnt 0x0
	s_or_b32 exec_lo, exec_lo, s2
	s_wait_storecnt_dscnt 0x0
	s_barrier_signal -1
	s_barrier_wait -1
	s_clause 0x9
	scratch_load_b128 v[4:7], off, off offset:432
	scratch_load_b128 v[8:11], off, off offset:448
	scratch_load_b128 v[12:15], off, off offset:464
	scratch_load_b128 v[16:19], off, off offset:480
	scratch_load_b128 v[20:23], off, off offset:496
	scratch_load_b128 v[108:111], off, off offset:512
	scratch_load_b128 v[112:115], off, off offset:528
	scratch_load_b128 v[116:119], off, off offset:544
	scratch_load_b128 v[120:123], off, off offset:560
	scratch_load_b128 v[124:127], off, off offset:576
	ds_load_b128 v[128:131], v2 offset:1088
	ds_load_b128 v[136:139], v2 offset:1104
	s_clause 0x2
	scratch_load_b128 v[132:135], off, off offset:592
	scratch_load_b128 v[140:143], off, off offset:416
	;; [unrolled: 1-line block ×3, first 2 shown]
	s_mov_b32 s2, exec_lo
	s_wait_loadcnt_dscnt 0xc01
	v_mul_f64_e32 v[148:149], v[130:131], v[6:7]
	v_mul_f64_e32 v[152:153], v[128:129], v[6:7]
	s_wait_loadcnt_dscnt 0xb00
	v_mul_f64_e32 v[154:155], v[136:137], v[10:11]
	v_mul_f64_e32 v[10:11], v[138:139], v[10:11]
	s_delay_alu instid0(VALU_DEP_4) | instskip(NEXT) | instid1(VALU_DEP_4)
	v_fma_f64 v[156:157], v[128:129], v[4:5], -v[148:149]
	v_fmac_f64_e32 v[152:153], v[130:131], v[4:5]
	ds_load_b128 v[4:7], v2 offset:1120
	ds_load_b128 v[128:131], v2 offset:1136
	scratch_load_b128 v[148:151], off, off offset:624
	v_fmac_f64_e32 v[154:155], v[138:139], v[8:9]
	v_fma_f64 v[136:137], v[136:137], v[8:9], -v[10:11]
	scratch_load_b128 v[8:11], off, off offset:640
	s_wait_loadcnt_dscnt 0xc01
	v_mul_f64_e32 v[158:159], v[4:5], v[14:15]
	v_mul_f64_e32 v[14:15], v[6:7], v[14:15]
	v_add_f64_e32 v[138:139], 0, v[156:157]
	v_add_f64_e32 v[152:153], 0, v[152:153]
	s_wait_loadcnt_dscnt 0xb00
	v_mul_f64_e32 v[156:157], v[128:129], v[18:19]
	v_mul_f64_e32 v[18:19], v[130:131], v[18:19]
	v_fmac_f64_e32 v[158:159], v[6:7], v[12:13]
	v_fma_f64 v[160:161], v[4:5], v[12:13], -v[14:15]
	ds_load_b128 v[4:7], v2 offset:1152
	ds_load_b128 v[12:15], v2 offset:1168
	v_add_f64_e32 v[136:137], v[138:139], v[136:137]
	v_add_f64_e32 v[138:139], v[152:153], v[154:155]
	v_fmac_f64_e32 v[156:157], v[130:131], v[16:17]
	v_fma_f64 v[16:17], v[128:129], v[16:17], -v[18:19]
	s_wait_loadcnt_dscnt 0xa01
	v_mul_f64_e32 v[152:153], v[4:5], v[22:23]
	v_mul_f64_e32 v[22:23], v[6:7], v[22:23]
	s_wait_loadcnt_dscnt 0x900
	v_mul_f64_e32 v[130:131], v[12:13], v[110:111]
	v_mul_f64_e32 v[110:111], v[14:15], v[110:111]
	v_add_f64_e32 v[18:19], v[136:137], v[160:161]
	v_add_f64_e32 v[128:129], v[138:139], v[158:159]
	v_fmac_f64_e32 v[152:153], v[6:7], v[20:21]
	v_fma_f64 v[20:21], v[4:5], v[20:21], -v[22:23]
	v_fmac_f64_e32 v[130:131], v[14:15], v[108:109]
	v_fma_f64 v[12:13], v[12:13], v[108:109], -v[110:111]
	v_add_f64_e32 v[22:23], v[18:19], v[16:17]
	v_add_f64_e32 v[128:129], v[128:129], v[156:157]
	ds_load_b128 v[4:7], v2 offset:1184
	ds_load_b128 v[16:19], v2 offset:1200
	s_wait_loadcnt_dscnt 0x801
	v_mul_f64_e32 v[136:137], v[4:5], v[114:115]
	v_mul_f64_e32 v[114:115], v[6:7], v[114:115]
	s_wait_loadcnt_dscnt 0x700
	v_mul_f64_e32 v[108:109], v[18:19], v[118:119]
	v_add_f64_e32 v[14:15], v[22:23], v[20:21]
	v_add_f64_e32 v[20:21], v[128:129], v[152:153]
	v_mul_f64_e32 v[22:23], v[16:17], v[118:119]
	v_fmac_f64_e32 v[136:137], v[6:7], v[112:113]
	v_fma_f64 v[110:111], v[4:5], v[112:113], -v[114:115]
	v_fma_f64 v[16:17], v[16:17], v[116:117], -v[108:109]
	v_add_f64_e32 v[112:113], v[14:15], v[12:13]
	v_add_f64_e32 v[20:21], v[20:21], v[130:131]
	ds_load_b128 v[4:7], v2 offset:1216
	ds_load_b128 v[12:15], v2 offset:1232
	v_fmac_f64_e32 v[22:23], v[18:19], v[116:117]
	s_wait_loadcnt_dscnt 0x601
	v_mul_f64_e32 v[114:115], v[4:5], v[122:123]
	v_mul_f64_e32 v[118:119], v[6:7], v[122:123]
	s_wait_loadcnt_dscnt 0x500
	v_mul_f64_e32 v[108:109], v[12:13], v[126:127]
	v_add_f64_e32 v[18:19], v[112:113], v[110:111]
	v_add_f64_e32 v[20:21], v[20:21], v[136:137]
	v_mul_f64_e32 v[110:111], v[14:15], v[126:127]
	v_fmac_f64_e32 v[114:115], v[6:7], v[120:121]
	v_fma_f64 v[112:113], v[4:5], v[120:121], -v[118:119]
	v_fmac_f64_e32 v[108:109], v[14:15], v[124:125]
	v_add_f64_e32 v[116:117], v[18:19], v[16:17]
	v_add_f64_e32 v[20:21], v[20:21], v[22:23]
	ds_load_b128 v[4:7], v2 offset:1248
	ds_load_b128 v[16:19], v2 offset:1264
	v_fma_f64 v[12:13], v[12:13], v[124:125], -v[110:111]
	s_wait_loadcnt_dscnt 0x401
	v_mul_f64_e32 v[22:23], v[4:5], v[134:135]
	v_mul_f64_e32 v[118:119], v[6:7], v[134:135]
	s_wait_loadcnt_dscnt 0x200
	v_mul_f64_e32 v[110:111], v[16:17], v[146:147]
	v_add_f64_e32 v[14:15], v[116:117], v[112:113]
	v_add_f64_e32 v[20:21], v[20:21], v[114:115]
	v_mul_f64_e32 v[112:113], v[18:19], v[146:147]
	v_fmac_f64_e32 v[22:23], v[6:7], v[132:133]
	v_fma_f64 v[114:115], v[4:5], v[132:133], -v[118:119]
	v_fmac_f64_e32 v[110:111], v[18:19], v[144:145]
	v_add_f64_e32 v[116:117], v[14:15], v[12:13]
	v_add_f64_e32 v[20:21], v[20:21], v[108:109]
	ds_load_b128 v[4:7], v2 offset:1280
	ds_load_b128 v[12:15], v2 offset:1296
	v_fma_f64 v[16:17], v[16:17], v[144:145], -v[112:113]
	s_wait_loadcnt_dscnt 0x101
	v_mul_f64_e32 v[2:3], v[4:5], v[150:151]
	v_mul_f64_e32 v[108:109], v[6:7], v[150:151]
	v_add_f64_e32 v[18:19], v[116:117], v[114:115]
	v_add_f64_e32 v[20:21], v[20:21], v[22:23]
	s_wait_loadcnt_dscnt 0x0
	v_mul_f64_e32 v[22:23], v[12:13], v[10:11]
	v_mul_f64_e32 v[10:11], v[14:15], v[10:11]
	v_fmac_f64_e32 v[2:3], v[6:7], v[148:149]
	v_fma_f64 v[4:5], v[4:5], v[148:149], -v[108:109]
	v_add_f64_e32 v[6:7], v[18:19], v[16:17]
	v_add_f64_e32 v[16:17], v[20:21], v[110:111]
	v_fmac_f64_e32 v[22:23], v[14:15], v[8:9]
	v_fma_f64 v[8:9], v[12:13], v[8:9], -v[10:11]
	s_delay_alu instid0(VALU_DEP_4) | instskip(NEXT) | instid1(VALU_DEP_4)
	v_add_f64_e32 v[4:5], v[6:7], v[4:5]
	v_add_f64_e32 v[2:3], v[16:17], v[2:3]
	s_delay_alu instid0(VALU_DEP_2) | instskip(NEXT) | instid1(VALU_DEP_2)
	v_add_f64_e32 v[4:5], v[4:5], v[8:9]
	v_add_f64_e32 v[6:7], v[2:3], v[22:23]
	s_delay_alu instid0(VALU_DEP_2) | instskip(NEXT) | instid1(VALU_DEP_2)
	v_add_f64_e64 v[2:3], v[140:141], -v[4:5]
	v_add_f64_e64 v[4:5], v[142:143], -v[6:7]
	scratch_store_b128 off, v[2:5], off offset:416
	s_wait_xcnt 0x0
	v_cmpx_lt_u32_e32 25, v1
	s_cbranch_execz .LBB40_209
; %bb.208:
	scratch_load_b128 v[2:5], off, s27
	v_mov_b32_e32 v6, 0
	s_delay_alu instid0(VALU_DEP_1)
	v_dual_mov_b32 v7, v6 :: v_dual_mov_b32 v8, v6
	v_mov_b32_e32 v9, v6
	scratch_store_b128 off, v[6:9], off offset:400
	s_wait_loadcnt 0x0
	ds_store_b128 v106, v[2:5]
.LBB40_209:
	s_wait_xcnt 0x0
	s_or_b32 exec_lo, exec_lo, s2
	s_wait_storecnt_dscnt 0x0
	s_barrier_signal -1
	s_barrier_wait -1
	s_clause 0x9
	scratch_load_b128 v[4:7], off, off offset:416
	scratch_load_b128 v[8:11], off, off offset:432
	;; [unrolled: 1-line block ×10, first 2 shown]
	v_mov_b32_e32 v2, 0
	s_mov_b32 s2, exec_lo
	ds_load_b128 v[128:131], v2 offset:1072
	s_clause 0x2
	scratch_load_b128 v[132:135], off, off offset:576
	scratch_load_b128 v[136:139], off, off offset:400
	;; [unrolled: 1-line block ×3, first 2 shown]
	s_wait_loadcnt_dscnt 0xc00
	v_mul_f64_e32 v[148:149], v[130:131], v[6:7]
	v_mul_f64_e32 v[152:153], v[128:129], v[6:7]
	ds_load_b128 v[140:143], v2 offset:1088
	v_fma_f64 v[156:157], v[128:129], v[4:5], -v[148:149]
	v_fmac_f64_e32 v[152:153], v[130:131], v[4:5]
	ds_load_b128 v[4:7], v2 offset:1104
	s_wait_loadcnt_dscnt 0xb01
	v_mul_f64_e32 v[154:155], v[140:141], v[10:11]
	v_mul_f64_e32 v[10:11], v[142:143], v[10:11]
	scratch_load_b128 v[128:131], off, off offset:608
	ds_load_b128 v[148:151], v2 offset:1120
	s_wait_loadcnt_dscnt 0xb01
	v_mul_f64_e32 v[158:159], v[4:5], v[14:15]
	v_mul_f64_e32 v[14:15], v[6:7], v[14:15]
	v_add_f64_e32 v[152:153], 0, v[152:153]
	v_fmac_f64_e32 v[154:155], v[142:143], v[8:9]
	v_fma_f64 v[140:141], v[140:141], v[8:9], -v[10:11]
	v_add_f64_e32 v[142:143], 0, v[156:157]
	scratch_load_b128 v[8:11], off, off offset:624
	v_fmac_f64_e32 v[158:159], v[6:7], v[12:13]
	v_fma_f64 v[160:161], v[4:5], v[12:13], -v[14:15]
	ds_load_b128 v[4:7], v2 offset:1136
	s_wait_loadcnt_dscnt 0xb01
	v_mul_f64_e32 v[156:157], v[148:149], v[18:19]
	v_mul_f64_e32 v[18:19], v[150:151], v[18:19]
	scratch_load_b128 v[12:15], off, off offset:640
	v_add_f64_e32 v[152:153], v[152:153], v[154:155]
	v_add_f64_e32 v[162:163], v[142:143], v[140:141]
	ds_load_b128 v[140:143], v2 offset:1152
	s_wait_loadcnt_dscnt 0xb01
	v_mul_f64_e32 v[154:155], v[4:5], v[22:23]
	v_mul_f64_e32 v[22:23], v[6:7], v[22:23]
	v_fmac_f64_e32 v[156:157], v[150:151], v[16:17]
	v_fma_f64 v[16:17], v[148:149], v[16:17], -v[18:19]
	s_wait_loadcnt_dscnt 0xa00
	v_mul_f64_e32 v[150:151], v[140:141], v[110:111]
	v_mul_f64_e32 v[110:111], v[142:143], v[110:111]
	v_add_f64_e32 v[148:149], v[152:153], v[158:159]
	v_add_f64_e32 v[18:19], v[162:163], v[160:161]
	v_fmac_f64_e32 v[154:155], v[6:7], v[20:21]
	v_fma_f64 v[20:21], v[4:5], v[20:21], -v[22:23]
	v_fmac_f64_e32 v[150:151], v[142:143], v[108:109]
	v_fma_f64 v[108:109], v[140:141], v[108:109], -v[110:111]
	v_add_f64_e32 v[148:149], v[148:149], v[156:157]
	v_add_f64_e32 v[22:23], v[18:19], v[16:17]
	ds_load_b128 v[4:7], v2 offset:1168
	ds_load_b128 v[16:19], v2 offset:1184
	s_wait_loadcnt_dscnt 0x901
	v_mul_f64_e32 v[152:153], v[4:5], v[114:115]
	v_mul_f64_e32 v[114:115], v[6:7], v[114:115]
	s_wait_loadcnt_dscnt 0x800
	v_mul_f64_e32 v[110:111], v[16:17], v[118:119]
	v_mul_f64_e32 v[118:119], v[18:19], v[118:119]
	v_add_f64_e32 v[20:21], v[22:23], v[20:21]
	v_add_f64_e32 v[22:23], v[148:149], v[154:155]
	v_fmac_f64_e32 v[152:153], v[6:7], v[112:113]
	v_fma_f64 v[112:113], v[4:5], v[112:113], -v[114:115]
	v_fmac_f64_e32 v[110:111], v[18:19], v[116:117]
	v_fma_f64 v[16:17], v[16:17], v[116:117], -v[118:119]
	v_add_f64_e32 v[108:109], v[20:21], v[108:109]
	v_add_f64_e32 v[114:115], v[22:23], v[150:151]
	ds_load_b128 v[4:7], v2 offset:1200
	ds_load_b128 v[20:23], v2 offset:1216
	s_wait_loadcnt_dscnt 0x701
	v_mul_f64_e32 v[140:141], v[4:5], v[122:123]
	v_mul_f64_e32 v[122:123], v[6:7], v[122:123]
	v_add_f64_e32 v[18:19], v[108:109], v[112:113]
	v_add_f64_e32 v[108:109], v[114:115], v[152:153]
	s_wait_loadcnt_dscnt 0x600
	v_mul_f64_e32 v[112:113], v[20:21], v[126:127]
	v_mul_f64_e32 v[114:115], v[22:23], v[126:127]
	v_fmac_f64_e32 v[140:141], v[6:7], v[120:121]
	v_fma_f64 v[116:117], v[4:5], v[120:121], -v[122:123]
	v_add_f64_e32 v[118:119], v[18:19], v[16:17]
	v_add_f64_e32 v[108:109], v[108:109], v[110:111]
	ds_load_b128 v[4:7], v2 offset:1232
	ds_load_b128 v[16:19], v2 offset:1248
	v_fmac_f64_e32 v[112:113], v[22:23], v[124:125]
	v_fma_f64 v[20:21], v[20:21], v[124:125], -v[114:115]
	s_wait_loadcnt_dscnt 0x501
	v_mul_f64_e32 v[110:111], v[4:5], v[134:135]
	v_mul_f64_e32 v[120:121], v[6:7], v[134:135]
	s_wait_loadcnt_dscnt 0x300
	v_mul_f64_e32 v[114:115], v[16:17], v[146:147]
	v_add_f64_e32 v[22:23], v[118:119], v[116:117]
	v_add_f64_e32 v[108:109], v[108:109], v[140:141]
	v_mul_f64_e32 v[116:117], v[18:19], v[146:147]
	v_fmac_f64_e32 v[110:111], v[6:7], v[132:133]
	v_fma_f64 v[118:119], v[4:5], v[132:133], -v[120:121]
	v_fmac_f64_e32 v[114:115], v[18:19], v[144:145]
	v_add_f64_e32 v[120:121], v[22:23], v[20:21]
	v_add_f64_e32 v[108:109], v[108:109], v[112:113]
	ds_load_b128 v[4:7], v2 offset:1264
	ds_load_b128 v[20:23], v2 offset:1280
	v_fma_f64 v[16:17], v[16:17], v[144:145], -v[116:117]
	s_wait_loadcnt_dscnt 0x201
	v_mul_f64_e32 v[112:113], v[4:5], v[130:131]
	v_mul_f64_e32 v[122:123], v[6:7], v[130:131]
	v_add_f64_e32 v[18:19], v[120:121], v[118:119]
	v_add_f64_e32 v[108:109], v[108:109], v[110:111]
	s_wait_loadcnt_dscnt 0x100
	v_mul_f64_e32 v[110:111], v[20:21], v[10:11]
	v_mul_f64_e32 v[10:11], v[22:23], v[10:11]
	v_fmac_f64_e32 v[112:113], v[6:7], v[128:129]
	v_fma_f64 v[116:117], v[4:5], v[128:129], -v[122:123]
	ds_load_b128 v[4:7], v2 offset:1296
	v_add_f64_e32 v[16:17], v[18:19], v[16:17]
	v_add_f64_e32 v[18:19], v[108:109], v[114:115]
	v_fmac_f64_e32 v[110:111], v[22:23], v[8:9]
	v_fma_f64 v[8:9], v[20:21], v[8:9], -v[10:11]
	s_wait_loadcnt_dscnt 0x0
	v_mul_f64_e32 v[108:109], v[4:5], v[14:15]
	v_mul_f64_e32 v[14:15], v[6:7], v[14:15]
	v_add_f64_e32 v[10:11], v[16:17], v[116:117]
	v_add_f64_e32 v[16:17], v[18:19], v[112:113]
	s_delay_alu instid0(VALU_DEP_4) | instskip(NEXT) | instid1(VALU_DEP_4)
	v_fmac_f64_e32 v[108:109], v[6:7], v[12:13]
	v_fma_f64 v[4:5], v[4:5], v[12:13], -v[14:15]
	s_delay_alu instid0(VALU_DEP_4) | instskip(NEXT) | instid1(VALU_DEP_4)
	v_add_f64_e32 v[6:7], v[10:11], v[8:9]
	v_add_f64_e32 v[8:9], v[16:17], v[110:111]
	s_delay_alu instid0(VALU_DEP_2) | instskip(NEXT) | instid1(VALU_DEP_2)
	v_add_f64_e32 v[4:5], v[6:7], v[4:5]
	v_add_f64_e32 v[6:7], v[8:9], v[108:109]
	s_delay_alu instid0(VALU_DEP_2) | instskip(NEXT) | instid1(VALU_DEP_2)
	v_add_f64_e64 v[4:5], v[136:137], -v[4:5]
	v_add_f64_e64 v[6:7], v[138:139], -v[6:7]
	scratch_store_b128 off, v[4:7], off offset:400
	s_wait_xcnt 0x0
	v_cmpx_lt_u32_e32 24, v1
	s_cbranch_execz .LBB40_211
; %bb.210:
	scratch_load_b128 v[6:9], off, s38
	v_dual_mov_b32 v3, v2 :: v_dual_mov_b32 v4, v2
	v_mov_b32_e32 v5, v2
	scratch_store_b128 off, v[2:5], off offset:384
	s_wait_loadcnt 0x0
	ds_store_b128 v106, v[6:9]
.LBB40_211:
	s_wait_xcnt 0x0
	s_or_b32 exec_lo, exec_lo, s2
	s_wait_storecnt_dscnt 0x0
	s_barrier_signal -1
	s_barrier_wait -1
	s_clause 0x9
	scratch_load_b128 v[4:7], off, off offset:400
	scratch_load_b128 v[8:11], off, off offset:416
	;; [unrolled: 1-line block ×10, first 2 shown]
	ds_load_b128 v[128:131], v2 offset:1056
	ds_load_b128 v[136:139], v2 offset:1072
	s_clause 0x2
	scratch_load_b128 v[132:135], off, off offset:560
	scratch_load_b128 v[140:143], off, off offset:384
	;; [unrolled: 1-line block ×3, first 2 shown]
	s_mov_b32 s2, exec_lo
	s_wait_loadcnt_dscnt 0xc01
	v_mul_f64_e32 v[148:149], v[130:131], v[6:7]
	v_mul_f64_e32 v[152:153], v[128:129], v[6:7]
	s_wait_loadcnt_dscnt 0xb00
	v_mul_f64_e32 v[154:155], v[136:137], v[10:11]
	v_mul_f64_e32 v[10:11], v[138:139], v[10:11]
	s_delay_alu instid0(VALU_DEP_4) | instskip(NEXT) | instid1(VALU_DEP_4)
	v_fma_f64 v[156:157], v[128:129], v[4:5], -v[148:149]
	v_fmac_f64_e32 v[152:153], v[130:131], v[4:5]
	ds_load_b128 v[4:7], v2 offset:1088
	ds_load_b128 v[128:131], v2 offset:1104
	scratch_load_b128 v[148:151], off, off offset:592
	v_fmac_f64_e32 v[154:155], v[138:139], v[8:9]
	v_fma_f64 v[136:137], v[136:137], v[8:9], -v[10:11]
	scratch_load_b128 v[8:11], off, off offset:608
	s_wait_loadcnt_dscnt 0xc01
	v_mul_f64_e32 v[158:159], v[4:5], v[14:15]
	v_mul_f64_e32 v[14:15], v[6:7], v[14:15]
	v_add_f64_e32 v[138:139], 0, v[156:157]
	v_add_f64_e32 v[152:153], 0, v[152:153]
	s_wait_loadcnt_dscnt 0xb00
	v_mul_f64_e32 v[156:157], v[128:129], v[18:19]
	v_mul_f64_e32 v[18:19], v[130:131], v[18:19]
	v_fmac_f64_e32 v[158:159], v[6:7], v[12:13]
	v_fma_f64 v[160:161], v[4:5], v[12:13], -v[14:15]
	ds_load_b128 v[4:7], v2 offset:1120
	ds_load_b128 v[12:15], v2 offset:1136
	v_add_f64_e32 v[162:163], v[138:139], v[136:137]
	v_add_f64_e32 v[152:153], v[152:153], v[154:155]
	scratch_load_b128 v[136:139], off, off offset:624
	v_fmac_f64_e32 v[156:157], v[130:131], v[16:17]
	v_fma_f64 v[128:129], v[128:129], v[16:17], -v[18:19]
	scratch_load_b128 v[16:19], off, off offset:640
	s_wait_loadcnt_dscnt 0xc01
	v_mul_f64_e32 v[154:155], v[4:5], v[22:23]
	v_mul_f64_e32 v[22:23], v[6:7], v[22:23]
	v_add_f64_e32 v[130:131], v[162:163], v[160:161]
	v_add_f64_e32 v[152:153], v[152:153], v[158:159]
	s_wait_loadcnt_dscnt 0xb00
	v_mul_f64_e32 v[158:159], v[12:13], v[110:111]
	v_mul_f64_e32 v[110:111], v[14:15], v[110:111]
	v_fmac_f64_e32 v[154:155], v[6:7], v[20:21]
	v_fma_f64 v[160:161], v[4:5], v[20:21], -v[22:23]
	ds_load_b128 v[4:7], v2 offset:1152
	ds_load_b128 v[20:23], v2 offset:1168
	v_add_f64_e32 v[128:129], v[130:131], v[128:129]
	v_add_f64_e32 v[130:131], v[152:153], v[156:157]
	s_wait_loadcnt_dscnt 0xa01
	v_mul_f64_e32 v[152:153], v[4:5], v[114:115]
	v_mul_f64_e32 v[114:115], v[6:7], v[114:115]
	v_fmac_f64_e32 v[158:159], v[14:15], v[108:109]
	v_fma_f64 v[12:13], v[12:13], v[108:109], -v[110:111]
	s_wait_loadcnt_dscnt 0x900
	v_mul_f64_e32 v[110:111], v[20:21], v[118:119]
	v_mul_f64_e32 v[118:119], v[22:23], v[118:119]
	v_add_f64_e32 v[14:15], v[128:129], v[160:161]
	v_add_f64_e32 v[108:109], v[130:131], v[154:155]
	v_fmac_f64_e32 v[152:153], v[6:7], v[112:113]
	v_fma_f64 v[112:113], v[4:5], v[112:113], -v[114:115]
	v_fmac_f64_e32 v[110:111], v[22:23], v[116:117]
	v_fma_f64 v[20:21], v[20:21], v[116:117], -v[118:119]
	v_add_f64_e32 v[114:115], v[14:15], v[12:13]
	v_add_f64_e32 v[108:109], v[108:109], v[158:159]
	ds_load_b128 v[4:7], v2 offset:1184
	ds_load_b128 v[12:15], v2 offset:1200
	s_wait_loadcnt_dscnt 0x801
	v_mul_f64_e32 v[128:129], v[4:5], v[122:123]
	v_mul_f64_e32 v[122:123], v[6:7], v[122:123]
	v_add_f64_e32 v[22:23], v[114:115], v[112:113]
	v_add_f64_e32 v[108:109], v[108:109], v[152:153]
	s_wait_loadcnt_dscnt 0x700
	v_mul_f64_e32 v[112:113], v[12:13], v[126:127]
	v_mul_f64_e32 v[114:115], v[14:15], v[126:127]
	v_fmac_f64_e32 v[128:129], v[6:7], v[120:121]
	v_fma_f64 v[116:117], v[4:5], v[120:121], -v[122:123]
	v_add_f64_e32 v[118:119], v[22:23], v[20:21]
	v_add_f64_e32 v[108:109], v[108:109], v[110:111]
	ds_load_b128 v[4:7], v2 offset:1216
	ds_load_b128 v[20:23], v2 offset:1232
	v_fmac_f64_e32 v[112:113], v[14:15], v[124:125]
	v_fma_f64 v[12:13], v[12:13], v[124:125], -v[114:115]
	s_wait_loadcnt_dscnt 0x601
	v_mul_f64_e32 v[110:111], v[4:5], v[134:135]
	v_mul_f64_e32 v[120:121], v[6:7], v[134:135]
	s_wait_loadcnt_dscnt 0x400
	v_mul_f64_e32 v[114:115], v[20:21], v[146:147]
	v_add_f64_e32 v[14:15], v[118:119], v[116:117]
	v_add_f64_e32 v[108:109], v[108:109], v[128:129]
	v_mul_f64_e32 v[116:117], v[22:23], v[146:147]
	v_fmac_f64_e32 v[110:111], v[6:7], v[132:133]
	v_fma_f64 v[118:119], v[4:5], v[132:133], -v[120:121]
	v_fmac_f64_e32 v[114:115], v[22:23], v[144:145]
	v_add_f64_e32 v[120:121], v[14:15], v[12:13]
	v_add_f64_e32 v[108:109], v[108:109], v[112:113]
	ds_load_b128 v[4:7], v2 offset:1248
	ds_load_b128 v[12:15], v2 offset:1264
	v_fma_f64 v[20:21], v[20:21], v[144:145], -v[116:117]
	s_wait_loadcnt_dscnt 0x301
	v_mul_f64_e32 v[112:113], v[4:5], v[150:151]
	v_mul_f64_e32 v[122:123], v[6:7], v[150:151]
	v_add_f64_e32 v[22:23], v[120:121], v[118:119]
	v_add_f64_e32 v[108:109], v[108:109], v[110:111]
	s_wait_loadcnt_dscnt 0x200
	v_mul_f64_e32 v[110:111], v[12:13], v[10:11]
	v_mul_f64_e32 v[10:11], v[14:15], v[10:11]
	v_fmac_f64_e32 v[112:113], v[6:7], v[148:149]
	v_fma_f64 v[116:117], v[4:5], v[148:149], -v[122:123]
	v_add_f64_e32 v[118:119], v[22:23], v[20:21]
	v_add_f64_e32 v[108:109], v[108:109], v[114:115]
	ds_load_b128 v[4:7], v2 offset:1280
	ds_load_b128 v[20:23], v2 offset:1296
	v_fmac_f64_e32 v[110:111], v[14:15], v[8:9]
	v_fma_f64 v[8:9], v[12:13], v[8:9], -v[10:11]
	s_wait_loadcnt_dscnt 0x101
	v_mul_f64_e32 v[2:3], v[4:5], v[138:139]
	v_mul_f64_e32 v[114:115], v[6:7], v[138:139]
	s_wait_loadcnt_dscnt 0x0
	v_mul_f64_e32 v[14:15], v[20:21], v[18:19]
	v_mul_f64_e32 v[18:19], v[22:23], v[18:19]
	v_add_f64_e32 v[10:11], v[118:119], v[116:117]
	v_add_f64_e32 v[12:13], v[108:109], v[112:113]
	v_fmac_f64_e32 v[2:3], v[6:7], v[136:137]
	v_fma_f64 v[4:5], v[4:5], v[136:137], -v[114:115]
	v_fmac_f64_e32 v[14:15], v[22:23], v[16:17]
	v_add_f64_e32 v[6:7], v[10:11], v[8:9]
	v_add_f64_e32 v[8:9], v[12:13], v[110:111]
	v_fma_f64 v[10:11], v[20:21], v[16:17], -v[18:19]
	s_delay_alu instid0(VALU_DEP_3) | instskip(NEXT) | instid1(VALU_DEP_3)
	v_add_f64_e32 v[4:5], v[6:7], v[4:5]
	v_add_f64_e32 v[2:3], v[8:9], v[2:3]
	s_delay_alu instid0(VALU_DEP_2) | instskip(NEXT) | instid1(VALU_DEP_2)
	v_add_f64_e32 v[4:5], v[4:5], v[10:11]
	v_add_f64_e32 v[6:7], v[2:3], v[14:15]
	s_delay_alu instid0(VALU_DEP_2) | instskip(NEXT) | instid1(VALU_DEP_2)
	v_add_f64_e64 v[2:3], v[140:141], -v[4:5]
	v_add_f64_e64 v[4:5], v[142:143], -v[6:7]
	scratch_store_b128 off, v[2:5], off offset:384
	s_wait_xcnt 0x0
	v_cmpx_lt_u32_e32 23, v1
	s_cbranch_execz .LBB40_213
; %bb.212:
	scratch_load_b128 v[2:5], off, s35
	v_mov_b32_e32 v6, 0
	s_delay_alu instid0(VALU_DEP_1)
	v_dual_mov_b32 v7, v6 :: v_dual_mov_b32 v8, v6
	v_mov_b32_e32 v9, v6
	scratch_store_b128 off, v[6:9], off offset:368
	s_wait_loadcnt 0x0
	ds_store_b128 v106, v[2:5]
.LBB40_213:
	s_wait_xcnt 0x0
	s_or_b32 exec_lo, exec_lo, s2
	s_wait_storecnt_dscnt 0x0
	s_barrier_signal -1
	s_barrier_wait -1
	s_clause 0x9
	scratch_load_b128 v[4:7], off, off offset:384
	scratch_load_b128 v[8:11], off, off offset:400
	;; [unrolled: 1-line block ×10, first 2 shown]
	v_mov_b32_e32 v2, 0
	s_mov_b32 s2, exec_lo
	ds_load_b128 v[128:131], v2 offset:1040
	s_clause 0x2
	scratch_load_b128 v[132:135], off, off offset:544
	scratch_load_b128 v[136:139], off, off offset:368
	;; [unrolled: 1-line block ×3, first 2 shown]
	s_wait_loadcnt_dscnt 0xc00
	v_mul_f64_e32 v[148:149], v[130:131], v[6:7]
	v_mul_f64_e32 v[152:153], v[128:129], v[6:7]
	ds_load_b128 v[140:143], v2 offset:1056
	v_fma_f64 v[156:157], v[128:129], v[4:5], -v[148:149]
	v_fmac_f64_e32 v[152:153], v[130:131], v[4:5]
	ds_load_b128 v[4:7], v2 offset:1072
	s_wait_loadcnt_dscnt 0xb01
	v_mul_f64_e32 v[154:155], v[140:141], v[10:11]
	v_mul_f64_e32 v[10:11], v[142:143], v[10:11]
	scratch_load_b128 v[128:131], off, off offset:576
	ds_load_b128 v[148:151], v2 offset:1088
	s_wait_loadcnt_dscnt 0xb01
	v_mul_f64_e32 v[158:159], v[4:5], v[14:15]
	v_mul_f64_e32 v[14:15], v[6:7], v[14:15]
	v_add_f64_e32 v[152:153], 0, v[152:153]
	v_fmac_f64_e32 v[154:155], v[142:143], v[8:9]
	v_fma_f64 v[140:141], v[140:141], v[8:9], -v[10:11]
	v_add_f64_e32 v[142:143], 0, v[156:157]
	scratch_load_b128 v[8:11], off, off offset:592
	v_fmac_f64_e32 v[158:159], v[6:7], v[12:13]
	v_fma_f64 v[160:161], v[4:5], v[12:13], -v[14:15]
	ds_load_b128 v[4:7], v2 offset:1104
	s_wait_loadcnt_dscnt 0xb01
	v_mul_f64_e32 v[156:157], v[148:149], v[18:19]
	v_mul_f64_e32 v[18:19], v[150:151], v[18:19]
	scratch_load_b128 v[12:15], off, off offset:608
	v_add_f64_e32 v[152:153], v[152:153], v[154:155]
	v_add_f64_e32 v[162:163], v[142:143], v[140:141]
	ds_load_b128 v[140:143], v2 offset:1120
	s_wait_loadcnt_dscnt 0xb01
	v_mul_f64_e32 v[154:155], v[4:5], v[22:23]
	v_mul_f64_e32 v[22:23], v[6:7], v[22:23]
	v_fmac_f64_e32 v[156:157], v[150:151], v[16:17]
	v_fma_f64 v[148:149], v[148:149], v[16:17], -v[18:19]
	scratch_load_b128 v[16:19], off, off offset:624
	v_add_f64_e32 v[152:153], v[152:153], v[158:159]
	v_add_f64_e32 v[150:151], v[162:163], v[160:161]
	v_fmac_f64_e32 v[154:155], v[6:7], v[20:21]
	v_fma_f64 v[160:161], v[4:5], v[20:21], -v[22:23]
	ds_load_b128 v[4:7], v2 offset:1136
	s_wait_loadcnt_dscnt 0xb01
	v_mul_f64_e32 v[158:159], v[140:141], v[110:111]
	v_mul_f64_e32 v[110:111], v[142:143], v[110:111]
	scratch_load_b128 v[20:23], off, off offset:640
	v_add_f64_e32 v[152:153], v[152:153], v[156:157]
	s_wait_loadcnt_dscnt 0xb00
	v_mul_f64_e32 v[156:157], v[4:5], v[114:115]
	v_add_f64_e32 v[162:163], v[150:151], v[148:149]
	v_mul_f64_e32 v[114:115], v[6:7], v[114:115]
	ds_load_b128 v[148:151], v2 offset:1152
	v_fmac_f64_e32 v[158:159], v[142:143], v[108:109]
	v_fma_f64 v[108:109], v[140:141], v[108:109], -v[110:111]
	s_wait_loadcnt_dscnt 0xa00
	v_mul_f64_e32 v[142:143], v[148:149], v[118:119]
	v_mul_f64_e32 v[118:119], v[150:151], v[118:119]
	v_add_f64_e32 v[140:141], v[152:153], v[154:155]
	v_fmac_f64_e32 v[156:157], v[6:7], v[112:113]
	v_add_f64_e32 v[110:111], v[162:163], v[160:161]
	v_fma_f64 v[112:113], v[4:5], v[112:113], -v[114:115]
	v_fmac_f64_e32 v[142:143], v[150:151], v[116:117]
	v_fma_f64 v[116:117], v[148:149], v[116:117], -v[118:119]
	v_add_f64_e32 v[140:141], v[140:141], v[158:159]
	v_add_f64_e32 v[114:115], v[110:111], v[108:109]
	ds_load_b128 v[4:7], v2 offset:1168
	ds_load_b128 v[108:111], v2 offset:1184
	s_wait_loadcnt_dscnt 0x901
	v_mul_f64_e32 v[152:153], v[4:5], v[122:123]
	v_mul_f64_e32 v[122:123], v[6:7], v[122:123]
	s_wait_loadcnt_dscnt 0x800
	v_mul_f64_e32 v[118:119], v[108:109], v[126:127]
	v_mul_f64_e32 v[126:127], v[110:111], v[126:127]
	v_add_f64_e32 v[112:113], v[114:115], v[112:113]
	v_add_f64_e32 v[114:115], v[140:141], v[156:157]
	v_fmac_f64_e32 v[152:153], v[6:7], v[120:121]
	v_fma_f64 v[120:121], v[4:5], v[120:121], -v[122:123]
	v_fmac_f64_e32 v[118:119], v[110:111], v[124:125]
	v_fma_f64 v[108:109], v[108:109], v[124:125], -v[126:127]
	v_add_f64_e32 v[116:117], v[112:113], v[116:117]
	v_add_f64_e32 v[122:123], v[114:115], v[142:143]
	ds_load_b128 v[4:7], v2 offset:1200
	ds_load_b128 v[112:115], v2 offset:1216
	s_wait_loadcnt_dscnt 0x701
	v_mul_f64_e32 v[140:141], v[4:5], v[134:135]
	v_mul_f64_e32 v[134:135], v[6:7], v[134:135]
	v_add_f64_e32 v[110:111], v[116:117], v[120:121]
	v_add_f64_e32 v[116:117], v[122:123], v[152:153]
	s_wait_loadcnt_dscnt 0x500
	v_mul_f64_e32 v[120:121], v[112:113], v[146:147]
	v_mul_f64_e32 v[122:123], v[114:115], v[146:147]
	v_fmac_f64_e32 v[140:141], v[6:7], v[132:133]
	v_fma_f64 v[124:125], v[4:5], v[132:133], -v[134:135]
	v_add_f64_e32 v[126:127], v[110:111], v[108:109]
	v_add_f64_e32 v[116:117], v[116:117], v[118:119]
	ds_load_b128 v[4:7], v2 offset:1232
	ds_load_b128 v[108:111], v2 offset:1248
	v_fmac_f64_e32 v[120:121], v[114:115], v[144:145]
	v_fma_f64 v[112:113], v[112:113], v[144:145], -v[122:123]
	s_wait_loadcnt_dscnt 0x401
	v_mul_f64_e32 v[118:119], v[4:5], v[130:131]
	v_mul_f64_e32 v[130:131], v[6:7], v[130:131]
	v_add_f64_e32 v[114:115], v[126:127], v[124:125]
	v_add_f64_e32 v[116:117], v[116:117], v[140:141]
	s_wait_loadcnt_dscnt 0x300
	v_mul_f64_e32 v[122:123], v[108:109], v[10:11]
	v_mul_f64_e32 v[10:11], v[110:111], v[10:11]
	v_fmac_f64_e32 v[118:119], v[6:7], v[128:129]
	v_fma_f64 v[124:125], v[4:5], v[128:129], -v[130:131]
	v_add_f64_e32 v[126:127], v[114:115], v[112:113]
	v_add_f64_e32 v[116:117], v[116:117], v[120:121]
	ds_load_b128 v[4:7], v2 offset:1264
	ds_load_b128 v[112:115], v2 offset:1280
	v_fmac_f64_e32 v[122:123], v[110:111], v[8:9]
	v_fma_f64 v[8:9], v[108:109], v[8:9], -v[10:11]
	s_wait_loadcnt_dscnt 0x201
	v_mul_f64_e32 v[120:121], v[4:5], v[14:15]
	v_mul_f64_e32 v[14:15], v[6:7], v[14:15]
	s_wait_loadcnt_dscnt 0x100
	v_mul_f64_e32 v[110:111], v[112:113], v[18:19]
	v_mul_f64_e32 v[18:19], v[114:115], v[18:19]
	v_add_f64_e32 v[10:11], v[126:127], v[124:125]
	v_add_f64_e32 v[108:109], v[116:117], v[118:119]
	v_fmac_f64_e32 v[120:121], v[6:7], v[12:13]
	v_fma_f64 v[12:13], v[4:5], v[12:13], -v[14:15]
	ds_load_b128 v[4:7], v2 offset:1296
	v_fmac_f64_e32 v[110:111], v[114:115], v[16:17]
	v_fma_f64 v[16:17], v[112:113], v[16:17], -v[18:19]
	v_add_f64_e32 v[8:9], v[10:11], v[8:9]
	v_add_f64_e32 v[10:11], v[108:109], v[122:123]
	s_wait_loadcnt_dscnt 0x0
	v_mul_f64_e32 v[14:15], v[4:5], v[22:23]
	v_mul_f64_e32 v[22:23], v[6:7], v[22:23]
	s_delay_alu instid0(VALU_DEP_4) | instskip(NEXT) | instid1(VALU_DEP_4)
	v_add_f64_e32 v[8:9], v[8:9], v[12:13]
	v_add_f64_e32 v[10:11], v[10:11], v[120:121]
	s_delay_alu instid0(VALU_DEP_4) | instskip(NEXT) | instid1(VALU_DEP_4)
	v_fmac_f64_e32 v[14:15], v[6:7], v[20:21]
	v_fma_f64 v[4:5], v[4:5], v[20:21], -v[22:23]
	s_delay_alu instid0(VALU_DEP_4) | instskip(NEXT) | instid1(VALU_DEP_4)
	v_add_f64_e32 v[6:7], v[8:9], v[16:17]
	v_add_f64_e32 v[8:9], v[10:11], v[110:111]
	s_delay_alu instid0(VALU_DEP_2) | instskip(NEXT) | instid1(VALU_DEP_2)
	v_add_f64_e32 v[4:5], v[6:7], v[4:5]
	v_add_f64_e32 v[6:7], v[8:9], v[14:15]
	s_delay_alu instid0(VALU_DEP_2) | instskip(NEXT) | instid1(VALU_DEP_2)
	v_add_f64_e64 v[4:5], v[136:137], -v[4:5]
	v_add_f64_e64 v[6:7], v[138:139], -v[6:7]
	scratch_store_b128 off, v[4:7], off offset:368
	s_wait_xcnt 0x0
	v_cmpx_lt_u32_e32 22, v1
	s_cbranch_execz .LBB40_215
; %bb.214:
	scratch_load_b128 v[6:9], off, s31
	v_dual_mov_b32 v3, v2 :: v_dual_mov_b32 v4, v2
	v_mov_b32_e32 v5, v2
	scratch_store_b128 off, v[2:5], off offset:352
	s_wait_loadcnt 0x0
	ds_store_b128 v106, v[6:9]
.LBB40_215:
	s_wait_xcnt 0x0
	s_or_b32 exec_lo, exec_lo, s2
	s_wait_storecnt_dscnt 0x0
	s_barrier_signal -1
	s_barrier_wait -1
	s_clause 0x9
	scratch_load_b128 v[4:7], off, off offset:368
	scratch_load_b128 v[8:11], off, off offset:384
	;; [unrolled: 1-line block ×10, first 2 shown]
	ds_load_b128 v[128:131], v2 offset:1024
	ds_load_b128 v[136:139], v2 offset:1040
	s_clause 0x2
	scratch_load_b128 v[132:135], off, off offset:528
	scratch_load_b128 v[140:143], off, off offset:352
	scratch_load_b128 v[144:147], off, off offset:544
	s_mov_b32 s2, exec_lo
	s_wait_loadcnt_dscnt 0xc01
	v_mul_f64_e32 v[148:149], v[130:131], v[6:7]
	v_mul_f64_e32 v[152:153], v[128:129], v[6:7]
	s_wait_loadcnt_dscnt 0xb00
	v_mul_f64_e32 v[154:155], v[136:137], v[10:11]
	v_mul_f64_e32 v[10:11], v[138:139], v[10:11]
	s_delay_alu instid0(VALU_DEP_4) | instskip(NEXT) | instid1(VALU_DEP_4)
	v_fma_f64 v[156:157], v[128:129], v[4:5], -v[148:149]
	v_fmac_f64_e32 v[152:153], v[130:131], v[4:5]
	ds_load_b128 v[4:7], v2 offset:1056
	ds_load_b128 v[128:131], v2 offset:1072
	scratch_load_b128 v[148:151], off, off offset:560
	v_fmac_f64_e32 v[154:155], v[138:139], v[8:9]
	v_fma_f64 v[136:137], v[136:137], v[8:9], -v[10:11]
	scratch_load_b128 v[8:11], off, off offset:576
	s_wait_loadcnt_dscnt 0xc01
	v_mul_f64_e32 v[158:159], v[4:5], v[14:15]
	v_mul_f64_e32 v[14:15], v[6:7], v[14:15]
	v_add_f64_e32 v[138:139], 0, v[156:157]
	v_add_f64_e32 v[152:153], 0, v[152:153]
	s_wait_loadcnt_dscnt 0xb00
	v_mul_f64_e32 v[156:157], v[128:129], v[18:19]
	v_mul_f64_e32 v[18:19], v[130:131], v[18:19]
	v_fmac_f64_e32 v[158:159], v[6:7], v[12:13]
	v_fma_f64 v[160:161], v[4:5], v[12:13], -v[14:15]
	ds_load_b128 v[4:7], v2 offset:1088
	ds_load_b128 v[12:15], v2 offset:1104
	v_add_f64_e32 v[162:163], v[138:139], v[136:137]
	v_add_f64_e32 v[152:153], v[152:153], v[154:155]
	scratch_load_b128 v[136:139], off, off offset:592
	v_fmac_f64_e32 v[156:157], v[130:131], v[16:17]
	v_fma_f64 v[128:129], v[128:129], v[16:17], -v[18:19]
	scratch_load_b128 v[16:19], off, off offset:608
	s_wait_loadcnt_dscnt 0xc01
	v_mul_f64_e32 v[154:155], v[4:5], v[22:23]
	v_mul_f64_e32 v[22:23], v[6:7], v[22:23]
	v_add_f64_e32 v[130:131], v[162:163], v[160:161]
	v_add_f64_e32 v[152:153], v[152:153], v[158:159]
	s_wait_loadcnt_dscnt 0xb00
	v_mul_f64_e32 v[158:159], v[12:13], v[110:111]
	v_mul_f64_e32 v[110:111], v[14:15], v[110:111]
	v_fmac_f64_e32 v[154:155], v[6:7], v[20:21]
	v_fma_f64 v[160:161], v[4:5], v[20:21], -v[22:23]
	ds_load_b128 v[4:7], v2 offset:1120
	ds_load_b128 v[20:23], v2 offset:1136
	v_add_f64_e32 v[162:163], v[130:131], v[128:129]
	v_add_f64_e32 v[152:153], v[152:153], v[156:157]
	scratch_load_b128 v[128:131], off, off offset:624
	s_wait_loadcnt_dscnt 0xb01
	v_mul_f64_e32 v[156:157], v[4:5], v[114:115]
	v_mul_f64_e32 v[114:115], v[6:7], v[114:115]
	v_fmac_f64_e32 v[158:159], v[14:15], v[108:109]
	v_fma_f64 v[108:109], v[12:13], v[108:109], -v[110:111]
	scratch_load_b128 v[12:15], off, off offset:640
	v_add_f64_e32 v[110:111], v[162:163], v[160:161]
	v_add_f64_e32 v[152:153], v[152:153], v[154:155]
	s_wait_loadcnt_dscnt 0xb00
	v_mul_f64_e32 v[154:155], v[20:21], v[118:119]
	v_mul_f64_e32 v[118:119], v[22:23], v[118:119]
	v_fmac_f64_e32 v[156:157], v[6:7], v[112:113]
	v_fma_f64 v[112:113], v[4:5], v[112:113], -v[114:115]
	v_add_f64_e32 v[114:115], v[110:111], v[108:109]
	v_add_f64_e32 v[152:153], v[152:153], v[158:159]
	ds_load_b128 v[4:7], v2 offset:1152
	ds_load_b128 v[108:111], v2 offset:1168
	v_fmac_f64_e32 v[154:155], v[22:23], v[116:117]
	v_fma_f64 v[20:21], v[20:21], v[116:117], -v[118:119]
	s_wait_loadcnt_dscnt 0xa01
	v_mul_f64_e32 v[158:159], v[4:5], v[122:123]
	v_mul_f64_e32 v[122:123], v[6:7], v[122:123]
	s_wait_loadcnt_dscnt 0x900
	v_mul_f64_e32 v[116:117], v[110:111], v[126:127]
	v_add_f64_e32 v[22:23], v[114:115], v[112:113]
	v_add_f64_e32 v[112:113], v[152:153], v[156:157]
	v_mul_f64_e32 v[114:115], v[108:109], v[126:127]
	v_fmac_f64_e32 v[158:159], v[6:7], v[120:121]
	v_fma_f64 v[118:119], v[4:5], v[120:121], -v[122:123]
	v_fma_f64 v[108:109], v[108:109], v[124:125], -v[116:117]
	v_add_f64_e32 v[120:121], v[22:23], v[20:21]
	v_add_f64_e32 v[112:113], v[112:113], v[154:155]
	ds_load_b128 v[4:7], v2 offset:1184
	ds_load_b128 v[20:23], v2 offset:1200
	v_fmac_f64_e32 v[114:115], v[110:111], v[124:125]
	s_wait_loadcnt_dscnt 0x801
	v_mul_f64_e32 v[122:123], v[4:5], v[134:135]
	v_mul_f64_e32 v[126:127], v[6:7], v[134:135]
	s_wait_loadcnt_dscnt 0x600
	v_mul_f64_e32 v[116:117], v[20:21], v[146:147]
	v_add_f64_e32 v[110:111], v[120:121], v[118:119]
	v_add_f64_e32 v[112:113], v[112:113], v[158:159]
	v_mul_f64_e32 v[118:119], v[22:23], v[146:147]
	v_fmac_f64_e32 v[122:123], v[6:7], v[132:133]
	v_fma_f64 v[120:121], v[4:5], v[132:133], -v[126:127]
	v_fmac_f64_e32 v[116:117], v[22:23], v[144:145]
	v_add_f64_e32 v[124:125], v[110:111], v[108:109]
	v_add_f64_e32 v[112:113], v[112:113], v[114:115]
	ds_load_b128 v[4:7], v2 offset:1216
	ds_load_b128 v[108:111], v2 offset:1232
	v_fma_f64 v[20:21], v[20:21], v[144:145], -v[118:119]
	s_wait_loadcnt_dscnt 0x501
	v_mul_f64_e32 v[114:115], v[4:5], v[150:151]
	v_mul_f64_e32 v[126:127], v[6:7], v[150:151]
	s_wait_loadcnt_dscnt 0x400
	v_mul_f64_e32 v[118:119], v[108:109], v[10:11]
	v_mul_f64_e32 v[10:11], v[110:111], v[10:11]
	v_add_f64_e32 v[22:23], v[124:125], v[120:121]
	v_add_f64_e32 v[112:113], v[112:113], v[122:123]
	v_fmac_f64_e32 v[114:115], v[6:7], v[148:149]
	v_fma_f64 v[120:121], v[4:5], v[148:149], -v[126:127]
	v_fmac_f64_e32 v[118:119], v[110:111], v[8:9]
	v_fma_f64 v[8:9], v[108:109], v[8:9], -v[10:11]
	v_add_f64_e32 v[122:123], v[22:23], v[20:21]
	v_add_f64_e32 v[112:113], v[112:113], v[116:117]
	ds_load_b128 v[4:7], v2 offset:1248
	ds_load_b128 v[20:23], v2 offset:1264
	s_wait_loadcnt_dscnt 0x301
	v_mul_f64_e32 v[116:117], v[4:5], v[138:139]
	v_mul_f64_e32 v[124:125], v[6:7], v[138:139]
	s_wait_loadcnt_dscnt 0x200
	v_mul_f64_e32 v[110:111], v[20:21], v[18:19]
	v_mul_f64_e32 v[18:19], v[22:23], v[18:19]
	v_add_f64_e32 v[10:11], v[122:123], v[120:121]
	v_add_f64_e32 v[108:109], v[112:113], v[114:115]
	v_fmac_f64_e32 v[116:117], v[6:7], v[136:137]
	v_fma_f64 v[112:113], v[4:5], v[136:137], -v[124:125]
	v_fmac_f64_e32 v[110:111], v[22:23], v[16:17]
	v_fma_f64 v[16:17], v[20:21], v[16:17], -v[18:19]
	v_add_f64_e32 v[114:115], v[10:11], v[8:9]
	v_add_f64_e32 v[108:109], v[108:109], v[118:119]
	ds_load_b128 v[4:7], v2 offset:1280
	ds_load_b128 v[8:11], v2 offset:1296
	s_wait_loadcnt_dscnt 0x101
	v_mul_f64_e32 v[2:3], v[4:5], v[130:131]
	v_mul_f64_e32 v[118:119], v[6:7], v[130:131]
	s_wait_loadcnt_dscnt 0x0
	v_mul_f64_e32 v[22:23], v[8:9], v[14:15]
	v_mul_f64_e32 v[14:15], v[10:11], v[14:15]
	v_add_f64_e32 v[18:19], v[114:115], v[112:113]
	v_add_f64_e32 v[20:21], v[108:109], v[116:117]
	v_fmac_f64_e32 v[2:3], v[6:7], v[128:129]
	v_fma_f64 v[4:5], v[4:5], v[128:129], -v[118:119]
	v_fmac_f64_e32 v[22:23], v[10:11], v[12:13]
	v_fma_f64 v[8:9], v[8:9], v[12:13], -v[14:15]
	v_add_f64_e32 v[6:7], v[18:19], v[16:17]
	v_add_f64_e32 v[16:17], v[20:21], v[110:111]
	s_delay_alu instid0(VALU_DEP_2) | instskip(NEXT) | instid1(VALU_DEP_2)
	v_add_f64_e32 v[4:5], v[6:7], v[4:5]
	v_add_f64_e32 v[2:3], v[16:17], v[2:3]
	s_delay_alu instid0(VALU_DEP_2) | instskip(NEXT) | instid1(VALU_DEP_2)
	v_add_f64_e32 v[4:5], v[4:5], v[8:9]
	v_add_f64_e32 v[6:7], v[2:3], v[22:23]
	s_delay_alu instid0(VALU_DEP_2) | instskip(NEXT) | instid1(VALU_DEP_2)
	v_add_f64_e64 v[2:3], v[140:141], -v[4:5]
	v_add_f64_e64 v[4:5], v[142:143], -v[6:7]
	scratch_store_b128 off, v[2:5], off offset:352
	s_wait_xcnt 0x0
	v_cmpx_lt_u32_e32 21, v1
	s_cbranch_execz .LBB40_217
; %bb.216:
	scratch_load_b128 v[2:5], off, s29
	v_mov_b32_e32 v6, 0
	s_delay_alu instid0(VALU_DEP_1)
	v_dual_mov_b32 v7, v6 :: v_dual_mov_b32 v8, v6
	v_mov_b32_e32 v9, v6
	scratch_store_b128 off, v[6:9], off offset:336
	s_wait_loadcnt 0x0
	ds_store_b128 v106, v[2:5]
.LBB40_217:
	s_wait_xcnt 0x0
	s_or_b32 exec_lo, exec_lo, s2
	s_wait_storecnt_dscnt 0x0
	s_barrier_signal -1
	s_barrier_wait -1
	s_clause 0x9
	scratch_load_b128 v[4:7], off, off offset:352
	scratch_load_b128 v[8:11], off, off offset:368
	;; [unrolled: 1-line block ×10, first 2 shown]
	v_mov_b32_e32 v2, 0
	s_mov_b32 s2, exec_lo
	ds_load_b128 v[128:131], v2 offset:1008
	s_clause 0x2
	scratch_load_b128 v[132:135], off, off offset:512
	scratch_load_b128 v[136:139], off, off offset:336
	;; [unrolled: 1-line block ×3, first 2 shown]
	s_wait_loadcnt_dscnt 0xc00
	v_mul_f64_e32 v[148:149], v[130:131], v[6:7]
	v_mul_f64_e32 v[152:153], v[128:129], v[6:7]
	ds_load_b128 v[140:143], v2 offset:1024
	v_fma_f64 v[156:157], v[128:129], v[4:5], -v[148:149]
	v_fmac_f64_e32 v[152:153], v[130:131], v[4:5]
	ds_load_b128 v[4:7], v2 offset:1040
	s_wait_loadcnt_dscnt 0xb01
	v_mul_f64_e32 v[154:155], v[140:141], v[10:11]
	v_mul_f64_e32 v[10:11], v[142:143], v[10:11]
	scratch_load_b128 v[128:131], off, off offset:544
	ds_load_b128 v[148:151], v2 offset:1056
	s_wait_loadcnt_dscnt 0xb01
	v_mul_f64_e32 v[158:159], v[4:5], v[14:15]
	v_mul_f64_e32 v[14:15], v[6:7], v[14:15]
	v_add_f64_e32 v[152:153], 0, v[152:153]
	v_fmac_f64_e32 v[154:155], v[142:143], v[8:9]
	v_fma_f64 v[140:141], v[140:141], v[8:9], -v[10:11]
	v_add_f64_e32 v[142:143], 0, v[156:157]
	scratch_load_b128 v[8:11], off, off offset:560
	v_fmac_f64_e32 v[158:159], v[6:7], v[12:13]
	v_fma_f64 v[160:161], v[4:5], v[12:13], -v[14:15]
	ds_load_b128 v[4:7], v2 offset:1072
	s_wait_loadcnt_dscnt 0xb01
	v_mul_f64_e32 v[156:157], v[148:149], v[18:19]
	v_mul_f64_e32 v[18:19], v[150:151], v[18:19]
	scratch_load_b128 v[12:15], off, off offset:576
	v_add_f64_e32 v[152:153], v[152:153], v[154:155]
	v_add_f64_e32 v[162:163], v[142:143], v[140:141]
	ds_load_b128 v[140:143], v2 offset:1088
	s_wait_loadcnt_dscnt 0xb01
	v_mul_f64_e32 v[154:155], v[4:5], v[22:23]
	v_mul_f64_e32 v[22:23], v[6:7], v[22:23]
	v_fmac_f64_e32 v[156:157], v[150:151], v[16:17]
	v_fma_f64 v[148:149], v[148:149], v[16:17], -v[18:19]
	scratch_load_b128 v[16:19], off, off offset:592
	v_add_f64_e32 v[152:153], v[152:153], v[158:159]
	v_add_f64_e32 v[150:151], v[162:163], v[160:161]
	v_fmac_f64_e32 v[154:155], v[6:7], v[20:21]
	v_fma_f64 v[160:161], v[4:5], v[20:21], -v[22:23]
	ds_load_b128 v[4:7], v2 offset:1104
	s_wait_loadcnt_dscnt 0xb01
	v_mul_f64_e32 v[158:159], v[140:141], v[110:111]
	v_mul_f64_e32 v[110:111], v[142:143], v[110:111]
	scratch_load_b128 v[20:23], off, off offset:608
	v_add_f64_e32 v[152:153], v[152:153], v[156:157]
	s_wait_loadcnt_dscnt 0xb00
	v_mul_f64_e32 v[156:157], v[4:5], v[114:115]
	v_add_f64_e32 v[162:163], v[150:151], v[148:149]
	v_mul_f64_e32 v[114:115], v[6:7], v[114:115]
	ds_load_b128 v[148:151], v2 offset:1120
	v_fmac_f64_e32 v[158:159], v[142:143], v[108:109]
	v_fma_f64 v[140:141], v[140:141], v[108:109], -v[110:111]
	scratch_load_b128 v[108:111], off, off offset:624
	v_add_f64_e32 v[152:153], v[152:153], v[154:155]
	v_fmac_f64_e32 v[156:157], v[6:7], v[112:113]
	v_add_f64_e32 v[142:143], v[162:163], v[160:161]
	v_fma_f64 v[160:161], v[4:5], v[112:113], -v[114:115]
	ds_load_b128 v[4:7], v2 offset:1136
	s_wait_loadcnt_dscnt 0xb01
	v_mul_f64_e32 v[154:155], v[148:149], v[118:119]
	v_mul_f64_e32 v[118:119], v[150:151], v[118:119]
	scratch_load_b128 v[112:115], off, off offset:640
	v_add_f64_e32 v[152:153], v[152:153], v[158:159]
	s_wait_loadcnt_dscnt 0xb00
	v_mul_f64_e32 v[158:159], v[4:5], v[122:123]
	v_add_f64_e32 v[162:163], v[142:143], v[140:141]
	v_mul_f64_e32 v[122:123], v[6:7], v[122:123]
	ds_load_b128 v[140:143], v2 offset:1152
	v_fmac_f64_e32 v[154:155], v[150:151], v[116:117]
	v_fma_f64 v[116:117], v[148:149], v[116:117], -v[118:119]
	s_wait_loadcnt_dscnt 0xa00
	v_mul_f64_e32 v[150:151], v[140:141], v[126:127]
	v_mul_f64_e32 v[126:127], v[142:143], v[126:127]
	v_add_f64_e32 v[148:149], v[152:153], v[156:157]
	v_fmac_f64_e32 v[158:159], v[6:7], v[120:121]
	v_add_f64_e32 v[118:119], v[162:163], v[160:161]
	v_fma_f64 v[120:121], v[4:5], v[120:121], -v[122:123]
	v_fmac_f64_e32 v[150:151], v[142:143], v[124:125]
	v_fma_f64 v[124:125], v[140:141], v[124:125], -v[126:127]
	v_add_f64_e32 v[148:149], v[148:149], v[154:155]
	v_add_f64_e32 v[122:123], v[118:119], v[116:117]
	ds_load_b128 v[4:7], v2 offset:1168
	ds_load_b128 v[116:119], v2 offset:1184
	s_wait_loadcnt_dscnt 0x901
	v_mul_f64_e32 v[152:153], v[4:5], v[134:135]
	v_mul_f64_e32 v[134:135], v[6:7], v[134:135]
	s_wait_loadcnt_dscnt 0x700
	v_mul_f64_e32 v[126:127], v[116:117], v[146:147]
	v_mul_f64_e32 v[140:141], v[118:119], v[146:147]
	v_add_f64_e32 v[120:121], v[122:123], v[120:121]
	v_add_f64_e32 v[122:123], v[148:149], v[158:159]
	v_fmac_f64_e32 v[152:153], v[6:7], v[132:133]
	v_fma_f64 v[132:133], v[4:5], v[132:133], -v[134:135]
	v_fmac_f64_e32 v[126:127], v[118:119], v[144:145]
	v_fma_f64 v[116:117], v[116:117], v[144:145], -v[140:141]
	v_add_f64_e32 v[124:125], v[120:121], v[124:125]
	v_add_f64_e32 v[134:135], v[122:123], v[150:151]
	ds_load_b128 v[4:7], v2 offset:1200
	ds_load_b128 v[120:123], v2 offset:1216
	s_wait_loadcnt_dscnt 0x601
	v_mul_f64_e32 v[142:143], v[4:5], v[130:131]
	v_mul_f64_e32 v[130:131], v[6:7], v[130:131]
	v_add_f64_e32 v[118:119], v[124:125], v[132:133]
	v_add_f64_e32 v[124:125], v[134:135], v[152:153]
	s_wait_loadcnt_dscnt 0x500
	v_mul_f64_e32 v[132:133], v[120:121], v[10:11]
	v_mul_f64_e32 v[10:11], v[122:123], v[10:11]
	v_fmac_f64_e32 v[142:143], v[6:7], v[128:129]
	v_fma_f64 v[128:129], v[4:5], v[128:129], -v[130:131]
	v_add_f64_e32 v[130:131], v[118:119], v[116:117]
	v_add_f64_e32 v[124:125], v[124:125], v[126:127]
	ds_load_b128 v[4:7], v2 offset:1232
	ds_load_b128 v[116:119], v2 offset:1248
	v_fmac_f64_e32 v[132:133], v[122:123], v[8:9]
	v_fma_f64 v[8:9], v[120:121], v[8:9], -v[10:11]
	s_wait_loadcnt_dscnt 0x401
	v_mul_f64_e32 v[126:127], v[4:5], v[14:15]
	v_mul_f64_e32 v[14:15], v[6:7], v[14:15]
	s_wait_loadcnt_dscnt 0x300
	v_mul_f64_e32 v[122:123], v[116:117], v[18:19]
	v_mul_f64_e32 v[18:19], v[118:119], v[18:19]
	v_add_f64_e32 v[10:11], v[130:131], v[128:129]
	v_add_f64_e32 v[120:121], v[124:125], v[142:143]
	v_fmac_f64_e32 v[126:127], v[6:7], v[12:13]
	v_fma_f64 v[12:13], v[4:5], v[12:13], -v[14:15]
	v_fmac_f64_e32 v[122:123], v[118:119], v[16:17]
	v_fma_f64 v[16:17], v[116:117], v[16:17], -v[18:19]
	v_add_f64_e32 v[14:15], v[10:11], v[8:9]
	v_add_f64_e32 v[120:121], v[120:121], v[132:133]
	ds_load_b128 v[4:7], v2 offset:1264
	ds_load_b128 v[8:11], v2 offset:1280
	s_wait_loadcnt_dscnt 0x201
	v_mul_f64_e32 v[124:125], v[4:5], v[22:23]
	v_mul_f64_e32 v[22:23], v[6:7], v[22:23]
	s_wait_loadcnt_dscnt 0x100
	v_mul_f64_e32 v[18:19], v[8:9], v[110:111]
	v_mul_f64_e32 v[110:111], v[10:11], v[110:111]
	v_add_f64_e32 v[12:13], v[14:15], v[12:13]
	v_add_f64_e32 v[14:15], v[120:121], v[126:127]
	v_fmac_f64_e32 v[124:125], v[6:7], v[20:21]
	v_fma_f64 v[20:21], v[4:5], v[20:21], -v[22:23]
	ds_load_b128 v[4:7], v2 offset:1296
	v_fmac_f64_e32 v[18:19], v[10:11], v[108:109]
	v_fma_f64 v[8:9], v[8:9], v[108:109], -v[110:111]
	v_add_f64_e32 v[12:13], v[12:13], v[16:17]
	v_add_f64_e32 v[14:15], v[14:15], v[122:123]
	s_wait_loadcnt_dscnt 0x0
	v_mul_f64_e32 v[16:17], v[4:5], v[114:115]
	v_mul_f64_e32 v[22:23], v[6:7], v[114:115]
	s_delay_alu instid0(VALU_DEP_4) | instskip(NEXT) | instid1(VALU_DEP_4)
	v_add_f64_e32 v[10:11], v[12:13], v[20:21]
	v_add_f64_e32 v[12:13], v[14:15], v[124:125]
	s_delay_alu instid0(VALU_DEP_4) | instskip(NEXT) | instid1(VALU_DEP_4)
	v_fmac_f64_e32 v[16:17], v[6:7], v[112:113]
	v_fma_f64 v[4:5], v[4:5], v[112:113], -v[22:23]
	s_delay_alu instid0(VALU_DEP_4) | instskip(NEXT) | instid1(VALU_DEP_4)
	v_add_f64_e32 v[6:7], v[10:11], v[8:9]
	v_add_f64_e32 v[8:9], v[12:13], v[18:19]
	s_delay_alu instid0(VALU_DEP_2) | instskip(NEXT) | instid1(VALU_DEP_2)
	v_add_f64_e32 v[4:5], v[6:7], v[4:5]
	v_add_f64_e32 v[6:7], v[8:9], v[16:17]
	s_delay_alu instid0(VALU_DEP_2) | instskip(NEXT) | instid1(VALU_DEP_2)
	v_add_f64_e64 v[4:5], v[136:137], -v[4:5]
	v_add_f64_e64 v[6:7], v[138:139], -v[6:7]
	scratch_store_b128 off, v[4:7], off offset:336
	s_wait_xcnt 0x0
	v_cmpx_lt_u32_e32 20, v1
	s_cbranch_execz .LBB40_219
; %bb.218:
	scratch_load_b128 v[6:9], off, s37
	v_dual_mov_b32 v3, v2 :: v_dual_mov_b32 v4, v2
	v_mov_b32_e32 v5, v2
	scratch_store_b128 off, v[2:5], off offset:320
	s_wait_loadcnt 0x0
	ds_store_b128 v106, v[6:9]
.LBB40_219:
	s_wait_xcnt 0x0
	s_or_b32 exec_lo, exec_lo, s2
	s_wait_storecnt_dscnt 0x0
	s_barrier_signal -1
	s_barrier_wait -1
	s_clause 0x9
	scratch_load_b128 v[4:7], off, off offset:336
	scratch_load_b128 v[8:11], off, off offset:352
	;; [unrolled: 1-line block ×10, first 2 shown]
	ds_load_b128 v[128:131], v2 offset:992
	ds_load_b128 v[136:139], v2 offset:1008
	s_clause 0x2
	scratch_load_b128 v[132:135], off, off offset:496
	scratch_load_b128 v[140:143], off, off offset:320
	;; [unrolled: 1-line block ×3, first 2 shown]
	s_mov_b32 s2, exec_lo
	s_wait_loadcnt_dscnt 0xc01
	v_mul_f64_e32 v[148:149], v[130:131], v[6:7]
	v_mul_f64_e32 v[152:153], v[128:129], v[6:7]
	s_wait_loadcnt_dscnt 0xb00
	v_mul_f64_e32 v[154:155], v[136:137], v[10:11]
	v_mul_f64_e32 v[10:11], v[138:139], v[10:11]
	s_delay_alu instid0(VALU_DEP_4) | instskip(NEXT) | instid1(VALU_DEP_4)
	v_fma_f64 v[156:157], v[128:129], v[4:5], -v[148:149]
	v_fmac_f64_e32 v[152:153], v[130:131], v[4:5]
	ds_load_b128 v[4:7], v2 offset:1024
	ds_load_b128 v[128:131], v2 offset:1040
	scratch_load_b128 v[148:151], off, off offset:528
	v_fmac_f64_e32 v[154:155], v[138:139], v[8:9]
	v_fma_f64 v[136:137], v[136:137], v[8:9], -v[10:11]
	scratch_load_b128 v[8:11], off, off offset:544
	s_wait_loadcnt_dscnt 0xc01
	v_mul_f64_e32 v[158:159], v[4:5], v[14:15]
	v_mul_f64_e32 v[14:15], v[6:7], v[14:15]
	v_add_f64_e32 v[138:139], 0, v[156:157]
	v_add_f64_e32 v[152:153], 0, v[152:153]
	s_wait_loadcnt_dscnt 0xb00
	v_mul_f64_e32 v[156:157], v[128:129], v[18:19]
	v_mul_f64_e32 v[18:19], v[130:131], v[18:19]
	v_fmac_f64_e32 v[158:159], v[6:7], v[12:13]
	v_fma_f64 v[160:161], v[4:5], v[12:13], -v[14:15]
	ds_load_b128 v[4:7], v2 offset:1056
	ds_load_b128 v[12:15], v2 offset:1072
	v_add_f64_e32 v[162:163], v[138:139], v[136:137]
	v_add_f64_e32 v[152:153], v[152:153], v[154:155]
	scratch_load_b128 v[136:139], off, off offset:560
	v_fmac_f64_e32 v[156:157], v[130:131], v[16:17]
	v_fma_f64 v[128:129], v[128:129], v[16:17], -v[18:19]
	scratch_load_b128 v[16:19], off, off offset:576
	s_wait_loadcnt_dscnt 0xc01
	v_mul_f64_e32 v[154:155], v[4:5], v[22:23]
	v_mul_f64_e32 v[22:23], v[6:7], v[22:23]
	v_add_f64_e32 v[130:131], v[162:163], v[160:161]
	v_add_f64_e32 v[152:153], v[152:153], v[158:159]
	s_wait_loadcnt_dscnt 0xb00
	v_mul_f64_e32 v[158:159], v[12:13], v[110:111]
	v_mul_f64_e32 v[110:111], v[14:15], v[110:111]
	v_fmac_f64_e32 v[154:155], v[6:7], v[20:21]
	v_fma_f64 v[160:161], v[4:5], v[20:21], -v[22:23]
	ds_load_b128 v[4:7], v2 offset:1088
	ds_load_b128 v[20:23], v2 offset:1104
	v_add_f64_e32 v[162:163], v[130:131], v[128:129]
	v_add_f64_e32 v[152:153], v[152:153], v[156:157]
	scratch_load_b128 v[128:131], off, off offset:592
	s_wait_loadcnt_dscnt 0xb01
	v_mul_f64_e32 v[156:157], v[4:5], v[114:115]
	v_mul_f64_e32 v[114:115], v[6:7], v[114:115]
	v_fmac_f64_e32 v[158:159], v[14:15], v[108:109]
	v_fma_f64 v[108:109], v[12:13], v[108:109], -v[110:111]
	scratch_load_b128 v[12:15], off, off offset:608
	v_add_f64_e32 v[110:111], v[162:163], v[160:161]
	v_add_f64_e32 v[152:153], v[152:153], v[154:155]
	s_wait_loadcnt_dscnt 0xb00
	v_mul_f64_e32 v[154:155], v[20:21], v[118:119]
	v_mul_f64_e32 v[118:119], v[22:23], v[118:119]
	v_fmac_f64_e32 v[156:157], v[6:7], v[112:113]
	v_fma_f64 v[160:161], v[4:5], v[112:113], -v[114:115]
	v_add_f64_e32 v[162:163], v[110:111], v[108:109]
	v_add_f64_e32 v[152:153], v[152:153], v[158:159]
	ds_load_b128 v[4:7], v2 offset:1120
	ds_load_b128 v[108:111], v2 offset:1136
	scratch_load_b128 v[112:115], off, off offset:624
	v_fmac_f64_e32 v[154:155], v[22:23], v[116:117]
	v_fma_f64 v[116:117], v[20:21], v[116:117], -v[118:119]
	scratch_load_b128 v[20:23], off, off offset:640
	s_wait_loadcnt_dscnt 0xc01
	v_mul_f64_e32 v[158:159], v[4:5], v[122:123]
	v_mul_f64_e32 v[122:123], v[6:7], v[122:123]
	v_add_f64_e32 v[118:119], v[162:163], v[160:161]
	v_add_f64_e32 v[152:153], v[152:153], v[156:157]
	s_wait_loadcnt_dscnt 0xb00
	v_mul_f64_e32 v[156:157], v[108:109], v[126:127]
	v_mul_f64_e32 v[126:127], v[110:111], v[126:127]
	v_fmac_f64_e32 v[158:159], v[6:7], v[120:121]
	v_fma_f64 v[120:121], v[4:5], v[120:121], -v[122:123]
	v_add_f64_e32 v[122:123], v[118:119], v[116:117]
	v_add_f64_e32 v[152:153], v[152:153], v[154:155]
	ds_load_b128 v[4:7], v2 offset:1152
	ds_load_b128 v[116:119], v2 offset:1168
	v_fmac_f64_e32 v[156:157], v[110:111], v[124:125]
	v_fma_f64 v[108:109], v[108:109], v[124:125], -v[126:127]
	s_wait_loadcnt_dscnt 0xa01
	v_mul_f64_e32 v[154:155], v[4:5], v[134:135]
	v_mul_f64_e32 v[134:135], v[6:7], v[134:135]
	s_wait_loadcnt_dscnt 0x800
	v_mul_f64_e32 v[124:125], v[118:119], v[146:147]
	v_add_f64_e32 v[110:111], v[122:123], v[120:121]
	v_add_f64_e32 v[120:121], v[152:153], v[158:159]
	v_mul_f64_e32 v[122:123], v[116:117], v[146:147]
	v_fmac_f64_e32 v[154:155], v[6:7], v[132:133]
	v_fma_f64 v[126:127], v[4:5], v[132:133], -v[134:135]
	v_fma_f64 v[116:117], v[116:117], v[144:145], -v[124:125]
	v_add_f64_e32 v[132:133], v[110:111], v[108:109]
	v_add_f64_e32 v[120:121], v[120:121], v[156:157]
	ds_load_b128 v[4:7], v2 offset:1184
	ds_load_b128 v[108:111], v2 offset:1200
	v_fmac_f64_e32 v[122:123], v[118:119], v[144:145]
	s_wait_loadcnt_dscnt 0x701
	v_mul_f64_e32 v[134:135], v[4:5], v[150:151]
	v_mul_f64_e32 v[146:147], v[6:7], v[150:151]
	s_wait_loadcnt_dscnt 0x600
	v_mul_f64_e32 v[124:125], v[108:109], v[10:11]
	v_mul_f64_e32 v[10:11], v[110:111], v[10:11]
	v_add_f64_e32 v[118:119], v[132:133], v[126:127]
	v_add_f64_e32 v[120:121], v[120:121], v[154:155]
	v_fmac_f64_e32 v[134:135], v[6:7], v[148:149]
	v_fma_f64 v[126:127], v[4:5], v[148:149], -v[146:147]
	v_fmac_f64_e32 v[124:125], v[110:111], v[8:9]
	v_fma_f64 v[8:9], v[108:109], v[8:9], -v[10:11]
	v_add_f64_e32 v[132:133], v[118:119], v[116:117]
	v_add_f64_e32 v[120:121], v[120:121], v[122:123]
	ds_load_b128 v[4:7], v2 offset:1216
	ds_load_b128 v[116:119], v2 offset:1232
	s_wait_loadcnt_dscnt 0x501
	v_mul_f64_e32 v[122:123], v[4:5], v[138:139]
	v_mul_f64_e32 v[138:139], v[6:7], v[138:139]
	s_wait_loadcnt_dscnt 0x400
	v_mul_f64_e32 v[110:111], v[116:117], v[18:19]
	v_mul_f64_e32 v[18:19], v[118:119], v[18:19]
	v_add_f64_e32 v[10:11], v[132:133], v[126:127]
	v_add_f64_e32 v[108:109], v[120:121], v[134:135]
	v_fmac_f64_e32 v[122:123], v[6:7], v[136:137]
	v_fma_f64 v[120:121], v[4:5], v[136:137], -v[138:139]
	v_fmac_f64_e32 v[110:111], v[118:119], v[16:17]
	v_fma_f64 v[16:17], v[116:117], v[16:17], -v[18:19]
	v_add_f64_e32 v[126:127], v[10:11], v[8:9]
	v_add_f64_e32 v[108:109], v[108:109], v[124:125]
	ds_load_b128 v[4:7], v2 offset:1248
	ds_load_b128 v[8:11], v2 offset:1264
	;; [unrolled: 16-line block ×3, first 2 shown]
	s_wait_loadcnt_dscnt 0x101
	v_mul_f64_e32 v[2:3], v[4:5], v[114:115]
	v_mul_f64_e32 v[110:111], v[6:7], v[114:115]
	v_add_f64_e32 v[10:11], v[18:19], v[120:121]
	v_add_f64_e32 v[12:13], v[108:109], v[124:125]
	s_wait_loadcnt_dscnt 0x0
	v_mul_f64_e32 v[18:19], v[14:15], v[22:23]
	v_mul_f64_e32 v[22:23], v[16:17], v[22:23]
	v_fmac_f64_e32 v[2:3], v[6:7], v[112:113]
	v_fma_f64 v[4:5], v[4:5], v[112:113], -v[110:111]
	v_add_f64_e32 v[6:7], v[10:11], v[8:9]
	v_add_f64_e32 v[8:9], v[12:13], v[116:117]
	v_fmac_f64_e32 v[18:19], v[16:17], v[20:21]
	v_fma_f64 v[10:11], v[14:15], v[20:21], -v[22:23]
	s_delay_alu instid0(VALU_DEP_4) | instskip(NEXT) | instid1(VALU_DEP_4)
	v_add_f64_e32 v[4:5], v[6:7], v[4:5]
	v_add_f64_e32 v[2:3], v[8:9], v[2:3]
	s_delay_alu instid0(VALU_DEP_2) | instskip(NEXT) | instid1(VALU_DEP_2)
	v_add_f64_e32 v[4:5], v[4:5], v[10:11]
	v_add_f64_e32 v[6:7], v[2:3], v[18:19]
	s_delay_alu instid0(VALU_DEP_2) | instskip(NEXT) | instid1(VALU_DEP_2)
	v_add_f64_e64 v[2:3], v[140:141], -v[4:5]
	v_add_f64_e64 v[4:5], v[142:143], -v[6:7]
	scratch_store_b128 off, v[2:5], off offset:320
	s_wait_xcnt 0x0
	v_cmpx_lt_u32_e32 19, v1
	s_cbranch_execz .LBB40_221
; %bb.220:
	scratch_load_b128 v[2:5], off, s34
	v_mov_b32_e32 v6, 0
	s_delay_alu instid0(VALU_DEP_1)
	v_dual_mov_b32 v7, v6 :: v_dual_mov_b32 v8, v6
	v_mov_b32_e32 v9, v6
	scratch_store_b128 off, v[6:9], off offset:304
	s_wait_loadcnt 0x0
	ds_store_b128 v106, v[2:5]
.LBB40_221:
	s_wait_xcnt 0x0
	s_or_b32 exec_lo, exec_lo, s2
	s_wait_storecnt_dscnt 0x0
	s_barrier_signal -1
	s_barrier_wait -1
	s_clause 0x9
	scratch_load_b128 v[4:7], off, off offset:320
	scratch_load_b128 v[8:11], off, off offset:336
	;; [unrolled: 1-line block ×10, first 2 shown]
	v_mov_b32_e32 v2, 0
	s_mov_b32 s2, exec_lo
	ds_load_b128 v[128:131], v2 offset:976
	s_clause 0x2
	scratch_load_b128 v[132:135], off, off offset:480
	scratch_load_b128 v[136:139], off, off offset:304
	;; [unrolled: 1-line block ×3, first 2 shown]
	s_wait_loadcnt_dscnt 0xc00
	v_mul_f64_e32 v[148:149], v[130:131], v[6:7]
	v_mul_f64_e32 v[152:153], v[128:129], v[6:7]
	ds_load_b128 v[140:143], v2 offset:992
	v_fma_f64 v[156:157], v[128:129], v[4:5], -v[148:149]
	v_fmac_f64_e32 v[152:153], v[130:131], v[4:5]
	ds_load_b128 v[4:7], v2 offset:1008
	s_wait_loadcnt_dscnt 0xb01
	v_mul_f64_e32 v[154:155], v[140:141], v[10:11]
	v_mul_f64_e32 v[10:11], v[142:143], v[10:11]
	scratch_load_b128 v[128:131], off, off offset:512
	ds_load_b128 v[148:151], v2 offset:1024
	s_wait_loadcnt_dscnt 0xb01
	v_mul_f64_e32 v[158:159], v[4:5], v[14:15]
	v_mul_f64_e32 v[14:15], v[6:7], v[14:15]
	v_add_f64_e32 v[152:153], 0, v[152:153]
	v_fmac_f64_e32 v[154:155], v[142:143], v[8:9]
	v_fma_f64 v[140:141], v[140:141], v[8:9], -v[10:11]
	v_add_f64_e32 v[142:143], 0, v[156:157]
	scratch_load_b128 v[8:11], off, off offset:528
	v_fmac_f64_e32 v[158:159], v[6:7], v[12:13]
	v_fma_f64 v[160:161], v[4:5], v[12:13], -v[14:15]
	ds_load_b128 v[4:7], v2 offset:1040
	s_wait_loadcnt_dscnt 0xb01
	v_mul_f64_e32 v[156:157], v[148:149], v[18:19]
	v_mul_f64_e32 v[18:19], v[150:151], v[18:19]
	scratch_load_b128 v[12:15], off, off offset:544
	v_add_f64_e32 v[152:153], v[152:153], v[154:155]
	v_add_f64_e32 v[162:163], v[142:143], v[140:141]
	ds_load_b128 v[140:143], v2 offset:1056
	s_wait_loadcnt_dscnt 0xb01
	v_mul_f64_e32 v[154:155], v[4:5], v[22:23]
	v_mul_f64_e32 v[22:23], v[6:7], v[22:23]
	v_fmac_f64_e32 v[156:157], v[150:151], v[16:17]
	v_fma_f64 v[148:149], v[148:149], v[16:17], -v[18:19]
	scratch_load_b128 v[16:19], off, off offset:560
	v_add_f64_e32 v[152:153], v[152:153], v[158:159]
	v_add_f64_e32 v[150:151], v[162:163], v[160:161]
	v_fmac_f64_e32 v[154:155], v[6:7], v[20:21]
	v_fma_f64 v[160:161], v[4:5], v[20:21], -v[22:23]
	ds_load_b128 v[4:7], v2 offset:1072
	s_wait_loadcnt_dscnt 0xb01
	v_mul_f64_e32 v[158:159], v[140:141], v[110:111]
	v_mul_f64_e32 v[110:111], v[142:143], v[110:111]
	scratch_load_b128 v[20:23], off, off offset:576
	v_add_f64_e32 v[152:153], v[152:153], v[156:157]
	s_wait_loadcnt_dscnt 0xb00
	v_mul_f64_e32 v[156:157], v[4:5], v[114:115]
	v_add_f64_e32 v[162:163], v[150:151], v[148:149]
	v_mul_f64_e32 v[114:115], v[6:7], v[114:115]
	ds_load_b128 v[148:151], v2 offset:1088
	v_fmac_f64_e32 v[158:159], v[142:143], v[108:109]
	v_fma_f64 v[140:141], v[140:141], v[108:109], -v[110:111]
	scratch_load_b128 v[108:111], off, off offset:592
	v_add_f64_e32 v[152:153], v[152:153], v[154:155]
	v_fmac_f64_e32 v[156:157], v[6:7], v[112:113]
	v_add_f64_e32 v[142:143], v[162:163], v[160:161]
	v_fma_f64 v[160:161], v[4:5], v[112:113], -v[114:115]
	ds_load_b128 v[4:7], v2 offset:1104
	s_wait_loadcnt_dscnt 0xb01
	v_mul_f64_e32 v[154:155], v[148:149], v[118:119]
	v_mul_f64_e32 v[118:119], v[150:151], v[118:119]
	scratch_load_b128 v[112:115], off, off offset:608
	v_add_f64_e32 v[152:153], v[152:153], v[158:159]
	s_wait_loadcnt_dscnt 0xb00
	v_mul_f64_e32 v[158:159], v[4:5], v[122:123]
	v_add_f64_e32 v[162:163], v[142:143], v[140:141]
	v_mul_f64_e32 v[122:123], v[6:7], v[122:123]
	ds_load_b128 v[140:143], v2 offset:1120
	v_fmac_f64_e32 v[154:155], v[150:151], v[116:117]
	v_fma_f64 v[148:149], v[148:149], v[116:117], -v[118:119]
	scratch_load_b128 v[116:119], off, off offset:624
	v_add_f64_e32 v[152:153], v[152:153], v[156:157]
	v_fmac_f64_e32 v[158:159], v[6:7], v[120:121]
	v_add_f64_e32 v[150:151], v[162:163], v[160:161]
	v_fma_f64 v[160:161], v[4:5], v[120:121], -v[122:123]
	ds_load_b128 v[4:7], v2 offset:1136
	s_wait_loadcnt_dscnt 0xb01
	v_mul_f64_e32 v[156:157], v[140:141], v[126:127]
	v_mul_f64_e32 v[126:127], v[142:143], v[126:127]
	scratch_load_b128 v[120:123], off, off offset:640
	v_add_f64_e32 v[152:153], v[152:153], v[154:155]
	s_wait_loadcnt_dscnt 0xb00
	v_mul_f64_e32 v[154:155], v[4:5], v[134:135]
	v_add_f64_e32 v[162:163], v[150:151], v[148:149]
	v_mul_f64_e32 v[134:135], v[6:7], v[134:135]
	ds_load_b128 v[148:151], v2 offset:1152
	v_fmac_f64_e32 v[156:157], v[142:143], v[124:125]
	v_fma_f64 v[124:125], v[140:141], v[124:125], -v[126:127]
	s_wait_loadcnt_dscnt 0x900
	v_mul_f64_e32 v[142:143], v[148:149], v[146:147]
	v_mul_f64_e32 v[146:147], v[150:151], v[146:147]
	v_add_f64_e32 v[140:141], v[152:153], v[158:159]
	v_fmac_f64_e32 v[154:155], v[6:7], v[132:133]
	v_add_f64_e32 v[126:127], v[162:163], v[160:161]
	v_fma_f64 v[132:133], v[4:5], v[132:133], -v[134:135]
	v_fmac_f64_e32 v[142:143], v[150:151], v[144:145]
	v_fma_f64 v[144:145], v[148:149], v[144:145], -v[146:147]
	v_add_f64_e32 v[140:141], v[140:141], v[156:157]
	v_add_f64_e32 v[134:135], v[126:127], v[124:125]
	ds_load_b128 v[4:7], v2 offset:1168
	ds_load_b128 v[124:127], v2 offset:1184
	s_wait_loadcnt_dscnt 0x801
	v_mul_f64_e32 v[152:153], v[4:5], v[130:131]
	v_mul_f64_e32 v[130:131], v[6:7], v[130:131]
	v_add_f64_e32 v[132:133], v[134:135], v[132:133]
	v_add_f64_e32 v[134:135], v[140:141], v[154:155]
	s_wait_loadcnt_dscnt 0x700
	v_mul_f64_e32 v[140:141], v[124:125], v[10:11]
	v_mul_f64_e32 v[10:11], v[126:127], v[10:11]
	v_fmac_f64_e32 v[152:153], v[6:7], v[128:129]
	v_fma_f64 v[146:147], v[4:5], v[128:129], -v[130:131]
	ds_load_b128 v[4:7], v2 offset:1200
	ds_load_b128 v[128:131], v2 offset:1216
	v_add_f64_e32 v[132:133], v[132:133], v[144:145]
	v_add_f64_e32 v[134:135], v[134:135], v[142:143]
	v_fmac_f64_e32 v[140:141], v[126:127], v[8:9]
	v_fma_f64 v[8:9], v[124:125], v[8:9], -v[10:11]
	s_wait_loadcnt_dscnt 0x601
	v_mul_f64_e32 v[142:143], v[4:5], v[14:15]
	v_mul_f64_e32 v[14:15], v[6:7], v[14:15]
	s_wait_loadcnt_dscnt 0x500
	v_mul_f64_e32 v[126:127], v[128:129], v[18:19]
	v_mul_f64_e32 v[18:19], v[130:131], v[18:19]
	v_add_f64_e32 v[10:11], v[132:133], v[146:147]
	v_add_f64_e32 v[124:125], v[134:135], v[152:153]
	v_fmac_f64_e32 v[142:143], v[6:7], v[12:13]
	v_fma_f64 v[12:13], v[4:5], v[12:13], -v[14:15]
	v_fmac_f64_e32 v[126:127], v[130:131], v[16:17]
	v_fma_f64 v[16:17], v[128:129], v[16:17], -v[18:19]
	v_add_f64_e32 v[14:15], v[10:11], v[8:9]
	v_add_f64_e32 v[124:125], v[124:125], v[140:141]
	ds_load_b128 v[4:7], v2 offset:1232
	ds_load_b128 v[8:11], v2 offset:1248
	s_wait_loadcnt_dscnt 0x401
	v_mul_f64_e32 v[132:133], v[4:5], v[22:23]
	v_mul_f64_e32 v[22:23], v[6:7], v[22:23]
	s_wait_loadcnt_dscnt 0x300
	v_mul_f64_e32 v[18:19], v[8:9], v[110:111]
	v_mul_f64_e32 v[110:111], v[10:11], v[110:111]
	v_add_f64_e32 v[12:13], v[14:15], v[12:13]
	v_add_f64_e32 v[14:15], v[124:125], v[142:143]
	v_fmac_f64_e32 v[132:133], v[6:7], v[20:21]
	v_fma_f64 v[20:21], v[4:5], v[20:21], -v[22:23]
	v_fmac_f64_e32 v[18:19], v[10:11], v[108:109]
	v_fma_f64 v[8:9], v[8:9], v[108:109], -v[110:111]
	v_add_f64_e32 v[16:17], v[12:13], v[16:17]
	v_add_f64_e32 v[22:23], v[14:15], v[126:127]
	ds_load_b128 v[4:7], v2 offset:1264
	ds_load_b128 v[12:15], v2 offset:1280
	s_wait_loadcnt_dscnt 0x201
	v_mul_f64_e32 v[124:125], v[4:5], v[114:115]
	v_mul_f64_e32 v[114:115], v[6:7], v[114:115]
	v_add_f64_e32 v[10:11], v[16:17], v[20:21]
	v_add_f64_e32 v[16:17], v[22:23], v[132:133]
	s_wait_loadcnt_dscnt 0x100
	v_mul_f64_e32 v[20:21], v[12:13], v[118:119]
	v_mul_f64_e32 v[22:23], v[14:15], v[118:119]
	v_fmac_f64_e32 v[124:125], v[6:7], v[112:113]
	v_fma_f64 v[108:109], v[4:5], v[112:113], -v[114:115]
	ds_load_b128 v[4:7], v2 offset:1296
	v_add_f64_e32 v[8:9], v[10:11], v[8:9]
	v_add_f64_e32 v[10:11], v[16:17], v[18:19]
	v_fmac_f64_e32 v[20:21], v[14:15], v[116:117]
	v_fma_f64 v[12:13], v[12:13], v[116:117], -v[22:23]
	s_wait_loadcnt_dscnt 0x0
	v_mul_f64_e32 v[16:17], v[4:5], v[122:123]
	v_mul_f64_e32 v[18:19], v[6:7], v[122:123]
	v_add_f64_e32 v[8:9], v[8:9], v[108:109]
	v_add_f64_e32 v[10:11], v[10:11], v[124:125]
	s_delay_alu instid0(VALU_DEP_4) | instskip(NEXT) | instid1(VALU_DEP_4)
	v_fmac_f64_e32 v[16:17], v[6:7], v[120:121]
	v_fma_f64 v[4:5], v[4:5], v[120:121], -v[18:19]
	s_delay_alu instid0(VALU_DEP_4) | instskip(NEXT) | instid1(VALU_DEP_4)
	v_add_f64_e32 v[6:7], v[8:9], v[12:13]
	v_add_f64_e32 v[8:9], v[10:11], v[20:21]
	s_delay_alu instid0(VALU_DEP_2) | instskip(NEXT) | instid1(VALU_DEP_2)
	v_add_f64_e32 v[4:5], v[6:7], v[4:5]
	v_add_f64_e32 v[6:7], v[8:9], v[16:17]
	s_delay_alu instid0(VALU_DEP_2) | instskip(NEXT) | instid1(VALU_DEP_2)
	v_add_f64_e64 v[4:5], v[136:137], -v[4:5]
	v_add_f64_e64 v[6:7], v[138:139], -v[6:7]
	scratch_store_b128 off, v[4:7], off offset:304
	s_wait_xcnt 0x0
	v_cmpx_lt_u32_e32 18, v1
	s_cbranch_execz .LBB40_223
; %bb.222:
	scratch_load_b128 v[6:9], off, s33
	v_dual_mov_b32 v3, v2 :: v_dual_mov_b32 v4, v2
	v_mov_b32_e32 v5, v2
	scratch_store_b128 off, v[2:5], off offset:288
	s_wait_loadcnt 0x0
	ds_store_b128 v106, v[6:9]
.LBB40_223:
	s_wait_xcnt 0x0
	s_or_b32 exec_lo, exec_lo, s2
	s_wait_storecnt_dscnt 0x0
	s_barrier_signal -1
	s_barrier_wait -1
	s_clause 0x9
	scratch_load_b128 v[4:7], off, off offset:304
	scratch_load_b128 v[8:11], off, off offset:320
	;; [unrolled: 1-line block ×10, first 2 shown]
	ds_load_b128 v[128:131], v2 offset:960
	ds_load_b128 v[136:139], v2 offset:976
	s_clause 0x2
	scratch_load_b128 v[132:135], off, off offset:464
	scratch_load_b128 v[140:143], off, off offset:288
	;; [unrolled: 1-line block ×3, first 2 shown]
	s_mov_b32 s2, exec_lo
	s_wait_loadcnt_dscnt 0xc01
	v_mul_f64_e32 v[148:149], v[130:131], v[6:7]
	v_mul_f64_e32 v[152:153], v[128:129], v[6:7]
	s_wait_loadcnt_dscnt 0xb00
	v_mul_f64_e32 v[154:155], v[136:137], v[10:11]
	v_mul_f64_e32 v[10:11], v[138:139], v[10:11]
	s_delay_alu instid0(VALU_DEP_4) | instskip(NEXT) | instid1(VALU_DEP_4)
	v_fma_f64 v[156:157], v[128:129], v[4:5], -v[148:149]
	v_fmac_f64_e32 v[152:153], v[130:131], v[4:5]
	ds_load_b128 v[4:7], v2 offset:992
	ds_load_b128 v[128:131], v2 offset:1008
	scratch_load_b128 v[148:151], off, off offset:496
	v_fmac_f64_e32 v[154:155], v[138:139], v[8:9]
	v_fma_f64 v[136:137], v[136:137], v[8:9], -v[10:11]
	scratch_load_b128 v[8:11], off, off offset:512
	s_wait_loadcnt_dscnt 0xc01
	v_mul_f64_e32 v[158:159], v[4:5], v[14:15]
	v_mul_f64_e32 v[14:15], v[6:7], v[14:15]
	v_add_f64_e32 v[138:139], 0, v[156:157]
	v_add_f64_e32 v[152:153], 0, v[152:153]
	s_wait_loadcnt_dscnt 0xb00
	v_mul_f64_e32 v[156:157], v[128:129], v[18:19]
	v_mul_f64_e32 v[18:19], v[130:131], v[18:19]
	v_fmac_f64_e32 v[158:159], v[6:7], v[12:13]
	v_fma_f64 v[160:161], v[4:5], v[12:13], -v[14:15]
	ds_load_b128 v[4:7], v2 offset:1024
	ds_load_b128 v[12:15], v2 offset:1040
	v_add_f64_e32 v[162:163], v[138:139], v[136:137]
	v_add_f64_e32 v[152:153], v[152:153], v[154:155]
	scratch_load_b128 v[136:139], off, off offset:528
	v_fmac_f64_e32 v[156:157], v[130:131], v[16:17]
	v_fma_f64 v[128:129], v[128:129], v[16:17], -v[18:19]
	scratch_load_b128 v[16:19], off, off offset:544
	s_wait_loadcnt_dscnt 0xc01
	v_mul_f64_e32 v[154:155], v[4:5], v[22:23]
	v_mul_f64_e32 v[22:23], v[6:7], v[22:23]
	v_add_f64_e32 v[130:131], v[162:163], v[160:161]
	v_add_f64_e32 v[152:153], v[152:153], v[158:159]
	s_wait_loadcnt_dscnt 0xb00
	v_mul_f64_e32 v[158:159], v[12:13], v[110:111]
	v_mul_f64_e32 v[110:111], v[14:15], v[110:111]
	v_fmac_f64_e32 v[154:155], v[6:7], v[20:21]
	v_fma_f64 v[160:161], v[4:5], v[20:21], -v[22:23]
	ds_load_b128 v[4:7], v2 offset:1056
	ds_load_b128 v[20:23], v2 offset:1072
	v_add_f64_e32 v[162:163], v[130:131], v[128:129]
	v_add_f64_e32 v[152:153], v[152:153], v[156:157]
	scratch_load_b128 v[128:131], off, off offset:560
	s_wait_loadcnt_dscnt 0xb01
	v_mul_f64_e32 v[156:157], v[4:5], v[114:115]
	v_mul_f64_e32 v[114:115], v[6:7], v[114:115]
	v_fmac_f64_e32 v[158:159], v[14:15], v[108:109]
	v_fma_f64 v[108:109], v[12:13], v[108:109], -v[110:111]
	scratch_load_b128 v[12:15], off, off offset:576
	v_add_f64_e32 v[110:111], v[162:163], v[160:161]
	v_add_f64_e32 v[152:153], v[152:153], v[154:155]
	s_wait_loadcnt_dscnt 0xb00
	v_mul_f64_e32 v[154:155], v[20:21], v[118:119]
	v_mul_f64_e32 v[118:119], v[22:23], v[118:119]
	v_fmac_f64_e32 v[156:157], v[6:7], v[112:113]
	v_fma_f64 v[160:161], v[4:5], v[112:113], -v[114:115]
	v_add_f64_e32 v[162:163], v[110:111], v[108:109]
	v_add_f64_e32 v[152:153], v[152:153], v[158:159]
	ds_load_b128 v[4:7], v2 offset:1088
	ds_load_b128 v[108:111], v2 offset:1104
	scratch_load_b128 v[112:115], off, off offset:592
	v_fmac_f64_e32 v[154:155], v[22:23], v[116:117]
	v_fma_f64 v[116:117], v[20:21], v[116:117], -v[118:119]
	scratch_load_b128 v[20:23], off, off offset:608
	s_wait_loadcnt_dscnt 0xc01
	v_mul_f64_e32 v[158:159], v[4:5], v[122:123]
	v_mul_f64_e32 v[122:123], v[6:7], v[122:123]
	v_add_f64_e32 v[118:119], v[162:163], v[160:161]
	v_add_f64_e32 v[152:153], v[152:153], v[156:157]
	s_wait_loadcnt_dscnt 0xb00
	v_mul_f64_e32 v[156:157], v[108:109], v[126:127]
	v_mul_f64_e32 v[126:127], v[110:111], v[126:127]
	v_fmac_f64_e32 v[158:159], v[6:7], v[120:121]
	v_fma_f64 v[160:161], v[4:5], v[120:121], -v[122:123]
	v_add_f64_e32 v[162:163], v[118:119], v[116:117]
	v_add_f64_e32 v[152:153], v[152:153], v[154:155]
	ds_load_b128 v[4:7], v2 offset:1120
	ds_load_b128 v[116:119], v2 offset:1136
	scratch_load_b128 v[120:123], off, off offset:624
	v_fmac_f64_e32 v[156:157], v[110:111], v[124:125]
	v_fma_f64 v[124:125], v[108:109], v[124:125], -v[126:127]
	scratch_load_b128 v[108:111], off, off offset:640
	s_wait_loadcnt_dscnt 0xc01
	v_mul_f64_e32 v[154:155], v[4:5], v[134:135]
	v_mul_f64_e32 v[134:135], v[6:7], v[134:135]
	v_add_f64_e32 v[126:127], v[162:163], v[160:161]
	v_add_f64_e32 v[152:153], v[152:153], v[158:159]
	s_wait_loadcnt_dscnt 0xa00
	v_mul_f64_e32 v[158:159], v[116:117], v[146:147]
	v_mul_f64_e32 v[146:147], v[118:119], v[146:147]
	v_fmac_f64_e32 v[154:155], v[6:7], v[132:133]
	v_fma_f64 v[132:133], v[4:5], v[132:133], -v[134:135]
	v_add_f64_e32 v[134:135], v[126:127], v[124:125]
	v_add_f64_e32 v[152:153], v[152:153], v[156:157]
	ds_load_b128 v[4:7], v2 offset:1152
	ds_load_b128 v[124:127], v2 offset:1168
	v_fmac_f64_e32 v[158:159], v[118:119], v[144:145]
	v_fma_f64 v[116:117], v[116:117], v[144:145], -v[146:147]
	s_wait_loadcnt_dscnt 0x901
	v_mul_f64_e32 v[156:157], v[4:5], v[150:151]
	v_mul_f64_e32 v[150:151], v[6:7], v[150:151]
	v_add_f64_e32 v[118:119], v[134:135], v[132:133]
	v_add_f64_e32 v[132:133], v[152:153], v[154:155]
	s_wait_loadcnt_dscnt 0x800
	v_mul_f64_e32 v[134:135], v[124:125], v[10:11]
	v_mul_f64_e32 v[10:11], v[126:127], v[10:11]
	v_fmac_f64_e32 v[156:157], v[6:7], v[148:149]
	v_fma_f64 v[144:145], v[4:5], v[148:149], -v[150:151]
	v_add_f64_e32 v[146:147], v[118:119], v[116:117]
	v_add_f64_e32 v[132:133], v[132:133], v[158:159]
	ds_load_b128 v[4:7], v2 offset:1184
	ds_load_b128 v[116:119], v2 offset:1200
	v_fmac_f64_e32 v[134:135], v[126:127], v[8:9]
	v_fma_f64 v[8:9], v[124:125], v[8:9], -v[10:11]
	s_wait_loadcnt_dscnt 0x701
	v_mul_f64_e32 v[148:149], v[4:5], v[138:139]
	v_mul_f64_e32 v[138:139], v[6:7], v[138:139]
	s_wait_loadcnt_dscnt 0x600
	v_mul_f64_e32 v[126:127], v[116:117], v[18:19]
	v_mul_f64_e32 v[18:19], v[118:119], v[18:19]
	v_add_f64_e32 v[10:11], v[146:147], v[144:145]
	v_add_f64_e32 v[124:125], v[132:133], v[156:157]
	v_fmac_f64_e32 v[148:149], v[6:7], v[136:137]
	v_fma_f64 v[132:133], v[4:5], v[136:137], -v[138:139]
	v_fmac_f64_e32 v[126:127], v[118:119], v[16:17]
	v_fma_f64 v[16:17], v[116:117], v[16:17], -v[18:19]
	v_add_f64_e32 v[136:137], v[10:11], v[8:9]
	v_add_f64_e32 v[124:125], v[124:125], v[134:135]
	ds_load_b128 v[4:7], v2 offset:1216
	ds_load_b128 v[8:11], v2 offset:1232
	s_wait_loadcnt_dscnt 0x501
	v_mul_f64_e32 v[134:135], v[4:5], v[130:131]
	v_mul_f64_e32 v[130:131], v[6:7], v[130:131]
	s_wait_loadcnt_dscnt 0x400
	v_mul_f64_e32 v[118:119], v[8:9], v[14:15]
	v_add_f64_e32 v[18:19], v[136:137], v[132:133]
	v_add_f64_e32 v[116:117], v[124:125], v[148:149]
	v_mul_f64_e32 v[124:125], v[10:11], v[14:15]
	v_fmac_f64_e32 v[134:135], v[6:7], v[128:129]
	v_fma_f64 v[128:129], v[4:5], v[128:129], -v[130:131]
	v_fmac_f64_e32 v[118:119], v[10:11], v[12:13]
	v_add_f64_e32 v[18:19], v[18:19], v[16:17]
	v_add_f64_e32 v[116:117], v[116:117], v[126:127]
	ds_load_b128 v[4:7], v2 offset:1248
	ds_load_b128 v[14:17], v2 offset:1264
	v_fma_f64 v[8:9], v[8:9], v[12:13], -v[124:125]
	s_wait_loadcnt_dscnt 0x301
	v_mul_f64_e32 v[126:127], v[4:5], v[114:115]
	v_mul_f64_e32 v[114:115], v[6:7], v[114:115]
	v_add_f64_e32 v[10:11], v[18:19], v[128:129]
	v_add_f64_e32 v[12:13], v[116:117], v[134:135]
	s_wait_loadcnt_dscnt 0x200
	v_mul_f64_e32 v[18:19], v[14:15], v[22:23]
	v_mul_f64_e32 v[22:23], v[16:17], v[22:23]
	v_fmac_f64_e32 v[126:127], v[6:7], v[112:113]
	v_fma_f64 v[112:113], v[4:5], v[112:113], -v[114:115]
	v_add_f64_e32 v[114:115], v[10:11], v[8:9]
	v_add_f64_e32 v[12:13], v[12:13], v[118:119]
	ds_load_b128 v[4:7], v2 offset:1280
	ds_load_b128 v[8:11], v2 offset:1296
	v_fmac_f64_e32 v[18:19], v[16:17], v[20:21]
	v_fma_f64 v[14:15], v[14:15], v[20:21], -v[22:23]
	s_wait_loadcnt_dscnt 0x101
	v_mul_f64_e32 v[2:3], v[4:5], v[122:123]
	v_mul_f64_e32 v[116:117], v[6:7], v[122:123]
	s_wait_loadcnt_dscnt 0x0
	v_mul_f64_e32 v[20:21], v[8:9], v[110:111]
	v_mul_f64_e32 v[22:23], v[10:11], v[110:111]
	v_add_f64_e32 v[16:17], v[114:115], v[112:113]
	v_add_f64_e32 v[12:13], v[12:13], v[126:127]
	v_fmac_f64_e32 v[2:3], v[6:7], v[120:121]
	v_fma_f64 v[4:5], v[4:5], v[120:121], -v[116:117]
	v_fmac_f64_e32 v[20:21], v[10:11], v[108:109]
	v_fma_f64 v[8:9], v[8:9], v[108:109], -v[22:23]
	v_add_f64_e32 v[6:7], v[16:17], v[14:15]
	v_add_f64_e32 v[12:13], v[12:13], v[18:19]
	s_delay_alu instid0(VALU_DEP_2) | instskip(NEXT) | instid1(VALU_DEP_2)
	v_add_f64_e32 v[4:5], v[6:7], v[4:5]
	v_add_f64_e32 v[2:3], v[12:13], v[2:3]
	s_delay_alu instid0(VALU_DEP_2) | instskip(NEXT) | instid1(VALU_DEP_2)
	v_add_f64_e32 v[4:5], v[4:5], v[8:9]
	v_add_f64_e32 v[6:7], v[2:3], v[20:21]
	s_delay_alu instid0(VALU_DEP_2) | instskip(NEXT) | instid1(VALU_DEP_2)
	v_add_f64_e64 v[2:3], v[140:141], -v[4:5]
	v_add_f64_e64 v[4:5], v[142:143], -v[6:7]
	scratch_store_b128 off, v[2:5], off offset:288
	s_wait_xcnt 0x0
	v_cmpx_lt_u32_e32 17, v1
	s_cbranch_execz .LBB40_225
; %bb.224:
	scratch_load_b128 v[2:5], off, s28
	v_mov_b32_e32 v6, 0
	s_delay_alu instid0(VALU_DEP_1)
	v_dual_mov_b32 v7, v6 :: v_dual_mov_b32 v8, v6
	v_mov_b32_e32 v9, v6
	scratch_store_b128 off, v[6:9], off offset:272
	s_wait_loadcnt 0x0
	ds_store_b128 v106, v[2:5]
.LBB40_225:
	s_wait_xcnt 0x0
	s_or_b32 exec_lo, exec_lo, s2
	s_wait_storecnt_dscnt 0x0
	s_barrier_signal -1
	s_barrier_wait -1
	s_clause 0x9
	scratch_load_b128 v[4:7], off, off offset:288
	scratch_load_b128 v[8:11], off, off offset:304
	;; [unrolled: 1-line block ×10, first 2 shown]
	v_mov_b32_e32 v2, 0
	s_mov_b32 s2, exec_lo
	ds_load_b128 v[128:131], v2 offset:944
	s_clause 0x2
	scratch_load_b128 v[132:135], off, off offset:448
	scratch_load_b128 v[136:139], off, off offset:272
	;; [unrolled: 1-line block ×3, first 2 shown]
	s_wait_loadcnt_dscnt 0xc00
	v_mul_f64_e32 v[148:149], v[130:131], v[6:7]
	v_mul_f64_e32 v[152:153], v[128:129], v[6:7]
	ds_load_b128 v[140:143], v2 offset:960
	v_fma_f64 v[156:157], v[128:129], v[4:5], -v[148:149]
	v_fmac_f64_e32 v[152:153], v[130:131], v[4:5]
	ds_load_b128 v[4:7], v2 offset:976
	s_wait_loadcnt_dscnt 0xb01
	v_mul_f64_e32 v[154:155], v[140:141], v[10:11]
	v_mul_f64_e32 v[10:11], v[142:143], v[10:11]
	scratch_load_b128 v[128:131], off, off offset:480
	ds_load_b128 v[148:151], v2 offset:992
	s_wait_loadcnt_dscnt 0xb01
	v_mul_f64_e32 v[158:159], v[4:5], v[14:15]
	v_mul_f64_e32 v[14:15], v[6:7], v[14:15]
	v_add_f64_e32 v[152:153], 0, v[152:153]
	v_fmac_f64_e32 v[154:155], v[142:143], v[8:9]
	v_fma_f64 v[140:141], v[140:141], v[8:9], -v[10:11]
	v_add_f64_e32 v[142:143], 0, v[156:157]
	scratch_load_b128 v[8:11], off, off offset:496
	v_fmac_f64_e32 v[158:159], v[6:7], v[12:13]
	v_fma_f64 v[160:161], v[4:5], v[12:13], -v[14:15]
	ds_load_b128 v[4:7], v2 offset:1008
	s_wait_loadcnt_dscnt 0xb01
	v_mul_f64_e32 v[156:157], v[148:149], v[18:19]
	v_mul_f64_e32 v[18:19], v[150:151], v[18:19]
	scratch_load_b128 v[12:15], off, off offset:512
	v_add_f64_e32 v[152:153], v[152:153], v[154:155]
	v_add_f64_e32 v[162:163], v[142:143], v[140:141]
	ds_load_b128 v[140:143], v2 offset:1024
	s_wait_loadcnt_dscnt 0xb01
	v_mul_f64_e32 v[154:155], v[4:5], v[22:23]
	v_mul_f64_e32 v[22:23], v[6:7], v[22:23]
	v_fmac_f64_e32 v[156:157], v[150:151], v[16:17]
	v_fma_f64 v[148:149], v[148:149], v[16:17], -v[18:19]
	scratch_load_b128 v[16:19], off, off offset:528
	v_add_f64_e32 v[152:153], v[152:153], v[158:159]
	v_add_f64_e32 v[150:151], v[162:163], v[160:161]
	v_fmac_f64_e32 v[154:155], v[6:7], v[20:21]
	v_fma_f64 v[160:161], v[4:5], v[20:21], -v[22:23]
	ds_load_b128 v[4:7], v2 offset:1040
	s_wait_loadcnt_dscnt 0xb01
	v_mul_f64_e32 v[158:159], v[140:141], v[110:111]
	v_mul_f64_e32 v[110:111], v[142:143], v[110:111]
	scratch_load_b128 v[20:23], off, off offset:544
	v_add_f64_e32 v[152:153], v[152:153], v[156:157]
	s_wait_loadcnt_dscnt 0xb00
	v_mul_f64_e32 v[156:157], v[4:5], v[114:115]
	v_add_f64_e32 v[162:163], v[150:151], v[148:149]
	v_mul_f64_e32 v[114:115], v[6:7], v[114:115]
	ds_load_b128 v[148:151], v2 offset:1056
	v_fmac_f64_e32 v[158:159], v[142:143], v[108:109]
	v_fma_f64 v[140:141], v[140:141], v[108:109], -v[110:111]
	scratch_load_b128 v[108:111], off, off offset:560
	v_add_f64_e32 v[152:153], v[152:153], v[154:155]
	v_fmac_f64_e32 v[156:157], v[6:7], v[112:113]
	v_add_f64_e32 v[142:143], v[162:163], v[160:161]
	v_fma_f64 v[160:161], v[4:5], v[112:113], -v[114:115]
	ds_load_b128 v[4:7], v2 offset:1072
	s_wait_loadcnt_dscnt 0xb01
	v_mul_f64_e32 v[154:155], v[148:149], v[118:119]
	v_mul_f64_e32 v[118:119], v[150:151], v[118:119]
	scratch_load_b128 v[112:115], off, off offset:576
	v_add_f64_e32 v[152:153], v[152:153], v[158:159]
	s_wait_loadcnt_dscnt 0xb00
	v_mul_f64_e32 v[158:159], v[4:5], v[122:123]
	v_add_f64_e32 v[162:163], v[142:143], v[140:141]
	v_mul_f64_e32 v[122:123], v[6:7], v[122:123]
	ds_load_b128 v[140:143], v2 offset:1088
	v_fmac_f64_e32 v[154:155], v[150:151], v[116:117]
	v_fma_f64 v[148:149], v[148:149], v[116:117], -v[118:119]
	scratch_load_b128 v[116:119], off, off offset:592
	v_add_f64_e32 v[152:153], v[152:153], v[156:157]
	v_fmac_f64_e32 v[158:159], v[6:7], v[120:121]
	v_add_f64_e32 v[150:151], v[162:163], v[160:161]
	;; [unrolled: 18-line block ×3, first 2 shown]
	v_fma_f64 v[160:161], v[4:5], v[132:133], -v[134:135]
	ds_load_b128 v[4:7], v2 offset:1136
	s_wait_loadcnt_dscnt 0xa01
	v_mul_f64_e32 v[158:159], v[148:149], v[146:147]
	v_mul_f64_e32 v[146:147], v[150:151], v[146:147]
	scratch_load_b128 v[132:135], off, off offset:640
	v_add_f64_e32 v[152:153], v[152:153], v[156:157]
	v_add_f64_e32 v[162:163], v[142:143], v[140:141]
	s_wait_loadcnt_dscnt 0xa00
	v_mul_f64_e32 v[156:157], v[4:5], v[130:131]
	v_mul_f64_e32 v[130:131], v[6:7], v[130:131]
	v_fmac_f64_e32 v[158:159], v[150:151], v[144:145]
	v_fma_f64 v[144:145], v[148:149], v[144:145], -v[146:147]
	ds_load_b128 v[140:143], v2 offset:1152
	v_add_f64_e32 v[148:149], v[152:153], v[154:155]
	v_add_f64_e32 v[146:147], v[162:163], v[160:161]
	s_wait_loadcnt_dscnt 0x900
	v_mul_f64_e32 v[150:151], v[140:141], v[10:11]
	v_mul_f64_e32 v[10:11], v[142:143], v[10:11]
	v_fmac_f64_e32 v[156:157], v[6:7], v[128:129]
	v_fma_f64 v[152:153], v[4:5], v[128:129], -v[130:131]
	ds_load_b128 v[4:7], v2 offset:1168
	ds_load_b128 v[128:131], v2 offset:1184
	v_add_f64_e32 v[144:145], v[146:147], v[144:145]
	v_add_f64_e32 v[146:147], v[148:149], v[158:159]
	s_wait_loadcnt_dscnt 0x801
	v_mul_f64_e32 v[148:149], v[4:5], v[14:15]
	v_mul_f64_e32 v[14:15], v[6:7], v[14:15]
	v_fmac_f64_e32 v[150:151], v[142:143], v[8:9]
	v_fma_f64 v[8:9], v[140:141], v[8:9], -v[10:11]
	s_wait_loadcnt_dscnt 0x700
	v_mul_f64_e32 v[142:143], v[128:129], v[18:19]
	v_mul_f64_e32 v[18:19], v[130:131], v[18:19]
	v_add_f64_e32 v[10:11], v[144:145], v[152:153]
	v_add_f64_e32 v[140:141], v[146:147], v[156:157]
	v_fmac_f64_e32 v[148:149], v[6:7], v[12:13]
	v_fma_f64 v[12:13], v[4:5], v[12:13], -v[14:15]
	v_fmac_f64_e32 v[142:143], v[130:131], v[16:17]
	v_fma_f64 v[16:17], v[128:129], v[16:17], -v[18:19]
	v_add_f64_e32 v[14:15], v[10:11], v[8:9]
	v_add_f64_e32 v[140:141], v[140:141], v[150:151]
	ds_load_b128 v[4:7], v2 offset:1200
	ds_load_b128 v[8:11], v2 offset:1216
	s_wait_loadcnt_dscnt 0x601
	v_mul_f64_e32 v[144:145], v[4:5], v[22:23]
	v_mul_f64_e32 v[22:23], v[6:7], v[22:23]
	s_wait_loadcnt_dscnt 0x500
	v_mul_f64_e32 v[18:19], v[8:9], v[110:111]
	v_mul_f64_e32 v[110:111], v[10:11], v[110:111]
	v_add_f64_e32 v[12:13], v[14:15], v[12:13]
	v_add_f64_e32 v[14:15], v[140:141], v[148:149]
	v_fmac_f64_e32 v[144:145], v[6:7], v[20:21]
	v_fma_f64 v[20:21], v[4:5], v[20:21], -v[22:23]
	v_fmac_f64_e32 v[18:19], v[10:11], v[108:109]
	v_fma_f64 v[8:9], v[8:9], v[108:109], -v[110:111]
	v_add_f64_e32 v[16:17], v[12:13], v[16:17]
	v_add_f64_e32 v[22:23], v[14:15], v[142:143]
	ds_load_b128 v[4:7], v2 offset:1232
	ds_load_b128 v[12:15], v2 offset:1248
	s_wait_loadcnt_dscnt 0x401
	v_mul_f64_e32 v[128:129], v[4:5], v[114:115]
	v_mul_f64_e32 v[114:115], v[6:7], v[114:115]
	v_add_f64_e32 v[10:11], v[16:17], v[20:21]
	v_add_f64_e32 v[16:17], v[22:23], v[144:145]
	s_wait_loadcnt_dscnt 0x300
	v_mul_f64_e32 v[20:21], v[12:13], v[118:119]
	v_mul_f64_e32 v[22:23], v[14:15], v[118:119]
	v_fmac_f64_e32 v[128:129], v[6:7], v[112:113]
	v_fma_f64 v[108:109], v[4:5], v[112:113], -v[114:115]
	v_add_f64_e32 v[110:111], v[10:11], v[8:9]
	v_add_f64_e32 v[16:17], v[16:17], v[18:19]
	ds_load_b128 v[4:7], v2 offset:1264
	ds_load_b128 v[8:11], v2 offset:1280
	v_fmac_f64_e32 v[20:21], v[14:15], v[116:117]
	v_fma_f64 v[12:13], v[12:13], v[116:117], -v[22:23]
	s_wait_loadcnt_dscnt 0x201
	v_mul_f64_e32 v[18:19], v[4:5], v[122:123]
	v_mul_f64_e32 v[112:113], v[6:7], v[122:123]
	s_wait_loadcnt_dscnt 0x100
	v_mul_f64_e32 v[22:23], v[8:9], v[126:127]
	v_add_f64_e32 v[14:15], v[110:111], v[108:109]
	v_add_f64_e32 v[16:17], v[16:17], v[128:129]
	v_mul_f64_e32 v[108:109], v[10:11], v[126:127]
	v_fmac_f64_e32 v[18:19], v[6:7], v[120:121]
	v_fma_f64 v[110:111], v[4:5], v[120:121], -v[112:113]
	ds_load_b128 v[4:7], v2 offset:1296
	v_fmac_f64_e32 v[22:23], v[10:11], v[124:125]
	v_add_f64_e32 v[12:13], v[14:15], v[12:13]
	v_add_f64_e32 v[14:15], v[16:17], v[20:21]
	v_fma_f64 v[8:9], v[8:9], v[124:125], -v[108:109]
	s_wait_loadcnt_dscnt 0x0
	v_mul_f64_e32 v[16:17], v[4:5], v[134:135]
	v_mul_f64_e32 v[20:21], v[6:7], v[134:135]
	v_add_f64_e32 v[10:11], v[12:13], v[110:111]
	v_add_f64_e32 v[12:13], v[14:15], v[18:19]
	s_delay_alu instid0(VALU_DEP_4) | instskip(NEXT) | instid1(VALU_DEP_4)
	v_fmac_f64_e32 v[16:17], v[6:7], v[132:133]
	v_fma_f64 v[4:5], v[4:5], v[132:133], -v[20:21]
	s_delay_alu instid0(VALU_DEP_4) | instskip(NEXT) | instid1(VALU_DEP_4)
	v_add_f64_e32 v[6:7], v[10:11], v[8:9]
	v_add_f64_e32 v[8:9], v[12:13], v[22:23]
	s_delay_alu instid0(VALU_DEP_2) | instskip(NEXT) | instid1(VALU_DEP_2)
	v_add_f64_e32 v[4:5], v[6:7], v[4:5]
	v_add_f64_e32 v[6:7], v[8:9], v[16:17]
	s_delay_alu instid0(VALU_DEP_2) | instskip(NEXT) | instid1(VALU_DEP_2)
	v_add_f64_e64 v[4:5], v[136:137], -v[4:5]
	v_add_f64_e64 v[6:7], v[138:139], -v[6:7]
	scratch_store_b128 off, v[4:7], off offset:272
	s_wait_xcnt 0x0
	v_cmpx_lt_u32_e32 16, v1
	s_cbranch_execz .LBB40_227
; %bb.226:
	scratch_load_b128 v[6:9], off, s26
	v_dual_mov_b32 v3, v2 :: v_dual_mov_b32 v4, v2
	v_mov_b32_e32 v5, v2
	scratch_store_b128 off, v[2:5], off offset:256
	s_wait_loadcnt 0x0
	ds_store_b128 v106, v[6:9]
.LBB40_227:
	s_wait_xcnt 0x0
	s_or_b32 exec_lo, exec_lo, s2
	s_wait_storecnt_dscnt 0x0
	s_barrier_signal -1
	s_barrier_wait -1
	s_clause 0x9
	scratch_load_b128 v[4:7], off, off offset:272
	scratch_load_b128 v[8:11], off, off offset:288
	;; [unrolled: 1-line block ×10, first 2 shown]
	ds_load_b128 v[128:131], v2 offset:928
	ds_load_b128 v[136:139], v2 offset:944
	s_clause 0x2
	scratch_load_b128 v[132:135], off, off offset:432
	scratch_load_b128 v[140:143], off, off offset:256
	;; [unrolled: 1-line block ×3, first 2 shown]
	s_mov_b32 s2, exec_lo
	s_wait_loadcnt_dscnt 0xc01
	v_mul_f64_e32 v[148:149], v[130:131], v[6:7]
	v_mul_f64_e32 v[152:153], v[128:129], v[6:7]
	s_wait_loadcnt_dscnt 0xb00
	v_mul_f64_e32 v[154:155], v[136:137], v[10:11]
	v_mul_f64_e32 v[10:11], v[138:139], v[10:11]
	s_delay_alu instid0(VALU_DEP_4) | instskip(NEXT) | instid1(VALU_DEP_4)
	v_fma_f64 v[156:157], v[128:129], v[4:5], -v[148:149]
	v_fmac_f64_e32 v[152:153], v[130:131], v[4:5]
	ds_load_b128 v[4:7], v2 offset:960
	ds_load_b128 v[128:131], v2 offset:976
	scratch_load_b128 v[148:151], off, off offset:464
	v_fmac_f64_e32 v[154:155], v[138:139], v[8:9]
	v_fma_f64 v[136:137], v[136:137], v[8:9], -v[10:11]
	scratch_load_b128 v[8:11], off, off offset:480
	s_wait_loadcnt_dscnt 0xc01
	v_mul_f64_e32 v[158:159], v[4:5], v[14:15]
	v_mul_f64_e32 v[14:15], v[6:7], v[14:15]
	v_add_f64_e32 v[138:139], 0, v[156:157]
	v_add_f64_e32 v[152:153], 0, v[152:153]
	s_wait_loadcnt_dscnt 0xb00
	v_mul_f64_e32 v[156:157], v[128:129], v[18:19]
	v_mul_f64_e32 v[18:19], v[130:131], v[18:19]
	v_fmac_f64_e32 v[158:159], v[6:7], v[12:13]
	v_fma_f64 v[160:161], v[4:5], v[12:13], -v[14:15]
	ds_load_b128 v[4:7], v2 offset:992
	ds_load_b128 v[12:15], v2 offset:1008
	v_add_f64_e32 v[162:163], v[138:139], v[136:137]
	v_add_f64_e32 v[152:153], v[152:153], v[154:155]
	scratch_load_b128 v[136:139], off, off offset:496
	v_fmac_f64_e32 v[156:157], v[130:131], v[16:17]
	v_fma_f64 v[128:129], v[128:129], v[16:17], -v[18:19]
	scratch_load_b128 v[16:19], off, off offset:512
	s_wait_loadcnt_dscnt 0xc01
	v_mul_f64_e32 v[154:155], v[4:5], v[22:23]
	v_mul_f64_e32 v[22:23], v[6:7], v[22:23]
	v_add_f64_e32 v[130:131], v[162:163], v[160:161]
	v_add_f64_e32 v[152:153], v[152:153], v[158:159]
	s_wait_loadcnt_dscnt 0xb00
	v_mul_f64_e32 v[158:159], v[12:13], v[110:111]
	v_mul_f64_e32 v[110:111], v[14:15], v[110:111]
	v_fmac_f64_e32 v[154:155], v[6:7], v[20:21]
	v_fma_f64 v[160:161], v[4:5], v[20:21], -v[22:23]
	ds_load_b128 v[4:7], v2 offset:1024
	ds_load_b128 v[20:23], v2 offset:1040
	v_add_f64_e32 v[162:163], v[130:131], v[128:129]
	v_add_f64_e32 v[152:153], v[152:153], v[156:157]
	scratch_load_b128 v[128:131], off, off offset:528
	s_wait_loadcnt_dscnt 0xb01
	v_mul_f64_e32 v[156:157], v[4:5], v[114:115]
	v_mul_f64_e32 v[114:115], v[6:7], v[114:115]
	v_fmac_f64_e32 v[158:159], v[14:15], v[108:109]
	v_fma_f64 v[108:109], v[12:13], v[108:109], -v[110:111]
	scratch_load_b128 v[12:15], off, off offset:544
	v_add_f64_e32 v[110:111], v[162:163], v[160:161]
	v_add_f64_e32 v[152:153], v[152:153], v[154:155]
	s_wait_loadcnt_dscnt 0xb00
	v_mul_f64_e32 v[154:155], v[20:21], v[118:119]
	v_mul_f64_e32 v[118:119], v[22:23], v[118:119]
	v_fmac_f64_e32 v[156:157], v[6:7], v[112:113]
	v_fma_f64 v[160:161], v[4:5], v[112:113], -v[114:115]
	v_add_f64_e32 v[162:163], v[110:111], v[108:109]
	v_add_f64_e32 v[152:153], v[152:153], v[158:159]
	ds_load_b128 v[4:7], v2 offset:1056
	ds_load_b128 v[108:111], v2 offset:1072
	scratch_load_b128 v[112:115], off, off offset:560
	v_fmac_f64_e32 v[154:155], v[22:23], v[116:117]
	v_fma_f64 v[116:117], v[20:21], v[116:117], -v[118:119]
	scratch_load_b128 v[20:23], off, off offset:576
	s_wait_loadcnt_dscnt 0xc01
	v_mul_f64_e32 v[158:159], v[4:5], v[122:123]
	v_mul_f64_e32 v[122:123], v[6:7], v[122:123]
	v_add_f64_e32 v[118:119], v[162:163], v[160:161]
	v_add_f64_e32 v[152:153], v[152:153], v[156:157]
	s_wait_loadcnt_dscnt 0xb00
	v_mul_f64_e32 v[156:157], v[108:109], v[126:127]
	v_mul_f64_e32 v[126:127], v[110:111], v[126:127]
	v_fmac_f64_e32 v[158:159], v[6:7], v[120:121]
	v_fma_f64 v[160:161], v[4:5], v[120:121], -v[122:123]
	v_add_f64_e32 v[162:163], v[118:119], v[116:117]
	v_add_f64_e32 v[152:153], v[152:153], v[154:155]
	ds_load_b128 v[4:7], v2 offset:1088
	ds_load_b128 v[116:119], v2 offset:1104
	scratch_load_b128 v[120:123], off, off offset:592
	v_fmac_f64_e32 v[156:157], v[110:111], v[124:125]
	v_fma_f64 v[124:125], v[108:109], v[124:125], -v[126:127]
	scratch_load_b128 v[108:111], off, off offset:608
	s_wait_loadcnt_dscnt 0xc01
	v_mul_f64_e32 v[154:155], v[4:5], v[134:135]
	v_mul_f64_e32 v[134:135], v[6:7], v[134:135]
	;; [unrolled: 18-line block ×3, first 2 shown]
	v_add_f64_e32 v[146:147], v[162:163], v[160:161]
	v_add_f64_e32 v[152:153], v[152:153], v[154:155]
	s_wait_loadcnt_dscnt 0xa00
	v_mul_f64_e32 v[154:155], v[124:125], v[10:11]
	v_mul_f64_e32 v[10:11], v[126:127], v[10:11]
	v_fmac_f64_e32 v[156:157], v[6:7], v[148:149]
	v_fma_f64 v[148:149], v[4:5], v[148:149], -v[150:151]
	v_add_f64_e32 v[150:151], v[146:147], v[144:145]
	v_add_f64_e32 v[152:153], v[152:153], v[158:159]
	ds_load_b128 v[4:7], v2 offset:1152
	ds_load_b128 v[144:147], v2 offset:1168
	v_fmac_f64_e32 v[154:155], v[126:127], v[8:9]
	v_fma_f64 v[8:9], v[124:125], v[8:9], -v[10:11]
	s_wait_loadcnt_dscnt 0x901
	v_mul_f64_e32 v[158:159], v[4:5], v[138:139]
	v_mul_f64_e32 v[138:139], v[6:7], v[138:139]
	s_wait_loadcnt_dscnt 0x800
	v_mul_f64_e32 v[126:127], v[144:145], v[18:19]
	v_mul_f64_e32 v[18:19], v[146:147], v[18:19]
	v_add_f64_e32 v[10:11], v[150:151], v[148:149]
	v_add_f64_e32 v[124:125], v[152:153], v[156:157]
	v_fmac_f64_e32 v[158:159], v[6:7], v[136:137]
	v_fma_f64 v[136:137], v[4:5], v[136:137], -v[138:139]
	v_fmac_f64_e32 v[126:127], v[146:147], v[16:17]
	v_fma_f64 v[16:17], v[144:145], v[16:17], -v[18:19]
	v_add_f64_e32 v[138:139], v[10:11], v[8:9]
	v_add_f64_e32 v[124:125], v[124:125], v[154:155]
	ds_load_b128 v[4:7], v2 offset:1184
	ds_load_b128 v[8:11], v2 offset:1200
	s_wait_loadcnt_dscnt 0x701
	v_mul_f64_e32 v[148:149], v[4:5], v[130:131]
	v_mul_f64_e32 v[130:131], v[6:7], v[130:131]
	v_add_f64_e32 v[18:19], v[138:139], v[136:137]
	v_add_f64_e32 v[124:125], v[124:125], v[158:159]
	s_wait_loadcnt_dscnt 0x600
	v_mul_f64_e32 v[136:137], v[8:9], v[14:15]
	v_mul_f64_e32 v[138:139], v[10:11], v[14:15]
	v_fmac_f64_e32 v[148:149], v[6:7], v[128:129]
	v_fma_f64 v[128:129], v[4:5], v[128:129], -v[130:131]
	v_add_f64_e32 v[18:19], v[18:19], v[16:17]
	v_add_f64_e32 v[124:125], v[124:125], v[126:127]
	ds_load_b128 v[4:7], v2 offset:1216
	ds_load_b128 v[14:17], v2 offset:1232
	v_fmac_f64_e32 v[136:137], v[10:11], v[12:13]
	v_fma_f64 v[8:9], v[8:9], v[12:13], -v[138:139]
	s_wait_loadcnt_dscnt 0x501
	v_mul_f64_e32 v[126:127], v[4:5], v[114:115]
	v_mul_f64_e32 v[114:115], v[6:7], v[114:115]
	v_add_f64_e32 v[10:11], v[18:19], v[128:129]
	v_add_f64_e32 v[12:13], v[124:125], v[148:149]
	s_wait_loadcnt_dscnt 0x400
	v_mul_f64_e32 v[18:19], v[14:15], v[22:23]
	v_mul_f64_e32 v[22:23], v[16:17], v[22:23]
	v_fmac_f64_e32 v[126:127], v[6:7], v[112:113]
	v_fma_f64 v[112:113], v[4:5], v[112:113], -v[114:115]
	v_add_f64_e32 v[114:115], v[10:11], v[8:9]
	v_add_f64_e32 v[12:13], v[12:13], v[136:137]
	ds_load_b128 v[4:7], v2 offset:1248
	ds_load_b128 v[8:11], v2 offset:1264
	v_fmac_f64_e32 v[18:19], v[16:17], v[20:21]
	v_fma_f64 v[14:15], v[14:15], v[20:21], -v[22:23]
	s_wait_loadcnt_dscnt 0x301
	v_mul_f64_e32 v[124:125], v[4:5], v[122:123]
	v_mul_f64_e32 v[122:123], v[6:7], v[122:123]
	s_wait_loadcnt_dscnt 0x200
	v_mul_f64_e32 v[20:21], v[8:9], v[110:111]
	v_mul_f64_e32 v[22:23], v[10:11], v[110:111]
	v_add_f64_e32 v[16:17], v[114:115], v[112:113]
	v_add_f64_e32 v[12:13], v[12:13], v[126:127]
	v_fmac_f64_e32 v[124:125], v[6:7], v[120:121]
	v_fma_f64 v[110:111], v[4:5], v[120:121], -v[122:123]
	v_fmac_f64_e32 v[20:21], v[10:11], v[108:109]
	v_fma_f64 v[8:9], v[8:9], v[108:109], -v[22:23]
	v_add_f64_e32 v[16:17], v[16:17], v[14:15]
	v_add_f64_e32 v[18:19], v[12:13], v[18:19]
	ds_load_b128 v[4:7], v2 offset:1280
	ds_load_b128 v[12:15], v2 offset:1296
	s_wait_loadcnt_dscnt 0x101
	v_mul_f64_e32 v[2:3], v[4:5], v[134:135]
	v_mul_f64_e32 v[112:113], v[6:7], v[134:135]
	s_wait_loadcnt_dscnt 0x0
	v_mul_f64_e32 v[22:23], v[14:15], v[118:119]
	v_add_f64_e32 v[10:11], v[16:17], v[110:111]
	v_add_f64_e32 v[16:17], v[18:19], v[124:125]
	v_mul_f64_e32 v[18:19], v[12:13], v[118:119]
	v_fmac_f64_e32 v[2:3], v[6:7], v[132:133]
	v_fma_f64 v[4:5], v[4:5], v[132:133], -v[112:113]
	v_add_f64_e32 v[6:7], v[10:11], v[8:9]
	v_add_f64_e32 v[8:9], v[16:17], v[20:21]
	v_fmac_f64_e32 v[18:19], v[14:15], v[116:117]
	v_fma_f64 v[10:11], v[12:13], v[116:117], -v[22:23]
	s_delay_alu instid0(VALU_DEP_4) | instskip(NEXT) | instid1(VALU_DEP_4)
	v_add_f64_e32 v[4:5], v[6:7], v[4:5]
	v_add_f64_e32 v[2:3], v[8:9], v[2:3]
	s_delay_alu instid0(VALU_DEP_2) | instskip(NEXT) | instid1(VALU_DEP_2)
	v_add_f64_e32 v[4:5], v[4:5], v[10:11]
	v_add_f64_e32 v[6:7], v[2:3], v[18:19]
	s_delay_alu instid0(VALU_DEP_2) | instskip(NEXT) | instid1(VALU_DEP_2)
	v_add_f64_e64 v[2:3], v[140:141], -v[4:5]
	v_add_f64_e64 v[4:5], v[142:143], -v[6:7]
	scratch_store_b128 off, v[2:5], off offset:256
	s_wait_xcnt 0x0
	v_cmpx_lt_u32_e32 15, v1
	s_cbranch_execz .LBB40_229
; %bb.228:
	scratch_load_b128 v[2:5], off, s47
	v_mov_b32_e32 v6, 0
	s_delay_alu instid0(VALU_DEP_1)
	v_dual_mov_b32 v7, v6 :: v_dual_mov_b32 v8, v6
	v_mov_b32_e32 v9, v6
	scratch_store_b128 off, v[6:9], off offset:240
	s_wait_loadcnt 0x0
	ds_store_b128 v106, v[2:5]
.LBB40_229:
	s_wait_xcnt 0x0
	s_or_b32 exec_lo, exec_lo, s2
	s_wait_storecnt_dscnt 0x0
	s_barrier_signal -1
	s_barrier_wait -1
	s_clause 0x9
	scratch_load_b128 v[4:7], off, off offset:256
	scratch_load_b128 v[8:11], off, off offset:272
	scratch_load_b128 v[12:15], off, off offset:288
	scratch_load_b128 v[16:19], off, off offset:304
	scratch_load_b128 v[20:23], off, off offset:320
	scratch_load_b128 v[108:111], off, off offset:336
	scratch_load_b128 v[112:115], off, off offset:352
	scratch_load_b128 v[116:119], off, off offset:368
	scratch_load_b128 v[120:123], off, off offset:384
	scratch_load_b128 v[124:127], off, off offset:400
	v_mov_b32_e32 v2, 0
	s_mov_b32 s2, exec_lo
	ds_load_b128 v[128:131], v2 offset:912
	s_clause 0x2
	scratch_load_b128 v[132:135], off, off offset:416
	scratch_load_b128 v[136:139], off, off offset:240
	;; [unrolled: 1-line block ×3, first 2 shown]
	s_wait_loadcnt_dscnt 0xc00
	v_mul_f64_e32 v[148:149], v[130:131], v[6:7]
	v_mul_f64_e32 v[152:153], v[128:129], v[6:7]
	ds_load_b128 v[140:143], v2 offset:928
	v_fma_f64 v[156:157], v[128:129], v[4:5], -v[148:149]
	v_fmac_f64_e32 v[152:153], v[130:131], v[4:5]
	ds_load_b128 v[4:7], v2 offset:944
	s_wait_loadcnt_dscnt 0xb01
	v_mul_f64_e32 v[154:155], v[140:141], v[10:11]
	v_mul_f64_e32 v[10:11], v[142:143], v[10:11]
	scratch_load_b128 v[128:131], off, off offset:448
	ds_load_b128 v[148:151], v2 offset:960
	s_wait_loadcnt_dscnt 0xb01
	v_mul_f64_e32 v[158:159], v[4:5], v[14:15]
	v_mul_f64_e32 v[14:15], v[6:7], v[14:15]
	v_add_f64_e32 v[152:153], 0, v[152:153]
	v_fmac_f64_e32 v[154:155], v[142:143], v[8:9]
	v_fma_f64 v[140:141], v[140:141], v[8:9], -v[10:11]
	v_add_f64_e32 v[142:143], 0, v[156:157]
	scratch_load_b128 v[8:11], off, off offset:464
	v_fmac_f64_e32 v[158:159], v[6:7], v[12:13]
	v_fma_f64 v[160:161], v[4:5], v[12:13], -v[14:15]
	ds_load_b128 v[4:7], v2 offset:976
	s_wait_loadcnt_dscnt 0xb01
	v_mul_f64_e32 v[156:157], v[148:149], v[18:19]
	v_mul_f64_e32 v[18:19], v[150:151], v[18:19]
	scratch_load_b128 v[12:15], off, off offset:480
	v_add_f64_e32 v[152:153], v[152:153], v[154:155]
	v_add_f64_e32 v[162:163], v[142:143], v[140:141]
	ds_load_b128 v[140:143], v2 offset:992
	s_wait_loadcnt_dscnt 0xb01
	v_mul_f64_e32 v[154:155], v[4:5], v[22:23]
	v_mul_f64_e32 v[22:23], v[6:7], v[22:23]
	v_fmac_f64_e32 v[156:157], v[150:151], v[16:17]
	v_fma_f64 v[148:149], v[148:149], v[16:17], -v[18:19]
	scratch_load_b128 v[16:19], off, off offset:496
	v_add_f64_e32 v[152:153], v[152:153], v[158:159]
	v_add_f64_e32 v[150:151], v[162:163], v[160:161]
	v_fmac_f64_e32 v[154:155], v[6:7], v[20:21]
	v_fma_f64 v[160:161], v[4:5], v[20:21], -v[22:23]
	ds_load_b128 v[4:7], v2 offset:1008
	s_wait_loadcnt_dscnt 0xb01
	v_mul_f64_e32 v[158:159], v[140:141], v[110:111]
	v_mul_f64_e32 v[110:111], v[142:143], v[110:111]
	scratch_load_b128 v[20:23], off, off offset:512
	v_add_f64_e32 v[152:153], v[152:153], v[156:157]
	s_wait_loadcnt_dscnt 0xb00
	v_mul_f64_e32 v[156:157], v[4:5], v[114:115]
	v_add_f64_e32 v[162:163], v[150:151], v[148:149]
	v_mul_f64_e32 v[114:115], v[6:7], v[114:115]
	ds_load_b128 v[148:151], v2 offset:1024
	v_fmac_f64_e32 v[158:159], v[142:143], v[108:109]
	v_fma_f64 v[140:141], v[140:141], v[108:109], -v[110:111]
	scratch_load_b128 v[108:111], off, off offset:528
	v_add_f64_e32 v[152:153], v[152:153], v[154:155]
	v_fmac_f64_e32 v[156:157], v[6:7], v[112:113]
	v_add_f64_e32 v[142:143], v[162:163], v[160:161]
	v_fma_f64 v[160:161], v[4:5], v[112:113], -v[114:115]
	ds_load_b128 v[4:7], v2 offset:1040
	s_wait_loadcnt_dscnt 0xb01
	v_mul_f64_e32 v[154:155], v[148:149], v[118:119]
	v_mul_f64_e32 v[118:119], v[150:151], v[118:119]
	scratch_load_b128 v[112:115], off, off offset:544
	v_add_f64_e32 v[152:153], v[152:153], v[158:159]
	s_wait_loadcnt_dscnt 0xb00
	v_mul_f64_e32 v[158:159], v[4:5], v[122:123]
	v_add_f64_e32 v[162:163], v[142:143], v[140:141]
	v_mul_f64_e32 v[122:123], v[6:7], v[122:123]
	ds_load_b128 v[140:143], v2 offset:1056
	v_fmac_f64_e32 v[154:155], v[150:151], v[116:117]
	v_fma_f64 v[148:149], v[148:149], v[116:117], -v[118:119]
	scratch_load_b128 v[116:119], off, off offset:560
	v_add_f64_e32 v[152:153], v[152:153], v[156:157]
	v_fmac_f64_e32 v[158:159], v[6:7], v[120:121]
	v_add_f64_e32 v[150:151], v[162:163], v[160:161]
	;; [unrolled: 18-line block ×3, first 2 shown]
	v_fma_f64 v[160:161], v[4:5], v[132:133], -v[134:135]
	ds_load_b128 v[4:7], v2 offset:1104
	s_wait_loadcnt_dscnt 0xa01
	v_mul_f64_e32 v[158:159], v[148:149], v[146:147]
	v_mul_f64_e32 v[146:147], v[150:151], v[146:147]
	scratch_load_b128 v[132:135], off, off offset:608
	v_add_f64_e32 v[152:153], v[152:153], v[156:157]
	v_add_f64_e32 v[162:163], v[142:143], v[140:141]
	s_wait_loadcnt_dscnt 0xa00
	v_mul_f64_e32 v[156:157], v[4:5], v[130:131]
	v_mul_f64_e32 v[130:131], v[6:7], v[130:131]
	v_fmac_f64_e32 v[158:159], v[150:151], v[144:145]
	v_fma_f64 v[148:149], v[148:149], v[144:145], -v[146:147]
	ds_load_b128 v[140:143], v2 offset:1120
	scratch_load_b128 v[144:147], off, off offset:624
	v_add_f64_e32 v[152:153], v[152:153], v[154:155]
	v_add_f64_e32 v[150:151], v[162:163], v[160:161]
	v_fmac_f64_e32 v[156:157], v[6:7], v[128:129]
	v_fma_f64 v[160:161], v[4:5], v[128:129], -v[130:131]
	ds_load_b128 v[4:7], v2 offset:1136
	s_wait_loadcnt_dscnt 0xa01
	v_mul_f64_e32 v[154:155], v[140:141], v[10:11]
	v_mul_f64_e32 v[10:11], v[142:143], v[10:11]
	scratch_load_b128 v[128:131], off, off offset:640
	v_add_f64_e32 v[152:153], v[152:153], v[158:159]
	s_wait_loadcnt_dscnt 0xa00
	v_mul_f64_e32 v[158:159], v[4:5], v[14:15]
	v_add_f64_e32 v[162:163], v[150:151], v[148:149]
	v_mul_f64_e32 v[14:15], v[6:7], v[14:15]
	ds_load_b128 v[148:151], v2 offset:1152
	v_fmac_f64_e32 v[154:155], v[142:143], v[8:9]
	v_fma_f64 v[8:9], v[140:141], v[8:9], -v[10:11]
	s_wait_loadcnt_dscnt 0x900
	v_mul_f64_e32 v[142:143], v[148:149], v[18:19]
	v_mul_f64_e32 v[18:19], v[150:151], v[18:19]
	v_add_f64_e32 v[140:141], v[152:153], v[156:157]
	v_fmac_f64_e32 v[158:159], v[6:7], v[12:13]
	v_add_f64_e32 v[10:11], v[162:163], v[160:161]
	v_fma_f64 v[12:13], v[4:5], v[12:13], -v[14:15]
	v_fmac_f64_e32 v[142:143], v[150:151], v[16:17]
	v_fma_f64 v[16:17], v[148:149], v[16:17], -v[18:19]
	v_add_f64_e32 v[140:141], v[140:141], v[154:155]
	v_add_f64_e32 v[14:15], v[10:11], v[8:9]
	ds_load_b128 v[4:7], v2 offset:1168
	ds_load_b128 v[8:11], v2 offset:1184
	s_wait_loadcnt_dscnt 0x801
	v_mul_f64_e32 v[152:153], v[4:5], v[22:23]
	v_mul_f64_e32 v[22:23], v[6:7], v[22:23]
	s_wait_loadcnt_dscnt 0x700
	v_mul_f64_e32 v[18:19], v[8:9], v[110:111]
	v_mul_f64_e32 v[110:111], v[10:11], v[110:111]
	v_add_f64_e32 v[12:13], v[14:15], v[12:13]
	v_add_f64_e32 v[14:15], v[140:141], v[158:159]
	v_fmac_f64_e32 v[152:153], v[6:7], v[20:21]
	v_fma_f64 v[20:21], v[4:5], v[20:21], -v[22:23]
	v_fmac_f64_e32 v[18:19], v[10:11], v[108:109]
	v_fma_f64 v[8:9], v[8:9], v[108:109], -v[110:111]
	v_add_f64_e32 v[16:17], v[12:13], v[16:17]
	v_add_f64_e32 v[22:23], v[14:15], v[142:143]
	ds_load_b128 v[4:7], v2 offset:1200
	ds_load_b128 v[12:15], v2 offset:1216
	s_wait_loadcnt_dscnt 0x601
	v_mul_f64_e32 v[140:141], v[4:5], v[114:115]
	v_mul_f64_e32 v[114:115], v[6:7], v[114:115]
	v_add_f64_e32 v[10:11], v[16:17], v[20:21]
	v_add_f64_e32 v[16:17], v[22:23], v[152:153]
	s_wait_loadcnt_dscnt 0x500
	v_mul_f64_e32 v[20:21], v[12:13], v[118:119]
	v_mul_f64_e32 v[22:23], v[14:15], v[118:119]
	v_fmac_f64_e32 v[140:141], v[6:7], v[112:113]
	v_fma_f64 v[108:109], v[4:5], v[112:113], -v[114:115]
	v_add_f64_e32 v[110:111], v[10:11], v[8:9]
	v_add_f64_e32 v[16:17], v[16:17], v[18:19]
	ds_load_b128 v[4:7], v2 offset:1232
	ds_load_b128 v[8:11], v2 offset:1248
	v_fmac_f64_e32 v[20:21], v[14:15], v[116:117]
	v_fma_f64 v[12:13], v[12:13], v[116:117], -v[22:23]
	s_wait_loadcnt_dscnt 0x401
	v_mul_f64_e32 v[18:19], v[4:5], v[122:123]
	v_mul_f64_e32 v[112:113], v[6:7], v[122:123]
	s_wait_loadcnt_dscnt 0x300
	v_mul_f64_e32 v[22:23], v[8:9], v[126:127]
	v_add_f64_e32 v[14:15], v[110:111], v[108:109]
	v_add_f64_e32 v[16:17], v[16:17], v[140:141]
	v_mul_f64_e32 v[108:109], v[10:11], v[126:127]
	v_fmac_f64_e32 v[18:19], v[6:7], v[120:121]
	v_fma_f64 v[110:111], v[4:5], v[120:121], -v[112:113]
	v_fmac_f64_e32 v[22:23], v[10:11], v[124:125]
	v_add_f64_e32 v[112:113], v[14:15], v[12:13]
	v_add_f64_e32 v[16:17], v[16:17], v[20:21]
	ds_load_b128 v[4:7], v2 offset:1264
	ds_load_b128 v[12:15], v2 offset:1280
	v_fma_f64 v[8:9], v[8:9], v[124:125], -v[108:109]
	s_wait_loadcnt_dscnt 0x201
	v_mul_f64_e32 v[20:21], v[4:5], v[134:135]
	v_mul_f64_e32 v[114:115], v[6:7], v[134:135]
	s_wait_loadcnt_dscnt 0x100
	v_mul_f64_e32 v[108:109], v[14:15], v[146:147]
	v_add_f64_e32 v[10:11], v[112:113], v[110:111]
	v_add_f64_e32 v[16:17], v[16:17], v[18:19]
	v_mul_f64_e32 v[18:19], v[12:13], v[146:147]
	v_fmac_f64_e32 v[20:21], v[6:7], v[132:133]
	v_fma_f64 v[110:111], v[4:5], v[132:133], -v[114:115]
	ds_load_b128 v[4:7], v2 offset:1296
	v_fma_f64 v[12:13], v[12:13], v[144:145], -v[108:109]
	v_add_f64_e32 v[8:9], v[10:11], v[8:9]
	v_add_f64_e32 v[10:11], v[16:17], v[22:23]
	v_fmac_f64_e32 v[18:19], v[14:15], v[144:145]
	s_wait_loadcnt_dscnt 0x0
	v_mul_f64_e32 v[16:17], v[4:5], v[130:131]
	v_mul_f64_e32 v[22:23], v[6:7], v[130:131]
	v_add_f64_e32 v[8:9], v[8:9], v[110:111]
	v_add_f64_e32 v[10:11], v[10:11], v[20:21]
	s_delay_alu instid0(VALU_DEP_4) | instskip(NEXT) | instid1(VALU_DEP_4)
	v_fmac_f64_e32 v[16:17], v[6:7], v[128:129]
	v_fma_f64 v[4:5], v[4:5], v[128:129], -v[22:23]
	s_delay_alu instid0(VALU_DEP_4) | instskip(NEXT) | instid1(VALU_DEP_4)
	v_add_f64_e32 v[6:7], v[8:9], v[12:13]
	v_add_f64_e32 v[8:9], v[10:11], v[18:19]
	s_delay_alu instid0(VALU_DEP_2) | instskip(NEXT) | instid1(VALU_DEP_2)
	v_add_f64_e32 v[4:5], v[6:7], v[4:5]
	v_add_f64_e32 v[6:7], v[8:9], v[16:17]
	s_delay_alu instid0(VALU_DEP_2) | instskip(NEXT) | instid1(VALU_DEP_2)
	v_add_f64_e64 v[4:5], v[136:137], -v[4:5]
	v_add_f64_e64 v[6:7], v[138:139], -v[6:7]
	scratch_store_b128 off, v[4:7], off offset:240
	s_wait_xcnt 0x0
	v_cmpx_lt_u32_e32 14, v1
	s_cbranch_execz .LBB40_231
; %bb.230:
	scratch_load_b128 v[6:9], off, s52
	v_dual_mov_b32 v3, v2 :: v_dual_mov_b32 v4, v2
	v_mov_b32_e32 v5, v2
	scratch_store_b128 off, v[2:5], off offset:224
	s_wait_loadcnt 0x0
	ds_store_b128 v106, v[6:9]
.LBB40_231:
	s_wait_xcnt 0x0
	s_or_b32 exec_lo, exec_lo, s2
	s_wait_storecnt_dscnt 0x0
	s_barrier_signal -1
	s_barrier_wait -1
	s_clause 0x9
	scratch_load_b128 v[4:7], off, off offset:240
	scratch_load_b128 v[8:11], off, off offset:256
	;; [unrolled: 1-line block ×10, first 2 shown]
	ds_load_b128 v[128:131], v2 offset:896
	ds_load_b128 v[136:139], v2 offset:912
	s_clause 0x2
	scratch_load_b128 v[132:135], off, off offset:400
	scratch_load_b128 v[140:143], off, off offset:224
	;; [unrolled: 1-line block ×3, first 2 shown]
	s_mov_b32 s2, exec_lo
	s_wait_loadcnt_dscnt 0xc01
	v_mul_f64_e32 v[148:149], v[130:131], v[6:7]
	v_mul_f64_e32 v[152:153], v[128:129], v[6:7]
	s_wait_loadcnt_dscnt 0xb00
	v_mul_f64_e32 v[154:155], v[136:137], v[10:11]
	v_mul_f64_e32 v[10:11], v[138:139], v[10:11]
	s_delay_alu instid0(VALU_DEP_4) | instskip(NEXT) | instid1(VALU_DEP_4)
	v_fma_f64 v[156:157], v[128:129], v[4:5], -v[148:149]
	v_fmac_f64_e32 v[152:153], v[130:131], v[4:5]
	ds_load_b128 v[4:7], v2 offset:928
	ds_load_b128 v[128:131], v2 offset:944
	scratch_load_b128 v[148:151], off, off offset:432
	v_fmac_f64_e32 v[154:155], v[138:139], v[8:9]
	v_fma_f64 v[136:137], v[136:137], v[8:9], -v[10:11]
	scratch_load_b128 v[8:11], off, off offset:448
	s_wait_loadcnt_dscnt 0xc01
	v_mul_f64_e32 v[158:159], v[4:5], v[14:15]
	v_mul_f64_e32 v[14:15], v[6:7], v[14:15]
	v_add_f64_e32 v[138:139], 0, v[156:157]
	v_add_f64_e32 v[152:153], 0, v[152:153]
	s_wait_loadcnt_dscnt 0xb00
	v_mul_f64_e32 v[156:157], v[128:129], v[18:19]
	v_mul_f64_e32 v[18:19], v[130:131], v[18:19]
	v_fmac_f64_e32 v[158:159], v[6:7], v[12:13]
	v_fma_f64 v[160:161], v[4:5], v[12:13], -v[14:15]
	ds_load_b128 v[4:7], v2 offset:960
	ds_load_b128 v[12:15], v2 offset:976
	v_add_f64_e32 v[162:163], v[138:139], v[136:137]
	v_add_f64_e32 v[152:153], v[152:153], v[154:155]
	scratch_load_b128 v[136:139], off, off offset:464
	v_fmac_f64_e32 v[156:157], v[130:131], v[16:17]
	v_fma_f64 v[128:129], v[128:129], v[16:17], -v[18:19]
	scratch_load_b128 v[16:19], off, off offset:480
	s_wait_loadcnt_dscnt 0xc01
	v_mul_f64_e32 v[154:155], v[4:5], v[22:23]
	v_mul_f64_e32 v[22:23], v[6:7], v[22:23]
	v_add_f64_e32 v[130:131], v[162:163], v[160:161]
	v_add_f64_e32 v[152:153], v[152:153], v[158:159]
	s_wait_loadcnt_dscnt 0xb00
	v_mul_f64_e32 v[158:159], v[12:13], v[110:111]
	v_mul_f64_e32 v[110:111], v[14:15], v[110:111]
	v_fmac_f64_e32 v[154:155], v[6:7], v[20:21]
	v_fma_f64 v[160:161], v[4:5], v[20:21], -v[22:23]
	ds_load_b128 v[4:7], v2 offset:992
	ds_load_b128 v[20:23], v2 offset:1008
	v_add_f64_e32 v[162:163], v[130:131], v[128:129]
	v_add_f64_e32 v[152:153], v[152:153], v[156:157]
	scratch_load_b128 v[128:131], off, off offset:496
	s_wait_loadcnt_dscnt 0xb01
	v_mul_f64_e32 v[156:157], v[4:5], v[114:115]
	v_mul_f64_e32 v[114:115], v[6:7], v[114:115]
	v_fmac_f64_e32 v[158:159], v[14:15], v[108:109]
	v_fma_f64 v[108:109], v[12:13], v[108:109], -v[110:111]
	scratch_load_b128 v[12:15], off, off offset:512
	v_add_f64_e32 v[110:111], v[162:163], v[160:161]
	v_add_f64_e32 v[152:153], v[152:153], v[154:155]
	s_wait_loadcnt_dscnt 0xb00
	v_mul_f64_e32 v[154:155], v[20:21], v[118:119]
	v_mul_f64_e32 v[118:119], v[22:23], v[118:119]
	v_fmac_f64_e32 v[156:157], v[6:7], v[112:113]
	v_fma_f64 v[160:161], v[4:5], v[112:113], -v[114:115]
	v_add_f64_e32 v[162:163], v[110:111], v[108:109]
	v_add_f64_e32 v[152:153], v[152:153], v[158:159]
	ds_load_b128 v[4:7], v2 offset:1024
	ds_load_b128 v[108:111], v2 offset:1040
	scratch_load_b128 v[112:115], off, off offset:528
	v_fmac_f64_e32 v[154:155], v[22:23], v[116:117]
	v_fma_f64 v[116:117], v[20:21], v[116:117], -v[118:119]
	scratch_load_b128 v[20:23], off, off offset:544
	s_wait_loadcnt_dscnt 0xc01
	v_mul_f64_e32 v[158:159], v[4:5], v[122:123]
	v_mul_f64_e32 v[122:123], v[6:7], v[122:123]
	v_add_f64_e32 v[118:119], v[162:163], v[160:161]
	v_add_f64_e32 v[152:153], v[152:153], v[156:157]
	s_wait_loadcnt_dscnt 0xb00
	v_mul_f64_e32 v[156:157], v[108:109], v[126:127]
	v_mul_f64_e32 v[126:127], v[110:111], v[126:127]
	v_fmac_f64_e32 v[158:159], v[6:7], v[120:121]
	v_fma_f64 v[160:161], v[4:5], v[120:121], -v[122:123]
	v_add_f64_e32 v[162:163], v[118:119], v[116:117]
	v_add_f64_e32 v[152:153], v[152:153], v[154:155]
	ds_load_b128 v[4:7], v2 offset:1056
	ds_load_b128 v[116:119], v2 offset:1072
	scratch_load_b128 v[120:123], off, off offset:560
	v_fmac_f64_e32 v[156:157], v[110:111], v[124:125]
	v_fma_f64 v[124:125], v[108:109], v[124:125], -v[126:127]
	scratch_load_b128 v[108:111], off, off offset:576
	s_wait_loadcnt_dscnt 0xc01
	v_mul_f64_e32 v[154:155], v[4:5], v[134:135]
	v_mul_f64_e32 v[134:135], v[6:7], v[134:135]
	;; [unrolled: 18-line block ×4, first 2 shown]
	v_add_f64_e32 v[126:127], v[162:163], v[160:161]
	v_add_f64_e32 v[152:153], v[152:153], v[156:157]
	s_wait_loadcnt_dscnt 0xa00
	v_mul_f64_e32 v[156:157], v[144:145], v[18:19]
	v_mul_f64_e32 v[18:19], v[146:147], v[18:19]
	v_fmac_f64_e32 v[158:159], v[6:7], v[136:137]
	v_fma_f64 v[136:137], v[4:5], v[136:137], -v[138:139]
	v_add_f64_e32 v[138:139], v[126:127], v[124:125]
	v_add_f64_e32 v[152:153], v[152:153], v[154:155]
	ds_load_b128 v[4:7], v2 offset:1152
	ds_load_b128 v[124:127], v2 offset:1168
	v_fmac_f64_e32 v[156:157], v[146:147], v[16:17]
	v_fma_f64 v[16:17], v[144:145], v[16:17], -v[18:19]
	s_wait_loadcnt_dscnt 0x901
	v_mul_f64_e32 v[154:155], v[4:5], v[130:131]
	v_mul_f64_e32 v[130:131], v[6:7], v[130:131]
	s_wait_loadcnt_dscnt 0x800
	v_mul_f64_e32 v[144:145], v[126:127], v[14:15]
	v_add_f64_e32 v[18:19], v[138:139], v[136:137]
	v_add_f64_e32 v[136:137], v[152:153], v[158:159]
	v_mul_f64_e32 v[138:139], v[124:125], v[14:15]
	v_fmac_f64_e32 v[154:155], v[6:7], v[128:129]
	v_fma_f64 v[128:129], v[4:5], v[128:129], -v[130:131]
	v_add_f64_e32 v[18:19], v[18:19], v[16:17]
	v_add_f64_e32 v[130:131], v[136:137], v[156:157]
	ds_load_b128 v[4:7], v2 offset:1184
	ds_load_b128 v[14:17], v2 offset:1200
	v_fmac_f64_e32 v[138:139], v[126:127], v[12:13]
	v_fma_f64 v[12:13], v[124:125], v[12:13], -v[144:145]
	s_wait_loadcnt_dscnt 0x701
	v_mul_f64_e32 v[136:137], v[4:5], v[114:115]
	v_mul_f64_e32 v[114:115], v[6:7], v[114:115]
	s_wait_loadcnt_dscnt 0x600
	v_mul_f64_e32 v[126:127], v[14:15], v[22:23]
	v_mul_f64_e32 v[22:23], v[16:17], v[22:23]
	v_add_f64_e32 v[18:19], v[18:19], v[128:129]
	v_add_f64_e32 v[124:125], v[130:131], v[154:155]
	v_fmac_f64_e32 v[136:137], v[6:7], v[112:113]
	v_fma_f64 v[128:129], v[4:5], v[112:113], -v[114:115]
	ds_load_b128 v[4:7], v2 offset:1216
	ds_load_b128 v[112:115], v2 offset:1232
	v_fmac_f64_e32 v[126:127], v[16:17], v[20:21]
	v_fma_f64 v[14:15], v[14:15], v[20:21], -v[22:23]
	v_add_f64_e32 v[12:13], v[18:19], v[12:13]
	v_add_f64_e32 v[18:19], v[124:125], v[138:139]
	s_wait_loadcnt_dscnt 0x501
	v_mul_f64_e32 v[124:125], v[4:5], v[122:123]
	v_mul_f64_e32 v[122:123], v[6:7], v[122:123]
	s_wait_loadcnt_dscnt 0x400
	v_mul_f64_e32 v[20:21], v[114:115], v[110:111]
	v_add_f64_e32 v[12:13], v[12:13], v[128:129]
	v_add_f64_e32 v[16:17], v[18:19], v[136:137]
	v_mul_f64_e32 v[18:19], v[112:113], v[110:111]
	v_fmac_f64_e32 v[124:125], v[6:7], v[120:121]
	v_fma_f64 v[22:23], v[4:5], v[120:121], -v[122:123]
	v_fma_f64 v[20:21], v[112:113], v[108:109], -v[20:21]
	v_add_f64_e32 v[110:111], v[12:13], v[14:15]
	v_add_f64_e32 v[16:17], v[16:17], v[126:127]
	ds_load_b128 v[4:7], v2 offset:1248
	ds_load_b128 v[12:15], v2 offset:1264
	v_fmac_f64_e32 v[18:19], v[114:115], v[108:109]
	s_wait_loadcnt_dscnt 0x301
	v_mul_f64_e32 v[120:121], v[4:5], v[134:135]
	v_mul_f64_e32 v[122:123], v[6:7], v[134:135]
	s_wait_loadcnt_dscnt 0x200
	v_mul_f64_e32 v[108:109], v[12:13], v[118:119]
	v_add_f64_e32 v[22:23], v[110:111], v[22:23]
	v_add_f64_e32 v[16:17], v[16:17], v[124:125]
	v_mul_f64_e32 v[110:111], v[14:15], v[118:119]
	v_fmac_f64_e32 v[120:121], v[6:7], v[132:133]
	v_fma_f64 v[112:113], v[4:5], v[132:133], -v[122:123]
	v_fmac_f64_e32 v[108:109], v[14:15], v[116:117]
	v_add_f64_e32 v[20:21], v[22:23], v[20:21]
	v_add_f64_e32 v[22:23], v[16:17], v[18:19]
	ds_load_b128 v[4:7], v2 offset:1280
	ds_load_b128 v[16:19], v2 offset:1296
	v_fma_f64 v[12:13], v[12:13], v[116:117], -v[110:111]
	s_wait_loadcnt_dscnt 0x101
	v_mul_f64_e32 v[2:3], v[4:5], v[150:151]
	v_mul_f64_e32 v[114:115], v[6:7], v[150:151]
	v_add_f64_e32 v[14:15], v[20:21], v[112:113]
	v_add_f64_e32 v[20:21], v[22:23], v[120:121]
	s_wait_loadcnt_dscnt 0x0
	v_mul_f64_e32 v[22:23], v[16:17], v[10:11]
	v_mul_f64_e32 v[10:11], v[18:19], v[10:11]
	v_fmac_f64_e32 v[2:3], v[6:7], v[148:149]
	v_fma_f64 v[4:5], v[4:5], v[148:149], -v[114:115]
	v_add_f64_e32 v[6:7], v[14:15], v[12:13]
	v_add_f64_e32 v[12:13], v[20:21], v[108:109]
	v_fmac_f64_e32 v[22:23], v[18:19], v[8:9]
	v_fma_f64 v[8:9], v[16:17], v[8:9], -v[10:11]
	s_delay_alu instid0(VALU_DEP_4) | instskip(NEXT) | instid1(VALU_DEP_4)
	v_add_f64_e32 v[4:5], v[6:7], v[4:5]
	v_add_f64_e32 v[2:3], v[12:13], v[2:3]
	s_delay_alu instid0(VALU_DEP_2) | instskip(NEXT) | instid1(VALU_DEP_2)
	v_add_f64_e32 v[4:5], v[4:5], v[8:9]
	v_add_f64_e32 v[6:7], v[2:3], v[22:23]
	s_delay_alu instid0(VALU_DEP_2) | instskip(NEXT) | instid1(VALU_DEP_2)
	v_add_f64_e64 v[2:3], v[140:141], -v[4:5]
	v_add_f64_e64 v[4:5], v[142:143], -v[6:7]
	scratch_store_b128 off, v[2:5], off offset:224
	s_wait_xcnt 0x0
	v_cmpx_lt_u32_e32 13, v1
	s_cbranch_execz .LBB40_233
; %bb.232:
	scratch_load_b128 v[2:5], off, s51
	v_mov_b32_e32 v6, 0
	s_delay_alu instid0(VALU_DEP_1)
	v_dual_mov_b32 v7, v6 :: v_dual_mov_b32 v8, v6
	v_mov_b32_e32 v9, v6
	scratch_store_b128 off, v[6:9], off offset:208
	s_wait_loadcnt 0x0
	ds_store_b128 v106, v[2:5]
.LBB40_233:
	s_wait_xcnt 0x0
	s_or_b32 exec_lo, exec_lo, s2
	s_wait_storecnt_dscnt 0x0
	s_barrier_signal -1
	s_barrier_wait -1
	s_clause 0x9
	scratch_load_b128 v[4:7], off, off offset:224
	scratch_load_b128 v[8:11], off, off offset:240
	;; [unrolled: 1-line block ×10, first 2 shown]
	v_mov_b32_e32 v2, 0
	s_mov_b32 s2, exec_lo
	ds_load_b128 v[128:131], v2 offset:880
	s_clause 0x2
	scratch_load_b128 v[132:135], off, off offset:384
	scratch_load_b128 v[136:139], off, off offset:208
	;; [unrolled: 1-line block ×3, first 2 shown]
	s_wait_loadcnt_dscnt 0xc00
	v_mul_f64_e32 v[148:149], v[130:131], v[6:7]
	v_mul_f64_e32 v[152:153], v[128:129], v[6:7]
	ds_load_b128 v[140:143], v2 offset:896
	v_fma_f64 v[156:157], v[128:129], v[4:5], -v[148:149]
	v_fmac_f64_e32 v[152:153], v[130:131], v[4:5]
	ds_load_b128 v[4:7], v2 offset:912
	s_wait_loadcnt_dscnt 0xb01
	v_mul_f64_e32 v[154:155], v[140:141], v[10:11]
	v_mul_f64_e32 v[10:11], v[142:143], v[10:11]
	scratch_load_b128 v[128:131], off, off offset:416
	ds_load_b128 v[148:151], v2 offset:928
	s_wait_loadcnt_dscnt 0xb01
	v_mul_f64_e32 v[158:159], v[4:5], v[14:15]
	v_mul_f64_e32 v[14:15], v[6:7], v[14:15]
	v_add_f64_e32 v[152:153], 0, v[152:153]
	v_fmac_f64_e32 v[154:155], v[142:143], v[8:9]
	v_fma_f64 v[140:141], v[140:141], v[8:9], -v[10:11]
	v_add_f64_e32 v[142:143], 0, v[156:157]
	scratch_load_b128 v[8:11], off, off offset:432
	v_fmac_f64_e32 v[158:159], v[6:7], v[12:13]
	v_fma_f64 v[160:161], v[4:5], v[12:13], -v[14:15]
	ds_load_b128 v[4:7], v2 offset:944
	s_wait_loadcnt_dscnt 0xb01
	v_mul_f64_e32 v[156:157], v[148:149], v[18:19]
	v_mul_f64_e32 v[18:19], v[150:151], v[18:19]
	scratch_load_b128 v[12:15], off, off offset:448
	v_add_f64_e32 v[152:153], v[152:153], v[154:155]
	v_add_f64_e32 v[162:163], v[142:143], v[140:141]
	ds_load_b128 v[140:143], v2 offset:960
	s_wait_loadcnt_dscnt 0xb01
	v_mul_f64_e32 v[154:155], v[4:5], v[22:23]
	v_mul_f64_e32 v[22:23], v[6:7], v[22:23]
	v_fmac_f64_e32 v[156:157], v[150:151], v[16:17]
	v_fma_f64 v[148:149], v[148:149], v[16:17], -v[18:19]
	scratch_load_b128 v[16:19], off, off offset:464
	v_add_f64_e32 v[152:153], v[152:153], v[158:159]
	v_add_f64_e32 v[150:151], v[162:163], v[160:161]
	v_fmac_f64_e32 v[154:155], v[6:7], v[20:21]
	v_fma_f64 v[160:161], v[4:5], v[20:21], -v[22:23]
	ds_load_b128 v[4:7], v2 offset:976
	s_wait_loadcnt_dscnt 0xb01
	v_mul_f64_e32 v[158:159], v[140:141], v[110:111]
	v_mul_f64_e32 v[110:111], v[142:143], v[110:111]
	scratch_load_b128 v[20:23], off, off offset:480
	v_add_f64_e32 v[152:153], v[152:153], v[156:157]
	s_wait_loadcnt_dscnt 0xb00
	v_mul_f64_e32 v[156:157], v[4:5], v[114:115]
	v_add_f64_e32 v[162:163], v[150:151], v[148:149]
	v_mul_f64_e32 v[114:115], v[6:7], v[114:115]
	ds_load_b128 v[148:151], v2 offset:992
	v_fmac_f64_e32 v[158:159], v[142:143], v[108:109]
	v_fma_f64 v[140:141], v[140:141], v[108:109], -v[110:111]
	scratch_load_b128 v[108:111], off, off offset:496
	v_add_f64_e32 v[152:153], v[152:153], v[154:155]
	v_fmac_f64_e32 v[156:157], v[6:7], v[112:113]
	v_add_f64_e32 v[142:143], v[162:163], v[160:161]
	v_fma_f64 v[160:161], v[4:5], v[112:113], -v[114:115]
	ds_load_b128 v[4:7], v2 offset:1008
	s_wait_loadcnt_dscnt 0xb01
	v_mul_f64_e32 v[154:155], v[148:149], v[118:119]
	v_mul_f64_e32 v[118:119], v[150:151], v[118:119]
	scratch_load_b128 v[112:115], off, off offset:512
	v_add_f64_e32 v[152:153], v[152:153], v[158:159]
	s_wait_loadcnt_dscnt 0xb00
	v_mul_f64_e32 v[158:159], v[4:5], v[122:123]
	v_add_f64_e32 v[162:163], v[142:143], v[140:141]
	v_mul_f64_e32 v[122:123], v[6:7], v[122:123]
	ds_load_b128 v[140:143], v2 offset:1024
	v_fmac_f64_e32 v[154:155], v[150:151], v[116:117]
	v_fma_f64 v[148:149], v[148:149], v[116:117], -v[118:119]
	scratch_load_b128 v[116:119], off, off offset:528
	v_add_f64_e32 v[152:153], v[152:153], v[156:157]
	v_fmac_f64_e32 v[158:159], v[6:7], v[120:121]
	v_add_f64_e32 v[150:151], v[162:163], v[160:161]
	;; [unrolled: 18-line block ×3, first 2 shown]
	v_fma_f64 v[160:161], v[4:5], v[132:133], -v[134:135]
	ds_load_b128 v[4:7], v2 offset:1072
	s_wait_loadcnt_dscnt 0xa01
	v_mul_f64_e32 v[158:159], v[148:149], v[146:147]
	v_mul_f64_e32 v[146:147], v[150:151], v[146:147]
	scratch_load_b128 v[132:135], off, off offset:576
	v_add_f64_e32 v[152:153], v[152:153], v[156:157]
	v_add_f64_e32 v[162:163], v[142:143], v[140:141]
	s_wait_loadcnt_dscnt 0xa00
	v_mul_f64_e32 v[156:157], v[4:5], v[130:131]
	v_mul_f64_e32 v[130:131], v[6:7], v[130:131]
	v_fmac_f64_e32 v[158:159], v[150:151], v[144:145]
	v_fma_f64 v[148:149], v[148:149], v[144:145], -v[146:147]
	ds_load_b128 v[140:143], v2 offset:1088
	scratch_load_b128 v[144:147], off, off offset:592
	v_add_f64_e32 v[152:153], v[152:153], v[154:155]
	v_add_f64_e32 v[150:151], v[162:163], v[160:161]
	v_fmac_f64_e32 v[156:157], v[6:7], v[128:129]
	v_fma_f64 v[160:161], v[4:5], v[128:129], -v[130:131]
	ds_load_b128 v[4:7], v2 offset:1104
	s_wait_loadcnt_dscnt 0xa01
	v_mul_f64_e32 v[154:155], v[140:141], v[10:11]
	v_mul_f64_e32 v[10:11], v[142:143], v[10:11]
	scratch_load_b128 v[128:131], off, off offset:608
	v_add_f64_e32 v[152:153], v[152:153], v[158:159]
	s_wait_loadcnt_dscnt 0xa00
	v_mul_f64_e32 v[158:159], v[4:5], v[14:15]
	v_add_f64_e32 v[162:163], v[150:151], v[148:149]
	v_mul_f64_e32 v[14:15], v[6:7], v[14:15]
	ds_load_b128 v[148:151], v2 offset:1120
	v_fmac_f64_e32 v[154:155], v[142:143], v[8:9]
	v_fma_f64 v[140:141], v[140:141], v[8:9], -v[10:11]
	scratch_load_b128 v[8:11], off, off offset:624
	v_add_f64_e32 v[152:153], v[152:153], v[156:157]
	v_fmac_f64_e32 v[158:159], v[6:7], v[12:13]
	v_add_f64_e32 v[142:143], v[162:163], v[160:161]
	v_fma_f64 v[160:161], v[4:5], v[12:13], -v[14:15]
	ds_load_b128 v[4:7], v2 offset:1136
	s_wait_loadcnt_dscnt 0xa01
	v_mul_f64_e32 v[156:157], v[148:149], v[18:19]
	v_mul_f64_e32 v[18:19], v[150:151], v[18:19]
	scratch_load_b128 v[12:15], off, off offset:640
	v_add_f64_e32 v[152:153], v[152:153], v[154:155]
	s_wait_loadcnt_dscnt 0xa00
	v_mul_f64_e32 v[154:155], v[4:5], v[22:23]
	v_add_f64_e32 v[162:163], v[142:143], v[140:141]
	v_mul_f64_e32 v[22:23], v[6:7], v[22:23]
	ds_load_b128 v[140:143], v2 offset:1152
	v_fmac_f64_e32 v[156:157], v[150:151], v[16:17]
	v_fma_f64 v[16:17], v[148:149], v[16:17], -v[18:19]
	s_wait_loadcnt_dscnt 0x900
	v_mul_f64_e32 v[150:151], v[140:141], v[110:111]
	v_mul_f64_e32 v[110:111], v[142:143], v[110:111]
	v_add_f64_e32 v[148:149], v[152:153], v[158:159]
	v_fmac_f64_e32 v[154:155], v[6:7], v[20:21]
	v_add_f64_e32 v[18:19], v[162:163], v[160:161]
	v_fma_f64 v[20:21], v[4:5], v[20:21], -v[22:23]
	v_fmac_f64_e32 v[150:151], v[142:143], v[108:109]
	v_fma_f64 v[108:109], v[140:141], v[108:109], -v[110:111]
	v_add_f64_e32 v[148:149], v[148:149], v[156:157]
	v_add_f64_e32 v[22:23], v[18:19], v[16:17]
	ds_load_b128 v[4:7], v2 offset:1168
	ds_load_b128 v[16:19], v2 offset:1184
	s_wait_loadcnt_dscnt 0x801
	v_mul_f64_e32 v[152:153], v[4:5], v[114:115]
	v_mul_f64_e32 v[114:115], v[6:7], v[114:115]
	s_wait_loadcnt_dscnt 0x700
	v_mul_f64_e32 v[110:111], v[16:17], v[118:119]
	v_mul_f64_e32 v[118:119], v[18:19], v[118:119]
	v_add_f64_e32 v[20:21], v[22:23], v[20:21]
	v_add_f64_e32 v[22:23], v[148:149], v[154:155]
	v_fmac_f64_e32 v[152:153], v[6:7], v[112:113]
	v_fma_f64 v[112:113], v[4:5], v[112:113], -v[114:115]
	v_fmac_f64_e32 v[110:111], v[18:19], v[116:117]
	v_fma_f64 v[16:17], v[16:17], v[116:117], -v[118:119]
	v_add_f64_e32 v[108:109], v[20:21], v[108:109]
	v_add_f64_e32 v[114:115], v[22:23], v[150:151]
	ds_load_b128 v[4:7], v2 offset:1200
	ds_load_b128 v[20:23], v2 offset:1216
	s_wait_loadcnt_dscnt 0x601
	v_mul_f64_e32 v[140:141], v[4:5], v[122:123]
	v_mul_f64_e32 v[122:123], v[6:7], v[122:123]
	v_add_f64_e32 v[18:19], v[108:109], v[112:113]
	v_add_f64_e32 v[108:109], v[114:115], v[152:153]
	s_wait_loadcnt_dscnt 0x500
	v_mul_f64_e32 v[112:113], v[20:21], v[126:127]
	v_mul_f64_e32 v[114:115], v[22:23], v[126:127]
	v_fmac_f64_e32 v[140:141], v[6:7], v[120:121]
	v_fma_f64 v[116:117], v[4:5], v[120:121], -v[122:123]
	v_add_f64_e32 v[118:119], v[18:19], v[16:17]
	v_add_f64_e32 v[108:109], v[108:109], v[110:111]
	ds_load_b128 v[4:7], v2 offset:1232
	ds_load_b128 v[16:19], v2 offset:1248
	v_fmac_f64_e32 v[112:113], v[22:23], v[124:125]
	v_fma_f64 v[20:21], v[20:21], v[124:125], -v[114:115]
	s_wait_loadcnt_dscnt 0x401
	v_mul_f64_e32 v[110:111], v[4:5], v[134:135]
	v_mul_f64_e32 v[120:121], v[6:7], v[134:135]
	s_wait_loadcnt_dscnt 0x300
	v_mul_f64_e32 v[114:115], v[16:17], v[146:147]
	v_add_f64_e32 v[22:23], v[118:119], v[116:117]
	v_add_f64_e32 v[108:109], v[108:109], v[140:141]
	v_mul_f64_e32 v[116:117], v[18:19], v[146:147]
	v_fmac_f64_e32 v[110:111], v[6:7], v[132:133]
	v_fma_f64 v[118:119], v[4:5], v[132:133], -v[120:121]
	v_fmac_f64_e32 v[114:115], v[18:19], v[144:145]
	v_add_f64_e32 v[120:121], v[22:23], v[20:21]
	v_add_f64_e32 v[108:109], v[108:109], v[112:113]
	ds_load_b128 v[4:7], v2 offset:1264
	ds_load_b128 v[20:23], v2 offset:1280
	v_fma_f64 v[16:17], v[16:17], v[144:145], -v[116:117]
	s_wait_loadcnt_dscnt 0x201
	v_mul_f64_e32 v[112:113], v[4:5], v[130:131]
	v_mul_f64_e32 v[122:123], v[6:7], v[130:131]
	v_add_f64_e32 v[18:19], v[120:121], v[118:119]
	v_add_f64_e32 v[108:109], v[108:109], v[110:111]
	s_wait_loadcnt_dscnt 0x100
	v_mul_f64_e32 v[110:111], v[20:21], v[10:11]
	v_mul_f64_e32 v[10:11], v[22:23], v[10:11]
	v_fmac_f64_e32 v[112:113], v[6:7], v[128:129]
	v_fma_f64 v[116:117], v[4:5], v[128:129], -v[122:123]
	ds_load_b128 v[4:7], v2 offset:1296
	v_add_f64_e32 v[16:17], v[18:19], v[16:17]
	v_add_f64_e32 v[18:19], v[108:109], v[114:115]
	v_fmac_f64_e32 v[110:111], v[22:23], v[8:9]
	v_fma_f64 v[8:9], v[20:21], v[8:9], -v[10:11]
	s_wait_loadcnt_dscnt 0x0
	v_mul_f64_e32 v[108:109], v[4:5], v[14:15]
	v_mul_f64_e32 v[14:15], v[6:7], v[14:15]
	v_add_f64_e32 v[10:11], v[16:17], v[116:117]
	v_add_f64_e32 v[16:17], v[18:19], v[112:113]
	s_delay_alu instid0(VALU_DEP_4) | instskip(NEXT) | instid1(VALU_DEP_4)
	v_fmac_f64_e32 v[108:109], v[6:7], v[12:13]
	v_fma_f64 v[4:5], v[4:5], v[12:13], -v[14:15]
	s_delay_alu instid0(VALU_DEP_4) | instskip(NEXT) | instid1(VALU_DEP_4)
	v_add_f64_e32 v[6:7], v[10:11], v[8:9]
	v_add_f64_e32 v[8:9], v[16:17], v[110:111]
	s_delay_alu instid0(VALU_DEP_2) | instskip(NEXT) | instid1(VALU_DEP_2)
	v_add_f64_e32 v[4:5], v[6:7], v[4:5]
	v_add_f64_e32 v[6:7], v[8:9], v[108:109]
	s_delay_alu instid0(VALU_DEP_2) | instskip(NEXT) | instid1(VALU_DEP_2)
	v_add_f64_e64 v[4:5], v[136:137], -v[4:5]
	v_add_f64_e64 v[6:7], v[138:139], -v[6:7]
	scratch_store_b128 off, v[4:7], off offset:208
	s_wait_xcnt 0x0
	v_cmpx_lt_u32_e32 12, v1
	s_cbranch_execz .LBB40_235
; %bb.234:
	scratch_load_b128 v[6:9], off, s50
	v_dual_mov_b32 v3, v2 :: v_dual_mov_b32 v4, v2
	v_mov_b32_e32 v5, v2
	scratch_store_b128 off, v[2:5], off offset:192
	s_wait_loadcnt 0x0
	ds_store_b128 v106, v[6:9]
.LBB40_235:
	s_wait_xcnt 0x0
	s_or_b32 exec_lo, exec_lo, s2
	s_wait_storecnt_dscnt 0x0
	s_barrier_signal -1
	s_barrier_wait -1
	s_clause 0x9
	scratch_load_b128 v[4:7], off, off offset:208
	scratch_load_b128 v[8:11], off, off offset:224
	;; [unrolled: 1-line block ×10, first 2 shown]
	ds_load_b128 v[128:131], v2 offset:864
	ds_load_b128 v[136:139], v2 offset:880
	s_clause 0x2
	scratch_load_b128 v[132:135], off, off offset:368
	scratch_load_b128 v[140:143], off, off offset:192
	;; [unrolled: 1-line block ×3, first 2 shown]
	s_mov_b32 s2, exec_lo
	s_wait_loadcnt_dscnt 0xc01
	v_mul_f64_e32 v[148:149], v[130:131], v[6:7]
	v_mul_f64_e32 v[152:153], v[128:129], v[6:7]
	s_wait_loadcnt_dscnt 0xb00
	v_mul_f64_e32 v[154:155], v[136:137], v[10:11]
	v_mul_f64_e32 v[10:11], v[138:139], v[10:11]
	s_delay_alu instid0(VALU_DEP_4) | instskip(NEXT) | instid1(VALU_DEP_4)
	v_fma_f64 v[156:157], v[128:129], v[4:5], -v[148:149]
	v_fmac_f64_e32 v[152:153], v[130:131], v[4:5]
	ds_load_b128 v[4:7], v2 offset:896
	ds_load_b128 v[128:131], v2 offset:912
	scratch_load_b128 v[148:151], off, off offset:400
	v_fmac_f64_e32 v[154:155], v[138:139], v[8:9]
	v_fma_f64 v[136:137], v[136:137], v[8:9], -v[10:11]
	scratch_load_b128 v[8:11], off, off offset:416
	s_wait_loadcnt_dscnt 0xc01
	v_mul_f64_e32 v[158:159], v[4:5], v[14:15]
	v_mul_f64_e32 v[14:15], v[6:7], v[14:15]
	v_add_f64_e32 v[138:139], 0, v[156:157]
	v_add_f64_e32 v[152:153], 0, v[152:153]
	s_wait_loadcnt_dscnt 0xb00
	v_mul_f64_e32 v[156:157], v[128:129], v[18:19]
	v_mul_f64_e32 v[18:19], v[130:131], v[18:19]
	v_fmac_f64_e32 v[158:159], v[6:7], v[12:13]
	v_fma_f64 v[160:161], v[4:5], v[12:13], -v[14:15]
	ds_load_b128 v[4:7], v2 offset:928
	ds_load_b128 v[12:15], v2 offset:944
	v_add_f64_e32 v[162:163], v[138:139], v[136:137]
	v_add_f64_e32 v[152:153], v[152:153], v[154:155]
	scratch_load_b128 v[136:139], off, off offset:432
	v_fmac_f64_e32 v[156:157], v[130:131], v[16:17]
	v_fma_f64 v[128:129], v[128:129], v[16:17], -v[18:19]
	scratch_load_b128 v[16:19], off, off offset:448
	s_wait_loadcnt_dscnt 0xc01
	v_mul_f64_e32 v[154:155], v[4:5], v[22:23]
	v_mul_f64_e32 v[22:23], v[6:7], v[22:23]
	v_add_f64_e32 v[130:131], v[162:163], v[160:161]
	v_add_f64_e32 v[152:153], v[152:153], v[158:159]
	s_wait_loadcnt_dscnt 0xb00
	v_mul_f64_e32 v[158:159], v[12:13], v[110:111]
	v_mul_f64_e32 v[110:111], v[14:15], v[110:111]
	v_fmac_f64_e32 v[154:155], v[6:7], v[20:21]
	v_fma_f64 v[160:161], v[4:5], v[20:21], -v[22:23]
	ds_load_b128 v[4:7], v2 offset:960
	ds_load_b128 v[20:23], v2 offset:976
	v_add_f64_e32 v[162:163], v[130:131], v[128:129]
	v_add_f64_e32 v[152:153], v[152:153], v[156:157]
	scratch_load_b128 v[128:131], off, off offset:464
	s_wait_loadcnt_dscnt 0xb01
	v_mul_f64_e32 v[156:157], v[4:5], v[114:115]
	v_mul_f64_e32 v[114:115], v[6:7], v[114:115]
	v_fmac_f64_e32 v[158:159], v[14:15], v[108:109]
	v_fma_f64 v[108:109], v[12:13], v[108:109], -v[110:111]
	scratch_load_b128 v[12:15], off, off offset:480
	v_add_f64_e32 v[110:111], v[162:163], v[160:161]
	v_add_f64_e32 v[152:153], v[152:153], v[154:155]
	s_wait_loadcnt_dscnt 0xb00
	v_mul_f64_e32 v[154:155], v[20:21], v[118:119]
	v_mul_f64_e32 v[118:119], v[22:23], v[118:119]
	v_fmac_f64_e32 v[156:157], v[6:7], v[112:113]
	v_fma_f64 v[160:161], v[4:5], v[112:113], -v[114:115]
	v_add_f64_e32 v[162:163], v[110:111], v[108:109]
	v_add_f64_e32 v[152:153], v[152:153], v[158:159]
	ds_load_b128 v[4:7], v2 offset:992
	ds_load_b128 v[108:111], v2 offset:1008
	scratch_load_b128 v[112:115], off, off offset:496
	v_fmac_f64_e32 v[154:155], v[22:23], v[116:117]
	v_fma_f64 v[116:117], v[20:21], v[116:117], -v[118:119]
	scratch_load_b128 v[20:23], off, off offset:512
	s_wait_loadcnt_dscnt 0xc01
	v_mul_f64_e32 v[158:159], v[4:5], v[122:123]
	v_mul_f64_e32 v[122:123], v[6:7], v[122:123]
	v_add_f64_e32 v[118:119], v[162:163], v[160:161]
	v_add_f64_e32 v[152:153], v[152:153], v[156:157]
	s_wait_loadcnt_dscnt 0xb00
	v_mul_f64_e32 v[156:157], v[108:109], v[126:127]
	v_mul_f64_e32 v[126:127], v[110:111], v[126:127]
	v_fmac_f64_e32 v[158:159], v[6:7], v[120:121]
	v_fma_f64 v[160:161], v[4:5], v[120:121], -v[122:123]
	v_add_f64_e32 v[162:163], v[118:119], v[116:117]
	v_add_f64_e32 v[152:153], v[152:153], v[154:155]
	ds_load_b128 v[4:7], v2 offset:1024
	ds_load_b128 v[116:119], v2 offset:1040
	scratch_load_b128 v[120:123], off, off offset:528
	v_fmac_f64_e32 v[156:157], v[110:111], v[124:125]
	v_fma_f64 v[124:125], v[108:109], v[124:125], -v[126:127]
	scratch_load_b128 v[108:111], off, off offset:544
	s_wait_loadcnt_dscnt 0xc01
	v_mul_f64_e32 v[154:155], v[4:5], v[134:135]
	v_mul_f64_e32 v[134:135], v[6:7], v[134:135]
	;; [unrolled: 18-line block ×5, first 2 shown]
	v_add_f64_e32 v[146:147], v[162:163], v[160:161]
	v_add_f64_e32 v[152:153], v[152:153], v[158:159]
	s_wait_loadcnt_dscnt 0xa00
	v_mul_f64_e32 v[158:159], v[124:125], v[14:15]
	v_mul_f64_e32 v[14:15], v[126:127], v[14:15]
	v_fmac_f64_e32 v[154:155], v[6:7], v[128:129]
	v_fma_f64 v[160:161], v[4:5], v[128:129], -v[130:131]
	ds_load_b128 v[4:7], v2 offset:1152
	ds_load_b128 v[128:131], v2 offset:1168
	v_add_f64_e32 v[144:145], v[146:147], v[144:145]
	v_add_f64_e32 v[146:147], v[152:153], v[156:157]
	v_fmac_f64_e32 v[158:159], v[126:127], v[12:13]
	v_fma_f64 v[12:13], v[124:125], v[12:13], -v[14:15]
	s_wait_loadcnt_dscnt 0x901
	v_mul_f64_e32 v[152:153], v[4:5], v[114:115]
	v_mul_f64_e32 v[114:115], v[6:7], v[114:115]
	s_wait_loadcnt_dscnt 0x800
	v_mul_f64_e32 v[126:127], v[128:129], v[22:23]
	v_mul_f64_e32 v[22:23], v[130:131], v[22:23]
	v_add_f64_e32 v[14:15], v[144:145], v[160:161]
	v_add_f64_e32 v[124:125], v[146:147], v[154:155]
	v_fmac_f64_e32 v[152:153], v[6:7], v[112:113]
	v_fma_f64 v[112:113], v[4:5], v[112:113], -v[114:115]
	v_fmac_f64_e32 v[126:127], v[130:131], v[20:21]
	v_fma_f64 v[20:21], v[128:129], v[20:21], -v[22:23]
	v_add_f64_e32 v[114:115], v[14:15], v[12:13]
	v_add_f64_e32 v[124:125], v[124:125], v[158:159]
	ds_load_b128 v[4:7], v2 offset:1184
	ds_load_b128 v[12:15], v2 offset:1200
	s_wait_loadcnt_dscnt 0x701
	v_mul_f64_e32 v[144:145], v[4:5], v[122:123]
	v_mul_f64_e32 v[122:123], v[6:7], v[122:123]
	v_add_f64_e32 v[22:23], v[114:115], v[112:113]
	v_add_f64_e32 v[112:113], v[124:125], v[152:153]
	s_wait_loadcnt_dscnt 0x600
	v_mul_f64_e32 v[114:115], v[12:13], v[110:111]
	v_mul_f64_e32 v[110:111], v[14:15], v[110:111]
	v_fmac_f64_e32 v[144:145], v[6:7], v[120:121]
	v_fma_f64 v[120:121], v[4:5], v[120:121], -v[122:123]
	v_add_f64_e32 v[122:123], v[22:23], v[20:21]
	v_add_f64_e32 v[112:113], v[112:113], v[126:127]
	ds_load_b128 v[4:7], v2 offset:1216
	ds_load_b128 v[20:23], v2 offset:1232
	v_fmac_f64_e32 v[114:115], v[14:15], v[108:109]
	v_fma_f64 v[12:13], v[12:13], v[108:109], -v[110:111]
	s_wait_loadcnt_dscnt 0x501
	v_mul_f64_e32 v[124:125], v[4:5], v[134:135]
	v_mul_f64_e32 v[126:127], v[6:7], v[134:135]
	s_wait_loadcnt_dscnt 0x400
	v_mul_f64_e32 v[110:111], v[20:21], v[118:119]
	v_add_f64_e32 v[14:15], v[122:123], v[120:121]
	v_add_f64_e32 v[108:109], v[112:113], v[144:145]
	v_mul_f64_e32 v[112:113], v[22:23], v[118:119]
	v_fmac_f64_e32 v[124:125], v[6:7], v[132:133]
	v_fma_f64 v[118:119], v[4:5], v[132:133], -v[126:127]
	v_fmac_f64_e32 v[110:111], v[22:23], v[116:117]
	v_add_f64_e32 v[120:121], v[14:15], v[12:13]
	v_add_f64_e32 v[108:109], v[108:109], v[114:115]
	ds_load_b128 v[4:7], v2 offset:1248
	ds_load_b128 v[12:15], v2 offset:1264
	v_fma_f64 v[20:21], v[20:21], v[116:117], -v[112:113]
	s_wait_loadcnt_dscnt 0x301
	v_mul_f64_e32 v[114:115], v[4:5], v[150:151]
	v_mul_f64_e32 v[122:123], v[6:7], v[150:151]
	s_wait_loadcnt_dscnt 0x200
	v_mul_f64_e32 v[112:113], v[12:13], v[10:11]
	v_mul_f64_e32 v[10:11], v[14:15], v[10:11]
	v_add_f64_e32 v[22:23], v[120:121], v[118:119]
	v_add_f64_e32 v[108:109], v[108:109], v[124:125]
	v_fmac_f64_e32 v[114:115], v[6:7], v[148:149]
	v_fma_f64 v[116:117], v[4:5], v[148:149], -v[122:123]
	v_fmac_f64_e32 v[112:113], v[14:15], v[8:9]
	v_fma_f64 v[8:9], v[12:13], v[8:9], -v[10:11]
	v_add_f64_e32 v[118:119], v[22:23], v[20:21]
	v_add_f64_e32 v[108:109], v[108:109], v[110:111]
	ds_load_b128 v[4:7], v2 offset:1280
	ds_load_b128 v[20:23], v2 offset:1296
	s_wait_loadcnt_dscnt 0x101
	v_mul_f64_e32 v[2:3], v[4:5], v[138:139]
	v_mul_f64_e32 v[110:111], v[6:7], v[138:139]
	s_wait_loadcnt_dscnt 0x0
	v_mul_f64_e32 v[14:15], v[20:21], v[18:19]
	v_mul_f64_e32 v[18:19], v[22:23], v[18:19]
	v_add_f64_e32 v[10:11], v[118:119], v[116:117]
	v_add_f64_e32 v[12:13], v[108:109], v[114:115]
	v_fmac_f64_e32 v[2:3], v[6:7], v[136:137]
	v_fma_f64 v[4:5], v[4:5], v[136:137], -v[110:111]
	v_fmac_f64_e32 v[14:15], v[22:23], v[16:17]
	v_add_f64_e32 v[6:7], v[10:11], v[8:9]
	v_add_f64_e32 v[8:9], v[12:13], v[112:113]
	v_fma_f64 v[10:11], v[20:21], v[16:17], -v[18:19]
	s_delay_alu instid0(VALU_DEP_3) | instskip(NEXT) | instid1(VALU_DEP_3)
	v_add_f64_e32 v[4:5], v[6:7], v[4:5]
	v_add_f64_e32 v[2:3], v[8:9], v[2:3]
	s_delay_alu instid0(VALU_DEP_2) | instskip(NEXT) | instid1(VALU_DEP_2)
	v_add_f64_e32 v[4:5], v[4:5], v[10:11]
	v_add_f64_e32 v[6:7], v[2:3], v[14:15]
	s_delay_alu instid0(VALU_DEP_2) | instskip(NEXT) | instid1(VALU_DEP_2)
	v_add_f64_e64 v[2:3], v[140:141], -v[4:5]
	v_add_f64_e64 v[4:5], v[142:143], -v[6:7]
	scratch_store_b128 off, v[2:5], off offset:192
	s_wait_xcnt 0x0
	v_cmpx_lt_u32_e32 11, v1
	s_cbranch_execz .LBB40_237
; %bb.236:
	scratch_load_b128 v[2:5], off, s48
	v_mov_b32_e32 v6, 0
	s_delay_alu instid0(VALU_DEP_1)
	v_dual_mov_b32 v7, v6 :: v_dual_mov_b32 v8, v6
	v_mov_b32_e32 v9, v6
	scratch_store_b128 off, v[6:9], off offset:176
	s_wait_loadcnt 0x0
	ds_store_b128 v106, v[2:5]
.LBB40_237:
	s_wait_xcnt 0x0
	s_or_b32 exec_lo, exec_lo, s2
	s_wait_storecnt_dscnt 0x0
	s_barrier_signal -1
	s_barrier_wait -1
	s_clause 0x9
	scratch_load_b128 v[4:7], off, off offset:192
	scratch_load_b128 v[8:11], off, off offset:208
	;; [unrolled: 1-line block ×10, first 2 shown]
	v_mov_b32_e32 v2, 0
	s_mov_b32 s2, exec_lo
	ds_load_b128 v[128:131], v2 offset:848
	s_clause 0x2
	scratch_load_b128 v[132:135], off, off offset:352
	scratch_load_b128 v[136:139], off, off offset:176
	;; [unrolled: 1-line block ×3, first 2 shown]
	s_wait_loadcnt_dscnt 0xc00
	v_mul_f64_e32 v[148:149], v[130:131], v[6:7]
	v_mul_f64_e32 v[152:153], v[128:129], v[6:7]
	ds_load_b128 v[140:143], v2 offset:864
	v_fma_f64 v[156:157], v[128:129], v[4:5], -v[148:149]
	v_fmac_f64_e32 v[152:153], v[130:131], v[4:5]
	ds_load_b128 v[4:7], v2 offset:880
	s_wait_loadcnt_dscnt 0xb01
	v_mul_f64_e32 v[154:155], v[140:141], v[10:11]
	v_mul_f64_e32 v[10:11], v[142:143], v[10:11]
	scratch_load_b128 v[128:131], off, off offset:384
	ds_load_b128 v[148:151], v2 offset:896
	s_wait_loadcnt_dscnt 0xb01
	v_mul_f64_e32 v[158:159], v[4:5], v[14:15]
	v_mul_f64_e32 v[14:15], v[6:7], v[14:15]
	v_add_f64_e32 v[152:153], 0, v[152:153]
	v_fmac_f64_e32 v[154:155], v[142:143], v[8:9]
	v_fma_f64 v[140:141], v[140:141], v[8:9], -v[10:11]
	v_add_f64_e32 v[142:143], 0, v[156:157]
	scratch_load_b128 v[8:11], off, off offset:400
	v_fmac_f64_e32 v[158:159], v[6:7], v[12:13]
	v_fma_f64 v[160:161], v[4:5], v[12:13], -v[14:15]
	ds_load_b128 v[4:7], v2 offset:912
	s_wait_loadcnt_dscnt 0xb01
	v_mul_f64_e32 v[156:157], v[148:149], v[18:19]
	v_mul_f64_e32 v[18:19], v[150:151], v[18:19]
	scratch_load_b128 v[12:15], off, off offset:416
	v_add_f64_e32 v[152:153], v[152:153], v[154:155]
	v_add_f64_e32 v[162:163], v[142:143], v[140:141]
	ds_load_b128 v[140:143], v2 offset:928
	s_wait_loadcnt_dscnt 0xb01
	v_mul_f64_e32 v[154:155], v[4:5], v[22:23]
	v_mul_f64_e32 v[22:23], v[6:7], v[22:23]
	v_fmac_f64_e32 v[156:157], v[150:151], v[16:17]
	v_fma_f64 v[148:149], v[148:149], v[16:17], -v[18:19]
	scratch_load_b128 v[16:19], off, off offset:432
	v_add_f64_e32 v[152:153], v[152:153], v[158:159]
	v_add_f64_e32 v[150:151], v[162:163], v[160:161]
	v_fmac_f64_e32 v[154:155], v[6:7], v[20:21]
	v_fma_f64 v[160:161], v[4:5], v[20:21], -v[22:23]
	ds_load_b128 v[4:7], v2 offset:944
	s_wait_loadcnt_dscnt 0xb01
	v_mul_f64_e32 v[158:159], v[140:141], v[110:111]
	v_mul_f64_e32 v[110:111], v[142:143], v[110:111]
	scratch_load_b128 v[20:23], off, off offset:448
	v_add_f64_e32 v[152:153], v[152:153], v[156:157]
	s_wait_loadcnt_dscnt 0xb00
	v_mul_f64_e32 v[156:157], v[4:5], v[114:115]
	v_add_f64_e32 v[162:163], v[150:151], v[148:149]
	v_mul_f64_e32 v[114:115], v[6:7], v[114:115]
	ds_load_b128 v[148:151], v2 offset:960
	v_fmac_f64_e32 v[158:159], v[142:143], v[108:109]
	v_fma_f64 v[140:141], v[140:141], v[108:109], -v[110:111]
	scratch_load_b128 v[108:111], off, off offset:464
	v_add_f64_e32 v[152:153], v[152:153], v[154:155]
	v_fmac_f64_e32 v[156:157], v[6:7], v[112:113]
	v_add_f64_e32 v[142:143], v[162:163], v[160:161]
	v_fma_f64 v[160:161], v[4:5], v[112:113], -v[114:115]
	ds_load_b128 v[4:7], v2 offset:976
	s_wait_loadcnt_dscnt 0xb01
	v_mul_f64_e32 v[154:155], v[148:149], v[118:119]
	v_mul_f64_e32 v[118:119], v[150:151], v[118:119]
	scratch_load_b128 v[112:115], off, off offset:480
	v_add_f64_e32 v[152:153], v[152:153], v[158:159]
	s_wait_loadcnt_dscnt 0xb00
	v_mul_f64_e32 v[158:159], v[4:5], v[122:123]
	v_add_f64_e32 v[162:163], v[142:143], v[140:141]
	v_mul_f64_e32 v[122:123], v[6:7], v[122:123]
	ds_load_b128 v[140:143], v2 offset:992
	v_fmac_f64_e32 v[154:155], v[150:151], v[116:117]
	v_fma_f64 v[148:149], v[148:149], v[116:117], -v[118:119]
	scratch_load_b128 v[116:119], off, off offset:496
	v_add_f64_e32 v[152:153], v[152:153], v[156:157]
	v_fmac_f64_e32 v[158:159], v[6:7], v[120:121]
	v_add_f64_e32 v[150:151], v[162:163], v[160:161]
	v_fma_f64 v[160:161], v[4:5], v[120:121], -v[122:123]
	ds_load_b128 v[4:7], v2 offset:1008
	s_wait_loadcnt_dscnt 0xb01
	v_mul_f64_e32 v[156:157], v[140:141], v[126:127]
	v_mul_f64_e32 v[126:127], v[142:143], v[126:127]
	scratch_load_b128 v[120:123], off, off offset:512
	v_add_f64_e32 v[152:153], v[152:153], v[154:155]
	s_wait_loadcnt_dscnt 0xb00
	v_mul_f64_e32 v[154:155], v[4:5], v[134:135]
	v_add_f64_e32 v[162:163], v[150:151], v[148:149]
	v_mul_f64_e32 v[134:135], v[6:7], v[134:135]
	ds_load_b128 v[148:151], v2 offset:1024
	v_fmac_f64_e32 v[156:157], v[142:143], v[124:125]
	v_fma_f64 v[140:141], v[140:141], v[124:125], -v[126:127]
	scratch_load_b128 v[124:127], off, off offset:528
	v_add_f64_e32 v[152:153], v[152:153], v[158:159]
	v_fmac_f64_e32 v[154:155], v[6:7], v[132:133]
	v_add_f64_e32 v[142:143], v[162:163], v[160:161]
	v_fma_f64 v[160:161], v[4:5], v[132:133], -v[134:135]
	ds_load_b128 v[4:7], v2 offset:1040
	s_wait_loadcnt_dscnt 0xa01
	v_mul_f64_e32 v[158:159], v[148:149], v[146:147]
	v_mul_f64_e32 v[146:147], v[150:151], v[146:147]
	scratch_load_b128 v[132:135], off, off offset:544
	v_add_f64_e32 v[152:153], v[152:153], v[156:157]
	v_add_f64_e32 v[162:163], v[142:143], v[140:141]
	s_wait_loadcnt_dscnt 0xa00
	v_mul_f64_e32 v[156:157], v[4:5], v[130:131]
	v_mul_f64_e32 v[130:131], v[6:7], v[130:131]
	v_fmac_f64_e32 v[158:159], v[150:151], v[144:145]
	v_fma_f64 v[148:149], v[148:149], v[144:145], -v[146:147]
	ds_load_b128 v[140:143], v2 offset:1056
	scratch_load_b128 v[144:147], off, off offset:560
	v_add_f64_e32 v[152:153], v[152:153], v[154:155]
	v_add_f64_e32 v[150:151], v[162:163], v[160:161]
	v_fmac_f64_e32 v[156:157], v[6:7], v[128:129]
	v_fma_f64 v[160:161], v[4:5], v[128:129], -v[130:131]
	ds_load_b128 v[4:7], v2 offset:1072
	s_wait_loadcnt_dscnt 0xa01
	v_mul_f64_e32 v[154:155], v[140:141], v[10:11]
	v_mul_f64_e32 v[10:11], v[142:143], v[10:11]
	scratch_load_b128 v[128:131], off, off offset:576
	v_add_f64_e32 v[152:153], v[152:153], v[158:159]
	s_wait_loadcnt_dscnt 0xa00
	v_mul_f64_e32 v[158:159], v[4:5], v[14:15]
	v_add_f64_e32 v[162:163], v[150:151], v[148:149]
	v_mul_f64_e32 v[14:15], v[6:7], v[14:15]
	ds_load_b128 v[148:151], v2 offset:1088
	v_fmac_f64_e32 v[154:155], v[142:143], v[8:9]
	v_fma_f64 v[140:141], v[140:141], v[8:9], -v[10:11]
	scratch_load_b128 v[8:11], off, off offset:592
	v_add_f64_e32 v[152:153], v[152:153], v[156:157]
	v_fmac_f64_e32 v[158:159], v[6:7], v[12:13]
	v_add_f64_e32 v[142:143], v[162:163], v[160:161]
	v_fma_f64 v[160:161], v[4:5], v[12:13], -v[14:15]
	ds_load_b128 v[4:7], v2 offset:1104
	s_wait_loadcnt_dscnt 0xa01
	v_mul_f64_e32 v[156:157], v[148:149], v[18:19]
	v_mul_f64_e32 v[18:19], v[150:151], v[18:19]
	scratch_load_b128 v[12:15], off, off offset:608
	v_add_f64_e32 v[152:153], v[152:153], v[154:155]
	s_wait_loadcnt_dscnt 0xa00
	v_mul_f64_e32 v[154:155], v[4:5], v[22:23]
	v_add_f64_e32 v[162:163], v[142:143], v[140:141]
	v_mul_f64_e32 v[22:23], v[6:7], v[22:23]
	ds_load_b128 v[140:143], v2 offset:1120
	v_fmac_f64_e32 v[156:157], v[150:151], v[16:17]
	v_fma_f64 v[148:149], v[148:149], v[16:17], -v[18:19]
	scratch_load_b128 v[16:19], off, off offset:624
	v_add_f64_e32 v[152:153], v[152:153], v[158:159]
	v_fmac_f64_e32 v[154:155], v[6:7], v[20:21]
	v_add_f64_e32 v[150:151], v[162:163], v[160:161]
	v_fma_f64 v[160:161], v[4:5], v[20:21], -v[22:23]
	ds_load_b128 v[4:7], v2 offset:1136
	s_wait_loadcnt_dscnt 0xa01
	v_mul_f64_e32 v[158:159], v[140:141], v[110:111]
	v_mul_f64_e32 v[110:111], v[142:143], v[110:111]
	scratch_load_b128 v[20:23], off, off offset:640
	v_add_f64_e32 v[152:153], v[152:153], v[156:157]
	s_wait_loadcnt_dscnt 0xa00
	v_mul_f64_e32 v[156:157], v[4:5], v[114:115]
	v_add_f64_e32 v[162:163], v[150:151], v[148:149]
	v_mul_f64_e32 v[114:115], v[6:7], v[114:115]
	ds_load_b128 v[148:151], v2 offset:1152
	v_fmac_f64_e32 v[158:159], v[142:143], v[108:109]
	v_fma_f64 v[108:109], v[140:141], v[108:109], -v[110:111]
	s_wait_loadcnt_dscnt 0x900
	v_mul_f64_e32 v[142:143], v[148:149], v[118:119]
	v_mul_f64_e32 v[118:119], v[150:151], v[118:119]
	v_add_f64_e32 v[140:141], v[152:153], v[154:155]
	v_fmac_f64_e32 v[156:157], v[6:7], v[112:113]
	v_add_f64_e32 v[110:111], v[162:163], v[160:161]
	v_fma_f64 v[112:113], v[4:5], v[112:113], -v[114:115]
	v_fmac_f64_e32 v[142:143], v[150:151], v[116:117]
	v_fma_f64 v[116:117], v[148:149], v[116:117], -v[118:119]
	v_add_f64_e32 v[140:141], v[140:141], v[158:159]
	v_add_f64_e32 v[114:115], v[110:111], v[108:109]
	ds_load_b128 v[4:7], v2 offset:1168
	ds_load_b128 v[108:111], v2 offset:1184
	s_wait_loadcnt_dscnt 0x801
	v_mul_f64_e32 v[152:153], v[4:5], v[122:123]
	v_mul_f64_e32 v[122:123], v[6:7], v[122:123]
	s_wait_loadcnt_dscnt 0x700
	v_mul_f64_e32 v[118:119], v[108:109], v[126:127]
	v_mul_f64_e32 v[126:127], v[110:111], v[126:127]
	v_add_f64_e32 v[112:113], v[114:115], v[112:113]
	v_add_f64_e32 v[114:115], v[140:141], v[156:157]
	v_fmac_f64_e32 v[152:153], v[6:7], v[120:121]
	v_fma_f64 v[120:121], v[4:5], v[120:121], -v[122:123]
	v_fmac_f64_e32 v[118:119], v[110:111], v[124:125]
	v_fma_f64 v[108:109], v[108:109], v[124:125], -v[126:127]
	v_add_f64_e32 v[116:117], v[112:113], v[116:117]
	v_add_f64_e32 v[122:123], v[114:115], v[142:143]
	ds_load_b128 v[4:7], v2 offset:1200
	ds_load_b128 v[112:115], v2 offset:1216
	s_wait_loadcnt_dscnt 0x601
	v_mul_f64_e32 v[140:141], v[4:5], v[134:135]
	v_mul_f64_e32 v[134:135], v[6:7], v[134:135]
	v_add_f64_e32 v[110:111], v[116:117], v[120:121]
	v_add_f64_e32 v[116:117], v[122:123], v[152:153]
	s_wait_loadcnt_dscnt 0x500
	v_mul_f64_e32 v[120:121], v[112:113], v[146:147]
	v_mul_f64_e32 v[122:123], v[114:115], v[146:147]
	v_fmac_f64_e32 v[140:141], v[6:7], v[132:133]
	v_fma_f64 v[124:125], v[4:5], v[132:133], -v[134:135]
	v_add_f64_e32 v[126:127], v[110:111], v[108:109]
	v_add_f64_e32 v[116:117], v[116:117], v[118:119]
	ds_load_b128 v[4:7], v2 offset:1232
	ds_load_b128 v[108:111], v2 offset:1248
	v_fmac_f64_e32 v[120:121], v[114:115], v[144:145]
	v_fma_f64 v[112:113], v[112:113], v[144:145], -v[122:123]
	s_wait_loadcnt_dscnt 0x401
	v_mul_f64_e32 v[118:119], v[4:5], v[130:131]
	v_mul_f64_e32 v[130:131], v[6:7], v[130:131]
	s_wait_loadcnt_dscnt 0x300
	v_mul_f64_e32 v[122:123], v[108:109], v[10:11]
	v_mul_f64_e32 v[10:11], v[110:111], v[10:11]
	v_add_f64_e32 v[114:115], v[126:127], v[124:125]
	v_add_f64_e32 v[116:117], v[116:117], v[140:141]
	v_fmac_f64_e32 v[118:119], v[6:7], v[128:129]
	v_fma_f64 v[124:125], v[4:5], v[128:129], -v[130:131]
	v_fmac_f64_e32 v[122:123], v[110:111], v[8:9]
	v_fma_f64 v[8:9], v[108:109], v[8:9], -v[10:11]
	v_add_f64_e32 v[126:127], v[114:115], v[112:113]
	v_add_f64_e32 v[116:117], v[116:117], v[120:121]
	ds_load_b128 v[4:7], v2 offset:1264
	ds_load_b128 v[112:115], v2 offset:1280
	s_wait_loadcnt_dscnt 0x201
	v_mul_f64_e32 v[120:121], v[4:5], v[14:15]
	v_mul_f64_e32 v[14:15], v[6:7], v[14:15]
	s_wait_loadcnt_dscnt 0x100
	v_mul_f64_e32 v[110:111], v[112:113], v[18:19]
	v_mul_f64_e32 v[18:19], v[114:115], v[18:19]
	v_add_f64_e32 v[10:11], v[126:127], v[124:125]
	v_add_f64_e32 v[108:109], v[116:117], v[118:119]
	v_fmac_f64_e32 v[120:121], v[6:7], v[12:13]
	v_fma_f64 v[12:13], v[4:5], v[12:13], -v[14:15]
	ds_load_b128 v[4:7], v2 offset:1296
	v_fmac_f64_e32 v[110:111], v[114:115], v[16:17]
	v_fma_f64 v[16:17], v[112:113], v[16:17], -v[18:19]
	v_add_f64_e32 v[8:9], v[10:11], v[8:9]
	v_add_f64_e32 v[10:11], v[108:109], v[122:123]
	s_wait_loadcnt_dscnt 0x0
	v_mul_f64_e32 v[14:15], v[4:5], v[22:23]
	v_mul_f64_e32 v[22:23], v[6:7], v[22:23]
	s_delay_alu instid0(VALU_DEP_4) | instskip(NEXT) | instid1(VALU_DEP_4)
	v_add_f64_e32 v[8:9], v[8:9], v[12:13]
	v_add_f64_e32 v[10:11], v[10:11], v[120:121]
	s_delay_alu instid0(VALU_DEP_4) | instskip(NEXT) | instid1(VALU_DEP_4)
	v_fmac_f64_e32 v[14:15], v[6:7], v[20:21]
	v_fma_f64 v[4:5], v[4:5], v[20:21], -v[22:23]
	s_delay_alu instid0(VALU_DEP_4) | instskip(NEXT) | instid1(VALU_DEP_4)
	v_add_f64_e32 v[6:7], v[8:9], v[16:17]
	v_add_f64_e32 v[8:9], v[10:11], v[110:111]
	s_delay_alu instid0(VALU_DEP_2) | instskip(NEXT) | instid1(VALU_DEP_2)
	v_add_f64_e32 v[4:5], v[6:7], v[4:5]
	v_add_f64_e32 v[6:7], v[8:9], v[14:15]
	s_delay_alu instid0(VALU_DEP_2) | instskip(NEXT) | instid1(VALU_DEP_2)
	v_add_f64_e64 v[4:5], v[136:137], -v[4:5]
	v_add_f64_e64 v[6:7], v[138:139], -v[6:7]
	scratch_store_b128 off, v[4:7], off offset:176
	s_wait_xcnt 0x0
	v_cmpx_lt_u32_e32 10, v1
	s_cbranch_execz .LBB40_239
; %bb.238:
	scratch_load_b128 v[6:9], off, s45
	v_dual_mov_b32 v3, v2 :: v_dual_mov_b32 v4, v2
	v_mov_b32_e32 v5, v2
	scratch_store_b128 off, v[2:5], off offset:160
	s_wait_loadcnt 0x0
	ds_store_b128 v106, v[6:9]
.LBB40_239:
	s_wait_xcnt 0x0
	s_or_b32 exec_lo, exec_lo, s2
	s_wait_storecnt_dscnt 0x0
	s_barrier_signal -1
	s_barrier_wait -1
	s_clause 0x9
	scratch_load_b128 v[4:7], off, off offset:176
	scratch_load_b128 v[8:11], off, off offset:192
	;; [unrolled: 1-line block ×10, first 2 shown]
	ds_load_b128 v[128:131], v2 offset:832
	ds_load_b128 v[136:139], v2 offset:848
	s_clause 0x2
	scratch_load_b128 v[132:135], off, off offset:336
	scratch_load_b128 v[140:143], off, off offset:160
	scratch_load_b128 v[144:147], off, off offset:352
	s_mov_b32 s2, exec_lo
	s_wait_loadcnt_dscnt 0xc01
	v_mul_f64_e32 v[148:149], v[130:131], v[6:7]
	v_mul_f64_e32 v[152:153], v[128:129], v[6:7]
	s_wait_loadcnt_dscnt 0xb00
	v_mul_f64_e32 v[154:155], v[136:137], v[10:11]
	v_mul_f64_e32 v[10:11], v[138:139], v[10:11]
	s_delay_alu instid0(VALU_DEP_4) | instskip(NEXT) | instid1(VALU_DEP_4)
	v_fma_f64 v[156:157], v[128:129], v[4:5], -v[148:149]
	v_fmac_f64_e32 v[152:153], v[130:131], v[4:5]
	ds_load_b128 v[4:7], v2 offset:864
	ds_load_b128 v[128:131], v2 offset:880
	scratch_load_b128 v[148:151], off, off offset:368
	v_fmac_f64_e32 v[154:155], v[138:139], v[8:9]
	v_fma_f64 v[136:137], v[136:137], v[8:9], -v[10:11]
	scratch_load_b128 v[8:11], off, off offset:384
	s_wait_loadcnt_dscnt 0xc01
	v_mul_f64_e32 v[158:159], v[4:5], v[14:15]
	v_mul_f64_e32 v[14:15], v[6:7], v[14:15]
	v_add_f64_e32 v[138:139], 0, v[156:157]
	v_add_f64_e32 v[152:153], 0, v[152:153]
	s_wait_loadcnt_dscnt 0xb00
	v_mul_f64_e32 v[156:157], v[128:129], v[18:19]
	v_mul_f64_e32 v[18:19], v[130:131], v[18:19]
	v_fmac_f64_e32 v[158:159], v[6:7], v[12:13]
	v_fma_f64 v[160:161], v[4:5], v[12:13], -v[14:15]
	ds_load_b128 v[4:7], v2 offset:896
	ds_load_b128 v[12:15], v2 offset:912
	v_add_f64_e32 v[162:163], v[138:139], v[136:137]
	v_add_f64_e32 v[152:153], v[152:153], v[154:155]
	scratch_load_b128 v[136:139], off, off offset:400
	v_fmac_f64_e32 v[156:157], v[130:131], v[16:17]
	v_fma_f64 v[128:129], v[128:129], v[16:17], -v[18:19]
	scratch_load_b128 v[16:19], off, off offset:416
	s_wait_loadcnt_dscnt 0xc01
	v_mul_f64_e32 v[154:155], v[4:5], v[22:23]
	v_mul_f64_e32 v[22:23], v[6:7], v[22:23]
	v_add_f64_e32 v[130:131], v[162:163], v[160:161]
	v_add_f64_e32 v[152:153], v[152:153], v[158:159]
	s_wait_loadcnt_dscnt 0xb00
	v_mul_f64_e32 v[158:159], v[12:13], v[110:111]
	v_mul_f64_e32 v[110:111], v[14:15], v[110:111]
	v_fmac_f64_e32 v[154:155], v[6:7], v[20:21]
	v_fma_f64 v[160:161], v[4:5], v[20:21], -v[22:23]
	ds_load_b128 v[4:7], v2 offset:928
	ds_load_b128 v[20:23], v2 offset:944
	v_add_f64_e32 v[162:163], v[130:131], v[128:129]
	v_add_f64_e32 v[152:153], v[152:153], v[156:157]
	scratch_load_b128 v[128:131], off, off offset:432
	s_wait_loadcnt_dscnt 0xb01
	v_mul_f64_e32 v[156:157], v[4:5], v[114:115]
	v_mul_f64_e32 v[114:115], v[6:7], v[114:115]
	v_fmac_f64_e32 v[158:159], v[14:15], v[108:109]
	v_fma_f64 v[108:109], v[12:13], v[108:109], -v[110:111]
	scratch_load_b128 v[12:15], off, off offset:448
	v_add_f64_e32 v[110:111], v[162:163], v[160:161]
	v_add_f64_e32 v[152:153], v[152:153], v[154:155]
	s_wait_loadcnt_dscnt 0xb00
	v_mul_f64_e32 v[154:155], v[20:21], v[118:119]
	v_mul_f64_e32 v[118:119], v[22:23], v[118:119]
	v_fmac_f64_e32 v[156:157], v[6:7], v[112:113]
	v_fma_f64 v[160:161], v[4:5], v[112:113], -v[114:115]
	v_add_f64_e32 v[162:163], v[110:111], v[108:109]
	v_add_f64_e32 v[152:153], v[152:153], v[158:159]
	ds_load_b128 v[4:7], v2 offset:960
	ds_load_b128 v[108:111], v2 offset:976
	scratch_load_b128 v[112:115], off, off offset:464
	v_fmac_f64_e32 v[154:155], v[22:23], v[116:117]
	v_fma_f64 v[116:117], v[20:21], v[116:117], -v[118:119]
	scratch_load_b128 v[20:23], off, off offset:480
	s_wait_loadcnt_dscnt 0xc01
	v_mul_f64_e32 v[158:159], v[4:5], v[122:123]
	v_mul_f64_e32 v[122:123], v[6:7], v[122:123]
	v_add_f64_e32 v[118:119], v[162:163], v[160:161]
	v_add_f64_e32 v[152:153], v[152:153], v[156:157]
	s_wait_loadcnt_dscnt 0xb00
	v_mul_f64_e32 v[156:157], v[108:109], v[126:127]
	v_mul_f64_e32 v[126:127], v[110:111], v[126:127]
	v_fmac_f64_e32 v[158:159], v[6:7], v[120:121]
	v_fma_f64 v[160:161], v[4:5], v[120:121], -v[122:123]
	v_add_f64_e32 v[162:163], v[118:119], v[116:117]
	v_add_f64_e32 v[152:153], v[152:153], v[154:155]
	ds_load_b128 v[4:7], v2 offset:992
	ds_load_b128 v[116:119], v2 offset:1008
	scratch_load_b128 v[120:123], off, off offset:496
	v_fmac_f64_e32 v[156:157], v[110:111], v[124:125]
	v_fma_f64 v[124:125], v[108:109], v[124:125], -v[126:127]
	scratch_load_b128 v[108:111], off, off offset:512
	s_wait_loadcnt_dscnt 0xc01
	v_mul_f64_e32 v[154:155], v[4:5], v[134:135]
	v_mul_f64_e32 v[134:135], v[6:7], v[134:135]
	;; [unrolled: 18-line block ×5, first 2 shown]
	v_add_f64_e32 v[146:147], v[162:163], v[160:161]
	v_add_f64_e32 v[152:153], v[152:153], v[158:159]
	s_wait_loadcnt_dscnt 0xa00
	v_mul_f64_e32 v[158:159], v[124:125], v[14:15]
	v_mul_f64_e32 v[14:15], v[126:127], v[14:15]
	v_fmac_f64_e32 v[154:155], v[6:7], v[128:129]
	v_fma_f64 v[160:161], v[4:5], v[128:129], -v[130:131]
	ds_load_b128 v[4:7], v2 offset:1120
	ds_load_b128 v[128:131], v2 offset:1136
	v_add_f64_e32 v[162:163], v[146:147], v[144:145]
	v_add_f64_e32 v[152:153], v[152:153], v[156:157]
	scratch_load_b128 v[144:147], off, off offset:624
	v_fmac_f64_e32 v[158:159], v[126:127], v[12:13]
	v_fma_f64 v[124:125], v[124:125], v[12:13], -v[14:15]
	scratch_load_b128 v[12:15], off, off offset:640
	s_wait_loadcnt_dscnt 0xb01
	v_mul_f64_e32 v[156:157], v[4:5], v[114:115]
	v_mul_f64_e32 v[114:115], v[6:7], v[114:115]
	v_add_f64_e32 v[126:127], v[162:163], v[160:161]
	v_add_f64_e32 v[152:153], v[152:153], v[154:155]
	s_wait_loadcnt_dscnt 0xa00
	v_mul_f64_e32 v[154:155], v[128:129], v[22:23]
	v_mul_f64_e32 v[22:23], v[130:131], v[22:23]
	v_fmac_f64_e32 v[156:157], v[6:7], v[112:113]
	v_fma_f64 v[160:161], v[4:5], v[112:113], -v[114:115]
	ds_load_b128 v[4:7], v2 offset:1152
	ds_load_b128 v[112:115], v2 offset:1168
	v_add_f64_e32 v[124:125], v[126:127], v[124:125]
	v_add_f64_e32 v[126:127], v[152:153], v[158:159]
	v_fmac_f64_e32 v[154:155], v[130:131], v[20:21]
	s_wait_loadcnt_dscnt 0x901
	v_mul_f64_e32 v[152:153], v[4:5], v[122:123]
	v_mul_f64_e32 v[122:123], v[6:7], v[122:123]
	v_fma_f64 v[20:21], v[128:129], v[20:21], -v[22:23]
	v_add_f64_e32 v[22:23], v[124:125], v[160:161]
	v_add_f64_e32 v[124:125], v[126:127], v[156:157]
	s_wait_loadcnt_dscnt 0x800
	v_mul_f64_e32 v[126:127], v[112:113], v[110:111]
	v_mul_f64_e32 v[110:111], v[114:115], v[110:111]
	v_fmac_f64_e32 v[152:153], v[6:7], v[120:121]
	v_fma_f64 v[120:121], v[4:5], v[120:121], -v[122:123]
	v_add_f64_e32 v[122:123], v[22:23], v[20:21]
	v_add_f64_e32 v[124:125], v[124:125], v[154:155]
	ds_load_b128 v[4:7], v2 offset:1184
	ds_load_b128 v[20:23], v2 offset:1200
	v_fmac_f64_e32 v[126:127], v[114:115], v[108:109]
	v_fma_f64 v[108:109], v[112:113], v[108:109], -v[110:111]
	s_wait_loadcnt_dscnt 0x701
	v_mul_f64_e32 v[128:129], v[4:5], v[134:135]
	v_mul_f64_e32 v[130:131], v[6:7], v[134:135]
	s_wait_loadcnt_dscnt 0x600
	v_mul_f64_e32 v[114:115], v[20:21], v[118:119]
	v_mul_f64_e32 v[118:119], v[22:23], v[118:119]
	v_add_f64_e32 v[110:111], v[122:123], v[120:121]
	v_add_f64_e32 v[112:113], v[124:125], v[152:153]
	v_fmac_f64_e32 v[128:129], v[6:7], v[132:133]
	v_fma_f64 v[120:121], v[4:5], v[132:133], -v[130:131]
	v_fmac_f64_e32 v[114:115], v[22:23], v[116:117]
	v_fma_f64 v[20:21], v[20:21], v[116:117], -v[118:119]
	v_add_f64_e32 v[122:123], v[110:111], v[108:109]
	v_add_f64_e32 v[112:113], v[112:113], v[126:127]
	ds_load_b128 v[4:7], v2 offset:1216
	ds_load_b128 v[108:111], v2 offset:1232
	s_wait_loadcnt_dscnt 0x501
	v_mul_f64_e32 v[124:125], v[4:5], v[150:151]
	v_mul_f64_e32 v[126:127], v[6:7], v[150:151]
	s_wait_loadcnt_dscnt 0x400
	v_mul_f64_e32 v[116:117], v[108:109], v[10:11]
	v_mul_f64_e32 v[10:11], v[110:111], v[10:11]
	v_add_f64_e32 v[22:23], v[122:123], v[120:121]
	v_add_f64_e32 v[112:113], v[112:113], v[128:129]
	v_fmac_f64_e32 v[124:125], v[6:7], v[148:149]
	v_fma_f64 v[118:119], v[4:5], v[148:149], -v[126:127]
	v_fmac_f64_e32 v[116:117], v[110:111], v[8:9]
	v_fma_f64 v[8:9], v[108:109], v[8:9], -v[10:11]
	v_add_f64_e32 v[120:121], v[22:23], v[20:21]
	v_add_f64_e32 v[112:113], v[112:113], v[114:115]
	ds_load_b128 v[4:7], v2 offset:1248
	ds_load_b128 v[20:23], v2 offset:1264
	;; [unrolled: 16-line block ×3, first 2 shown]
	s_wait_loadcnt_dscnt 0x101
	v_mul_f64_e32 v[2:3], v[4:5], v[146:147]
	v_mul_f64_e32 v[116:117], v[6:7], v[146:147]
	s_wait_loadcnt_dscnt 0x0
	v_mul_f64_e32 v[22:23], v[8:9], v[14:15]
	v_mul_f64_e32 v[14:15], v[10:11], v[14:15]
	v_add_f64_e32 v[18:19], v[118:119], v[112:113]
	v_add_f64_e32 v[20:21], v[108:109], v[114:115]
	v_fmac_f64_e32 v[2:3], v[6:7], v[144:145]
	v_fma_f64 v[4:5], v[4:5], v[144:145], -v[116:117]
	v_fmac_f64_e32 v[22:23], v[10:11], v[12:13]
	v_fma_f64 v[8:9], v[8:9], v[12:13], -v[14:15]
	v_add_f64_e32 v[6:7], v[18:19], v[16:17]
	v_add_f64_e32 v[16:17], v[20:21], v[110:111]
	s_delay_alu instid0(VALU_DEP_2) | instskip(NEXT) | instid1(VALU_DEP_2)
	v_add_f64_e32 v[4:5], v[6:7], v[4:5]
	v_add_f64_e32 v[2:3], v[16:17], v[2:3]
	s_delay_alu instid0(VALU_DEP_2) | instskip(NEXT) | instid1(VALU_DEP_2)
	;; [unrolled: 3-line block ×3, first 2 shown]
	v_add_f64_e64 v[2:3], v[140:141], -v[4:5]
	v_add_f64_e64 v[4:5], v[142:143], -v[6:7]
	scratch_store_b128 off, v[2:5], off offset:160
	s_wait_xcnt 0x0
	v_cmpx_lt_u32_e32 9, v1
	s_cbranch_execz .LBB40_241
; %bb.240:
	scratch_load_b128 v[2:5], off, s43
	v_mov_b32_e32 v6, 0
	s_delay_alu instid0(VALU_DEP_1)
	v_dual_mov_b32 v7, v6 :: v_dual_mov_b32 v8, v6
	v_mov_b32_e32 v9, v6
	scratch_store_b128 off, v[6:9], off offset:144
	s_wait_loadcnt 0x0
	ds_store_b128 v106, v[2:5]
.LBB40_241:
	s_wait_xcnt 0x0
	s_or_b32 exec_lo, exec_lo, s2
	s_wait_storecnt_dscnt 0x0
	s_barrier_signal -1
	s_barrier_wait -1
	s_clause 0x9
	scratch_load_b128 v[4:7], off, off offset:160
	scratch_load_b128 v[8:11], off, off offset:176
	;; [unrolled: 1-line block ×10, first 2 shown]
	v_mov_b32_e32 v2, 0
	s_mov_b32 s2, exec_lo
	ds_load_b128 v[128:131], v2 offset:816
	s_clause 0x2
	scratch_load_b128 v[132:135], off, off offset:320
	scratch_load_b128 v[136:139], off, off offset:144
	;; [unrolled: 1-line block ×3, first 2 shown]
	s_wait_loadcnt_dscnt 0xc00
	v_mul_f64_e32 v[148:149], v[130:131], v[6:7]
	v_mul_f64_e32 v[152:153], v[128:129], v[6:7]
	ds_load_b128 v[140:143], v2 offset:832
	v_fma_f64 v[156:157], v[128:129], v[4:5], -v[148:149]
	v_fmac_f64_e32 v[152:153], v[130:131], v[4:5]
	ds_load_b128 v[4:7], v2 offset:848
	s_wait_loadcnt_dscnt 0xb01
	v_mul_f64_e32 v[154:155], v[140:141], v[10:11]
	v_mul_f64_e32 v[10:11], v[142:143], v[10:11]
	scratch_load_b128 v[128:131], off, off offset:352
	ds_load_b128 v[148:151], v2 offset:864
	s_wait_loadcnt_dscnt 0xb01
	v_mul_f64_e32 v[158:159], v[4:5], v[14:15]
	v_mul_f64_e32 v[14:15], v[6:7], v[14:15]
	v_add_f64_e32 v[152:153], 0, v[152:153]
	v_fmac_f64_e32 v[154:155], v[142:143], v[8:9]
	v_fma_f64 v[140:141], v[140:141], v[8:9], -v[10:11]
	v_add_f64_e32 v[142:143], 0, v[156:157]
	scratch_load_b128 v[8:11], off, off offset:368
	v_fmac_f64_e32 v[158:159], v[6:7], v[12:13]
	v_fma_f64 v[160:161], v[4:5], v[12:13], -v[14:15]
	ds_load_b128 v[4:7], v2 offset:880
	s_wait_loadcnt_dscnt 0xb01
	v_mul_f64_e32 v[156:157], v[148:149], v[18:19]
	v_mul_f64_e32 v[18:19], v[150:151], v[18:19]
	scratch_load_b128 v[12:15], off, off offset:384
	v_add_f64_e32 v[152:153], v[152:153], v[154:155]
	v_add_f64_e32 v[162:163], v[142:143], v[140:141]
	ds_load_b128 v[140:143], v2 offset:896
	s_wait_loadcnt_dscnt 0xb01
	v_mul_f64_e32 v[154:155], v[4:5], v[22:23]
	v_mul_f64_e32 v[22:23], v[6:7], v[22:23]
	v_fmac_f64_e32 v[156:157], v[150:151], v[16:17]
	v_fma_f64 v[148:149], v[148:149], v[16:17], -v[18:19]
	scratch_load_b128 v[16:19], off, off offset:400
	v_add_f64_e32 v[152:153], v[152:153], v[158:159]
	v_add_f64_e32 v[150:151], v[162:163], v[160:161]
	v_fmac_f64_e32 v[154:155], v[6:7], v[20:21]
	v_fma_f64 v[160:161], v[4:5], v[20:21], -v[22:23]
	ds_load_b128 v[4:7], v2 offset:912
	s_wait_loadcnt_dscnt 0xb01
	v_mul_f64_e32 v[158:159], v[140:141], v[110:111]
	v_mul_f64_e32 v[110:111], v[142:143], v[110:111]
	scratch_load_b128 v[20:23], off, off offset:416
	v_add_f64_e32 v[152:153], v[152:153], v[156:157]
	s_wait_loadcnt_dscnt 0xb00
	v_mul_f64_e32 v[156:157], v[4:5], v[114:115]
	v_add_f64_e32 v[162:163], v[150:151], v[148:149]
	v_mul_f64_e32 v[114:115], v[6:7], v[114:115]
	ds_load_b128 v[148:151], v2 offset:928
	v_fmac_f64_e32 v[158:159], v[142:143], v[108:109]
	v_fma_f64 v[140:141], v[140:141], v[108:109], -v[110:111]
	scratch_load_b128 v[108:111], off, off offset:432
	v_add_f64_e32 v[152:153], v[152:153], v[154:155]
	v_fmac_f64_e32 v[156:157], v[6:7], v[112:113]
	v_add_f64_e32 v[142:143], v[162:163], v[160:161]
	v_fma_f64 v[160:161], v[4:5], v[112:113], -v[114:115]
	ds_load_b128 v[4:7], v2 offset:944
	s_wait_loadcnt_dscnt 0xb01
	v_mul_f64_e32 v[154:155], v[148:149], v[118:119]
	v_mul_f64_e32 v[118:119], v[150:151], v[118:119]
	scratch_load_b128 v[112:115], off, off offset:448
	v_add_f64_e32 v[152:153], v[152:153], v[158:159]
	s_wait_loadcnt_dscnt 0xb00
	v_mul_f64_e32 v[158:159], v[4:5], v[122:123]
	v_add_f64_e32 v[162:163], v[142:143], v[140:141]
	v_mul_f64_e32 v[122:123], v[6:7], v[122:123]
	ds_load_b128 v[140:143], v2 offset:960
	v_fmac_f64_e32 v[154:155], v[150:151], v[116:117]
	v_fma_f64 v[148:149], v[148:149], v[116:117], -v[118:119]
	scratch_load_b128 v[116:119], off, off offset:464
	v_add_f64_e32 v[152:153], v[152:153], v[156:157]
	v_fmac_f64_e32 v[158:159], v[6:7], v[120:121]
	v_add_f64_e32 v[150:151], v[162:163], v[160:161]
	;; [unrolled: 18-line block ×3, first 2 shown]
	v_fma_f64 v[160:161], v[4:5], v[132:133], -v[134:135]
	ds_load_b128 v[4:7], v2 offset:1008
	s_wait_loadcnt_dscnt 0xa01
	v_mul_f64_e32 v[158:159], v[148:149], v[146:147]
	v_mul_f64_e32 v[146:147], v[150:151], v[146:147]
	scratch_load_b128 v[132:135], off, off offset:512
	v_add_f64_e32 v[152:153], v[152:153], v[156:157]
	v_add_f64_e32 v[162:163], v[142:143], v[140:141]
	s_wait_loadcnt_dscnt 0xa00
	v_mul_f64_e32 v[156:157], v[4:5], v[130:131]
	v_mul_f64_e32 v[130:131], v[6:7], v[130:131]
	v_fmac_f64_e32 v[158:159], v[150:151], v[144:145]
	v_fma_f64 v[148:149], v[148:149], v[144:145], -v[146:147]
	ds_load_b128 v[140:143], v2 offset:1024
	scratch_load_b128 v[144:147], off, off offset:528
	v_add_f64_e32 v[152:153], v[152:153], v[154:155]
	v_add_f64_e32 v[150:151], v[162:163], v[160:161]
	v_fmac_f64_e32 v[156:157], v[6:7], v[128:129]
	v_fma_f64 v[160:161], v[4:5], v[128:129], -v[130:131]
	ds_load_b128 v[4:7], v2 offset:1040
	s_wait_loadcnt_dscnt 0xa01
	v_mul_f64_e32 v[154:155], v[140:141], v[10:11]
	v_mul_f64_e32 v[10:11], v[142:143], v[10:11]
	scratch_load_b128 v[128:131], off, off offset:544
	v_add_f64_e32 v[152:153], v[152:153], v[158:159]
	s_wait_loadcnt_dscnt 0xa00
	v_mul_f64_e32 v[158:159], v[4:5], v[14:15]
	v_add_f64_e32 v[162:163], v[150:151], v[148:149]
	v_mul_f64_e32 v[14:15], v[6:7], v[14:15]
	ds_load_b128 v[148:151], v2 offset:1056
	v_fmac_f64_e32 v[154:155], v[142:143], v[8:9]
	v_fma_f64 v[140:141], v[140:141], v[8:9], -v[10:11]
	scratch_load_b128 v[8:11], off, off offset:560
	v_add_f64_e32 v[152:153], v[152:153], v[156:157]
	v_fmac_f64_e32 v[158:159], v[6:7], v[12:13]
	v_add_f64_e32 v[142:143], v[162:163], v[160:161]
	v_fma_f64 v[160:161], v[4:5], v[12:13], -v[14:15]
	ds_load_b128 v[4:7], v2 offset:1072
	s_wait_loadcnt_dscnt 0xa01
	v_mul_f64_e32 v[156:157], v[148:149], v[18:19]
	v_mul_f64_e32 v[18:19], v[150:151], v[18:19]
	scratch_load_b128 v[12:15], off, off offset:576
	v_add_f64_e32 v[152:153], v[152:153], v[154:155]
	s_wait_loadcnt_dscnt 0xa00
	v_mul_f64_e32 v[154:155], v[4:5], v[22:23]
	v_add_f64_e32 v[162:163], v[142:143], v[140:141]
	v_mul_f64_e32 v[22:23], v[6:7], v[22:23]
	ds_load_b128 v[140:143], v2 offset:1088
	v_fmac_f64_e32 v[156:157], v[150:151], v[16:17]
	v_fma_f64 v[148:149], v[148:149], v[16:17], -v[18:19]
	scratch_load_b128 v[16:19], off, off offset:592
	v_add_f64_e32 v[152:153], v[152:153], v[158:159]
	v_fmac_f64_e32 v[154:155], v[6:7], v[20:21]
	v_add_f64_e32 v[150:151], v[162:163], v[160:161]
	v_fma_f64 v[160:161], v[4:5], v[20:21], -v[22:23]
	ds_load_b128 v[4:7], v2 offset:1104
	s_wait_loadcnt_dscnt 0xa01
	v_mul_f64_e32 v[158:159], v[140:141], v[110:111]
	v_mul_f64_e32 v[110:111], v[142:143], v[110:111]
	scratch_load_b128 v[20:23], off, off offset:608
	v_add_f64_e32 v[152:153], v[152:153], v[156:157]
	s_wait_loadcnt_dscnt 0xa00
	v_mul_f64_e32 v[156:157], v[4:5], v[114:115]
	v_add_f64_e32 v[162:163], v[150:151], v[148:149]
	v_mul_f64_e32 v[114:115], v[6:7], v[114:115]
	ds_load_b128 v[148:151], v2 offset:1120
	v_fmac_f64_e32 v[158:159], v[142:143], v[108:109]
	v_fma_f64 v[140:141], v[140:141], v[108:109], -v[110:111]
	scratch_load_b128 v[108:111], off, off offset:624
	v_add_f64_e32 v[152:153], v[152:153], v[154:155]
	v_fmac_f64_e32 v[156:157], v[6:7], v[112:113]
	v_add_f64_e32 v[142:143], v[162:163], v[160:161]
	v_fma_f64 v[160:161], v[4:5], v[112:113], -v[114:115]
	ds_load_b128 v[4:7], v2 offset:1136
	s_wait_loadcnt_dscnt 0xa01
	v_mul_f64_e32 v[154:155], v[148:149], v[118:119]
	v_mul_f64_e32 v[118:119], v[150:151], v[118:119]
	scratch_load_b128 v[112:115], off, off offset:640
	v_add_f64_e32 v[152:153], v[152:153], v[158:159]
	s_wait_loadcnt_dscnt 0xa00
	v_mul_f64_e32 v[158:159], v[4:5], v[122:123]
	v_add_f64_e32 v[162:163], v[142:143], v[140:141]
	v_mul_f64_e32 v[122:123], v[6:7], v[122:123]
	ds_load_b128 v[140:143], v2 offset:1152
	v_fmac_f64_e32 v[154:155], v[150:151], v[116:117]
	v_fma_f64 v[116:117], v[148:149], v[116:117], -v[118:119]
	s_wait_loadcnt_dscnt 0x900
	v_mul_f64_e32 v[150:151], v[140:141], v[126:127]
	v_mul_f64_e32 v[126:127], v[142:143], v[126:127]
	v_add_f64_e32 v[148:149], v[152:153], v[156:157]
	v_fmac_f64_e32 v[158:159], v[6:7], v[120:121]
	v_add_f64_e32 v[118:119], v[162:163], v[160:161]
	v_fma_f64 v[120:121], v[4:5], v[120:121], -v[122:123]
	v_fmac_f64_e32 v[150:151], v[142:143], v[124:125]
	v_fma_f64 v[124:125], v[140:141], v[124:125], -v[126:127]
	v_add_f64_e32 v[148:149], v[148:149], v[154:155]
	v_add_f64_e32 v[122:123], v[118:119], v[116:117]
	ds_load_b128 v[4:7], v2 offset:1168
	ds_load_b128 v[116:119], v2 offset:1184
	s_wait_loadcnt_dscnt 0x801
	v_mul_f64_e32 v[152:153], v[4:5], v[134:135]
	v_mul_f64_e32 v[134:135], v[6:7], v[134:135]
	s_wait_loadcnt_dscnt 0x700
	v_mul_f64_e32 v[126:127], v[116:117], v[146:147]
	v_mul_f64_e32 v[140:141], v[118:119], v[146:147]
	v_add_f64_e32 v[120:121], v[122:123], v[120:121]
	v_add_f64_e32 v[122:123], v[148:149], v[158:159]
	v_fmac_f64_e32 v[152:153], v[6:7], v[132:133]
	v_fma_f64 v[132:133], v[4:5], v[132:133], -v[134:135]
	v_fmac_f64_e32 v[126:127], v[118:119], v[144:145]
	v_fma_f64 v[116:117], v[116:117], v[144:145], -v[140:141]
	v_add_f64_e32 v[124:125], v[120:121], v[124:125]
	v_add_f64_e32 v[134:135], v[122:123], v[150:151]
	ds_load_b128 v[4:7], v2 offset:1200
	ds_load_b128 v[120:123], v2 offset:1216
	s_wait_loadcnt_dscnt 0x601
	v_mul_f64_e32 v[142:143], v[4:5], v[130:131]
	v_mul_f64_e32 v[130:131], v[6:7], v[130:131]
	v_add_f64_e32 v[118:119], v[124:125], v[132:133]
	v_add_f64_e32 v[124:125], v[134:135], v[152:153]
	s_wait_loadcnt_dscnt 0x500
	v_mul_f64_e32 v[132:133], v[120:121], v[10:11]
	v_mul_f64_e32 v[10:11], v[122:123], v[10:11]
	v_fmac_f64_e32 v[142:143], v[6:7], v[128:129]
	v_fma_f64 v[128:129], v[4:5], v[128:129], -v[130:131]
	v_add_f64_e32 v[130:131], v[118:119], v[116:117]
	v_add_f64_e32 v[124:125], v[124:125], v[126:127]
	ds_load_b128 v[4:7], v2 offset:1232
	ds_load_b128 v[116:119], v2 offset:1248
	v_fmac_f64_e32 v[132:133], v[122:123], v[8:9]
	v_fma_f64 v[8:9], v[120:121], v[8:9], -v[10:11]
	s_wait_loadcnt_dscnt 0x401
	v_mul_f64_e32 v[126:127], v[4:5], v[14:15]
	v_mul_f64_e32 v[14:15], v[6:7], v[14:15]
	s_wait_loadcnt_dscnt 0x300
	v_mul_f64_e32 v[122:123], v[116:117], v[18:19]
	v_mul_f64_e32 v[18:19], v[118:119], v[18:19]
	v_add_f64_e32 v[10:11], v[130:131], v[128:129]
	v_add_f64_e32 v[120:121], v[124:125], v[142:143]
	v_fmac_f64_e32 v[126:127], v[6:7], v[12:13]
	v_fma_f64 v[12:13], v[4:5], v[12:13], -v[14:15]
	v_fmac_f64_e32 v[122:123], v[118:119], v[16:17]
	v_fma_f64 v[16:17], v[116:117], v[16:17], -v[18:19]
	v_add_f64_e32 v[14:15], v[10:11], v[8:9]
	v_add_f64_e32 v[120:121], v[120:121], v[132:133]
	ds_load_b128 v[4:7], v2 offset:1264
	ds_load_b128 v[8:11], v2 offset:1280
	s_wait_loadcnt_dscnt 0x201
	v_mul_f64_e32 v[124:125], v[4:5], v[22:23]
	v_mul_f64_e32 v[22:23], v[6:7], v[22:23]
	s_wait_loadcnt_dscnt 0x100
	v_mul_f64_e32 v[18:19], v[8:9], v[110:111]
	v_mul_f64_e32 v[110:111], v[10:11], v[110:111]
	v_add_f64_e32 v[12:13], v[14:15], v[12:13]
	v_add_f64_e32 v[14:15], v[120:121], v[126:127]
	v_fmac_f64_e32 v[124:125], v[6:7], v[20:21]
	v_fma_f64 v[20:21], v[4:5], v[20:21], -v[22:23]
	ds_load_b128 v[4:7], v2 offset:1296
	v_fmac_f64_e32 v[18:19], v[10:11], v[108:109]
	v_fma_f64 v[8:9], v[8:9], v[108:109], -v[110:111]
	v_add_f64_e32 v[12:13], v[12:13], v[16:17]
	v_add_f64_e32 v[14:15], v[14:15], v[122:123]
	s_wait_loadcnt_dscnt 0x0
	v_mul_f64_e32 v[16:17], v[4:5], v[114:115]
	v_mul_f64_e32 v[22:23], v[6:7], v[114:115]
	s_delay_alu instid0(VALU_DEP_4) | instskip(NEXT) | instid1(VALU_DEP_4)
	v_add_f64_e32 v[10:11], v[12:13], v[20:21]
	v_add_f64_e32 v[12:13], v[14:15], v[124:125]
	s_delay_alu instid0(VALU_DEP_4) | instskip(NEXT) | instid1(VALU_DEP_4)
	v_fmac_f64_e32 v[16:17], v[6:7], v[112:113]
	v_fma_f64 v[4:5], v[4:5], v[112:113], -v[22:23]
	s_delay_alu instid0(VALU_DEP_4) | instskip(NEXT) | instid1(VALU_DEP_4)
	v_add_f64_e32 v[6:7], v[10:11], v[8:9]
	v_add_f64_e32 v[8:9], v[12:13], v[18:19]
	s_delay_alu instid0(VALU_DEP_2) | instskip(NEXT) | instid1(VALU_DEP_2)
	v_add_f64_e32 v[4:5], v[6:7], v[4:5]
	v_add_f64_e32 v[6:7], v[8:9], v[16:17]
	s_delay_alu instid0(VALU_DEP_2) | instskip(NEXT) | instid1(VALU_DEP_2)
	v_add_f64_e64 v[4:5], v[136:137], -v[4:5]
	v_add_f64_e64 v[6:7], v[138:139], -v[6:7]
	scratch_store_b128 off, v[4:7], off offset:144
	s_wait_xcnt 0x0
	v_cmpx_lt_u32_e32 8, v1
	s_cbranch_execz .LBB40_243
; %bb.242:
	scratch_load_b128 v[6:9], off, s42
	v_dual_mov_b32 v3, v2 :: v_dual_mov_b32 v4, v2
	v_mov_b32_e32 v5, v2
	scratch_store_b128 off, v[2:5], off offset:128
	s_wait_loadcnt 0x0
	ds_store_b128 v106, v[6:9]
.LBB40_243:
	s_wait_xcnt 0x0
	s_or_b32 exec_lo, exec_lo, s2
	s_wait_storecnt_dscnt 0x0
	s_barrier_signal -1
	s_barrier_wait -1
	s_clause 0x9
	scratch_load_b128 v[4:7], off, off offset:144
	scratch_load_b128 v[8:11], off, off offset:160
	;; [unrolled: 1-line block ×10, first 2 shown]
	ds_load_b128 v[128:131], v2 offset:800
	ds_load_b128 v[136:139], v2 offset:816
	s_clause 0x2
	scratch_load_b128 v[132:135], off, off offset:304
	scratch_load_b128 v[140:143], off, off offset:128
	;; [unrolled: 1-line block ×3, first 2 shown]
	s_mov_b32 s2, exec_lo
	s_wait_loadcnt_dscnt 0xc01
	v_mul_f64_e32 v[148:149], v[130:131], v[6:7]
	v_mul_f64_e32 v[152:153], v[128:129], v[6:7]
	s_wait_loadcnt_dscnt 0xb00
	v_mul_f64_e32 v[154:155], v[136:137], v[10:11]
	v_mul_f64_e32 v[10:11], v[138:139], v[10:11]
	s_delay_alu instid0(VALU_DEP_4) | instskip(NEXT) | instid1(VALU_DEP_4)
	v_fma_f64 v[156:157], v[128:129], v[4:5], -v[148:149]
	v_fmac_f64_e32 v[152:153], v[130:131], v[4:5]
	ds_load_b128 v[4:7], v2 offset:832
	ds_load_b128 v[128:131], v2 offset:848
	scratch_load_b128 v[148:151], off, off offset:336
	v_fmac_f64_e32 v[154:155], v[138:139], v[8:9]
	v_fma_f64 v[136:137], v[136:137], v[8:9], -v[10:11]
	scratch_load_b128 v[8:11], off, off offset:352
	s_wait_loadcnt_dscnt 0xc01
	v_mul_f64_e32 v[158:159], v[4:5], v[14:15]
	v_mul_f64_e32 v[14:15], v[6:7], v[14:15]
	v_add_f64_e32 v[138:139], 0, v[156:157]
	v_add_f64_e32 v[152:153], 0, v[152:153]
	s_wait_loadcnt_dscnt 0xb00
	v_mul_f64_e32 v[156:157], v[128:129], v[18:19]
	v_mul_f64_e32 v[18:19], v[130:131], v[18:19]
	v_fmac_f64_e32 v[158:159], v[6:7], v[12:13]
	v_fma_f64 v[160:161], v[4:5], v[12:13], -v[14:15]
	ds_load_b128 v[4:7], v2 offset:864
	ds_load_b128 v[12:15], v2 offset:880
	v_add_f64_e32 v[162:163], v[138:139], v[136:137]
	v_add_f64_e32 v[152:153], v[152:153], v[154:155]
	scratch_load_b128 v[136:139], off, off offset:368
	v_fmac_f64_e32 v[156:157], v[130:131], v[16:17]
	v_fma_f64 v[128:129], v[128:129], v[16:17], -v[18:19]
	scratch_load_b128 v[16:19], off, off offset:384
	s_wait_loadcnt_dscnt 0xc01
	v_mul_f64_e32 v[154:155], v[4:5], v[22:23]
	v_mul_f64_e32 v[22:23], v[6:7], v[22:23]
	v_add_f64_e32 v[130:131], v[162:163], v[160:161]
	v_add_f64_e32 v[152:153], v[152:153], v[158:159]
	s_wait_loadcnt_dscnt 0xb00
	v_mul_f64_e32 v[158:159], v[12:13], v[110:111]
	v_mul_f64_e32 v[110:111], v[14:15], v[110:111]
	v_fmac_f64_e32 v[154:155], v[6:7], v[20:21]
	v_fma_f64 v[160:161], v[4:5], v[20:21], -v[22:23]
	ds_load_b128 v[4:7], v2 offset:896
	ds_load_b128 v[20:23], v2 offset:912
	v_add_f64_e32 v[162:163], v[130:131], v[128:129]
	v_add_f64_e32 v[152:153], v[152:153], v[156:157]
	scratch_load_b128 v[128:131], off, off offset:400
	s_wait_loadcnt_dscnt 0xb01
	v_mul_f64_e32 v[156:157], v[4:5], v[114:115]
	v_mul_f64_e32 v[114:115], v[6:7], v[114:115]
	v_fmac_f64_e32 v[158:159], v[14:15], v[108:109]
	v_fma_f64 v[108:109], v[12:13], v[108:109], -v[110:111]
	scratch_load_b128 v[12:15], off, off offset:416
	v_add_f64_e32 v[110:111], v[162:163], v[160:161]
	v_add_f64_e32 v[152:153], v[152:153], v[154:155]
	s_wait_loadcnt_dscnt 0xb00
	v_mul_f64_e32 v[154:155], v[20:21], v[118:119]
	v_mul_f64_e32 v[118:119], v[22:23], v[118:119]
	v_fmac_f64_e32 v[156:157], v[6:7], v[112:113]
	v_fma_f64 v[160:161], v[4:5], v[112:113], -v[114:115]
	v_add_f64_e32 v[162:163], v[110:111], v[108:109]
	v_add_f64_e32 v[152:153], v[152:153], v[158:159]
	ds_load_b128 v[4:7], v2 offset:928
	ds_load_b128 v[108:111], v2 offset:944
	scratch_load_b128 v[112:115], off, off offset:432
	v_fmac_f64_e32 v[154:155], v[22:23], v[116:117]
	v_fma_f64 v[116:117], v[20:21], v[116:117], -v[118:119]
	scratch_load_b128 v[20:23], off, off offset:448
	s_wait_loadcnt_dscnt 0xc01
	v_mul_f64_e32 v[158:159], v[4:5], v[122:123]
	v_mul_f64_e32 v[122:123], v[6:7], v[122:123]
	v_add_f64_e32 v[118:119], v[162:163], v[160:161]
	v_add_f64_e32 v[152:153], v[152:153], v[156:157]
	s_wait_loadcnt_dscnt 0xb00
	v_mul_f64_e32 v[156:157], v[108:109], v[126:127]
	v_mul_f64_e32 v[126:127], v[110:111], v[126:127]
	v_fmac_f64_e32 v[158:159], v[6:7], v[120:121]
	v_fma_f64 v[160:161], v[4:5], v[120:121], -v[122:123]
	v_add_f64_e32 v[162:163], v[118:119], v[116:117]
	v_add_f64_e32 v[152:153], v[152:153], v[154:155]
	ds_load_b128 v[4:7], v2 offset:960
	ds_load_b128 v[116:119], v2 offset:976
	scratch_load_b128 v[120:123], off, off offset:464
	v_fmac_f64_e32 v[156:157], v[110:111], v[124:125]
	v_fma_f64 v[124:125], v[108:109], v[124:125], -v[126:127]
	scratch_load_b128 v[108:111], off, off offset:480
	s_wait_loadcnt_dscnt 0xc01
	v_mul_f64_e32 v[154:155], v[4:5], v[134:135]
	v_mul_f64_e32 v[134:135], v[6:7], v[134:135]
	;; [unrolled: 18-line block ×5, first 2 shown]
	v_add_f64_e32 v[146:147], v[162:163], v[160:161]
	v_add_f64_e32 v[152:153], v[152:153], v[158:159]
	s_wait_loadcnt_dscnt 0xa00
	v_mul_f64_e32 v[158:159], v[124:125], v[14:15]
	v_mul_f64_e32 v[14:15], v[126:127], v[14:15]
	v_fmac_f64_e32 v[154:155], v[6:7], v[128:129]
	v_fma_f64 v[160:161], v[4:5], v[128:129], -v[130:131]
	ds_load_b128 v[4:7], v2 offset:1088
	ds_load_b128 v[128:131], v2 offset:1104
	v_add_f64_e32 v[162:163], v[146:147], v[144:145]
	v_add_f64_e32 v[152:153], v[152:153], v[156:157]
	scratch_load_b128 v[144:147], off, off offset:592
	v_fmac_f64_e32 v[158:159], v[126:127], v[12:13]
	v_fma_f64 v[124:125], v[124:125], v[12:13], -v[14:15]
	scratch_load_b128 v[12:15], off, off offset:608
	s_wait_loadcnt_dscnt 0xb01
	v_mul_f64_e32 v[156:157], v[4:5], v[114:115]
	v_mul_f64_e32 v[114:115], v[6:7], v[114:115]
	v_add_f64_e32 v[126:127], v[162:163], v[160:161]
	v_add_f64_e32 v[152:153], v[152:153], v[154:155]
	s_wait_loadcnt_dscnt 0xa00
	v_mul_f64_e32 v[154:155], v[128:129], v[22:23]
	v_mul_f64_e32 v[22:23], v[130:131], v[22:23]
	v_fmac_f64_e32 v[156:157], v[6:7], v[112:113]
	v_fma_f64 v[160:161], v[4:5], v[112:113], -v[114:115]
	ds_load_b128 v[4:7], v2 offset:1120
	ds_load_b128 v[112:115], v2 offset:1136
	v_add_f64_e32 v[162:163], v[126:127], v[124:125]
	v_add_f64_e32 v[152:153], v[152:153], v[158:159]
	scratch_load_b128 v[124:127], off, off offset:624
	s_wait_loadcnt_dscnt 0xa01
	v_mul_f64_e32 v[158:159], v[4:5], v[122:123]
	v_mul_f64_e32 v[122:123], v[6:7], v[122:123]
	v_fmac_f64_e32 v[154:155], v[130:131], v[20:21]
	v_fma_f64 v[128:129], v[128:129], v[20:21], -v[22:23]
	scratch_load_b128 v[20:23], off, off offset:640
	v_add_f64_e32 v[130:131], v[162:163], v[160:161]
	v_add_f64_e32 v[152:153], v[152:153], v[156:157]
	s_wait_loadcnt_dscnt 0xa00
	v_mul_f64_e32 v[156:157], v[112:113], v[110:111]
	v_mul_f64_e32 v[110:111], v[114:115], v[110:111]
	v_fmac_f64_e32 v[158:159], v[6:7], v[120:121]
	v_fma_f64 v[160:161], v[4:5], v[120:121], -v[122:123]
	ds_load_b128 v[4:7], v2 offset:1152
	ds_load_b128 v[120:123], v2 offset:1168
	v_add_f64_e32 v[128:129], v[130:131], v[128:129]
	v_add_f64_e32 v[130:131], v[152:153], v[154:155]
	v_fmac_f64_e32 v[156:157], v[114:115], v[108:109]
	s_wait_loadcnt_dscnt 0x901
	v_mul_f64_e32 v[152:153], v[4:5], v[134:135]
	v_mul_f64_e32 v[134:135], v[6:7], v[134:135]
	v_fma_f64 v[108:109], v[112:113], v[108:109], -v[110:111]
	s_wait_loadcnt_dscnt 0x800
	v_mul_f64_e32 v[114:115], v[120:121], v[118:119]
	v_mul_f64_e32 v[118:119], v[122:123], v[118:119]
	v_add_f64_e32 v[110:111], v[128:129], v[160:161]
	v_add_f64_e32 v[112:113], v[130:131], v[158:159]
	v_fmac_f64_e32 v[152:153], v[6:7], v[132:133]
	v_fma_f64 v[128:129], v[4:5], v[132:133], -v[134:135]
	v_fmac_f64_e32 v[114:115], v[122:123], v[116:117]
	v_fma_f64 v[116:117], v[120:121], v[116:117], -v[118:119]
	v_add_f64_e32 v[130:131], v[110:111], v[108:109]
	v_add_f64_e32 v[112:113], v[112:113], v[156:157]
	ds_load_b128 v[4:7], v2 offset:1184
	ds_load_b128 v[108:111], v2 offset:1200
	s_wait_loadcnt_dscnt 0x701
	v_mul_f64_e32 v[132:133], v[4:5], v[150:151]
	v_mul_f64_e32 v[134:135], v[6:7], v[150:151]
	s_wait_loadcnt_dscnt 0x600
	v_mul_f64_e32 v[120:121], v[108:109], v[10:11]
	v_mul_f64_e32 v[10:11], v[110:111], v[10:11]
	v_add_f64_e32 v[118:119], v[130:131], v[128:129]
	v_add_f64_e32 v[112:113], v[112:113], v[152:153]
	v_fmac_f64_e32 v[132:133], v[6:7], v[148:149]
	v_fma_f64 v[122:123], v[4:5], v[148:149], -v[134:135]
	v_fmac_f64_e32 v[120:121], v[110:111], v[8:9]
	v_fma_f64 v[8:9], v[108:109], v[8:9], -v[10:11]
	v_add_f64_e32 v[116:117], v[118:119], v[116:117]
	v_add_f64_e32 v[118:119], v[112:113], v[114:115]
	ds_load_b128 v[4:7], v2 offset:1216
	ds_load_b128 v[112:115], v2 offset:1232
	s_wait_loadcnt_dscnt 0x501
	v_mul_f64_e32 v[128:129], v[4:5], v[138:139]
	v_mul_f64_e32 v[130:131], v[6:7], v[138:139]
	s_wait_loadcnt_dscnt 0x400
	v_mul_f64_e32 v[110:111], v[112:113], v[18:19]
	v_mul_f64_e32 v[18:19], v[114:115], v[18:19]
	v_add_f64_e32 v[10:11], v[116:117], v[122:123]
	v_add_f64_e32 v[108:109], v[118:119], v[132:133]
	v_fmac_f64_e32 v[128:129], v[6:7], v[136:137]
	v_fma_f64 v[116:117], v[4:5], v[136:137], -v[130:131]
	v_fmac_f64_e32 v[110:111], v[114:115], v[16:17]
	v_fma_f64 v[16:17], v[112:113], v[16:17], -v[18:19]
	v_add_f64_e32 v[118:119], v[10:11], v[8:9]
	v_add_f64_e32 v[108:109], v[108:109], v[120:121]
	ds_load_b128 v[4:7], v2 offset:1248
	ds_load_b128 v[8:11], v2 offset:1264
	s_wait_loadcnt_dscnt 0x301
	v_mul_f64_e32 v[120:121], v[4:5], v[146:147]
	v_mul_f64_e32 v[122:123], v[6:7], v[146:147]
	s_wait_loadcnt_dscnt 0x200
	v_mul_f64_e32 v[112:113], v[8:9], v[14:15]
	v_mul_f64_e32 v[114:115], v[10:11], v[14:15]
	v_add_f64_e32 v[18:19], v[118:119], v[116:117]
	v_add_f64_e32 v[108:109], v[108:109], v[128:129]
	v_fmac_f64_e32 v[120:121], v[6:7], v[144:145]
	v_fma_f64 v[116:117], v[4:5], v[144:145], -v[122:123]
	v_fmac_f64_e32 v[112:113], v[10:11], v[12:13]
	v_fma_f64 v[8:9], v[8:9], v[12:13], -v[114:115]
	v_add_f64_e32 v[18:19], v[18:19], v[16:17]
	v_add_f64_e32 v[108:109], v[108:109], v[110:111]
	ds_load_b128 v[4:7], v2 offset:1280
	ds_load_b128 v[14:17], v2 offset:1296
	s_wait_loadcnt_dscnt 0x101
	v_mul_f64_e32 v[2:3], v[4:5], v[126:127]
	v_mul_f64_e32 v[110:111], v[6:7], v[126:127]
	v_add_f64_e32 v[10:11], v[18:19], v[116:117]
	v_add_f64_e32 v[12:13], v[108:109], v[120:121]
	s_wait_loadcnt_dscnt 0x0
	v_mul_f64_e32 v[18:19], v[14:15], v[22:23]
	v_mul_f64_e32 v[22:23], v[16:17], v[22:23]
	v_fmac_f64_e32 v[2:3], v[6:7], v[124:125]
	v_fma_f64 v[4:5], v[4:5], v[124:125], -v[110:111]
	v_add_f64_e32 v[6:7], v[10:11], v[8:9]
	v_add_f64_e32 v[8:9], v[12:13], v[112:113]
	v_fmac_f64_e32 v[18:19], v[16:17], v[20:21]
	v_fma_f64 v[10:11], v[14:15], v[20:21], -v[22:23]
	s_delay_alu instid0(VALU_DEP_4) | instskip(NEXT) | instid1(VALU_DEP_4)
	v_add_f64_e32 v[4:5], v[6:7], v[4:5]
	v_add_f64_e32 v[2:3], v[8:9], v[2:3]
	s_delay_alu instid0(VALU_DEP_2) | instskip(NEXT) | instid1(VALU_DEP_2)
	v_add_f64_e32 v[4:5], v[4:5], v[10:11]
	v_add_f64_e32 v[6:7], v[2:3], v[18:19]
	s_delay_alu instid0(VALU_DEP_2) | instskip(NEXT) | instid1(VALU_DEP_2)
	v_add_f64_e64 v[2:3], v[140:141], -v[4:5]
	v_add_f64_e64 v[4:5], v[142:143], -v[6:7]
	scratch_store_b128 off, v[2:5], off offset:128
	s_wait_xcnt 0x0
	v_cmpx_lt_u32_e32 7, v1
	s_cbranch_execz .LBB40_245
; %bb.244:
	scratch_load_b128 v[2:5], off, s49
	v_mov_b32_e32 v6, 0
	s_delay_alu instid0(VALU_DEP_1)
	v_dual_mov_b32 v7, v6 :: v_dual_mov_b32 v8, v6
	v_mov_b32_e32 v9, v6
	scratch_store_b128 off, v[6:9], off offset:112
	s_wait_loadcnt 0x0
	ds_store_b128 v106, v[2:5]
.LBB40_245:
	s_wait_xcnt 0x0
	s_or_b32 exec_lo, exec_lo, s2
	s_wait_storecnt_dscnt 0x0
	s_barrier_signal -1
	s_barrier_wait -1
	s_clause 0x9
	scratch_load_b128 v[4:7], off, off offset:128
	scratch_load_b128 v[8:11], off, off offset:144
	;; [unrolled: 1-line block ×10, first 2 shown]
	v_mov_b32_e32 v2, 0
	s_mov_b32 s2, exec_lo
	ds_load_b128 v[128:131], v2 offset:784
	s_clause 0x2
	scratch_load_b128 v[132:135], off, off offset:288
	scratch_load_b128 v[136:139], off, off offset:112
	;; [unrolled: 1-line block ×3, first 2 shown]
	s_wait_loadcnt_dscnt 0xc00
	v_mul_f64_e32 v[148:149], v[130:131], v[6:7]
	v_mul_f64_e32 v[152:153], v[128:129], v[6:7]
	ds_load_b128 v[140:143], v2 offset:800
	v_fma_f64 v[156:157], v[128:129], v[4:5], -v[148:149]
	v_fmac_f64_e32 v[152:153], v[130:131], v[4:5]
	ds_load_b128 v[4:7], v2 offset:816
	s_wait_loadcnt_dscnt 0xb01
	v_mul_f64_e32 v[154:155], v[140:141], v[10:11]
	v_mul_f64_e32 v[10:11], v[142:143], v[10:11]
	scratch_load_b128 v[128:131], off, off offset:320
	ds_load_b128 v[148:151], v2 offset:832
	s_wait_loadcnt_dscnt 0xb01
	v_mul_f64_e32 v[158:159], v[4:5], v[14:15]
	v_mul_f64_e32 v[14:15], v[6:7], v[14:15]
	v_add_f64_e32 v[152:153], 0, v[152:153]
	v_fmac_f64_e32 v[154:155], v[142:143], v[8:9]
	v_fma_f64 v[140:141], v[140:141], v[8:9], -v[10:11]
	v_add_f64_e32 v[142:143], 0, v[156:157]
	scratch_load_b128 v[8:11], off, off offset:336
	v_fmac_f64_e32 v[158:159], v[6:7], v[12:13]
	v_fma_f64 v[160:161], v[4:5], v[12:13], -v[14:15]
	ds_load_b128 v[4:7], v2 offset:848
	s_wait_loadcnt_dscnt 0xb01
	v_mul_f64_e32 v[156:157], v[148:149], v[18:19]
	v_mul_f64_e32 v[18:19], v[150:151], v[18:19]
	scratch_load_b128 v[12:15], off, off offset:352
	v_add_f64_e32 v[152:153], v[152:153], v[154:155]
	v_add_f64_e32 v[162:163], v[142:143], v[140:141]
	ds_load_b128 v[140:143], v2 offset:864
	s_wait_loadcnt_dscnt 0xb01
	v_mul_f64_e32 v[154:155], v[4:5], v[22:23]
	v_mul_f64_e32 v[22:23], v[6:7], v[22:23]
	v_fmac_f64_e32 v[156:157], v[150:151], v[16:17]
	v_fma_f64 v[148:149], v[148:149], v[16:17], -v[18:19]
	scratch_load_b128 v[16:19], off, off offset:368
	v_add_f64_e32 v[152:153], v[152:153], v[158:159]
	v_add_f64_e32 v[150:151], v[162:163], v[160:161]
	v_fmac_f64_e32 v[154:155], v[6:7], v[20:21]
	v_fma_f64 v[160:161], v[4:5], v[20:21], -v[22:23]
	ds_load_b128 v[4:7], v2 offset:880
	s_wait_loadcnt_dscnt 0xb01
	v_mul_f64_e32 v[158:159], v[140:141], v[110:111]
	v_mul_f64_e32 v[110:111], v[142:143], v[110:111]
	scratch_load_b128 v[20:23], off, off offset:384
	v_add_f64_e32 v[152:153], v[152:153], v[156:157]
	s_wait_loadcnt_dscnt 0xb00
	v_mul_f64_e32 v[156:157], v[4:5], v[114:115]
	v_add_f64_e32 v[162:163], v[150:151], v[148:149]
	v_mul_f64_e32 v[114:115], v[6:7], v[114:115]
	ds_load_b128 v[148:151], v2 offset:896
	v_fmac_f64_e32 v[158:159], v[142:143], v[108:109]
	v_fma_f64 v[140:141], v[140:141], v[108:109], -v[110:111]
	scratch_load_b128 v[108:111], off, off offset:400
	v_add_f64_e32 v[152:153], v[152:153], v[154:155]
	v_fmac_f64_e32 v[156:157], v[6:7], v[112:113]
	v_add_f64_e32 v[142:143], v[162:163], v[160:161]
	v_fma_f64 v[160:161], v[4:5], v[112:113], -v[114:115]
	ds_load_b128 v[4:7], v2 offset:912
	s_wait_loadcnt_dscnt 0xb01
	v_mul_f64_e32 v[154:155], v[148:149], v[118:119]
	v_mul_f64_e32 v[118:119], v[150:151], v[118:119]
	scratch_load_b128 v[112:115], off, off offset:416
	v_add_f64_e32 v[152:153], v[152:153], v[158:159]
	s_wait_loadcnt_dscnt 0xb00
	v_mul_f64_e32 v[158:159], v[4:5], v[122:123]
	v_add_f64_e32 v[162:163], v[142:143], v[140:141]
	v_mul_f64_e32 v[122:123], v[6:7], v[122:123]
	ds_load_b128 v[140:143], v2 offset:928
	v_fmac_f64_e32 v[154:155], v[150:151], v[116:117]
	v_fma_f64 v[148:149], v[148:149], v[116:117], -v[118:119]
	scratch_load_b128 v[116:119], off, off offset:432
	v_add_f64_e32 v[152:153], v[152:153], v[156:157]
	v_fmac_f64_e32 v[158:159], v[6:7], v[120:121]
	v_add_f64_e32 v[150:151], v[162:163], v[160:161]
	;; [unrolled: 18-line block ×3, first 2 shown]
	v_fma_f64 v[160:161], v[4:5], v[132:133], -v[134:135]
	ds_load_b128 v[4:7], v2 offset:976
	s_wait_loadcnt_dscnt 0xa01
	v_mul_f64_e32 v[158:159], v[148:149], v[146:147]
	v_mul_f64_e32 v[146:147], v[150:151], v[146:147]
	scratch_load_b128 v[132:135], off, off offset:480
	v_add_f64_e32 v[152:153], v[152:153], v[156:157]
	v_add_f64_e32 v[162:163], v[142:143], v[140:141]
	s_wait_loadcnt_dscnt 0xa00
	v_mul_f64_e32 v[156:157], v[4:5], v[130:131]
	v_mul_f64_e32 v[130:131], v[6:7], v[130:131]
	v_fmac_f64_e32 v[158:159], v[150:151], v[144:145]
	v_fma_f64 v[148:149], v[148:149], v[144:145], -v[146:147]
	ds_load_b128 v[140:143], v2 offset:992
	scratch_load_b128 v[144:147], off, off offset:496
	v_add_f64_e32 v[152:153], v[152:153], v[154:155]
	v_add_f64_e32 v[150:151], v[162:163], v[160:161]
	v_fmac_f64_e32 v[156:157], v[6:7], v[128:129]
	v_fma_f64 v[160:161], v[4:5], v[128:129], -v[130:131]
	ds_load_b128 v[4:7], v2 offset:1008
	s_wait_loadcnt_dscnt 0xa01
	v_mul_f64_e32 v[154:155], v[140:141], v[10:11]
	v_mul_f64_e32 v[10:11], v[142:143], v[10:11]
	scratch_load_b128 v[128:131], off, off offset:512
	v_add_f64_e32 v[152:153], v[152:153], v[158:159]
	s_wait_loadcnt_dscnt 0xa00
	v_mul_f64_e32 v[158:159], v[4:5], v[14:15]
	v_add_f64_e32 v[162:163], v[150:151], v[148:149]
	v_mul_f64_e32 v[14:15], v[6:7], v[14:15]
	ds_load_b128 v[148:151], v2 offset:1024
	v_fmac_f64_e32 v[154:155], v[142:143], v[8:9]
	v_fma_f64 v[140:141], v[140:141], v[8:9], -v[10:11]
	scratch_load_b128 v[8:11], off, off offset:528
	v_add_f64_e32 v[152:153], v[152:153], v[156:157]
	v_fmac_f64_e32 v[158:159], v[6:7], v[12:13]
	v_add_f64_e32 v[142:143], v[162:163], v[160:161]
	v_fma_f64 v[160:161], v[4:5], v[12:13], -v[14:15]
	ds_load_b128 v[4:7], v2 offset:1040
	s_wait_loadcnt_dscnt 0xa01
	v_mul_f64_e32 v[156:157], v[148:149], v[18:19]
	v_mul_f64_e32 v[18:19], v[150:151], v[18:19]
	scratch_load_b128 v[12:15], off, off offset:544
	v_add_f64_e32 v[152:153], v[152:153], v[154:155]
	s_wait_loadcnt_dscnt 0xa00
	v_mul_f64_e32 v[154:155], v[4:5], v[22:23]
	v_add_f64_e32 v[162:163], v[142:143], v[140:141]
	v_mul_f64_e32 v[22:23], v[6:7], v[22:23]
	ds_load_b128 v[140:143], v2 offset:1056
	v_fmac_f64_e32 v[156:157], v[150:151], v[16:17]
	v_fma_f64 v[148:149], v[148:149], v[16:17], -v[18:19]
	scratch_load_b128 v[16:19], off, off offset:560
	v_add_f64_e32 v[152:153], v[152:153], v[158:159]
	v_fmac_f64_e32 v[154:155], v[6:7], v[20:21]
	v_add_f64_e32 v[150:151], v[162:163], v[160:161]
	;; [unrolled: 18-line block ×4, first 2 shown]
	v_fma_f64 v[160:161], v[4:5], v[120:121], -v[122:123]
	ds_load_b128 v[4:7], v2 offset:1136
	s_wait_loadcnt_dscnt 0xa01
	v_mul_f64_e32 v[156:157], v[140:141], v[126:127]
	v_mul_f64_e32 v[126:127], v[142:143], v[126:127]
	scratch_load_b128 v[120:123], off, off offset:640
	v_add_f64_e32 v[152:153], v[152:153], v[154:155]
	s_wait_loadcnt_dscnt 0xa00
	v_mul_f64_e32 v[154:155], v[4:5], v[134:135]
	v_add_f64_e32 v[162:163], v[150:151], v[148:149]
	v_mul_f64_e32 v[134:135], v[6:7], v[134:135]
	ds_load_b128 v[148:151], v2 offset:1152
	v_fmac_f64_e32 v[156:157], v[142:143], v[124:125]
	v_fma_f64 v[124:125], v[140:141], v[124:125], -v[126:127]
	s_wait_loadcnt_dscnt 0x900
	v_mul_f64_e32 v[142:143], v[148:149], v[146:147]
	v_mul_f64_e32 v[146:147], v[150:151], v[146:147]
	v_add_f64_e32 v[140:141], v[152:153], v[158:159]
	v_fmac_f64_e32 v[154:155], v[6:7], v[132:133]
	v_add_f64_e32 v[126:127], v[162:163], v[160:161]
	v_fma_f64 v[132:133], v[4:5], v[132:133], -v[134:135]
	v_fmac_f64_e32 v[142:143], v[150:151], v[144:145]
	v_fma_f64 v[144:145], v[148:149], v[144:145], -v[146:147]
	v_add_f64_e32 v[140:141], v[140:141], v[156:157]
	v_add_f64_e32 v[134:135], v[126:127], v[124:125]
	ds_load_b128 v[4:7], v2 offset:1168
	ds_load_b128 v[124:127], v2 offset:1184
	s_wait_loadcnt_dscnt 0x801
	v_mul_f64_e32 v[152:153], v[4:5], v[130:131]
	v_mul_f64_e32 v[130:131], v[6:7], v[130:131]
	v_add_f64_e32 v[132:133], v[134:135], v[132:133]
	v_add_f64_e32 v[134:135], v[140:141], v[154:155]
	s_wait_loadcnt_dscnt 0x700
	v_mul_f64_e32 v[140:141], v[124:125], v[10:11]
	v_mul_f64_e32 v[10:11], v[126:127], v[10:11]
	v_fmac_f64_e32 v[152:153], v[6:7], v[128:129]
	v_fma_f64 v[146:147], v[4:5], v[128:129], -v[130:131]
	ds_load_b128 v[4:7], v2 offset:1200
	ds_load_b128 v[128:131], v2 offset:1216
	v_add_f64_e32 v[132:133], v[132:133], v[144:145]
	v_add_f64_e32 v[134:135], v[134:135], v[142:143]
	v_fmac_f64_e32 v[140:141], v[126:127], v[8:9]
	v_fma_f64 v[8:9], v[124:125], v[8:9], -v[10:11]
	s_wait_loadcnt_dscnt 0x601
	v_mul_f64_e32 v[142:143], v[4:5], v[14:15]
	v_mul_f64_e32 v[14:15], v[6:7], v[14:15]
	s_wait_loadcnt_dscnt 0x500
	v_mul_f64_e32 v[126:127], v[128:129], v[18:19]
	v_mul_f64_e32 v[18:19], v[130:131], v[18:19]
	v_add_f64_e32 v[10:11], v[132:133], v[146:147]
	v_add_f64_e32 v[124:125], v[134:135], v[152:153]
	v_fmac_f64_e32 v[142:143], v[6:7], v[12:13]
	v_fma_f64 v[12:13], v[4:5], v[12:13], -v[14:15]
	v_fmac_f64_e32 v[126:127], v[130:131], v[16:17]
	v_fma_f64 v[16:17], v[128:129], v[16:17], -v[18:19]
	v_add_f64_e32 v[14:15], v[10:11], v[8:9]
	v_add_f64_e32 v[124:125], v[124:125], v[140:141]
	ds_load_b128 v[4:7], v2 offset:1232
	ds_load_b128 v[8:11], v2 offset:1248
	s_wait_loadcnt_dscnt 0x401
	v_mul_f64_e32 v[132:133], v[4:5], v[22:23]
	v_mul_f64_e32 v[22:23], v[6:7], v[22:23]
	s_wait_loadcnt_dscnt 0x300
	v_mul_f64_e32 v[18:19], v[8:9], v[110:111]
	v_mul_f64_e32 v[110:111], v[10:11], v[110:111]
	v_add_f64_e32 v[12:13], v[14:15], v[12:13]
	v_add_f64_e32 v[14:15], v[124:125], v[142:143]
	v_fmac_f64_e32 v[132:133], v[6:7], v[20:21]
	v_fma_f64 v[20:21], v[4:5], v[20:21], -v[22:23]
	v_fmac_f64_e32 v[18:19], v[10:11], v[108:109]
	v_fma_f64 v[8:9], v[8:9], v[108:109], -v[110:111]
	v_add_f64_e32 v[16:17], v[12:13], v[16:17]
	v_add_f64_e32 v[22:23], v[14:15], v[126:127]
	ds_load_b128 v[4:7], v2 offset:1264
	ds_load_b128 v[12:15], v2 offset:1280
	s_wait_loadcnt_dscnt 0x201
	v_mul_f64_e32 v[124:125], v[4:5], v[114:115]
	v_mul_f64_e32 v[114:115], v[6:7], v[114:115]
	v_add_f64_e32 v[10:11], v[16:17], v[20:21]
	v_add_f64_e32 v[16:17], v[22:23], v[132:133]
	s_wait_loadcnt_dscnt 0x100
	v_mul_f64_e32 v[20:21], v[12:13], v[118:119]
	v_mul_f64_e32 v[22:23], v[14:15], v[118:119]
	v_fmac_f64_e32 v[124:125], v[6:7], v[112:113]
	v_fma_f64 v[108:109], v[4:5], v[112:113], -v[114:115]
	ds_load_b128 v[4:7], v2 offset:1296
	v_add_f64_e32 v[8:9], v[10:11], v[8:9]
	v_add_f64_e32 v[10:11], v[16:17], v[18:19]
	v_fmac_f64_e32 v[20:21], v[14:15], v[116:117]
	v_fma_f64 v[12:13], v[12:13], v[116:117], -v[22:23]
	s_wait_loadcnt_dscnt 0x0
	v_mul_f64_e32 v[16:17], v[4:5], v[122:123]
	v_mul_f64_e32 v[18:19], v[6:7], v[122:123]
	v_add_f64_e32 v[8:9], v[8:9], v[108:109]
	v_add_f64_e32 v[10:11], v[10:11], v[124:125]
	s_delay_alu instid0(VALU_DEP_4) | instskip(NEXT) | instid1(VALU_DEP_4)
	v_fmac_f64_e32 v[16:17], v[6:7], v[120:121]
	v_fma_f64 v[4:5], v[4:5], v[120:121], -v[18:19]
	s_delay_alu instid0(VALU_DEP_4) | instskip(NEXT) | instid1(VALU_DEP_4)
	v_add_f64_e32 v[6:7], v[8:9], v[12:13]
	v_add_f64_e32 v[8:9], v[10:11], v[20:21]
	s_delay_alu instid0(VALU_DEP_2) | instskip(NEXT) | instid1(VALU_DEP_2)
	v_add_f64_e32 v[4:5], v[6:7], v[4:5]
	v_add_f64_e32 v[6:7], v[8:9], v[16:17]
	s_delay_alu instid0(VALU_DEP_2) | instskip(NEXT) | instid1(VALU_DEP_2)
	v_add_f64_e64 v[4:5], v[136:137], -v[4:5]
	v_add_f64_e64 v[6:7], v[138:139], -v[6:7]
	scratch_store_b128 off, v[4:7], off offset:112
	s_wait_xcnt 0x0
	v_cmpx_lt_u32_e32 6, v1
	s_cbranch_execz .LBB40_247
; %bb.246:
	scratch_load_b128 v[6:9], off, s46
	v_dual_mov_b32 v3, v2 :: v_dual_mov_b32 v4, v2
	v_mov_b32_e32 v5, v2
	scratch_store_b128 off, v[2:5], off offset:96
	s_wait_loadcnt 0x0
	ds_store_b128 v106, v[6:9]
.LBB40_247:
	s_wait_xcnt 0x0
	s_or_b32 exec_lo, exec_lo, s2
	s_wait_storecnt_dscnt 0x0
	s_barrier_signal -1
	s_barrier_wait -1
	s_clause 0x9
	scratch_load_b128 v[4:7], off, off offset:112
	scratch_load_b128 v[8:11], off, off offset:128
	;; [unrolled: 1-line block ×10, first 2 shown]
	ds_load_b128 v[128:131], v2 offset:768
	ds_load_b128 v[136:139], v2 offset:784
	s_clause 0x2
	scratch_load_b128 v[132:135], off, off offset:272
	scratch_load_b128 v[140:143], off, off offset:96
	;; [unrolled: 1-line block ×3, first 2 shown]
	s_mov_b32 s2, exec_lo
	s_wait_loadcnt_dscnt 0xc01
	v_mul_f64_e32 v[148:149], v[130:131], v[6:7]
	v_mul_f64_e32 v[152:153], v[128:129], v[6:7]
	s_wait_loadcnt_dscnt 0xb00
	v_mul_f64_e32 v[154:155], v[136:137], v[10:11]
	v_mul_f64_e32 v[10:11], v[138:139], v[10:11]
	s_delay_alu instid0(VALU_DEP_4) | instskip(NEXT) | instid1(VALU_DEP_4)
	v_fma_f64 v[156:157], v[128:129], v[4:5], -v[148:149]
	v_fmac_f64_e32 v[152:153], v[130:131], v[4:5]
	ds_load_b128 v[4:7], v2 offset:800
	ds_load_b128 v[128:131], v2 offset:816
	scratch_load_b128 v[148:151], off, off offset:304
	v_fmac_f64_e32 v[154:155], v[138:139], v[8:9]
	v_fma_f64 v[136:137], v[136:137], v[8:9], -v[10:11]
	scratch_load_b128 v[8:11], off, off offset:320
	s_wait_loadcnt_dscnt 0xc01
	v_mul_f64_e32 v[158:159], v[4:5], v[14:15]
	v_mul_f64_e32 v[14:15], v[6:7], v[14:15]
	v_add_f64_e32 v[138:139], 0, v[156:157]
	v_add_f64_e32 v[152:153], 0, v[152:153]
	s_wait_loadcnt_dscnt 0xb00
	v_mul_f64_e32 v[156:157], v[128:129], v[18:19]
	v_mul_f64_e32 v[18:19], v[130:131], v[18:19]
	v_fmac_f64_e32 v[158:159], v[6:7], v[12:13]
	v_fma_f64 v[160:161], v[4:5], v[12:13], -v[14:15]
	ds_load_b128 v[4:7], v2 offset:832
	ds_load_b128 v[12:15], v2 offset:848
	v_add_f64_e32 v[162:163], v[138:139], v[136:137]
	v_add_f64_e32 v[152:153], v[152:153], v[154:155]
	scratch_load_b128 v[136:139], off, off offset:336
	v_fmac_f64_e32 v[156:157], v[130:131], v[16:17]
	v_fma_f64 v[128:129], v[128:129], v[16:17], -v[18:19]
	scratch_load_b128 v[16:19], off, off offset:352
	s_wait_loadcnt_dscnt 0xc01
	v_mul_f64_e32 v[154:155], v[4:5], v[22:23]
	v_mul_f64_e32 v[22:23], v[6:7], v[22:23]
	v_add_f64_e32 v[130:131], v[162:163], v[160:161]
	v_add_f64_e32 v[152:153], v[152:153], v[158:159]
	s_wait_loadcnt_dscnt 0xb00
	v_mul_f64_e32 v[158:159], v[12:13], v[110:111]
	v_mul_f64_e32 v[110:111], v[14:15], v[110:111]
	v_fmac_f64_e32 v[154:155], v[6:7], v[20:21]
	v_fma_f64 v[160:161], v[4:5], v[20:21], -v[22:23]
	ds_load_b128 v[4:7], v2 offset:864
	ds_load_b128 v[20:23], v2 offset:880
	v_add_f64_e32 v[162:163], v[130:131], v[128:129]
	v_add_f64_e32 v[152:153], v[152:153], v[156:157]
	scratch_load_b128 v[128:131], off, off offset:368
	s_wait_loadcnt_dscnt 0xb01
	v_mul_f64_e32 v[156:157], v[4:5], v[114:115]
	v_mul_f64_e32 v[114:115], v[6:7], v[114:115]
	v_fmac_f64_e32 v[158:159], v[14:15], v[108:109]
	v_fma_f64 v[108:109], v[12:13], v[108:109], -v[110:111]
	scratch_load_b128 v[12:15], off, off offset:384
	v_add_f64_e32 v[110:111], v[162:163], v[160:161]
	v_add_f64_e32 v[152:153], v[152:153], v[154:155]
	s_wait_loadcnt_dscnt 0xb00
	v_mul_f64_e32 v[154:155], v[20:21], v[118:119]
	v_mul_f64_e32 v[118:119], v[22:23], v[118:119]
	v_fmac_f64_e32 v[156:157], v[6:7], v[112:113]
	v_fma_f64 v[160:161], v[4:5], v[112:113], -v[114:115]
	v_add_f64_e32 v[162:163], v[110:111], v[108:109]
	v_add_f64_e32 v[152:153], v[152:153], v[158:159]
	ds_load_b128 v[4:7], v2 offset:896
	ds_load_b128 v[108:111], v2 offset:912
	scratch_load_b128 v[112:115], off, off offset:400
	v_fmac_f64_e32 v[154:155], v[22:23], v[116:117]
	v_fma_f64 v[116:117], v[20:21], v[116:117], -v[118:119]
	scratch_load_b128 v[20:23], off, off offset:416
	s_wait_loadcnt_dscnt 0xc01
	v_mul_f64_e32 v[158:159], v[4:5], v[122:123]
	v_mul_f64_e32 v[122:123], v[6:7], v[122:123]
	v_add_f64_e32 v[118:119], v[162:163], v[160:161]
	v_add_f64_e32 v[152:153], v[152:153], v[156:157]
	s_wait_loadcnt_dscnt 0xb00
	v_mul_f64_e32 v[156:157], v[108:109], v[126:127]
	v_mul_f64_e32 v[126:127], v[110:111], v[126:127]
	v_fmac_f64_e32 v[158:159], v[6:7], v[120:121]
	v_fma_f64 v[160:161], v[4:5], v[120:121], -v[122:123]
	v_add_f64_e32 v[162:163], v[118:119], v[116:117]
	v_add_f64_e32 v[152:153], v[152:153], v[154:155]
	ds_load_b128 v[4:7], v2 offset:928
	ds_load_b128 v[116:119], v2 offset:944
	scratch_load_b128 v[120:123], off, off offset:432
	v_fmac_f64_e32 v[156:157], v[110:111], v[124:125]
	v_fma_f64 v[124:125], v[108:109], v[124:125], -v[126:127]
	scratch_load_b128 v[108:111], off, off offset:448
	s_wait_loadcnt_dscnt 0xc01
	v_mul_f64_e32 v[154:155], v[4:5], v[134:135]
	v_mul_f64_e32 v[134:135], v[6:7], v[134:135]
	;; [unrolled: 18-line block ×5, first 2 shown]
	v_add_f64_e32 v[146:147], v[162:163], v[160:161]
	v_add_f64_e32 v[152:153], v[152:153], v[158:159]
	s_wait_loadcnt_dscnt 0xa00
	v_mul_f64_e32 v[158:159], v[124:125], v[14:15]
	v_mul_f64_e32 v[14:15], v[126:127], v[14:15]
	v_fmac_f64_e32 v[154:155], v[6:7], v[128:129]
	v_fma_f64 v[160:161], v[4:5], v[128:129], -v[130:131]
	ds_load_b128 v[4:7], v2 offset:1056
	ds_load_b128 v[128:131], v2 offset:1072
	v_add_f64_e32 v[162:163], v[146:147], v[144:145]
	v_add_f64_e32 v[152:153], v[152:153], v[156:157]
	scratch_load_b128 v[144:147], off, off offset:560
	v_fmac_f64_e32 v[158:159], v[126:127], v[12:13]
	v_fma_f64 v[124:125], v[124:125], v[12:13], -v[14:15]
	scratch_load_b128 v[12:15], off, off offset:576
	s_wait_loadcnt_dscnt 0xb01
	v_mul_f64_e32 v[156:157], v[4:5], v[114:115]
	v_mul_f64_e32 v[114:115], v[6:7], v[114:115]
	v_add_f64_e32 v[126:127], v[162:163], v[160:161]
	v_add_f64_e32 v[152:153], v[152:153], v[154:155]
	s_wait_loadcnt_dscnt 0xa00
	v_mul_f64_e32 v[154:155], v[128:129], v[22:23]
	v_mul_f64_e32 v[22:23], v[130:131], v[22:23]
	v_fmac_f64_e32 v[156:157], v[6:7], v[112:113]
	v_fma_f64 v[160:161], v[4:5], v[112:113], -v[114:115]
	ds_load_b128 v[4:7], v2 offset:1088
	ds_load_b128 v[112:115], v2 offset:1104
	v_add_f64_e32 v[162:163], v[126:127], v[124:125]
	v_add_f64_e32 v[152:153], v[152:153], v[158:159]
	scratch_load_b128 v[124:127], off, off offset:592
	s_wait_loadcnt_dscnt 0xa01
	v_mul_f64_e32 v[158:159], v[4:5], v[122:123]
	v_mul_f64_e32 v[122:123], v[6:7], v[122:123]
	v_fmac_f64_e32 v[154:155], v[130:131], v[20:21]
	v_fma_f64 v[128:129], v[128:129], v[20:21], -v[22:23]
	scratch_load_b128 v[20:23], off, off offset:608
	v_add_f64_e32 v[130:131], v[162:163], v[160:161]
	v_add_f64_e32 v[152:153], v[152:153], v[156:157]
	s_wait_loadcnt_dscnt 0xa00
	v_mul_f64_e32 v[156:157], v[112:113], v[110:111]
	v_mul_f64_e32 v[110:111], v[114:115], v[110:111]
	v_fmac_f64_e32 v[158:159], v[6:7], v[120:121]
	v_fma_f64 v[160:161], v[4:5], v[120:121], -v[122:123]
	ds_load_b128 v[4:7], v2 offset:1120
	ds_load_b128 v[120:123], v2 offset:1136
	v_add_f64_e32 v[162:163], v[130:131], v[128:129]
	v_add_f64_e32 v[152:153], v[152:153], v[154:155]
	scratch_load_b128 v[128:131], off, off offset:624
	s_wait_loadcnt_dscnt 0xa01
	v_mul_f64_e32 v[154:155], v[4:5], v[134:135]
	v_mul_f64_e32 v[134:135], v[6:7], v[134:135]
	v_fmac_f64_e32 v[156:157], v[114:115], v[108:109]
	v_fma_f64 v[112:113], v[112:113], v[108:109], -v[110:111]
	scratch_load_b128 v[108:111], off, off offset:640
	v_add_f64_e32 v[114:115], v[162:163], v[160:161]
	v_add_f64_e32 v[152:153], v[152:153], v[158:159]
	s_wait_loadcnt_dscnt 0xa00
	v_mul_f64_e32 v[158:159], v[120:121], v[118:119]
	v_mul_f64_e32 v[118:119], v[122:123], v[118:119]
	v_fmac_f64_e32 v[154:155], v[6:7], v[132:133]
	v_fma_f64 v[132:133], v[4:5], v[132:133], -v[134:135]
	v_add_f64_e32 v[134:135], v[114:115], v[112:113]
	v_add_f64_e32 v[152:153], v[152:153], v[156:157]
	ds_load_b128 v[4:7], v2 offset:1152
	ds_load_b128 v[112:115], v2 offset:1168
	v_fmac_f64_e32 v[158:159], v[122:123], v[116:117]
	v_fma_f64 v[116:117], v[120:121], v[116:117], -v[118:119]
	s_wait_loadcnt_dscnt 0x901
	v_mul_f64_e32 v[156:157], v[4:5], v[150:151]
	v_mul_f64_e32 v[150:151], v[6:7], v[150:151]
	s_wait_loadcnt_dscnt 0x800
	v_mul_f64_e32 v[122:123], v[112:113], v[10:11]
	v_mul_f64_e32 v[10:11], v[114:115], v[10:11]
	v_add_f64_e32 v[118:119], v[134:135], v[132:133]
	v_add_f64_e32 v[120:121], v[152:153], v[154:155]
	v_fmac_f64_e32 v[156:157], v[6:7], v[148:149]
	v_fma_f64 v[132:133], v[4:5], v[148:149], -v[150:151]
	v_fmac_f64_e32 v[122:123], v[114:115], v[8:9]
	v_fma_f64 v[8:9], v[112:113], v[8:9], -v[10:11]
	v_add_f64_e32 v[134:135], v[118:119], v[116:117]
	v_add_f64_e32 v[120:121], v[120:121], v[158:159]
	ds_load_b128 v[4:7], v2 offset:1184
	ds_load_b128 v[116:119], v2 offset:1200
	s_wait_loadcnt_dscnt 0x701
	v_mul_f64_e32 v[148:149], v[4:5], v[138:139]
	v_mul_f64_e32 v[138:139], v[6:7], v[138:139]
	s_wait_loadcnt_dscnt 0x600
	v_mul_f64_e32 v[114:115], v[116:117], v[18:19]
	v_mul_f64_e32 v[18:19], v[118:119], v[18:19]
	v_add_f64_e32 v[10:11], v[134:135], v[132:133]
	v_add_f64_e32 v[112:113], v[120:121], v[156:157]
	v_fmac_f64_e32 v[148:149], v[6:7], v[136:137]
	v_fma_f64 v[120:121], v[4:5], v[136:137], -v[138:139]
	v_fmac_f64_e32 v[114:115], v[118:119], v[16:17]
	v_fma_f64 v[16:17], v[116:117], v[16:17], -v[18:19]
	v_add_f64_e32 v[132:133], v[10:11], v[8:9]
	v_add_f64_e32 v[112:113], v[112:113], v[122:123]
	ds_load_b128 v[4:7], v2 offset:1216
	ds_load_b128 v[8:11], v2 offset:1232
	;; [unrolled: 16-line block ×3, first 2 shown]
	s_wait_loadcnt_dscnt 0x301
	v_mul_f64_e32 v[114:115], v[4:5], v[126:127]
	v_mul_f64_e32 v[126:127], v[6:7], v[126:127]
	v_add_f64_e32 v[10:11], v[18:19], v[120:121]
	v_add_f64_e32 v[12:13], v[112:113], v[122:123]
	s_wait_loadcnt_dscnt 0x200
	v_mul_f64_e32 v[18:19], v[14:15], v[22:23]
	v_mul_f64_e32 v[22:23], v[16:17], v[22:23]
	v_fmac_f64_e32 v[114:115], v[6:7], v[124:125]
	v_fma_f64 v[112:113], v[4:5], v[124:125], -v[126:127]
	v_add_f64_e32 v[118:119], v[10:11], v[8:9]
	v_add_f64_e32 v[12:13], v[12:13], v[116:117]
	ds_load_b128 v[4:7], v2 offset:1280
	ds_load_b128 v[8:11], v2 offset:1296
	v_fmac_f64_e32 v[18:19], v[16:17], v[20:21]
	v_fma_f64 v[14:15], v[14:15], v[20:21], -v[22:23]
	s_wait_loadcnt_dscnt 0x101
	v_mul_f64_e32 v[2:3], v[4:5], v[130:131]
	v_mul_f64_e32 v[116:117], v[6:7], v[130:131]
	s_wait_loadcnt_dscnt 0x0
	v_mul_f64_e32 v[20:21], v[8:9], v[110:111]
	v_mul_f64_e32 v[22:23], v[10:11], v[110:111]
	v_add_f64_e32 v[16:17], v[118:119], v[112:113]
	v_add_f64_e32 v[12:13], v[12:13], v[114:115]
	v_fmac_f64_e32 v[2:3], v[6:7], v[128:129]
	v_fma_f64 v[4:5], v[4:5], v[128:129], -v[116:117]
	v_fmac_f64_e32 v[20:21], v[10:11], v[108:109]
	v_fma_f64 v[8:9], v[8:9], v[108:109], -v[22:23]
	v_add_f64_e32 v[6:7], v[16:17], v[14:15]
	v_add_f64_e32 v[12:13], v[12:13], v[18:19]
	s_delay_alu instid0(VALU_DEP_2) | instskip(NEXT) | instid1(VALU_DEP_2)
	v_add_f64_e32 v[4:5], v[6:7], v[4:5]
	v_add_f64_e32 v[2:3], v[12:13], v[2:3]
	s_delay_alu instid0(VALU_DEP_2) | instskip(NEXT) | instid1(VALU_DEP_2)
	;; [unrolled: 3-line block ×3, first 2 shown]
	v_add_f64_e64 v[2:3], v[140:141], -v[4:5]
	v_add_f64_e64 v[4:5], v[142:143], -v[6:7]
	scratch_store_b128 off, v[2:5], off offset:96
	s_wait_xcnt 0x0
	v_cmpx_lt_u32_e32 5, v1
	s_cbranch_execz .LBB40_249
; %bb.248:
	scratch_load_b128 v[2:5], off, s44
	v_mov_b32_e32 v6, 0
	s_delay_alu instid0(VALU_DEP_1)
	v_dual_mov_b32 v7, v6 :: v_dual_mov_b32 v8, v6
	v_mov_b32_e32 v9, v6
	scratch_store_b128 off, v[6:9], off offset:80
	s_wait_loadcnt 0x0
	ds_store_b128 v106, v[2:5]
.LBB40_249:
	s_wait_xcnt 0x0
	s_or_b32 exec_lo, exec_lo, s2
	s_wait_storecnt_dscnt 0x0
	s_barrier_signal -1
	s_barrier_wait -1
	s_clause 0x9
	scratch_load_b128 v[4:7], off, off offset:96
	scratch_load_b128 v[8:11], off, off offset:112
	;; [unrolled: 1-line block ×10, first 2 shown]
	v_mov_b32_e32 v2, 0
	s_mov_b32 s2, exec_lo
	ds_load_b128 v[128:131], v2 offset:752
	s_clause 0x2
	scratch_load_b128 v[132:135], off, off offset:256
	scratch_load_b128 v[136:139], off, off offset:80
	;; [unrolled: 1-line block ×3, first 2 shown]
	s_wait_loadcnt_dscnt 0xc00
	v_mul_f64_e32 v[148:149], v[130:131], v[6:7]
	v_mul_f64_e32 v[152:153], v[128:129], v[6:7]
	ds_load_b128 v[140:143], v2 offset:768
	v_fma_f64 v[156:157], v[128:129], v[4:5], -v[148:149]
	v_fmac_f64_e32 v[152:153], v[130:131], v[4:5]
	ds_load_b128 v[4:7], v2 offset:784
	s_wait_loadcnt_dscnt 0xb01
	v_mul_f64_e32 v[154:155], v[140:141], v[10:11]
	v_mul_f64_e32 v[10:11], v[142:143], v[10:11]
	scratch_load_b128 v[128:131], off, off offset:288
	ds_load_b128 v[148:151], v2 offset:800
	s_wait_loadcnt_dscnt 0xb01
	v_mul_f64_e32 v[158:159], v[4:5], v[14:15]
	v_mul_f64_e32 v[14:15], v[6:7], v[14:15]
	v_add_f64_e32 v[152:153], 0, v[152:153]
	v_fmac_f64_e32 v[154:155], v[142:143], v[8:9]
	v_fma_f64 v[140:141], v[140:141], v[8:9], -v[10:11]
	v_add_f64_e32 v[142:143], 0, v[156:157]
	scratch_load_b128 v[8:11], off, off offset:304
	v_fmac_f64_e32 v[158:159], v[6:7], v[12:13]
	v_fma_f64 v[160:161], v[4:5], v[12:13], -v[14:15]
	ds_load_b128 v[4:7], v2 offset:816
	s_wait_loadcnt_dscnt 0xb01
	v_mul_f64_e32 v[156:157], v[148:149], v[18:19]
	v_mul_f64_e32 v[18:19], v[150:151], v[18:19]
	scratch_load_b128 v[12:15], off, off offset:320
	v_add_f64_e32 v[152:153], v[152:153], v[154:155]
	v_add_f64_e32 v[162:163], v[142:143], v[140:141]
	ds_load_b128 v[140:143], v2 offset:832
	s_wait_loadcnt_dscnt 0xb01
	v_mul_f64_e32 v[154:155], v[4:5], v[22:23]
	v_mul_f64_e32 v[22:23], v[6:7], v[22:23]
	v_fmac_f64_e32 v[156:157], v[150:151], v[16:17]
	v_fma_f64 v[148:149], v[148:149], v[16:17], -v[18:19]
	scratch_load_b128 v[16:19], off, off offset:336
	v_add_f64_e32 v[152:153], v[152:153], v[158:159]
	v_add_f64_e32 v[150:151], v[162:163], v[160:161]
	v_fmac_f64_e32 v[154:155], v[6:7], v[20:21]
	v_fma_f64 v[160:161], v[4:5], v[20:21], -v[22:23]
	ds_load_b128 v[4:7], v2 offset:848
	s_wait_loadcnt_dscnt 0xb01
	v_mul_f64_e32 v[158:159], v[140:141], v[110:111]
	v_mul_f64_e32 v[110:111], v[142:143], v[110:111]
	scratch_load_b128 v[20:23], off, off offset:352
	v_add_f64_e32 v[152:153], v[152:153], v[156:157]
	s_wait_loadcnt_dscnt 0xb00
	v_mul_f64_e32 v[156:157], v[4:5], v[114:115]
	v_add_f64_e32 v[162:163], v[150:151], v[148:149]
	v_mul_f64_e32 v[114:115], v[6:7], v[114:115]
	ds_load_b128 v[148:151], v2 offset:864
	v_fmac_f64_e32 v[158:159], v[142:143], v[108:109]
	v_fma_f64 v[140:141], v[140:141], v[108:109], -v[110:111]
	scratch_load_b128 v[108:111], off, off offset:368
	v_add_f64_e32 v[152:153], v[152:153], v[154:155]
	v_fmac_f64_e32 v[156:157], v[6:7], v[112:113]
	v_add_f64_e32 v[142:143], v[162:163], v[160:161]
	v_fma_f64 v[160:161], v[4:5], v[112:113], -v[114:115]
	ds_load_b128 v[4:7], v2 offset:880
	s_wait_loadcnt_dscnt 0xb01
	v_mul_f64_e32 v[154:155], v[148:149], v[118:119]
	v_mul_f64_e32 v[118:119], v[150:151], v[118:119]
	scratch_load_b128 v[112:115], off, off offset:384
	v_add_f64_e32 v[152:153], v[152:153], v[158:159]
	s_wait_loadcnt_dscnt 0xb00
	v_mul_f64_e32 v[158:159], v[4:5], v[122:123]
	v_add_f64_e32 v[162:163], v[142:143], v[140:141]
	v_mul_f64_e32 v[122:123], v[6:7], v[122:123]
	ds_load_b128 v[140:143], v2 offset:896
	v_fmac_f64_e32 v[154:155], v[150:151], v[116:117]
	v_fma_f64 v[148:149], v[148:149], v[116:117], -v[118:119]
	scratch_load_b128 v[116:119], off, off offset:400
	v_add_f64_e32 v[152:153], v[152:153], v[156:157]
	v_fmac_f64_e32 v[158:159], v[6:7], v[120:121]
	v_add_f64_e32 v[150:151], v[162:163], v[160:161]
	;; [unrolled: 18-line block ×3, first 2 shown]
	v_fma_f64 v[160:161], v[4:5], v[132:133], -v[134:135]
	ds_load_b128 v[4:7], v2 offset:944
	s_wait_loadcnt_dscnt 0xa01
	v_mul_f64_e32 v[158:159], v[148:149], v[146:147]
	v_mul_f64_e32 v[146:147], v[150:151], v[146:147]
	scratch_load_b128 v[132:135], off, off offset:448
	v_add_f64_e32 v[152:153], v[152:153], v[156:157]
	v_add_f64_e32 v[162:163], v[142:143], v[140:141]
	s_wait_loadcnt_dscnt 0xa00
	v_mul_f64_e32 v[156:157], v[4:5], v[130:131]
	v_mul_f64_e32 v[130:131], v[6:7], v[130:131]
	v_fmac_f64_e32 v[158:159], v[150:151], v[144:145]
	v_fma_f64 v[148:149], v[148:149], v[144:145], -v[146:147]
	ds_load_b128 v[140:143], v2 offset:960
	scratch_load_b128 v[144:147], off, off offset:464
	v_add_f64_e32 v[152:153], v[152:153], v[154:155]
	v_add_f64_e32 v[150:151], v[162:163], v[160:161]
	v_fmac_f64_e32 v[156:157], v[6:7], v[128:129]
	v_fma_f64 v[160:161], v[4:5], v[128:129], -v[130:131]
	ds_load_b128 v[4:7], v2 offset:976
	s_wait_loadcnt_dscnt 0xa01
	v_mul_f64_e32 v[154:155], v[140:141], v[10:11]
	v_mul_f64_e32 v[10:11], v[142:143], v[10:11]
	scratch_load_b128 v[128:131], off, off offset:480
	v_add_f64_e32 v[152:153], v[152:153], v[158:159]
	s_wait_loadcnt_dscnt 0xa00
	v_mul_f64_e32 v[158:159], v[4:5], v[14:15]
	v_add_f64_e32 v[162:163], v[150:151], v[148:149]
	v_mul_f64_e32 v[14:15], v[6:7], v[14:15]
	ds_load_b128 v[148:151], v2 offset:992
	v_fmac_f64_e32 v[154:155], v[142:143], v[8:9]
	v_fma_f64 v[140:141], v[140:141], v[8:9], -v[10:11]
	scratch_load_b128 v[8:11], off, off offset:496
	v_add_f64_e32 v[152:153], v[152:153], v[156:157]
	v_fmac_f64_e32 v[158:159], v[6:7], v[12:13]
	v_add_f64_e32 v[142:143], v[162:163], v[160:161]
	v_fma_f64 v[160:161], v[4:5], v[12:13], -v[14:15]
	ds_load_b128 v[4:7], v2 offset:1008
	s_wait_loadcnt_dscnt 0xa01
	v_mul_f64_e32 v[156:157], v[148:149], v[18:19]
	v_mul_f64_e32 v[18:19], v[150:151], v[18:19]
	scratch_load_b128 v[12:15], off, off offset:512
	v_add_f64_e32 v[152:153], v[152:153], v[154:155]
	s_wait_loadcnt_dscnt 0xa00
	v_mul_f64_e32 v[154:155], v[4:5], v[22:23]
	v_add_f64_e32 v[162:163], v[142:143], v[140:141]
	v_mul_f64_e32 v[22:23], v[6:7], v[22:23]
	ds_load_b128 v[140:143], v2 offset:1024
	v_fmac_f64_e32 v[156:157], v[150:151], v[16:17]
	v_fma_f64 v[148:149], v[148:149], v[16:17], -v[18:19]
	scratch_load_b128 v[16:19], off, off offset:528
	v_add_f64_e32 v[152:153], v[152:153], v[158:159]
	v_fmac_f64_e32 v[154:155], v[6:7], v[20:21]
	v_add_f64_e32 v[150:151], v[162:163], v[160:161]
	;; [unrolled: 18-line block ×5, first 2 shown]
	v_fma_f64 v[160:161], v[4:5], v[132:133], -v[134:135]
	ds_load_b128 v[4:7], v2 offset:1136
	s_wait_loadcnt_dscnt 0xa01
	v_mul_f64_e32 v[158:159], v[148:149], v[146:147]
	v_mul_f64_e32 v[146:147], v[150:151], v[146:147]
	scratch_load_b128 v[132:135], off, off offset:640
	v_add_f64_e32 v[152:153], v[152:153], v[156:157]
	s_wait_loadcnt_dscnt 0xa00
	v_mul_f64_e32 v[156:157], v[4:5], v[130:131]
	v_add_f64_e32 v[162:163], v[142:143], v[140:141]
	v_mul_f64_e32 v[130:131], v[6:7], v[130:131]
	ds_load_b128 v[140:143], v2 offset:1152
	v_fmac_f64_e32 v[158:159], v[150:151], v[144:145]
	v_fma_f64 v[144:145], v[148:149], v[144:145], -v[146:147]
	s_wait_loadcnt_dscnt 0x900
	v_mul_f64_e32 v[150:151], v[140:141], v[10:11]
	v_mul_f64_e32 v[10:11], v[142:143], v[10:11]
	v_add_f64_e32 v[148:149], v[152:153], v[154:155]
	v_fmac_f64_e32 v[156:157], v[6:7], v[128:129]
	v_add_f64_e32 v[146:147], v[162:163], v[160:161]
	v_fma_f64 v[152:153], v[4:5], v[128:129], -v[130:131]
	ds_load_b128 v[4:7], v2 offset:1168
	ds_load_b128 v[128:131], v2 offset:1184
	v_fmac_f64_e32 v[150:151], v[142:143], v[8:9]
	v_fma_f64 v[8:9], v[140:141], v[8:9], -v[10:11]
	v_add_f64_e32 v[144:145], v[146:147], v[144:145]
	v_add_f64_e32 v[146:147], v[148:149], v[158:159]
	s_wait_loadcnt_dscnt 0x801
	v_mul_f64_e32 v[148:149], v[4:5], v[14:15]
	v_mul_f64_e32 v[14:15], v[6:7], v[14:15]
	s_wait_loadcnt_dscnt 0x700
	v_mul_f64_e32 v[142:143], v[128:129], v[18:19]
	v_mul_f64_e32 v[18:19], v[130:131], v[18:19]
	v_add_f64_e32 v[10:11], v[144:145], v[152:153]
	v_add_f64_e32 v[140:141], v[146:147], v[156:157]
	v_fmac_f64_e32 v[148:149], v[6:7], v[12:13]
	v_fma_f64 v[12:13], v[4:5], v[12:13], -v[14:15]
	v_fmac_f64_e32 v[142:143], v[130:131], v[16:17]
	v_fma_f64 v[16:17], v[128:129], v[16:17], -v[18:19]
	v_add_f64_e32 v[14:15], v[10:11], v[8:9]
	v_add_f64_e32 v[140:141], v[140:141], v[150:151]
	ds_load_b128 v[4:7], v2 offset:1200
	ds_load_b128 v[8:11], v2 offset:1216
	s_wait_loadcnt_dscnt 0x601
	v_mul_f64_e32 v[144:145], v[4:5], v[22:23]
	v_mul_f64_e32 v[22:23], v[6:7], v[22:23]
	s_wait_loadcnt_dscnt 0x500
	v_mul_f64_e32 v[18:19], v[8:9], v[110:111]
	v_mul_f64_e32 v[110:111], v[10:11], v[110:111]
	v_add_f64_e32 v[12:13], v[14:15], v[12:13]
	v_add_f64_e32 v[14:15], v[140:141], v[148:149]
	v_fmac_f64_e32 v[144:145], v[6:7], v[20:21]
	v_fma_f64 v[20:21], v[4:5], v[20:21], -v[22:23]
	v_fmac_f64_e32 v[18:19], v[10:11], v[108:109]
	v_fma_f64 v[8:9], v[8:9], v[108:109], -v[110:111]
	v_add_f64_e32 v[16:17], v[12:13], v[16:17]
	v_add_f64_e32 v[22:23], v[14:15], v[142:143]
	ds_load_b128 v[4:7], v2 offset:1232
	ds_load_b128 v[12:15], v2 offset:1248
	s_wait_loadcnt_dscnt 0x401
	v_mul_f64_e32 v[128:129], v[4:5], v[114:115]
	v_mul_f64_e32 v[114:115], v[6:7], v[114:115]
	v_add_f64_e32 v[10:11], v[16:17], v[20:21]
	v_add_f64_e32 v[16:17], v[22:23], v[144:145]
	s_wait_loadcnt_dscnt 0x300
	v_mul_f64_e32 v[20:21], v[12:13], v[118:119]
	v_mul_f64_e32 v[22:23], v[14:15], v[118:119]
	v_fmac_f64_e32 v[128:129], v[6:7], v[112:113]
	v_fma_f64 v[108:109], v[4:5], v[112:113], -v[114:115]
	v_add_f64_e32 v[110:111], v[10:11], v[8:9]
	v_add_f64_e32 v[16:17], v[16:17], v[18:19]
	ds_load_b128 v[4:7], v2 offset:1264
	ds_load_b128 v[8:11], v2 offset:1280
	v_fmac_f64_e32 v[20:21], v[14:15], v[116:117]
	v_fma_f64 v[12:13], v[12:13], v[116:117], -v[22:23]
	s_wait_loadcnt_dscnt 0x201
	v_mul_f64_e32 v[18:19], v[4:5], v[122:123]
	v_mul_f64_e32 v[112:113], v[6:7], v[122:123]
	s_wait_loadcnt_dscnt 0x100
	v_mul_f64_e32 v[22:23], v[8:9], v[126:127]
	v_add_f64_e32 v[14:15], v[110:111], v[108:109]
	v_add_f64_e32 v[16:17], v[16:17], v[128:129]
	v_mul_f64_e32 v[108:109], v[10:11], v[126:127]
	v_fmac_f64_e32 v[18:19], v[6:7], v[120:121]
	v_fma_f64 v[110:111], v[4:5], v[120:121], -v[112:113]
	ds_load_b128 v[4:7], v2 offset:1296
	v_fmac_f64_e32 v[22:23], v[10:11], v[124:125]
	v_add_f64_e32 v[12:13], v[14:15], v[12:13]
	v_add_f64_e32 v[14:15], v[16:17], v[20:21]
	v_fma_f64 v[8:9], v[8:9], v[124:125], -v[108:109]
	s_wait_loadcnt_dscnt 0x0
	v_mul_f64_e32 v[16:17], v[4:5], v[134:135]
	v_mul_f64_e32 v[20:21], v[6:7], v[134:135]
	v_add_f64_e32 v[10:11], v[12:13], v[110:111]
	v_add_f64_e32 v[12:13], v[14:15], v[18:19]
	s_delay_alu instid0(VALU_DEP_4) | instskip(NEXT) | instid1(VALU_DEP_4)
	v_fmac_f64_e32 v[16:17], v[6:7], v[132:133]
	v_fma_f64 v[4:5], v[4:5], v[132:133], -v[20:21]
	s_delay_alu instid0(VALU_DEP_4) | instskip(NEXT) | instid1(VALU_DEP_4)
	v_add_f64_e32 v[6:7], v[10:11], v[8:9]
	v_add_f64_e32 v[8:9], v[12:13], v[22:23]
	s_delay_alu instid0(VALU_DEP_2) | instskip(NEXT) | instid1(VALU_DEP_2)
	v_add_f64_e32 v[4:5], v[6:7], v[4:5]
	v_add_f64_e32 v[6:7], v[8:9], v[16:17]
	s_delay_alu instid0(VALU_DEP_2) | instskip(NEXT) | instid1(VALU_DEP_2)
	v_add_f64_e64 v[4:5], v[136:137], -v[4:5]
	v_add_f64_e64 v[6:7], v[138:139], -v[6:7]
	scratch_store_b128 off, v[4:7], off offset:80
	s_wait_xcnt 0x0
	v_cmpx_lt_u32_e32 4, v1
	s_cbranch_execz .LBB40_251
; %bb.250:
	scratch_load_b128 v[6:9], off, s40
	v_dual_mov_b32 v3, v2 :: v_dual_mov_b32 v4, v2
	v_mov_b32_e32 v5, v2
	scratch_store_b128 off, v[2:5], off offset:64
	s_wait_loadcnt 0x0
	ds_store_b128 v106, v[6:9]
.LBB40_251:
	s_wait_xcnt 0x0
	s_or_b32 exec_lo, exec_lo, s2
	s_wait_storecnt_dscnt 0x0
	s_barrier_signal -1
	s_barrier_wait -1
	s_clause 0x9
	scratch_load_b128 v[4:7], off, off offset:80
	scratch_load_b128 v[8:11], off, off offset:96
	;; [unrolled: 1-line block ×10, first 2 shown]
	ds_load_b128 v[128:131], v2 offset:736
	ds_load_b128 v[136:139], v2 offset:752
	s_clause 0x2
	scratch_load_b128 v[132:135], off, off offset:240
	scratch_load_b128 v[140:143], off, off offset:64
	;; [unrolled: 1-line block ×3, first 2 shown]
	s_mov_b32 s2, exec_lo
	s_wait_loadcnt_dscnt 0xc01
	v_mul_f64_e32 v[148:149], v[130:131], v[6:7]
	v_mul_f64_e32 v[152:153], v[128:129], v[6:7]
	s_wait_loadcnt_dscnt 0xb00
	v_mul_f64_e32 v[154:155], v[136:137], v[10:11]
	v_mul_f64_e32 v[10:11], v[138:139], v[10:11]
	s_delay_alu instid0(VALU_DEP_4) | instskip(NEXT) | instid1(VALU_DEP_4)
	v_fma_f64 v[156:157], v[128:129], v[4:5], -v[148:149]
	v_fmac_f64_e32 v[152:153], v[130:131], v[4:5]
	ds_load_b128 v[4:7], v2 offset:768
	ds_load_b128 v[128:131], v2 offset:784
	scratch_load_b128 v[148:151], off, off offset:272
	v_fmac_f64_e32 v[154:155], v[138:139], v[8:9]
	v_fma_f64 v[136:137], v[136:137], v[8:9], -v[10:11]
	scratch_load_b128 v[8:11], off, off offset:288
	s_wait_loadcnt_dscnt 0xc01
	v_mul_f64_e32 v[158:159], v[4:5], v[14:15]
	v_mul_f64_e32 v[14:15], v[6:7], v[14:15]
	v_add_f64_e32 v[138:139], 0, v[156:157]
	v_add_f64_e32 v[152:153], 0, v[152:153]
	s_wait_loadcnt_dscnt 0xb00
	v_mul_f64_e32 v[156:157], v[128:129], v[18:19]
	v_mul_f64_e32 v[18:19], v[130:131], v[18:19]
	v_fmac_f64_e32 v[158:159], v[6:7], v[12:13]
	v_fma_f64 v[160:161], v[4:5], v[12:13], -v[14:15]
	ds_load_b128 v[4:7], v2 offset:800
	ds_load_b128 v[12:15], v2 offset:816
	v_add_f64_e32 v[162:163], v[138:139], v[136:137]
	v_add_f64_e32 v[152:153], v[152:153], v[154:155]
	scratch_load_b128 v[136:139], off, off offset:304
	v_fmac_f64_e32 v[156:157], v[130:131], v[16:17]
	v_fma_f64 v[128:129], v[128:129], v[16:17], -v[18:19]
	scratch_load_b128 v[16:19], off, off offset:320
	s_wait_loadcnt_dscnt 0xc01
	v_mul_f64_e32 v[154:155], v[4:5], v[22:23]
	v_mul_f64_e32 v[22:23], v[6:7], v[22:23]
	v_add_f64_e32 v[130:131], v[162:163], v[160:161]
	v_add_f64_e32 v[152:153], v[152:153], v[158:159]
	s_wait_loadcnt_dscnt 0xb00
	v_mul_f64_e32 v[158:159], v[12:13], v[110:111]
	v_mul_f64_e32 v[110:111], v[14:15], v[110:111]
	v_fmac_f64_e32 v[154:155], v[6:7], v[20:21]
	v_fma_f64 v[160:161], v[4:5], v[20:21], -v[22:23]
	ds_load_b128 v[4:7], v2 offset:832
	ds_load_b128 v[20:23], v2 offset:848
	v_add_f64_e32 v[162:163], v[130:131], v[128:129]
	v_add_f64_e32 v[152:153], v[152:153], v[156:157]
	scratch_load_b128 v[128:131], off, off offset:336
	s_wait_loadcnt_dscnt 0xb01
	v_mul_f64_e32 v[156:157], v[4:5], v[114:115]
	v_mul_f64_e32 v[114:115], v[6:7], v[114:115]
	v_fmac_f64_e32 v[158:159], v[14:15], v[108:109]
	v_fma_f64 v[108:109], v[12:13], v[108:109], -v[110:111]
	scratch_load_b128 v[12:15], off, off offset:352
	v_add_f64_e32 v[110:111], v[162:163], v[160:161]
	v_add_f64_e32 v[152:153], v[152:153], v[154:155]
	s_wait_loadcnt_dscnt 0xb00
	v_mul_f64_e32 v[154:155], v[20:21], v[118:119]
	v_mul_f64_e32 v[118:119], v[22:23], v[118:119]
	v_fmac_f64_e32 v[156:157], v[6:7], v[112:113]
	v_fma_f64 v[160:161], v[4:5], v[112:113], -v[114:115]
	v_add_f64_e32 v[162:163], v[110:111], v[108:109]
	v_add_f64_e32 v[152:153], v[152:153], v[158:159]
	ds_load_b128 v[4:7], v2 offset:864
	ds_load_b128 v[108:111], v2 offset:880
	scratch_load_b128 v[112:115], off, off offset:368
	v_fmac_f64_e32 v[154:155], v[22:23], v[116:117]
	v_fma_f64 v[116:117], v[20:21], v[116:117], -v[118:119]
	scratch_load_b128 v[20:23], off, off offset:384
	s_wait_loadcnt_dscnt 0xc01
	v_mul_f64_e32 v[158:159], v[4:5], v[122:123]
	v_mul_f64_e32 v[122:123], v[6:7], v[122:123]
	v_add_f64_e32 v[118:119], v[162:163], v[160:161]
	v_add_f64_e32 v[152:153], v[152:153], v[156:157]
	s_wait_loadcnt_dscnt 0xb00
	v_mul_f64_e32 v[156:157], v[108:109], v[126:127]
	v_mul_f64_e32 v[126:127], v[110:111], v[126:127]
	v_fmac_f64_e32 v[158:159], v[6:7], v[120:121]
	v_fma_f64 v[160:161], v[4:5], v[120:121], -v[122:123]
	v_add_f64_e32 v[162:163], v[118:119], v[116:117]
	v_add_f64_e32 v[152:153], v[152:153], v[154:155]
	ds_load_b128 v[4:7], v2 offset:896
	ds_load_b128 v[116:119], v2 offset:912
	scratch_load_b128 v[120:123], off, off offset:400
	v_fmac_f64_e32 v[156:157], v[110:111], v[124:125]
	v_fma_f64 v[124:125], v[108:109], v[124:125], -v[126:127]
	scratch_load_b128 v[108:111], off, off offset:416
	s_wait_loadcnt_dscnt 0xc01
	v_mul_f64_e32 v[154:155], v[4:5], v[134:135]
	v_mul_f64_e32 v[134:135], v[6:7], v[134:135]
	;; [unrolled: 18-line block ×5, first 2 shown]
	v_add_f64_e32 v[146:147], v[162:163], v[160:161]
	v_add_f64_e32 v[152:153], v[152:153], v[158:159]
	s_wait_loadcnt_dscnt 0xa00
	v_mul_f64_e32 v[158:159], v[124:125], v[14:15]
	v_mul_f64_e32 v[14:15], v[126:127], v[14:15]
	v_fmac_f64_e32 v[154:155], v[6:7], v[128:129]
	v_fma_f64 v[160:161], v[4:5], v[128:129], -v[130:131]
	ds_load_b128 v[4:7], v2 offset:1024
	ds_load_b128 v[128:131], v2 offset:1040
	v_add_f64_e32 v[162:163], v[146:147], v[144:145]
	v_add_f64_e32 v[152:153], v[152:153], v[156:157]
	scratch_load_b128 v[144:147], off, off offset:528
	v_fmac_f64_e32 v[158:159], v[126:127], v[12:13]
	v_fma_f64 v[124:125], v[124:125], v[12:13], -v[14:15]
	scratch_load_b128 v[12:15], off, off offset:544
	s_wait_loadcnt_dscnt 0xb01
	v_mul_f64_e32 v[156:157], v[4:5], v[114:115]
	v_mul_f64_e32 v[114:115], v[6:7], v[114:115]
	v_add_f64_e32 v[126:127], v[162:163], v[160:161]
	v_add_f64_e32 v[152:153], v[152:153], v[154:155]
	s_wait_loadcnt_dscnt 0xa00
	v_mul_f64_e32 v[154:155], v[128:129], v[22:23]
	v_mul_f64_e32 v[22:23], v[130:131], v[22:23]
	v_fmac_f64_e32 v[156:157], v[6:7], v[112:113]
	v_fma_f64 v[160:161], v[4:5], v[112:113], -v[114:115]
	ds_load_b128 v[4:7], v2 offset:1056
	ds_load_b128 v[112:115], v2 offset:1072
	v_add_f64_e32 v[162:163], v[126:127], v[124:125]
	v_add_f64_e32 v[152:153], v[152:153], v[158:159]
	scratch_load_b128 v[124:127], off, off offset:560
	s_wait_loadcnt_dscnt 0xa01
	v_mul_f64_e32 v[158:159], v[4:5], v[122:123]
	v_mul_f64_e32 v[122:123], v[6:7], v[122:123]
	v_fmac_f64_e32 v[154:155], v[130:131], v[20:21]
	v_fma_f64 v[128:129], v[128:129], v[20:21], -v[22:23]
	scratch_load_b128 v[20:23], off, off offset:576
	v_add_f64_e32 v[130:131], v[162:163], v[160:161]
	v_add_f64_e32 v[152:153], v[152:153], v[156:157]
	s_wait_loadcnt_dscnt 0xa00
	v_mul_f64_e32 v[156:157], v[112:113], v[110:111]
	v_mul_f64_e32 v[110:111], v[114:115], v[110:111]
	v_fmac_f64_e32 v[158:159], v[6:7], v[120:121]
	v_fma_f64 v[160:161], v[4:5], v[120:121], -v[122:123]
	ds_load_b128 v[4:7], v2 offset:1088
	ds_load_b128 v[120:123], v2 offset:1104
	v_add_f64_e32 v[162:163], v[130:131], v[128:129]
	v_add_f64_e32 v[152:153], v[152:153], v[154:155]
	scratch_load_b128 v[128:131], off, off offset:592
	s_wait_loadcnt_dscnt 0xa01
	v_mul_f64_e32 v[154:155], v[4:5], v[134:135]
	v_mul_f64_e32 v[134:135], v[6:7], v[134:135]
	v_fmac_f64_e32 v[156:157], v[114:115], v[108:109]
	v_fma_f64 v[112:113], v[112:113], v[108:109], -v[110:111]
	scratch_load_b128 v[108:111], off, off offset:608
	v_add_f64_e32 v[114:115], v[162:163], v[160:161]
	v_add_f64_e32 v[152:153], v[152:153], v[158:159]
	s_wait_loadcnt_dscnt 0xa00
	v_mul_f64_e32 v[158:159], v[120:121], v[118:119]
	v_mul_f64_e32 v[118:119], v[122:123], v[118:119]
	v_fmac_f64_e32 v[154:155], v[6:7], v[132:133]
	v_fma_f64 v[160:161], v[4:5], v[132:133], -v[134:135]
	v_add_f64_e32 v[162:163], v[114:115], v[112:113]
	v_add_f64_e32 v[152:153], v[152:153], v[156:157]
	ds_load_b128 v[4:7], v2 offset:1120
	ds_load_b128 v[112:115], v2 offset:1136
	scratch_load_b128 v[132:135], off, off offset:624
	v_fmac_f64_e32 v[158:159], v[122:123], v[116:117]
	v_fma_f64 v[120:121], v[120:121], v[116:117], -v[118:119]
	scratch_load_b128 v[116:119], off, off offset:640
	s_wait_loadcnt_dscnt 0xb01
	v_mul_f64_e32 v[156:157], v[4:5], v[150:151]
	v_mul_f64_e32 v[150:151], v[6:7], v[150:151]
	v_add_f64_e32 v[122:123], v[162:163], v[160:161]
	v_add_f64_e32 v[152:153], v[152:153], v[154:155]
	s_wait_loadcnt_dscnt 0xa00
	v_mul_f64_e32 v[154:155], v[112:113], v[10:11]
	v_mul_f64_e32 v[10:11], v[114:115], v[10:11]
	v_fmac_f64_e32 v[156:157], v[6:7], v[148:149]
	v_fma_f64 v[148:149], v[4:5], v[148:149], -v[150:151]
	v_add_f64_e32 v[150:151], v[122:123], v[120:121]
	v_add_f64_e32 v[152:153], v[152:153], v[158:159]
	ds_load_b128 v[4:7], v2 offset:1152
	ds_load_b128 v[120:123], v2 offset:1168
	v_fmac_f64_e32 v[154:155], v[114:115], v[8:9]
	v_fma_f64 v[8:9], v[112:113], v[8:9], -v[10:11]
	s_wait_loadcnt_dscnt 0x901
	v_mul_f64_e32 v[158:159], v[4:5], v[138:139]
	v_mul_f64_e32 v[138:139], v[6:7], v[138:139]
	s_wait_loadcnt_dscnt 0x800
	v_mul_f64_e32 v[114:115], v[120:121], v[18:19]
	v_mul_f64_e32 v[18:19], v[122:123], v[18:19]
	v_add_f64_e32 v[10:11], v[150:151], v[148:149]
	v_add_f64_e32 v[112:113], v[152:153], v[156:157]
	v_fmac_f64_e32 v[158:159], v[6:7], v[136:137]
	v_fma_f64 v[136:137], v[4:5], v[136:137], -v[138:139]
	v_fmac_f64_e32 v[114:115], v[122:123], v[16:17]
	v_fma_f64 v[16:17], v[120:121], v[16:17], -v[18:19]
	v_add_f64_e32 v[138:139], v[10:11], v[8:9]
	v_add_f64_e32 v[112:113], v[112:113], v[154:155]
	ds_load_b128 v[4:7], v2 offset:1184
	ds_load_b128 v[8:11], v2 offset:1200
	s_wait_loadcnt_dscnt 0x701
	v_mul_f64_e32 v[148:149], v[4:5], v[146:147]
	v_mul_f64_e32 v[146:147], v[6:7], v[146:147]
	s_wait_loadcnt_dscnt 0x600
	v_mul_f64_e32 v[120:121], v[8:9], v[14:15]
	v_mul_f64_e32 v[122:123], v[10:11], v[14:15]
	v_add_f64_e32 v[18:19], v[138:139], v[136:137]
	v_add_f64_e32 v[112:113], v[112:113], v[158:159]
	v_fmac_f64_e32 v[148:149], v[6:7], v[144:145]
	v_fma_f64 v[136:137], v[4:5], v[144:145], -v[146:147]
	v_fmac_f64_e32 v[120:121], v[10:11], v[12:13]
	v_fma_f64 v[8:9], v[8:9], v[12:13], -v[122:123]
	v_add_f64_e32 v[18:19], v[18:19], v[16:17]
	v_add_f64_e32 v[112:113], v[112:113], v[114:115]
	ds_load_b128 v[4:7], v2 offset:1216
	ds_load_b128 v[14:17], v2 offset:1232
	s_wait_loadcnt_dscnt 0x501
	v_mul_f64_e32 v[114:115], v[4:5], v[126:127]
	v_mul_f64_e32 v[126:127], v[6:7], v[126:127]
	v_add_f64_e32 v[10:11], v[18:19], v[136:137]
	v_add_f64_e32 v[12:13], v[112:113], v[148:149]
	s_wait_loadcnt_dscnt 0x400
	v_mul_f64_e32 v[18:19], v[14:15], v[22:23]
	v_mul_f64_e32 v[22:23], v[16:17], v[22:23]
	v_fmac_f64_e32 v[114:115], v[6:7], v[124:125]
	v_fma_f64 v[112:113], v[4:5], v[124:125], -v[126:127]
	v_add_f64_e32 v[122:123], v[10:11], v[8:9]
	v_add_f64_e32 v[12:13], v[12:13], v[120:121]
	ds_load_b128 v[4:7], v2 offset:1248
	ds_load_b128 v[8:11], v2 offset:1264
	v_fmac_f64_e32 v[18:19], v[16:17], v[20:21]
	v_fma_f64 v[14:15], v[14:15], v[20:21], -v[22:23]
	s_wait_loadcnt_dscnt 0x301
	v_mul_f64_e32 v[120:121], v[4:5], v[130:131]
	v_mul_f64_e32 v[124:125], v[6:7], v[130:131]
	s_wait_loadcnt_dscnt 0x200
	v_mul_f64_e32 v[20:21], v[8:9], v[110:111]
	v_mul_f64_e32 v[22:23], v[10:11], v[110:111]
	v_add_f64_e32 v[16:17], v[122:123], v[112:113]
	v_add_f64_e32 v[12:13], v[12:13], v[114:115]
	v_fmac_f64_e32 v[120:121], v[6:7], v[128:129]
	v_fma_f64 v[110:111], v[4:5], v[128:129], -v[124:125]
	v_fmac_f64_e32 v[20:21], v[10:11], v[108:109]
	v_fma_f64 v[8:9], v[8:9], v[108:109], -v[22:23]
	v_add_f64_e32 v[16:17], v[16:17], v[14:15]
	v_add_f64_e32 v[18:19], v[12:13], v[18:19]
	ds_load_b128 v[4:7], v2 offset:1280
	ds_load_b128 v[12:15], v2 offset:1296
	s_wait_loadcnt_dscnt 0x101
	v_mul_f64_e32 v[2:3], v[4:5], v[134:135]
	v_mul_f64_e32 v[112:113], v[6:7], v[134:135]
	s_wait_loadcnt_dscnt 0x0
	v_mul_f64_e32 v[22:23], v[14:15], v[118:119]
	v_add_f64_e32 v[10:11], v[16:17], v[110:111]
	v_add_f64_e32 v[16:17], v[18:19], v[120:121]
	v_mul_f64_e32 v[18:19], v[12:13], v[118:119]
	v_fmac_f64_e32 v[2:3], v[6:7], v[132:133]
	v_fma_f64 v[4:5], v[4:5], v[132:133], -v[112:113]
	v_add_f64_e32 v[6:7], v[10:11], v[8:9]
	v_add_f64_e32 v[8:9], v[16:17], v[20:21]
	v_fmac_f64_e32 v[18:19], v[14:15], v[116:117]
	v_fma_f64 v[10:11], v[12:13], v[116:117], -v[22:23]
	s_delay_alu instid0(VALU_DEP_4) | instskip(NEXT) | instid1(VALU_DEP_4)
	v_add_f64_e32 v[4:5], v[6:7], v[4:5]
	v_add_f64_e32 v[2:3], v[8:9], v[2:3]
	s_delay_alu instid0(VALU_DEP_2) | instskip(NEXT) | instid1(VALU_DEP_2)
	v_add_f64_e32 v[4:5], v[4:5], v[10:11]
	v_add_f64_e32 v[6:7], v[2:3], v[18:19]
	s_delay_alu instid0(VALU_DEP_2) | instskip(NEXT) | instid1(VALU_DEP_2)
	v_add_f64_e64 v[2:3], v[140:141], -v[4:5]
	v_add_f64_e64 v[4:5], v[142:143], -v[6:7]
	scratch_store_b128 off, v[2:5], off offset:64
	s_wait_xcnt 0x0
	v_cmpx_lt_u32_e32 3, v1
	s_cbranch_execz .LBB40_253
; %bb.252:
	scratch_load_b128 v[2:5], off, s39
	v_mov_b32_e32 v6, 0
	s_delay_alu instid0(VALU_DEP_1)
	v_dual_mov_b32 v7, v6 :: v_dual_mov_b32 v8, v6
	v_mov_b32_e32 v9, v6
	scratch_store_b128 off, v[6:9], off offset:48
	s_wait_loadcnt 0x0
	ds_store_b128 v106, v[2:5]
.LBB40_253:
	s_wait_xcnt 0x0
	s_or_b32 exec_lo, exec_lo, s2
	s_wait_storecnt_dscnt 0x0
	s_barrier_signal -1
	s_barrier_wait -1
	s_clause 0x9
	scratch_load_b128 v[4:7], off, off offset:64
	scratch_load_b128 v[8:11], off, off offset:80
	;; [unrolled: 1-line block ×10, first 2 shown]
	v_mov_b32_e32 v2, 0
	s_mov_b32 s2, exec_lo
	ds_load_b128 v[128:131], v2 offset:720
	s_clause 0x2
	scratch_load_b128 v[132:135], off, off offset:224
	scratch_load_b128 v[136:139], off, off offset:48
	;; [unrolled: 1-line block ×3, first 2 shown]
	s_wait_loadcnt_dscnt 0xc00
	v_mul_f64_e32 v[148:149], v[130:131], v[6:7]
	v_mul_f64_e32 v[152:153], v[128:129], v[6:7]
	ds_load_b128 v[140:143], v2 offset:736
	v_fma_f64 v[156:157], v[128:129], v[4:5], -v[148:149]
	v_fmac_f64_e32 v[152:153], v[130:131], v[4:5]
	ds_load_b128 v[4:7], v2 offset:752
	s_wait_loadcnt_dscnt 0xb01
	v_mul_f64_e32 v[154:155], v[140:141], v[10:11]
	v_mul_f64_e32 v[10:11], v[142:143], v[10:11]
	scratch_load_b128 v[128:131], off, off offset:256
	ds_load_b128 v[148:151], v2 offset:768
	s_wait_loadcnt_dscnt 0xb01
	v_mul_f64_e32 v[158:159], v[4:5], v[14:15]
	v_mul_f64_e32 v[14:15], v[6:7], v[14:15]
	v_add_f64_e32 v[152:153], 0, v[152:153]
	v_fmac_f64_e32 v[154:155], v[142:143], v[8:9]
	v_fma_f64 v[140:141], v[140:141], v[8:9], -v[10:11]
	v_add_f64_e32 v[142:143], 0, v[156:157]
	scratch_load_b128 v[8:11], off, off offset:272
	v_fmac_f64_e32 v[158:159], v[6:7], v[12:13]
	v_fma_f64 v[160:161], v[4:5], v[12:13], -v[14:15]
	ds_load_b128 v[4:7], v2 offset:784
	s_wait_loadcnt_dscnt 0xb01
	v_mul_f64_e32 v[156:157], v[148:149], v[18:19]
	v_mul_f64_e32 v[18:19], v[150:151], v[18:19]
	scratch_load_b128 v[12:15], off, off offset:288
	v_add_f64_e32 v[152:153], v[152:153], v[154:155]
	v_add_f64_e32 v[162:163], v[142:143], v[140:141]
	ds_load_b128 v[140:143], v2 offset:800
	s_wait_loadcnt_dscnt 0xb01
	v_mul_f64_e32 v[154:155], v[4:5], v[22:23]
	v_mul_f64_e32 v[22:23], v[6:7], v[22:23]
	v_fmac_f64_e32 v[156:157], v[150:151], v[16:17]
	v_fma_f64 v[148:149], v[148:149], v[16:17], -v[18:19]
	scratch_load_b128 v[16:19], off, off offset:304
	v_add_f64_e32 v[152:153], v[152:153], v[158:159]
	v_add_f64_e32 v[150:151], v[162:163], v[160:161]
	v_fmac_f64_e32 v[154:155], v[6:7], v[20:21]
	v_fma_f64 v[160:161], v[4:5], v[20:21], -v[22:23]
	ds_load_b128 v[4:7], v2 offset:816
	s_wait_loadcnt_dscnt 0xb01
	v_mul_f64_e32 v[158:159], v[140:141], v[110:111]
	v_mul_f64_e32 v[110:111], v[142:143], v[110:111]
	scratch_load_b128 v[20:23], off, off offset:320
	v_add_f64_e32 v[152:153], v[152:153], v[156:157]
	s_wait_loadcnt_dscnt 0xb00
	v_mul_f64_e32 v[156:157], v[4:5], v[114:115]
	v_add_f64_e32 v[162:163], v[150:151], v[148:149]
	v_mul_f64_e32 v[114:115], v[6:7], v[114:115]
	ds_load_b128 v[148:151], v2 offset:832
	v_fmac_f64_e32 v[158:159], v[142:143], v[108:109]
	v_fma_f64 v[140:141], v[140:141], v[108:109], -v[110:111]
	scratch_load_b128 v[108:111], off, off offset:336
	v_add_f64_e32 v[152:153], v[152:153], v[154:155]
	v_fmac_f64_e32 v[156:157], v[6:7], v[112:113]
	v_add_f64_e32 v[142:143], v[162:163], v[160:161]
	v_fma_f64 v[160:161], v[4:5], v[112:113], -v[114:115]
	ds_load_b128 v[4:7], v2 offset:848
	s_wait_loadcnt_dscnt 0xb01
	v_mul_f64_e32 v[154:155], v[148:149], v[118:119]
	v_mul_f64_e32 v[118:119], v[150:151], v[118:119]
	scratch_load_b128 v[112:115], off, off offset:352
	v_add_f64_e32 v[152:153], v[152:153], v[158:159]
	s_wait_loadcnt_dscnt 0xb00
	v_mul_f64_e32 v[158:159], v[4:5], v[122:123]
	v_add_f64_e32 v[162:163], v[142:143], v[140:141]
	v_mul_f64_e32 v[122:123], v[6:7], v[122:123]
	ds_load_b128 v[140:143], v2 offset:864
	v_fmac_f64_e32 v[154:155], v[150:151], v[116:117]
	v_fma_f64 v[148:149], v[148:149], v[116:117], -v[118:119]
	scratch_load_b128 v[116:119], off, off offset:368
	v_add_f64_e32 v[152:153], v[152:153], v[156:157]
	v_fmac_f64_e32 v[158:159], v[6:7], v[120:121]
	v_add_f64_e32 v[150:151], v[162:163], v[160:161]
	;; [unrolled: 18-line block ×3, first 2 shown]
	v_fma_f64 v[160:161], v[4:5], v[132:133], -v[134:135]
	ds_load_b128 v[4:7], v2 offset:912
	s_wait_loadcnt_dscnt 0xa01
	v_mul_f64_e32 v[158:159], v[148:149], v[146:147]
	v_mul_f64_e32 v[146:147], v[150:151], v[146:147]
	scratch_load_b128 v[132:135], off, off offset:416
	v_add_f64_e32 v[152:153], v[152:153], v[156:157]
	v_add_f64_e32 v[162:163], v[142:143], v[140:141]
	s_wait_loadcnt_dscnt 0xa00
	v_mul_f64_e32 v[156:157], v[4:5], v[130:131]
	v_mul_f64_e32 v[130:131], v[6:7], v[130:131]
	v_fmac_f64_e32 v[158:159], v[150:151], v[144:145]
	v_fma_f64 v[148:149], v[148:149], v[144:145], -v[146:147]
	ds_load_b128 v[140:143], v2 offset:928
	scratch_load_b128 v[144:147], off, off offset:432
	v_add_f64_e32 v[152:153], v[152:153], v[154:155]
	v_add_f64_e32 v[150:151], v[162:163], v[160:161]
	v_fmac_f64_e32 v[156:157], v[6:7], v[128:129]
	v_fma_f64 v[160:161], v[4:5], v[128:129], -v[130:131]
	ds_load_b128 v[4:7], v2 offset:944
	s_wait_loadcnt_dscnt 0xa01
	v_mul_f64_e32 v[154:155], v[140:141], v[10:11]
	v_mul_f64_e32 v[10:11], v[142:143], v[10:11]
	scratch_load_b128 v[128:131], off, off offset:448
	v_add_f64_e32 v[152:153], v[152:153], v[158:159]
	s_wait_loadcnt_dscnt 0xa00
	v_mul_f64_e32 v[158:159], v[4:5], v[14:15]
	v_add_f64_e32 v[162:163], v[150:151], v[148:149]
	v_mul_f64_e32 v[14:15], v[6:7], v[14:15]
	ds_load_b128 v[148:151], v2 offset:960
	v_fmac_f64_e32 v[154:155], v[142:143], v[8:9]
	v_fma_f64 v[140:141], v[140:141], v[8:9], -v[10:11]
	scratch_load_b128 v[8:11], off, off offset:464
	v_add_f64_e32 v[152:153], v[152:153], v[156:157]
	v_fmac_f64_e32 v[158:159], v[6:7], v[12:13]
	v_add_f64_e32 v[142:143], v[162:163], v[160:161]
	v_fma_f64 v[160:161], v[4:5], v[12:13], -v[14:15]
	ds_load_b128 v[4:7], v2 offset:976
	s_wait_loadcnt_dscnt 0xa01
	v_mul_f64_e32 v[156:157], v[148:149], v[18:19]
	v_mul_f64_e32 v[18:19], v[150:151], v[18:19]
	scratch_load_b128 v[12:15], off, off offset:480
	v_add_f64_e32 v[152:153], v[152:153], v[154:155]
	s_wait_loadcnt_dscnt 0xa00
	v_mul_f64_e32 v[154:155], v[4:5], v[22:23]
	v_add_f64_e32 v[162:163], v[142:143], v[140:141]
	v_mul_f64_e32 v[22:23], v[6:7], v[22:23]
	ds_load_b128 v[140:143], v2 offset:992
	v_fmac_f64_e32 v[156:157], v[150:151], v[16:17]
	v_fma_f64 v[148:149], v[148:149], v[16:17], -v[18:19]
	scratch_load_b128 v[16:19], off, off offset:496
	v_add_f64_e32 v[152:153], v[152:153], v[158:159]
	v_fmac_f64_e32 v[154:155], v[6:7], v[20:21]
	v_add_f64_e32 v[150:151], v[162:163], v[160:161]
	;; [unrolled: 18-line block ×6, first 2 shown]
	v_fma_f64 v[160:161], v[4:5], v[128:129], -v[130:131]
	ds_load_b128 v[4:7], v2 offset:1136
	s_wait_loadcnt_dscnt 0xa01
	v_mul_f64_e32 v[154:155], v[140:141], v[10:11]
	v_mul_f64_e32 v[10:11], v[142:143], v[10:11]
	scratch_load_b128 v[128:131], off, off offset:640
	v_add_f64_e32 v[152:153], v[152:153], v[158:159]
	s_wait_loadcnt_dscnt 0xa00
	v_mul_f64_e32 v[158:159], v[4:5], v[14:15]
	v_add_f64_e32 v[162:163], v[150:151], v[148:149]
	v_mul_f64_e32 v[14:15], v[6:7], v[14:15]
	ds_load_b128 v[148:151], v2 offset:1152
	v_fmac_f64_e32 v[154:155], v[142:143], v[8:9]
	v_fma_f64 v[8:9], v[140:141], v[8:9], -v[10:11]
	s_wait_loadcnt_dscnt 0x900
	v_mul_f64_e32 v[142:143], v[148:149], v[18:19]
	v_mul_f64_e32 v[18:19], v[150:151], v[18:19]
	v_add_f64_e32 v[140:141], v[152:153], v[156:157]
	v_fmac_f64_e32 v[158:159], v[6:7], v[12:13]
	v_add_f64_e32 v[10:11], v[162:163], v[160:161]
	v_fma_f64 v[12:13], v[4:5], v[12:13], -v[14:15]
	v_fmac_f64_e32 v[142:143], v[150:151], v[16:17]
	v_fma_f64 v[16:17], v[148:149], v[16:17], -v[18:19]
	v_add_f64_e32 v[140:141], v[140:141], v[154:155]
	v_add_f64_e32 v[14:15], v[10:11], v[8:9]
	ds_load_b128 v[4:7], v2 offset:1168
	ds_load_b128 v[8:11], v2 offset:1184
	s_wait_loadcnt_dscnt 0x801
	v_mul_f64_e32 v[152:153], v[4:5], v[22:23]
	v_mul_f64_e32 v[22:23], v[6:7], v[22:23]
	s_wait_loadcnt_dscnt 0x700
	v_mul_f64_e32 v[18:19], v[8:9], v[110:111]
	v_mul_f64_e32 v[110:111], v[10:11], v[110:111]
	v_add_f64_e32 v[12:13], v[14:15], v[12:13]
	v_add_f64_e32 v[14:15], v[140:141], v[158:159]
	v_fmac_f64_e32 v[152:153], v[6:7], v[20:21]
	v_fma_f64 v[20:21], v[4:5], v[20:21], -v[22:23]
	v_fmac_f64_e32 v[18:19], v[10:11], v[108:109]
	v_fma_f64 v[8:9], v[8:9], v[108:109], -v[110:111]
	v_add_f64_e32 v[16:17], v[12:13], v[16:17]
	v_add_f64_e32 v[22:23], v[14:15], v[142:143]
	ds_load_b128 v[4:7], v2 offset:1200
	ds_load_b128 v[12:15], v2 offset:1216
	s_wait_loadcnt_dscnt 0x601
	v_mul_f64_e32 v[140:141], v[4:5], v[114:115]
	v_mul_f64_e32 v[114:115], v[6:7], v[114:115]
	v_add_f64_e32 v[10:11], v[16:17], v[20:21]
	v_add_f64_e32 v[16:17], v[22:23], v[152:153]
	s_wait_loadcnt_dscnt 0x500
	v_mul_f64_e32 v[20:21], v[12:13], v[118:119]
	v_mul_f64_e32 v[22:23], v[14:15], v[118:119]
	v_fmac_f64_e32 v[140:141], v[6:7], v[112:113]
	v_fma_f64 v[108:109], v[4:5], v[112:113], -v[114:115]
	v_add_f64_e32 v[110:111], v[10:11], v[8:9]
	v_add_f64_e32 v[16:17], v[16:17], v[18:19]
	ds_load_b128 v[4:7], v2 offset:1232
	ds_load_b128 v[8:11], v2 offset:1248
	v_fmac_f64_e32 v[20:21], v[14:15], v[116:117]
	v_fma_f64 v[12:13], v[12:13], v[116:117], -v[22:23]
	s_wait_loadcnt_dscnt 0x401
	v_mul_f64_e32 v[18:19], v[4:5], v[122:123]
	v_mul_f64_e32 v[112:113], v[6:7], v[122:123]
	s_wait_loadcnt_dscnt 0x300
	v_mul_f64_e32 v[22:23], v[8:9], v[126:127]
	v_add_f64_e32 v[14:15], v[110:111], v[108:109]
	v_add_f64_e32 v[16:17], v[16:17], v[140:141]
	v_mul_f64_e32 v[108:109], v[10:11], v[126:127]
	v_fmac_f64_e32 v[18:19], v[6:7], v[120:121]
	v_fma_f64 v[110:111], v[4:5], v[120:121], -v[112:113]
	v_fmac_f64_e32 v[22:23], v[10:11], v[124:125]
	v_add_f64_e32 v[112:113], v[14:15], v[12:13]
	v_add_f64_e32 v[16:17], v[16:17], v[20:21]
	ds_load_b128 v[4:7], v2 offset:1264
	ds_load_b128 v[12:15], v2 offset:1280
	v_fma_f64 v[8:9], v[8:9], v[124:125], -v[108:109]
	s_wait_loadcnt_dscnt 0x201
	v_mul_f64_e32 v[20:21], v[4:5], v[134:135]
	v_mul_f64_e32 v[114:115], v[6:7], v[134:135]
	s_wait_loadcnt_dscnt 0x100
	v_mul_f64_e32 v[108:109], v[14:15], v[146:147]
	v_add_f64_e32 v[10:11], v[112:113], v[110:111]
	v_add_f64_e32 v[16:17], v[16:17], v[18:19]
	v_mul_f64_e32 v[18:19], v[12:13], v[146:147]
	v_fmac_f64_e32 v[20:21], v[6:7], v[132:133]
	v_fma_f64 v[110:111], v[4:5], v[132:133], -v[114:115]
	ds_load_b128 v[4:7], v2 offset:1296
	v_fma_f64 v[12:13], v[12:13], v[144:145], -v[108:109]
	v_add_f64_e32 v[8:9], v[10:11], v[8:9]
	v_add_f64_e32 v[10:11], v[16:17], v[22:23]
	v_fmac_f64_e32 v[18:19], v[14:15], v[144:145]
	s_wait_loadcnt_dscnt 0x0
	v_mul_f64_e32 v[16:17], v[4:5], v[130:131]
	v_mul_f64_e32 v[22:23], v[6:7], v[130:131]
	v_add_f64_e32 v[8:9], v[8:9], v[110:111]
	v_add_f64_e32 v[10:11], v[10:11], v[20:21]
	s_delay_alu instid0(VALU_DEP_4) | instskip(NEXT) | instid1(VALU_DEP_4)
	v_fmac_f64_e32 v[16:17], v[6:7], v[128:129]
	v_fma_f64 v[4:5], v[4:5], v[128:129], -v[22:23]
	s_delay_alu instid0(VALU_DEP_4) | instskip(NEXT) | instid1(VALU_DEP_4)
	v_add_f64_e32 v[6:7], v[8:9], v[12:13]
	v_add_f64_e32 v[8:9], v[10:11], v[18:19]
	s_delay_alu instid0(VALU_DEP_2) | instskip(NEXT) | instid1(VALU_DEP_2)
	v_add_f64_e32 v[4:5], v[6:7], v[4:5]
	v_add_f64_e32 v[6:7], v[8:9], v[16:17]
	s_delay_alu instid0(VALU_DEP_2) | instskip(NEXT) | instid1(VALU_DEP_2)
	v_add_f64_e64 v[4:5], v[136:137], -v[4:5]
	v_add_f64_e64 v[6:7], v[138:139], -v[6:7]
	scratch_store_b128 off, v[4:7], off offset:48
	s_wait_xcnt 0x0
	v_cmpx_lt_u32_e32 2, v1
	s_cbranch_execz .LBB40_255
; %bb.254:
	scratch_load_b128 v[6:9], off, s36
	v_dual_mov_b32 v3, v2 :: v_dual_mov_b32 v4, v2
	v_mov_b32_e32 v5, v2
	scratch_store_b128 off, v[2:5], off offset:32
	s_wait_loadcnt 0x0
	ds_store_b128 v106, v[6:9]
.LBB40_255:
	s_wait_xcnt 0x0
	s_or_b32 exec_lo, exec_lo, s2
	s_wait_storecnt_dscnt 0x0
	s_barrier_signal -1
	s_barrier_wait -1
	s_clause 0x9
	scratch_load_b128 v[4:7], off, off offset:48
	scratch_load_b128 v[8:11], off, off offset:64
	;; [unrolled: 1-line block ×10, first 2 shown]
	ds_load_b128 v[128:131], v2 offset:704
	ds_load_b128 v[136:139], v2 offset:720
	s_clause 0x2
	scratch_load_b128 v[132:135], off, off offset:208
	scratch_load_b128 v[140:143], off, off offset:32
	;; [unrolled: 1-line block ×3, first 2 shown]
	s_mov_b32 s2, exec_lo
	v_ashrrev_i32_e32 v29, 31, v28
	v_ashrrev_i32_e32 v33, 31, v32
	;; [unrolled: 1-line block ×3, first 2 shown]
	v_dual_ashrrev_i32 v41, 31, v40 :: v_dual_ashrrev_i32 v31, 31, v30
	v_dual_ashrrev_i32 v35, 31, v34 :: v_dual_ashrrev_i32 v45, 31, v44
	;; [unrolled: 1-line block ×8, first 2 shown]
	v_ashrrev_i32_e32 v73, 31, v72
	v_ashrrev_i32_e32 v77, 31, v76
	v_dual_ashrrev_i32 v81, 31, v80 :: v_dual_ashrrev_i32 v63, 31, v62
	v_ashrrev_i32_e32 v67, 31, v66
	v_ashrrev_i32_e32 v71, 31, v70
	v_dual_ashrrev_i32 v75, 31, v74 :: v_dual_ashrrev_i32 v85, 31, v84
	v_dual_ashrrev_i32 v89, 31, v88 :: v_dual_ashrrev_i32 v79, 31, v78
	;; [unrolled: 1-line block ×3, first 2 shown]
	v_ashrrev_i32_e32 v97, 31, v96
	v_dual_ashrrev_i32 v101, 31, v100 :: v_dual_ashrrev_i32 v87, 31, v86
	v_dual_ashrrev_i32 v105, 31, v104 :: v_dual_ashrrev_i32 v91, 31, v90
	v_ashrrev_i32_e32 v95, 31, v94
	v_ashrrev_i32_e32 v99, 31, v98
	;; [unrolled: 1-line block ×3, first 2 shown]
	s_wait_loadcnt_dscnt 0xc01
	v_mul_f64_e32 v[148:149], v[130:131], v[6:7]
	v_mul_f64_e32 v[152:153], v[128:129], v[6:7]
	s_wait_loadcnt_dscnt 0xb00
	v_mul_f64_e32 v[154:155], v[136:137], v[10:11]
	v_mul_f64_e32 v[10:11], v[138:139], v[10:11]
	s_delay_alu instid0(VALU_DEP_4) | instskip(NEXT) | instid1(VALU_DEP_4)
	v_fma_f64 v[156:157], v[128:129], v[4:5], -v[148:149]
	v_fmac_f64_e32 v[152:153], v[130:131], v[4:5]
	ds_load_b128 v[4:7], v2 offset:736
	ds_load_b128 v[148:151], v2 offset:752
	scratch_load_b128 v[128:131], off, off offset:240
	v_fmac_f64_e32 v[154:155], v[138:139], v[8:9]
	v_fma_f64 v[136:137], v[136:137], v[8:9], -v[10:11]
	scratch_load_b128 v[8:11], off, off offset:256
	s_wait_loadcnt_dscnt 0xc01
	v_mul_f64_e32 v[158:159], v[4:5], v[14:15]
	v_mul_f64_e32 v[14:15], v[6:7], v[14:15]
	v_add_f64_e32 v[138:139], 0, v[156:157]
	v_add_f64_e32 v[152:153], 0, v[152:153]
	s_wait_loadcnt_dscnt 0xb00
	v_mul_f64_e32 v[156:157], v[148:149], v[18:19]
	v_mul_f64_e32 v[18:19], v[150:151], v[18:19]
	v_fmac_f64_e32 v[158:159], v[6:7], v[12:13]
	v_fma_f64 v[160:161], v[4:5], v[12:13], -v[14:15]
	ds_load_b128 v[4:7], v2 offset:768
	scratch_load_b128 v[12:15], off, off offset:272
	v_add_f64_e32 v[162:163], v[138:139], v[136:137]
	v_add_f64_e32 v[152:153], v[152:153], v[154:155]
	ds_load_b128 v[136:139], v2 offset:784
	v_fmac_f64_e32 v[156:157], v[150:151], v[16:17]
	v_fma_f64 v[148:149], v[148:149], v[16:17], -v[18:19]
	scratch_load_b128 v[16:19], off, off offset:288
	s_wait_loadcnt_dscnt 0xc01
	v_mul_f64_e32 v[154:155], v[4:5], v[22:23]
	v_mul_f64_e32 v[22:23], v[6:7], v[22:23]
	v_add_f64_e32 v[150:151], v[162:163], v[160:161]
	v_add_f64_e32 v[152:153], v[152:153], v[158:159]
	s_wait_loadcnt_dscnt 0xb00
	v_mul_f64_e32 v[158:159], v[136:137], v[110:111]
	v_mul_f64_e32 v[110:111], v[138:139], v[110:111]
	v_fmac_f64_e32 v[154:155], v[6:7], v[20:21]
	v_fma_f64 v[160:161], v[4:5], v[20:21], -v[22:23]
	ds_load_b128 v[4:7], v2 offset:800
	scratch_load_b128 v[20:23], off, off offset:304
	v_add_f64_e32 v[162:163], v[150:151], v[148:149]
	v_add_f64_e32 v[152:153], v[152:153], v[156:157]
	ds_load_b128 v[148:151], v2 offset:816
	s_wait_loadcnt_dscnt 0xb01
	v_mul_f64_e32 v[156:157], v[4:5], v[114:115]
	v_mul_f64_e32 v[114:115], v[6:7], v[114:115]
	v_fmac_f64_e32 v[158:159], v[138:139], v[108:109]
	v_fma_f64 v[136:137], v[136:137], v[108:109], -v[110:111]
	scratch_load_b128 v[108:111], off, off offset:320
	v_add_f64_e32 v[138:139], v[162:163], v[160:161]
	v_add_f64_e32 v[152:153], v[152:153], v[154:155]
	s_wait_loadcnt_dscnt 0xb00
	v_mul_f64_e32 v[154:155], v[148:149], v[118:119]
	v_mul_f64_e32 v[118:119], v[150:151], v[118:119]
	v_fmac_f64_e32 v[156:157], v[6:7], v[112:113]
	v_fma_f64 v[160:161], v[4:5], v[112:113], -v[114:115]
	ds_load_b128 v[4:7], v2 offset:832
	scratch_load_b128 v[112:115], off, off offset:336
	v_add_f64_e32 v[162:163], v[138:139], v[136:137]
	v_add_f64_e32 v[152:153], v[152:153], v[158:159]
	ds_load_b128 v[136:139], v2 offset:848
	s_wait_loadcnt_dscnt 0xb01
	v_mul_f64_e32 v[158:159], v[4:5], v[122:123]
	v_mul_f64_e32 v[122:123], v[6:7], v[122:123]
	v_fmac_f64_e32 v[154:155], v[150:151], v[116:117]
	v_fma_f64 v[148:149], v[148:149], v[116:117], -v[118:119]
	scratch_load_b128 v[116:119], off, off offset:352
	;; [unrolled: 18-line block ×3, first 2 shown]
	v_add_f64_e32 v[138:139], v[162:163], v[160:161]
	v_add_f64_e32 v[152:153], v[152:153], v[158:159]
	s_wait_loadcnt_dscnt 0xa00
	v_mul_f64_e32 v[158:159], v[148:149], v[146:147]
	v_mul_f64_e32 v[146:147], v[150:151], v[146:147]
	v_fmac_f64_e32 v[154:155], v[6:7], v[132:133]
	v_fma_f64 v[160:161], v[4:5], v[132:133], -v[134:135]
	ds_load_b128 v[4:7], v2 offset:896
	scratch_load_b128 v[132:135], off, off offset:400
	v_add_f64_e32 v[162:163], v[138:139], v[136:137]
	v_add_f64_e32 v[152:153], v[152:153], v[156:157]
	ds_load_b128 v[136:139], v2 offset:912
	v_fmac_f64_e32 v[158:159], v[150:151], v[144:145]
	s_wait_loadcnt_dscnt 0xa01
	v_mul_f64_e32 v[156:157], v[4:5], v[130:131]
	v_mul_f64_e32 v[130:131], v[6:7], v[130:131]
	v_fma_f64 v[148:149], v[148:149], v[144:145], -v[146:147]
	scratch_load_b128 v[144:147], off, off offset:416
	v_add_f64_e32 v[150:151], v[162:163], v[160:161]
	v_add_f64_e32 v[152:153], v[152:153], v[154:155]
	s_wait_loadcnt_dscnt 0xa00
	v_mul_f64_e32 v[154:155], v[136:137], v[10:11]
	v_mul_f64_e32 v[10:11], v[138:139], v[10:11]
	v_fmac_f64_e32 v[156:157], v[6:7], v[128:129]
	v_fma_f64 v[160:161], v[4:5], v[128:129], -v[130:131]
	ds_load_b128 v[4:7], v2 offset:928
	scratch_load_b128 v[128:131], off, off offset:432
	v_add_f64_e32 v[162:163], v[150:151], v[148:149]
	v_add_f64_e32 v[152:153], v[152:153], v[158:159]
	ds_load_b128 v[148:151], v2 offset:944
	s_wait_loadcnt_dscnt 0xa01
	v_mul_f64_e32 v[158:159], v[4:5], v[14:15]
	v_mul_f64_e32 v[14:15], v[6:7], v[14:15]
	v_fmac_f64_e32 v[154:155], v[138:139], v[8:9]
	v_fma_f64 v[136:137], v[136:137], v[8:9], -v[10:11]
	scratch_load_b128 v[8:11], off, off offset:448
	v_add_f64_e32 v[138:139], v[162:163], v[160:161]
	v_add_f64_e32 v[152:153], v[152:153], v[156:157]
	s_wait_loadcnt_dscnt 0xa00
	v_mul_f64_e32 v[156:157], v[148:149], v[18:19]
	v_mul_f64_e32 v[18:19], v[150:151], v[18:19]
	v_fmac_f64_e32 v[158:159], v[6:7], v[12:13]
	v_fma_f64 v[160:161], v[4:5], v[12:13], -v[14:15]
	ds_load_b128 v[4:7], v2 offset:960
	scratch_load_b128 v[12:15], off, off offset:464
	v_add_f64_e32 v[162:163], v[138:139], v[136:137]
	v_add_f64_e32 v[152:153], v[152:153], v[154:155]
	ds_load_b128 v[136:139], v2 offset:976
	s_wait_loadcnt_dscnt 0xa01
	v_mul_f64_e32 v[154:155], v[4:5], v[22:23]
	v_mul_f64_e32 v[22:23], v[6:7], v[22:23]
	v_fmac_f64_e32 v[156:157], v[150:151], v[16:17]
	;; [unrolled: 18-line block ×7, first 2 shown]
	v_fma_f64 v[136:137], v[136:137], v[8:9], -v[10:11]
	scratch_load_b128 v[8:11], off, off offset:640
	v_add_f64_e32 v[138:139], v[162:163], v[160:161]
	v_add_f64_e32 v[152:153], v[152:153], v[156:157]
	s_wait_loadcnt_dscnt 0xa00
	v_mul_f64_e32 v[156:157], v[148:149], v[18:19]
	v_mul_f64_e32 v[18:19], v[150:151], v[18:19]
	v_fmac_f64_e32 v[158:159], v[6:7], v[12:13]
	v_fma_f64 v[160:161], v[4:5], v[12:13], -v[14:15]
	ds_load_b128 v[4:7], v2 offset:1152
	ds_load_b128 v[12:15], v2 offset:1168
	v_add_f64_e32 v[136:137], v[138:139], v[136:137]
	v_add_f64_e32 v[138:139], v[152:153], v[154:155]
	s_wait_loadcnt_dscnt 0x901
	v_mul_f64_e32 v[152:153], v[4:5], v[22:23]
	v_mul_f64_e32 v[22:23], v[6:7], v[22:23]
	v_fmac_f64_e32 v[156:157], v[150:151], v[16:17]
	v_fma_f64 v[16:17], v[148:149], v[16:17], -v[18:19]
	v_add_f64_e32 v[18:19], v[136:137], v[160:161]
	v_add_f64_e32 v[136:137], v[138:139], v[158:159]
	s_wait_loadcnt_dscnt 0x800
	v_mul_f64_e32 v[138:139], v[12:13], v[110:111]
	v_mul_f64_e32 v[110:111], v[14:15], v[110:111]
	v_fmac_f64_e32 v[152:153], v[6:7], v[20:21]
	v_fma_f64 v[20:21], v[4:5], v[20:21], -v[22:23]
	v_add_f64_e32 v[22:23], v[18:19], v[16:17]
	v_add_f64_e32 v[136:137], v[136:137], v[156:157]
	ds_load_b128 v[4:7], v2 offset:1184
	ds_load_b128 v[16:19], v2 offset:1200
	v_fmac_f64_e32 v[138:139], v[14:15], v[108:109]
	v_fma_f64 v[12:13], v[12:13], v[108:109], -v[110:111]
	s_wait_loadcnt_dscnt 0x701
	v_mul_f64_e32 v[148:149], v[4:5], v[114:115]
	v_mul_f64_e32 v[114:115], v[6:7], v[114:115]
	s_wait_loadcnt_dscnt 0x600
	v_mul_f64_e32 v[108:109], v[18:19], v[118:119]
	v_add_f64_e32 v[14:15], v[22:23], v[20:21]
	v_add_f64_e32 v[20:21], v[136:137], v[152:153]
	v_mul_f64_e32 v[22:23], v[16:17], v[118:119]
	v_fmac_f64_e32 v[148:149], v[6:7], v[112:113]
	v_fma_f64 v[110:111], v[4:5], v[112:113], -v[114:115]
	v_fma_f64 v[16:17], v[16:17], v[116:117], -v[108:109]
	v_add_f64_e32 v[112:113], v[14:15], v[12:13]
	v_add_f64_e32 v[20:21], v[20:21], v[138:139]
	ds_load_b128 v[4:7], v2 offset:1216
	ds_load_b128 v[12:15], v2 offset:1232
	v_fmac_f64_e32 v[22:23], v[18:19], v[116:117]
	s_wait_loadcnt_dscnt 0x501
	v_mul_f64_e32 v[114:115], v[4:5], v[122:123]
	v_mul_f64_e32 v[118:119], v[6:7], v[122:123]
	s_wait_loadcnt_dscnt 0x400
	v_mul_f64_e32 v[108:109], v[12:13], v[126:127]
	v_add_f64_e32 v[18:19], v[112:113], v[110:111]
	v_add_f64_e32 v[20:21], v[20:21], v[148:149]
	v_mul_f64_e32 v[110:111], v[14:15], v[126:127]
	v_fmac_f64_e32 v[114:115], v[6:7], v[120:121]
	v_fma_f64 v[112:113], v[4:5], v[120:121], -v[118:119]
	v_fmac_f64_e32 v[108:109], v[14:15], v[124:125]
	v_add_f64_e32 v[116:117], v[18:19], v[16:17]
	v_add_f64_e32 v[20:21], v[20:21], v[22:23]
	ds_load_b128 v[4:7], v2 offset:1248
	ds_load_b128 v[16:19], v2 offset:1264
	v_fma_f64 v[12:13], v[12:13], v[124:125], -v[110:111]
	s_wait_loadcnt_dscnt 0x301
	v_mul_f64_e32 v[22:23], v[4:5], v[134:135]
	v_mul_f64_e32 v[118:119], v[6:7], v[134:135]
	s_wait_loadcnt_dscnt 0x200
	v_mul_f64_e32 v[110:111], v[16:17], v[146:147]
	v_add_f64_e32 v[14:15], v[116:117], v[112:113]
	v_add_f64_e32 v[20:21], v[20:21], v[114:115]
	v_mul_f64_e32 v[112:113], v[18:19], v[146:147]
	v_fmac_f64_e32 v[22:23], v[6:7], v[132:133]
	v_fma_f64 v[114:115], v[4:5], v[132:133], -v[118:119]
	v_fmac_f64_e32 v[110:111], v[18:19], v[144:145]
	v_add_f64_e32 v[116:117], v[14:15], v[12:13]
	v_add_f64_e32 v[20:21], v[20:21], v[108:109]
	ds_load_b128 v[4:7], v2 offset:1280
	ds_load_b128 v[12:15], v2 offset:1296
	v_fma_f64 v[16:17], v[16:17], v[144:145], -v[112:113]
	s_wait_loadcnt_dscnt 0x101
	v_mul_f64_e32 v[2:3], v[4:5], v[130:131]
	v_mul_f64_e32 v[108:109], v[6:7], v[130:131]
	v_add_f64_e32 v[18:19], v[116:117], v[114:115]
	v_add_f64_e32 v[20:21], v[20:21], v[22:23]
	s_wait_loadcnt_dscnt 0x0
	v_mul_f64_e32 v[22:23], v[12:13], v[10:11]
	v_mul_f64_e32 v[10:11], v[14:15], v[10:11]
	v_fmac_f64_e32 v[2:3], v[6:7], v[128:129]
	v_fma_f64 v[4:5], v[4:5], v[128:129], -v[108:109]
	v_add_f64_e32 v[6:7], v[18:19], v[16:17]
	v_add_f64_e32 v[16:17], v[20:21], v[110:111]
	v_fmac_f64_e32 v[22:23], v[14:15], v[8:9]
	v_fma_f64 v[8:9], v[12:13], v[8:9], -v[10:11]
	s_delay_alu instid0(VALU_DEP_4) | instskip(NEXT) | instid1(VALU_DEP_4)
	v_add_f64_e32 v[4:5], v[6:7], v[4:5]
	v_add_f64_e32 v[2:3], v[16:17], v[2:3]
	s_delay_alu instid0(VALU_DEP_2) | instskip(NEXT) | instid1(VALU_DEP_2)
	v_add_f64_e32 v[4:5], v[4:5], v[8:9]
	v_add_f64_e32 v[6:7], v[2:3], v[22:23]
	s_delay_alu instid0(VALU_DEP_2) | instskip(NEXT) | instid1(VALU_DEP_2)
	v_add_f64_e64 v[2:3], v[140:141], -v[4:5]
	v_add_f64_e64 v[4:5], v[142:143], -v[6:7]
	scratch_store_b128 off, v[2:5], off offset:32
	s_wait_xcnt 0x0
	v_cmpx_lt_u32_e32 1, v1
	s_cbranch_execz .LBB40_257
; %bb.256:
	scratch_load_b128 v[2:5], off, s41
	v_mov_b32_e32 v6, 0
	s_delay_alu instid0(VALU_DEP_1)
	v_dual_mov_b32 v7, v6 :: v_dual_mov_b32 v8, v6
	v_mov_b32_e32 v9, v6
	scratch_store_b128 off, v[6:9], off offset:16
	s_wait_loadcnt 0x0
	ds_store_b128 v106, v[2:5]
.LBB40_257:
	s_wait_xcnt 0x0
	s_or_b32 exec_lo, exec_lo, s2
	s_wait_storecnt_dscnt 0x0
	s_barrier_signal -1
	s_barrier_wait -1
	s_clause 0x9
	scratch_load_b128 v[4:7], off, off offset:32
	scratch_load_b128 v[8:11], off, off offset:48
	;; [unrolled: 1-line block ×10, first 2 shown]
	v_mov_b32_e32 v2, 0
	s_mov_b32 s2, exec_lo
	ds_load_b128 v[128:131], v2 offset:688
	s_clause 0x2
	scratch_load_b128 v[132:135], off, off offset:192
	scratch_load_b128 v[136:139], off, off offset:16
	;; [unrolled: 1-line block ×3, first 2 shown]
	s_wait_loadcnt_dscnt 0xc00
	v_mul_f64_e32 v[148:149], v[130:131], v[6:7]
	v_mul_f64_e32 v[152:153], v[128:129], v[6:7]
	ds_load_b128 v[140:143], v2 offset:704
	v_fma_f64 v[156:157], v[128:129], v[4:5], -v[148:149]
	v_fmac_f64_e32 v[152:153], v[130:131], v[4:5]
	ds_load_b128 v[4:7], v2 offset:720
	s_wait_loadcnt_dscnt 0xb01
	v_mul_f64_e32 v[154:155], v[140:141], v[10:11]
	v_mul_f64_e32 v[10:11], v[142:143], v[10:11]
	scratch_load_b128 v[128:131], off, off offset:224
	ds_load_b128 v[148:151], v2 offset:736
	s_wait_loadcnt_dscnt 0xb01
	v_mul_f64_e32 v[158:159], v[4:5], v[14:15]
	v_mul_f64_e32 v[14:15], v[6:7], v[14:15]
	v_add_f64_e32 v[152:153], 0, v[152:153]
	v_fmac_f64_e32 v[154:155], v[142:143], v[8:9]
	v_fma_f64 v[140:141], v[140:141], v[8:9], -v[10:11]
	v_add_f64_e32 v[142:143], 0, v[156:157]
	scratch_load_b128 v[8:11], off, off offset:240
	v_fmac_f64_e32 v[158:159], v[6:7], v[12:13]
	v_fma_f64 v[160:161], v[4:5], v[12:13], -v[14:15]
	ds_load_b128 v[4:7], v2 offset:752
	s_wait_loadcnt_dscnt 0xb01
	v_mul_f64_e32 v[156:157], v[148:149], v[18:19]
	v_mul_f64_e32 v[18:19], v[150:151], v[18:19]
	scratch_load_b128 v[12:15], off, off offset:256
	v_add_f64_e32 v[152:153], v[152:153], v[154:155]
	v_add_f64_e32 v[162:163], v[142:143], v[140:141]
	ds_load_b128 v[140:143], v2 offset:768
	s_wait_loadcnt_dscnt 0xb01
	v_mul_f64_e32 v[154:155], v[4:5], v[22:23]
	v_mul_f64_e32 v[22:23], v[6:7], v[22:23]
	v_fmac_f64_e32 v[156:157], v[150:151], v[16:17]
	v_fma_f64 v[148:149], v[148:149], v[16:17], -v[18:19]
	scratch_load_b128 v[16:19], off, off offset:272
	v_add_f64_e32 v[152:153], v[152:153], v[158:159]
	v_add_f64_e32 v[150:151], v[162:163], v[160:161]
	v_fmac_f64_e32 v[154:155], v[6:7], v[20:21]
	v_fma_f64 v[160:161], v[4:5], v[20:21], -v[22:23]
	ds_load_b128 v[4:7], v2 offset:784
	s_wait_loadcnt_dscnt 0xb01
	v_mul_f64_e32 v[158:159], v[140:141], v[110:111]
	v_mul_f64_e32 v[110:111], v[142:143], v[110:111]
	scratch_load_b128 v[20:23], off, off offset:288
	v_add_f64_e32 v[152:153], v[152:153], v[156:157]
	s_wait_loadcnt_dscnt 0xb00
	v_mul_f64_e32 v[156:157], v[4:5], v[114:115]
	v_add_f64_e32 v[162:163], v[150:151], v[148:149]
	v_mul_f64_e32 v[114:115], v[6:7], v[114:115]
	ds_load_b128 v[148:151], v2 offset:800
	v_fmac_f64_e32 v[158:159], v[142:143], v[108:109]
	v_fma_f64 v[140:141], v[140:141], v[108:109], -v[110:111]
	scratch_load_b128 v[108:111], off, off offset:304
	v_add_f64_e32 v[152:153], v[152:153], v[154:155]
	v_fmac_f64_e32 v[156:157], v[6:7], v[112:113]
	v_add_f64_e32 v[142:143], v[162:163], v[160:161]
	v_fma_f64 v[160:161], v[4:5], v[112:113], -v[114:115]
	ds_load_b128 v[4:7], v2 offset:816
	s_wait_loadcnt_dscnt 0xb01
	v_mul_f64_e32 v[154:155], v[148:149], v[118:119]
	v_mul_f64_e32 v[118:119], v[150:151], v[118:119]
	scratch_load_b128 v[112:115], off, off offset:320
	v_add_f64_e32 v[152:153], v[152:153], v[158:159]
	s_wait_loadcnt_dscnt 0xb00
	v_mul_f64_e32 v[158:159], v[4:5], v[122:123]
	v_add_f64_e32 v[162:163], v[142:143], v[140:141]
	v_mul_f64_e32 v[122:123], v[6:7], v[122:123]
	ds_load_b128 v[140:143], v2 offset:832
	v_fmac_f64_e32 v[154:155], v[150:151], v[116:117]
	v_fma_f64 v[148:149], v[148:149], v[116:117], -v[118:119]
	scratch_load_b128 v[116:119], off, off offset:336
	v_add_f64_e32 v[152:153], v[152:153], v[156:157]
	v_fmac_f64_e32 v[158:159], v[6:7], v[120:121]
	v_add_f64_e32 v[150:151], v[162:163], v[160:161]
	;; [unrolled: 18-line block ×3, first 2 shown]
	v_fma_f64 v[160:161], v[4:5], v[132:133], -v[134:135]
	ds_load_b128 v[4:7], v2 offset:880
	s_wait_loadcnt_dscnt 0xa01
	v_mul_f64_e32 v[158:159], v[148:149], v[146:147]
	v_mul_f64_e32 v[146:147], v[150:151], v[146:147]
	scratch_load_b128 v[132:135], off, off offset:384
	v_add_f64_e32 v[152:153], v[152:153], v[156:157]
	v_add_f64_e32 v[162:163], v[142:143], v[140:141]
	s_wait_loadcnt_dscnt 0xa00
	v_mul_f64_e32 v[156:157], v[4:5], v[130:131]
	v_mul_f64_e32 v[130:131], v[6:7], v[130:131]
	v_fmac_f64_e32 v[158:159], v[150:151], v[144:145]
	v_fma_f64 v[148:149], v[148:149], v[144:145], -v[146:147]
	ds_load_b128 v[140:143], v2 offset:896
	scratch_load_b128 v[144:147], off, off offset:400
	v_add_f64_e32 v[152:153], v[152:153], v[154:155]
	v_add_f64_e32 v[150:151], v[162:163], v[160:161]
	v_fmac_f64_e32 v[156:157], v[6:7], v[128:129]
	v_fma_f64 v[160:161], v[4:5], v[128:129], -v[130:131]
	ds_load_b128 v[4:7], v2 offset:912
	s_wait_loadcnt_dscnt 0xa01
	v_mul_f64_e32 v[154:155], v[140:141], v[10:11]
	v_mul_f64_e32 v[10:11], v[142:143], v[10:11]
	scratch_load_b128 v[128:131], off, off offset:416
	v_add_f64_e32 v[152:153], v[152:153], v[158:159]
	s_wait_loadcnt_dscnt 0xa00
	v_mul_f64_e32 v[158:159], v[4:5], v[14:15]
	v_add_f64_e32 v[162:163], v[150:151], v[148:149]
	v_mul_f64_e32 v[14:15], v[6:7], v[14:15]
	ds_load_b128 v[148:151], v2 offset:928
	v_fmac_f64_e32 v[154:155], v[142:143], v[8:9]
	v_fma_f64 v[140:141], v[140:141], v[8:9], -v[10:11]
	scratch_load_b128 v[8:11], off, off offset:432
	v_add_f64_e32 v[152:153], v[152:153], v[156:157]
	v_fmac_f64_e32 v[158:159], v[6:7], v[12:13]
	v_add_f64_e32 v[142:143], v[162:163], v[160:161]
	v_fma_f64 v[160:161], v[4:5], v[12:13], -v[14:15]
	ds_load_b128 v[4:7], v2 offset:944
	s_wait_loadcnt_dscnt 0xa01
	v_mul_f64_e32 v[156:157], v[148:149], v[18:19]
	v_mul_f64_e32 v[18:19], v[150:151], v[18:19]
	scratch_load_b128 v[12:15], off, off offset:448
	v_add_f64_e32 v[152:153], v[152:153], v[154:155]
	s_wait_loadcnt_dscnt 0xa00
	v_mul_f64_e32 v[154:155], v[4:5], v[22:23]
	v_add_f64_e32 v[162:163], v[142:143], v[140:141]
	v_mul_f64_e32 v[22:23], v[6:7], v[22:23]
	ds_load_b128 v[140:143], v2 offset:960
	v_fmac_f64_e32 v[156:157], v[150:151], v[16:17]
	v_fma_f64 v[148:149], v[148:149], v[16:17], -v[18:19]
	scratch_load_b128 v[16:19], off, off offset:464
	v_add_f64_e32 v[152:153], v[152:153], v[158:159]
	v_fmac_f64_e32 v[154:155], v[6:7], v[20:21]
	v_add_f64_e32 v[150:151], v[162:163], v[160:161]
	;; [unrolled: 18-line block ×7, first 2 shown]
	v_fma_f64 v[160:161], v[4:5], v[12:13], -v[14:15]
	ds_load_b128 v[4:7], v2 offset:1136
	s_wait_loadcnt_dscnt 0xa01
	v_mul_f64_e32 v[156:157], v[148:149], v[18:19]
	v_mul_f64_e32 v[18:19], v[150:151], v[18:19]
	scratch_load_b128 v[12:15], off, off offset:640
	v_add_f64_e32 v[152:153], v[152:153], v[154:155]
	s_wait_loadcnt_dscnt 0xa00
	v_mul_f64_e32 v[154:155], v[4:5], v[22:23]
	v_add_f64_e32 v[162:163], v[142:143], v[140:141]
	v_mul_f64_e32 v[22:23], v[6:7], v[22:23]
	ds_load_b128 v[140:143], v2 offset:1152
	v_fmac_f64_e32 v[156:157], v[150:151], v[16:17]
	v_fma_f64 v[16:17], v[148:149], v[16:17], -v[18:19]
	s_wait_loadcnt_dscnt 0x900
	v_mul_f64_e32 v[150:151], v[140:141], v[110:111]
	v_mul_f64_e32 v[110:111], v[142:143], v[110:111]
	v_add_f64_e32 v[148:149], v[152:153], v[158:159]
	v_fmac_f64_e32 v[154:155], v[6:7], v[20:21]
	v_add_f64_e32 v[18:19], v[162:163], v[160:161]
	v_fma_f64 v[20:21], v[4:5], v[20:21], -v[22:23]
	v_fmac_f64_e32 v[150:151], v[142:143], v[108:109]
	v_fma_f64 v[108:109], v[140:141], v[108:109], -v[110:111]
	v_add_f64_e32 v[148:149], v[148:149], v[156:157]
	v_add_f64_e32 v[22:23], v[18:19], v[16:17]
	ds_load_b128 v[4:7], v2 offset:1168
	ds_load_b128 v[16:19], v2 offset:1184
	s_wait_loadcnt_dscnt 0x801
	v_mul_f64_e32 v[152:153], v[4:5], v[114:115]
	v_mul_f64_e32 v[114:115], v[6:7], v[114:115]
	s_wait_loadcnt_dscnt 0x700
	v_mul_f64_e32 v[110:111], v[16:17], v[118:119]
	v_mul_f64_e32 v[118:119], v[18:19], v[118:119]
	v_add_f64_e32 v[20:21], v[22:23], v[20:21]
	v_add_f64_e32 v[22:23], v[148:149], v[154:155]
	v_fmac_f64_e32 v[152:153], v[6:7], v[112:113]
	v_fma_f64 v[112:113], v[4:5], v[112:113], -v[114:115]
	v_fmac_f64_e32 v[110:111], v[18:19], v[116:117]
	v_fma_f64 v[16:17], v[16:17], v[116:117], -v[118:119]
	v_add_f64_e32 v[108:109], v[20:21], v[108:109]
	v_add_f64_e32 v[114:115], v[22:23], v[150:151]
	ds_load_b128 v[4:7], v2 offset:1200
	ds_load_b128 v[20:23], v2 offset:1216
	s_wait_loadcnt_dscnt 0x601
	v_mul_f64_e32 v[140:141], v[4:5], v[122:123]
	v_mul_f64_e32 v[122:123], v[6:7], v[122:123]
	v_add_f64_e32 v[18:19], v[108:109], v[112:113]
	v_add_f64_e32 v[108:109], v[114:115], v[152:153]
	s_wait_loadcnt_dscnt 0x500
	v_mul_f64_e32 v[112:113], v[20:21], v[126:127]
	v_mul_f64_e32 v[114:115], v[22:23], v[126:127]
	v_fmac_f64_e32 v[140:141], v[6:7], v[120:121]
	v_fma_f64 v[116:117], v[4:5], v[120:121], -v[122:123]
	v_add_f64_e32 v[118:119], v[18:19], v[16:17]
	v_add_f64_e32 v[108:109], v[108:109], v[110:111]
	ds_load_b128 v[4:7], v2 offset:1232
	ds_load_b128 v[16:19], v2 offset:1248
	v_fmac_f64_e32 v[112:113], v[22:23], v[124:125]
	v_fma_f64 v[20:21], v[20:21], v[124:125], -v[114:115]
	s_wait_loadcnt_dscnt 0x401
	v_mul_f64_e32 v[110:111], v[4:5], v[134:135]
	v_mul_f64_e32 v[120:121], v[6:7], v[134:135]
	s_wait_loadcnt_dscnt 0x300
	v_mul_f64_e32 v[114:115], v[16:17], v[146:147]
	v_add_f64_e32 v[22:23], v[118:119], v[116:117]
	v_add_f64_e32 v[108:109], v[108:109], v[140:141]
	v_mul_f64_e32 v[116:117], v[18:19], v[146:147]
	v_fmac_f64_e32 v[110:111], v[6:7], v[132:133]
	v_fma_f64 v[118:119], v[4:5], v[132:133], -v[120:121]
	v_fmac_f64_e32 v[114:115], v[18:19], v[144:145]
	v_add_f64_e32 v[120:121], v[22:23], v[20:21]
	v_add_f64_e32 v[108:109], v[108:109], v[112:113]
	ds_load_b128 v[4:7], v2 offset:1264
	ds_load_b128 v[20:23], v2 offset:1280
	v_fma_f64 v[16:17], v[16:17], v[144:145], -v[116:117]
	s_wait_loadcnt_dscnt 0x201
	v_mul_f64_e32 v[112:113], v[4:5], v[130:131]
	v_mul_f64_e32 v[122:123], v[6:7], v[130:131]
	v_add_f64_e32 v[18:19], v[120:121], v[118:119]
	v_add_f64_e32 v[108:109], v[108:109], v[110:111]
	s_wait_loadcnt_dscnt 0x100
	v_mul_f64_e32 v[110:111], v[20:21], v[10:11]
	v_mul_f64_e32 v[10:11], v[22:23], v[10:11]
	v_fmac_f64_e32 v[112:113], v[6:7], v[128:129]
	v_fma_f64 v[116:117], v[4:5], v[128:129], -v[122:123]
	ds_load_b128 v[4:7], v2 offset:1296
	v_add_f64_e32 v[16:17], v[18:19], v[16:17]
	v_add_f64_e32 v[18:19], v[108:109], v[114:115]
	v_fmac_f64_e32 v[110:111], v[22:23], v[8:9]
	v_fma_f64 v[8:9], v[20:21], v[8:9], -v[10:11]
	s_wait_loadcnt_dscnt 0x0
	v_mul_f64_e32 v[108:109], v[4:5], v[14:15]
	v_mul_f64_e32 v[14:15], v[6:7], v[14:15]
	v_add_f64_e32 v[10:11], v[16:17], v[116:117]
	v_add_f64_e32 v[16:17], v[18:19], v[112:113]
	s_delay_alu instid0(VALU_DEP_4) | instskip(NEXT) | instid1(VALU_DEP_4)
	v_fmac_f64_e32 v[108:109], v[6:7], v[12:13]
	v_fma_f64 v[4:5], v[4:5], v[12:13], -v[14:15]
	s_delay_alu instid0(VALU_DEP_4) | instskip(NEXT) | instid1(VALU_DEP_4)
	v_add_f64_e32 v[6:7], v[10:11], v[8:9]
	v_add_f64_e32 v[8:9], v[16:17], v[110:111]
	s_delay_alu instid0(VALU_DEP_2) | instskip(NEXT) | instid1(VALU_DEP_2)
	v_add_f64_e32 v[4:5], v[6:7], v[4:5]
	v_add_f64_e32 v[6:7], v[8:9], v[108:109]
	s_delay_alu instid0(VALU_DEP_2) | instskip(NEXT) | instid1(VALU_DEP_2)
	v_add_f64_e64 v[4:5], v[136:137], -v[4:5]
	v_add_f64_e64 v[6:7], v[138:139], -v[6:7]
	scratch_store_b128 off, v[4:7], off offset:16
	s_wait_xcnt 0x0
	v_cmpx_ne_u32_e32 0, v1
	s_cbranch_execz .LBB40_259
; %bb.258:
	scratch_load_b128 v[6:9], off, off
	v_dual_mov_b32 v3, v2 :: v_dual_mov_b32 v4, v2
	v_mov_b32_e32 v5, v2
	scratch_store_b128 off, v[2:5], off
	s_wait_loadcnt 0x0
	ds_store_b128 v106, v[6:9]
.LBB40_259:
	s_wait_xcnt 0x0
	s_or_b32 exec_lo, exec_lo, s2
	s_wait_storecnt_dscnt 0x0
	s_barrier_signal -1
	s_barrier_wait -1
	s_clause 0x9
	scratch_load_b128 v[4:7], off, off offset:16
	scratch_load_b128 v[8:11], off, off offset:32
	;; [unrolled: 1-line block ×10, first 2 shown]
	ds_load_b128 v[126:129], v2 offset:672
	ds_load_b128 v[134:137], v2 offset:688
	s_clause 0x2
	scratch_load_b128 v[130:133], off, off offset:176
	scratch_load_b128 v[138:141], off, off
	scratch_load_b128 v[142:145], off, off offset:192
	s_and_b32 vcc_lo, exec_lo, s53
	s_wait_loadcnt_dscnt 0xc01
	v_mul_f64_e32 v[146:147], v[128:129], v[6:7]
	v_mul_f64_e32 v[150:151], v[126:127], v[6:7]
	s_wait_loadcnt_dscnt 0xb00
	v_mul_f64_e32 v[152:153], v[134:135], v[10:11]
	v_mul_f64_e32 v[10:11], v[136:137], v[10:11]
	s_delay_alu instid0(VALU_DEP_4) | instskip(NEXT) | instid1(VALU_DEP_4)
	v_fma_f64 v[154:155], v[126:127], v[4:5], -v[146:147]
	v_fmac_f64_e32 v[150:151], v[128:129], v[4:5]
	ds_load_b128 v[4:7], v2 offset:704
	ds_load_b128 v[126:129], v2 offset:720
	scratch_load_b128 v[146:149], off, off offset:208
	v_fmac_f64_e32 v[152:153], v[136:137], v[8:9]
	v_fma_f64 v[134:135], v[134:135], v[8:9], -v[10:11]
	scratch_load_b128 v[8:11], off, off offset:224
	s_wait_loadcnt_dscnt 0xc01
	v_mul_f64_e32 v[156:157], v[4:5], v[14:15]
	v_mul_f64_e32 v[14:15], v[6:7], v[14:15]
	v_add_f64_e32 v[136:137], 0, v[154:155]
	v_add_f64_e32 v[150:151], 0, v[150:151]
	s_wait_loadcnt_dscnt 0xb00
	v_mul_f64_e32 v[154:155], v[126:127], v[18:19]
	v_mul_f64_e32 v[18:19], v[128:129], v[18:19]
	v_fmac_f64_e32 v[156:157], v[6:7], v[12:13]
	v_fma_f64 v[158:159], v[4:5], v[12:13], -v[14:15]
	ds_load_b128 v[4:7], v2 offset:736
	ds_load_b128 v[12:15], v2 offset:752
	v_add_f64_e32 v[160:161], v[136:137], v[134:135]
	v_add_f64_e32 v[150:151], v[150:151], v[152:153]
	scratch_load_b128 v[134:137], off, off offset:240
	v_fmac_f64_e32 v[154:155], v[128:129], v[16:17]
	v_fma_f64 v[126:127], v[126:127], v[16:17], -v[18:19]
	scratch_load_b128 v[16:19], off, off offset:256
	s_wait_loadcnt_dscnt 0xc01
	v_mul_f64_e32 v[152:153], v[4:5], v[22:23]
	v_mul_f64_e32 v[22:23], v[6:7], v[22:23]
	v_add_f64_e32 v[128:129], v[160:161], v[158:159]
	v_add_f64_e32 v[150:151], v[150:151], v[156:157]
	s_wait_loadcnt_dscnt 0xb00
	v_mul_f64_e32 v[156:157], v[12:13], v[108:109]
	v_mul_f64_e32 v[108:109], v[14:15], v[108:109]
	v_fmac_f64_e32 v[152:153], v[6:7], v[20:21]
	v_fma_f64 v[158:159], v[4:5], v[20:21], -v[22:23]
	ds_load_b128 v[4:7], v2 offset:768
	ds_load_b128 v[20:23], v2 offset:784
	v_add_f64_e32 v[160:161], v[128:129], v[126:127]
	v_add_f64_e32 v[150:151], v[150:151], v[154:155]
	scratch_load_b128 v[126:129], off, off offset:272
	s_wait_loadcnt_dscnt 0xb01
	v_mul_f64_e32 v[154:155], v[4:5], v[112:113]
	v_mul_f64_e32 v[112:113], v[6:7], v[112:113]
	v_fmac_f64_e32 v[156:157], v[14:15], v[106:107]
	v_fma_f64 v[106:107], v[12:13], v[106:107], -v[108:109]
	scratch_load_b128 v[12:15], off, off offset:288
	v_add_f64_e32 v[108:109], v[160:161], v[158:159]
	v_add_f64_e32 v[150:151], v[150:151], v[152:153]
	s_wait_loadcnt_dscnt 0xb00
	v_mul_f64_e32 v[152:153], v[20:21], v[116:117]
	v_mul_f64_e32 v[116:117], v[22:23], v[116:117]
	v_fmac_f64_e32 v[154:155], v[6:7], v[110:111]
	v_fma_f64 v[158:159], v[4:5], v[110:111], -v[112:113]
	v_add_f64_e32 v[160:161], v[108:109], v[106:107]
	v_add_f64_e32 v[150:151], v[150:151], v[156:157]
	ds_load_b128 v[4:7], v2 offset:800
	ds_load_b128 v[106:109], v2 offset:816
	scratch_load_b128 v[110:113], off, off offset:304
	v_fmac_f64_e32 v[152:153], v[22:23], v[114:115]
	v_fma_f64 v[114:115], v[20:21], v[114:115], -v[116:117]
	scratch_load_b128 v[20:23], off, off offset:320
	s_wait_loadcnt_dscnt 0xc01
	v_mul_f64_e32 v[156:157], v[4:5], v[120:121]
	v_mul_f64_e32 v[120:121], v[6:7], v[120:121]
	v_add_f64_e32 v[116:117], v[160:161], v[158:159]
	v_add_f64_e32 v[150:151], v[150:151], v[154:155]
	s_wait_loadcnt_dscnt 0xb00
	v_mul_f64_e32 v[154:155], v[106:107], v[124:125]
	v_mul_f64_e32 v[124:125], v[108:109], v[124:125]
	v_fmac_f64_e32 v[156:157], v[6:7], v[118:119]
	v_fma_f64 v[158:159], v[4:5], v[118:119], -v[120:121]
	v_add_f64_e32 v[160:161], v[116:117], v[114:115]
	v_add_f64_e32 v[150:151], v[150:151], v[152:153]
	ds_load_b128 v[4:7], v2 offset:832
	ds_load_b128 v[114:117], v2 offset:848
	scratch_load_b128 v[118:121], off, off offset:336
	v_fmac_f64_e32 v[154:155], v[108:109], v[122:123]
	v_fma_f64 v[122:123], v[106:107], v[122:123], -v[124:125]
	scratch_load_b128 v[106:109], off, off offset:352
	s_wait_loadcnt_dscnt 0xc01
	v_mul_f64_e32 v[152:153], v[4:5], v[132:133]
	v_mul_f64_e32 v[132:133], v[6:7], v[132:133]
	;; [unrolled: 18-line block ×5, first 2 shown]
	v_add_f64_e32 v[144:145], v[160:161], v[158:159]
	v_add_f64_e32 v[150:151], v[150:151], v[156:157]
	s_wait_loadcnt_dscnt 0xa00
	v_mul_f64_e32 v[156:157], v[122:123], v[14:15]
	v_mul_f64_e32 v[14:15], v[124:125], v[14:15]
	v_fmac_f64_e32 v[152:153], v[6:7], v[126:127]
	v_fma_f64 v[158:159], v[4:5], v[126:127], -v[128:129]
	ds_load_b128 v[4:7], v2 offset:960
	ds_load_b128 v[126:129], v2 offset:976
	v_add_f64_e32 v[160:161], v[144:145], v[142:143]
	v_add_f64_e32 v[150:151], v[150:151], v[154:155]
	scratch_load_b128 v[142:145], off, off offset:464
	v_fmac_f64_e32 v[156:157], v[124:125], v[12:13]
	v_fma_f64 v[122:123], v[122:123], v[12:13], -v[14:15]
	scratch_load_b128 v[12:15], off, off offset:480
	s_wait_loadcnt_dscnt 0xb01
	v_mul_f64_e32 v[154:155], v[4:5], v[112:113]
	v_mul_f64_e32 v[112:113], v[6:7], v[112:113]
	v_add_f64_e32 v[124:125], v[160:161], v[158:159]
	v_add_f64_e32 v[150:151], v[150:151], v[152:153]
	s_wait_loadcnt_dscnt 0xa00
	v_mul_f64_e32 v[152:153], v[126:127], v[22:23]
	v_mul_f64_e32 v[22:23], v[128:129], v[22:23]
	v_fmac_f64_e32 v[154:155], v[6:7], v[110:111]
	v_fma_f64 v[158:159], v[4:5], v[110:111], -v[112:113]
	ds_load_b128 v[4:7], v2 offset:992
	ds_load_b128 v[110:113], v2 offset:1008
	v_add_f64_e32 v[160:161], v[124:125], v[122:123]
	v_add_f64_e32 v[150:151], v[150:151], v[156:157]
	scratch_load_b128 v[122:125], off, off offset:496
	s_wait_loadcnt_dscnt 0xa01
	v_mul_f64_e32 v[156:157], v[4:5], v[120:121]
	v_mul_f64_e32 v[120:121], v[6:7], v[120:121]
	v_fmac_f64_e32 v[152:153], v[128:129], v[20:21]
	v_fma_f64 v[126:127], v[126:127], v[20:21], -v[22:23]
	scratch_load_b128 v[20:23], off, off offset:512
	v_add_f64_e32 v[128:129], v[160:161], v[158:159]
	v_add_f64_e32 v[150:151], v[150:151], v[154:155]
	s_wait_loadcnt_dscnt 0xa00
	v_mul_f64_e32 v[154:155], v[110:111], v[108:109]
	v_mul_f64_e32 v[108:109], v[112:113], v[108:109]
	v_fmac_f64_e32 v[156:157], v[6:7], v[118:119]
	v_fma_f64 v[158:159], v[4:5], v[118:119], -v[120:121]
	ds_load_b128 v[4:7], v2 offset:1024
	ds_load_b128 v[118:121], v2 offset:1040
	v_add_f64_e32 v[160:161], v[128:129], v[126:127]
	v_add_f64_e32 v[150:151], v[150:151], v[152:153]
	scratch_load_b128 v[126:129], off, off offset:528
	s_wait_loadcnt_dscnt 0xa01
	v_mul_f64_e32 v[152:153], v[4:5], v[132:133]
	v_mul_f64_e32 v[132:133], v[6:7], v[132:133]
	v_fmac_f64_e32 v[154:155], v[112:113], v[106:107]
	v_fma_f64 v[110:111], v[110:111], v[106:107], -v[108:109]
	scratch_load_b128 v[106:109], off, off offset:544
	v_add_f64_e32 v[112:113], v[160:161], v[158:159]
	v_add_f64_e32 v[150:151], v[150:151], v[156:157]
	s_wait_loadcnt_dscnt 0xa00
	v_mul_f64_e32 v[156:157], v[118:119], v[116:117]
	v_mul_f64_e32 v[116:117], v[120:121], v[116:117]
	v_fmac_f64_e32 v[152:153], v[6:7], v[130:131]
	v_fma_f64 v[158:159], v[4:5], v[130:131], -v[132:133]
	v_add_f64_e32 v[160:161], v[112:113], v[110:111]
	v_add_f64_e32 v[150:151], v[150:151], v[154:155]
	ds_load_b128 v[4:7], v2 offset:1056
	ds_load_b128 v[110:113], v2 offset:1072
	scratch_load_b128 v[130:133], off, off offset:560
	v_fmac_f64_e32 v[156:157], v[120:121], v[114:115]
	v_fma_f64 v[118:119], v[118:119], v[114:115], -v[116:117]
	scratch_load_b128 v[114:117], off, off offset:576
	s_wait_loadcnt_dscnt 0xb01
	v_mul_f64_e32 v[154:155], v[4:5], v[148:149]
	v_mul_f64_e32 v[148:149], v[6:7], v[148:149]
	v_add_f64_e32 v[120:121], v[160:161], v[158:159]
	v_add_f64_e32 v[150:151], v[150:151], v[152:153]
	s_wait_loadcnt_dscnt 0xa00
	v_mul_f64_e32 v[152:153], v[110:111], v[10:11]
	v_mul_f64_e32 v[10:11], v[112:113], v[10:11]
	v_fmac_f64_e32 v[154:155], v[6:7], v[146:147]
	v_fma_f64 v[158:159], v[4:5], v[146:147], -v[148:149]
	v_add_f64_e32 v[160:161], v[120:121], v[118:119]
	v_add_f64_e32 v[150:151], v[150:151], v[156:157]
	ds_load_b128 v[4:7], v2 offset:1088
	ds_load_b128 v[118:121], v2 offset:1104
	scratch_load_b128 v[146:149], off, off offset:592
	v_fmac_f64_e32 v[152:153], v[112:113], v[8:9]
	v_fma_f64 v[110:111], v[110:111], v[8:9], -v[10:11]
	scratch_load_b128 v[8:11], off, off offset:608
	s_wait_loadcnt_dscnt 0xb01
	v_mul_f64_e32 v[156:157], v[4:5], v[136:137]
	v_mul_f64_e32 v[136:137], v[6:7], v[136:137]
	;; [unrolled: 18-line block ×3, first 2 shown]
	v_add_f64_e32 v[120:121], v[160:161], v[158:159]
	v_add_f64_e32 v[150:151], v[150:151], v[156:157]
	s_wait_loadcnt_dscnt 0xa00
	v_mul_f64_e32 v[156:157], v[110:111], v[14:15]
	v_mul_f64_e32 v[14:15], v[112:113], v[14:15]
	v_fmac_f64_e32 v[152:153], v[6:7], v[142:143]
	v_fma_f64 v[142:143], v[4:5], v[142:143], -v[144:145]
	v_add_f64_e32 v[144:145], v[120:121], v[118:119]
	v_add_f64_e32 v[150:151], v[150:151], v[154:155]
	ds_load_b128 v[4:7], v2 offset:1152
	ds_load_b128 v[118:121], v2 offset:1168
	v_fmac_f64_e32 v[156:157], v[112:113], v[12:13]
	v_fma_f64 v[12:13], v[110:111], v[12:13], -v[14:15]
	s_wait_loadcnt_dscnt 0x901
	v_mul_f64_e32 v[154:155], v[4:5], v[124:125]
	v_mul_f64_e32 v[124:125], v[6:7], v[124:125]
	s_wait_loadcnt_dscnt 0x800
	v_mul_f64_e32 v[112:113], v[118:119], v[22:23]
	v_mul_f64_e32 v[22:23], v[120:121], v[22:23]
	v_add_f64_e32 v[14:15], v[144:145], v[142:143]
	v_add_f64_e32 v[110:111], v[150:151], v[152:153]
	v_fmac_f64_e32 v[154:155], v[6:7], v[122:123]
	v_fma_f64 v[122:123], v[4:5], v[122:123], -v[124:125]
	v_fmac_f64_e32 v[112:113], v[120:121], v[20:21]
	v_fma_f64 v[20:21], v[118:119], v[20:21], -v[22:23]
	v_add_f64_e32 v[124:125], v[14:15], v[12:13]
	v_add_f64_e32 v[110:111], v[110:111], v[156:157]
	ds_load_b128 v[4:7], v2 offset:1184
	ds_load_b128 v[12:15], v2 offset:1200
	s_wait_loadcnt_dscnt 0x701
	v_mul_f64_e32 v[142:143], v[4:5], v[128:129]
	v_mul_f64_e32 v[128:129], v[6:7], v[128:129]
	s_wait_loadcnt_dscnt 0x600
	v_mul_f64_e32 v[118:119], v[12:13], v[108:109]
	v_mul_f64_e32 v[108:109], v[14:15], v[108:109]
	v_add_f64_e32 v[22:23], v[124:125], v[122:123]
	v_add_f64_e32 v[110:111], v[110:111], v[154:155]
	v_fmac_f64_e32 v[142:143], v[6:7], v[126:127]
	v_fma_f64 v[120:121], v[4:5], v[126:127], -v[128:129]
	v_fmac_f64_e32 v[118:119], v[14:15], v[106:107]
	v_fma_f64 v[12:13], v[12:13], v[106:107], -v[108:109]
	v_add_f64_e32 v[122:123], v[22:23], v[20:21]
	v_add_f64_e32 v[110:111], v[110:111], v[112:113]
	ds_load_b128 v[4:7], v2 offset:1216
	ds_load_b128 v[20:23], v2 offset:1232
	s_wait_loadcnt_dscnt 0x501
	v_mul_f64_e32 v[112:113], v[4:5], v[132:133]
	v_mul_f64_e32 v[124:125], v[6:7], v[132:133]
	s_wait_loadcnt_dscnt 0x400
	v_mul_f64_e32 v[108:109], v[20:21], v[116:117]
	v_add_f64_e32 v[14:15], v[122:123], v[120:121]
	v_add_f64_e32 v[106:107], v[110:111], v[142:143]
	v_mul_f64_e32 v[110:111], v[22:23], v[116:117]
	v_fmac_f64_e32 v[112:113], v[6:7], v[130:131]
	v_fma_f64 v[116:117], v[4:5], v[130:131], -v[124:125]
	v_fmac_f64_e32 v[108:109], v[22:23], v[114:115]
	v_add_f64_e32 v[120:121], v[14:15], v[12:13]
	v_add_f64_e32 v[106:107], v[106:107], v[118:119]
	ds_load_b128 v[4:7], v2 offset:1248
	ds_load_b128 v[12:15], v2 offset:1264
	v_fma_f64 v[20:21], v[20:21], v[114:115], -v[110:111]
	s_wait_loadcnt_dscnt 0x301
	v_mul_f64_e32 v[118:119], v[4:5], v[148:149]
	v_mul_f64_e32 v[122:123], v[6:7], v[148:149]
	s_wait_loadcnt_dscnt 0x200
	v_mul_f64_e32 v[110:111], v[12:13], v[10:11]
	v_mul_f64_e32 v[10:11], v[14:15], v[10:11]
	v_add_f64_e32 v[22:23], v[120:121], v[116:117]
	v_add_f64_e32 v[106:107], v[106:107], v[112:113]
	v_lshl_add_u64 v[116:117], v[32:33], 4, s[4:5]
	v_lshl_add_u64 v[32:33], v[68:69], 4, s[4:5]
	;; [unrolled: 1-line block ×3, first 2 shown]
	v_fmac_f64_e32 v[118:119], v[6:7], v[146:147]
	v_fma_f64 v[112:113], v[4:5], v[146:147], -v[122:123]
	v_fmac_f64_e32 v[110:111], v[14:15], v[8:9]
	v_fma_f64 v[8:9], v[12:13], v[8:9], -v[10:11]
	v_add_f64_e32 v[114:115], v[22:23], v[20:21]
	v_add_f64_e32 v[106:107], v[106:107], v[108:109]
	ds_load_b128 v[4:7], v2 offset:1280
	ds_load_b128 v[20:23], v2 offset:1296
	s_wait_loadcnt_dscnt 0x101
	v_mul_f64_e32 v[2:3], v[4:5], v[136:137]
	v_mul_f64_e32 v[108:109], v[6:7], v[136:137]
	s_wait_loadcnt_dscnt 0x0
	v_mul_f64_e32 v[14:15], v[20:21], v[18:19]
	v_mul_f64_e32 v[18:19], v[22:23], v[18:19]
	v_add_f64_e32 v[10:11], v[114:115], v[112:113]
	v_add_f64_e32 v[12:13], v[106:107], v[118:119]
	v_lshl_add_u64 v[118:119], v[28:29], 4, s[4:5]
	v_lshl_add_u64 v[114:115], v[30:31], 4, s[4:5]
	;; [unrolled: 1-line block ×10, first 2 shown]
	v_fmac_f64_e32 v[2:3], v[6:7], v[134:135]
	v_fma_f64 v[4:5], v[4:5], v[134:135], -v[108:109]
	v_fmac_f64_e32 v[14:15], v[22:23], v[16:17]
	v_lshl_add_u64 v[108:109], v[40:41], 4, s[4:5]
	v_lshl_add_u64 v[22:23], v[62:63], 4, s[4:5]
	;; [unrolled: 1-line block ×4, first 2 shown]
	v_add_f64_e32 v[6:7], v[10:11], v[8:9]
	v_add_f64_e32 v[8:9], v[12:13], v[110:111]
	v_fma_f64 v[10:11], v[20:21], v[16:17], -v[18:19]
	v_lshl_add_u64 v[110:111], v[36:37], 4, s[4:5]
	v_lshl_add_u64 v[12:13], v[52:53], 4, s[4:5]
	;; [unrolled: 1-line block ×10, first 2 shown]
	v_add_f64_e32 v[4:5], v[6:7], v[4:5]
	v_add_f64_e32 v[2:3], v[8:9], v[2:3]
	s_delay_alu instid0(VALU_DEP_2) | instskip(NEXT) | instid1(VALU_DEP_2)
	v_add_f64_e32 v[6:7], v[4:5], v[10:11]
	v_add_f64_e32 v[8:9], v[2:3], v[14:15]
	v_lshl_add_u64 v[4:5], v[42:43], 4, s[4:5]
	v_lshl_add_u64 v[2:3], v[44:45], 4, s[4:5]
	;; [unrolled: 1-line block ×8, first 2 shown]
	v_add_f64_e64 v[120:121], v[138:139], -v[6:7]
	v_add_f64_e64 v[122:123], v[140:141], -v[8:9]
	v_lshl_add_u64 v[6:7], v[46:47], 4, s[4:5]
	v_lshl_add_u64 v[8:9], v[48:49], 4, s[4:5]
	;; [unrolled: 1-line block ×4, first 2 shown]
	scratch_store_b128 off, v[120:123], off
	s_cbranch_vccz .LBB40_340
; %bb.260:
	v_mov_b32_e32 v70, 0
	s_load_b64 s[2:3], s[0:1], 0x4
	v_bfe_u32 v72, v0, 10, 10
	v_bfe_u32 v0, v0, 20, 10
	global_load_b32 v71, v70, s[16:17] offset:156
	s_wait_kmcnt 0x0
	s_lshr_b32 s0, s2, 16
	v_mul_u32_u24_e32 v72, s3, v72
	s_mul_i32 s0, s0, s3
	s_delay_alu instid0(SALU_CYCLE_1) | instskip(NEXT) | instid1(VALU_DEP_1)
	v_mul_u32_u24_e32 v1, s0, v1
	v_add3_u32 v0, v1, v72, v0
	s_delay_alu instid0(VALU_DEP_1)
	v_lshl_add_u32 v0, v0, 4, 0x528
	s_wait_loadcnt 0x0
	v_cmp_ne_u32_e32 vcc_lo, 40, v71
	s_cbranch_vccz .LBB40_262
; %bb.261:
	v_lshlrev_b32_e32 v1, 4, v71
	s_clause 0x1
	scratch_load_b128 v[72:75], off, s21
	scratch_load_b128 v[76:79], v1, off offset:-16
	s_wait_loadcnt 0x1
	ds_store_2addr_b64 v0, v[72:73], v[74:75] offset1:1
	s_wait_loadcnt 0x0
	s_clause 0x1
	scratch_store_b128 off, v[76:79], s21
	scratch_store_b128 v1, v[72:75], off offset:-16
.LBB40_262:
	global_load_b32 v1, v70, s[16:17] offset:152
	s_wait_loadcnt 0x0
	v_cmp_eq_u32_e32 vcc_lo, 39, v1
	s_cbranch_vccnz .LBB40_264
; %bb.263:
	v_lshlrev_b32_e32 v1, 4, v1
	s_clause 0x1
	scratch_load_b128 v[70:73], off, s25
	scratch_load_b128 v[74:77], v1, off offset:-16
	s_wait_loadcnt 0x1
	ds_store_2addr_b64 v0, v[70:71], v[72:73] offset1:1
	s_wait_loadcnt 0x0
	s_clause 0x1
	scratch_store_b128 off, v[74:77], s25
	scratch_store_b128 v1, v[70:73], off offset:-16
.LBB40_264:
	s_wait_xcnt 0x0
	v_mov_b32_e32 v1, 0
	global_load_b32 v70, v1, s[16:17] offset:148
	s_wait_loadcnt 0x0
	v_cmp_eq_u32_e32 vcc_lo, 38, v70
	s_cbranch_vccnz .LBB40_266
; %bb.265:
	v_lshlrev_b32_e32 v70, 4, v70
	s_delay_alu instid0(VALU_DEP_1)
	v_mov_b32_e32 v78, v70
	s_clause 0x1
	scratch_load_b128 v[70:73], off, s8
	scratch_load_b128 v[74:77], v78, off offset:-16
	s_wait_loadcnt 0x1
	ds_store_2addr_b64 v0, v[70:71], v[72:73] offset1:1
	s_wait_loadcnt 0x0
	s_clause 0x1
	scratch_store_b128 off, v[74:77], s8
	scratch_store_b128 v78, v[70:73], off offset:-16
.LBB40_266:
	global_load_b32 v1, v1, s[16:17] offset:144
	s_wait_loadcnt 0x0
	v_cmp_eq_u32_e32 vcc_lo, 37, v1
	s_cbranch_vccnz .LBB40_268
; %bb.267:
	s_wait_xcnt 0x0
	v_lshlrev_b32_e32 v1, 4, v1
	s_clause 0x1
	scratch_load_b128 v[70:73], off, s10
	scratch_load_b128 v[74:77], v1, off offset:-16
	s_wait_loadcnt 0x1
	ds_store_2addr_b64 v0, v[70:71], v[72:73] offset1:1
	s_wait_loadcnt 0x0
	s_clause 0x1
	scratch_store_b128 off, v[74:77], s10
	scratch_store_b128 v1, v[70:73], off offset:-16
.LBB40_268:
	s_wait_xcnt 0x0
	v_mov_b32_e32 v1, 0
	global_load_b32 v70, v1, s[16:17] offset:140
	s_wait_loadcnt 0x0
	v_cmp_eq_u32_e32 vcc_lo, 36, v70
	s_cbranch_vccnz .LBB40_270
; %bb.269:
	v_lshlrev_b32_e32 v70, 4, v70
	s_delay_alu instid0(VALU_DEP_1)
	v_mov_b32_e32 v78, v70
	s_clause 0x1
	scratch_load_b128 v[70:73], off, s9
	scratch_load_b128 v[74:77], v78, off offset:-16
	s_wait_loadcnt 0x1
	ds_store_2addr_b64 v0, v[70:71], v[72:73] offset1:1
	s_wait_loadcnt 0x0
	s_clause 0x1
	scratch_store_b128 off, v[74:77], s9
	scratch_store_b128 v78, v[70:73], off offset:-16
.LBB40_270:
	global_load_b32 v1, v1, s[16:17] offset:136
	s_wait_loadcnt 0x0
	v_cmp_eq_u32_e32 vcc_lo, 35, v1
	s_cbranch_vccnz .LBB40_272
; %bb.271:
	s_wait_xcnt 0x0
	v_lshlrev_b32_e32 v1, 4, v1
	s_clause 0x1
	scratch_load_b128 v[70:73], off, s12
	scratch_load_b128 v[74:77], v1, off offset:-16
	s_wait_loadcnt 0x1
	ds_store_2addr_b64 v0, v[70:71], v[72:73] offset1:1
	s_wait_loadcnt 0x0
	s_clause 0x1
	scratch_store_b128 off, v[74:77], s12
	scratch_store_b128 v1, v[70:73], off offset:-16
.LBB40_272:
	;; [unrolled: 37-line block ×18, first 2 shown]
	s_wait_xcnt 0x0
	v_mov_b32_e32 v1, 0
	global_load_b32 v70, v1, s[16:17] offset:4
	s_wait_loadcnt 0x0
	v_cmp_eq_u32_e32 vcc_lo, 2, v70
	s_cbranch_vccnz .LBB40_338
; %bb.337:
	v_lshlrev_b32_e32 v70, 4, v70
	s_delay_alu instid0(VALU_DEP_1)
	v_mov_b32_e32 v78, v70
	s_clause 0x1
	scratch_load_b128 v[70:73], off, s41
	scratch_load_b128 v[74:77], v78, off offset:-16
	s_wait_loadcnt 0x1
	ds_store_2addr_b64 v0, v[70:71], v[72:73] offset1:1
	s_wait_loadcnt 0x0
	s_clause 0x1
	scratch_store_b128 off, v[74:77], s41
	scratch_store_b128 v78, v[70:73], off offset:-16
.LBB40_338:
	global_load_b32 v1, v1, s[16:17]
	s_wait_loadcnt 0x0
	v_cmp_eq_u32_e32 vcc_lo, 1, v1
	s_cbranch_vccnz .LBB40_340
; %bb.339:
	s_wait_xcnt 0x0
	v_lshlrev_b32_e32 v1, 4, v1
	scratch_load_b128 v[70:73], off, off
	scratch_load_b128 v[74:77], v1, off offset:-16
	s_wait_loadcnt 0x1
	ds_store_2addr_b64 v0, v[70:71], v[72:73] offset1:1
	s_wait_loadcnt 0x0
	scratch_store_b128 off, v[74:77], off
	scratch_store_b128 v1, v[70:73], off offset:-16
.LBB40_340:
	scratch_load_b128 v[70:73], off, off
	s_clause 0x17
	scratch_load_b128 v[74:77], off, s41
	scratch_load_b128 v[78:81], off, s36
	;; [unrolled: 1-line block ×15, first 2 shown]
	; meta instruction
	; meta instruction
	;; [unrolled: 1-line block ×15, first 2 shown]
	scratch_load_b128 v[148:151], off, s26
	scratch_load_b128 v[152:155], off, s28
	;; [unrolled: 1-line block ×9, first 2 shown]
	s_wait_loadcnt 0x18
	global_store_b128 v[24:25], v[70:73], off
	s_clause 0x1
	scratch_load_b128 v[70:73], off, s27
	scratch_load_b128 v[184:187], off, s30
	s_wait_loadcnt 0x19
	global_store_b128 v[26:27], v[74:77], off
	s_clause 0x1
	scratch_load_b128 v[24:27], off, s23
	scratch_load_b128 v[74:77], off, s24
	;; [unrolled: 5-line block ×3, first 2 shown]
	s_wait_loadcnt 0x1b
	global_store_b128 v[114:115], v[82:85], off
	s_wait_loadcnt 0x1a
	global_store_b128 v[116:117], v[86:89], off
	s_clause 0x1
	scratch_load_b128 v[82:85], off, s13
	scratch_load_b128 v[86:89], off, s14
	s_wait_loadcnt 0x1b
	global_store_b128 v[112:113], v[90:93], off
	s_clause 0x1
	scratch_load_b128 v[90:93], off, s11
	scratch_load_b128 v[112:115], off, s12
	;; [unrolled: 5-line block ×3, first 2 shown]
	s_wait_loadcnt 0x1d
	global_store_b128 v[106:107], v[98:101], off
	s_wait_loadcnt 0x1c
	global_store_b128 v[108:109], v[102:105], off
	s_clause 0x1
	scratch_load_b128 v[98:101], off, s8
	scratch_load_b128 v[102:105], off, s25
	s_wait_loadcnt 0x1d
	global_store_b128 v[4:5], v[120:123], off
	s_clause 0x1
	scratch_load_b128 v[106:109], off, s21
	scratch_load_b128 v[120:123], off, s22
	s_wait_loadcnt 0x1e
	global_store_b128 v[2:3], v[124:127], off
	s_wait_loadcnt 0x1d
	global_store_b128 v[6:7], v[128:131], off
	;; [unrolled: 2-line block ×31, first 2 shown]
	s_sendmsg sendmsg(MSG_DEALLOC_VGPRS)
	s_endpgm
	.section	.rodata,"a",@progbits
	.p2align	6, 0x0
	.amdhsa_kernel _ZN9rocsolver6v33100L18getri_kernel_smallILi41E19rocblas_complex_numIdEPS3_EEvT1_iilPiilS6_bb
		.amdhsa_group_segment_fixed_size 2344
		.amdhsa_private_segment_fixed_size 672
		.amdhsa_kernarg_size 60
		.amdhsa_user_sgpr_count 4
		.amdhsa_user_sgpr_dispatch_ptr 1
		.amdhsa_user_sgpr_queue_ptr 0
		.amdhsa_user_sgpr_kernarg_segment_ptr 1
		.amdhsa_user_sgpr_dispatch_id 0
		.amdhsa_user_sgpr_kernarg_preload_length 0
		.amdhsa_user_sgpr_kernarg_preload_offset 0
		.amdhsa_user_sgpr_private_segment_size 0
		.amdhsa_wavefront_size32 1
		.amdhsa_uses_dynamic_stack 0
		.amdhsa_enable_private_segment 1
		.amdhsa_system_sgpr_workgroup_id_x 1
		.amdhsa_system_sgpr_workgroup_id_y 0
		.amdhsa_system_sgpr_workgroup_id_z 0
		.amdhsa_system_sgpr_workgroup_info 0
		.amdhsa_system_vgpr_workitem_id 2
		.amdhsa_next_free_vgpr 196
		.amdhsa_next_free_sgpr 71
		.amdhsa_named_barrier_count 0
		.amdhsa_reserve_vcc 1
		.amdhsa_float_round_mode_32 0
		.amdhsa_float_round_mode_16_64 0
		.amdhsa_float_denorm_mode_32 3
		.amdhsa_float_denorm_mode_16_64 3
		.amdhsa_fp16_overflow 0
		.amdhsa_memory_ordered 1
		.amdhsa_forward_progress 1
		.amdhsa_inst_pref_size 255
		.amdhsa_round_robin_scheduling 0
		.amdhsa_exception_fp_ieee_invalid_op 0
		.amdhsa_exception_fp_denorm_src 0
		.amdhsa_exception_fp_ieee_div_zero 0
		.amdhsa_exception_fp_ieee_overflow 0
		.amdhsa_exception_fp_ieee_underflow 0
		.amdhsa_exception_fp_ieee_inexact 0
		.amdhsa_exception_int_div_zero 0
	.end_amdhsa_kernel
	.section	.text._ZN9rocsolver6v33100L18getri_kernel_smallILi41E19rocblas_complex_numIdEPS3_EEvT1_iilPiilS6_bb,"axG",@progbits,_ZN9rocsolver6v33100L18getri_kernel_smallILi41E19rocblas_complex_numIdEPS3_EEvT1_iilPiilS6_bb,comdat
.Lfunc_end40:
	.size	_ZN9rocsolver6v33100L18getri_kernel_smallILi41E19rocblas_complex_numIdEPS3_EEvT1_iilPiilS6_bb, .Lfunc_end40-_ZN9rocsolver6v33100L18getri_kernel_smallILi41E19rocblas_complex_numIdEPS3_EEvT1_iilPiilS6_bb
                                        ; -- End function
	.set _ZN9rocsolver6v33100L18getri_kernel_smallILi41E19rocblas_complex_numIdEPS3_EEvT1_iilPiilS6_bb.num_vgpr, 196
	.set _ZN9rocsolver6v33100L18getri_kernel_smallILi41E19rocblas_complex_numIdEPS3_EEvT1_iilPiilS6_bb.num_agpr, 0
	.set _ZN9rocsolver6v33100L18getri_kernel_smallILi41E19rocblas_complex_numIdEPS3_EEvT1_iilPiilS6_bb.numbered_sgpr, 71
	.set _ZN9rocsolver6v33100L18getri_kernel_smallILi41E19rocblas_complex_numIdEPS3_EEvT1_iilPiilS6_bb.num_named_barrier, 0
	.set _ZN9rocsolver6v33100L18getri_kernel_smallILi41E19rocblas_complex_numIdEPS3_EEvT1_iilPiilS6_bb.private_seg_size, 672
	.set _ZN9rocsolver6v33100L18getri_kernel_smallILi41E19rocblas_complex_numIdEPS3_EEvT1_iilPiilS6_bb.uses_vcc, 1
	.set _ZN9rocsolver6v33100L18getri_kernel_smallILi41E19rocblas_complex_numIdEPS3_EEvT1_iilPiilS6_bb.uses_flat_scratch, 1
	.set _ZN9rocsolver6v33100L18getri_kernel_smallILi41E19rocblas_complex_numIdEPS3_EEvT1_iilPiilS6_bb.has_dyn_sized_stack, 0
	.set _ZN9rocsolver6v33100L18getri_kernel_smallILi41E19rocblas_complex_numIdEPS3_EEvT1_iilPiilS6_bb.has_recursion, 0
	.set _ZN9rocsolver6v33100L18getri_kernel_smallILi41E19rocblas_complex_numIdEPS3_EEvT1_iilPiilS6_bb.has_indirect_call, 0
	.section	.AMDGPU.csdata,"",@progbits
; Kernel info:
; codeLenInByte = 68308
; TotalNumSgprs: 73
; NumVgprs: 196
; ScratchSize: 672
; MemoryBound: 0
; FloatMode: 240
; IeeeMode: 1
; LDSByteSize: 2344 bytes/workgroup (compile time only)
; SGPRBlocks: 0
; VGPRBlocks: 12
; NumSGPRsForWavesPerEU: 73
; NumVGPRsForWavesPerEU: 196
; NamedBarCnt: 0
; Occupancy: 4
; WaveLimiterHint : 1
; COMPUTE_PGM_RSRC2:SCRATCH_EN: 1
; COMPUTE_PGM_RSRC2:USER_SGPR: 4
; COMPUTE_PGM_RSRC2:TRAP_HANDLER: 0
; COMPUTE_PGM_RSRC2:TGID_X_EN: 1
; COMPUTE_PGM_RSRC2:TGID_Y_EN: 0
; COMPUTE_PGM_RSRC2:TGID_Z_EN: 0
; COMPUTE_PGM_RSRC2:TIDIG_COMP_CNT: 2
	.section	.text._ZN9rocsolver6v33100L18getri_kernel_smallILi42E19rocblas_complex_numIdEPS3_EEvT1_iilPiilS6_bb,"axG",@progbits,_ZN9rocsolver6v33100L18getri_kernel_smallILi42E19rocblas_complex_numIdEPS3_EEvT1_iilPiilS6_bb,comdat
	.globl	_ZN9rocsolver6v33100L18getri_kernel_smallILi42E19rocblas_complex_numIdEPS3_EEvT1_iilPiilS6_bb ; -- Begin function _ZN9rocsolver6v33100L18getri_kernel_smallILi42E19rocblas_complex_numIdEPS3_EEvT1_iilPiilS6_bb
	.p2align	8
	.type	_ZN9rocsolver6v33100L18getri_kernel_smallILi42E19rocblas_complex_numIdEPS3_EEvT1_iilPiilS6_bb,@function
_ZN9rocsolver6v33100L18getri_kernel_smallILi42E19rocblas_complex_numIdEPS3_EEvT1_iilPiilS6_bb: ; @_ZN9rocsolver6v33100L18getri_kernel_smallILi42E19rocblas_complex_numIdEPS3_EEvT1_iilPiilS6_bb
; %bb.0:
	v_and_b32_e32 v1, 0x3ff, v0
	s_mov_b32 s4, exec_lo
	s_delay_alu instid0(VALU_DEP_1)
	v_cmpx_gt_u32_e32 42, v1
	s_cbranch_execz .LBB41_182
; %bb.1:
	s_clause 0x2
	s_load_b32 s8, s[2:3], 0x38
	s_load_b128 s[12:15], s[2:3], 0x10
	s_load_b128 s[4:7], s[2:3], 0x28
	s_getreg_b32 s11, hwreg(HW_REG_IB_STS2, 6, 4)
                                        ; implicit-def: $sgpr16_sgpr17
	s_wait_kmcnt 0x0
	s_bitcmp1_b32 s8, 8
	s_cselect_b32 s54, -1, 0
	s_bfe_u32 s9, ttmp6, 0x4000c
	s_and_b32 s10, ttmp6, 15
	s_add_co_i32 s9, s9, 1
	s_delay_alu instid0(SALU_CYCLE_1) | instskip(NEXT) | instid1(SALU_CYCLE_1)
	s_mul_i32 s9, ttmp9, s9
	s_add_co_i32 s10, s10, s9
	s_cmp_eq_u32 s11, 0
	s_cselect_b32 s18, ttmp9, s10
	s_bfe_u32 s8, s8, 0x10008
	s_ashr_i32 s19, s18, 31
	s_cmp_eq_u32 s8, 0
	s_cbranch_scc1 .LBB41_3
; %bb.2:
	s_load_b32 s8, s[2:3], 0x20
	s_mul_u64 s[4:5], s[4:5], s[18:19]
	s_delay_alu instid0(SALU_CYCLE_1) | instskip(NEXT) | instid1(SALU_CYCLE_1)
	s_lshl_b64 s[4:5], s[4:5], 2
	s_add_nc_u64 s[4:5], s[14:15], s[4:5]
	s_wait_kmcnt 0x0
	s_ashr_i32 s9, s8, 31
	s_delay_alu instid0(SALU_CYCLE_1) | instskip(NEXT) | instid1(SALU_CYCLE_1)
	s_lshl_b64 s[8:9], s[8:9], 2
	s_add_nc_u64 s[16:17], s[4:5], s[8:9]
.LBB41_3:
	s_clause 0x1
	s_load_b128 s[8:11], s[2:3], 0x0
	s_load_b32 s55, s[2:3], 0x38
	s_wait_xcnt 0x0
	s_mul_u64 s[2:3], s[12:13], s[18:19]
	s_movk_i32 s21, 0x100
	s_lshl_b64 s[2:3], s[2:3], 4
	s_movk_i32 s27, 0x150
	s_movk_i32 s35, 0x190
	;; [unrolled: 1-line block ×15, first 2 shown]
	s_wait_kmcnt 0x0
	v_add3_u32 v28, s11, s11, v1
	s_ashr_i32 s5, s10, 31
	s_mov_b32 s4, s10
	s_add_nc_u64 s[2:3], s[8:9], s[2:3]
	s_lshl_b64 s[4:5], s[4:5], 4
	v_dual_add_nc_u32 v30, s11, v28 :: v_dual_lshlrev_b32 v14, 4, v1
	s_add_nc_u64 s[4:5], s[2:3], s[4:5]
	s_ashr_i32 s3, s11, 31
	s_mov_b32 s2, s11
	s_delay_alu instid0(VALU_DEP_1)
	v_dual_mov_b32 v15, 0 :: v_dual_add_nc_u32 v32, s11, v30
	s_clause 0x1
	global_load_b128 v[2:5], v28, s[4:5] scale_offset
	global_load_b128 v[6:9], v30, s[4:5] scale_offset
	s_movk_i32 s68, 0x270
	s_movk_i32 s69, 0x280
	v_add_nc_u32_e32 v34, s11, v32
	v_add_nc_u64_e32 v[24:25], s[4:5], v[14:15]
	global_load_b128 v[10:13], v32, s[4:5] scale_offset
	s_movk_i32 s70, 0x290
	s_mov_b32 s42, 16
	v_add_nc_u32_e32 v36, s11, v34
	s_mov_b32 s38, 32
	s_mov_b32 s39, 48
	v_lshl_add_u64 v[26:27], s[2:3], 4, v[24:25]
	s_mov_b32 s40, 64
	v_add_nc_u32_e32 v38, s11, v36
	s_clause 0x1
	global_load_b128 v[16:19], v1, s[4:5] scale_offset
	global_load_b128 v[20:23], v[26:27], off
	s_movk_i32 s45, 0x50
	s_movk_i32 s47, 0x60
	v_add_nc_u32_e32 v40, s11, v38
	s_movk_i32 s50, 0x70
	s_movk_i32 s43, 0x80
	;; [unrolled: 1-line block ×4, first 2 shown]
	v_add_nc_u32_e32 v42, s11, v40
	s_clause 0x1
	global_load_b128 v[100:103], v34, s[4:5] scale_offset
	global_load_b128 v[104:107], v36, s[4:5] scale_offset
	s_movk_i32 s49, 0xb0
	s_movk_i32 s51, 0xc0
	;; [unrolled: 1-line block ×3, first 2 shown]
	v_add_nc_u32_e32 v44, s11, v42
	s_clause 0x2
	global_load_b128 v[108:111], v38, s[4:5] scale_offset
	global_load_b128 v[112:115], v40, s[4:5] scale_offset
	;; [unrolled: 1-line block ×3, first 2 shown]
	s_movk_i32 s53, 0xe0
	s_movk_i32 s48, 0xf0
	;; [unrolled: 1-line block ×3, first 2 shown]
	v_add_nc_u32_e32 v46, s11, v44
	s_movk_i32 s30, 0x120
	s_movk_i32 s33, 0x130
	;; [unrolled: 1-line block ×4, first 2 shown]
	v_add_nc_u32_e32 v48, s11, v46
	s_movk_i32 s34, 0x170
	s_movk_i32 s37, 0x180
	s_mov_b32 s20, s21
	s_mov_b32 s24, s27
	v_add_nc_u32_e32 v50, s11, v48
	s_mov_b32 s21, s35
	s_mov_b32 s25, s41
	;; [unrolled: 1-line block ×4, first 2 shown]
	v_add_nc_u32_e32 v52, s11, v50
	s_clause 0x1
	global_load_b128 v[120:123], v44, s[4:5] scale_offset
	global_load_b128 v[124:127], v46, s[4:5] scale_offset
	s_mov_b32 s12, s58
	s_mov_b32 s13, s59
	;; [unrolled: 1-line block ×3, first 2 shown]
	v_add_nc_u32_e32 v54, s11, v52
	s_mov_b32 s8, s62
	s_mov_b32 s9, s63
	;; [unrolled: 1-line block ×4, first 2 shown]
	v_add_nc_u32_e32 v56, s11, v54
	s_clause 0x2
	global_load_b128 v[128:131], v48, s[4:5] scale_offset
	global_load_b128 v[132:135], v50, s[4:5] scale_offset
	;; [unrolled: 1-line block ×3, first 2 shown]
	s_mov_b32 s27, s66
	s_clause 0x1
	global_load_b128 v[140:143], v54, s[4:5] scale_offset
	global_load_b128 v[144:147], v56, s[4:5] scale_offset
	v_add_nc_u32_e32 v58, s11, v56
	s_mov_b32 s29, s67
	s_mov_b32 s22, s68
	;; [unrolled: 1-line block ×4, first 2 shown]
	v_add_nc_u32_e32 v60, s11, v58
	s_bitcmp0_b32 s55, 0
	s_mov_b32 s3, -1
	s_delay_alu instid0(VALU_DEP_1) | instskip(NEXT) | instid1(VALU_DEP_1)
	v_add_nc_u32_e32 v62, s11, v60
	v_add_nc_u32_e32 v64, s11, v62
	s_delay_alu instid0(VALU_DEP_1) | instskip(NEXT) | instid1(VALU_DEP_1)
	v_add_nc_u32_e32 v66, s11, v64
	v_add_nc_u32_e32 v68, s11, v66
	s_clause 0x2
	global_load_b128 v[148:151], v58, s[4:5] scale_offset
	global_load_b128 v[152:155], v60, s[4:5] scale_offset
	;; [unrolled: 1-line block ×3, first 2 shown]
	v_add_nc_u32_e32 v70, s11, v68
	s_delay_alu instid0(VALU_DEP_1) | instskip(NEXT) | instid1(VALU_DEP_1)
	v_add_nc_u32_e32 v72, s11, v70
	v_add_nc_u32_e32 v74, s11, v72
	s_delay_alu instid0(VALU_DEP_1)
	v_add_nc_u32_e32 v76, s11, v74
	s_clause 0x3
	global_load_b128 v[160:163], v64, s[4:5] scale_offset
	global_load_b128 v[164:167], v66, s[4:5] scale_offset
	;; [unrolled: 1-line block ×4, first 2 shown]
	v_add_nc_u32_e32 v78, s11, v76
	s_delay_alu instid0(VALU_DEP_1)
	v_add_nc_u32_e32 v80, s11, v78
	s_clause 0x3
	global_load_b128 v[176:179], v72, s[4:5] scale_offset
	global_load_b128 v[180:183], v74, s[4:5] scale_offset
	;; [unrolled: 1-line block ×4, first 2 shown]
	s_wait_loadcnt 0x1b
	scratch_store_b128 off, v[2:5], off offset:32
	s_wait_loadcnt 0x1a
	scratch_store_b128 off, v[6:9], off offset:48
	v_add_nc_u32_e32 v82, s11, v80
	s_delay_alu instid0(VALU_DEP_1) | instskip(NEXT) | instid1(VALU_DEP_1)
	v_add_nc_u32_e32 v84, s11, v82
	v_add_nc_u32_e32 v86, s11, v84
	s_delay_alu instid0(VALU_DEP_1)
	v_add_nc_u32_e32 v88, s11, v86
	s_clause 0x1
	global_load_b128 v[2:5], v80, s[4:5] scale_offset
	global_load_b128 v[6:9], v82, s[4:5] scale_offset
	s_wait_loadcnt 0x1b
	scratch_store_b128 off, v[10:13], off offset:64
	s_wait_loadcnt 0x1a
	scratch_store_b128 off, v[16:19], off
	s_wait_loadcnt 0x19
	scratch_store_b128 off, v[20:23], off offset:16
	v_add_nc_u32_e32 v90, s11, v88
	s_delay_alu instid0(VALU_DEP_1)
	v_add_nc_u32_e32 v92, s11, v90
	s_clause 0x1
	global_load_b128 v[10:13], v84, s[4:5] scale_offset
	global_load_b128 v[16:19], v86, s[4:5] scale_offset
	s_wait_loadcnt 0x1a
	scratch_store_b128 off, v[100:103], off offset:80
	s_wait_loadcnt 0x19
	scratch_store_b128 off, v[104:107], off offset:96
	s_clause 0x1
	global_load_b128 v[20:23], v88, s[4:5] scale_offset
	global_load_b128 v[192:195], v90, s[4:5] scale_offset
	s_wait_loadcnt 0x1a
	scratch_store_b128 off, v[108:111], off offset:112
	v_add_nc_u32_e32 v94, s11, v92
	s_wait_loadcnt 0x19
	scratch_store_b128 off, v[112:115], off offset:128
	s_wait_loadcnt 0x18
	scratch_store_b128 off, v[116:119], off offset:144
	v_add_nc_u32_e32 v96, s11, v94
	s_delay_alu instid0(VALU_DEP_1) | instskip(SKIP_1) | instid1(VALU_DEP_1)
	v_add_nc_u32_e32 v98, s11, v96
	s_wait_xcnt 0x6
	v_add_nc_u32_e32 v100, s11, v98
	s_clause 0x1
	global_load_b128 v[108:111], v92, s[4:5] scale_offset
	global_load_b128 v[112:115], v94, s[4:5] scale_offset
	s_wait_loadcnt 0x19
	scratch_store_b128 off, v[120:123], off offset:160
	s_wait_loadcnt 0x18
	scratch_store_b128 off, v[124:127], off offset:176
	v_add_nc_u32_e32 v102, s11, v100
	s_delay_alu instid0(VALU_DEP_1)
	v_add_nc_u32_e32 v104, s11, v102
	s_clause 0x1
	global_load_b128 v[116:119], v96, s[4:5] scale_offset
	global_load_b128 v[120:123], v98, s[4:5] scale_offset
	s_wait_loadcnt 0x19
	scratch_store_b128 off, v[128:131], off offset:192
	s_wait_loadcnt 0x18
	scratch_store_b128 off, v[132:135], off offset:208
	s_clause 0x1
	global_load_b128 v[124:127], v100, s[4:5] scale_offset
	global_load_b128 v[128:131], v102, s[4:5] scale_offset
	v_add_nc_u32_e32 v106, s11, v104
	s_wait_loadcnt 0x19
	scratch_store_b128 off, v[136:139], off offset:224
	s_wait_loadcnt 0x18
	scratch_store_b128 off, v[140:143], off offset:240
	;; [unrolled: 2-line block ×3, first 2 shown]
	s_clause 0x1
	global_load_b128 v[132:135], v104, s[4:5] scale_offset
	global_load_b128 v[136:139], v106, s[4:5] scale_offset
	s_mov_b32 s11, s61
	s_wait_loadcnt 0x18
	scratch_store_b128 off, v[148:151], off offset:272
	s_wait_loadcnt 0x17
	scratch_store_b128 off, v[152:155], off offset:288
	;; [unrolled: 2-line block ×25, first 2 shown]
	s_cbranch_scc1 .LBB41_180
; %bb.4:
	v_cmp_eq_u32_e64 s2, 0, v1
	s_wait_xcnt 0x0
	s_and_saveexec_b32 s3, s2
; %bb.5:
	v_mov_b32_e32 v2, 0
	ds_store_b32 v2, v2 offset:1344
; %bb.6:
	s_or_b32 exec_lo, exec_lo, s3
	s_wait_storecnt_dscnt 0x0
	s_barrier_signal -1
	s_barrier_wait -1
	scratch_load_b128 v[2:5], v1, off scale_offset
	s_wait_loadcnt 0x0
	v_cmp_eq_f64_e32 vcc_lo, 0, v[2:3]
	v_cmp_eq_f64_e64 s3, 0, v[4:5]
	s_and_b32 s3, vcc_lo, s3
	s_delay_alu instid0(SALU_CYCLE_1)
	s_and_saveexec_b32 s55, s3
	s_cbranch_execz .LBB41_10
; %bb.7:
	v_mov_b32_e32 v2, 0
	s_mov_b32 s56, 0
	ds_load_b32 v3, v2 offset:1344
	s_wait_dscnt 0x0
	v_readfirstlane_b32 s3, v3
	v_add_nc_u32_e32 v3, 1, v1
	s_cmp_eq_u32 s3, 0
	s_delay_alu instid0(VALU_DEP_1) | instskip(SKIP_1) | instid1(SALU_CYCLE_1)
	v_cmp_gt_i32_e32 vcc_lo, s3, v3
	s_cselect_b32 s57, -1, 0
	s_or_b32 s57, s57, vcc_lo
	s_delay_alu instid0(SALU_CYCLE_1)
	s_and_b32 exec_lo, exec_lo, s57
	s_cbranch_execz .LBB41_10
; %bb.8:
	v_mov_b32_e32 v4, s3
.LBB41_9:                               ; =>This Inner Loop Header: Depth=1
	ds_cmpstore_rtn_b32 v4, v2, v3, v4 offset:1344
	s_wait_dscnt 0x0
	v_cmp_ne_u32_e32 vcc_lo, 0, v4
	v_cmp_le_i32_e64 s3, v4, v3
	s_and_b32 s3, vcc_lo, s3
	s_delay_alu instid0(SALU_CYCLE_1) | instskip(NEXT) | instid1(SALU_CYCLE_1)
	s_and_b32 s3, exec_lo, s3
	s_or_b32 s56, s3, s56
	s_delay_alu instid0(SALU_CYCLE_1)
	s_and_not1_b32 exec_lo, exec_lo, s56
	s_cbranch_execnz .LBB41_9
.LBB41_10:
	s_or_b32 exec_lo, exec_lo, s55
	v_mov_b32_e32 v2, 0
	s_barrier_signal -1
	s_barrier_wait -1
	ds_load_b32 v3, v2 offset:1344
	s_and_saveexec_b32 s3, s2
	s_cbranch_execz .LBB41_12
; %bb.11:
	s_lshl_b64 s[56:57], s[18:19], 2
	s_delay_alu instid0(SALU_CYCLE_1)
	s_add_nc_u64 s[56:57], s[6:7], s[56:57]
	s_wait_dscnt 0x0
	global_store_b32 v2, v3, s[56:57]
.LBB41_12:
	s_wait_xcnt 0x0
	s_or_b32 exec_lo, exec_lo, s3
	s_wait_dscnt 0x0
	v_cmp_ne_u32_e32 vcc_lo, 0, v3
	s_mov_b32 s3, 0
	s_cbranch_vccnz .LBB41_180
; %bb.13:
	v_lshl_add_u32 v15, v1, 4, 0
                                        ; implicit-def: $vgpr6_vgpr7
                                        ; implicit-def: $vgpr10_vgpr11
	scratch_load_b128 v[2:5], v15, off
	s_wait_loadcnt 0x0
	v_cmp_ngt_f64_e64 s3, |v[2:3]|, |v[4:5]|
	s_wait_xcnt 0x0
	s_and_saveexec_b32 s55, s3
	s_delay_alu instid0(SALU_CYCLE_1)
	s_xor_b32 s3, exec_lo, s55
	s_cbranch_execz .LBB41_15
; %bb.14:
	v_div_scale_f64 v[6:7], null, v[4:5], v[4:5], v[2:3]
	v_div_scale_f64 v[12:13], vcc_lo, v[2:3], v[4:5], v[2:3]
	s_delay_alu instid0(VALU_DEP_2) | instskip(SKIP_1) | instid1(TRANS32_DEP_1)
	v_rcp_f64_e32 v[8:9], v[6:7]
	v_nop
	v_fma_f64 v[10:11], -v[6:7], v[8:9], 1.0
	s_delay_alu instid0(VALU_DEP_1) | instskip(NEXT) | instid1(VALU_DEP_1)
	v_fmac_f64_e32 v[8:9], v[8:9], v[10:11]
	v_fma_f64 v[10:11], -v[6:7], v[8:9], 1.0
	s_delay_alu instid0(VALU_DEP_1) | instskip(NEXT) | instid1(VALU_DEP_1)
	v_fmac_f64_e32 v[8:9], v[8:9], v[10:11]
	v_mul_f64_e32 v[10:11], v[12:13], v[8:9]
	s_delay_alu instid0(VALU_DEP_1) | instskip(NEXT) | instid1(VALU_DEP_1)
	v_fma_f64 v[6:7], -v[6:7], v[10:11], v[12:13]
	v_div_fmas_f64 v[6:7], v[6:7], v[8:9], v[10:11]
	s_delay_alu instid0(VALU_DEP_1) | instskip(NEXT) | instid1(VALU_DEP_1)
	v_div_fixup_f64 v[6:7], v[6:7], v[4:5], v[2:3]
	v_fmac_f64_e32 v[4:5], v[2:3], v[6:7]
	s_delay_alu instid0(VALU_DEP_1) | instskip(SKIP_1) | instid1(VALU_DEP_2)
	v_div_scale_f64 v[2:3], null, v[4:5], v[4:5], 1.0
	v_div_scale_f64 v[12:13], vcc_lo, 1.0, v[4:5], 1.0
	v_rcp_f64_e32 v[8:9], v[2:3]
	v_nop
	s_delay_alu instid0(TRANS32_DEP_1) | instskip(NEXT) | instid1(VALU_DEP_1)
	v_fma_f64 v[10:11], -v[2:3], v[8:9], 1.0
	v_fmac_f64_e32 v[8:9], v[8:9], v[10:11]
	s_delay_alu instid0(VALU_DEP_1) | instskip(NEXT) | instid1(VALU_DEP_1)
	v_fma_f64 v[10:11], -v[2:3], v[8:9], 1.0
	v_fmac_f64_e32 v[8:9], v[8:9], v[10:11]
	s_delay_alu instid0(VALU_DEP_1) | instskip(NEXT) | instid1(VALU_DEP_1)
	v_mul_f64_e32 v[10:11], v[12:13], v[8:9]
	v_fma_f64 v[2:3], -v[2:3], v[10:11], v[12:13]
	s_delay_alu instid0(VALU_DEP_1) | instskip(NEXT) | instid1(VALU_DEP_1)
	v_div_fmas_f64 v[2:3], v[2:3], v[8:9], v[10:11]
	v_div_fixup_f64 v[8:9], v[2:3], v[4:5], 1.0
                                        ; implicit-def: $vgpr2_vgpr3
	s_delay_alu instid0(VALU_DEP_1) | instskip(SKIP_1) | instid1(VALU_DEP_2)
	v_mul_f64_e32 v[6:7], v[6:7], v[8:9]
	v_xor_b32_e32 v9, 0x80000000, v9
	v_xor_b32_e32 v11, 0x80000000, v7
	s_delay_alu instid0(VALU_DEP_3)
	v_mov_b32_e32 v10, v6
.LBB41_15:
	s_and_not1_saveexec_b32 s3, s3
	s_cbranch_execz .LBB41_17
; %bb.16:
	v_div_scale_f64 v[6:7], null, v[2:3], v[2:3], v[4:5]
	v_div_scale_f64 v[12:13], vcc_lo, v[4:5], v[2:3], v[4:5]
	s_delay_alu instid0(VALU_DEP_2) | instskip(SKIP_1) | instid1(TRANS32_DEP_1)
	v_rcp_f64_e32 v[8:9], v[6:7]
	v_nop
	v_fma_f64 v[10:11], -v[6:7], v[8:9], 1.0
	s_delay_alu instid0(VALU_DEP_1) | instskip(NEXT) | instid1(VALU_DEP_1)
	v_fmac_f64_e32 v[8:9], v[8:9], v[10:11]
	v_fma_f64 v[10:11], -v[6:7], v[8:9], 1.0
	s_delay_alu instid0(VALU_DEP_1) | instskip(NEXT) | instid1(VALU_DEP_1)
	v_fmac_f64_e32 v[8:9], v[8:9], v[10:11]
	v_mul_f64_e32 v[10:11], v[12:13], v[8:9]
	s_delay_alu instid0(VALU_DEP_1) | instskip(NEXT) | instid1(VALU_DEP_1)
	v_fma_f64 v[6:7], -v[6:7], v[10:11], v[12:13]
	v_div_fmas_f64 v[6:7], v[6:7], v[8:9], v[10:11]
	s_delay_alu instid0(VALU_DEP_1) | instskip(NEXT) | instid1(VALU_DEP_1)
	v_div_fixup_f64 v[8:9], v[6:7], v[2:3], v[4:5]
	v_fmac_f64_e32 v[2:3], v[4:5], v[8:9]
	s_delay_alu instid0(VALU_DEP_1) | instskip(NEXT) | instid1(VALU_DEP_1)
	v_div_scale_f64 v[4:5], null, v[2:3], v[2:3], 1.0
	v_rcp_f64_e32 v[6:7], v[4:5]
	v_nop
	s_delay_alu instid0(TRANS32_DEP_1) | instskip(NEXT) | instid1(VALU_DEP_1)
	v_fma_f64 v[10:11], -v[4:5], v[6:7], 1.0
	v_fmac_f64_e32 v[6:7], v[6:7], v[10:11]
	s_delay_alu instid0(VALU_DEP_1) | instskip(NEXT) | instid1(VALU_DEP_1)
	v_fma_f64 v[10:11], -v[4:5], v[6:7], 1.0
	v_fmac_f64_e32 v[6:7], v[6:7], v[10:11]
	v_div_scale_f64 v[10:11], vcc_lo, 1.0, v[2:3], 1.0
	s_delay_alu instid0(VALU_DEP_1) | instskip(NEXT) | instid1(VALU_DEP_1)
	v_mul_f64_e32 v[12:13], v[10:11], v[6:7]
	v_fma_f64 v[4:5], -v[4:5], v[12:13], v[10:11]
	s_delay_alu instid0(VALU_DEP_1) | instskip(NEXT) | instid1(VALU_DEP_1)
	v_div_fmas_f64 v[4:5], v[4:5], v[6:7], v[12:13]
	v_div_fixup_f64 v[6:7], v[4:5], v[2:3], 1.0
	s_delay_alu instid0(VALU_DEP_1)
	v_mul_f64_e64 v[8:9], v[8:9], -v[6:7]
	v_xor_b32_e32 v11, 0x80000000, v7
	v_mov_b32_e32 v10, v6
.LBB41_17:
	s_or_b32 exec_lo, exec_lo, s3
	s_clause 0x1
	scratch_store_b128 v15, v[6:9], off
	scratch_load_b128 v[2:5], off, s42
	v_xor_b32_e32 v13, 0x80000000, v9
	v_mov_b32_e32 v12, v8
	s_wait_xcnt 0x1
	v_add_nc_u32_e32 v6, 0x2a0, v14
	ds_store_b128 v14, v[10:13]
	s_wait_loadcnt 0x0
	ds_store_b128 v14, v[2:5] offset:672
	s_wait_storecnt_dscnt 0x0
	s_barrier_signal -1
	s_barrier_wait -1
	s_wait_xcnt 0x0
	s_and_saveexec_b32 s3, s2
	s_cbranch_execz .LBB41_19
; %bb.18:
	scratch_load_b128 v[2:5], v15, off
	ds_load_b128 v[8:11], v6
	v_mov_b32_e32 v7, 0
	ds_load_b128 v[16:19], v7 offset:16
	s_wait_loadcnt_dscnt 0x1
	v_mul_f64_e32 v[12:13], v[8:9], v[4:5]
	v_mul_f64_e32 v[4:5], v[10:11], v[4:5]
	s_delay_alu instid0(VALU_DEP_2) | instskip(NEXT) | instid1(VALU_DEP_2)
	v_fmac_f64_e32 v[12:13], v[10:11], v[2:3]
	v_fma_f64 v[2:3], v[8:9], v[2:3], -v[4:5]
	s_delay_alu instid0(VALU_DEP_2) | instskip(NEXT) | instid1(VALU_DEP_2)
	v_add_f64_e32 v[8:9], 0, v[12:13]
	v_add_f64_e32 v[2:3], 0, v[2:3]
	s_wait_dscnt 0x0
	s_delay_alu instid0(VALU_DEP_2) | instskip(NEXT) | instid1(VALU_DEP_2)
	v_mul_f64_e32 v[10:11], v[8:9], v[18:19]
	v_mul_f64_e32 v[4:5], v[2:3], v[18:19]
	s_delay_alu instid0(VALU_DEP_2) | instskip(NEXT) | instid1(VALU_DEP_2)
	v_fma_f64 v[2:3], v[2:3], v[16:17], -v[10:11]
	v_fmac_f64_e32 v[4:5], v[8:9], v[16:17]
	scratch_store_b128 off, v[2:5], off offset:16
.LBB41_19:
	s_wait_xcnt 0x0
	s_or_b32 exec_lo, exec_lo, s3
	s_wait_storecnt 0x0
	s_barrier_signal -1
	s_barrier_wait -1
	scratch_load_b128 v[2:5], off, s38
	s_mov_b32 s3, exec_lo
	s_wait_loadcnt 0x0
	ds_store_b128 v6, v[2:5]
	s_wait_dscnt 0x0
	s_barrier_signal -1
	s_barrier_wait -1
	v_cmpx_gt_u32_e32 2, v1
	s_cbranch_execz .LBB41_23
; %bb.20:
	scratch_load_b128 v[2:5], v15, off
	ds_load_b128 v[8:11], v6
	s_wait_loadcnt_dscnt 0x0
	v_mul_f64_e32 v[12:13], v[10:11], v[4:5]
	v_mul_f64_e32 v[16:17], v[8:9], v[4:5]
	s_delay_alu instid0(VALU_DEP_2) | instskip(NEXT) | instid1(VALU_DEP_2)
	v_fma_f64 v[4:5], v[8:9], v[2:3], -v[12:13]
	v_fmac_f64_e32 v[16:17], v[10:11], v[2:3]
	s_delay_alu instid0(VALU_DEP_2) | instskip(NEXT) | instid1(VALU_DEP_2)
	v_add_f64_e32 v[4:5], 0, v[4:5]
	v_add_f64_e32 v[2:3], 0, v[16:17]
	s_and_saveexec_b32 s55, s2
	s_cbranch_execz .LBB41_22
; %bb.21:
	scratch_load_b128 v[8:11], off, off offset:16
	v_mov_b32_e32 v7, 0
	ds_load_b128 v[16:19], v7 offset:688
	s_wait_loadcnt_dscnt 0x0
	v_mul_f64_e32 v[12:13], v[16:17], v[10:11]
	v_mul_f64_e32 v[10:11], v[18:19], v[10:11]
	s_delay_alu instid0(VALU_DEP_2) | instskip(NEXT) | instid1(VALU_DEP_2)
	v_fmac_f64_e32 v[12:13], v[18:19], v[8:9]
	v_fma_f64 v[8:9], v[16:17], v[8:9], -v[10:11]
	s_delay_alu instid0(VALU_DEP_2) | instskip(NEXT) | instid1(VALU_DEP_2)
	v_add_f64_e32 v[2:3], v[2:3], v[12:13]
	v_add_f64_e32 v[4:5], v[4:5], v[8:9]
.LBB41_22:
	s_or_b32 exec_lo, exec_lo, s55
	v_mov_b32_e32 v7, 0
	ds_load_b128 v[8:11], v7 offset:32
	s_wait_dscnt 0x0
	v_mul_f64_e32 v[16:17], v[2:3], v[10:11]
	v_mul_f64_e32 v[12:13], v[4:5], v[10:11]
	s_delay_alu instid0(VALU_DEP_2) | instskip(NEXT) | instid1(VALU_DEP_2)
	v_fma_f64 v[10:11], v[4:5], v[8:9], -v[16:17]
	v_fmac_f64_e32 v[12:13], v[2:3], v[8:9]
	scratch_store_b128 off, v[10:13], off offset:32
.LBB41_23:
	s_wait_xcnt 0x0
	s_or_b32 exec_lo, exec_lo, s3
	s_wait_storecnt 0x0
	s_barrier_signal -1
	s_barrier_wait -1
	scratch_load_b128 v[2:5], off, s39
	v_add_nc_u32_e32 v7, -1, v1
	s_mov_b32 s2, exec_lo
	s_wait_loadcnt 0x0
	ds_store_b128 v6, v[2:5]
	s_wait_dscnt 0x0
	s_barrier_signal -1
	s_barrier_wait -1
	v_cmpx_gt_u32_e32 3, v1
	s_cbranch_execz .LBB41_27
; %bb.24:
	v_dual_mov_b32 v10, v14 :: v_dual_add_nc_u32 v8, -1, v1
	v_mov_b64_e32 v[2:3], 0
	v_mov_b64_e32 v[4:5], 0
	v_add_nc_u32_e32 v9, 0x2a0, v14
	s_delay_alu instid0(VALU_DEP_4)
	v_or_b32_e32 v10, 8, v10
	s_mov_b32 s3, 0
.LBB41_25:                              ; =>This Inner Loop Header: Depth=1
	scratch_load_b128 v[16:19], v10, off offset:-8
	ds_load_b128 v[20:23], v9
	v_dual_add_nc_u32 v8, 1, v8 :: v_dual_add_nc_u32 v9, 16, v9
	s_wait_xcnt 0x0
	v_add_nc_u32_e32 v10, 16, v10
	s_delay_alu instid0(VALU_DEP_2) | instskip(SKIP_4) | instid1(VALU_DEP_2)
	v_cmp_lt_u32_e32 vcc_lo, 1, v8
	s_or_b32 s3, vcc_lo, s3
	s_wait_loadcnt_dscnt 0x0
	v_mul_f64_e32 v[12:13], v[22:23], v[18:19]
	v_mul_f64_e32 v[18:19], v[20:21], v[18:19]
	v_fma_f64 v[12:13], v[20:21], v[16:17], -v[12:13]
	s_delay_alu instid0(VALU_DEP_2) | instskip(NEXT) | instid1(VALU_DEP_2)
	v_fmac_f64_e32 v[18:19], v[22:23], v[16:17]
	v_add_f64_e32 v[4:5], v[4:5], v[12:13]
	s_delay_alu instid0(VALU_DEP_2)
	v_add_f64_e32 v[2:3], v[2:3], v[18:19]
	s_and_not1_b32 exec_lo, exec_lo, s3
	s_cbranch_execnz .LBB41_25
; %bb.26:
	s_or_b32 exec_lo, exec_lo, s3
	v_mov_b32_e32 v8, 0
	ds_load_b128 v[8:11], v8 offset:48
	s_wait_dscnt 0x0
	v_mul_f64_e32 v[16:17], v[2:3], v[10:11]
	v_mul_f64_e32 v[12:13], v[4:5], v[10:11]
	s_delay_alu instid0(VALU_DEP_2) | instskip(NEXT) | instid1(VALU_DEP_2)
	v_fma_f64 v[10:11], v[4:5], v[8:9], -v[16:17]
	v_fmac_f64_e32 v[12:13], v[2:3], v[8:9]
	scratch_store_b128 off, v[10:13], off offset:48
.LBB41_27:
	s_wait_xcnt 0x0
	s_or_b32 exec_lo, exec_lo, s2
	s_wait_storecnt 0x0
	s_barrier_signal -1
	s_barrier_wait -1
	scratch_load_b128 v[2:5], off, s40
	s_mov_b32 s2, exec_lo
	s_wait_loadcnt 0x0
	ds_store_b128 v6, v[2:5]
	s_wait_dscnt 0x0
	s_barrier_signal -1
	s_barrier_wait -1
	v_cmpx_gt_u32_e32 4, v1
	s_cbranch_execz .LBB41_31
; %bb.28:
	v_dual_mov_b32 v10, v14 :: v_dual_add_nc_u32 v8, -1, v1
	v_mov_b64_e32 v[2:3], 0
	v_mov_b64_e32 v[4:5], 0
	v_add_nc_u32_e32 v9, 0x2a0, v14
	s_delay_alu instid0(VALU_DEP_4)
	v_or_b32_e32 v10, 8, v10
	s_mov_b32 s3, 0
.LBB41_29:                              ; =>This Inner Loop Header: Depth=1
	scratch_load_b128 v[16:19], v10, off offset:-8
	ds_load_b128 v[20:23], v9
	v_dual_add_nc_u32 v8, 1, v8 :: v_dual_add_nc_u32 v9, 16, v9
	s_wait_xcnt 0x0
	v_add_nc_u32_e32 v10, 16, v10
	s_delay_alu instid0(VALU_DEP_2) | instskip(SKIP_4) | instid1(VALU_DEP_2)
	v_cmp_lt_u32_e32 vcc_lo, 2, v8
	s_or_b32 s3, vcc_lo, s3
	s_wait_loadcnt_dscnt 0x0
	v_mul_f64_e32 v[12:13], v[22:23], v[18:19]
	v_mul_f64_e32 v[18:19], v[20:21], v[18:19]
	v_fma_f64 v[12:13], v[20:21], v[16:17], -v[12:13]
	s_delay_alu instid0(VALU_DEP_2) | instskip(NEXT) | instid1(VALU_DEP_2)
	v_fmac_f64_e32 v[18:19], v[22:23], v[16:17]
	v_add_f64_e32 v[4:5], v[4:5], v[12:13]
	s_delay_alu instid0(VALU_DEP_2)
	v_add_f64_e32 v[2:3], v[2:3], v[18:19]
	s_and_not1_b32 exec_lo, exec_lo, s3
	s_cbranch_execnz .LBB41_29
; %bb.30:
	s_or_b32 exec_lo, exec_lo, s3
	v_mov_b32_e32 v8, 0
	ds_load_b128 v[8:11], v8 offset:64
	s_wait_dscnt 0x0
	v_mul_f64_e32 v[16:17], v[2:3], v[10:11]
	v_mul_f64_e32 v[12:13], v[4:5], v[10:11]
	s_delay_alu instid0(VALU_DEP_2) | instskip(NEXT) | instid1(VALU_DEP_2)
	v_fma_f64 v[10:11], v[4:5], v[8:9], -v[16:17]
	v_fmac_f64_e32 v[12:13], v[2:3], v[8:9]
	scratch_store_b128 off, v[10:13], off offset:64
.LBB41_31:
	s_wait_xcnt 0x0
	s_or_b32 exec_lo, exec_lo, s2
	s_wait_storecnt 0x0
	s_barrier_signal -1
	s_barrier_wait -1
	scratch_load_b128 v[2:5], off, s45
	;; [unrolled: 54-line block ×19, first 2 shown]
	s_mov_b32 s2, exec_lo
	s_wait_loadcnt 0x0
	ds_store_b128 v6, v[2:5]
	s_wait_dscnt 0x0
	s_barrier_signal -1
	s_barrier_wait -1
	v_cmpx_gt_u32_e32 22, v1
	s_cbranch_execz .LBB41_103
; %bb.100:
	v_dual_mov_b32 v10, v14 :: v_dual_add_nc_u32 v8, -1, v1
	v_mov_b64_e32 v[2:3], 0
	v_mov_b64_e32 v[4:5], 0
	v_add_nc_u32_e32 v9, 0x2a0, v14
	s_delay_alu instid0(VALU_DEP_4)
	v_or_b32_e32 v10, 8, v10
	s_mov_b32 s3, 0
.LBB41_101:                             ; =>This Inner Loop Header: Depth=1
	scratch_load_b128 v[16:19], v10, off offset:-8
	ds_load_b128 v[20:23], v9
	v_dual_add_nc_u32 v8, 1, v8 :: v_dual_add_nc_u32 v9, 16, v9
	s_wait_xcnt 0x0
	v_add_nc_u32_e32 v10, 16, v10
	s_delay_alu instid0(VALU_DEP_2) | instskip(SKIP_4) | instid1(VALU_DEP_2)
	v_cmp_lt_u32_e32 vcc_lo, 20, v8
	s_or_b32 s3, vcc_lo, s3
	s_wait_loadcnt_dscnt 0x0
	v_mul_f64_e32 v[12:13], v[22:23], v[18:19]
	v_mul_f64_e32 v[18:19], v[20:21], v[18:19]
	v_fma_f64 v[12:13], v[20:21], v[16:17], -v[12:13]
	s_delay_alu instid0(VALU_DEP_2) | instskip(NEXT) | instid1(VALU_DEP_2)
	v_fmac_f64_e32 v[18:19], v[22:23], v[16:17]
	v_add_f64_e32 v[4:5], v[4:5], v[12:13]
	s_delay_alu instid0(VALU_DEP_2)
	v_add_f64_e32 v[2:3], v[2:3], v[18:19]
	s_and_not1_b32 exec_lo, exec_lo, s3
	s_cbranch_execnz .LBB41_101
; %bb.102:
	s_or_b32 exec_lo, exec_lo, s3
	v_mov_b32_e32 v8, 0
	ds_load_b128 v[8:11], v8 offset:352
	s_wait_dscnt 0x0
	v_mul_f64_e32 v[16:17], v[2:3], v[10:11]
	v_mul_f64_e32 v[12:13], v[4:5], v[10:11]
	s_delay_alu instid0(VALU_DEP_2) | instskip(NEXT) | instid1(VALU_DEP_2)
	v_fma_f64 v[10:11], v[4:5], v[8:9], -v[16:17]
	v_fmac_f64_e32 v[12:13], v[2:3], v[8:9]
	scratch_store_b128 off, v[10:13], off offset:352
.LBB41_103:
	s_wait_xcnt 0x0
	s_or_b32 exec_lo, exec_lo, s2
	s_wait_storecnt 0x0
	s_barrier_signal -1
	s_barrier_wait -1
	scratch_load_b128 v[2:5], off, s34
	s_mov_b32 s2, exec_lo
	s_wait_loadcnt 0x0
	ds_store_b128 v6, v[2:5]
	s_wait_dscnt 0x0
	s_barrier_signal -1
	s_barrier_wait -1
	v_cmpx_gt_u32_e32 23, v1
	s_cbranch_execz .LBB41_107
; %bb.104:
	v_dual_mov_b32 v10, v14 :: v_dual_add_nc_u32 v8, -1, v1
	v_mov_b64_e32 v[2:3], 0
	v_mov_b64_e32 v[4:5], 0
	v_add_nc_u32_e32 v9, 0x2a0, v14
	s_delay_alu instid0(VALU_DEP_4)
	v_or_b32_e32 v10, 8, v10
	s_mov_b32 s3, 0
.LBB41_105:                             ; =>This Inner Loop Header: Depth=1
	scratch_load_b128 v[16:19], v10, off offset:-8
	ds_load_b128 v[20:23], v9
	v_dual_add_nc_u32 v8, 1, v8 :: v_dual_add_nc_u32 v9, 16, v9
	s_wait_xcnt 0x0
	v_add_nc_u32_e32 v10, 16, v10
	s_delay_alu instid0(VALU_DEP_2) | instskip(SKIP_4) | instid1(VALU_DEP_2)
	v_cmp_lt_u32_e32 vcc_lo, 21, v8
	s_or_b32 s3, vcc_lo, s3
	s_wait_loadcnt_dscnt 0x0
	v_mul_f64_e32 v[12:13], v[22:23], v[18:19]
	v_mul_f64_e32 v[18:19], v[20:21], v[18:19]
	v_fma_f64 v[12:13], v[20:21], v[16:17], -v[12:13]
	s_delay_alu instid0(VALU_DEP_2) | instskip(NEXT) | instid1(VALU_DEP_2)
	v_fmac_f64_e32 v[18:19], v[22:23], v[16:17]
	v_add_f64_e32 v[4:5], v[4:5], v[12:13]
	s_delay_alu instid0(VALU_DEP_2)
	v_add_f64_e32 v[2:3], v[2:3], v[18:19]
	s_and_not1_b32 exec_lo, exec_lo, s3
	s_cbranch_execnz .LBB41_105
; %bb.106:
	s_or_b32 exec_lo, exec_lo, s3
	v_mov_b32_e32 v8, 0
	ds_load_b128 v[8:11], v8 offset:368
	s_wait_dscnt 0x0
	v_mul_f64_e32 v[16:17], v[2:3], v[10:11]
	v_mul_f64_e32 v[12:13], v[4:5], v[10:11]
	s_delay_alu instid0(VALU_DEP_2) | instskip(NEXT) | instid1(VALU_DEP_2)
	v_fma_f64 v[10:11], v[4:5], v[8:9], -v[16:17]
	v_fmac_f64_e32 v[12:13], v[2:3], v[8:9]
	scratch_store_b128 off, v[10:13], off offset:368
.LBB41_107:
	s_wait_xcnt 0x0
	s_or_b32 exec_lo, exec_lo, s2
	s_wait_storecnt 0x0
	s_barrier_signal -1
	s_barrier_wait -1
	scratch_load_b128 v[2:5], off, s37
	;; [unrolled: 54-line block ×19, first 2 shown]
	s_mov_b32 s2, exec_lo
	s_wait_loadcnt 0x0
	ds_store_b128 v6, v[2:5]
	s_wait_dscnt 0x0
	s_barrier_signal -1
	s_barrier_wait -1
	v_cmpx_ne_u32_e32 41, v1
	s_cbranch_execz .LBB41_179
; %bb.176:
	v_mov_b32_e32 v8, v14
	v_mov_b64_e32 v[2:3], 0
	v_mov_b64_e32 v[4:5], 0
	s_mov_b32 s3, 0
	s_delay_alu instid0(VALU_DEP_3)
	v_or_b32_e32 v8, 8, v8
.LBB41_177:                             ; =>This Inner Loop Header: Depth=1
	scratch_load_b128 v[10:13], v8, off offset:-8
	ds_load_b128 v[14:17], v6
	v_dual_add_nc_u32 v7, 1, v7 :: v_dual_add_nc_u32 v6, 16, v6
	s_wait_xcnt 0x0
	v_add_nc_u32_e32 v8, 16, v8
	s_delay_alu instid0(VALU_DEP_2) | instskip(SKIP_4) | instid1(VALU_DEP_2)
	v_cmp_lt_u32_e32 vcc_lo, 39, v7
	s_or_b32 s3, vcc_lo, s3
	s_wait_loadcnt_dscnt 0x0
	v_mul_f64_e32 v[18:19], v[16:17], v[12:13]
	v_mul_f64_e32 v[12:13], v[14:15], v[12:13]
	v_fma_f64 v[14:15], v[14:15], v[10:11], -v[18:19]
	s_delay_alu instid0(VALU_DEP_2) | instskip(NEXT) | instid1(VALU_DEP_2)
	v_fmac_f64_e32 v[12:13], v[16:17], v[10:11]
	v_add_f64_e32 v[4:5], v[4:5], v[14:15]
	s_delay_alu instid0(VALU_DEP_2)
	v_add_f64_e32 v[2:3], v[2:3], v[12:13]
	s_and_not1_b32 exec_lo, exec_lo, s3
	s_cbranch_execnz .LBB41_177
; %bb.178:
	s_or_b32 exec_lo, exec_lo, s3
	v_mov_b32_e32 v6, 0
	ds_load_b128 v[6:9], v6 offset:656
	s_wait_dscnt 0x0
	v_mul_f64_e32 v[12:13], v[2:3], v[8:9]
	v_mul_f64_e32 v[10:11], v[4:5], v[8:9]
	s_delay_alu instid0(VALU_DEP_2) | instskip(NEXT) | instid1(VALU_DEP_2)
	v_fma_f64 v[8:9], v[4:5], v[6:7], -v[12:13]
	v_fmac_f64_e32 v[10:11], v[2:3], v[6:7]
	scratch_store_b128 off, v[8:11], off offset:656
.LBB41_179:
	s_wait_xcnt 0x0
	s_or_b32 exec_lo, exec_lo, s2
	s_mov_b32 s3, -1
	s_wait_storecnt 0x0
	s_barrier_signal -1
	s_barrier_wait -1
.LBB41_180:
	s_and_b32 vcc_lo, exec_lo, s3
	s_cbranch_vccz .LBB41_182
; %bb.181:
	s_wait_xcnt 0xd
	v_mov_b32_e32 v2, 0
	s_lshl_b64 s[2:3], s[18:19], 2
	s_delay_alu instid0(SALU_CYCLE_1)
	s_add_nc_u64 s[2:3], s[6:7], s[2:3]
	global_load_b32 v2, v2, s[2:3]
	s_wait_loadcnt 0x0
	v_cmp_ne_u32_e32 vcc_lo, 0, v2
	s_cbranch_vccz .LBB41_183
.LBB41_182:
	s_sendmsg sendmsg(MSG_DEALLOC_VGPRS)
	s_endpgm
.LBB41_183:
	s_wait_xcnt 0x8
	v_lshl_add_u32 v108, v1, 4, 0x2a0
	s_wait_xcnt 0x0
	s_mov_b32 s2, exec_lo
	v_cmpx_eq_u32_e32 41, v1
	s_cbranch_execz .LBB41_185
; %bb.184:
	scratch_load_b128 v[2:5], off, s23
	v_mov_b32_e32 v6, 0
	s_delay_alu instid0(VALU_DEP_1)
	v_dual_mov_b32 v7, v6 :: v_dual_mov_b32 v8, v6
	v_mov_b32_e32 v9, v6
	scratch_store_b128 off, v[6:9], off offset:640
	s_wait_loadcnt 0x0
	ds_store_b128 v108, v[2:5]
.LBB41_185:
	s_wait_xcnt 0x0
	s_or_b32 exec_lo, exec_lo, s2
	s_wait_storecnt_dscnt 0x0
	s_barrier_signal -1
	s_barrier_wait -1
	s_clause 0x1
	scratch_load_b128 v[4:7], off, off offset:656
	scratch_load_b128 v[8:11], off, off offset:640
	v_mov_b32_e32 v2, 0
	s_mov_b32 s2, exec_lo
	ds_load_b128 v[12:15], v2 offset:1328
	s_wait_loadcnt_dscnt 0x100
	v_mul_f64_e32 v[16:17], v[14:15], v[6:7]
	v_mul_f64_e32 v[6:7], v[12:13], v[6:7]
	s_delay_alu instid0(VALU_DEP_2) | instskip(NEXT) | instid1(VALU_DEP_2)
	v_fma_f64 v[12:13], v[12:13], v[4:5], -v[16:17]
	v_fmac_f64_e32 v[6:7], v[14:15], v[4:5]
	s_delay_alu instid0(VALU_DEP_2) | instskip(NEXT) | instid1(VALU_DEP_2)
	v_add_f64_e32 v[4:5], 0, v[12:13]
	v_add_f64_e32 v[6:7], 0, v[6:7]
	s_wait_loadcnt 0x0
	s_delay_alu instid0(VALU_DEP_2) | instskip(NEXT) | instid1(VALU_DEP_2)
	v_add_f64_e64 v[4:5], v[8:9], -v[4:5]
	v_add_f64_e64 v[6:7], v[10:11], -v[6:7]
	scratch_store_b128 off, v[4:7], off offset:640
	s_wait_xcnt 0x0
	v_cmpx_lt_u32_e32 39, v1
	s_cbranch_execz .LBB41_187
; %bb.186:
	scratch_load_b128 v[6:9], off, s22
	v_dual_mov_b32 v3, v2 :: v_dual_mov_b32 v4, v2
	v_mov_b32_e32 v5, v2
	scratch_store_b128 off, v[2:5], off offset:624
	s_wait_loadcnt 0x0
	ds_store_b128 v108, v[6:9]
.LBB41_187:
	s_wait_xcnt 0x0
	s_or_b32 exec_lo, exec_lo, s2
	s_wait_storecnt_dscnt 0x0
	s_barrier_signal -1
	s_barrier_wait -1
	s_clause 0x2
	scratch_load_b128 v[4:7], off, off offset:640
	scratch_load_b128 v[8:11], off, off offset:656
	;; [unrolled: 1-line block ×3, first 2 shown]
	ds_load_b128 v[16:19], v2 offset:1312
	ds_load_b128 v[20:23], v2 offset:1328
	s_mov_b32 s2, exec_lo
	s_wait_loadcnt_dscnt 0x201
	v_mul_f64_e32 v[2:3], v[18:19], v[6:7]
	v_mul_f64_e32 v[6:7], v[16:17], v[6:7]
	s_wait_loadcnt_dscnt 0x100
	v_mul_f64_e32 v[110:111], v[20:21], v[10:11]
	v_mul_f64_e32 v[10:11], v[22:23], v[10:11]
	s_delay_alu instid0(VALU_DEP_4) | instskip(NEXT) | instid1(VALU_DEP_4)
	v_fma_f64 v[2:3], v[16:17], v[4:5], -v[2:3]
	v_fmac_f64_e32 v[6:7], v[18:19], v[4:5]
	s_delay_alu instid0(VALU_DEP_4) | instskip(NEXT) | instid1(VALU_DEP_4)
	v_fmac_f64_e32 v[110:111], v[22:23], v[8:9]
	v_fma_f64 v[4:5], v[20:21], v[8:9], -v[10:11]
	s_delay_alu instid0(VALU_DEP_4) | instskip(NEXT) | instid1(VALU_DEP_4)
	v_add_f64_e32 v[2:3], 0, v[2:3]
	v_add_f64_e32 v[6:7], 0, v[6:7]
	s_delay_alu instid0(VALU_DEP_2) | instskip(NEXT) | instid1(VALU_DEP_2)
	v_add_f64_e32 v[2:3], v[2:3], v[4:5]
	v_add_f64_e32 v[4:5], v[6:7], v[110:111]
	s_wait_loadcnt 0x0
	s_delay_alu instid0(VALU_DEP_2) | instskip(NEXT) | instid1(VALU_DEP_2)
	v_add_f64_e64 v[2:3], v[12:13], -v[2:3]
	v_add_f64_e64 v[4:5], v[14:15], -v[4:5]
	scratch_store_b128 off, v[2:5], off offset:624
	s_wait_xcnt 0x0
	v_cmpx_lt_u32_e32 38, v1
	s_cbranch_execz .LBB41_189
; %bb.188:
	scratch_load_b128 v[2:5], off, s29
	v_mov_b32_e32 v6, 0
	s_delay_alu instid0(VALU_DEP_1)
	v_dual_mov_b32 v7, v6 :: v_dual_mov_b32 v8, v6
	v_mov_b32_e32 v9, v6
	scratch_store_b128 off, v[6:9], off offset:608
	s_wait_loadcnt 0x0
	ds_store_b128 v108, v[2:5]
.LBB41_189:
	s_wait_xcnt 0x0
	s_or_b32 exec_lo, exec_lo, s2
	s_wait_storecnt_dscnt 0x0
	s_barrier_signal -1
	s_barrier_wait -1
	s_clause 0x3
	scratch_load_b128 v[4:7], off, off offset:624
	scratch_load_b128 v[8:11], off, off offset:640
	;; [unrolled: 1-line block ×4, first 2 shown]
	v_mov_b32_e32 v2, 0
	ds_load_b128 v[20:23], v2 offset:1296
	ds_load_b128 v[110:113], v2 offset:1312
	s_mov_b32 s2, exec_lo
	s_wait_loadcnt_dscnt 0x301
	v_mul_f64_e32 v[114:115], v[22:23], v[6:7]
	v_mul_f64_e32 v[116:117], v[20:21], v[6:7]
	s_wait_loadcnt_dscnt 0x200
	v_mul_f64_e32 v[118:119], v[110:111], v[10:11]
	v_mul_f64_e32 v[10:11], v[112:113], v[10:11]
	s_delay_alu instid0(VALU_DEP_4) | instskip(NEXT) | instid1(VALU_DEP_4)
	v_fma_f64 v[20:21], v[20:21], v[4:5], -v[114:115]
	v_fmac_f64_e32 v[116:117], v[22:23], v[4:5]
	ds_load_b128 v[4:7], v2 offset:1328
	v_fmac_f64_e32 v[118:119], v[112:113], v[8:9]
	v_fma_f64 v[8:9], v[110:111], v[8:9], -v[10:11]
	s_wait_loadcnt_dscnt 0x100
	v_mul_f64_e32 v[22:23], v[4:5], v[14:15]
	v_mul_f64_e32 v[14:15], v[6:7], v[14:15]
	v_add_f64_e32 v[10:11], 0, v[20:21]
	v_add_f64_e32 v[20:21], 0, v[116:117]
	s_delay_alu instid0(VALU_DEP_4) | instskip(NEXT) | instid1(VALU_DEP_4)
	v_fmac_f64_e32 v[22:23], v[6:7], v[12:13]
	v_fma_f64 v[4:5], v[4:5], v[12:13], -v[14:15]
	s_delay_alu instid0(VALU_DEP_4) | instskip(NEXT) | instid1(VALU_DEP_4)
	v_add_f64_e32 v[6:7], v[10:11], v[8:9]
	v_add_f64_e32 v[8:9], v[20:21], v[118:119]
	s_delay_alu instid0(VALU_DEP_2) | instskip(NEXT) | instid1(VALU_DEP_2)
	v_add_f64_e32 v[4:5], v[6:7], v[4:5]
	v_add_f64_e32 v[6:7], v[8:9], v[22:23]
	s_wait_loadcnt 0x0
	s_delay_alu instid0(VALU_DEP_2) | instskip(NEXT) | instid1(VALU_DEP_2)
	v_add_f64_e64 v[4:5], v[16:17], -v[4:5]
	v_add_f64_e64 v[6:7], v[18:19], -v[6:7]
	scratch_store_b128 off, v[4:7], off offset:608
	s_wait_xcnt 0x0
	v_cmpx_lt_u32_e32 37, v1
	s_cbranch_execz .LBB41_191
; %bb.190:
	scratch_load_b128 v[6:9], off, s27
	v_dual_mov_b32 v3, v2 :: v_dual_mov_b32 v4, v2
	v_mov_b32_e32 v5, v2
	scratch_store_b128 off, v[2:5], off offset:592
	s_wait_loadcnt 0x0
	ds_store_b128 v108, v[6:9]
.LBB41_191:
	s_wait_xcnt 0x0
	s_or_b32 exec_lo, exec_lo, s2
	s_wait_storecnt_dscnt 0x0
	s_barrier_signal -1
	s_barrier_wait -1
	s_clause 0x4
	scratch_load_b128 v[4:7], off, off offset:608
	scratch_load_b128 v[8:11], off, off offset:624
	;; [unrolled: 1-line block ×5, first 2 shown]
	ds_load_b128 v[110:113], v2 offset:1280
	ds_load_b128 v[114:117], v2 offset:1296
	s_mov_b32 s2, exec_lo
	s_wait_loadcnt_dscnt 0x401
	v_mul_f64_e32 v[118:119], v[112:113], v[6:7]
	v_mul_f64_e32 v[120:121], v[110:111], v[6:7]
	s_wait_loadcnt_dscnt 0x300
	v_mul_f64_e32 v[122:123], v[114:115], v[10:11]
	v_mul_f64_e32 v[10:11], v[116:117], v[10:11]
	s_delay_alu instid0(VALU_DEP_4) | instskip(NEXT) | instid1(VALU_DEP_4)
	v_fma_f64 v[118:119], v[110:111], v[4:5], -v[118:119]
	v_fmac_f64_e32 v[120:121], v[112:113], v[4:5]
	ds_load_b128 v[4:7], v2 offset:1312
	ds_load_b128 v[110:113], v2 offset:1328
	v_fmac_f64_e32 v[122:123], v[116:117], v[8:9]
	v_fma_f64 v[8:9], v[114:115], v[8:9], -v[10:11]
	s_wait_loadcnt_dscnt 0x201
	v_mul_f64_e32 v[2:3], v[4:5], v[14:15]
	v_mul_f64_e32 v[14:15], v[6:7], v[14:15]
	s_wait_loadcnt_dscnt 0x100
	v_mul_f64_e32 v[116:117], v[110:111], v[18:19]
	v_mul_f64_e32 v[18:19], v[112:113], v[18:19]
	v_add_f64_e32 v[10:11], 0, v[118:119]
	v_add_f64_e32 v[114:115], 0, v[120:121]
	v_fmac_f64_e32 v[2:3], v[6:7], v[12:13]
	v_fma_f64 v[4:5], v[4:5], v[12:13], -v[14:15]
	v_fmac_f64_e32 v[116:117], v[112:113], v[16:17]
	v_add_f64_e32 v[6:7], v[10:11], v[8:9]
	v_add_f64_e32 v[8:9], v[114:115], v[122:123]
	v_fma_f64 v[10:11], v[110:111], v[16:17], -v[18:19]
	s_delay_alu instid0(VALU_DEP_3) | instskip(NEXT) | instid1(VALU_DEP_3)
	v_add_f64_e32 v[4:5], v[6:7], v[4:5]
	v_add_f64_e32 v[2:3], v[8:9], v[2:3]
	s_delay_alu instid0(VALU_DEP_2) | instskip(NEXT) | instid1(VALU_DEP_2)
	v_add_f64_e32 v[4:5], v[4:5], v[10:11]
	v_add_f64_e32 v[6:7], v[2:3], v[116:117]
	s_wait_loadcnt 0x0
	s_delay_alu instid0(VALU_DEP_2) | instskip(NEXT) | instid1(VALU_DEP_2)
	v_add_f64_e64 v[2:3], v[20:21], -v[4:5]
	v_add_f64_e64 v[4:5], v[22:23], -v[6:7]
	scratch_store_b128 off, v[2:5], off offset:592
	s_wait_xcnt 0x0
	v_cmpx_lt_u32_e32 36, v1
	s_cbranch_execz .LBB41_193
; %bb.192:
	scratch_load_b128 v[2:5], off, s35
	v_mov_b32_e32 v6, 0
	s_delay_alu instid0(VALU_DEP_1)
	v_dual_mov_b32 v7, v6 :: v_dual_mov_b32 v8, v6
	v_mov_b32_e32 v9, v6
	scratch_store_b128 off, v[6:9], off offset:576
	s_wait_loadcnt 0x0
	ds_store_b128 v108, v[2:5]
.LBB41_193:
	s_wait_xcnt 0x0
	s_or_b32 exec_lo, exec_lo, s2
	s_wait_storecnt_dscnt 0x0
	s_barrier_signal -1
	s_barrier_wait -1
	s_clause 0x5
	scratch_load_b128 v[4:7], off, off offset:592
	scratch_load_b128 v[8:11], off, off offset:608
	;; [unrolled: 1-line block ×6, first 2 shown]
	v_mov_b32_e32 v2, 0
	ds_load_b128 v[114:117], v2 offset:1264
	ds_load_b128 v[118:121], v2 offset:1280
	s_mov_b32 s2, exec_lo
	s_wait_loadcnt_dscnt 0x501
	v_mul_f64_e32 v[122:123], v[116:117], v[6:7]
	v_mul_f64_e32 v[124:125], v[114:115], v[6:7]
	s_wait_loadcnt_dscnt 0x400
	v_mul_f64_e32 v[126:127], v[118:119], v[10:11]
	v_mul_f64_e32 v[10:11], v[120:121], v[10:11]
	s_delay_alu instid0(VALU_DEP_4) | instskip(NEXT) | instid1(VALU_DEP_4)
	v_fma_f64 v[122:123], v[114:115], v[4:5], -v[122:123]
	v_fmac_f64_e32 v[124:125], v[116:117], v[4:5]
	ds_load_b128 v[4:7], v2 offset:1296
	ds_load_b128 v[114:117], v2 offset:1312
	v_fmac_f64_e32 v[126:127], v[120:121], v[8:9]
	v_fma_f64 v[8:9], v[118:119], v[8:9], -v[10:11]
	s_wait_loadcnt_dscnt 0x301
	v_mul_f64_e32 v[128:129], v[4:5], v[14:15]
	v_mul_f64_e32 v[14:15], v[6:7], v[14:15]
	s_wait_loadcnt_dscnt 0x200
	v_mul_f64_e32 v[120:121], v[114:115], v[18:19]
	v_mul_f64_e32 v[18:19], v[116:117], v[18:19]
	v_add_f64_e32 v[10:11], 0, v[122:123]
	v_add_f64_e32 v[118:119], 0, v[124:125]
	v_fmac_f64_e32 v[128:129], v[6:7], v[12:13]
	v_fma_f64 v[12:13], v[4:5], v[12:13], -v[14:15]
	ds_load_b128 v[4:7], v2 offset:1328
	v_fmac_f64_e32 v[120:121], v[116:117], v[16:17]
	v_fma_f64 v[16:17], v[114:115], v[16:17], -v[18:19]
	v_add_f64_e32 v[8:9], v[10:11], v[8:9]
	v_add_f64_e32 v[10:11], v[118:119], v[126:127]
	s_wait_loadcnt_dscnt 0x100
	v_mul_f64_e32 v[14:15], v[4:5], v[22:23]
	v_mul_f64_e32 v[22:23], v[6:7], v[22:23]
	s_delay_alu instid0(VALU_DEP_4) | instskip(NEXT) | instid1(VALU_DEP_4)
	v_add_f64_e32 v[8:9], v[8:9], v[12:13]
	v_add_f64_e32 v[10:11], v[10:11], v[128:129]
	s_delay_alu instid0(VALU_DEP_4) | instskip(NEXT) | instid1(VALU_DEP_4)
	v_fmac_f64_e32 v[14:15], v[6:7], v[20:21]
	v_fma_f64 v[4:5], v[4:5], v[20:21], -v[22:23]
	s_delay_alu instid0(VALU_DEP_4) | instskip(NEXT) | instid1(VALU_DEP_4)
	v_add_f64_e32 v[6:7], v[8:9], v[16:17]
	v_add_f64_e32 v[8:9], v[10:11], v[120:121]
	s_delay_alu instid0(VALU_DEP_2) | instskip(NEXT) | instid1(VALU_DEP_2)
	v_add_f64_e32 v[4:5], v[6:7], v[4:5]
	v_add_f64_e32 v[6:7], v[8:9], v[14:15]
	s_wait_loadcnt 0x0
	s_delay_alu instid0(VALU_DEP_2) | instskip(NEXT) | instid1(VALU_DEP_2)
	v_add_f64_e64 v[4:5], v[110:111], -v[4:5]
	v_add_f64_e64 v[6:7], v[112:113], -v[6:7]
	scratch_store_b128 off, v[4:7], off offset:576
	s_wait_xcnt 0x0
	v_cmpx_lt_u32_e32 35, v1
	s_cbranch_execz .LBB41_195
; %bb.194:
	scratch_load_b128 v[6:9], off, s31
	v_dual_mov_b32 v3, v2 :: v_dual_mov_b32 v4, v2
	v_mov_b32_e32 v5, v2
	scratch_store_b128 off, v[2:5], off offset:560
	s_wait_loadcnt 0x0
	ds_store_b128 v108, v[6:9]
.LBB41_195:
	s_wait_xcnt 0x0
	s_or_b32 exec_lo, exec_lo, s2
	s_wait_storecnt_dscnt 0x0
	s_barrier_signal -1
	s_barrier_wait -1
	s_clause 0x6
	scratch_load_b128 v[4:7], off, off offset:576
	scratch_load_b128 v[8:11], off, off offset:592
	;; [unrolled: 1-line block ×7, first 2 shown]
	ds_load_b128 v[118:121], v2 offset:1248
	ds_load_b128 v[122:125], v2 offset:1264
	s_mov_b32 s2, exec_lo
	s_wait_loadcnt_dscnt 0x601
	v_mul_f64_e32 v[126:127], v[120:121], v[6:7]
	v_mul_f64_e32 v[128:129], v[118:119], v[6:7]
	s_wait_loadcnt_dscnt 0x500
	v_mul_f64_e32 v[130:131], v[122:123], v[10:11]
	v_mul_f64_e32 v[10:11], v[124:125], v[10:11]
	s_delay_alu instid0(VALU_DEP_4) | instskip(NEXT) | instid1(VALU_DEP_4)
	v_fma_f64 v[126:127], v[118:119], v[4:5], -v[126:127]
	v_fmac_f64_e32 v[128:129], v[120:121], v[4:5]
	ds_load_b128 v[4:7], v2 offset:1280
	ds_load_b128 v[118:121], v2 offset:1296
	v_fmac_f64_e32 v[130:131], v[124:125], v[8:9]
	v_fma_f64 v[8:9], v[122:123], v[8:9], -v[10:11]
	s_wait_loadcnt_dscnt 0x401
	v_mul_f64_e32 v[132:133], v[4:5], v[14:15]
	v_mul_f64_e32 v[14:15], v[6:7], v[14:15]
	s_wait_loadcnt_dscnt 0x300
	v_mul_f64_e32 v[124:125], v[118:119], v[18:19]
	v_mul_f64_e32 v[18:19], v[120:121], v[18:19]
	v_add_f64_e32 v[10:11], 0, v[126:127]
	v_add_f64_e32 v[122:123], 0, v[128:129]
	v_fmac_f64_e32 v[132:133], v[6:7], v[12:13]
	v_fma_f64 v[12:13], v[4:5], v[12:13], -v[14:15]
	v_fmac_f64_e32 v[124:125], v[120:121], v[16:17]
	v_fma_f64 v[16:17], v[118:119], v[16:17], -v[18:19]
	v_add_f64_e32 v[14:15], v[10:11], v[8:9]
	v_add_f64_e32 v[122:123], v[122:123], v[130:131]
	ds_load_b128 v[4:7], v2 offset:1312
	ds_load_b128 v[8:11], v2 offset:1328
	s_wait_loadcnt_dscnt 0x201
	v_mul_f64_e32 v[2:3], v[4:5], v[22:23]
	v_mul_f64_e32 v[22:23], v[6:7], v[22:23]
	s_wait_loadcnt_dscnt 0x100
	v_mul_f64_e32 v[18:19], v[8:9], v[112:113]
	v_mul_f64_e32 v[112:113], v[10:11], v[112:113]
	v_add_f64_e32 v[12:13], v[14:15], v[12:13]
	v_add_f64_e32 v[14:15], v[122:123], v[132:133]
	v_fmac_f64_e32 v[2:3], v[6:7], v[20:21]
	v_fma_f64 v[4:5], v[4:5], v[20:21], -v[22:23]
	v_fmac_f64_e32 v[18:19], v[10:11], v[110:111]
	v_fma_f64 v[8:9], v[8:9], v[110:111], -v[112:113]
	v_add_f64_e32 v[6:7], v[12:13], v[16:17]
	v_add_f64_e32 v[12:13], v[14:15], v[124:125]
	s_delay_alu instid0(VALU_DEP_2) | instskip(NEXT) | instid1(VALU_DEP_2)
	v_add_f64_e32 v[4:5], v[6:7], v[4:5]
	v_add_f64_e32 v[2:3], v[12:13], v[2:3]
	s_delay_alu instid0(VALU_DEP_2) | instskip(NEXT) | instid1(VALU_DEP_2)
	v_add_f64_e32 v[4:5], v[4:5], v[8:9]
	v_add_f64_e32 v[6:7], v[2:3], v[18:19]
	s_wait_loadcnt 0x0
	s_delay_alu instid0(VALU_DEP_2) | instskip(NEXT) | instid1(VALU_DEP_2)
	v_add_f64_e64 v[2:3], v[114:115], -v[4:5]
	v_add_f64_e64 v[4:5], v[116:117], -v[6:7]
	scratch_store_b128 off, v[2:5], off offset:560
	s_wait_xcnt 0x0
	v_cmpx_lt_u32_e32 34, v1
	s_cbranch_execz .LBB41_197
; %bb.196:
	scratch_load_b128 v[2:5], off, s9
	v_mov_b32_e32 v6, 0
	s_delay_alu instid0(VALU_DEP_1)
	v_dual_mov_b32 v7, v6 :: v_dual_mov_b32 v8, v6
	v_mov_b32_e32 v9, v6
	scratch_store_b128 off, v[6:9], off offset:544
	s_wait_loadcnt 0x0
	ds_store_b128 v108, v[2:5]
.LBB41_197:
	s_wait_xcnt 0x0
	s_or_b32 exec_lo, exec_lo, s2
	s_wait_storecnt_dscnt 0x0
	s_barrier_signal -1
	s_barrier_wait -1
	s_clause 0x7
	scratch_load_b128 v[4:7], off, off offset:560
	scratch_load_b128 v[8:11], off, off offset:576
	;; [unrolled: 1-line block ×8, first 2 shown]
	v_mov_b32_e32 v2, 0
	ds_load_b128 v[122:125], v2 offset:1232
	ds_load_b128 v[126:129], v2 offset:1248
	s_mov_b32 s2, exec_lo
	s_wait_loadcnt_dscnt 0x701
	v_mul_f64_e32 v[130:131], v[124:125], v[6:7]
	v_mul_f64_e32 v[132:133], v[122:123], v[6:7]
	s_wait_loadcnt_dscnt 0x600
	v_mul_f64_e32 v[134:135], v[126:127], v[10:11]
	v_mul_f64_e32 v[10:11], v[128:129], v[10:11]
	s_delay_alu instid0(VALU_DEP_4) | instskip(NEXT) | instid1(VALU_DEP_4)
	v_fma_f64 v[130:131], v[122:123], v[4:5], -v[130:131]
	v_fmac_f64_e32 v[132:133], v[124:125], v[4:5]
	ds_load_b128 v[4:7], v2 offset:1264
	ds_load_b128 v[122:125], v2 offset:1280
	v_fmac_f64_e32 v[134:135], v[128:129], v[8:9]
	v_fma_f64 v[8:9], v[126:127], v[8:9], -v[10:11]
	s_wait_loadcnt_dscnt 0x501
	v_mul_f64_e32 v[136:137], v[4:5], v[14:15]
	v_mul_f64_e32 v[14:15], v[6:7], v[14:15]
	s_wait_loadcnt_dscnt 0x400
	v_mul_f64_e32 v[128:129], v[122:123], v[18:19]
	v_mul_f64_e32 v[18:19], v[124:125], v[18:19]
	v_add_f64_e32 v[10:11], 0, v[130:131]
	v_add_f64_e32 v[126:127], 0, v[132:133]
	v_fmac_f64_e32 v[136:137], v[6:7], v[12:13]
	v_fma_f64 v[12:13], v[4:5], v[12:13], -v[14:15]
	v_fmac_f64_e32 v[128:129], v[124:125], v[16:17]
	v_fma_f64 v[16:17], v[122:123], v[16:17], -v[18:19]
	v_add_f64_e32 v[14:15], v[10:11], v[8:9]
	v_add_f64_e32 v[126:127], v[126:127], v[134:135]
	ds_load_b128 v[4:7], v2 offset:1296
	ds_load_b128 v[8:11], v2 offset:1312
	s_wait_loadcnt_dscnt 0x301
	v_mul_f64_e32 v[130:131], v[4:5], v[22:23]
	v_mul_f64_e32 v[22:23], v[6:7], v[22:23]
	s_wait_loadcnt_dscnt 0x200
	v_mul_f64_e32 v[18:19], v[8:9], v[112:113]
	v_mul_f64_e32 v[112:113], v[10:11], v[112:113]
	v_add_f64_e32 v[12:13], v[14:15], v[12:13]
	v_add_f64_e32 v[14:15], v[126:127], v[136:137]
	v_fmac_f64_e32 v[130:131], v[6:7], v[20:21]
	v_fma_f64 v[20:21], v[4:5], v[20:21], -v[22:23]
	ds_load_b128 v[4:7], v2 offset:1328
	v_fmac_f64_e32 v[18:19], v[10:11], v[110:111]
	v_fma_f64 v[8:9], v[8:9], v[110:111], -v[112:113]
	v_add_f64_e32 v[12:13], v[12:13], v[16:17]
	v_add_f64_e32 v[14:15], v[14:15], v[128:129]
	s_wait_loadcnt_dscnt 0x100
	v_mul_f64_e32 v[16:17], v[4:5], v[116:117]
	v_mul_f64_e32 v[22:23], v[6:7], v[116:117]
	s_delay_alu instid0(VALU_DEP_4) | instskip(NEXT) | instid1(VALU_DEP_4)
	v_add_f64_e32 v[10:11], v[12:13], v[20:21]
	v_add_f64_e32 v[12:13], v[14:15], v[130:131]
	s_delay_alu instid0(VALU_DEP_4) | instskip(NEXT) | instid1(VALU_DEP_4)
	v_fmac_f64_e32 v[16:17], v[6:7], v[114:115]
	v_fma_f64 v[4:5], v[4:5], v[114:115], -v[22:23]
	s_delay_alu instid0(VALU_DEP_4) | instskip(NEXT) | instid1(VALU_DEP_4)
	v_add_f64_e32 v[6:7], v[10:11], v[8:9]
	v_add_f64_e32 v[8:9], v[12:13], v[18:19]
	s_delay_alu instid0(VALU_DEP_2) | instskip(NEXT) | instid1(VALU_DEP_2)
	v_add_f64_e32 v[4:5], v[6:7], v[4:5]
	v_add_f64_e32 v[6:7], v[8:9], v[16:17]
	s_wait_loadcnt 0x0
	s_delay_alu instid0(VALU_DEP_2) | instskip(NEXT) | instid1(VALU_DEP_2)
	v_add_f64_e64 v[4:5], v[118:119], -v[4:5]
	v_add_f64_e64 v[6:7], v[120:121], -v[6:7]
	scratch_store_b128 off, v[4:7], off offset:544
	s_wait_xcnt 0x0
	v_cmpx_lt_u32_e32 33, v1
	s_cbranch_execz .LBB41_199
; %bb.198:
	scratch_load_b128 v[6:9], off, s8
	v_dual_mov_b32 v3, v2 :: v_dual_mov_b32 v4, v2
	v_mov_b32_e32 v5, v2
	scratch_store_b128 off, v[2:5], off offset:528
	s_wait_loadcnt 0x0
	ds_store_b128 v108, v[6:9]
.LBB41_199:
	s_wait_xcnt 0x0
	s_or_b32 exec_lo, exec_lo, s2
	s_wait_storecnt_dscnt 0x0
	s_barrier_signal -1
	s_barrier_wait -1
	s_clause 0x7
	scratch_load_b128 v[4:7], off, off offset:544
	scratch_load_b128 v[8:11], off, off offset:560
	;; [unrolled: 1-line block ×8, first 2 shown]
	ds_load_b128 v[122:125], v2 offset:1216
	ds_load_b128 v[126:129], v2 offset:1232
	scratch_load_b128 v[130:133], off, off offset:528
	s_mov_b32 s2, exec_lo
	s_wait_loadcnt_dscnt 0x801
	v_mul_f64_e32 v[134:135], v[124:125], v[6:7]
	v_mul_f64_e32 v[136:137], v[122:123], v[6:7]
	s_wait_loadcnt_dscnt 0x700
	v_mul_f64_e32 v[138:139], v[126:127], v[10:11]
	v_mul_f64_e32 v[10:11], v[128:129], v[10:11]
	s_delay_alu instid0(VALU_DEP_4) | instskip(NEXT) | instid1(VALU_DEP_4)
	v_fma_f64 v[134:135], v[122:123], v[4:5], -v[134:135]
	v_fmac_f64_e32 v[136:137], v[124:125], v[4:5]
	ds_load_b128 v[4:7], v2 offset:1248
	ds_load_b128 v[122:125], v2 offset:1264
	v_fmac_f64_e32 v[138:139], v[128:129], v[8:9]
	v_fma_f64 v[8:9], v[126:127], v[8:9], -v[10:11]
	s_wait_loadcnt_dscnt 0x601
	v_mul_f64_e32 v[140:141], v[4:5], v[14:15]
	v_mul_f64_e32 v[14:15], v[6:7], v[14:15]
	s_wait_loadcnt_dscnt 0x500
	v_mul_f64_e32 v[128:129], v[122:123], v[18:19]
	v_mul_f64_e32 v[18:19], v[124:125], v[18:19]
	v_add_f64_e32 v[10:11], 0, v[134:135]
	v_add_f64_e32 v[126:127], 0, v[136:137]
	v_fmac_f64_e32 v[140:141], v[6:7], v[12:13]
	v_fma_f64 v[12:13], v[4:5], v[12:13], -v[14:15]
	v_fmac_f64_e32 v[128:129], v[124:125], v[16:17]
	v_fma_f64 v[16:17], v[122:123], v[16:17], -v[18:19]
	v_add_f64_e32 v[14:15], v[10:11], v[8:9]
	v_add_f64_e32 v[126:127], v[126:127], v[138:139]
	ds_load_b128 v[4:7], v2 offset:1280
	ds_load_b128 v[8:11], v2 offset:1296
	s_wait_loadcnt_dscnt 0x401
	v_mul_f64_e32 v[134:135], v[4:5], v[22:23]
	v_mul_f64_e32 v[22:23], v[6:7], v[22:23]
	s_wait_loadcnt_dscnt 0x300
	v_mul_f64_e32 v[18:19], v[8:9], v[112:113]
	v_mul_f64_e32 v[112:113], v[10:11], v[112:113]
	v_add_f64_e32 v[12:13], v[14:15], v[12:13]
	v_add_f64_e32 v[14:15], v[126:127], v[140:141]
	v_fmac_f64_e32 v[134:135], v[6:7], v[20:21]
	v_fma_f64 v[20:21], v[4:5], v[20:21], -v[22:23]
	v_fmac_f64_e32 v[18:19], v[10:11], v[110:111]
	v_fma_f64 v[8:9], v[8:9], v[110:111], -v[112:113]
	v_add_f64_e32 v[16:17], v[12:13], v[16:17]
	v_add_f64_e32 v[22:23], v[14:15], v[128:129]
	ds_load_b128 v[4:7], v2 offset:1312
	ds_load_b128 v[12:15], v2 offset:1328
	s_wait_loadcnt_dscnt 0x201
	v_mul_f64_e32 v[2:3], v[4:5], v[116:117]
	v_mul_f64_e32 v[116:117], v[6:7], v[116:117]
	v_add_f64_e32 v[10:11], v[16:17], v[20:21]
	v_add_f64_e32 v[16:17], v[22:23], v[134:135]
	s_wait_loadcnt_dscnt 0x100
	v_mul_f64_e32 v[20:21], v[12:13], v[120:121]
	v_mul_f64_e32 v[22:23], v[14:15], v[120:121]
	v_fmac_f64_e32 v[2:3], v[6:7], v[114:115]
	v_fma_f64 v[4:5], v[4:5], v[114:115], -v[116:117]
	v_add_f64_e32 v[6:7], v[10:11], v[8:9]
	v_add_f64_e32 v[8:9], v[16:17], v[18:19]
	v_fmac_f64_e32 v[20:21], v[14:15], v[118:119]
	v_fma_f64 v[10:11], v[12:13], v[118:119], -v[22:23]
	s_delay_alu instid0(VALU_DEP_4) | instskip(NEXT) | instid1(VALU_DEP_4)
	v_add_f64_e32 v[4:5], v[6:7], v[4:5]
	v_add_f64_e32 v[2:3], v[8:9], v[2:3]
	s_delay_alu instid0(VALU_DEP_2) | instskip(NEXT) | instid1(VALU_DEP_2)
	v_add_f64_e32 v[4:5], v[4:5], v[10:11]
	v_add_f64_e32 v[6:7], v[2:3], v[20:21]
	s_wait_loadcnt 0x0
	s_delay_alu instid0(VALU_DEP_2) | instskip(NEXT) | instid1(VALU_DEP_2)
	v_add_f64_e64 v[2:3], v[130:131], -v[4:5]
	v_add_f64_e64 v[4:5], v[132:133], -v[6:7]
	scratch_store_b128 off, v[2:5], off offset:528
	s_wait_xcnt 0x0
	v_cmpx_lt_u32_e32 32, v1
	s_cbranch_execz .LBB41_201
; %bb.200:
	scratch_load_b128 v[2:5], off, s11
	v_mov_b32_e32 v6, 0
	s_delay_alu instid0(VALU_DEP_1)
	v_dual_mov_b32 v7, v6 :: v_dual_mov_b32 v8, v6
	v_mov_b32_e32 v9, v6
	scratch_store_b128 off, v[6:9], off offset:512
	s_wait_loadcnt 0x0
	ds_store_b128 v108, v[2:5]
.LBB41_201:
	s_wait_xcnt 0x0
	s_or_b32 exec_lo, exec_lo, s2
	s_wait_storecnt_dscnt 0x0
	s_barrier_signal -1
	s_barrier_wait -1
	s_clause 0x8
	scratch_load_b128 v[4:7], off, off offset:528
	scratch_load_b128 v[8:11], off, off offset:544
	;; [unrolled: 1-line block ×9, first 2 shown]
	v_mov_b32_e32 v2, 0
	scratch_load_b128 v[130:133], off, off offset:512
	s_mov_b32 s2, exec_lo
	ds_load_b128 v[126:129], v2 offset:1200
	ds_load_b128 v[134:137], v2 offset:1216
	s_wait_loadcnt_dscnt 0x901
	v_mul_f64_e32 v[138:139], v[128:129], v[6:7]
	v_mul_f64_e32 v[140:141], v[126:127], v[6:7]
	s_wait_loadcnt_dscnt 0x800
	v_mul_f64_e32 v[142:143], v[134:135], v[10:11]
	v_mul_f64_e32 v[10:11], v[136:137], v[10:11]
	s_delay_alu instid0(VALU_DEP_4) | instskip(NEXT) | instid1(VALU_DEP_4)
	v_fma_f64 v[138:139], v[126:127], v[4:5], -v[138:139]
	v_fmac_f64_e32 v[140:141], v[128:129], v[4:5]
	ds_load_b128 v[4:7], v2 offset:1232
	ds_load_b128 v[126:129], v2 offset:1248
	v_fmac_f64_e32 v[142:143], v[136:137], v[8:9]
	v_fma_f64 v[8:9], v[134:135], v[8:9], -v[10:11]
	s_wait_loadcnt_dscnt 0x701
	v_mul_f64_e32 v[144:145], v[4:5], v[14:15]
	v_mul_f64_e32 v[14:15], v[6:7], v[14:15]
	s_wait_loadcnt_dscnt 0x600
	v_mul_f64_e32 v[136:137], v[126:127], v[18:19]
	v_mul_f64_e32 v[18:19], v[128:129], v[18:19]
	v_add_f64_e32 v[10:11], 0, v[138:139]
	v_add_f64_e32 v[134:135], 0, v[140:141]
	v_fmac_f64_e32 v[144:145], v[6:7], v[12:13]
	v_fma_f64 v[12:13], v[4:5], v[12:13], -v[14:15]
	v_fmac_f64_e32 v[136:137], v[128:129], v[16:17]
	v_fma_f64 v[16:17], v[126:127], v[16:17], -v[18:19]
	v_add_f64_e32 v[14:15], v[10:11], v[8:9]
	v_add_f64_e32 v[134:135], v[134:135], v[142:143]
	ds_load_b128 v[4:7], v2 offset:1264
	ds_load_b128 v[8:11], v2 offset:1280
	s_wait_loadcnt_dscnt 0x501
	v_mul_f64_e32 v[138:139], v[4:5], v[22:23]
	v_mul_f64_e32 v[22:23], v[6:7], v[22:23]
	s_wait_loadcnt_dscnt 0x400
	v_mul_f64_e32 v[18:19], v[8:9], v[112:113]
	v_mul_f64_e32 v[112:113], v[10:11], v[112:113]
	v_add_f64_e32 v[12:13], v[14:15], v[12:13]
	v_add_f64_e32 v[14:15], v[134:135], v[144:145]
	v_fmac_f64_e32 v[138:139], v[6:7], v[20:21]
	v_fma_f64 v[20:21], v[4:5], v[20:21], -v[22:23]
	v_fmac_f64_e32 v[18:19], v[10:11], v[110:111]
	v_fma_f64 v[8:9], v[8:9], v[110:111], -v[112:113]
	v_add_f64_e32 v[16:17], v[12:13], v[16:17]
	v_add_f64_e32 v[22:23], v[14:15], v[136:137]
	ds_load_b128 v[4:7], v2 offset:1296
	ds_load_b128 v[12:15], v2 offset:1312
	s_wait_loadcnt_dscnt 0x301
	v_mul_f64_e32 v[126:127], v[4:5], v[116:117]
	v_mul_f64_e32 v[116:117], v[6:7], v[116:117]
	v_add_f64_e32 v[10:11], v[16:17], v[20:21]
	v_add_f64_e32 v[16:17], v[22:23], v[138:139]
	s_wait_loadcnt_dscnt 0x200
	v_mul_f64_e32 v[20:21], v[12:13], v[120:121]
	v_mul_f64_e32 v[22:23], v[14:15], v[120:121]
	v_fmac_f64_e32 v[126:127], v[6:7], v[114:115]
	v_fma_f64 v[110:111], v[4:5], v[114:115], -v[116:117]
	ds_load_b128 v[4:7], v2 offset:1328
	v_add_f64_e32 v[8:9], v[10:11], v[8:9]
	v_add_f64_e32 v[10:11], v[16:17], v[18:19]
	v_fmac_f64_e32 v[20:21], v[14:15], v[118:119]
	v_fma_f64 v[12:13], v[12:13], v[118:119], -v[22:23]
	s_wait_loadcnt_dscnt 0x100
	v_mul_f64_e32 v[16:17], v[4:5], v[124:125]
	v_mul_f64_e32 v[18:19], v[6:7], v[124:125]
	v_add_f64_e32 v[8:9], v[8:9], v[110:111]
	v_add_f64_e32 v[10:11], v[10:11], v[126:127]
	s_delay_alu instid0(VALU_DEP_4) | instskip(NEXT) | instid1(VALU_DEP_4)
	v_fmac_f64_e32 v[16:17], v[6:7], v[122:123]
	v_fma_f64 v[4:5], v[4:5], v[122:123], -v[18:19]
	s_delay_alu instid0(VALU_DEP_4) | instskip(NEXT) | instid1(VALU_DEP_4)
	v_add_f64_e32 v[6:7], v[8:9], v[12:13]
	v_add_f64_e32 v[8:9], v[10:11], v[20:21]
	s_delay_alu instid0(VALU_DEP_2) | instskip(NEXT) | instid1(VALU_DEP_2)
	v_add_f64_e32 v[4:5], v[6:7], v[4:5]
	v_add_f64_e32 v[6:7], v[8:9], v[16:17]
	s_wait_loadcnt 0x0
	s_delay_alu instid0(VALU_DEP_2) | instskip(NEXT) | instid1(VALU_DEP_2)
	v_add_f64_e64 v[4:5], v[130:131], -v[4:5]
	v_add_f64_e64 v[6:7], v[132:133], -v[6:7]
	scratch_store_b128 off, v[4:7], off offset:512
	s_wait_xcnt 0x0
	v_cmpx_lt_u32_e32 31, v1
	s_cbranch_execz .LBB41_203
; %bb.202:
	scratch_load_b128 v[6:9], off, s10
	v_dual_mov_b32 v3, v2 :: v_dual_mov_b32 v4, v2
	v_mov_b32_e32 v5, v2
	scratch_store_b128 off, v[2:5], off offset:496
	s_wait_loadcnt 0x0
	ds_store_b128 v108, v[6:9]
.LBB41_203:
	s_wait_xcnt 0x0
	s_or_b32 exec_lo, exec_lo, s2
	s_wait_storecnt_dscnt 0x0
	s_barrier_signal -1
	s_barrier_wait -1
	s_clause 0x9
	scratch_load_b128 v[4:7], off, off offset:512
	scratch_load_b128 v[8:11], off, off offset:528
	;; [unrolled: 1-line block ×10, first 2 shown]
	ds_load_b128 v[130:133], v2 offset:1184
	ds_load_b128 v[134:137], v2 offset:1200
	scratch_load_b128 v[138:141], off, off offset:496
	s_mov_b32 s2, exec_lo
	s_wait_loadcnt_dscnt 0xa01
	v_mul_f64_e32 v[142:143], v[132:133], v[6:7]
	v_mul_f64_e32 v[144:145], v[130:131], v[6:7]
	s_wait_loadcnt_dscnt 0x900
	v_mul_f64_e32 v[146:147], v[134:135], v[10:11]
	v_mul_f64_e32 v[10:11], v[136:137], v[10:11]
	s_delay_alu instid0(VALU_DEP_4) | instskip(NEXT) | instid1(VALU_DEP_4)
	v_fma_f64 v[142:143], v[130:131], v[4:5], -v[142:143]
	v_fmac_f64_e32 v[144:145], v[132:133], v[4:5]
	ds_load_b128 v[4:7], v2 offset:1216
	ds_load_b128 v[130:133], v2 offset:1232
	v_fmac_f64_e32 v[146:147], v[136:137], v[8:9]
	v_fma_f64 v[8:9], v[134:135], v[8:9], -v[10:11]
	s_wait_loadcnt_dscnt 0x801
	v_mul_f64_e32 v[148:149], v[4:5], v[14:15]
	v_mul_f64_e32 v[14:15], v[6:7], v[14:15]
	s_wait_loadcnt_dscnt 0x700
	v_mul_f64_e32 v[136:137], v[130:131], v[18:19]
	v_mul_f64_e32 v[18:19], v[132:133], v[18:19]
	v_add_f64_e32 v[10:11], 0, v[142:143]
	v_add_f64_e32 v[134:135], 0, v[144:145]
	v_fmac_f64_e32 v[148:149], v[6:7], v[12:13]
	v_fma_f64 v[12:13], v[4:5], v[12:13], -v[14:15]
	v_fmac_f64_e32 v[136:137], v[132:133], v[16:17]
	v_fma_f64 v[16:17], v[130:131], v[16:17], -v[18:19]
	v_add_f64_e32 v[14:15], v[10:11], v[8:9]
	v_add_f64_e32 v[134:135], v[134:135], v[146:147]
	ds_load_b128 v[4:7], v2 offset:1248
	ds_load_b128 v[8:11], v2 offset:1264
	s_wait_loadcnt_dscnt 0x601
	v_mul_f64_e32 v[142:143], v[4:5], v[22:23]
	v_mul_f64_e32 v[22:23], v[6:7], v[22:23]
	s_wait_loadcnt_dscnt 0x500
	v_mul_f64_e32 v[18:19], v[8:9], v[112:113]
	v_mul_f64_e32 v[112:113], v[10:11], v[112:113]
	v_add_f64_e32 v[12:13], v[14:15], v[12:13]
	v_add_f64_e32 v[14:15], v[134:135], v[148:149]
	v_fmac_f64_e32 v[142:143], v[6:7], v[20:21]
	v_fma_f64 v[20:21], v[4:5], v[20:21], -v[22:23]
	v_fmac_f64_e32 v[18:19], v[10:11], v[110:111]
	v_fma_f64 v[8:9], v[8:9], v[110:111], -v[112:113]
	v_add_f64_e32 v[16:17], v[12:13], v[16:17]
	v_add_f64_e32 v[22:23], v[14:15], v[136:137]
	ds_load_b128 v[4:7], v2 offset:1280
	ds_load_b128 v[12:15], v2 offset:1296
	s_wait_loadcnt_dscnt 0x401
	v_mul_f64_e32 v[130:131], v[4:5], v[116:117]
	v_mul_f64_e32 v[116:117], v[6:7], v[116:117]
	v_add_f64_e32 v[10:11], v[16:17], v[20:21]
	v_add_f64_e32 v[16:17], v[22:23], v[142:143]
	s_wait_loadcnt_dscnt 0x300
	v_mul_f64_e32 v[20:21], v[12:13], v[120:121]
	v_mul_f64_e32 v[22:23], v[14:15], v[120:121]
	v_fmac_f64_e32 v[130:131], v[6:7], v[114:115]
	v_fma_f64 v[110:111], v[4:5], v[114:115], -v[116:117]
	v_add_f64_e32 v[112:113], v[10:11], v[8:9]
	v_add_f64_e32 v[16:17], v[16:17], v[18:19]
	ds_load_b128 v[4:7], v2 offset:1312
	ds_load_b128 v[8:11], v2 offset:1328
	v_fmac_f64_e32 v[20:21], v[14:15], v[118:119]
	v_fma_f64 v[12:13], v[12:13], v[118:119], -v[22:23]
	s_wait_loadcnt_dscnt 0x201
	v_mul_f64_e32 v[2:3], v[4:5], v[124:125]
	v_mul_f64_e32 v[18:19], v[6:7], v[124:125]
	s_wait_loadcnt_dscnt 0x100
	v_mul_f64_e32 v[22:23], v[8:9], v[128:129]
	v_add_f64_e32 v[14:15], v[112:113], v[110:111]
	v_add_f64_e32 v[16:17], v[16:17], v[130:131]
	v_mul_f64_e32 v[110:111], v[10:11], v[128:129]
	v_fmac_f64_e32 v[2:3], v[6:7], v[122:123]
	v_fma_f64 v[4:5], v[4:5], v[122:123], -v[18:19]
	v_fmac_f64_e32 v[22:23], v[10:11], v[126:127]
	v_add_f64_e32 v[6:7], v[14:15], v[12:13]
	v_add_f64_e32 v[12:13], v[16:17], v[20:21]
	v_fma_f64 v[8:9], v[8:9], v[126:127], -v[110:111]
	s_delay_alu instid0(VALU_DEP_3) | instskip(NEXT) | instid1(VALU_DEP_3)
	v_add_f64_e32 v[4:5], v[6:7], v[4:5]
	v_add_f64_e32 v[2:3], v[12:13], v[2:3]
	s_delay_alu instid0(VALU_DEP_2) | instskip(NEXT) | instid1(VALU_DEP_2)
	v_add_f64_e32 v[4:5], v[4:5], v[8:9]
	v_add_f64_e32 v[6:7], v[2:3], v[22:23]
	s_wait_loadcnt 0x0
	s_delay_alu instid0(VALU_DEP_2) | instskip(NEXT) | instid1(VALU_DEP_2)
	v_add_f64_e64 v[2:3], v[138:139], -v[4:5]
	v_add_f64_e64 v[4:5], v[140:141], -v[6:7]
	scratch_store_b128 off, v[2:5], off offset:496
	s_wait_xcnt 0x0
	v_cmpx_lt_u32_e32 30, v1
	s_cbranch_execz .LBB41_205
; %bb.204:
	scratch_load_b128 v[2:5], off, s13
	v_mov_b32_e32 v6, 0
	s_delay_alu instid0(VALU_DEP_1)
	v_dual_mov_b32 v7, v6 :: v_dual_mov_b32 v8, v6
	v_mov_b32_e32 v9, v6
	scratch_store_b128 off, v[6:9], off offset:480
	s_wait_loadcnt 0x0
	ds_store_b128 v108, v[2:5]
.LBB41_205:
	s_wait_xcnt 0x0
	s_or_b32 exec_lo, exec_lo, s2
	s_wait_storecnt_dscnt 0x0
	s_barrier_signal -1
	s_barrier_wait -1
	s_clause 0x9
	scratch_load_b128 v[4:7], off, off offset:496
	scratch_load_b128 v[8:11], off, off offset:512
	;; [unrolled: 1-line block ×10, first 2 shown]
	v_mov_b32_e32 v2, 0
	s_mov_b32 s2, exec_lo
	ds_load_b128 v[130:133], v2 offset:1168
	s_clause 0x1
	scratch_load_b128 v[134:137], off, off offset:656
	scratch_load_b128 v[138:141], off, off offset:480
	s_wait_loadcnt_dscnt 0xb00
	v_mul_f64_e32 v[146:147], v[132:133], v[6:7]
	v_mul_f64_e32 v[148:149], v[130:131], v[6:7]
	ds_load_b128 v[142:145], v2 offset:1184
	s_wait_loadcnt_dscnt 0xa00
	v_mul_f64_e32 v[150:151], v[142:143], v[10:11]
	v_mul_f64_e32 v[10:11], v[144:145], v[10:11]
	v_fma_f64 v[146:147], v[130:131], v[4:5], -v[146:147]
	v_fmac_f64_e32 v[148:149], v[132:133], v[4:5]
	ds_load_b128 v[4:7], v2 offset:1200
	ds_load_b128 v[130:133], v2 offset:1216
	s_wait_loadcnt_dscnt 0x901
	v_mul_f64_e32 v[152:153], v[4:5], v[14:15]
	v_mul_f64_e32 v[14:15], v[6:7], v[14:15]
	v_fmac_f64_e32 v[150:151], v[144:145], v[8:9]
	v_fma_f64 v[8:9], v[142:143], v[8:9], -v[10:11]
	s_wait_loadcnt_dscnt 0x800
	v_mul_f64_e32 v[144:145], v[130:131], v[18:19]
	v_mul_f64_e32 v[18:19], v[132:133], v[18:19]
	v_add_f64_e32 v[10:11], 0, v[146:147]
	v_add_f64_e32 v[142:143], 0, v[148:149]
	v_fmac_f64_e32 v[152:153], v[6:7], v[12:13]
	v_fma_f64 v[12:13], v[4:5], v[12:13], -v[14:15]
	v_fmac_f64_e32 v[144:145], v[132:133], v[16:17]
	v_fma_f64 v[16:17], v[130:131], v[16:17], -v[18:19]
	v_add_f64_e32 v[14:15], v[10:11], v[8:9]
	v_add_f64_e32 v[142:143], v[142:143], v[150:151]
	ds_load_b128 v[4:7], v2 offset:1232
	ds_load_b128 v[8:11], v2 offset:1248
	s_wait_loadcnt_dscnt 0x701
	v_mul_f64_e32 v[146:147], v[4:5], v[22:23]
	v_mul_f64_e32 v[22:23], v[6:7], v[22:23]
	s_wait_loadcnt_dscnt 0x600
	v_mul_f64_e32 v[18:19], v[8:9], v[112:113]
	v_mul_f64_e32 v[112:113], v[10:11], v[112:113]
	v_add_f64_e32 v[12:13], v[14:15], v[12:13]
	v_add_f64_e32 v[14:15], v[142:143], v[152:153]
	v_fmac_f64_e32 v[146:147], v[6:7], v[20:21]
	v_fma_f64 v[20:21], v[4:5], v[20:21], -v[22:23]
	v_fmac_f64_e32 v[18:19], v[10:11], v[110:111]
	v_fma_f64 v[8:9], v[8:9], v[110:111], -v[112:113]
	v_add_f64_e32 v[16:17], v[12:13], v[16:17]
	v_add_f64_e32 v[22:23], v[14:15], v[144:145]
	ds_load_b128 v[4:7], v2 offset:1264
	ds_load_b128 v[12:15], v2 offset:1280
	s_wait_loadcnt_dscnt 0x501
	v_mul_f64_e32 v[130:131], v[4:5], v[116:117]
	v_mul_f64_e32 v[116:117], v[6:7], v[116:117]
	v_add_f64_e32 v[10:11], v[16:17], v[20:21]
	v_add_f64_e32 v[16:17], v[22:23], v[146:147]
	s_wait_loadcnt_dscnt 0x400
	v_mul_f64_e32 v[20:21], v[12:13], v[120:121]
	v_mul_f64_e32 v[22:23], v[14:15], v[120:121]
	v_fmac_f64_e32 v[130:131], v[6:7], v[114:115]
	v_fma_f64 v[110:111], v[4:5], v[114:115], -v[116:117]
	v_add_f64_e32 v[112:113], v[10:11], v[8:9]
	v_add_f64_e32 v[16:17], v[16:17], v[18:19]
	ds_load_b128 v[4:7], v2 offset:1296
	ds_load_b128 v[8:11], v2 offset:1312
	v_fmac_f64_e32 v[20:21], v[14:15], v[118:119]
	v_fma_f64 v[12:13], v[12:13], v[118:119], -v[22:23]
	s_wait_loadcnt_dscnt 0x301
	v_mul_f64_e32 v[18:19], v[4:5], v[124:125]
	v_mul_f64_e32 v[114:115], v[6:7], v[124:125]
	s_wait_loadcnt_dscnt 0x200
	v_mul_f64_e32 v[22:23], v[8:9], v[128:129]
	v_add_f64_e32 v[14:15], v[112:113], v[110:111]
	v_add_f64_e32 v[16:17], v[16:17], v[130:131]
	v_mul_f64_e32 v[110:111], v[10:11], v[128:129]
	v_fmac_f64_e32 v[18:19], v[6:7], v[122:123]
	v_fma_f64 v[112:113], v[4:5], v[122:123], -v[114:115]
	ds_load_b128 v[4:7], v2 offset:1328
	v_fmac_f64_e32 v[22:23], v[10:11], v[126:127]
	v_add_f64_e32 v[12:13], v[14:15], v[12:13]
	v_add_f64_e32 v[14:15], v[16:17], v[20:21]
	v_fma_f64 v[8:9], v[8:9], v[126:127], -v[110:111]
	s_wait_loadcnt_dscnt 0x100
	v_mul_f64_e32 v[16:17], v[4:5], v[136:137]
	v_mul_f64_e32 v[20:21], v[6:7], v[136:137]
	v_add_f64_e32 v[10:11], v[12:13], v[112:113]
	v_add_f64_e32 v[12:13], v[14:15], v[18:19]
	s_delay_alu instid0(VALU_DEP_4) | instskip(NEXT) | instid1(VALU_DEP_4)
	v_fmac_f64_e32 v[16:17], v[6:7], v[134:135]
	v_fma_f64 v[4:5], v[4:5], v[134:135], -v[20:21]
	s_delay_alu instid0(VALU_DEP_4) | instskip(NEXT) | instid1(VALU_DEP_4)
	v_add_f64_e32 v[6:7], v[10:11], v[8:9]
	v_add_f64_e32 v[8:9], v[12:13], v[22:23]
	s_delay_alu instid0(VALU_DEP_2) | instskip(NEXT) | instid1(VALU_DEP_2)
	v_add_f64_e32 v[4:5], v[6:7], v[4:5]
	v_add_f64_e32 v[6:7], v[8:9], v[16:17]
	s_wait_loadcnt 0x0
	s_delay_alu instid0(VALU_DEP_2) | instskip(NEXT) | instid1(VALU_DEP_2)
	v_add_f64_e64 v[4:5], v[138:139], -v[4:5]
	v_add_f64_e64 v[6:7], v[140:141], -v[6:7]
	scratch_store_b128 off, v[4:7], off offset:480
	s_wait_xcnt 0x0
	v_cmpx_lt_u32_e32 29, v1
	s_cbranch_execz .LBB41_207
; %bb.206:
	scratch_load_b128 v[6:9], off, s12
	v_dual_mov_b32 v3, v2 :: v_dual_mov_b32 v4, v2
	v_mov_b32_e32 v5, v2
	scratch_store_b128 off, v[2:5], off offset:464
	s_wait_loadcnt 0x0
	ds_store_b128 v108, v[6:9]
.LBB41_207:
	s_wait_xcnt 0x0
	s_or_b32 exec_lo, exec_lo, s2
	s_wait_storecnt_dscnt 0x0
	s_barrier_signal -1
	s_barrier_wait -1
	s_clause 0x9
	scratch_load_b128 v[4:7], off, off offset:480
	scratch_load_b128 v[8:11], off, off offset:496
	;; [unrolled: 1-line block ×10, first 2 shown]
	ds_load_b128 v[130:133], v2 offset:1152
	ds_load_b128 v[138:141], v2 offset:1168
	s_clause 0x2
	scratch_load_b128 v[134:137], off, off offset:640
	scratch_load_b128 v[142:145], off, off offset:464
	;; [unrolled: 1-line block ×3, first 2 shown]
	s_mov_b32 s2, exec_lo
	s_wait_loadcnt_dscnt 0xc01
	v_mul_f64_e32 v[150:151], v[132:133], v[6:7]
	v_mul_f64_e32 v[152:153], v[130:131], v[6:7]
	s_wait_loadcnt_dscnt 0xb00
	v_mul_f64_e32 v[154:155], v[138:139], v[10:11]
	v_mul_f64_e32 v[10:11], v[140:141], v[10:11]
	s_delay_alu instid0(VALU_DEP_4) | instskip(NEXT) | instid1(VALU_DEP_4)
	v_fma_f64 v[150:151], v[130:131], v[4:5], -v[150:151]
	v_fmac_f64_e32 v[152:153], v[132:133], v[4:5]
	ds_load_b128 v[4:7], v2 offset:1184
	ds_load_b128 v[130:133], v2 offset:1200
	v_fmac_f64_e32 v[154:155], v[140:141], v[8:9]
	v_fma_f64 v[8:9], v[138:139], v[8:9], -v[10:11]
	s_wait_loadcnt_dscnt 0xa01
	v_mul_f64_e32 v[156:157], v[4:5], v[14:15]
	v_mul_f64_e32 v[14:15], v[6:7], v[14:15]
	s_wait_loadcnt_dscnt 0x900
	v_mul_f64_e32 v[140:141], v[130:131], v[18:19]
	v_mul_f64_e32 v[18:19], v[132:133], v[18:19]
	v_add_f64_e32 v[10:11], 0, v[150:151]
	v_add_f64_e32 v[138:139], 0, v[152:153]
	v_fmac_f64_e32 v[156:157], v[6:7], v[12:13]
	v_fma_f64 v[12:13], v[4:5], v[12:13], -v[14:15]
	v_fmac_f64_e32 v[140:141], v[132:133], v[16:17]
	v_fma_f64 v[16:17], v[130:131], v[16:17], -v[18:19]
	v_add_f64_e32 v[14:15], v[10:11], v[8:9]
	v_add_f64_e32 v[138:139], v[138:139], v[154:155]
	ds_load_b128 v[4:7], v2 offset:1216
	ds_load_b128 v[8:11], v2 offset:1232
	s_wait_loadcnt_dscnt 0x801
	v_mul_f64_e32 v[150:151], v[4:5], v[22:23]
	v_mul_f64_e32 v[22:23], v[6:7], v[22:23]
	s_wait_loadcnt_dscnt 0x700
	v_mul_f64_e32 v[18:19], v[8:9], v[112:113]
	v_mul_f64_e32 v[112:113], v[10:11], v[112:113]
	v_add_f64_e32 v[12:13], v[14:15], v[12:13]
	v_add_f64_e32 v[14:15], v[138:139], v[156:157]
	v_fmac_f64_e32 v[150:151], v[6:7], v[20:21]
	v_fma_f64 v[20:21], v[4:5], v[20:21], -v[22:23]
	v_fmac_f64_e32 v[18:19], v[10:11], v[110:111]
	v_fma_f64 v[8:9], v[8:9], v[110:111], -v[112:113]
	v_add_f64_e32 v[16:17], v[12:13], v[16:17]
	v_add_f64_e32 v[22:23], v[14:15], v[140:141]
	ds_load_b128 v[4:7], v2 offset:1248
	ds_load_b128 v[12:15], v2 offset:1264
	s_wait_loadcnt_dscnt 0x601
	v_mul_f64_e32 v[130:131], v[4:5], v[116:117]
	v_mul_f64_e32 v[116:117], v[6:7], v[116:117]
	v_add_f64_e32 v[10:11], v[16:17], v[20:21]
	v_add_f64_e32 v[16:17], v[22:23], v[150:151]
	s_wait_loadcnt_dscnt 0x500
	v_mul_f64_e32 v[20:21], v[12:13], v[120:121]
	v_mul_f64_e32 v[22:23], v[14:15], v[120:121]
	v_fmac_f64_e32 v[130:131], v[6:7], v[114:115]
	v_fma_f64 v[110:111], v[4:5], v[114:115], -v[116:117]
	v_add_f64_e32 v[112:113], v[10:11], v[8:9]
	v_add_f64_e32 v[16:17], v[16:17], v[18:19]
	ds_load_b128 v[4:7], v2 offset:1280
	ds_load_b128 v[8:11], v2 offset:1296
	v_fmac_f64_e32 v[20:21], v[14:15], v[118:119]
	v_fma_f64 v[12:13], v[12:13], v[118:119], -v[22:23]
	s_wait_loadcnt_dscnt 0x401
	v_mul_f64_e32 v[18:19], v[4:5], v[124:125]
	v_mul_f64_e32 v[114:115], v[6:7], v[124:125]
	s_wait_loadcnt_dscnt 0x300
	v_mul_f64_e32 v[22:23], v[8:9], v[128:129]
	v_add_f64_e32 v[14:15], v[112:113], v[110:111]
	v_add_f64_e32 v[16:17], v[16:17], v[130:131]
	v_mul_f64_e32 v[110:111], v[10:11], v[128:129]
	v_fmac_f64_e32 v[18:19], v[6:7], v[122:123]
	v_fma_f64 v[112:113], v[4:5], v[122:123], -v[114:115]
	v_fmac_f64_e32 v[22:23], v[10:11], v[126:127]
	v_add_f64_e32 v[114:115], v[14:15], v[12:13]
	v_add_f64_e32 v[16:17], v[16:17], v[20:21]
	ds_load_b128 v[4:7], v2 offset:1312
	ds_load_b128 v[12:15], v2 offset:1328
	v_fma_f64 v[8:9], v[8:9], v[126:127], -v[110:111]
	s_wait_loadcnt_dscnt 0x201
	v_mul_f64_e32 v[2:3], v[4:5], v[136:137]
	v_mul_f64_e32 v[20:21], v[6:7], v[136:137]
	s_wait_loadcnt_dscnt 0x0
	v_mul_f64_e32 v[110:111], v[14:15], v[148:149]
	v_add_f64_e32 v[10:11], v[114:115], v[112:113]
	v_add_f64_e32 v[16:17], v[16:17], v[18:19]
	v_mul_f64_e32 v[18:19], v[12:13], v[148:149]
	v_fmac_f64_e32 v[2:3], v[6:7], v[134:135]
	v_fma_f64 v[4:5], v[4:5], v[134:135], -v[20:21]
	v_add_f64_e32 v[6:7], v[10:11], v[8:9]
	v_add_f64_e32 v[8:9], v[16:17], v[22:23]
	v_fmac_f64_e32 v[18:19], v[14:15], v[146:147]
	v_fma_f64 v[10:11], v[12:13], v[146:147], -v[110:111]
	s_delay_alu instid0(VALU_DEP_4) | instskip(NEXT) | instid1(VALU_DEP_4)
	v_add_f64_e32 v[4:5], v[6:7], v[4:5]
	v_add_f64_e32 v[2:3], v[8:9], v[2:3]
	s_delay_alu instid0(VALU_DEP_2) | instskip(NEXT) | instid1(VALU_DEP_2)
	v_add_f64_e32 v[4:5], v[4:5], v[10:11]
	v_add_f64_e32 v[6:7], v[2:3], v[18:19]
	s_delay_alu instid0(VALU_DEP_2) | instskip(NEXT) | instid1(VALU_DEP_2)
	v_add_f64_e64 v[2:3], v[142:143], -v[4:5]
	v_add_f64_e64 v[4:5], v[144:145], -v[6:7]
	scratch_store_b128 off, v[2:5], off offset:464
	s_wait_xcnt 0x0
	v_cmpx_lt_u32_e32 28, v1
	s_cbranch_execz .LBB41_209
; %bb.208:
	scratch_load_b128 v[2:5], off, s15
	v_mov_b32_e32 v6, 0
	s_delay_alu instid0(VALU_DEP_1)
	v_dual_mov_b32 v7, v6 :: v_dual_mov_b32 v8, v6
	v_mov_b32_e32 v9, v6
	scratch_store_b128 off, v[6:9], off offset:448
	s_wait_loadcnt 0x0
	ds_store_b128 v108, v[2:5]
.LBB41_209:
	s_wait_xcnt 0x0
	s_or_b32 exec_lo, exec_lo, s2
	s_wait_storecnt_dscnt 0x0
	s_barrier_signal -1
	s_barrier_wait -1
	s_clause 0x9
	scratch_load_b128 v[4:7], off, off offset:464
	scratch_load_b128 v[8:11], off, off offset:480
	;; [unrolled: 1-line block ×10, first 2 shown]
	v_mov_b32_e32 v2, 0
	s_mov_b32 s2, exec_lo
	ds_load_b128 v[130:133], v2 offset:1136
	s_clause 0x2
	scratch_load_b128 v[134:137], off, off offset:624
	scratch_load_b128 v[138:141], off, off offset:448
	;; [unrolled: 1-line block ×3, first 2 shown]
	s_wait_loadcnt_dscnt 0xc00
	v_mul_f64_e32 v[150:151], v[132:133], v[6:7]
	v_mul_f64_e32 v[154:155], v[130:131], v[6:7]
	ds_load_b128 v[142:145], v2 offset:1152
	v_fma_f64 v[158:159], v[130:131], v[4:5], -v[150:151]
	v_fmac_f64_e32 v[154:155], v[132:133], v[4:5]
	ds_load_b128 v[4:7], v2 offset:1168
	s_wait_loadcnt_dscnt 0xb01
	v_mul_f64_e32 v[156:157], v[142:143], v[10:11]
	v_mul_f64_e32 v[10:11], v[144:145], v[10:11]
	scratch_load_b128 v[130:133], off, off offset:656
	ds_load_b128 v[150:153], v2 offset:1184
	s_wait_loadcnt_dscnt 0xb01
	v_mul_f64_e32 v[160:161], v[4:5], v[14:15]
	v_mul_f64_e32 v[14:15], v[6:7], v[14:15]
	v_fmac_f64_e32 v[156:157], v[144:145], v[8:9]
	v_fma_f64 v[8:9], v[142:143], v[8:9], -v[10:11]
	v_add_f64_e32 v[10:11], 0, v[158:159]
	v_add_f64_e32 v[142:143], 0, v[154:155]
	s_wait_loadcnt_dscnt 0xa00
	v_mul_f64_e32 v[144:145], v[150:151], v[18:19]
	v_mul_f64_e32 v[18:19], v[152:153], v[18:19]
	v_fmac_f64_e32 v[160:161], v[6:7], v[12:13]
	v_fma_f64 v[12:13], v[4:5], v[12:13], -v[14:15]
	v_add_f64_e32 v[14:15], v[10:11], v[8:9]
	v_add_f64_e32 v[142:143], v[142:143], v[156:157]
	ds_load_b128 v[4:7], v2 offset:1200
	ds_load_b128 v[8:11], v2 offset:1216
	v_fmac_f64_e32 v[144:145], v[152:153], v[16:17]
	v_fma_f64 v[16:17], v[150:151], v[16:17], -v[18:19]
	s_wait_loadcnt_dscnt 0x901
	v_mul_f64_e32 v[154:155], v[4:5], v[22:23]
	v_mul_f64_e32 v[22:23], v[6:7], v[22:23]
	s_wait_loadcnt_dscnt 0x800
	v_mul_f64_e32 v[18:19], v[8:9], v[112:113]
	v_mul_f64_e32 v[112:113], v[10:11], v[112:113]
	v_add_f64_e32 v[12:13], v[14:15], v[12:13]
	v_add_f64_e32 v[14:15], v[142:143], v[160:161]
	v_fmac_f64_e32 v[154:155], v[6:7], v[20:21]
	v_fma_f64 v[20:21], v[4:5], v[20:21], -v[22:23]
	v_fmac_f64_e32 v[18:19], v[10:11], v[110:111]
	v_fma_f64 v[8:9], v[8:9], v[110:111], -v[112:113]
	v_add_f64_e32 v[16:17], v[12:13], v[16:17]
	v_add_f64_e32 v[22:23], v[14:15], v[144:145]
	ds_load_b128 v[4:7], v2 offset:1232
	ds_load_b128 v[12:15], v2 offset:1248
	s_wait_loadcnt_dscnt 0x701
	v_mul_f64_e32 v[142:143], v[4:5], v[116:117]
	v_mul_f64_e32 v[116:117], v[6:7], v[116:117]
	v_add_f64_e32 v[10:11], v[16:17], v[20:21]
	v_add_f64_e32 v[16:17], v[22:23], v[154:155]
	s_wait_loadcnt_dscnt 0x600
	v_mul_f64_e32 v[20:21], v[12:13], v[120:121]
	v_mul_f64_e32 v[22:23], v[14:15], v[120:121]
	v_fmac_f64_e32 v[142:143], v[6:7], v[114:115]
	v_fma_f64 v[110:111], v[4:5], v[114:115], -v[116:117]
	v_add_f64_e32 v[112:113], v[10:11], v[8:9]
	v_add_f64_e32 v[16:17], v[16:17], v[18:19]
	ds_load_b128 v[4:7], v2 offset:1264
	ds_load_b128 v[8:11], v2 offset:1280
	v_fmac_f64_e32 v[20:21], v[14:15], v[118:119]
	v_fma_f64 v[12:13], v[12:13], v[118:119], -v[22:23]
	s_wait_loadcnt_dscnt 0x501
	v_mul_f64_e32 v[18:19], v[4:5], v[124:125]
	v_mul_f64_e32 v[114:115], v[6:7], v[124:125]
	s_wait_loadcnt_dscnt 0x400
	v_mul_f64_e32 v[22:23], v[8:9], v[128:129]
	v_add_f64_e32 v[14:15], v[112:113], v[110:111]
	v_add_f64_e32 v[16:17], v[16:17], v[142:143]
	v_mul_f64_e32 v[110:111], v[10:11], v[128:129]
	v_fmac_f64_e32 v[18:19], v[6:7], v[122:123]
	v_fma_f64 v[112:113], v[4:5], v[122:123], -v[114:115]
	v_fmac_f64_e32 v[22:23], v[10:11], v[126:127]
	v_add_f64_e32 v[114:115], v[14:15], v[12:13]
	v_add_f64_e32 v[16:17], v[16:17], v[20:21]
	ds_load_b128 v[4:7], v2 offset:1296
	ds_load_b128 v[12:15], v2 offset:1312
	v_fma_f64 v[8:9], v[8:9], v[126:127], -v[110:111]
	s_wait_loadcnt_dscnt 0x301
	v_mul_f64_e32 v[20:21], v[4:5], v[136:137]
	v_mul_f64_e32 v[116:117], v[6:7], v[136:137]
	s_wait_loadcnt_dscnt 0x100
	v_mul_f64_e32 v[110:111], v[14:15], v[148:149]
	v_add_f64_e32 v[10:11], v[114:115], v[112:113]
	v_add_f64_e32 v[16:17], v[16:17], v[18:19]
	v_mul_f64_e32 v[18:19], v[12:13], v[148:149]
	v_fmac_f64_e32 v[20:21], v[6:7], v[134:135]
	v_fma_f64 v[112:113], v[4:5], v[134:135], -v[116:117]
	ds_load_b128 v[4:7], v2 offset:1328
	v_fma_f64 v[12:13], v[12:13], v[146:147], -v[110:111]
	v_add_f64_e32 v[8:9], v[10:11], v[8:9]
	v_add_f64_e32 v[10:11], v[16:17], v[22:23]
	v_fmac_f64_e32 v[18:19], v[14:15], v[146:147]
	s_wait_loadcnt_dscnt 0x0
	v_mul_f64_e32 v[16:17], v[4:5], v[132:133]
	v_mul_f64_e32 v[22:23], v[6:7], v[132:133]
	v_add_f64_e32 v[8:9], v[8:9], v[112:113]
	v_add_f64_e32 v[10:11], v[10:11], v[20:21]
	s_delay_alu instid0(VALU_DEP_4) | instskip(NEXT) | instid1(VALU_DEP_4)
	v_fmac_f64_e32 v[16:17], v[6:7], v[130:131]
	v_fma_f64 v[4:5], v[4:5], v[130:131], -v[22:23]
	s_delay_alu instid0(VALU_DEP_4) | instskip(NEXT) | instid1(VALU_DEP_4)
	v_add_f64_e32 v[6:7], v[8:9], v[12:13]
	v_add_f64_e32 v[8:9], v[10:11], v[18:19]
	s_delay_alu instid0(VALU_DEP_2) | instskip(NEXT) | instid1(VALU_DEP_2)
	v_add_f64_e32 v[4:5], v[6:7], v[4:5]
	v_add_f64_e32 v[6:7], v[8:9], v[16:17]
	s_delay_alu instid0(VALU_DEP_2) | instskip(NEXT) | instid1(VALU_DEP_2)
	v_add_f64_e64 v[4:5], v[138:139], -v[4:5]
	v_add_f64_e64 v[6:7], v[140:141], -v[6:7]
	scratch_store_b128 off, v[4:7], off offset:448
	s_wait_xcnt 0x0
	v_cmpx_lt_u32_e32 27, v1
	s_cbranch_execz .LBB41_211
; %bb.210:
	scratch_load_b128 v[6:9], off, s14
	v_dual_mov_b32 v3, v2 :: v_dual_mov_b32 v4, v2
	v_mov_b32_e32 v5, v2
	scratch_store_b128 off, v[2:5], off offset:432
	s_wait_loadcnt 0x0
	ds_store_b128 v108, v[6:9]
.LBB41_211:
	s_wait_xcnt 0x0
	s_or_b32 exec_lo, exec_lo, s2
	s_wait_storecnt_dscnt 0x0
	s_barrier_signal -1
	s_barrier_wait -1
	s_clause 0x9
	scratch_load_b128 v[4:7], off, off offset:448
	scratch_load_b128 v[8:11], off, off offset:464
	;; [unrolled: 1-line block ×10, first 2 shown]
	ds_load_b128 v[130:133], v2 offset:1120
	ds_load_b128 v[138:141], v2 offset:1136
	s_clause 0x2
	scratch_load_b128 v[134:137], off, off offset:608
	scratch_load_b128 v[142:145], off, off offset:432
	;; [unrolled: 1-line block ×3, first 2 shown]
	s_mov_b32 s2, exec_lo
	s_wait_loadcnt_dscnt 0xc01
	v_mul_f64_e32 v[150:151], v[132:133], v[6:7]
	v_mul_f64_e32 v[154:155], v[130:131], v[6:7]
	s_wait_loadcnt_dscnt 0xb00
	v_mul_f64_e32 v[156:157], v[138:139], v[10:11]
	v_mul_f64_e32 v[10:11], v[140:141], v[10:11]
	s_delay_alu instid0(VALU_DEP_4) | instskip(NEXT) | instid1(VALU_DEP_4)
	v_fma_f64 v[158:159], v[130:131], v[4:5], -v[150:151]
	v_fmac_f64_e32 v[154:155], v[132:133], v[4:5]
	ds_load_b128 v[4:7], v2 offset:1152
	ds_load_b128 v[130:133], v2 offset:1168
	scratch_load_b128 v[150:153], off, off offset:640
	v_fmac_f64_e32 v[156:157], v[140:141], v[8:9]
	v_fma_f64 v[138:139], v[138:139], v[8:9], -v[10:11]
	scratch_load_b128 v[8:11], off, off offset:656
	s_wait_loadcnt_dscnt 0xc01
	v_mul_f64_e32 v[160:161], v[4:5], v[14:15]
	v_mul_f64_e32 v[14:15], v[6:7], v[14:15]
	v_add_f64_e32 v[140:141], 0, v[158:159]
	v_add_f64_e32 v[154:155], 0, v[154:155]
	s_wait_loadcnt_dscnt 0xb00
	v_mul_f64_e32 v[158:159], v[130:131], v[18:19]
	v_mul_f64_e32 v[18:19], v[132:133], v[18:19]
	v_fmac_f64_e32 v[160:161], v[6:7], v[12:13]
	v_fma_f64 v[162:163], v[4:5], v[12:13], -v[14:15]
	ds_load_b128 v[4:7], v2 offset:1184
	ds_load_b128 v[12:15], v2 offset:1200
	v_add_f64_e32 v[138:139], v[140:141], v[138:139]
	v_add_f64_e32 v[140:141], v[154:155], v[156:157]
	v_fmac_f64_e32 v[158:159], v[132:133], v[16:17]
	v_fma_f64 v[16:17], v[130:131], v[16:17], -v[18:19]
	s_wait_loadcnt_dscnt 0xa01
	v_mul_f64_e32 v[154:155], v[4:5], v[22:23]
	v_mul_f64_e32 v[22:23], v[6:7], v[22:23]
	s_wait_loadcnt_dscnt 0x900
	v_mul_f64_e32 v[132:133], v[12:13], v[112:113]
	v_mul_f64_e32 v[112:113], v[14:15], v[112:113]
	v_add_f64_e32 v[18:19], v[138:139], v[162:163]
	v_add_f64_e32 v[130:131], v[140:141], v[160:161]
	v_fmac_f64_e32 v[154:155], v[6:7], v[20:21]
	v_fma_f64 v[20:21], v[4:5], v[20:21], -v[22:23]
	v_fmac_f64_e32 v[132:133], v[14:15], v[110:111]
	v_fma_f64 v[12:13], v[12:13], v[110:111], -v[112:113]
	v_add_f64_e32 v[22:23], v[18:19], v[16:17]
	v_add_f64_e32 v[130:131], v[130:131], v[158:159]
	ds_load_b128 v[4:7], v2 offset:1216
	ds_load_b128 v[16:19], v2 offset:1232
	s_wait_loadcnt_dscnt 0x801
	v_mul_f64_e32 v[138:139], v[4:5], v[116:117]
	v_mul_f64_e32 v[116:117], v[6:7], v[116:117]
	s_wait_loadcnt_dscnt 0x700
	v_mul_f64_e32 v[110:111], v[18:19], v[120:121]
	v_add_f64_e32 v[14:15], v[22:23], v[20:21]
	v_add_f64_e32 v[20:21], v[130:131], v[154:155]
	v_mul_f64_e32 v[22:23], v[16:17], v[120:121]
	v_fmac_f64_e32 v[138:139], v[6:7], v[114:115]
	v_fma_f64 v[112:113], v[4:5], v[114:115], -v[116:117]
	v_fma_f64 v[16:17], v[16:17], v[118:119], -v[110:111]
	v_add_f64_e32 v[114:115], v[14:15], v[12:13]
	v_add_f64_e32 v[20:21], v[20:21], v[132:133]
	ds_load_b128 v[4:7], v2 offset:1248
	ds_load_b128 v[12:15], v2 offset:1264
	v_fmac_f64_e32 v[22:23], v[18:19], v[118:119]
	s_wait_loadcnt_dscnt 0x601
	v_mul_f64_e32 v[116:117], v[4:5], v[124:125]
	v_mul_f64_e32 v[120:121], v[6:7], v[124:125]
	s_wait_loadcnt_dscnt 0x500
	v_mul_f64_e32 v[110:111], v[12:13], v[128:129]
	v_add_f64_e32 v[18:19], v[114:115], v[112:113]
	v_add_f64_e32 v[20:21], v[20:21], v[138:139]
	v_mul_f64_e32 v[112:113], v[14:15], v[128:129]
	v_fmac_f64_e32 v[116:117], v[6:7], v[122:123]
	v_fma_f64 v[114:115], v[4:5], v[122:123], -v[120:121]
	v_fmac_f64_e32 v[110:111], v[14:15], v[126:127]
	v_add_f64_e32 v[118:119], v[18:19], v[16:17]
	v_add_f64_e32 v[20:21], v[20:21], v[22:23]
	ds_load_b128 v[4:7], v2 offset:1280
	ds_load_b128 v[16:19], v2 offset:1296
	v_fma_f64 v[12:13], v[12:13], v[126:127], -v[112:113]
	s_wait_loadcnt_dscnt 0x401
	v_mul_f64_e32 v[22:23], v[4:5], v[136:137]
	v_mul_f64_e32 v[120:121], v[6:7], v[136:137]
	s_wait_loadcnt_dscnt 0x200
	v_mul_f64_e32 v[112:113], v[16:17], v[148:149]
	v_add_f64_e32 v[14:15], v[118:119], v[114:115]
	v_add_f64_e32 v[20:21], v[20:21], v[116:117]
	v_mul_f64_e32 v[114:115], v[18:19], v[148:149]
	v_fmac_f64_e32 v[22:23], v[6:7], v[134:135]
	v_fma_f64 v[116:117], v[4:5], v[134:135], -v[120:121]
	v_fmac_f64_e32 v[112:113], v[18:19], v[146:147]
	v_add_f64_e32 v[118:119], v[14:15], v[12:13]
	v_add_f64_e32 v[20:21], v[20:21], v[110:111]
	ds_load_b128 v[4:7], v2 offset:1312
	ds_load_b128 v[12:15], v2 offset:1328
	v_fma_f64 v[16:17], v[16:17], v[146:147], -v[114:115]
	s_wait_loadcnt_dscnt 0x101
	v_mul_f64_e32 v[2:3], v[4:5], v[152:153]
	v_mul_f64_e32 v[110:111], v[6:7], v[152:153]
	v_add_f64_e32 v[18:19], v[118:119], v[116:117]
	v_add_f64_e32 v[20:21], v[20:21], v[22:23]
	s_wait_loadcnt_dscnt 0x0
	v_mul_f64_e32 v[22:23], v[12:13], v[10:11]
	v_mul_f64_e32 v[10:11], v[14:15], v[10:11]
	v_fmac_f64_e32 v[2:3], v[6:7], v[150:151]
	v_fma_f64 v[4:5], v[4:5], v[150:151], -v[110:111]
	v_add_f64_e32 v[6:7], v[18:19], v[16:17]
	v_add_f64_e32 v[16:17], v[20:21], v[112:113]
	v_fmac_f64_e32 v[22:23], v[14:15], v[8:9]
	v_fma_f64 v[8:9], v[12:13], v[8:9], -v[10:11]
	s_delay_alu instid0(VALU_DEP_4) | instskip(NEXT) | instid1(VALU_DEP_4)
	v_add_f64_e32 v[4:5], v[6:7], v[4:5]
	v_add_f64_e32 v[2:3], v[16:17], v[2:3]
	s_delay_alu instid0(VALU_DEP_2) | instskip(NEXT) | instid1(VALU_DEP_2)
	v_add_f64_e32 v[4:5], v[4:5], v[8:9]
	v_add_f64_e32 v[6:7], v[2:3], v[22:23]
	s_delay_alu instid0(VALU_DEP_2) | instskip(NEXT) | instid1(VALU_DEP_2)
	v_add_f64_e64 v[2:3], v[142:143], -v[4:5]
	v_add_f64_e64 v[4:5], v[144:145], -v[6:7]
	scratch_store_b128 off, v[2:5], off offset:432
	s_wait_xcnt 0x0
	v_cmpx_lt_u32_e32 26, v1
	s_cbranch_execz .LBB41_213
; %bb.212:
	scratch_load_b128 v[2:5], off, s25
	v_mov_b32_e32 v6, 0
	s_delay_alu instid0(VALU_DEP_1)
	v_dual_mov_b32 v7, v6 :: v_dual_mov_b32 v8, v6
	v_mov_b32_e32 v9, v6
	scratch_store_b128 off, v[6:9], off offset:416
	s_wait_loadcnt 0x0
	ds_store_b128 v108, v[2:5]
.LBB41_213:
	s_wait_xcnt 0x0
	s_or_b32 exec_lo, exec_lo, s2
	s_wait_storecnt_dscnt 0x0
	s_barrier_signal -1
	s_barrier_wait -1
	s_clause 0x9
	scratch_load_b128 v[4:7], off, off offset:432
	scratch_load_b128 v[8:11], off, off offset:448
	;; [unrolled: 1-line block ×10, first 2 shown]
	v_mov_b32_e32 v2, 0
	s_mov_b32 s2, exec_lo
	ds_load_b128 v[130:133], v2 offset:1104
	s_clause 0x2
	scratch_load_b128 v[134:137], off, off offset:592
	scratch_load_b128 v[138:141], off, off offset:416
	;; [unrolled: 1-line block ×3, first 2 shown]
	s_wait_loadcnt_dscnt 0xc00
	v_mul_f64_e32 v[150:151], v[132:133], v[6:7]
	v_mul_f64_e32 v[154:155], v[130:131], v[6:7]
	ds_load_b128 v[142:145], v2 offset:1120
	v_fma_f64 v[158:159], v[130:131], v[4:5], -v[150:151]
	v_fmac_f64_e32 v[154:155], v[132:133], v[4:5]
	ds_load_b128 v[4:7], v2 offset:1136
	s_wait_loadcnt_dscnt 0xb01
	v_mul_f64_e32 v[156:157], v[142:143], v[10:11]
	v_mul_f64_e32 v[10:11], v[144:145], v[10:11]
	scratch_load_b128 v[130:133], off, off offset:624
	ds_load_b128 v[150:153], v2 offset:1152
	s_wait_loadcnt_dscnt 0xb01
	v_mul_f64_e32 v[160:161], v[4:5], v[14:15]
	v_mul_f64_e32 v[14:15], v[6:7], v[14:15]
	v_add_f64_e32 v[154:155], 0, v[154:155]
	v_fmac_f64_e32 v[156:157], v[144:145], v[8:9]
	v_fma_f64 v[142:143], v[142:143], v[8:9], -v[10:11]
	v_add_f64_e32 v[144:145], 0, v[158:159]
	scratch_load_b128 v[8:11], off, off offset:640
	v_fmac_f64_e32 v[160:161], v[6:7], v[12:13]
	v_fma_f64 v[162:163], v[4:5], v[12:13], -v[14:15]
	ds_load_b128 v[4:7], v2 offset:1168
	s_wait_loadcnt_dscnt 0xb01
	v_mul_f64_e32 v[158:159], v[150:151], v[18:19]
	v_mul_f64_e32 v[18:19], v[152:153], v[18:19]
	scratch_load_b128 v[12:15], off, off offset:656
	v_add_f64_e32 v[154:155], v[154:155], v[156:157]
	v_add_f64_e32 v[164:165], v[144:145], v[142:143]
	ds_load_b128 v[142:145], v2 offset:1184
	s_wait_loadcnt_dscnt 0xb01
	v_mul_f64_e32 v[156:157], v[4:5], v[22:23]
	v_mul_f64_e32 v[22:23], v[6:7], v[22:23]
	v_fmac_f64_e32 v[158:159], v[152:153], v[16:17]
	v_fma_f64 v[16:17], v[150:151], v[16:17], -v[18:19]
	s_wait_loadcnt_dscnt 0xa00
	v_mul_f64_e32 v[152:153], v[142:143], v[112:113]
	v_mul_f64_e32 v[112:113], v[144:145], v[112:113]
	v_add_f64_e32 v[150:151], v[154:155], v[160:161]
	v_add_f64_e32 v[18:19], v[164:165], v[162:163]
	v_fmac_f64_e32 v[156:157], v[6:7], v[20:21]
	v_fma_f64 v[20:21], v[4:5], v[20:21], -v[22:23]
	v_fmac_f64_e32 v[152:153], v[144:145], v[110:111]
	v_fma_f64 v[110:111], v[142:143], v[110:111], -v[112:113]
	v_add_f64_e32 v[150:151], v[150:151], v[158:159]
	v_add_f64_e32 v[22:23], v[18:19], v[16:17]
	ds_load_b128 v[4:7], v2 offset:1200
	ds_load_b128 v[16:19], v2 offset:1216
	s_wait_loadcnt_dscnt 0x901
	v_mul_f64_e32 v[154:155], v[4:5], v[116:117]
	v_mul_f64_e32 v[116:117], v[6:7], v[116:117]
	s_wait_loadcnt_dscnt 0x800
	v_mul_f64_e32 v[112:113], v[16:17], v[120:121]
	v_mul_f64_e32 v[120:121], v[18:19], v[120:121]
	v_add_f64_e32 v[20:21], v[22:23], v[20:21]
	v_add_f64_e32 v[22:23], v[150:151], v[156:157]
	v_fmac_f64_e32 v[154:155], v[6:7], v[114:115]
	v_fma_f64 v[114:115], v[4:5], v[114:115], -v[116:117]
	v_fmac_f64_e32 v[112:113], v[18:19], v[118:119]
	v_fma_f64 v[16:17], v[16:17], v[118:119], -v[120:121]
	v_add_f64_e32 v[110:111], v[20:21], v[110:111]
	v_add_f64_e32 v[116:117], v[22:23], v[152:153]
	ds_load_b128 v[4:7], v2 offset:1232
	ds_load_b128 v[20:23], v2 offset:1248
	s_wait_loadcnt_dscnt 0x701
	v_mul_f64_e32 v[142:143], v[4:5], v[124:125]
	v_mul_f64_e32 v[124:125], v[6:7], v[124:125]
	v_add_f64_e32 v[18:19], v[110:111], v[114:115]
	v_add_f64_e32 v[110:111], v[116:117], v[154:155]
	s_wait_loadcnt_dscnt 0x600
	v_mul_f64_e32 v[114:115], v[20:21], v[128:129]
	v_mul_f64_e32 v[116:117], v[22:23], v[128:129]
	v_fmac_f64_e32 v[142:143], v[6:7], v[122:123]
	v_fma_f64 v[118:119], v[4:5], v[122:123], -v[124:125]
	v_add_f64_e32 v[120:121], v[18:19], v[16:17]
	v_add_f64_e32 v[110:111], v[110:111], v[112:113]
	ds_load_b128 v[4:7], v2 offset:1264
	ds_load_b128 v[16:19], v2 offset:1280
	v_fmac_f64_e32 v[114:115], v[22:23], v[126:127]
	v_fma_f64 v[20:21], v[20:21], v[126:127], -v[116:117]
	s_wait_loadcnt_dscnt 0x501
	v_mul_f64_e32 v[112:113], v[4:5], v[136:137]
	v_mul_f64_e32 v[122:123], v[6:7], v[136:137]
	s_wait_loadcnt_dscnt 0x300
	v_mul_f64_e32 v[116:117], v[16:17], v[148:149]
	v_add_f64_e32 v[22:23], v[120:121], v[118:119]
	v_add_f64_e32 v[110:111], v[110:111], v[142:143]
	v_mul_f64_e32 v[118:119], v[18:19], v[148:149]
	v_fmac_f64_e32 v[112:113], v[6:7], v[134:135]
	v_fma_f64 v[120:121], v[4:5], v[134:135], -v[122:123]
	v_fmac_f64_e32 v[116:117], v[18:19], v[146:147]
	v_add_f64_e32 v[122:123], v[22:23], v[20:21]
	v_add_f64_e32 v[110:111], v[110:111], v[114:115]
	ds_load_b128 v[4:7], v2 offset:1296
	ds_load_b128 v[20:23], v2 offset:1312
	v_fma_f64 v[16:17], v[16:17], v[146:147], -v[118:119]
	s_wait_loadcnt_dscnt 0x201
	v_mul_f64_e32 v[114:115], v[4:5], v[132:133]
	v_mul_f64_e32 v[124:125], v[6:7], v[132:133]
	v_add_f64_e32 v[18:19], v[122:123], v[120:121]
	v_add_f64_e32 v[110:111], v[110:111], v[112:113]
	s_wait_loadcnt_dscnt 0x100
	v_mul_f64_e32 v[112:113], v[20:21], v[10:11]
	v_mul_f64_e32 v[10:11], v[22:23], v[10:11]
	v_fmac_f64_e32 v[114:115], v[6:7], v[130:131]
	v_fma_f64 v[118:119], v[4:5], v[130:131], -v[124:125]
	ds_load_b128 v[4:7], v2 offset:1328
	v_add_f64_e32 v[16:17], v[18:19], v[16:17]
	v_add_f64_e32 v[18:19], v[110:111], v[116:117]
	v_fmac_f64_e32 v[112:113], v[22:23], v[8:9]
	v_fma_f64 v[8:9], v[20:21], v[8:9], -v[10:11]
	s_wait_loadcnt_dscnt 0x0
	v_mul_f64_e32 v[110:111], v[4:5], v[14:15]
	v_mul_f64_e32 v[14:15], v[6:7], v[14:15]
	v_add_f64_e32 v[10:11], v[16:17], v[118:119]
	v_add_f64_e32 v[16:17], v[18:19], v[114:115]
	s_delay_alu instid0(VALU_DEP_4) | instskip(NEXT) | instid1(VALU_DEP_4)
	v_fmac_f64_e32 v[110:111], v[6:7], v[12:13]
	v_fma_f64 v[4:5], v[4:5], v[12:13], -v[14:15]
	s_delay_alu instid0(VALU_DEP_4) | instskip(NEXT) | instid1(VALU_DEP_4)
	v_add_f64_e32 v[6:7], v[10:11], v[8:9]
	v_add_f64_e32 v[8:9], v[16:17], v[112:113]
	s_delay_alu instid0(VALU_DEP_2) | instskip(NEXT) | instid1(VALU_DEP_2)
	v_add_f64_e32 v[4:5], v[6:7], v[4:5]
	v_add_f64_e32 v[6:7], v[8:9], v[110:111]
	s_delay_alu instid0(VALU_DEP_2) | instskip(NEXT) | instid1(VALU_DEP_2)
	v_add_f64_e64 v[4:5], v[138:139], -v[4:5]
	v_add_f64_e64 v[6:7], v[140:141], -v[6:7]
	scratch_store_b128 off, v[4:7], off offset:416
	s_wait_xcnt 0x0
	v_cmpx_lt_u32_e32 25, v1
	s_cbranch_execz .LBB41_215
; %bb.214:
	scratch_load_b128 v[6:9], off, s21
	v_dual_mov_b32 v3, v2 :: v_dual_mov_b32 v4, v2
	v_mov_b32_e32 v5, v2
	scratch_store_b128 off, v[2:5], off offset:400
	s_wait_loadcnt 0x0
	ds_store_b128 v108, v[6:9]
.LBB41_215:
	s_wait_xcnt 0x0
	s_or_b32 exec_lo, exec_lo, s2
	s_wait_storecnt_dscnt 0x0
	s_barrier_signal -1
	s_barrier_wait -1
	s_clause 0x9
	scratch_load_b128 v[4:7], off, off offset:416
	scratch_load_b128 v[8:11], off, off offset:432
	;; [unrolled: 1-line block ×10, first 2 shown]
	ds_load_b128 v[130:133], v2 offset:1088
	ds_load_b128 v[138:141], v2 offset:1104
	s_clause 0x2
	scratch_load_b128 v[134:137], off, off offset:576
	scratch_load_b128 v[142:145], off, off offset:400
	scratch_load_b128 v[146:149], off, off offset:592
	s_mov_b32 s2, exec_lo
	s_wait_loadcnt_dscnt 0xc01
	v_mul_f64_e32 v[150:151], v[132:133], v[6:7]
	v_mul_f64_e32 v[154:155], v[130:131], v[6:7]
	s_wait_loadcnt_dscnt 0xb00
	v_mul_f64_e32 v[156:157], v[138:139], v[10:11]
	v_mul_f64_e32 v[10:11], v[140:141], v[10:11]
	s_delay_alu instid0(VALU_DEP_4) | instskip(NEXT) | instid1(VALU_DEP_4)
	v_fma_f64 v[158:159], v[130:131], v[4:5], -v[150:151]
	v_fmac_f64_e32 v[154:155], v[132:133], v[4:5]
	ds_load_b128 v[4:7], v2 offset:1120
	ds_load_b128 v[130:133], v2 offset:1136
	scratch_load_b128 v[150:153], off, off offset:608
	v_fmac_f64_e32 v[156:157], v[140:141], v[8:9]
	v_fma_f64 v[138:139], v[138:139], v[8:9], -v[10:11]
	scratch_load_b128 v[8:11], off, off offset:624
	s_wait_loadcnt_dscnt 0xc01
	v_mul_f64_e32 v[160:161], v[4:5], v[14:15]
	v_mul_f64_e32 v[14:15], v[6:7], v[14:15]
	v_add_f64_e32 v[140:141], 0, v[158:159]
	v_add_f64_e32 v[154:155], 0, v[154:155]
	s_wait_loadcnt_dscnt 0xb00
	v_mul_f64_e32 v[158:159], v[130:131], v[18:19]
	v_mul_f64_e32 v[18:19], v[132:133], v[18:19]
	v_fmac_f64_e32 v[160:161], v[6:7], v[12:13]
	v_fma_f64 v[162:163], v[4:5], v[12:13], -v[14:15]
	ds_load_b128 v[4:7], v2 offset:1152
	ds_load_b128 v[12:15], v2 offset:1168
	v_add_f64_e32 v[164:165], v[140:141], v[138:139]
	v_add_f64_e32 v[154:155], v[154:155], v[156:157]
	scratch_load_b128 v[138:141], off, off offset:640
	v_fmac_f64_e32 v[158:159], v[132:133], v[16:17]
	v_fma_f64 v[130:131], v[130:131], v[16:17], -v[18:19]
	scratch_load_b128 v[16:19], off, off offset:656
	s_wait_loadcnt_dscnt 0xc01
	v_mul_f64_e32 v[156:157], v[4:5], v[22:23]
	v_mul_f64_e32 v[22:23], v[6:7], v[22:23]
	v_add_f64_e32 v[132:133], v[164:165], v[162:163]
	v_add_f64_e32 v[154:155], v[154:155], v[160:161]
	s_wait_loadcnt_dscnt 0xb00
	v_mul_f64_e32 v[160:161], v[12:13], v[112:113]
	v_mul_f64_e32 v[112:113], v[14:15], v[112:113]
	v_fmac_f64_e32 v[156:157], v[6:7], v[20:21]
	v_fma_f64 v[162:163], v[4:5], v[20:21], -v[22:23]
	ds_load_b128 v[4:7], v2 offset:1184
	ds_load_b128 v[20:23], v2 offset:1200
	v_add_f64_e32 v[130:131], v[132:133], v[130:131]
	v_add_f64_e32 v[132:133], v[154:155], v[158:159]
	s_wait_loadcnt_dscnt 0xa01
	v_mul_f64_e32 v[154:155], v[4:5], v[116:117]
	v_mul_f64_e32 v[116:117], v[6:7], v[116:117]
	v_fmac_f64_e32 v[160:161], v[14:15], v[110:111]
	v_fma_f64 v[12:13], v[12:13], v[110:111], -v[112:113]
	s_wait_loadcnt_dscnt 0x900
	v_mul_f64_e32 v[112:113], v[20:21], v[120:121]
	v_mul_f64_e32 v[120:121], v[22:23], v[120:121]
	v_add_f64_e32 v[14:15], v[130:131], v[162:163]
	v_add_f64_e32 v[110:111], v[132:133], v[156:157]
	v_fmac_f64_e32 v[154:155], v[6:7], v[114:115]
	v_fma_f64 v[114:115], v[4:5], v[114:115], -v[116:117]
	v_fmac_f64_e32 v[112:113], v[22:23], v[118:119]
	v_fma_f64 v[20:21], v[20:21], v[118:119], -v[120:121]
	v_add_f64_e32 v[116:117], v[14:15], v[12:13]
	v_add_f64_e32 v[110:111], v[110:111], v[160:161]
	ds_load_b128 v[4:7], v2 offset:1216
	ds_load_b128 v[12:15], v2 offset:1232
	s_wait_loadcnt_dscnt 0x801
	v_mul_f64_e32 v[130:131], v[4:5], v[124:125]
	v_mul_f64_e32 v[124:125], v[6:7], v[124:125]
	v_add_f64_e32 v[22:23], v[116:117], v[114:115]
	v_add_f64_e32 v[110:111], v[110:111], v[154:155]
	s_wait_loadcnt_dscnt 0x700
	v_mul_f64_e32 v[114:115], v[12:13], v[128:129]
	v_mul_f64_e32 v[116:117], v[14:15], v[128:129]
	v_fmac_f64_e32 v[130:131], v[6:7], v[122:123]
	v_fma_f64 v[118:119], v[4:5], v[122:123], -v[124:125]
	v_add_f64_e32 v[120:121], v[22:23], v[20:21]
	v_add_f64_e32 v[110:111], v[110:111], v[112:113]
	ds_load_b128 v[4:7], v2 offset:1248
	ds_load_b128 v[20:23], v2 offset:1264
	v_fmac_f64_e32 v[114:115], v[14:15], v[126:127]
	v_fma_f64 v[12:13], v[12:13], v[126:127], -v[116:117]
	s_wait_loadcnt_dscnt 0x601
	v_mul_f64_e32 v[112:113], v[4:5], v[136:137]
	v_mul_f64_e32 v[122:123], v[6:7], v[136:137]
	s_wait_loadcnt_dscnt 0x400
	v_mul_f64_e32 v[116:117], v[20:21], v[148:149]
	v_add_f64_e32 v[14:15], v[120:121], v[118:119]
	v_add_f64_e32 v[110:111], v[110:111], v[130:131]
	v_mul_f64_e32 v[118:119], v[22:23], v[148:149]
	v_fmac_f64_e32 v[112:113], v[6:7], v[134:135]
	v_fma_f64 v[120:121], v[4:5], v[134:135], -v[122:123]
	v_fmac_f64_e32 v[116:117], v[22:23], v[146:147]
	v_add_f64_e32 v[122:123], v[14:15], v[12:13]
	v_add_f64_e32 v[110:111], v[110:111], v[114:115]
	ds_load_b128 v[4:7], v2 offset:1280
	ds_load_b128 v[12:15], v2 offset:1296
	v_fma_f64 v[20:21], v[20:21], v[146:147], -v[118:119]
	s_wait_loadcnt_dscnt 0x301
	v_mul_f64_e32 v[114:115], v[4:5], v[152:153]
	v_mul_f64_e32 v[124:125], v[6:7], v[152:153]
	v_add_f64_e32 v[22:23], v[122:123], v[120:121]
	v_add_f64_e32 v[110:111], v[110:111], v[112:113]
	s_wait_loadcnt_dscnt 0x200
	v_mul_f64_e32 v[112:113], v[12:13], v[10:11]
	v_mul_f64_e32 v[10:11], v[14:15], v[10:11]
	v_fmac_f64_e32 v[114:115], v[6:7], v[150:151]
	v_fma_f64 v[118:119], v[4:5], v[150:151], -v[124:125]
	v_add_f64_e32 v[120:121], v[22:23], v[20:21]
	v_add_f64_e32 v[110:111], v[110:111], v[116:117]
	ds_load_b128 v[4:7], v2 offset:1312
	ds_load_b128 v[20:23], v2 offset:1328
	v_fmac_f64_e32 v[112:113], v[14:15], v[8:9]
	v_fma_f64 v[8:9], v[12:13], v[8:9], -v[10:11]
	s_wait_loadcnt_dscnt 0x101
	v_mul_f64_e32 v[2:3], v[4:5], v[140:141]
	v_mul_f64_e32 v[116:117], v[6:7], v[140:141]
	s_wait_loadcnt_dscnt 0x0
	v_mul_f64_e32 v[14:15], v[20:21], v[18:19]
	v_mul_f64_e32 v[18:19], v[22:23], v[18:19]
	v_add_f64_e32 v[10:11], v[120:121], v[118:119]
	v_add_f64_e32 v[12:13], v[110:111], v[114:115]
	v_fmac_f64_e32 v[2:3], v[6:7], v[138:139]
	v_fma_f64 v[4:5], v[4:5], v[138:139], -v[116:117]
	v_fmac_f64_e32 v[14:15], v[22:23], v[16:17]
	v_add_f64_e32 v[6:7], v[10:11], v[8:9]
	v_add_f64_e32 v[8:9], v[12:13], v[112:113]
	v_fma_f64 v[10:11], v[20:21], v[16:17], -v[18:19]
	s_delay_alu instid0(VALU_DEP_3) | instskip(NEXT) | instid1(VALU_DEP_3)
	v_add_f64_e32 v[4:5], v[6:7], v[4:5]
	v_add_f64_e32 v[2:3], v[8:9], v[2:3]
	s_delay_alu instid0(VALU_DEP_2) | instskip(NEXT) | instid1(VALU_DEP_2)
	v_add_f64_e32 v[4:5], v[4:5], v[10:11]
	v_add_f64_e32 v[6:7], v[2:3], v[14:15]
	s_delay_alu instid0(VALU_DEP_2) | instskip(NEXT) | instid1(VALU_DEP_2)
	v_add_f64_e64 v[2:3], v[142:143], -v[4:5]
	v_add_f64_e64 v[4:5], v[144:145], -v[6:7]
	scratch_store_b128 off, v[2:5], off offset:400
	s_wait_xcnt 0x0
	v_cmpx_lt_u32_e32 24, v1
	s_cbranch_execz .LBB41_217
; %bb.216:
	scratch_load_b128 v[2:5], off, s37
	v_mov_b32_e32 v6, 0
	s_delay_alu instid0(VALU_DEP_1)
	v_dual_mov_b32 v7, v6 :: v_dual_mov_b32 v8, v6
	v_mov_b32_e32 v9, v6
	scratch_store_b128 off, v[6:9], off offset:384
	s_wait_loadcnt 0x0
	ds_store_b128 v108, v[2:5]
.LBB41_217:
	s_wait_xcnt 0x0
	s_or_b32 exec_lo, exec_lo, s2
	s_wait_storecnt_dscnt 0x0
	s_barrier_signal -1
	s_barrier_wait -1
	s_clause 0x9
	scratch_load_b128 v[4:7], off, off offset:400
	scratch_load_b128 v[8:11], off, off offset:416
	;; [unrolled: 1-line block ×10, first 2 shown]
	v_mov_b32_e32 v2, 0
	s_mov_b32 s2, exec_lo
	ds_load_b128 v[130:133], v2 offset:1072
	s_clause 0x2
	scratch_load_b128 v[134:137], off, off offset:560
	scratch_load_b128 v[138:141], off, off offset:384
	;; [unrolled: 1-line block ×3, first 2 shown]
	s_wait_loadcnt_dscnt 0xc00
	v_mul_f64_e32 v[150:151], v[132:133], v[6:7]
	v_mul_f64_e32 v[154:155], v[130:131], v[6:7]
	ds_load_b128 v[142:145], v2 offset:1088
	v_fma_f64 v[158:159], v[130:131], v[4:5], -v[150:151]
	v_fmac_f64_e32 v[154:155], v[132:133], v[4:5]
	ds_load_b128 v[4:7], v2 offset:1104
	s_wait_loadcnt_dscnt 0xb01
	v_mul_f64_e32 v[156:157], v[142:143], v[10:11]
	v_mul_f64_e32 v[10:11], v[144:145], v[10:11]
	scratch_load_b128 v[130:133], off, off offset:592
	ds_load_b128 v[150:153], v2 offset:1120
	s_wait_loadcnt_dscnt 0xb01
	v_mul_f64_e32 v[160:161], v[4:5], v[14:15]
	v_mul_f64_e32 v[14:15], v[6:7], v[14:15]
	v_add_f64_e32 v[154:155], 0, v[154:155]
	v_fmac_f64_e32 v[156:157], v[144:145], v[8:9]
	v_fma_f64 v[142:143], v[142:143], v[8:9], -v[10:11]
	v_add_f64_e32 v[144:145], 0, v[158:159]
	scratch_load_b128 v[8:11], off, off offset:608
	v_fmac_f64_e32 v[160:161], v[6:7], v[12:13]
	v_fma_f64 v[162:163], v[4:5], v[12:13], -v[14:15]
	ds_load_b128 v[4:7], v2 offset:1136
	s_wait_loadcnt_dscnt 0xb01
	v_mul_f64_e32 v[158:159], v[150:151], v[18:19]
	v_mul_f64_e32 v[18:19], v[152:153], v[18:19]
	scratch_load_b128 v[12:15], off, off offset:624
	v_add_f64_e32 v[154:155], v[154:155], v[156:157]
	v_add_f64_e32 v[164:165], v[144:145], v[142:143]
	ds_load_b128 v[142:145], v2 offset:1152
	s_wait_loadcnt_dscnt 0xb01
	v_mul_f64_e32 v[156:157], v[4:5], v[22:23]
	v_mul_f64_e32 v[22:23], v[6:7], v[22:23]
	v_fmac_f64_e32 v[158:159], v[152:153], v[16:17]
	v_fma_f64 v[150:151], v[150:151], v[16:17], -v[18:19]
	scratch_load_b128 v[16:19], off, off offset:640
	v_add_f64_e32 v[154:155], v[154:155], v[160:161]
	v_add_f64_e32 v[152:153], v[164:165], v[162:163]
	v_fmac_f64_e32 v[156:157], v[6:7], v[20:21]
	v_fma_f64 v[162:163], v[4:5], v[20:21], -v[22:23]
	ds_load_b128 v[4:7], v2 offset:1168
	s_wait_loadcnt_dscnt 0xb01
	v_mul_f64_e32 v[160:161], v[142:143], v[112:113]
	v_mul_f64_e32 v[112:113], v[144:145], v[112:113]
	scratch_load_b128 v[20:23], off, off offset:656
	v_add_f64_e32 v[154:155], v[154:155], v[158:159]
	s_wait_loadcnt_dscnt 0xb00
	v_mul_f64_e32 v[158:159], v[4:5], v[116:117]
	v_add_f64_e32 v[164:165], v[152:153], v[150:151]
	v_mul_f64_e32 v[116:117], v[6:7], v[116:117]
	ds_load_b128 v[150:153], v2 offset:1184
	v_fmac_f64_e32 v[160:161], v[144:145], v[110:111]
	v_fma_f64 v[110:111], v[142:143], v[110:111], -v[112:113]
	s_wait_loadcnt_dscnt 0xa00
	v_mul_f64_e32 v[144:145], v[150:151], v[120:121]
	v_mul_f64_e32 v[120:121], v[152:153], v[120:121]
	v_add_f64_e32 v[142:143], v[154:155], v[156:157]
	v_fmac_f64_e32 v[158:159], v[6:7], v[114:115]
	v_add_f64_e32 v[112:113], v[164:165], v[162:163]
	v_fma_f64 v[114:115], v[4:5], v[114:115], -v[116:117]
	v_fmac_f64_e32 v[144:145], v[152:153], v[118:119]
	v_fma_f64 v[118:119], v[150:151], v[118:119], -v[120:121]
	v_add_f64_e32 v[142:143], v[142:143], v[160:161]
	v_add_f64_e32 v[116:117], v[112:113], v[110:111]
	ds_load_b128 v[4:7], v2 offset:1200
	ds_load_b128 v[110:113], v2 offset:1216
	s_wait_loadcnt_dscnt 0x901
	v_mul_f64_e32 v[154:155], v[4:5], v[124:125]
	v_mul_f64_e32 v[124:125], v[6:7], v[124:125]
	s_wait_loadcnt_dscnt 0x800
	v_mul_f64_e32 v[120:121], v[110:111], v[128:129]
	v_mul_f64_e32 v[128:129], v[112:113], v[128:129]
	v_add_f64_e32 v[114:115], v[116:117], v[114:115]
	v_add_f64_e32 v[116:117], v[142:143], v[158:159]
	v_fmac_f64_e32 v[154:155], v[6:7], v[122:123]
	v_fma_f64 v[122:123], v[4:5], v[122:123], -v[124:125]
	v_fmac_f64_e32 v[120:121], v[112:113], v[126:127]
	v_fma_f64 v[110:111], v[110:111], v[126:127], -v[128:129]
	v_add_f64_e32 v[118:119], v[114:115], v[118:119]
	v_add_f64_e32 v[124:125], v[116:117], v[144:145]
	ds_load_b128 v[4:7], v2 offset:1232
	ds_load_b128 v[114:117], v2 offset:1248
	s_wait_loadcnt_dscnt 0x701
	v_mul_f64_e32 v[142:143], v[4:5], v[136:137]
	v_mul_f64_e32 v[136:137], v[6:7], v[136:137]
	v_add_f64_e32 v[112:113], v[118:119], v[122:123]
	v_add_f64_e32 v[118:119], v[124:125], v[154:155]
	s_wait_loadcnt_dscnt 0x500
	v_mul_f64_e32 v[122:123], v[114:115], v[148:149]
	v_mul_f64_e32 v[124:125], v[116:117], v[148:149]
	v_fmac_f64_e32 v[142:143], v[6:7], v[134:135]
	v_fma_f64 v[126:127], v[4:5], v[134:135], -v[136:137]
	v_add_f64_e32 v[128:129], v[112:113], v[110:111]
	v_add_f64_e32 v[118:119], v[118:119], v[120:121]
	ds_load_b128 v[4:7], v2 offset:1264
	ds_load_b128 v[110:113], v2 offset:1280
	v_fmac_f64_e32 v[122:123], v[116:117], v[146:147]
	v_fma_f64 v[114:115], v[114:115], v[146:147], -v[124:125]
	s_wait_loadcnt_dscnt 0x401
	v_mul_f64_e32 v[120:121], v[4:5], v[132:133]
	v_mul_f64_e32 v[132:133], v[6:7], v[132:133]
	v_add_f64_e32 v[116:117], v[128:129], v[126:127]
	v_add_f64_e32 v[118:119], v[118:119], v[142:143]
	s_wait_loadcnt_dscnt 0x300
	v_mul_f64_e32 v[124:125], v[110:111], v[10:11]
	v_mul_f64_e32 v[10:11], v[112:113], v[10:11]
	v_fmac_f64_e32 v[120:121], v[6:7], v[130:131]
	v_fma_f64 v[126:127], v[4:5], v[130:131], -v[132:133]
	v_add_f64_e32 v[128:129], v[116:117], v[114:115]
	v_add_f64_e32 v[118:119], v[118:119], v[122:123]
	ds_load_b128 v[4:7], v2 offset:1296
	ds_load_b128 v[114:117], v2 offset:1312
	v_fmac_f64_e32 v[124:125], v[112:113], v[8:9]
	v_fma_f64 v[8:9], v[110:111], v[8:9], -v[10:11]
	s_wait_loadcnt_dscnt 0x201
	v_mul_f64_e32 v[122:123], v[4:5], v[14:15]
	v_mul_f64_e32 v[14:15], v[6:7], v[14:15]
	s_wait_loadcnt_dscnt 0x100
	v_mul_f64_e32 v[112:113], v[114:115], v[18:19]
	v_mul_f64_e32 v[18:19], v[116:117], v[18:19]
	v_add_f64_e32 v[10:11], v[128:129], v[126:127]
	v_add_f64_e32 v[110:111], v[118:119], v[120:121]
	v_fmac_f64_e32 v[122:123], v[6:7], v[12:13]
	v_fma_f64 v[12:13], v[4:5], v[12:13], -v[14:15]
	ds_load_b128 v[4:7], v2 offset:1328
	v_fmac_f64_e32 v[112:113], v[116:117], v[16:17]
	v_fma_f64 v[16:17], v[114:115], v[16:17], -v[18:19]
	v_add_f64_e32 v[8:9], v[10:11], v[8:9]
	v_add_f64_e32 v[10:11], v[110:111], v[124:125]
	s_wait_loadcnt_dscnt 0x0
	v_mul_f64_e32 v[14:15], v[4:5], v[22:23]
	v_mul_f64_e32 v[22:23], v[6:7], v[22:23]
	s_delay_alu instid0(VALU_DEP_4) | instskip(NEXT) | instid1(VALU_DEP_4)
	v_add_f64_e32 v[8:9], v[8:9], v[12:13]
	v_add_f64_e32 v[10:11], v[10:11], v[122:123]
	s_delay_alu instid0(VALU_DEP_4) | instskip(NEXT) | instid1(VALU_DEP_4)
	v_fmac_f64_e32 v[14:15], v[6:7], v[20:21]
	v_fma_f64 v[4:5], v[4:5], v[20:21], -v[22:23]
	s_delay_alu instid0(VALU_DEP_4) | instskip(NEXT) | instid1(VALU_DEP_4)
	v_add_f64_e32 v[6:7], v[8:9], v[16:17]
	v_add_f64_e32 v[8:9], v[10:11], v[112:113]
	s_delay_alu instid0(VALU_DEP_2) | instskip(NEXT) | instid1(VALU_DEP_2)
	v_add_f64_e32 v[4:5], v[6:7], v[4:5]
	v_add_f64_e32 v[6:7], v[8:9], v[14:15]
	s_delay_alu instid0(VALU_DEP_2) | instskip(NEXT) | instid1(VALU_DEP_2)
	v_add_f64_e64 v[4:5], v[138:139], -v[4:5]
	v_add_f64_e64 v[6:7], v[140:141], -v[6:7]
	scratch_store_b128 off, v[4:7], off offset:384
	s_wait_xcnt 0x0
	v_cmpx_lt_u32_e32 23, v1
	s_cbranch_execz .LBB41_219
; %bb.218:
	scratch_load_b128 v[6:9], off, s34
	v_dual_mov_b32 v3, v2 :: v_dual_mov_b32 v4, v2
	v_mov_b32_e32 v5, v2
	scratch_store_b128 off, v[2:5], off offset:368
	s_wait_loadcnt 0x0
	ds_store_b128 v108, v[6:9]
.LBB41_219:
	s_wait_xcnt 0x0
	s_or_b32 exec_lo, exec_lo, s2
	s_wait_storecnt_dscnt 0x0
	s_barrier_signal -1
	s_barrier_wait -1
	s_clause 0x9
	scratch_load_b128 v[4:7], off, off offset:384
	scratch_load_b128 v[8:11], off, off offset:400
	;; [unrolled: 1-line block ×10, first 2 shown]
	ds_load_b128 v[130:133], v2 offset:1056
	ds_load_b128 v[138:141], v2 offset:1072
	s_clause 0x2
	scratch_load_b128 v[134:137], off, off offset:544
	scratch_load_b128 v[142:145], off, off offset:368
	;; [unrolled: 1-line block ×3, first 2 shown]
	s_mov_b32 s2, exec_lo
	s_wait_loadcnt_dscnt 0xc01
	v_mul_f64_e32 v[150:151], v[132:133], v[6:7]
	v_mul_f64_e32 v[154:155], v[130:131], v[6:7]
	s_wait_loadcnt_dscnt 0xb00
	v_mul_f64_e32 v[156:157], v[138:139], v[10:11]
	v_mul_f64_e32 v[10:11], v[140:141], v[10:11]
	s_delay_alu instid0(VALU_DEP_4) | instskip(NEXT) | instid1(VALU_DEP_4)
	v_fma_f64 v[158:159], v[130:131], v[4:5], -v[150:151]
	v_fmac_f64_e32 v[154:155], v[132:133], v[4:5]
	ds_load_b128 v[4:7], v2 offset:1088
	ds_load_b128 v[130:133], v2 offset:1104
	scratch_load_b128 v[150:153], off, off offset:576
	v_fmac_f64_e32 v[156:157], v[140:141], v[8:9]
	v_fma_f64 v[138:139], v[138:139], v[8:9], -v[10:11]
	scratch_load_b128 v[8:11], off, off offset:592
	s_wait_loadcnt_dscnt 0xc01
	v_mul_f64_e32 v[160:161], v[4:5], v[14:15]
	v_mul_f64_e32 v[14:15], v[6:7], v[14:15]
	v_add_f64_e32 v[140:141], 0, v[158:159]
	v_add_f64_e32 v[154:155], 0, v[154:155]
	s_wait_loadcnt_dscnt 0xb00
	v_mul_f64_e32 v[158:159], v[130:131], v[18:19]
	v_mul_f64_e32 v[18:19], v[132:133], v[18:19]
	v_fmac_f64_e32 v[160:161], v[6:7], v[12:13]
	v_fma_f64 v[162:163], v[4:5], v[12:13], -v[14:15]
	ds_load_b128 v[4:7], v2 offset:1120
	ds_load_b128 v[12:15], v2 offset:1136
	v_add_f64_e32 v[164:165], v[140:141], v[138:139]
	v_add_f64_e32 v[154:155], v[154:155], v[156:157]
	scratch_load_b128 v[138:141], off, off offset:608
	v_fmac_f64_e32 v[158:159], v[132:133], v[16:17]
	v_fma_f64 v[130:131], v[130:131], v[16:17], -v[18:19]
	scratch_load_b128 v[16:19], off, off offset:624
	s_wait_loadcnt_dscnt 0xc01
	v_mul_f64_e32 v[156:157], v[4:5], v[22:23]
	v_mul_f64_e32 v[22:23], v[6:7], v[22:23]
	v_add_f64_e32 v[132:133], v[164:165], v[162:163]
	v_add_f64_e32 v[154:155], v[154:155], v[160:161]
	s_wait_loadcnt_dscnt 0xb00
	v_mul_f64_e32 v[160:161], v[12:13], v[112:113]
	v_mul_f64_e32 v[112:113], v[14:15], v[112:113]
	v_fmac_f64_e32 v[156:157], v[6:7], v[20:21]
	v_fma_f64 v[162:163], v[4:5], v[20:21], -v[22:23]
	ds_load_b128 v[4:7], v2 offset:1152
	ds_load_b128 v[20:23], v2 offset:1168
	v_add_f64_e32 v[164:165], v[132:133], v[130:131]
	v_add_f64_e32 v[154:155], v[154:155], v[158:159]
	scratch_load_b128 v[130:133], off, off offset:640
	s_wait_loadcnt_dscnt 0xb01
	v_mul_f64_e32 v[158:159], v[4:5], v[116:117]
	v_mul_f64_e32 v[116:117], v[6:7], v[116:117]
	v_fmac_f64_e32 v[160:161], v[14:15], v[110:111]
	v_fma_f64 v[110:111], v[12:13], v[110:111], -v[112:113]
	scratch_load_b128 v[12:15], off, off offset:656
	v_add_f64_e32 v[112:113], v[164:165], v[162:163]
	v_add_f64_e32 v[154:155], v[154:155], v[156:157]
	s_wait_loadcnt_dscnt 0xb00
	v_mul_f64_e32 v[156:157], v[20:21], v[120:121]
	v_mul_f64_e32 v[120:121], v[22:23], v[120:121]
	v_fmac_f64_e32 v[158:159], v[6:7], v[114:115]
	v_fma_f64 v[114:115], v[4:5], v[114:115], -v[116:117]
	v_add_f64_e32 v[116:117], v[112:113], v[110:111]
	v_add_f64_e32 v[154:155], v[154:155], v[160:161]
	ds_load_b128 v[4:7], v2 offset:1184
	ds_load_b128 v[110:113], v2 offset:1200
	v_fmac_f64_e32 v[156:157], v[22:23], v[118:119]
	v_fma_f64 v[20:21], v[20:21], v[118:119], -v[120:121]
	s_wait_loadcnt_dscnt 0xa01
	v_mul_f64_e32 v[160:161], v[4:5], v[124:125]
	v_mul_f64_e32 v[124:125], v[6:7], v[124:125]
	s_wait_loadcnt_dscnt 0x900
	v_mul_f64_e32 v[118:119], v[112:113], v[128:129]
	v_add_f64_e32 v[22:23], v[116:117], v[114:115]
	v_add_f64_e32 v[114:115], v[154:155], v[158:159]
	v_mul_f64_e32 v[116:117], v[110:111], v[128:129]
	v_fmac_f64_e32 v[160:161], v[6:7], v[122:123]
	v_fma_f64 v[120:121], v[4:5], v[122:123], -v[124:125]
	v_fma_f64 v[110:111], v[110:111], v[126:127], -v[118:119]
	v_add_f64_e32 v[122:123], v[22:23], v[20:21]
	v_add_f64_e32 v[114:115], v[114:115], v[156:157]
	ds_load_b128 v[4:7], v2 offset:1216
	ds_load_b128 v[20:23], v2 offset:1232
	v_fmac_f64_e32 v[116:117], v[112:113], v[126:127]
	s_wait_loadcnt_dscnt 0x801
	v_mul_f64_e32 v[124:125], v[4:5], v[136:137]
	v_mul_f64_e32 v[128:129], v[6:7], v[136:137]
	s_wait_loadcnt_dscnt 0x600
	v_mul_f64_e32 v[118:119], v[20:21], v[148:149]
	v_add_f64_e32 v[112:113], v[122:123], v[120:121]
	v_add_f64_e32 v[114:115], v[114:115], v[160:161]
	v_mul_f64_e32 v[120:121], v[22:23], v[148:149]
	v_fmac_f64_e32 v[124:125], v[6:7], v[134:135]
	v_fma_f64 v[122:123], v[4:5], v[134:135], -v[128:129]
	v_fmac_f64_e32 v[118:119], v[22:23], v[146:147]
	v_add_f64_e32 v[126:127], v[112:113], v[110:111]
	v_add_f64_e32 v[114:115], v[114:115], v[116:117]
	ds_load_b128 v[4:7], v2 offset:1248
	ds_load_b128 v[110:113], v2 offset:1264
	v_fma_f64 v[20:21], v[20:21], v[146:147], -v[120:121]
	s_wait_loadcnt_dscnt 0x501
	v_mul_f64_e32 v[116:117], v[4:5], v[152:153]
	v_mul_f64_e32 v[128:129], v[6:7], v[152:153]
	s_wait_loadcnt_dscnt 0x400
	v_mul_f64_e32 v[120:121], v[110:111], v[10:11]
	v_mul_f64_e32 v[10:11], v[112:113], v[10:11]
	v_add_f64_e32 v[22:23], v[126:127], v[122:123]
	v_add_f64_e32 v[114:115], v[114:115], v[124:125]
	v_fmac_f64_e32 v[116:117], v[6:7], v[150:151]
	v_fma_f64 v[122:123], v[4:5], v[150:151], -v[128:129]
	v_fmac_f64_e32 v[120:121], v[112:113], v[8:9]
	v_fma_f64 v[8:9], v[110:111], v[8:9], -v[10:11]
	v_add_f64_e32 v[124:125], v[22:23], v[20:21]
	v_add_f64_e32 v[114:115], v[114:115], v[118:119]
	ds_load_b128 v[4:7], v2 offset:1280
	ds_load_b128 v[20:23], v2 offset:1296
	s_wait_loadcnt_dscnt 0x301
	v_mul_f64_e32 v[118:119], v[4:5], v[140:141]
	v_mul_f64_e32 v[126:127], v[6:7], v[140:141]
	s_wait_loadcnt_dscnt 0x200
	v_mul_f64_e32 v[112:113], v[20:21], v[18:19]
	v_mul_f64_e32 v[18:19], v[22:23], v[18:19]
	v_add_f64_e32 v[10:11], v[124:125], v[122:123]
	v_add_f64_e32 v[110:111], v[114:115], v[116:117]
	v_fmac_f64_e32 v[118:119], v[6:7], v[138:139]
	v_fma_f64 v[114:115], v[4:5], v[138:139], -v[126:127]
	v_fmac_f64_e32 v[112:113], v[22:23], v[16:17]
	v_fma_f64 v[16:17], v[20:21], v[16:17], -v[18:19]
	v_add_f64_e32 v[116:117], v[10:11], v[8:9]
	v_add_f64_e32 v[110:111], v[110:111], v[120:121]
	ds_load_b128 v[4:7], v2 offset:1312
	ds_load_b128 v[8:11], v2 offset:1328
	s_wait_loadcnt_dscnt 0x101
	v_mul_f64_e32 v[2:3], v[4:5], v[132:133]
	v_mul_f64_e32 v[120:121], v[6:7], v[132:133]
	s_wait_loadcnt_dscnt 0x0
	v_mul_f64_e32 v[22:23], v[8:9], v[14:15]
	v_mul_f64_e32 v[14:15], v[10:11], v[14:15]
	v_add_f64_e32 v[18:19], v[116:117], v[114:115]
	v_add_f64_e32 v[20:21], v[110:111], v[118:119]
	v_fmac_f64_e32 v[2:3], v[6:7], v[130:131]
	v_fma_f64 v[4:5], v[4:5], v[130:131], -v[120:121]
	v_fmac_f64_e32 v[22:23], v[10:11], v[12:13]
	v_fma_f64 v[8:9], v[8:9], v[12:13], -v[14:15]
	v_add_f64_e32 v[6:7], v[18:19], v[16:17]
	v_add_f64_e32 v[16:17], v[20:21], v[112:113]
	s_delay_alu instid0(VALU_DEP_2) | instskip(NEXT) | instid1(VALU_DEP_2)
	v_add_f64_e32 v[4:5], v[6:7], v[4:5]
	v_add_f64_e32 v[2:3], v[16:17], v[2:3]
	s_delay_alu instid0(VALU_DEP_2) | instskip(NEXT) | instid1(VALU_DEP_2)
	;; [unrolled: 3-line block ×3, first 2 shown]
	v_add_f64_e64 v[2:3], v[142:143], -v[4:5]
	v_add_f64_e64 v[4:5], v[144:145], -v[6:7]
	scratch_store_b128 off, v[2:5], off offset:368
	s_wait_xcnt 0x0
	v_cmpx_lt_u32_e32 22, v1
	s_cbranch_execz .LBB41_221
; %bb.220:
	scratch_load_b128 v[2:5], off, s28
	v_mov_b32_e32 v6, 0
	s_delay_alu instid0(VALU_DEP_1)
	v_dual_mov_b32 v7, v6 :: v_dual_mov_b32 v8, v6
	v_mov_b32_e32 v9, v6
	scratch_store_b128 off, v[6:9], off offset:352
	s_wait_loadcnt 0x0
	ds_store_b128 v108, v[2:5]
.LBB41_221:
	s_wait_xcnt 0x0
	s_or_b32 exec_lo, exec_lo, s2
	s_wait_storecnt_dscnt 0x0
	s_barrier_signal -1
	s_barrier_wait -1
	s_clause 0x9
	scratch_load_b128 v[4:7], off, off offset:368
	scratch_load_b128 v[8:11], off, off offset:384
	;; [unrolled: 1-line block ×10, first 2 shown]
	v_mov_b32_e32 v2, 0
	s_mov_b32 s2, exec_lo
	ds_load_b128 v[130:133], v2 offset:1040
	s_clause 0x2
	scratch_load_b128 v[134:137], off, off offset:528
	scratch_load_b128 v[138:141], off, off offset:352
	;; [unrolled: 1-line block ×3, first 2 shown]
	s_wait_loadcnt_dscnt 0xc00
	v_mul_f64_e32 v[150:151], v[132:133], v[6:7]
	v_mul_f64_e32 v[154:155], v[130:131], v[6:7]
	ds_load_b128 v[142:145], v2 offset:1056
	v_fma_f64 v[158:159], v[130:131], v[4:5], -v[150:151]
	v_fmac_f64_e32 v[154:155], v[132:133], v[4:5]
	ds_load_b128 v[4:7], v2 offset:1072
	s_wait_loadcnt_dscnt 0xb01
	v_mul_f64_e32 v[156:157], v[142:143], v[10:11]
	v_mul_f64_e32 v[10:11], v[144:145], v[10:11]
	scratch_load_b128 v[130:133], off, off offset:560
	ds_load_b128 v[150:153], v2 offset:1088
	s_wait_loadcnt_dscnt 0xb01
	v_mul_f64_e32 v[160:161], v[4:5], v[14:15]
	v_mul_f64_e32 v[14:15], v[6:7], v[14:15]
	v_add_f64_e32 v[154:155], 0, v[154:155]
	v_fmac_f64_e32 v[156:157], v[144:145], v[8:9]
	v_fma_f64 v[142:143], v[142:143], v[8:9], -v[10:11]
	v_add_f64_e32 v[144:145], 0, v[158:159]
	scratch_load_b128 v[8:11], off, off offset:576
	v_fmac_f64_e32 v[160:161], v[6:7], v[12:13]
	v_fma_f64 v[162:163], v[4:5], v[12:13], -v[14:15]
	ds_load_b128 v[4:7], v2 offset:1104
	s_wait_loadcnt_dscnt 0xb01
	v_mul_f64_e32 v[158:159], v[150:151], v[18:19]
	v_mul_f64_e32 v[18:19], v[152:153], v[18:19]
	scratch_load_b128 v[12:15], off, off offset:592
	v_add_f64_e32 v[154:155], v[154:155], v[156:157]
	v_add_f64_e32 v[164:165], v[144:145], v[142:143]
	ds_load_b128 v[142:145], v2 offset:1120
	s_wait_loadcnt_dscnt 0xb01
	v_mul_f64_e32 v[156:157], v[4:5], v[22:23]
	v_mul_f64_e32 v[22:23], v[6:7], v[22:23]
	v_fmac_f64_e32 v[158:159], v[152:153], v[16:17]
	v_fma_f64 v[150:151], v[150:151], v[16:17], -v[18:19]
	scratch_load_b128 v[16:19], off, off offset:608
	v_add_f64_e32 v[154:155], v[154:155], v[160:161]
	v_add_f64_e32 v[152:153], v[164:165], v[162:163]
	v_fmac_f64_e32 v[156:157], v[6:7], v[20:21]
	v_fma_f64 v[162:163], v[4:5], v[20:21], -v[22:23]
	ds_load_b128 v[4:7], v2 offset:1136
	s_wait_loadcnt_dscnt 0xb01
	v_mul_f64_e32 v[160:161], v[142:143], v[112:113]
	v_mul_f64_e32 v[112:113], v[144:145], v[112:113]
	scratch_load_b128 v[20:23], off, off offset:624
	v_add_f64_e32 v[154:155], v[154:155], v[158:159]
	s_wait_loadcnt_dscnt 0xb00
	v_mul_f64_e32 v[158:159], v[4:5], v[116:117]
	v_add_f64_e32 v[164:165], v[152:153], v[150:151]
	v_mul_f64_e32 v[116:117], v[6:7], v[116:117]
	ds_load_b128 v[150:153], v2 offset:1152
	v_fmac_f64_e32 v[160:161], v[144:145], v[110:111]
	v_fma_f64 v[142:143], v[142:143], v[110:111], -v[112:113]
	scratch_load_b128 v[110:113], off, off offset:640
	v_add_f64_e32 v[154:155], v[154:155], v[156:157]
	v_fmac_f64_e32 v[158:159], v[6:7], v[114:115]
	v_add_f64_e32 v[144:145], v[164:165], v[162:163]
	v_fma_f64 v[162:163], v[4:5], v[114:115], -v[116:117]
	ds_load_b128 v[4:7], v2 offset:1168
	s_wait_loadcnt_dscnt 0xb01
	v_mul_f64_e32 v[156:157], v[150:151], v[120:121]
	v_mul_f64_e32 v[120:121], v[152:153], v[120:121]
	scratch_load_b128 v[114:117], off, off offset:656
	v_add_f64_e32 v[154:155], v[154:155], v[160:161]
	s_wait_loadcnt_dscnt 0xb00
	v_mul_f64_e32 v[160:161], v[4:5], v[124:125]
	v_add_f64_e32 v[164:165], v[144:145], v[142:143]
	v_mul_f64_e32 v[124:125], v[6:7], v[124:125]
	ds_load_b128 v[142:145], v2 offset:1184
	v_fmac_f64_e32 v[156:157], v[152:153], v[118:119]
	v_fma_f64 v[118:119], v[150:151], v[118:119], -v[120:121]
	s_wait_loadcnt_dscnt 0xa00
	v_mul_f64_e32 v[152:153], v[142:143], v[128:129]
	v_mul_f64_e32 v[128:129], v[144:145], v[128:129]
	v_add_f64_e32 v[150:151], v[154:155], v[158:159]
	v_fmac_f64_e32 v[160:161], v[6:7], v[122:123]
	v_add_f64_e32 v[120:121], v[164:165], v[162:163]
	v_fma_f64 v[122:123], v[4:5], v[122:123], -v[124:125]
	v_fmac_f64_e32 v[152:153], v[144:145], v[126:127]
	v_fma_f64 v[126:127], v[142:143], v[126:127], -v[128:129]
	v_add_f64_e32 v[150:151], v[150:151], v[156:157]
	v_add_f64_e32 v[124:125], v[120:121], v[118:119]
	ds_load_b128 v[4:7], v2 offset:1200
	ds_load_b128 v[118:121], v2 offset:1216
	s_wait_loadcnt_dscnt 0x901
	v_mul_f64_e32 v[154:155], v[4:5], v[136:137]
	v_mul_f64_e32 v[136:137], v[6:7], v[136:137]
	s_wait_loadcnt_dscnt 0x700
	v_mul_f64_e32 v[128:129], v[118:119], v[148:149]
	v_mul_f64_e32 v[142:143], v[120:121], v[148:149]
	v_add_f64_e32 v[122:123], v[124:125], v[122:123]
	v_add_f64_e32 v[124:125], v[150:151], v[160:161]
	v_fmac_f64_e32 v[154:155], v[6:7], v[134:135]
	v_fma_f64 v[134:135], v[4:5], v[134:135], -v[136:137]
	v_fmac_f64_e32 v[128:129], v[120:121], v[146:147]
	v_fma_f64 v[118:119], v[118:119], v[146:147], -v[142:143]
	v_add_f64_e32 v[126:127], v[122:123], v[126:127]
	v_add_f64_e32 v[136:137], v[124:125], v[152:153]
	ds_load_b128 v[4:7], v2 offset:1232
	ds_load_b128 v[122:125], v2 offset:1248
	s_wait_loadcnt_dscnt 0x601
	v_mul_f64_e32 v[144:145], v[4:5], v[132:133]
	v_mul_f64_e32 v[132:133], v[6:7], v[132:133]
	v_add_f64_e32 v[120:121], v[126:127], v[134:135]
	v_add_f64_e32 v[126:127], v[136:137], v[154:155]
	s_wait_loadcnt_dscnt 0x500
	v_mul_f64_e32 v[134:135], v[122:123], v[10:11]
	v_mul_f64_e32 v[10:11], v[124:125], v[10:11]
	v_fmac_f64_e32 v[144:145], v[6:7], v[130:131]
	v_fma_f64 v[130:131], v[4:5], v[130:131], -v[132:133]
	v_add_f64_e32 v[132:133], v[120:121], v[118:119]
	v_add_f64_e32 v[126:127], v[126:127], v[128:129]
	ds_load_b128 v[4:7], v2 offset:1264
	ds_load_b128 v[118:121], v2 offset:1280
	v_fmac_f64_e32 v[134:135], v[124:125], v[8:9]
	v_fma_f64 v[8:9], v[122:123], v[8:9], -v[10:11]
	s_wait_loadcnt_dscnt 0x401
	v_mul_f64_e32 v[128:129], v[4:5], v[14:15]
	v_mul_f64_e32 v[14:15], v[6:7], v[14:15]
	s_wait_loadcnt_dscnt 0x300
	v_mul_f64_e32 v[124:125], v[118:119], v[18:19]
	v_mul_f64_e32 v[18:19], v[120:121], v[18:19]
	v_add_f64_e32 v[10:11], v[132:133], v[130:131]
	v_add_f64_e32 v[122:123], v[126:127], v[144:145]
	v_fmac_f64_e32 v[128:129], v[6:7], v[12:13]
	v_fma_f64 v[12:13], v[4:5], v[12:13], -v[14:15]
	v_fmac_f64_e32 v[124:125], v[120:121], v[16:17]
	v_fma_f64 v[16:17], v[118:119], v[16:17], -v[18:19]
	v_add_f64_e32 v[14:15], v[10:11], v[8:9]
	v_add_f64_e32 v[122:123], v[122:123], v[134:135]
	ds_load_b128 v[4:7], v2 offset:1296
	ds_load_b128 v[8:11], v2 offset:1312
	s_wait_loadcnt_dscnt 0x201
	v_mul_f64_e32 v[126:127], v[4:5], v[22:23]
	v_mul_f64_e32 v[22:23], v[6:7], v[22:23]
	s_wait_loadcnt_dscnt 0x100
	v_mul_f64_e32 v[18:19], v[8:9], v[112:113]
	v_mul_f64_e32 v[112:113], v[10:11], v[112:113]
	v_add_f64_e32 v[12:13], v[14:15], v[12:13]
	v_add_f64_e32 v[14:15], v[122:123], v[128:129]
	v_fmac_f64_e32 v[126:127], v[6:7], v[20:21]
	v_fma_f64 v[20:21], v[4:5], v[20:21], -v[22:23]
	ds_load_b128 v[4:7], v2 offset:1328
	v_fmac_f64_e32 v[18:19], v[10:11], v[110:111]
	v_fma_f64 v[8:9], v[8:9], v[110:111], -v[112:113]
	v_add_f64_e32 v[12:13], v[12:13], v[16:17]
	v_add_f64_e32 v[14:15], v[14:15], v[124:125]
	s_wait_loadcnt_dscnt 0x0
	v_mul_f64_e32 v[16:17], v[4:5], v[116:117]
	v_mul_f64_e32 v[22:23], v[6:7], v[116:117]
	s_delay_alu instid0(VALU_DEP_4) | instskip(NEXT) | instid1(VALU_DEP_4)
	v_add_f64_e32 v[10:11], v[12:13], v[20:21]
	v_add_f64_e32 v[12:13], v[14:15], v[126:127]
	s_delay_alu instid0(VALU_DEP_4) | instskip(NEXT) | instid1(VALU_DEP_4)
	v_fmac_f64_e32 v[16:17], v[6:7], v[114:115]
	v_fma_f64 v[4:5], v[4:5], v[114:115], -v[22:23]
	s_delay_alu instid0(VALU_DEP_4) | instskip(NEXT) | instid1(VALU_DEP_4)
	v_add_f64_e32 v[6:7], v[10:11], v[8:9]
	v_add_f64_e32 v[8:9], v[12:13], v[18:19]
	s_delay_alu instid0(VALU_DEP_2) | instskip(NEXT) | instid1(VALU_DEP_2)
	v_add_f64_e32 v[4:5], v[6:7], v[4:5]
	v_add_f64_e32 v[6:7], v[8:9], v[16:17]
	s_delay_alu instid0(VALU_DEP_2) | instskip(NEXT) | instid1(VALU_DEP_2)
	v_add_f64_e64 v[4:5], v[138:139], -v[4:5]
	v_add_f64_e64 v[6:7], v[140:141], -v[6:7]
	scratch_store_b128 off, v[4:7], off offset:352
	s_wait_xcnt 0x0
	v_cmpx_lt_u32_e32 21, v1
	s_cbranch_execz .LBB41_223
; %bb.222:
	scratch_load_b128 v[6:9], off, s24
	v_dual_mov_b32 v3, v2 :: v_dual_mov_b32 v4, v2
	v_mov_b32_e32 v5, v2
	scratch_store_b128 off, v[2:5], off offset:336
	s_wait_loadcnt 0x0
	ds_store_b128 v108, v[6:9]
.LBB41_223:
	s_wait_xcnt 0x0
	s_or_b32 exec_lo, exec_lo, s2
	s_wait_storecnt_dscnt 0x0
	s_barrier_signal -1
	s_barrier_wait -1
	s_clause 0x9
	scratch_load_b128 v[4:7], off, off offset:352
	scratch_load_b128 v[8:11], off, off offset:368
	;; [unrolled: 1-line block ×10, first 2 shown]
	ds_load_b128 v[130:133], v2 offset:1024
	ds_load_b128 v[138:141], v2 offset:1040
	s_clause 0x2
	scratch_load_b128 v[134:137], off, off offset:512
	scratch_load_b128 v[142:145], off, off offset:336
	;; [unrolled: 1-line block ×3, first 2 shown]
	s_mov_b32 s2, exec_lo
	s_wait_loadcnt_dscnt 0xc01
	v_mul_f64_e32 v[150:151], v[132:133], v[6:7]
	v_mul_f64_e32 v[154:155], v[130:131], v[6:7]
	s_wait_loadcnt_dscnt 0xb00
	v_mul_f64_e32 v[156:157], v[138:139], v[10:11]
	v_mul_f64_e32 v[10:11], v[140:141], v[10:11]
	s_delay_alu instid0(VALU_DEP_4) | instskip(NEXT) | instid1(VALU_DEP_4)
	v_fma_f64 v[158:159], v[130:131], v[4:5], -v[150:151]
	v_fmac_f64_e32 v[154:155], v[132:133], v[4:5]
	ds_load_b128 v[4:7], v2 offset:1056
	ds_load_b128 v[130:133], v2 offset:1072
	scratch_load_b128 v[150:153], off, off offset:544
	v_fmac_f64_e32 v[156:157], v[140:141], v[8:9]
	v_fma_f64 v[138:139], v[138:139], v[8:9], -v[10:11]
	scratch_load_b128 v[8:11], off, off offset:560
	s_wait_loadcnt_dscnt 0xc01
	v_mul_f64_e32 v[160:161], v[4:5], v[14:15]
	v_mul_f64_e32 v[14:15], v[6:7], v[14:15]
	v_add_f64_e32 v[140:141], 0, v[158:159]
	v_add_f64_e32 v[154:155], 0, v[154:155]
	s_wait_loadcnt_dscnt 0xb00
	v_mul_f64_e32 v[158:159], v[130:131], v[18:19]
	v_mul_f64_e32 v[18:19], v[132:133], v[18:19]
	v_fmac_f64_e32 v[160:161], v[6:7], v[12:13]
	v_fma_f64 v[162:163], v[4:5], v[12:13], -v[14:15]
	ds_load_b128 v[4:7], v2 offset:1088
	ds_load_b128 v[12:15], v2 offset:1104
	v_add_f64_e32 v[164:165], v[140:141], v[138:139]
	v_add_f64_e32 v[154:155], v[154:155], v[156:157]
	scratch_load_b128 v[138:141], off, off offset:576
	v_fmac_f64_e32 v[158:159], v[132:133], v[16:17]
	v_fma_f64 v[130:131], v[130:131], v[16:17], -v[18:19]
	scratch_load_b128 v[16:19], off, off offset:592
	s_wait_loadcnt_dscnt 0xc01
	v_mul_f64_e32 v[156:157], v[4:5], v[22:23]
	v_mul_f64_e32 v[22:23], v[6:7], v[22:23]
	v_add_f64_e32 v[132:133], v[164:165], v[162:163]
	v_add_f64_e32 v[154:155], v[154:155], v[160:161]
	s_wait_loadcnt_dscnt 0xb00
	v_mul_f64_e32 v[160:161], v[12:13], v[112:113]
	v_mul_f64_e32 v[112:113], v[14:15], v[112:113]
	v_fmac_f64_e32 v[156:157], v[6:7], v[20:21]
	v_fma_f64 v[162:163], v[4:5], v[20:21], -v[22:23]
	ds_load_b128 v[4:7], v2 offset:1120
	ds_load_b128 v[20:23], v2 offset:1136
	v_add_f64_e32 v[164:165], v[132:133], v[130:131]
	v_add_f64_e32 v[154:155], v[154:155], v[158:159]
	scratch_load_b128 v[130:133], off, off offset:608
	s_wait_loadcnt_dscnt 0xb01
	v_mul_f64_e32 v[158:159], v[4:5], v[116:117]
	v_mul_f64_e32 v[116:117], v[6:7], v[116:117]
	v_fmac_f64_e32 v[160:161], v[14:15], v[110:111]
	v_fma_f64 v[110:111], v[12:13], v[110:111], -v[112:113]
	scratch_load_b128 v[12:15], off, off offset:624
	v_add_f64_e32 v[112:113], v[164:165], v[162:163]
	v_add_f64_e32 v[154:155], v[154:155], v[156:157]
	s_wait_loadcnt_dscnt 0xb00
	v_mul_f64_e32 v[156:157], v[20:21], v[120:121]
	v_mul_f64_e32 v[120:121], v[22:23], v[120:121]
	v_fmac_f64_e32 v[158:159], v[6:7], v[114:115]
	v_fma_f64 v[162:163], v[4:5], v[114:115], -v[116:117]
	v_add_f64_e32 v[164:165], v[112:113], v[110:111]
	v_add_f64_e32 v[154:155], v[154:155], v[160:161]
	ds_load_b128 v[4:7], v2 offset:1152
	ds_load_b128 v[110:113], v2 offset:1168
	scratch_load_b128 v[114:117], off, off offset:640
	v_fmac_f64_e32 v[156:157], v[22:23], v[118:119]
	v_fma_f64 v[118:119], v[20:21], v[118:119], -v[120:121]
	scratch_load_b128 v[20:23], off, off offset:656
	s_wait_loadcnt_dscnt 0xc01
	v_mul_f64_e32 v[160:161], v[4:5], v[124:125]
	v_mul_f64_e32 v[124:125], v[6:7], v[124:125]
	v_add_f64_e32 v[120:121], v[164:165], v[162:163]
	v_add_f64_e32 v[154:155], v[154:155], v[158:159]
	s_wait_loadcnt_dscnt 0xb00
	v_mul_f64_e32 v[158:159], v[110:111], v[128:129]
	v_mul_f64_e32 v[128:129], v[112:113], v[128:129]
	v_fmac_f64_e32 v[160:161], v[6:7], v[122:123]
	v_fma_f64 v[122:123], v[4:5], v[122:123], -v[124:125]
	v_add_f64_e32 v[124:125], v[120:121], v[118:119]
	v_add_f64_e32 v[154:155], v[154:155], v[156:157]
	ds_load_b128 v[4:7], v2 offset:1184
	ds_load_b128 v[118:121], v2 offset:1200
	v_fmac_f64_e32 v[158:159], v[112:113], v[126:127]
	v_fma_f64 v[110:111], v[110:111], v[126:127], -v[128:129]
	s_wait_loadcnt_dscnt 0xa01
	v_mul_f64_e32 v[156:157], v[4:5], v[136:137]
	v_mul_f64_e32 v[136:137], v[6:7], v[136:137]
	s_wait_loadcnt_dscnt 0x800
	v_mul_f64_e32 v[126:127], v[120:121], v[148:149]
	v_add_f64_e32 v[112:113], v[124:125], v[122:123]
	v_add_f64_e32 v[122:123], v[154:155], v[160:161]
	v_mul_f64_e32 v[124:125], v[118:119], v[148:149]
	v_fmac_f64_e32 v[156:157], v[6:7], v[134:135]
	v_fma_f64 v[128:129], v[4:5], v[134:135], -v[136:137]
	v_fma_f64 v[118:119], v[118:119], v[146:147], -v[126:127]
	v_add_f64_e32 v[134:135], v[112:113], v[110:111]
	v_add_f64_e32 v[122:123], v[122:123], v[158:159]
	ds_load_b128 v[4:7], v2 offset:1216
	ds_load_b128 v[110:113], v2 offset:1232
	v_fmac_f64_e32 v[124:125], v[120:121], v[146:147]
	s_wait_loadcnt_dscnt 0x701
	v_mul_f64_e32 v[136:137], v[4:5], v[152:153]
	v_mul_f64_e32 v[148:149], v[6:7], v[152:153]
	s_wait_loadcnt_dscnt 0x600
	v_mul_f64_e32 v[126:127], v[110:111], v[10:11]
	v_mul_f64_e32 v[10:11], v[112:113], v[10:11]
	v_add_f64_e32 v[120:121], v[134:135], v[128:129]
	v_add_f64_e32 v[122:123], v[122:123], v[156:157]
	v_fmac_f64_e32 v[136:137], v[6:7], v[150:151]
	v_fma_f64 v[128:129], v[4:5], v[150:151], -v[148:149]
	v_fmac_f64_e32 v[126:127], v[112:113], v[8:9]
	v_fma_f64 v[8:9], v[110:111], v[8:9], -v[10:11]
	v_add_f64_e32 v[134:135], v[120:121], v[118:119]
	v_add_f64_e32 v[122:123], v[122:123], v[124:125]
	ds_load_b128 v[4:7], v2 offset:1248
	ds_load_b128 v[118:121], v2 offset:1264
	s_wait_loadcnt_dscnt 0x501
	v_mul_f64_e32 v[124:125], v[4:5], v[140:141]
	v_mul_f64_e32 v[140:141], v[6:7], v[140:141]
	s_wait_loadcnt_dscnt 0x400
	v_mul_f64_e32 v[112:113], v[118:119], v[18:19]
	v_mul_f64_e32 v[18:19], v[120:121], v[18:19]
	v_add_f64_e32 v[10:11], v[134:135], v[128:129]
	v_add_f64_e32 v[110:111], v[122:123], v[136:137]
	v_fmac_f64_e32 v[124:125], v[6:7], v[138:139]
	v_fma_f64 v[122:123], v[4:5], v[138:139], -v[140:141]
	v_fmac_f64_e32 v[112:113], v[120:121], v[16:17]
	v_fma_f64 v[16:17], v[118:119], v[16:17], -v[18:19]
	v_add_f64_e32 v[128:129], v[10:11], v[8:9]
	v_add_f64_e32 v[110:111], v[110:111], v[126:127]
	ds_load_b128 v[4:7], v2 offset:1280
	ds_load_b128 v[8:11], v2 offset:1296
	;; [unrolled: 16-line block ×3, first 2 shown]
	s_wait_loadcnt_dscnt 0x101
	v_mul_f64_e32 v[2:3], v[4:5], v[116:117]
	v_mul_f64_e32 v[112:113], v[6:7], v[116:117]
	v_add_f64_e32 v[10:11], v[18:19], v[122:123]
	v_add_f64_e32 v[12:13], v[110:111], v[126:127]
	s_wait_loadcnt_dscnt 0x0
	v_mul_f64_e32 v[18:19], v[14:15], v[22:23]
	v_mul_f64_e32 v[22:23], v[16:17], v[22:23]
	v_fmac_f64_e32 v[2:3], v[6:7], v[114:115]
	v_fma_f64 v[4:5], v[4:5], v[114:115], -v[112:113]
	v_add_f64_e32 v[6:7], v[10:11], v[8:9]
	v_add_f64_e32 v[8:9], v[12:13], v[118:119]
	v_fmac_f64_e32 v[18:19], v[16:17], v[20:21]
	v_fma_f64 v[10:11], v[14:15], v[20:21], -v[22:23]
	s_delay_alu instid0(VALU_DEP_4) | instskip(NEXT) | instid1(VALU_DEP_4)
	v_add_f64_e32 v[4:5], v[6:7], v[4:5]
	v_add_f64_e32 v[2:3], v[8:9], v[2:3]
	s_delay_alu instid0(VALU_DEP_2) | instskip(NEXT) | instid1(VALU_DEP_2)
	v_add_f64_e32 v[4:5], v[4:5], v[10:11]
	v_add_f64_e32 v[6:7], v[2:3], v[18:19]
	s_delay_alu instid0(VALU_DEP_2) | instskip(NEXT) | instid1(VALU_DEP_2)
	v_add_f64_e64 v[2:3], v[142:143], -v[4:5]
	v_add_f64_e64 v[4:5], v[144:145], -v[6:7]
	scratch_store_b128 off, v[2:5], off offset:336
	s_wait_xcnt 0x0
	v_cmpx_lt_u32_e32 20, v1
	s_cbranch_execz .LBB41_225
; %bb.224:
	scratch_load_b128 v[2:5], off, s36
	v_mov_b32_e32 v6, 0
	s_delay_alu instid0(VALU_DEP_1)
	v_dual_mov_b32 v7, v6 :: v_dual_mov_b32 v8, v6
	v_mov_b32_e32 v9, v6
	scratch_store_b128 off, v[6:9], off offset:320
	s_wait_loadcnt 0x0
	ds_store_b128 v108, v[2:5]
.LBB41_225:
	s_wait_xcnt 0x0
	s_or_b32 exec_lo, exec_lo, s2
	s_wait_storecnt_dscnt 0x0
	s_barrier_signal -1
	s_barrier_wait -1
	s_clause 0x9
	scratch_load_b128 v[4:7], off, off offset:336
	scratch_load_b128 v[8:11], off, off offset:352
	;; [unrolled: 1-line block ×10, first 2 shown]
	v_mov_b32_e32 v2, 0
	s_mov_b32 s2, exec_lo
	ds_load_b128 v[130:133], v2 offset:1008
	s_clause 0x2
	scratch_load_b128 v[134:137], off, off offset:496
	scratch_load_b128 v[138:141], off, off offset:320
	;; [unrolled: 1-line block ×3, first 2 shown]
	s_wait_loadcnt_dscnt 0xc00
	v_mul_f64_e32 v[150:151], v[132:133], v[6:7]
	v_mul_f64_e32 v[154:155], v[130:131], v[6:7]
	ds_load_b128 v[142:145], v2 offset:1024
	v_fma_f64 v[158:159], v[130:131], v[4:5], -v[150:151]
	v_fmac_f64_e32 v[154:155], v[132:133], v[4:5]
	ds_load_b128 v[4:7], v2 offset:1040
	s_wait_loadcnt_dscnt 0xb01
	v_mul_f64_e32 v[156:157], v[142:143], v[10:11]
	v_mul_f64_e32 v[10:11], v[144:145], v[10:11]
	scratch_load_b128 v[130:133], off, off offset:528
	ds_load_b128 v[150:153], v2 offset:1056
	s_wait_loadcnt_dscnt 0xb01
	v_mul_f64_e32 v[160:161], v[4:5], v[14:15]
	v_mul_f64_e32 v[14:15], v[6:7], v[14:15]
	v_add_f64_e32 v[154:155], 0, v[154:155]
	v_fmac_f64_e32 v[156:157], v[144:145], v[8:9]
	v_fma_f64 v[142:143], v[142:143], v[8:9], -v[10:11]
	v_add_f64_e32 v[144:145], 0, v[158:159]
	scratch_load_b128 v[8:11], off, off offset:544
	v_fmac_f64_e32 v[160:161], v[6:7], v[12:13]
	v_fma_f64 v[162:163], v[4:5], v[12:13], -v[14:15]
	ds_load_b128 v[4:7], v2 offset:1072
	s_wait_loadcnt_dscnt 0xb01
	v_mul_f64_e32 v[158:159], v[150:151], v[18:19]
	v_mul_f64_e32 v[18:19], v[152:153], v[18:19]
	scratch_load_b128 v[12:15], off, off offset:560
	v_add_f64_e32 v[154:155], v[154:155], v[156:157]
	v_add_f64_e32 v[164:165], v[144:145], v[142:143]
	ds_load_b128 v[142:145], v2 offset:1088
	s_wait_loadcnt_dscnt 0xb01
	v_mul_f64_e32 v[156:157], v[4:5], v[22:23]
	v_mul_f64_e32 v[22:23], v[6:7], v[22:23]
	v_fmac_f64_e32 v[158:159], v[152:153], v[16:17]
	v_fma_f64 v[150:151], v[150:151], v[16:17], -v[18:19]
	scratch_load_b128 v[16:19], off, off offset:576
	v_add_f64_e32 v[154:155], v[154:155], v[160:161]
	v_add_f64_e32 v[152:153], v[164:165], v[162:163]
	v_fmac_f64_e32 v[156:157], v[6:7], v[20:21]
	v_fma_f64 v[162:163], v[4:5], v[20:21], -v[22:23]
	ds_load_b128 v[4:7], v2 offset:1104
	s_wait_loadcnt_dscnt 0xb01
	v_mul_f64_e32 v[160:161], v[142:143], v[112:113]
	v_mul_f64_e32 v[112:113], v[144:145], v[112:113]
	scratch_load_b128 v[20:23], off, off offset:592
	v_add_f64_e32 v[154:155], v[154:155], v[158:159]
	s_wait_loadcnt_dscnt 0xb00
	v_mul_f64_e32 v[158:159], v[4:5], v[116:117]
	v_add_f64_e32 v[164:165], v[152:153], v[150:151]
	v_mul_f64_e32 v[116:117], v[6:7], v[116:117]
	ds_load_b128 v[150:153], v2 offset:1120
	v_fmac_f64_e32 v[160:161], v[144:145], v[110:111]
	v_fma_f64 v[142:143], v[142:143], v[110:111], -v[112:113]
	scratch_load_b128 v[110:113], off, off offset:608
	v_add_f64_e32 v[154:155], v[154:155], v[156:157]
	v_fmac_f64_e32 v[158:159], v[6:7], v[114:115]
	v_add_f64_e32 v[144:145], v[164:165], v[162:163]
	v_fma_f64 v[162:163], v[4:5], v[114:115], -v[116:117]
	ds_load_b128 v[4:7], v2 offset:1136
	s_wait_loadcnt_dscnt 0xb01
	v_mul_f64_e32 v[156:157], v[150:151], v[120:121]
	v_mul_f64_e32 v[120:121], v[152:153], v[120:121]
	scratch_load_b128 v[114:117], off, off offset:624
	v_add_f64_e32 v[154:155], v[154:155], v[160:161]
	s_wait_loadcnt_dscnt 0xb00
	v_mul_f64_e32 v[160:161], v[4:5], v[124:125]
	v_add_f64_e32 v[164:165], v[144:145], v[142:143]
	v_mul_f64_e32 v[124:125], v[6:7], v[124:125]
	ds_load_b128 v[142:145], v2 offset:1152
	v_fmac_f64_e32 v[156:157], v[152:153], v[118:119]
	v_fma_f64 v[150:151], v[150:151], v[118:119], -v[120:121]
	scratch_load_b128 v[118:121], off, off offset:640
	v_add_f64_e32 v[154:155], v[154:155], v[158:159]
	v_fmac_f64_e32 v[160:161], v[6:7], v[122:123]
	v_add_f64_e32 v[152:153], v[164:165], v[162:163]
	v_fma_f64 v[162:163], v[4:5], v[122:123], -v[124:125]
	ds_load_b128 v[4:7], v2 offset:1168
	s_wait_loadcnt_dscnt 0xb01
	v_mul_f64_e32 v[158:159], v[142:143], v[128:129]
	v_mul_f64_e32 v[128:129], v[144:145], v[128:129]
	scratch_load_b128 v[122:125], off, off offset:656
	v_add_f64_e32 v[154:155], v[154:155], v[156:157]
	s_wait_loadcnt_dscnt 0xb00
	v_mul_f64_e32 v[156:157], v[4:5], v[136:137]
	v_add_f64_e32 v[164:165], v[152:153], v[150:151]
	v_mul_f64_e32 v[136:137], v[6:7], v[136:137]
	ds_load_b128 v[150:153], v2 offset:1184
	v_fmac_f64_e32 v[158:159], v[144:145], v[126:127]
	v_fma_f64 v[126:127], v[142:143], v[126:127], -v[128:129]
	s_wait_loadcnt_dscnt 0x900
	v_mul_f64_e32 v[144:145], v[150:151], v[148:149]
	v_mul_f64_e32 v[148:149], v[152:153], v[148:149]
	v_add_f64_e32 v[142:143], v[154:155], v[160:161]
	v_fmac_f64_e32 v[156:157], v[6:7], v[134:135]
	v_add_f64_e32 v[128:129], v[164:165], v[162:163]
	v_fma_f64 v[134:135], v[4:5], v[134:135], -v[136:137]
	v_fmac_f64_e32 v[144:145], v[152:153], v[146:147]
	v_fma_f64 v[146:147], v[150:151], v[146:147], -v[148:149]
	v_add_f64_e32 v[142:143], v[142:143], v[158:159]
	v_add_f64_e32 v[136:137], v[128:129], v[126:127]
	ds_load_b128 v[4:7], v2 offset:1200
	ds_load_b128 v[126:129], v2 offset:1216
	s_wait_loadcnt_dscnt 0x801
	v_mul_f64_e32 v[154:155], v[4:5], v[132:133]
	v_mul_f64_e32 v[132:133], v[6:7], v[132:133]
	v_add_f64_e32 v[134:135], v[136:137], v[134:135]
	v_add_f64_e32 v[136:137], v[142:143], v[156:157]
	s_wait_loadcnt_dscnt 0x700
	v_mul_f64_e32 v[142:143], v[126:127], v[10:11]
	v_mul_f64_e32 v[10:11], v[128:129], v[10:11]
	v_fmac_f64_e32 v[154:155], v[6:7], v[130:131]
	v_fma_f64 v[148:149], v[4:5], v[130:131], -v[132:133]
	ds_load_b128 v[4:7], v2 offset:1232
	ds_load_b128 v[130:133], v2 offset:1248
	v_add_f64_e32 v[134:135], v[134:135], v[146:147]
	v_add_f64_e32 v[136:137], v[136:137], v[144:145]
	v_fmac_f64_e32 v[142:143], v[128:129], v[8:9]
	v_fma_f64 v[8:9], v[126:127], v[8:9], -v[10:11]
	s_wait_loadcnt_dscnt 0x601
	v_mul_f64_e32 v[144:145], v[4:5], v[14:15]
	v_mul_f64_e32 v[14:15], v[6:7], v[14:15]
	s_wait_loadcnt_dscnt 0x500
	v_mul_f64_e32 v[128:129], v[130:131], v[18:19]
	v_mul_f64_e32 v[18:19], v[132:133], v[18:19]
	v_add_f64_e32 v[10:11], v[134:135], v[148:149]
	v_add_f64_e32 v[126:127], v[136:137], v[154:155]
	v_fmac_f64_e32 v[144:145], v[6:7], v[12:13]
	v_fma_f64 v[12:13], v[4:5], v[12:13], -v[14:15]
	v_fmac_f64_e32 v[128:129], v[132:133], v[16:17]
	v_fma_f64 v[16:17], v[130:131], v[16:17], -v[18:19]
	v_add_f64_e32 v[14:15], v[10:11], v[8:9]
	v_add_f64_e32 v[126:127], v[126:127], v[142:143]
	ds_load_b128 v[4:7], v2 offset:1264
	ds_load_b128 v[8:11], v2 offset:1280
	s_wait_loadcnt_dscnt 0x401
	v_mul_f64_e32 v[134:135], v[4:5], v[22:23]
	v_mul_f64_e32 v[22:23], v[6:7], v[22:23]
	s_wait_loadcnt_dscnt 0x300
	v_mul_f64_e32 v[18:19], v[8:9], v[112:113]
	v_mul_f64_e32 v[112:113], v[10:11], v[112:113]
	v_add_f64_e32 v[12:13], v[14:15], v[12:13]
	v_add_f64_e32 v[14:15], v[126:127], v[144:145]
	v_fmac_f64_e32 v[134:135], v[6:7], v[20:21]
	v_fma_f64 v[20:21], v[4:5], v[20:21], -v[22:23]
	v_fmac_f64_e32 v[18:19], v[10:11], v[110:111]
	v_fma_f64 v[8:9], v[8:9], v[110:111], -v[112:113]
	v_add_f64_e32 v[16:17], v[12:13], v[16:17]
	v_add_f64_e32 v[22:23], v[14:15], v[128:129]
	ds_load_b128 v[4:7], v2 offset:1296
	ds_load_b128 v[12:15], v2 offset:1312
	s_wait_loadcnt_dscnt 0x201
	v_mul_f64_e32 v[126:127], v[4:5], v[116:117]
	v_mul_f64_e32 v[116:117], v[6:7], v[116:117]
	v_add_f64_e32 v[10:11], v[16:17], v[20:21]
	v_add_f64_e32 v[16:17], v[22:23], v[134:135]
	s_wait_loadcnt_dscnt 0x100
	v_mul_f64_e32 v[20:21], v[12:13], v[120:121]
	v_mul_f64_e32 v[22:23], v[14:15], v[120:121]
	v_fmac_f64_e32 v[126:127], v[6:7], v[114:115]
	v_fma_f64 v[110:111], v[4:5], v[114:115], -v[116:117]
	ds_load_b128 v[4:7], v2 offset:1328
	v_add_f64_e32 v[8:9], v[10:11], v[8:9]
	v_add_f64_e32 v[10:11], v[16:17], v[18:19]
	v_fmac_f64_e32 v[20:21], v[14:15], v[118:119]
	v_fma_f64 v[12:13], v[12:13], v[118:119], -v[22:23]
	s_wait_loadcnt_dscnt 0x0
	v_mul_f64_e32 v[16:17], v[4:5], v[124:125]
	v_mul_f64_e32 v[18:19], v[6:7], v[124:125]
	v_add_f64_e32 v[8:9], v[8:9], v[110:111]
	v_add_f64_e32 v[10:11], v[10:11], v[126:127]
	s_delay_alu instid0(VALU_DEP_4) | instskip(NEXT) | instid1(VALU_DEP_4)
	v_fmac_f64_e32 v[16:17], v[6:7], v[122:123]
	v_fma_f64 v[4:5], v[4:5], v[122:123], -v[18:19]
	s_delay_alu instid0(VALU_DEP_4) | instskip(NEXT) | instid1(VALU_DEP_4)
	v_add_f64_e32 v[6:7], v[8:9], v[12:13]
	v_add_f64_e32 v[8:9], v[10:11], v[20:21]
	s_delay_alu instid0(VALU_DEP_2) | instskip(NEXT) | instid1(VALU_DEP_2)
	v_add_f64_e32 v[4:5], v[6:7], v[4:5]
	v_add_f64_e32 v[6:7], v[8:9], v[16:17]
	s_delay_alu instid0(VALU_DEP_2) | instskip(NEXT) | instid1(VALU_DEP_2)
	v_add_f64_e64 v[4:5], v[138:139], -v[4:5]
	v_add_f64_e64 v[6:7], v[140:141], -v[6:7]
	scratch_store_b128 off, v[4:7], off offset:320
	s_wait_xcnt 0x0
	v_cmpx_lt_u32_e32 19, v1
	s_cbranch_execz .LBB41_227
; %bb.226:
	scratch_load_b128 v[6:9], off, s33
	v_dual_mov_b32 v3, v2 :: v_dual_mov_b32 v4, v2
	v_mov_b32_e32 v5, v2
	scratch_store_b128 off, v[2:5], off offset:304
	s_wait_loadcnt 0x0
	ds_store_b128 v108, v[6:9]
.LBB41_227:
	s_wait_xcnt 0x0
	s_or_b32 exec_lo, exec_lo, s2
	s_wait_storecnt_dscnt 0x0
	s_barrier_signal -1
	s_barrier_wait -1
	s_clause 0x9
	scratch_load_b128 v[4:7], off, off offset:320
	scratch_load_b128 v[8:11], off, off offset:336
	;; [unrolled: 1-line block ×10, first 2 shown]
	ds_load_b128 v[130:133], v2 offset:992
	ds_load_b128 v[138:141], v2 offset:1008
	s_clause 0x2
	scratch_load_b128 v[134:137], off, off offset:480
	scratch_load_b128 v[142:145], off, off offset:304
	;; [unrolled: 1-line block ×3, first 2 shown]
	s_mov_b32 s2, exec_lo
	s_wait_loadcnt_dscnt 0xc01
	v_mul_f64_e32 v[150:151], v[132:133], v[6:7]
	v_mul_f64_e32 v[154:155], v[130:131], v[6:7]
	s_wait_loadcnt_dscnt 0xb00
	v_mul_f64_e32 v[156:157], v[138:139], v[10:11]
	v_mul_f64_e32 v[10:11], v[140:141], v[10:11]
	s_delay_alu instid0(VALU_DEP_4) | instskip(NEXT) | instid1(VALU_DEP_4)
	v_fma_f64 v[158:159], v[130:131], v[4:5], -v[150:151]
	v_fmac_f64_e32 v[154:155], v[132:133], v[4:5]
	ds_load_b128 v[4:7], v2 offset:1024
	ds_load_b128 v[130:133], v2 offset:1040
	scratch_load_b128 v[150:153], off, off offset:512
	v_fmac_f64_e32 v[156:157], v[140:141], v[8:9]
	v_fma_f64 v[138:139], v[138:139], v[8:9], -v[10:11]
	scratch_load_b128 v[8:11], off, off offset:528
	s_wait_loadcnt_dscnt 0xc01
	v_mul_f64_e32 v[160:161], v[4:5], v[14:15]
	v_mul_f64_e32 v[14:15], v[6:7], v[14:15]
	v_add_f64_e32 v[140:141], 0, v[158:159]
	v_add_f64_e32 v[154:155], 0, v[154:155]
	s_wait_loadcnt_dscnt 0xb00
	v_mul_f64_e32 v[158:159], v[130:131], v[18:19]
	v_mul_f64_e32 v[18:19], v[132:133], v[18:19]
	v_fmac_f64_e32 v[160:161], v[6:7], v[12:13]
	v_fma_f64 v[162:163], v[4:5], v[12:13], -v[14:15]
	ds_load_b128 v[4:7], v2 offset:1056
	ds_load_b128 v[12:15], v2 offset:1072
	v_add_f64_e32 v[164:165], v[140:141], v[138:139]
	v_add_f64_e32 v[154:155], v[154:155], v[156:157]
	scratch_load_b128 v[138:141], off, off offset:544
	v_fmac_f64_e32 v[158:159], v[132:133], v[16:17]
	v_fma_f64 v[130:131], v[130:131], v[16:17], -v[18:19]
	scratch_load_b128 v[16:19], off, off offset:560
	s_wait_loadcnt_dscnt 0xc01
	v_mul_f64_e32 v[156:157], v[4:5], v[22:23]
	v_mul_f64_e32 v[22:23], v[6:7], v[22:23]
	v_add_f64_e32 v[132:133], v[164:165], v[162:163]
	v_add_f64_e32 v[154:155], v[154:155], v[160:161]
	s_wait_loadcnt_dscnt 0xb00
	v_mul_f64_e32 v[160:161], v[12:13], v[112:113]
	v_mul_f64_e32 v[112:113], v[14:15], v[112:113]
	v_fmac_f64_e32 v[156:157], v[6:7], v[20:21]
	v_fma_f64 v[162:163], v[4:5], v[20:21], -v[22:23]
	ds_load_b128 v[4:7], v2 offset:1088
	ds_load_b128 v[20:23], v2 offset:1104
	v_add_f64_e32 v[164:165], v[132:133], v[130:131]
	v_add_f64_e32 v[154:155], v[154:155], v[158:159]
	scratch_load_b128 v[130:133], off, off offset:576
	s_wait_loadcnt_dscnt 0xb01
	v_mul_f64_e32 v[158:159], v[4:5], v[116:117]
	v_mul_f64_e32 v[116:117], v[6:7], v[116:117]
	v_fmac_f64_e32 v[160:161], v[14:15], v[110:111]
	v_fma_f64 v[110:111], v[12:13], v[110:111], -v[112:113]
	scratch_load_b128 v[12:15], off, off offset:592
	v_add_f64_e32 v[112:113], v[164:165], v[162:163]
	v_add_f64_e32 v[154:155], v[154:155], v[156:157]
	s_wait_loadcnt_dscnt 0xb00
	v_mul_f64_e32 v[156:157], v[20:21], v[120:121]
	v_mul_f64_e32 v[120:121], v[22:23], v[120:121]
	v_fmac_f64_e32 v[158:159], v[6:7], v[114:115]
	v_fma_f64 v[162:163], v[4:5], v[114:115], -v[116:117]
	v_add_f64_e32 v[164:165], v[112:113], v[110:111]
	v_add_f64_e32 v[154:155], v[154:155], v[160:161]
	ds_load_b128 v[4:7], v2 offset:1120
	ds_load_b128 v[110:113], v2 offset:1136
	scratch_load_b128 v[114:117], off, off offset:608
	v_fmac_f64_e32 v[156:157], v[22:23], v[118:119]
	v_fma_f64 v[118:119], v[20:21], v[118:119], -v[120:121]
	scratch_load_b128 v[20:23], off, off offset:624
	s_wait_loadcnt_dscnt 0xc01
	v_mul_f64_e32 v[160:161], v[4:5], v[124:125]
	v_mul_f64_e32 v[124:125], v[6:7], v[124:125]
	v_add_f64_e32 v[120:121], v[164:165], v[162:163]
	v_add_f64_e32 v[154:155], v[154:155], v[158:159]
	s_wait_loadcnt_dscnt 0xb00
	v_mul_f64_e32 v[158:159], v[110:111], v[128:129]
	v_mul_f64_e32 v[128:129], v[112:113], v[128:129]
	v_fmac_f64_e32 v[160:161], v[6:7], v[122:123]
	v_fma_f64 v[162:163], v[4:5], v[122:123], -v[124:125]
	v_add_f64_e32 v[164:165], v[120:121], v[118:119]
	v_add_f64_e32 v[154:155], v[154:155], v[156:157]
	ds_load_b128 v[4:7], v2 offset:1152
	ds_load_b128 v[118:121], v2 offset:1168
	scratch_load_b128 v[122:125], off, off offset:640
	v_fmac_f64_e32 v[158:159], v[112:113], v[126:127]
	v_fma_f64 v[126:127], v[110:111], v[126:127], -v[128:129]
	scratch_load_b128 v[110:113], off, off offset:656
	s_wait_loadcnt_dscnt 0xc01
	v_mul_f64_e32 v[156:157], v[4:5], v[136:137]
	v_mul_f64_e32 v[136:137], v[6:7], v[136:137]
	v_add_f64_e32 v[128:129], v[164:165], v[162:163]
	v_add_f64_e32 v[154:155], v[154:155], v[160:161]
	s_wait_loadcnt_dscnt 0xa00
	v_mul_f64_e32 v[160:161], v[118:119], v[148:149]
	v_mul_f64_e32 v[148:149], v[120:121], v[148:149]
	v_fmac_f64_e32 v[156:157], v[6:7], v[134:135]
	v_fma_f64 v[134:135], v[4:5], v[134:135], -v[136:137]
	v_add_f64_e32 v[136:137], v[128:129], v[126:127]
	v_add_f64_e32 v[154:155], v[154:155], v[158:159]
	ds_load_b128 v[4:7], v2 offset:1184
	ds_load_b128 v[126:129], v2 offset:1200
	v_fmac_f64_e32 v[160:161], v[120:121], v[146:147]
	v_fma_f64 v[118:119], v[118:119], v[146:147], -v[148:149]
	s_wait_loadcnt_dscnt 0x901
	v_mul_f64_e32 v[158:159], v[4:5], v[152:153]
	v_mul_f64_e32 v[152:153], v[6:7], v[152:153]
	v_add_f64_e32 v[120:121], v[136:137], v[134:135]
	v_add_f64_e32 v[134:135], v[154:155], v[156:157]
	s_wait_loadcnt_dscnt 0x800
	v_mul_f64_e32 v[136:137], v[126:127], v[10:11]
	v_mul_f64_e32 v[10:11], v[128:129], v[10:11]
	v_fmac_f64_e32 v[158:159], v[6:7], v[150:151]
	v_fma_f64 v[146:147], v[4:5], v[150:151], -v[152:153]
	v_add_f64_e32 v[148:149], v[120:121], v[118:119]
	v_add_f64_e32 v[134:135], v[134:135], v[160:161]
	ds_load_b128 v[4:7], v2 offset:1216
	ds_load_b128 v[118:121], v2 offset:1232
	v_fmac_f64_e32 v[136:137], v[128:129], v[8:9]
	v_fma_f64 v[8:9], v[126:127], v[8:9], -v[10:11]
	s_wait_loadcnt_dscnt 0x701
	v_mul_f64_e32 v[150:151], v[4:5], v[140:141]
	v_mul_f64_e32 v[140:141], v[6:7], v[140:141]
	s_wait_loadcnt_dscnt 0x600
	v_mul_f64_e32 v[128:129], v[118:119], v[18:19]
	v_mul_f64_e32 v[18:19], v[120:121], v[18:19]
	v_add_f64_e32 v[10:11], v[148:149], v[146:147]
	v_add_f64_e32 v[126:127], v[134:135], v[158:159]
	v_fmac_f64_e32 v[150:151], v[6:7], v[138:139]
	v_fma_f64 v[134:135], v[4:5], v[138:139], -v[140:141]
	v_fmac_f64_e32 v[128:129], v[120:121], v[16:17]
	v_fma_f64 v[16:17], v[118:119], v[16:17], -v[18:19]
	v_add_f64_e32 v[138:139], v[10:11], v[8:9]
	v_add_f64_e32 v[126:127], v[126:127], v[136:137]
	ds_load_b128 v[4:7], v2 offset:1248
	ds_load_b128 v[8:11], v2 offset:1264
	s_wait_loadcnt_dscnt 0x501
	v_mul_f64_e32 v[136:137], v[4:5], v[132:133]
	v_mul_f64_e32 v[132:133], v[6:7], v[132:133]
	s_wait_loadcnt_dscnt 0x400
	v_mul_f64_e32 v[120:121], v[8:9], v[14:15]
	v_add_f64_e32 v[18:19], v[138:139], v[134:135]
	v_add_f64_e32 v[118:119], v[126:127], v[150:151]
	v_mul_f64_e32 v[126:127], v[10:11], v[14:15]
	v_fmac_f64_e32 v[136:137], v[6:7], v[130:131]
	v_fma_f64 v[130:131], v[4:5], v[130:131], -v[132:133]
	v_fmac_f64_e32 v[120:121], v[10:11], v[12:13]
	v_add_f64_e32 v[18:19], v[18:19], v[16:17]
	v_add_f64_e32 v[118:119], v[118:119], v[128:129]
	ds_load_b128 v[4:7], v2 offset:1280
	ds_load_b128 v[14:17], v2 offset:1296
	v_fma_f64 v[8:9], v[8:9], v[12:13], -v[126:127]
	s_wait_loadcnt_dscnt 0x301
	v_mul_f64_e32 v[128:129], v[4:5], v[116:117]
	v_mul_f64_e32 v[116:117], v[6:7], v[116:117]
	v_add_f64_e32 v[10:11], v[18:19], v[130:131]
	v_add_f64_e32 v[12:13], v[118:119], v[136:137]
	s_wait_loadcnt_dscnt 0x200
	v_mul_f64_e32 v[18:19], v[14:15], v[22:23]
	v_mul_f64_e32 v[22:23], v[16:17], v[22:23]
	v_fmac_f64_e32 v[128:129], v[6:7], v[114:115]
	v_fma_f64 v[114:115], v[4:5], v[114:115], -v[116:117]
	v_add_f64_e32 v[116:117], v[10:11], v[8:9]
	v_add_f64_e32 v[12:13], v[12:13], v[120:121]
	ds_load_b128 v[4:7], v2 offset:1312
	ds_load_b128 v[8:11], v2 offset:1328
	v_fmac_f64_e32 v[18:19], v[16:17], v[20:21]
	v_fma_f64 v[14:15], v[14:15], v[20:21], -v[22:23]
	s_wait_loadcnt_dscnt 0x101
	v_mul_f64_e32 v[2:3], v[4:5], v[124:125]
	v_mul_f64_e32 v[118:119], v[6:7], v[124:125]
	s_wait_loadcnt_dscnt 0x0
	v_mul_f64_e32 v[20:21], v[8:9], v[112:113]
	v_mul_f64_e32 v[22:23], v[10:11], v[112:113]
	v_add_f64_e32 v[16:17], v[116:117], v[114:115]
	v_add_f64_e32 v[12:13], v[12:13], v[128:129]
	v_fmac_f64_e32 v[2:3], v[6:7], v[122:123]
	v_fma_f64 v[4:5], v[4:5], v[122:123], -v[118:119]
	v_fmac_f64_e32 v[20:21], v[10:11], v[110:111]
	v_fma_f64 v[8:9], v[8:9], v[110:111], -v[22:23]
	v_add_f64_e32 v[6:7], v[16:17], v[14:15]
	v_add_f64_e32 v[12:13], v[12:13], v[18:19]
	s_delay_alu instid0(VALU_DEP_2) | instskip(NEXT) | instid1(VALU_DEP_2)
	v_add_f64_e32 v[4:5], v[6:7], v[4:5]
	v_add_f64_e32 v[2:3], v[12:13], v[2:3]
	s_delay_alu instid0(VALU_DEP_2) | instskip(NEXT) | instid1(VALU_DEP_2)
	;; [unrolled: 3-line block ×3, first 2 shown]
	v_add_f64_e64 v[2:3], v[142:143], -v[4:5]
	v_add_f64_e64 v[4:5], v[144:145], -v[6:7]
	scratch_store_b128 off, v[2:5], off offset:304
	s_wait_xcnt 0x0
	v_cmpx_lt_u32_e32 18, v1
	s_cbranch_execz .LBB41_229
; %bb.228:
	scratch_load_b128 v[2:5], off, s30
	v_mov_b32_e32 v6, 0
	s_delay_alu instid0(VALU_DEP_1)
	v_dual_mov_b32 v7, v6 :: v_dual_mov_b32 v8, v6
	v_mov_b32_e32 v9, v6
	scratch_store_b128 off, v[6:9], off offset:288
	s_wait_loadcnt 0x0
	ds_store_b128 v108, v[2:5]
.LBB41_229:
	s_wait_xcnt 0x0
	s_or_b32 exec_lo, exec_lo, s2
	s_wait_storecnt_dscnt 0x0
	s_barrier_signal -1
	s_barrier_wait -1
	s_clause 0x9
	scratch_load_b128 v[4:7], off, off offset:304
	scratch_load_b128 v[8:11], off, off offset:320
	;; [unrolled: 1-line block ×10, first 2 shown]
	v_mov_b32_e32 v2, 0
	s_mov_b32 s2, exec_lo
	ds_load_b128 v[130:133], v2 offset:976
	s_clause 0x2
	scratch_load_b128 v[134:137], off, off offset:464
	scratch_load_b128 v[138:141], off, off offset:288
	;; [unrolled: 1-line block ×3, first 2 shown]
	s_wait_loadcnt_dscnt 0xc00
	v_mul_f64_e32 v[150:151], v[132:133], v[6:7]
	v_mul_f64_e32 v[154:155], v[130:131], v[6:7]
	ds_load_b128 v[142:145], v2 offset:992
	v_fma_f64 v[158:159], v[130:131], v[4:5], -v[150:151]
	v_fmac_f64_e32 v[154:155], v[132:133], v[4:5]
	ds_load_b128 v[4:7], v2 offset:1008
	s_wait_loadcnt_dscnt 0xb01
	v_mul_f64_e32 v[156:157], v[142:143], v[10:11]
	v_mul_f64_e32 v[10:11], v[144:145], v[10:11]
	scratch_load_b128 v[130:133], off, off offset:496
	ds_load_b128 v[150:153], v2 offset:1024
	s_wait_loadcnt_dscnt 0xb01
	v_mul_f64_e32 v[160:161], v[4:5], v[14:15]
	v_mul_f64_e32 v[14:15], v[6:7], v[14:15]
	v_add_f64_e32 v[154:155], 0, v[154:155]
	v_fmac_f64_e32 v[156:157], v[144:145], v[8:9]
	v_fma_f64 v[142:143], v[142:143], v[8:9], -v[10:11]
	v_add_f64_e32 v[144:145], 0, v[158:159]
	scratch_load_b128 v[8:11], off, off offset:512
	v_fmac_f64_e32 v[160:161], v[6:7], v[12:13]
	v_fma_f64 v[162:163], v[4:5], v[12:13], -v[14:15]
	ds_load_b128 v[4:7], v2 offset:1040
	s_wait_loadcnt_dscnt 0xb01
	v_mul_f64_e32 v[158:159], v[150:151], v[18:19]
	v_mul_f64_e32 v[18:19], v[152:153], v[18:19]
	scratch_load_b128 v[12:15], off, off offset:528
	v_add_f64_e32 v[154:155], v[154:155], v[156:157]
	v_add_f64_e32 v[164:165], v[144:145], v[142:143]
	ds_load_b128 v[142:145], v2 offset:1056
	s_wait_loadcnt_dscnt 0xb01
	v_mul_f64_e32 v[156:157], v[4:5], v[22:23]
	v_mul_f64_e32 v[22:23], v[6:7], v[22:23]
	v_fmac_f64_e32 v[158:159], v[152:153], v[16:17]
	v_fma_f64 v[150:151], v[150:151], v[16:17], -v[18:19]
	scratch_load_b128 v[16:19], off, off offset:544
	v_add_f64_e32 v[154:155], v[154:155], v[160:161]
	v_add_f64_e32 v[152:153], v[164:165], v[162:163]
	v_fmac_f64_e32 v[156:157], v[6:7], v[20:21]
	v_fma_f64 v[162:163], v[4:5], v[20:21], -v[22:23]
	ds_load_b128 v[4:7], v2 offset:1072
	s_wait_loadcnt_dscnt 0xb01
	v_mul_f64_e32 v[160:161], v[142:143], v[112:113]
	v_mul_f64_e32 v[112:113], v[144:145], v[112:113]
	scratch_load_b128 v[20:23], off, off offset:560
	v_add_f64_e32 v[154:155], v[154:155], v[158:159]
	s_wait_loadcnt_dscnt 0xb00
	v_mul_f64_e32 v[158:159], v[4:5], v[116:117]
	v_add_f64_e32 v[164:165], v[152:153], v[150:151]
	v_mul_f64_e32 v[116:117], v[6:7], v[116:117]
	ds_load_b128 v[150:153], v2 offset:1088
	v_fmac_f64_e32 v[160:161], v[144:145], v[110:111]
	v_fma_f64 v[142:143], v[142:143], v[110:111], -v[112:113]
	scratch_load_b128 v[110:113], off, off offset:576
	v_add_f64_e32 v[154:155], v[154:155], v[156:157]
	v_fmac_f64_e32 v[158:159], v[6:7], v[114:115]
	v_add_f64_e32 v[144:145], v[164:165], v[162:163]
	v_fma_f64 v[162:163], v[4:5], v[114:115], -v[116:117]
	ds_load_b128 v[4:7], v2 offset:1104
	s_wait_loadcnt_dscnt 0xb01
	v_mul_f64_e32 v[156:157], v[150:151], v[120:121]
	v_mul_f64_e32 v[120:121], v[152:153], v[120:121]
	scratch_load_b128 v[114:117], off, off offset:592
	v_add_f64_e32 v[154:155], v[154:155], v[160:161]
	s_wait_loadcnt_dscnt 0xb00
	v_mul_f64_e32 v[160:161], v[4:5], v[124:125]
	v_add_f64_e32 v[164:165], v[144:145], v[142:143]
	v_mul_f64_e32 v[124:125], v[6:7], v[124:125]
	ds_load_b128 v[142:145], v2 offset:1120
	v_fmac_f64_e32 v[156:157], v[152:153], v[118:119]
	v_fma_f64 v[150:151], v[150:151], v[118:119], -v[120:121]
	scratch_load_b128 v[118:121], off, off offset:608
	v_add_f64_e32 v[154:155], v[154:155], v[158:159]
	v_fmac_f64_e32 v[160:161], v[6:7], v[122:123]
	v_add_f64_e32 v[152:153], v[164:165], v[162:163]
	;; [unrolled: 18-line block ×3, first 2 shown]
	v_fma_f64 v[162:163], v[4:5], v[134:135], -v[136:137]
	ds_load_b128 v[4:7], v2 offset:1168
	s_wait_loadcnt_dscnt 0xa01
	v_mul_f64_e32 v[160:161], v[150:151], v[148:149]
	v_mul_f64_e32 v[148:149], v[152:153], v[148:149]
	scratch_load_b128 v[134:137], off, off offset:656
	v_add_f64_e32 v[154:155], v[154:155], v[158:159]
	v_add_f64_e32 v[164:165], v[144:145], v[142:143]
	s_wait_loadcnt_dscnt 0xa00
	v_mul_f64_e32 v[158:159], v[4:5], v[132:133]
	v_mul_f64_e32 v[132:133], v[6:7], v[132:133]
	v_fmac_f64_e32 v[160:161], v[152:153], v[146:147]
	v_fma_f64 v[146:147], v[150:151], v[146:147], -v[148:149]
	ds_load_b128 v[142:145], v2 offset:1184
	v_add_f64_e32 v[150:151], v[154:155], v[156:157]
	v_add_f64_e32 v[148:149], v[164:165], v[162:163]
	s_wait_loadcnt_dscnt 0x900
	v_mul_f64_e32 v[152:153], v[142:143], v[10:11]
	v_mul_f64_e32 v[10:11], v[144:145], v[10:11]
	v_fmac_f64_e32 v[158:159], v[6:7], v[130:131]
	v_fma_f64 v[154:155], v[4:5], v[130:131], -v[132:133]
	ds_load_b128 v[4:7], v2 offset:1200
	ds_load_b128 v[130:133], v2 offset:1216
	v_add_f64_e32 v[146:147], v[148:149], v[146:147]
	v_add_f64_e32 v[148:149], v[150:151], v[160:161]
	s_wait_loadcnt_dscnt 0x801
	v_mul_f64_e32 v[150:151], v[4:5], v[14:15]
	v_mul_f64_e32 v[14:15], v[6:7], v[14:15]
	v_fmac_f64_e32 v[152:153], v[144:145], v[8:9]
	v_fma_f64 v[8:9], v[142:143], v[8:9], -v[10:11]
	s_wait_loadcnt_dscnt 0x700
	v_mul_f64_e32 v[144:145], v[130:131], v[18:19]
	v_mul_f64_e32 v[18:19], v[132:133], v[18:19]
	v_add_f64_e32 v[10:11], v[146:147], v[154:155]
	v_add_f64_e32 v[142:143], v[148:149], v[158:159]
	v_fmac_f64_e32 v[150:151], v[6:7], v[12:13]
	v_fma_f64 v[12:13], v[4:5], v[12:13], -v[14:15]
	v_fmac_f64_e32 v[144:145], v[132:133], v[16:17]
	v_fma_f64 v[16:17], v[130:131], v[16:17], -v[18:19]
	v_add_f64_e32 v[14:15], v[10:11], v[8:9]
	v_add_f64_e32 v[142:143], v[142:143], v[152:153]
	ds_load_b128 v[4:7], v2 offset:1232
	ds_load_b128 v[8:11], v2 offset:1248
	s_wait_loadcnt_dscnt 0x601
	v_mul_f64_e32 v[146:147], v[4:5], v[22:23]
	v_mul_f64_e32 v[22:23], v[6:7], v[22:23]
	s_wait_loadcnt_dscnt 0x500
	v_mul_f64_e32 v[18:19], v[8:9], v[112:113]
	v_mul_f64_e32 v[112:113], v[10:11], v[112:113]
	v_add_f64_e32 v[12:13], v[14:15], v[12:13]
	v_add_f64_e32 v[14:15], v[142:143], v[150:151]
	v_fmac_f64_e32 v[146:147], v[6:7], v[20:21]
	v_fma_f64 v[20:21], v[4:5], v[20:21], -v[22:23]
	v_fmac_f64_e32 v[18:19], v[10:11], v[110:111]
	v_fma_f64 v[8:9], v[8:9], v[110:111], -v[112:113]
	v_add_f64_e32 v[16:17], v[12:13], v[16:17]
	v_add_f64_e32 v[22:23], v[14:15], v[144:145]
	ds_load_b128 v[4:7], v2 offset:1264
	ds_load_b128 v[12:15], v2 offset:1280
	s_wait_loadcnt_dscnt 0x401
	v_mul_f64_e32 v[130:131], v[4:5], v[116:117]
	v_mul_f64_e32 v[116:117], v[6:7], v[116:117]
	v_add_f64_e32 v[10:11], v[16:17], v[20:21]
	v_add_f64_e32 v[16:17], v[22:23], v[146:147]
	s_wait_loadcnt_dscnt 0x300
	v_mul_f64_e32 v[20:21], v[12:13], v[120:121]
	v_mul_f64_e32 v[22:23], v[14:15], v[120:121]
	v_fmac_f64_e32 v[130:131], v[6:7], v[114:115]
	v_fma_f64 v[110:111], v[4:5], v[114:115], -v[116:117]
	v_add_f64_e32 v[112:113], v[10:11], v[8:9]
	v_add_f64_e32 v[16:17], v[16:17], v[18:19]
	ds_load_b128 v[4:7], v2 offset:1296
	ds_load_b128 v[8:11], v2 offset:1312
	v_fmac_f64_e32 v[20:21], v[14:15], v[118:119]
	v_fma_f64 v[12:13], v[12:13], v[118:119], -v[22:23]
	s_wait_loadcnt_dscnt 0x201
	v_mul_f64_e32 v[18:19], v[4:5], v[124:125]
	v_mul_f64_e32 v[114:115], v[6:7], v[124:125]
	s_wait_loadcnt_dscnt 0x100
	v_mul_f64_e32 v[22:23], v[8:9], v[128:129]
	v_add_f64_e32 v[14:15], v[112:113], v[110:111]
	v_add_f64_e32 v[16:17], v[16:17], v[130:131]
	v_mul_f64_e32 v[110:111], v[10:11], v[128:129]
	v_fmac_f64_e32 v[18:19], v[6:7], v[122:123]
	v_fma_f64 v[112:113], v[4:5], v[122:123], -v[114:115]
	ds_load_b128 v[4:7], v2 offset:1328
	v_fmac_f64_e32 v[22:23], v[10:11], v[126:127]
	v_add_f64_e32 v[12:13], v[14:15], v[12:13]
	v_add_f64_e32 v[14:15], v[16:17], v[20:21]
	v_fma_f64 v[8:9], v[8:9], v[126:127], -v[110:111]
	s_wait_loadcnt_dscnt 0x0
	v_mul_f64_e32 v[16:17], v[4:5], v[136:137]
	v_mul_f64_e32 v[20:21], v[6:7], v[136:137]
	v_add_f64_e32 v[10:11], v[12:13], v[112:113]
	v_add_f64_e32 v[12:13], v[14:15], v[18:19]
	s_delay_alu instid0(VALU_DEP_4) | instskip(NEXT) | instid1(VALU_DEP_4)
	v_fmac_f64_e32 v[16:17], v[6:7], v[134:135]
	v_fma_f64 v[4:5], v[4:5], v[134:135], -v[20:21]
	s_delay_alu instid0(VALU_DEP_4) | instskip(NEXT) | instid1(VALU_DEP_4)
	v_add_f64_e32 v[6:7], v[10:11], v[8:9]
	v_add_f64_e32 v[8:9], v[12:13], v[22:23]
	s_delay_alu instid0(VALU_DEP_2) | instskip(NEXT) | instid1(VALU_DEP_2)
	v_add_f64_e32 v[4:5], v[6:7], v[4:5]
	v_add_f64_e32 v[6:7], v[8:9], v[16:17]
	s_delay_alu instid0(VALU_DEP_2) | instskip(NEXT) | instid1(VALU_DEP_2)
	v_add_f64_e64 v[4:5], v[138:139], -v[4:5]
	v_add_f64_e64 v[6:7], v[140:141], -v[6:7]
	scratch_store_b128 off, v[4:7], off offset:288
	s_wait_xcnt 0x0
	v_cmpx_lt_u32_e32 17, v1
	s_cbranch_execz .LBB41_231
; %bb.230:
	scratch_load_b128 v[6:9], off, s26
	v_dual_mov_b32 v3, v2 :: v_dual_mov_b32 v4, v2
	v_mov_b32_e32 v5, v2
	scratch_store_b128 off, v[2:5], off offset:272
	s_wait_loadcnt 0x0
	ds_store_b128 v108, v[6:9]
.LBB41_231:
	s_wait_xcnt 0x0
	s_or_b32 exec_lo, exec_lo, s2
	s_wait_storecnt_dscnt 0x0
	s_barrier_signal -1
	s_barrier_wait -1
	s_clause 0x9
	scratch_load_b128 v[4:7], off, off offset:288
	scratch_load_b128 v[8:11], off, off offset:304
	;; [unrolled: 1-line block ×10, first 2 shown]
	ds_load_b128 v[130:133], v2 offset:960
	ds_load_b128 v[138:141], v2 offset:976
	s_clause 0x2
	scratch_load_b128 v[134:137], off, off offset:448
	scratch_load_b128 v[142:145], off, off offset:272
	;; [unrolled: 1-line block ×3, first 2 shown]
	s_mov_b32 s2, exec_lo
	s_wait_loadcnt_dscnt 0xc01
	v_mul_f64_e32 v[150:151], v[132:133], v[6:7]
	v_mul_f64_e32 v[154:155], v[130:131], v[6:7]
	s_wait_loadcnt_dscnt 0xb00
	v_mul_f64_e32 v[156:157], v[138:139], v[10:11]
	v_mul_f64_e32 v[10:11], v[140:141], v[10:11]
	s_delay_alu instid0(VALU_DEP_4) | instskip(NEXT) | instid1(VALU_DEP_4)
	v_fma_f64 v[158:159], v[130:131], v[4:5], -v[150:151]
	v_fmac_f64_e32 v[154:155], v[132:133], v[4:5]
	ds_load_b128 v[4:7], v2 offset:992
	ds_load_b128 v[130:133], v2 offset:1008
	scratch_load_b128 v[150:153], off, off offset:480
	v_fmac_f64_e32 v[156:157], v[140:141], v[8:9]
	v_fma_f64 v[138:139], v[138:139], v[8:9], -v[10:11]
	scratch_load_b128 v[8:11], off, off offset:496
	s_wait_loadcnt_dscnt 0xc01
	v_mul_f64_e32 v[160:161], v[4:5], v[14:15]
	v_mul_f64_e32 v[14:15], v[6:7], v[14:15]
	v_add_f64_e32 v[140:141], 0, v[158:159]
	v_add_f64_e32 v[154:155], 0, v[154:155]
	s_wait_loadcnt_dscnt 0xb00
	v_mul_f64_e32 v[158:159], v[130:131], v[18:19]
	v_mul_f64_e32 v[18:19], v[132:133], v[18:19]
	v_fmac_f64_e32 v[160:161], v[6:7], v[12:13]
	v_fma_f64 v[162:163], v[4:5], v[12:13], -v[14:15]
	ds_load_b128 v[4:7], v2 offset:1024
	ds_load_b128 v[12:15], v2 offset:1040
	v_add_f64_e32 v[164:165], v[140:141], v[138:139]
	v_add_f64_e32 v[154:155], v[154:155], v[156:157]
	scratch_load_b128 v[138:141], off, off offset:512
	v_fmac_f64_e32 v[158:159], v[132:133], v[16:17]
	v_fma_f64 v[130:131], v[130:131], v[16:17], -v[18:19]
	scratch_load_b128 v[16:19], off, off offset:528
	s_wait_loadcnt_dscnt 0xc01
	v_mul_f64_e32 v[156:157], v[4:5], v[22:23]
	v_mul_f64_e32 v[22:23], v[6:7], v[22:23]
	v_add_f64_e32 v[132:133], v[164:165], v[162:163]
	v_add_f64_e32 v[154:155], v[154:155], v[160:161]
	s_wait_loadcnt_dscnt 0xb00
	v_mul_f64_e32 v[160:161], v[12:13], v[112:113]
	v_mul_f64_e32 v[112:113], v[14:15], v[112:113]
	v_fmac_f64_e32 v[156:157], v[6:7], v[20:21]
	v_fma_f64 v[162:163], v[4:5], v[20:21], -v[22:23]
	ds_load_b128 v[4:7], v2 offset:1056
	ds_load_b128 v[20:23], v2 offset:1072
	v_add_f64_e32 v[164:165], v[132:133], v[130:131]
	v_add_f64_e32 v[154:155], v[154:155], v[158:159]
	scratch_load_b128 v[130:133], off, off offset:544
	s_wait_loadcnt_dscnt 0xb01
	v_mul_f64_e32 v[158:159], v[4:5], v[116:117]
	v_mul_f64_e32 v[116:117], v[6:7], v[116:117]
	v_fmac_f64_e32 v[160:161], v[14:15], v[110:111]
	v_fma_f64 v[110:111], v[12:13], v[110:111], -v[112:113]
	scratch_load_b128 v[12:15], off, off offset:560
	v_add_f64_e32 v[112:113], v[164:165], v[162:163]
	v_add_f64_e32 v[154:155], v[154:155], v[156:157]
	s_wait_loadcnt_dscnt 0xb00
	v_mul_f64_e32 v[156:157], v[20:21], v[120:121]
	v_mul_f64_e32 v[120:121], v[22:23], v[120:121]
	v_fmac_f64_e32 v[158:159], v[6:7], v[114:115]
	v_fma_f64 v[162:163], v[4:5], v[114:115], -v[116:117]
	v_add_f64_e32 v[164:165], v[112:113], v[110:111]
	v_add_f64_e32 v[154:155], v[154:155], v[160:161]
	ds_load_b128 v[4:7], v2 offset:1088
	ds_load_b128 v[110:113], v2 offset:1104
	scratch_load_b128 v[114:117], off, off offset:576
	v_fmac_f64_e32 v[156:157], v[22:23], v[118:119]
	v_fma_f64 v[118:119], v[20:21], v[118:119], -v[120:121]
	scratch_load_b128 v[20:23], off, off offset:592
	s_wait_loadcnt_dscnt 0xc01
	v_mul_f64_e32 v[160:161], v[4:5], v[124:125]
	v_mul_f64_e32 v[124:125], v[6:7], v[124:125]
	v_add_f64_e32 v[120:121], v[164:165], v[162:163]
	v_add_f64_e32 v[154:155], v[154:155], v[158:159]
	s_wait_loadcnt_dscnt 0xb00
	v_mul_f64_e32 v[158:159], v[110:111], v[128:129]
	v_mul_f64_e32 v[128:129], v[112:113], v[128:129]
	v_fmac_f64_e32 v[160:161], v[6:7], v[122:123]
	v_fma_f64 v[162:163], v[4:5], v[122:123], -v[124:125]
	v_add_f64_e32 v[164:165], v[120:121], v[118:119]
	v_add_f64_e32 v[154:155], v[154:155], v[156:157]
	ds_load_b128 v[4:7], v2 offset:1120
	ds_load_b128 v[118:121], v2 offset:1136
	scratch_load_b128 v[122:125], off, off offset:608
	v_fmac_f64_e32 v[158:159], v[112:113], v[126:127]
	v_fma_f64 v[126:127], v[110:111], v[126:127], -v[128:129]
	scratch_load_b128 v[110:113], off, off offset:624
	s_wait_loadcnt_dscnt 0xc01
	v_mul_f64_e32 v[156:157], v[4:5], v[136:137]
	v_mul_f64_e32 v[136:137], v[6:7], v[136:137]
	v_add_f64_e32 v[128:129], v[164:165], v[162:163]
	v_add_f64_e32 v[154:155], v[154:155], v[160:161]
	s_wait_loadcnt_dscnt 0xa00
	v_mul_f64_e32 v[160:161], v[118:119], v[148:149]
	v_mul_f64_e32 v[148:149], v[120:121], v[148:149]
	v_fmac_f64_e32 v[156:157], v[6:7], v[134:135]
	v_fma_f64 v[162:163], v[4:5], v[134:135], -v[136:137]
	v_add_f64_e32 v[164:165], v[128:129], v[126:127]
	v_add_f64_e32 v[154:155], v[154:155], v[158:159]
	ds_load_b128 v[4:7], v2 offset:1152
	ds_load_b128 v[126:129], v2 offset:1168
	scratch_load_b128 v[134:137], off, off offset:640
	v_fmac_f64_e32 v[160:161], v[120:121], v[146:147]
	v_fma_f64 v[146:147], v[118:119], v[146:147], -v[148:149]
	scratch_load_b128 v[118:121], off, off offset:656
	s_wait_loadcnt_dscnt 0xb01
	v_mul_f64_e32 v[158:159], v[4:5], v[152:153]
	v_mul_f64_e32 v[152:153], v[6:7], v[152:153]
	v_add_f64_e32 v[148:149], v[164:165], v[162:163]
	v_add_f64_e32 v[154:155], v[154:155], v[156:157]
	s_wait_loadcnt_dscnt 0xa00
	v_mul_f64_e32 v[156:157], v[126:127], v[10:11]
	v_mul_f64_e32 v[10:11], v[128:129], v[10:11]
	v_fmac_f64_e32 v[158:159], v[6:7], v[150:151]
	v_fma_f64 v[150:151], v[4:5], v[150:151], -v[152:153]
	v_add_f64_e32 v[152:153], v[148:149], v[146:147]
	v_add_f64_e32 v[154:155], v[154:155], v[160:161]
	ds_load_b128 v[4:7], v2 offset:1184
	ds_load_b128 v[146:149], v2 offset:1200
	v_fmac_f64_e32 v[156:157], v[128:129], v[8:9]
	v_fma_f64 v[8:9], v[126:127], v[8:9], -v[10:11]
	s_wait_loadcnt_dscnt 0x901
	v_mul_f64_e32 v[160:161], v[4:5], v[140:141]
	v_mul_f64_e32 v[140:141], v[6:7], v[140:141]
	s_wait_loadcnt_dscnt 0x800
	v_mul_f64_e32 v[128:129], v[146:147], v[18:19]
	v_mul_f64_e32 v[18:19], v[148:149], v[18:19]
	v_add_f64_e32 v[10:11], v[152:153], v[150:151]
	v_add_f64_e32 v[126:127], v[154:155], v[158:159]
	v_fmac_f64_e32 v[160:161], v[6:7], v[138:139]
	v_fma_f64 v[138:139], v[4:5], v[138:139], -v[140:141]
	v_fmac_f64_e32 v[128:129], v[148:149], v[16:17]
	v_fma_f64 v[16:17], v[146:147], v[16:17], -v[18:19]
	v_add_f64_e32 v[140:141], v[10:11], v[8:9]
	v_add_f64_e32 v[126:127], v[126:127], v[156:157]
	ds_load_b128 v[4:7], v2 offset:1216
	ds_load_b128 v[8:11], v2 offset:1232
	s_wait_loadcnt_dscnt 0x701
	v_mul_f64_e32 v[150:151], v[4:5], v[132:133]
	v_mul_f64_e32 v[132:133], v[6:7], v[132:133]
	v_add_f64_e32 v[18:19], v[140:141], v[138:139]
	v_add_f64_e32 v[126:127], v[126:127], v[160:161]
	s_wait_loadcnt_dscnt 0x600
	v_mul_f64_e32 v[138:139], v[8:9], v[14:15]
	v_mul_f64_e32 v[140:141], v[10:11], v[14:15]
	v_fmac_f64_e32 v[150:151], v[6:7], v[130:131]
	v_fma_f64 v[130:131], v[4:5], v[130:131], -v[132:133]
	v_add_f64_e32 v[18:19], v[18:19], v[16:17]
	v_add_f64_e32 v[126:127], v[126:127], v[128:129]
	ds_load_b128 v[4:7], v2 offset:1248
	ds_load_b128 v[14:17], v2 offset:1264
	v_fmac_f64_e32 v[138:139], v[10:11], v[12:13]
	v_fma_f64 v[8:9], v[8:9], v[12:13], -v[140:141]
	s_wait_loadcnt_dscnt 0x501
	v_mul_f64_e32 v[128:129], v[4:5], v[116:117]
	v_mul_f64_e32 v[116:117], v[6:7], v[116:117]
	v_add_f64_e32 v[10:11], v[18:19], v[130:131]
	v_add_f64_e32 v[12:13], v[126:127], v[150:151]
	s_wait_loadcnt_dscnt 0x400
	v_mul_f64_e32 v[18:19], v[14:15], v[22:23]
	v_mul_f64_e32 v[22:23], v[16:17], v[22:23]
	v_fmac_f64_e32 v[128:129], v[6:7], v[114:115]
	v_fma_f64 v[114:115], v[4:5], v[114:115], -v[116:117]
	v_add_f64_e32 v[116:117], v[10:11], v[8:9]
	v_add_f64_e32 v[12:13], v[12:13], v[138:139]
	ds_load_b128 v[4:7], v2 offset:1280
	ds_load_b128 v[8:11], v2 offset:1296
	v_fmac_f64_e32 v[18:19], v[16:17], v[20:21]
	v_fma_f64 v[14:15], v[14:15], v[20:21], -v[22:23]
	s_wait_loadcnt_dscnt 0x301
	v_mul_f64_e32 v[126:127], v[4:5], v[124:125]
	v_mul_f64_e32 v[124:125], v[6:7], v[124:125]
	s_wait_loadcnt_dscnt 0x200
	v_mul_f64_e32 v[20:21], v[8:9], v[112:113]
	v_mul_f64_e32 v[22:23], v[10:11], v[112:113]
	v_add_f64_e32 v[16:17], v[116:117], v[114:115]
	v_add_f64_e32 v[12:13], v[12:13], v[128:129]
	v_fmac_f64_e32 v[126:127], v[6:7], v[122:123]
	v_fma_f64 v[112:113], v[4:5], v[122:123], -v[124:125]
	v_fmac_f64_e32 v[20:21], v[10:11], v[110:111]
	v_fma_f64 v[8:9], v[8:9], v[110:111], -v[22:23]
	v_add_f64_e32 v[16:17], v[16:17], v[14:15]
	v_add_f64_e32 v[18:19], v[12:13], v[18:19]
	ds_load_b128 v[4:7], v2 offset:1312
	ds_load_b128 v[12:15], v2 offset:1328
	s_wait_loadcnt_dscnt 0x101
	v_mul_f64_e32 v[2:3], v[4:5], v[136:137]
	v_mul_f64_e32 v[114:115], v[6:7], v[136:137]
	s_wait_loadcnt_dscnt 0x0
	v_mul_f64_e32 v[22:23], v[14:15], v[120:121]
	v_add_f64_e32 v[10:11], v[16:17], v[112:113]
	v_add_f64_e32 v[16:17], v[18:19], v[126:127]
	v_mul_f64_e32 v[18:19], v[12:13], v[120:121]
	v_fmac_f64_e32 v[2:3], v[6:7], v[134:135]
	v_fma_f64 v[4:5], v[4:5], v[134:135], -v[114:115]
	v_add_f64_e32 v[6:7], v[10:11], v[8:9]
	v_add_f64_e32 v[8:9], v[16:17], v[20:21]
	v_fmac_f64_e32 v[18:19], v[14:15], v[118:119]
	v_fma_f64 v[10:11], v[12:13], v[118:119], -v[22:23]
	s_delay_alu instid0(VALU_DEP_4) | instskip(NEXT) | instid1(VALU_DEP_4)
	v_add_f64_e32 v[4:5], v[6:7], v[4:5]
	v_add_f64_e32 v[2:3], v[8:9], v[2:3]
	s_delay_alu instid0(VALU_DEP_2) | instskip(NEXT) | instid1(VALU_DEP_2)
	v_add_f64_e32 v[4:5], v[4:5], v[10:11]
	v_add_f64_e32 v[6:7], v[2:3], v[18:19]
	s_delay_alu instid0(VALU_DEP_2) | instskip(NEXT) | instid1(VALU_DEP_2)
	v_add_f64_e64 v[2:3], v[142:143], -v[4:5]
	v_add_f64_e64 v[4:5], v[144:145], -v[6:7]
	scratch_store_b128 off, v[2:5], off offset:272
	s_wait_xcnt 0x0
	v_cmpx_lt_u32_e32 16, v1
	s_cbranch_execz .LBB41_233
; %bb.232:
	scratch_load_b128 v[2:5], off, s20
	v_mov_b32_e32 v6, 0
	s_delay_alu instid0(VALU_DEP_1)
	v_dual_mov_b32 v7, v6 :: v_dual_mov_b32 v8, v6
	v_mov_b32_e32 v9, v6
	scratch_store_b128 off, v[6:9], off offset:256
	s_wait_loadcnt 0x0
	ds_store_b128 v108, v[2:5]
.LBB41_233:
	s_wait_xcnt 0x0
	s_or_b32 exec_lo, exec_lo, s2
	s_wait_storecnt_dscnt 0x0
	s_barrier_signal -1
	s_barrier_wait -1
	s_clause 0x9
	scratch_load_b128 v[4:7], off, off offset:272
	scratch_load_b128 v[8:11], off, off offset:288
	scratch_load_b128 v[12:15], off, off offset:304
	scratch_load_b128 v[16:19], off, off offset:320
	scratch_load_b128 v[20:23], off, off offset:336
	scratch_load_b128 v[110:113], off, off offset:352
	scratch_load_b128 v[114:117], off, off offset:368
	scratch_load_b128 v[118:121], off, off offset:384
	scratch_load_b128 v[122:125], off, off offset:400
	scratch_load_b128 v[126:129], off, off offset:416
	v_mov_b32_e32 v2, 0
	s_mov_b32 s2, exec_lo
	ds_load_b128 v[130:133], v2 offset:944
	s_clause 0x2
	scratch_load_b128 v[134:137], off, off offset:432
	scratch_load_b128 v[138:141], off, off offset:256
	;; [unrolled: 1-line block ×3, first 2 shown]
	s_wait_loadcnt_dscnt 0xc00
	v_mul_f64_e32 v[150:151], v[132:133], v[6:7]
	v_mul_f64_e32 v[154:155], v[130:131], v[6:7]
	ds_load_b128 v[142:145], v2 offset:960
	v_fma_f64 v[158:159], v[130:131], v[4:5], -v[150:151]
	v_fmac_f64_e32 v[154:155], v[132:133], v[4:5]
	ds_load_b128 v[4:7], v2 offset:976
	s_wait_loadcnt_dscnt 0xb01
	v_mul_f64_e32 v[156:157], v[142:143], v[10:11]
	v_mul_f64_e32 v[10:11], v[144:145], v[10:11]
	scratch_load_b128 v[130:133], off, off offset:464
	ds_load_b128 v[150:153], v2 offset:992
	s_wait_loadcnt_dscnt 0xb01
	v_mul_f64_e32 v[160:161], v[4:5], v[14:15]
	v_mul_f64_e32 v[14:15], v[6:7], v[14:15]
	v_add_f64_e32 v[154:155], 0, v[154:155]
	v_fmac_f64_e32 v[156:157], v[144:145], v[8:9]
	v_fma_f64 v[142:143], v[142:143], v[8:9], -v[10:11]
	v_add_f64_e32 v[144:145], 0, v[158:159]
	scratch_load_b128 v[8:11], off, off offset:480
	v_fmac_f64_e32 v[160:161], v[6:7], v[12:13]
	v_fma_f64 v[162:163], v[4:5], v[12:13], -v[14:15]
	ds_load_b128 v[4:7], v2 offset:1008
	s_wait_loadcnt_dscnt 0xb01
	v_mul_f64_e32 v[158:159], v[150:151], v[18:19]
	v_mul_f64_e32 v[18:19], v[152:153], v[18:19]
	scratch_load_b128 v[12:15], off, off offset:496
	v_add_f64_e32 v[154:155], v[154:155], v[156:157]
	v_add_f64_e32 v[164:165], v[144:145], v[142:143]
	ds_load_b128 v[142:145], v2 offset:1024
	s_wait_loadcnt_dscnt 0xb01
	v_mul_f64_e32 v[156:157], v[4:5], v[22:23]
	v_mul_f64_e32 v[22:23], v[6:7], v[22:23]
	v_fmac_f64_e32 v[158:159], v[152:153], v[16:17]
	v_fma_f64 v[150:151], v[150:151], v[16:17], -v[18:19]
	scratch_load_b128 v[16:19], off, off offset:512
	v_add_f64_e32 v[154:155], v[154:155], v[160:161]
	v_add_f64_e32 v[152:153], v[164:165], v[162:163]
	v_fmac_f64_e32 v[156:157], v[6:7], v[20:21]
	v_fma_f64 v[162:163], v[4:5], v[20:21], -v[22:23]
	ds_load_b128 v[4:7], v2 offset:1040
	s_wait_loadcnt_dscnt 0xb01
	v_mul_f64_e32 v[160:161], v[142:143], v[112:113]
	v_mul_f64_e32 v[112:113], v[144:145], v[112:113]
	scratch_load_b128 v[20:23], off, off offset:528
	v_add_f64_e32 v[154:155], v[154:155], v[158:159]
	s_wait_loadcnt_dscnt 0xb00
	v_mul_f64_e32 v[158:159], v[4:5], v[116:117]
	v_add_f64_e32 v[164:165], v[152:153], v[150:151]
	v_mul_f64_e32 v[116:117], v[6:7], v[116:117]
	ds_load_b128 v[150:153], v2 offset:1056
	v_fmac_f64_e32 v[160:161], v[144:145], v[110:111]
	v_fma_f64 v[142:143], v[142:143], v[110:111], -v[112:113]
	scratch_load_b128 v[110:113], off, off offset:544
	v_add_f64_e32 v[154:155], v[154:155], v[156:157]
	v_fmac_f64_e32 v[158:159], v[6:7], v[114:115]
	v_add_f64_e32 v[144:145], v[164:165], v[162:163]
	v_fma_f64 v[162:163], v[4:5], v[114:115], -v[116:117]
	ds_load_b128 v[4:7], v2 offset:1072
	s_wait_loadcnt_dscnt 0xb01
	v_mul_f64_e32 v[156:157], v[150:151], v[120:121]
	v_mul_f64_e32 v[120:121], v[152:153], v[120:121]
	scratch_load_b128 v[114:117], off, off offset:560
	v_add_f64_e32 v[154:155], v[154:155], v[160:161]
	s_wait_loadcnt_dscnt 0xb00
	v_mul_f64_e32 v[160:161], v[4:5], v[124:125]
	v_add_f64_e32 v[164:165], v[144:145], v[142:143]
	v_mul_f64_e32 v[124:125], v[6:7], v[124:125]
	ds_load_b128 v[142:145], v2 offset:1088
	v_fmac_f64_e32 v[156:157], v[152:153], v[118:119]
	v_fma_f64 v[150:151], v[150:151], v[118:119], -v[120:121]
	scratch_load_b128 v[118:121], off, off offset:576
	v_add_f64_e32 v[154:155], v[154:155], v[158:159]
	v_fmac_f64_e32 v[160:161], v[6:7], v[122:123]
	v_add_f64_e32 v[152:153], v[164:165], v[162:163]
	;; [unrolled: 18-line block ×3, first 2 shown]
	v_fma_f64 v[162:163], v[4:5], v[134:135], -v[136:137]
	ds_load_b128 v[4:7], v2 offset:1136
	s_wait_loadcnt_dscnt 0xa01
	v_mul_f64_e32 v[160:161], v[150:151], v[148:149]
	v_mul_f64_e32 v[148:149], v[152:153], v[148:149]
	scratch_load_b128 v[134:137], off, off offset:624
	v_add_f64_e32 v[154:155], v[154:155], v[158:159]
	v_add_f64_e32 v[164:165], v[144:145], v[142:143]
	s_wait_loadcnt_dscnt 0xa00
	v_mul_f64_e32 v[158:159], v[4:5], v[132:133]
	v_mul_f64_e32 v[132:133], v[6:7], v[132:133]
	v_fmac_f64_e32 v[160:161], v[152:153], v[146:147]
	v_fma_f64 v[150:151], v[150:151], v[146:147], -v[148:149]
	ds_load_b128 v[142:145], v2 offset:1152
	scratch_load_b128 v[146:149], off, off offset:640
	v_add_f64_e32 v[154:155], v[154:155], v[156:157]
	v_add_f64_e32 v[152:153], v[164:165], v[162:163]
	v_fmac_f64_e32 v[158:159], v[6:7], v[130:131]
	v_fma_f64 v[162:163], v[4:5], v[130:131], -v[132:133]
	ds_load_b128 v[4:7], v2 offset:1168
	s_wait_loadcnt_dscnt 0xa01
	v_mul_f64_e32 v[156:157], v[142:143], v[10:11]
	v_mul_f64_e32 v[10:11], v[144:145], v[10:11]
	scratch_load_b128 v[130:133], off, off offset:656
	v_add_f64_e32 v[154:155], v[154:155], v[160:161]
	s_wait_loadcnt_dscnt 0xa00
	v_mul_f64_e32 v[160:161], v[4:5], v[14:15]
	v_add_f64_e32 v[164:165], v[152:153], v[150:151]
	v_mul_f64_e32 v[14:15], v[6:7], v[14:15]
	ds_load_b128 v[150:153], v2 offset:1184
	v_fmac_f64_e32 v[156:157], v[144:145], v[8:9]
	v_fma_f64 v[8:9], v[142:143], v[8:9], -v[10:11]
	s_wait_loadcnt_dscnt 0x900
	v_mul_f64_e32 v[144:145], v[150:151], v[18:19]
	v_mul_f64_e32 v[18:19], v[152:153], v[18:19]
	v_add_f64_e32 v[142:143], v[154:155], v[158:159]
	v_fmac_f64_e32 v[160:161], v[6:7], v[12:13]
	v_add_f64_e32 v[10:11], v[164:165], v[162:163]
	v_fma_f64 v[12:13], v[4:5], v[12:13], -v[14:15]
	v_fmac_f64_e32 v[144:145], v[152:153], v[16:17]
	v_fma_f64 v[16:17], v[150:151], v[16:17], -v[18:19]
	v_add_f64_e32 v[142:143], v[142:143], v[156:157]
	v_add_f64_e32 v[14:15], v[10:11], v[8:9]
	ds_load_b128 v[4:7], v2 offset:1200
	ds_load_b128 v[8:11], v2 offset:1216
	s_wait_loadcnt_dscnt 0x801
	v_mul_f64_e32 v[154:155], v[4:5], v[22:23]
	v_mul_f64_e32 v[22:23], v[6:7], v[22:23]
	s_wait_loadcnt_dscnt 0x700
	v_mul_f64_e32 v[18:19], v[8:9], v[112:113]
	v_mul_f64_e32 v[112:113], v[10:11], v[112:113]
	v_add_f64_e32 v[12:13], v[14:15], v[12:13]
	v_add_f64_e32 v[14:15], v[142:143], v[160:161]
	v_fmac_f64_e32 v[154:155], v[6:7], v[20:21]
	v_fma_f64 v[20:21], v[4:5], v[20:21], -v[22:23]
	v_fmac_f64_e32 v[18:19], v[10:11], v[110:111]
	v_fma_f64 v[8:9], v[8:9], v[110:111], -v[112:113]
	v_add_f64_e32 v[16:17], v[12:13], v[16:17]
	v_add_f64_e32 v[22:23], v[14:15], v[144:145]
	ds_load_b128 v[4:7], v2 offset:1232
	ds_load_b128 v[12:15], v2 offset:1248
	s_wait_loadcnt_dscnt 0x601
	v_mul_f64_e32 v[142:143], v[4:5], v[116:117]
	v_mul_f64_e32 v[116:117], v[6:7], v[116:117]
	v_add_f64_e32 v[10:11], v[16:17], v[20:21]
	v_add_f64_e32 v[16:17], v[22:23], v[154:155]
	s_wait_loadcnt_dscnt 0x500
	v_mul_f64_e32 v[20:21], v[12:13], v[120:121]
	v_mul_f64_e32 v[22:23], v[14:15], v[120:121]
	v_fmac_f64_e32 v[142:143], v[6:7], v[114:115]
	v_fma_f64 v[110:111], v[4:5], v[114:115], -v[116:117]
	v_add_f64_e32 v[112:113], v[10:11], v[8:9]
	v_add_f64_e32 v[16:17], v[16:17], v[18:19]
	ds_load_b128 v[4:7], v2 offset:1264
	ds_load_b128 v[8:11], v2 offset:1280
	v_fmac_f64_e32 v[20:21], v[14:15], v[118:119]
	v_fma_f64 v[12:13], v[12:13], v[118:119], -v[22:23]
	s_wait_loadcnt_dscnt 0x401
	v_mul_f64_e32 v[18:19], v[4:5], v[124:125]
	v_mul_f64_e32 v[114:115], v[6:7], v[124:125]
	s_wait_loadcnt_dscnt 0x300
	v_mul_f64_e32 v[22:23], v[8:9], v[128:129]
	v_add_f64_e32 v[14:15], v[112:113], v[110:111]
	v_add_f64_e32 v[16:17], v[16:17], v[142:143]
	v_mul_f64_e32 v[110:111], v[10:11], v[128:129]
	v_fmac_f64_e32 v[18:19], v[6:7], v[122:123]
	v_fma_f64 v[112:113], v[4:5], v[122:123], -v[114:115]
	v_fmac_f64_e32 v[22:23], v[10:11], v[126:127]
	v_add_f64_e32 v[114:115], v[14:15], v[12:13]
	v_add_f64_e32 v[16:17], v[16:17], v[20:21]
	ds_load_b128 v[4:7], v2 offset:1296
	ds_load_b128 v[12:15], v2 offset:1312
	v_fma_f64 v[8:9], v[8:9], v[126:127], -v[110:111]
	s_wait_loadcnt_dscnt 0x201
	v_mul_f64_e32 v[20:21], v[4:5], v[136:137]
	v_mul_f64_e32 v[116:117], v[6:7], v[136:137]
	s_wait_loadcnt_dscnt 0x100
	v_mul_f64_e32 v[110:111], v[14:15], v[148:149]
	v_add_f64_e32 v[10:11], v[114:115], v[112:113]
	v_add_f64_e32 v[16:17], v[16:17], v[18:19]
	v_mul_f64_e32 v[18:19], v[12:13], v[148:149]
	v_fmac_f64_e32 v[20:21], v[6:7], v[134:135]
	v_fma_f64 v[112:113], v[4:5], v[134:135], -v[116:117]
	ds_load_b128 v[4:7], v2 offset:1328
	v_fma_f64 v[12:13], v[12:13], v[146:147], -v[110:111]
	v_add_f64_e32 v[8:9], v[10:11], v[8:9]
	v_add_f64_e32 v[10:11], v[16:17], v[22:23]
	v_fmac_f64_e32 v[18:19], v[14:15], v[146:147]
	s_wait_loadcnt_dscnt 0x0
	v_mul_f64_e32 v[16:17], v[4:5], v[132:133]
	v_mul_f64_e32 v[22:23], v[6:7], v[132:133]
	v_add_f64_e32 v[8:9], v[8:9], v[112:113]
	v_add_f64_e32 v[10:11], v[10:11], v[20:21]
	s_delay_alu instid0(VALU_DEP_4) | instskip(NEXT) | instid1(VALU_DEP_4)
	v_fmac_f64_e32 v[16:17], v[6:7], v[130:131]
	v_fma_f64 v[4:5], v[4:5], v[130:131], -v[22:23]
	s_delay_alu instid0(VALU_DEP_4) | instskip(NEXT) | instid1(VALU_DEP_4)
	v_add_f64_e32 v[6:7], v[8:9], v[12:13]
	v_add_f64_e32 v[8:9], v[10:11], v[18:19]
	s_delay_alu instid0(VALU_DEP_2) | instskip(NEXT) | instid1(VALU_DEP_2)
	v_add_f64_e32 v[4:5], v[6:7], v[4:5]
	v_add_f64_e32 v[6:7], v[8:9], v[16:17]
	s_delay_alu instid0(VALU_DEP_2) | instskip(NEXT) | instid1(VALU_DEP_2)
	v_add_f64_e64 v[4:5], v[138:139], -v[4:5]
	v_add_f64_e64 v[6:7], v[140:141], -v[6:7]
	scratch_store_b128 off, v[4:7], off offset:256
	s_wait_xcnt 0x0
	v_cmpx_lt_u32_e32 15, v1
	s_cbranch_execz .LBB41_235
; %bb.234:
	scratch_load_b128 v[6:9], off, s48
	v_dual_mov_b32 v3, v2 :: v_dual_mov_b32 v4, v2
	v_mov_b32_e32 v5, v2
	scratch_store_b128 off, v[2:5], off offset:240
	s_wait_loadcnt 0x0
	ds_store_b128 v108, v[6:9]
.LBB41_235:
	s_wait_xcnt 0x0
	s_or_b32 exec_lo, exec_lo, s2
	s_wait_storecnt_dscnt 0x0
	s_barrier_signal -1
	s_barrier_wait -1
	s_clause 0x9
	scratch_load_b128 v[4:7], off, off offset:256
	scratch_load_b128 v[8:11], off, off offset:272
	;; [unrolled: 1-line block ×10, first 2 shown]
	ds_load_b128 v[130:133], v2 offset:928
	ds_load_b128 v[138:141], v2 offset:944
	s_clause 0x2
	scratch_load_b128 v[134:137], off, off offset:416
	scratch_load_b128 v[142:145], off, off offset:240
	;; [unrolled: 1-line block ×3, first 2 shown]
	s_mov_b32 s2, exec_lo
	s_wait_loadcnt_dscnt 0xc01
	v_mul_f64_e32 v[150:151], v[132:133], v[6:7]
	v_mul_f64_e32 v[154:155], v[130:131], v[6:7]
	s_wait_loadcnt_dscnt 0xb00
	v_mul_f64_e32 v[156:157], v[138:139], v[10:11]
	v_mul_f64_e32 v[10:11], v[140:141], v[10:11]
	s_delay_alu instid0(VALU_DEP_4) | instskip(NEXT) | instid1(VALU_DEP_4)
	v_fma_f64 v[158:159], v[130:131], v[4:5], -v[150:151]
	v_fmac_f64_e32 v[154:155], v[132:133], v[4:5]
	ds_load_b128 v[4:7], v2 offset:960
	ds_load_b128 v[130:133], v2 offset:976
	scratch_load_b128 v[150:153], off, off offset:448
	v_fmac_f64_e32 v[156:157], v[140:141], v[8:9]
	v_fma_f64 v[138:139], v[138:139], v[8:9], -v[10:11]
	scratch_load_b128 v[8:11], off, off offset:464
	s_wait_loadcnt_dscnt 0xc01
	v_mul_f64_e32 v[160:161], v[4:5], v[14:15]
	v_mul_f64_e32 v[14:15], v[6:7], v[14:15]
	v_add_f64_e32 v[140:141], 0, v[158:159]
	v_add_f64_e32 v[154:155], 0, v[154:155]
	s_wait_loadcnt_dscnt 0xb00
	v_mul_f64_e32 v[158:159], v[130:131], v[18:19]
	v_mul_f64_e32 v[18:19], v[132:133], v[18:19]
	v_fmac_f64_e32 v[160:161], v[6:7], v[12:13]
	v_fma_f64 v[162:163], v[4:5], v[12:13], -v[14:15]
	ds_load_b128 v[4:7], v2 offset:992
	ds_load_b128 v[12:15], v2 offset:1008
	v_add_f64_e32 v[164:165], v[140:141], v[138:139]
	v_add_f64_e32 v[154:155], v[154:155], v[156:157]
	scratch_load_b128 v[138:141], off, off offset:480
	v_fmac_f64_e32 v[158:159], v[132:133], v[16:17]
	v_fma_f64 v[130:131], v[130:131], v[16:17], -v[18:19]
	scratch_load_b128 v[16:19], off, off offset:496
	s_wait_loadcnt_dscnt 0xc01
	v_mul_f64_e32 v[156:157], v[4:5], v[22:23]
	v_mul_f64_e32 v[22:23], v[6:7], v[22:23]
	v_add_f64_e32 v[132:133], v[164:165], v[162:163]
	v_add_f64_e32 v[154:155], v[154:155], v[160:161]
	s_wait_loadcnt_dscnt 0xb00
	v_mul_f64_e32 v[160:161], v[12:13], v[112:113]
	v_mul_f64_e32 v[112:113], v[14:15], v[112:113]
	v_fmac_f64_e32 v[156:157], v[6:7], v[20:21]
	v_fma_f64 v[162:163], v[4:5], v[20:21], -v[22:23]
	ds_load_b128 v[4:7], v2 offset:1024
	ds_load_b128 v[20:23], v2 offset:1040
	v_add_f64_e32 v[164:165], v[132:133], v[130:131]
	v_add_f64_e32 v[154:155], v[154:155], v[158:159]
	scratch_load_b128 v[130:133], off, off offset:512
	s_wait_loadcnt_dscnt 0xb01
	v_mul_f64_e32 v[158:159], v[4:5], v[116:117]
	v_mul_f64_e32 v[116:117], v[6:7], v[116:117]
	v_fmac_f64_e32 v[160:161], v[14:15], v[110:111]
	v_fma_f64 v[110:111], v[12:13], v[110:111], -v[112:113]
	scratch_load_b128 v[12:15], off, off offset:528
	v_add_f64_e32 v[112:113], v[164:165], v[162:163]
	v_add_f64_e32 v[154:155], v[154:155], v[156:157]
	s_wait_loadcnt_dscnt 0xb00
	v_mul_f64_e32 v[156:157], v[20:21], v[120:121]
	v_mul_f64_e32 v[120:121], v[22:23], v[120:121]
	v_fmac_f64_e32 v[158:159], v[6:7], v[114:115]
	v_fma_f64 v[162:163], v[4:5], v[114:115], -v[116:117]
	v_add_f64_e32 v[164:165], v[112:113], v[110:111]
	v_add_f64_e32 v[154:155], v[154:155], v[160:161]
	ds_load_b128 v[4:7], v2 offset:1056
	ds_load_b128 v[110:113], v2 offset:1072
	scratch_load_b128 v[114:117], off, off offset:544
	v_fmac_f64_e32 v[156:157], v[22:23], v[118:119]
	v_fma_f64 v[118:119], v[20:21], v[118:119], -v[120:121]
	scratch_load_b128 v[20:23], off, off offset:560
	s_wait_loadcnt_dscnt 0xc01
	v_mul_f64_e32 v[160:161], v[4:5], v[124:125]
	v_mul_f64_e32 v[124:125], v[6:7], v[124:125]
	v_add_f64_e32 v[120:121], v[164:165], v[162:163]
	v_add_f64_e32 v[154:155], v[154:155], v[158:159]
	s_wait_loadcnt_dscnt 0xb00
	v_mul_f64_e32 v[158:159], v[110:111], v[128:129]
	v_mul_f64_e32 v[128:129], v[112:113], v[128:129]
	v_fmac_f64_e32 v[160:161], v[6:7], v[122:123]
	v_fma_f64 v[162:163], v[4:5], v[122:123], -v[124:125]
	v_add_f64_e32 v[164:165], v[120:121], v[118:119]
	v_add_f64_e32 v[154:155], v[154:155], v[156:157]
	ds_load_b128 v[4:7], v2 offset:1088
	ds_load_b128 v[118:121], v2 offset:1104
	scratch_load_b128 v[122:125], off, off offset:576
	v_fmac_f64_e32 v[158:159], v[112:113], v[126:127]
	v_fma_f64 v[126:127], v[110:111], v[126:127], -v[128:129]
	scratch_load_b128 v[110:113], off, off offset:592
	s_wait_loadcnt_dscnt 0xc01
	v_mul_f64_e32 v[156:157], v[4:5], v[136:137]
	v_mul_f64_e32 v[136:137], v[6:7], v[136:137]
	v_add_f64_e32 v[128:129], v[164:165], v[162:163]
	v_add_f64_e32 v[154:155], v[154:155], v[160:161]
	s_wait_loadcnt_dscnt 0xa00
	v_mul_f64_e32 v[160:161], v[118:119], v[148:149]
	v_mul_f64_e32 v[148:149], v[120:121], v[148:149]
	v_fmac_f64_e32 v[156:157], v[6:7], v[134:135]
	v_fma_f64 v[162:163], v[4:5], v[134:135], -v[136:137]
	v_add_f64_e32 v[164:165], v[128:129], v[126:127]
	v_add_f64_e32 v[154:155], v[154:155], v[158:159]
	ds_load_b128 v[4:7], v2 offset:1120
	ds_load_b128 v[126:129], v2 offset:1136
	scratch_load_b128 v[134:137], off, off offset:608
	v_fmac_f64_e32 v[160:161], v[120:121], v[146:147]
	v_fma_f64 v[146:147], v[118:119], v[146:147], -v[148:149]
	scratch_load_b128 v[118:121], off, off offset:624
	s_wait_loadcnt_dscnt 0xb01
	v_mul_f64_e32 v[158:159], v[4:5], v[152:153]
	v_mul_f64_e32 v[152:153], v[6:7], v[152:153]
	v_add_f64_e32 v[148:149], v[164:165], v[162:163]
	v_add_f64_e32 v[154:155], v[154:155], v[156:157]
	s_wait_loadcnt_dscnt 0xa00
	v_mul_f64_e32 v[156:157], v[126:127], v[10:11]
	v_mul_f64_e32 v[10:11], v[128:129], v[10:11]
	v_fmac_f64_e32 v[158:159], v[6:7], v[150:151]
	v_fma_f64 v[162:163], v[4:5], v[150:151], -v[152:153]
	v_add_f64_e32 v[164:165], v[148:149], v[146:147]
	v_add_f64_e32 v[154:155], v[154:155], v[160:161]
	ds_load_b128 v[4:7], v2 offset:1152
	ds_load_b128 v[146:149], v2 offset:1168
	scratch_load_b128 v[150:153], off, off offset:640
	v_fmac_f64_e32 v[156:157], v[128:129], v[8:9]
	v_fma_f64 v[126:127], v[126:127], v[8:9], -v[10:11]
	scratch_load_b128 v[8:11], off, off offset:656
	s_wait_loadcnt_dscnt 0xb01
	v_mul_f64_e32 v[160:161], v[4:5], v[140:141]
	v_mul_f64_e32 v[140:141], v[6:7], v[140:141]
	v_add_f64_e32 v[128:129], v[164:165], v[162:163]
	v_add_f64_e32 v[154:155], v[154:155], v[158:159]
	s_wait_loadcnt_dscnt 0xa00
	v_mul_f64_e32 v[158:159], v[146:147], v[18:19]
	v_mul_f64_e32 v[18:19], v[148:149], v[18:19]
	v_fmac_f64_e32 v[160:161], v[6:7], v[138:139]
	v_fma_f64 v[138:139], v[4:5], v[138:139], -v[140:141]
	v_add_f64_e32 v[140:141], v[128:129], v[126:127]
	v_add_f64_e32 v[154:155], v[154:155], v[156:157]
	ds_load_b128 v[4:7], v2 offset:1184
	ds_load_b128 v[126:129], v2 offset:1200
	v_fmac_f64_e32 v[158:159], v[148:149], v[16:17]
	v_fma_f64 v[16:17], v[146:147], v[16:17], -v[18:19]
	s_wait_loadcnt_dscnt 0x901
	v_mul_f64_e32 v[156:157], v[4:5], v[132:133]
	v_mul_f64_e32 v[132:133], v[6:7], v[132:133]
	s_wait_loadcnt_dscnt 0x800
	v_mul_f64_e32 v[146:147], v[128:129], v[14:15]
	v_add_f64_e32 v[18:19], v[140:141], v[138:139]
	v_add_f64_e32 v[138:139], v[154:155], v[160:161]
	v_mul_f64_e32 v[140:141], v[126:127], v[14:15]
	v_fmac_f64_e32 v[156:157], v[6:7], v[130:131]
	v_fma_f64 v[130:131], v[4:5], v[130:131], -v[132:133]
	v_add_f64_e32 v[18:19], v[18:19], v[16:17]
	v_add_f64_e32 v[132:133], v[138:139], v[158:159]
	ds_load_b128 v[4:7], v2 offset:1216
	ds_load_b128 v[14:17], v2 offset:1232
	v_fmac_f64_e32 v[140:141], v[128:129], v[12:13]
	v_fma_f64 v[12:13], v[126:127], v[12:13], -v[146:147]
	s_wait_loadcnt_dscnt 0x701
	v_mul_f64_e32 v[138:139], v[4:5], v[116:117]
	v_mul_f64_e32 v[116:117], v[6:7], v[116:117]
	s_wait_loadcnt_dscnt 0x600
	v_mul_f64_e32 v[128:129], v[14:15], v[22:23]
	v_mul_f64_e32 v[22:23], v[16:17], v[22:23]
	v_add_f64_e32 v[18:19], v[18:19], v[130:131]
	v_add_f64_e32 v[126:127], v[132:133], v[156:157]
	v_fmac_f64_e32 v[138:139], v[6:7], v[114:115]
	v_fma_f64 v[130:131], v[4:5], v[114:115], -v[116:117]
	ds_load_b128 v[4:7], v2 offset:1248
	ds_load_b128 v[114:117], v2 offset:1264
	v_fmac_f64_e32 v[128:129], v[16:17], v[20:21]
	v_fma_f64 v[14:15], v[14:15], v[20:21], -v[22:23]
	v_add_f64_e32 v[12:13], v[18:19], v[12:13]
	v_add_f64_e32 v[18:19], v[126:127], v[140:141]
	s_wait_loadcnt_dscnt 0x501
	v_mul_f64_e32 v[126:127], v[4:5], v[124:125]
	v_mul_f64_e32 v[124:125], v[6:7], v[124:125]
	s_wait_loadcnt_dscnt 0x400
	v_mul_f64_e32 v[20:21], v[116:117], v[112:113]
	v_add_f64_e32 v[12:13], v[12:13], v[130:131]
	v_add_f64_e32 v[16:17], v[18:19], v[138:139]
	v_mul_f64_e32 v[18:19], v[114:115], v[112:113]
	v_fmac_f64_e32 v[126:127], v[6:7], v[122:123]
	v_fma_f64 v[22:23], v[4:5], v[122:123], -v[124:125]
	v_fma_f64 v[20:21], v[114:115], v[110:111], -v[20:21]
	v_add_f64_e32 v[112:113], v[12:13], v[14:15]
	v_add_f64_e32 v[16:17], v[16:17], v[128:129]
	ds_load_b128 v[4:7], v2 offset:1280
	ds_load_b128 v[12:15], v2 offset:1296
	v_fmac_f64_e32 v[18:19], v[116:117], v[110:111]
	s_wait_loadcnt_dscnt 0x301
	v_mul_f64_e32 v[122:123], v[4:5], v[136:137]
	v_mul_f64_e32 v[124:125], v[6:7], v[136:137]
	s_wait_loadcnt_dscnt 0x200
	v_mul_f64_e32 v[110:111], v[12:13], v[120:121]
	v_add_f64_e32 v[22:23], v[112:113], v[22:23]
	v_add_f64_e32 v[16:17], v[16:17], v[126:127]
	v_mul_f64_e32 v[112:113], v[14:15], v[120:121]
	v_fmac_f64_e32 v[122:123], v[6:7], v[134:135]
	v_fma_f64 v[114:115], v[4:5], v[134:135], -v[124:125]
	v_fmac_f64_e32 v[110:111], v[14:15], v[118:119]
	v_add_f64_e32 v[20:21], v[22:23], v[20:21]
	v_add_f64_e32 v[22:23], v[16:17], v[18:19]
	ds_load_b128 v[4:7], v2 offset:1312
	ds_load_b128 v[16:19], v2 offset:1328
	v_fma_f64 v[12:13], v[12:13], v[118:119], -v[112:113]
	s_wait_loadcnt_dscnt 0x101
	v_mul_f64_e32 v[2:3], v[4:5], v[152:153]
	v_mul_f64_e32 v[116:117], v[6:7], v[152:153]
	v_add_f64_e32 v[14:15], v[20:21], v[114:115]
	v_add_f64_e32 v[20:21], v[22:23], v[122:123]
	s_wait_loadcnt_dscnt 0x0
	v_mul_f64_e32 v[22:23], v[16:17], v[10:11]
	v_mul_f64_e32 v[10:11], v[18:19], v[10:11]
	v_fmac_f64_e32 v[2:3], v[6:7], v[150:151]
	v_fma_f64 v[4:5], v[4:5], v[150:151], -v[116:117]
	v_add_f64_e32 v[6:7], v[14:15], v[12:13]
	v_add_f64_e32 v[12:13], v[20:21], v[110:111]
	v_fmac_f64_e32 v[22:23], v[18:19], v[8:9]
	v_fma_f64 v[8:9], v[16:17], v[8:9], -v[10:11]
	s_delay_alu instid0(VALU_DEP_4) | instskip(NEXT) | instid1(VALU_DEP_4)
	v_add_f64_e32 v[4:5], v[6:7], v[4:5]
	v_add_f64_e32 v[2:3], v[12:13], v[2:3]
	s_delay_alu instid0(VALU_DEP_2) | instskip(NEXT) | instid1(VALU_DEP_2)
	v_add_f64_e32 v[4:5], v[4:5], v[8:9]
	v_add_f64_e32 v[6:7], v[2:3], v[22:23]
	s_delay_alu instid0(VALU_DEP_2) | instskip(NEXT) | instid1(VALU_DEP_2)
	v_add_f64_e64 v[2:3], v[142:143], -v[4:5]
	v_add_f64_e64 v[4:5], v[144:145], -v[6:7]
	scratch_store_b128 off, v[2:5], off offset:240
	s_wait_xcnt 0x0
	v_cmpx_lt_u32_e32 14, v1
	s_cbranch_execz .LBB41_237
; %bb.236:
	scratch_load_b128 v[2:5], off, s53
	v_mov_b32_e32 v6, 0
	s_delay_alu instid0(VALU_DEP_1)
	v_dual_mov_b32 v7, v6 :: v_dual_mov_b32 v8, v6
	v_mov_b32_e32 v9, v6
	scratch_store_b128 off, v[6:9], off offset:224
	s_wait_loadcnt 0x0
	ds_store_b128 v108, v[2:5]
.LBB41_237:
	s_wait_xcnt 0x0
	s_or_b32 exec_lo, exec_lo, s2
	s_wait_storecnt_dscnt 0x0
	s_barrier_signal -1
	s_barrier_wait -1
	s_clause 0x9
	scratch_load_b128 v[4:7], off, off offset:240
	scratch_load_b128 v[8:11], off, off offset:256
	;; [unrolled: 1-line block ×10, first 2 shown]
	v_mov_b32_e32 v2, 0
	s_mov_b32 s2, exec_lo
	ds_load_b128 v[130:133], v2 offset:912
	s_clause 0x2
	scratch_load_b128 v[134:137], off, off offset:400
	scratch_load_b128 v[138:141], off, off offset:224
	;; [unrolled: 1-line block ×3, first 2 shown]
	s_wait_loadcnt_dscnt 0xc00
	v_mul_f64_e32 v[150:151], v[132:133], v[6:7]
	v_mul_f64_e32 v[154:155], v[130:131], v[6:7]
	ds_load_b128 v[142:145], v2 offset:928
	v_fma_f64 v[158:159], v[130:131], v[4:5], -v[150:151]
	v_fmac_f64_e32 v[154:155], v[132:133], v[4:5]
	ds_load_b128 v[4:7], v2 offset:944
	s_wait_loadcnt_dscnt 0xb01
	v_mul_f64_e32 v[156:157], v[142:143], v[10:11]
	v_mul_f64_e32 v[10:11], v[144:145], v[10:11]
	scratch_load_b128 v[130:133], off, off offset:432
	ds_load_b128 v[150:153], v2 offset:960
	s_wait_loadcnt_dscnt 0xb01
	v_mul_f64_e32 v[160:161], v[4:5], v[14:15]
	v_mul_f64_e32 v[14:15], v[6:7], v[14:15]
	v_add_f64_e32 v[154:155], 0, v[154:155]
	v_fmac_f64_e32 v[156:157], v[144:145], v[8:9]
	v_fma_f64 v[142:143], v[142:143], v[8:9], -v[10:11]
	v_add_f64_e32 v[144:145], 0, v[158:159]
	scratch_load_b128 v[8:11], off, off offset:448
	v_fmac_f64_e32 v[160:161], v[6:7], v[12:13]
	v_fma_f64 v[162:163], v[4:5], v[12:13], -v[14:15]
	ds_load_b128 v[4:7], v2 offset:976
	s_wait_loadcnt_dscnt 0xb01
	v_mul_f64_e32 v[158:159], v[150:151], v[18:19]
	v_mul_f64_e32 v[18:19], v[152:153], v[18:19]
	scratch_load_b128 v[12:15], off, off offset:464
	v_add_f64_e32 v[154:155], v[154:155], v[156:157]
	v_add_f64_e32 v[164:165], v[144:145], v[142:143]
	ds_load_b128 v[142:145], v2 offset:992
	s_wait_loadcnt_dscnt 0xb01
	v_mul_f64_e32 v[156:157], v[4:5], v[22:23]
	v_mul_f64_e32 v[22:23], v[6:7], v[22:23]
	v_fmac_f64_e32 v[158:159], v[152:153], v[16:17]
	v_fma_f64 v[150:151], v[150:151], v[16:17], -v[18:19]
	scratch_load_b128 v[16:19], off, off offset:480
	v_add_f64_e32 v[154:155], v[154:155], v[160:161]
	v_add_f64_e32 v[152:153], v[164:165], v[162:163]
	v_fmac_f64_e32 v[156:157], v[6:7], v[20:21]
	v_fma_f64 v[162:163], v[4:5], v[20:21], -v[22:23]
	ds_load_b128 v[4:7], v2 offset:1008
	s_wait_loadcnt_dscnt 0xb01
	v_mul_f64_e32 v[160:161], v[142:143], v[112:113]
	v_mul_f64_e32 v[112:113], v[144:145], v[112:113]
	scratch_load_b128 v[20:23], off, off offset:496
	v_add_f64_e32 v[154:155], v[154:155], v[158:159]
	s_wait_loadcnt_dscnt 0xb00
	v_mul_f64_e32 v[158:159], v[4:5], v[116:117]
	v_add_f64_e32 v[164:165], v[152:153], v[150:151]
	v_mul_f64_e32 v[116:117], v[6:7], v[116:117]
	ds_load_b128 v[150:153], v2 offset:1024
	v_fmac_f64_e32 v[160:161], v[144:145], v[110:111]
	v_fma_f64 v[142:143], v[142:143], v[110:111], -v[112:113]
	scratch_load_b128 v[110:113], off, off offset:512
	v_add_f64_e32 v[154:155], v[154:155], v[156:157]
	v_fmac_f64_e32 v[158:159], v[6:7], v[114:115]
	v_add_f64_e32 v[144:145], v[164:165], v[162:163]
	v_fma_f64 v[162:163], v[4:5], v[114:115], -v[116:117]
	ds_load_b128 v[4:7], v2 offset:1040
	s_wait_loadcnt_dscnt 0xb01
	v_mul_f64_e32 v[156:157], v[150:151], v[120:121]
	v_mul_f64_e32 v[120:121], v[152:153], v[120:121]
	scratch_load_b128 v[114:117], off, off offset:528
	v_add_f64_e32 v[154:155], v[154:155], v[160:161]
	s_wait_loadcnt_dscnt 0xb00
	v_mul_f64_e32 v[160:161], v[4:5], v[124:125]
	v_add_f64_e32 v[164:165], v[144:145], v[142:143]
	v_mul_f64_e32 v[124:125], v[6:7], v[124:125]
	ds_load_b128 v[142:145], v2 offset:1056
	v_fmac_f64_e32 v[156:157], v[152:153], v[118:119]
	v_fma_f64 v[150:151], v[150:151], v[118:119], -v[120:121]
	scratch_load_b128 v[118:121], off, off offset:544
	v_add_f64_e32 v[154:155], v[154:155], v[158:159]
	v_fmac_f64_e32 v[160:161], v[6:7], v[122:123]
	v_add_f64_e32 v[152:153], v[164:165], v[162:163]
	;; [unrolled: 18-line block ×3, first 2 shown]
	v_fma_f64 v[162:163], v[4:5], v[134:135], -v[136:137]
	ds_load_b128 v[4:7], v2 offset:1104
	s_wait_loadcnt_dscnt 0xa01
	v_mul_f64_e32 v[160:161], v[150:151], v[148:149]
	v_mul_f64_e32 v[148:149], v[152:153], v[148:149]
	scratch_load_b128 v[134:137], off, off offset:592
	v_add_f64_e32 v[154:155], v[154:155], v[158:159]
	v_add_f64_e32 v[164:165], v[144:145], v[142:143]
	s_wait_loadcnt_dscnt 0xa00
	v_mul_f64_e32 v[158:159], v[4:5], v[132:133]
	v_mul_f64_e32 v[132:133], v[6:7], v[132:133]
	v_fmac_f64_e32 v[160:161], v[152:153], v[146:147]
	v_fma_f64 v[150:151], v[150:151], v[146:147], -v[148:149]
	ds_load_b128 v[142:145], v2 offset:1120
	scratch_load_b128 v[146:149], off, off offset:608
	v_add_f64_e32 v[154:155], v[154:155], v[156:157]
	v_add_f64_e32 v[152:153], v[164:165], v[162:163]
	v_fmac_f64_e32 v[158:159], v[6:7], v[130:131]
	v_fma_f64 v[162:163], v[4:5], v[130:131], -v[132:133]
	ds_load_b128 v[4:7], v2 offset:1136
	s_wait_loadcnt_dscnt 0xa01
	v_mul_f64_e32 v[156:157], v[142:143], v[10:11]
	v_mul_f64_e32 v[10:11], v[144:145], v[10:11]
	scratch_load_b128 v[130:133], off, off offset:624
	v_add_f64_e32 v[154:155], v[154:155], v[160:161]
	s_wait_loadcnt_dscnt 0xa00
	v_mul_f64_e32 v[160:161], v[4:5], v[14:15]
	v_add_f64_e32 v[164:165], v[152:153], v[150:151]
	v_mul_f64_e32 v[14:15], v[6:7], v[14:15]
	ds_load_b128 v[150:153], v2 offset:1152
	v_fmac_f64_e32 v[156:157], v[144:145], v[8:9]
	v_fma_f64 v[142:143], v[142:143], v[8:9], -v[10:11]
	scratch_load_b128 v[8:11], off, off offset:640
	v_add_f64_e32 v[154:155], v[154:155], v[158:159]
	v_fmac_f64_e32 v[160:161], v[6:7], v[12:13]
	v_add_f64_e32 v[144:145], v[164:165], v[162:163]
	v_fma_f64 v[162:163], v[4:5], v[12:13], -v[14:15]
	ds_load_b128 v[4:7], v2 offset:1168
	s_wait_loadcnt_dscnt 0xa01
	v_mul_f64_e32 v[158:159], v[150:151], v[18:19]
	v_mul_f64_e32 v[18:19], v[152:153], v[18:19]
	scratch_load_b128 v[12:15], off, off offset:656
	v_add_f64_e32 v[154:155], v[154:155], v[156:157]
	s_wait_loadcnt_dscnt 0xa00
	v_mul_f64_e32 v[156:157], v[4:5], v[22:23]
	v_add_f64_e32 v[164:165], v[144:145], v[142:143]
	v_mul_f64_e32 v[22:23], v[6:7], v[22:23]
	ds_load_b128 v[142:145], v2 offset:1184
	v_fmac_f64_e32 v[158:159], v[152:153], v[16:17]
	v_fma_f64 v[16:17], v[150:151], v[16:17], -v[18:19]
	s_wait_loadcnt_dscnt 0x900
	v_mul_f64_e32 v[152:153], v[142:143], v[112:113]
	v_mul_f64_e32 v[112:113], v[144:145], v[112:113]
	v_add_f64_e32 v[150:151], v[154:155], v[160:161]
	v_fmac_f64_e32 v[156:157], v[6:7], v[20:21]
	v_add_f64_e32 v[18:19], v[164:165], v[162:163]
	v_fma_f64 v[20:21], v[4:5], v[20:21], -v[22:23]
	v_fmac_f64_e32 v[152:153], v[144:145], v[110:111]
	v_fma_f64 v[110:111], v[142:143], v[110:111], -v[112:113]
	v_add_f64_e32 v[150:151], v[150:151], v[158:159]
	v_add_f64_e32 v[22:23], v[18:19], v[16:17]
	ds_load_b128 v[4:7], v2 offset:1200
	ds_load_b128 v[16:19], v2 offset:1216
	s_wait_loadcnt_dscnt 0x801
	v_mul_f64_e32 v[154:155], v[4:5], v[116:117]
	v_mul_f64_e32 v[116:117], v[6:7], v[116:117]
	s_wait_loadcnt_dscnt 0x700
	v_mul_f64_e32 v[112:113], v[16:17], v[120:121]
	v_mul_f64_e32 v[120:121], v[18:19], v[120:121]
	v_add_f64_e32 v[20:21], v[22:23], v[20:21]
	v_add_f64_e32 v[22:23], v[150:151], v[156:157]
	v_fmac_f64_e32 v[154:155], v[6:7], v[114:115]
	v_fma_f64 v[114:115], v[4:5], v[114:115], -v[116:117]
	v_fmac_f64_e32 v[112:113], v[18:19], v[118:119]
	v_fma_f64 v[16:17], v[16:17], v[118:119], -v[120:121]
	v_add_f64_e32 v[110:111], v[20:21], v[110:111]
	v_add_f64_e32 v[116:117], v[22:23], v[152:153]
	ds_load_b128 v[4:7], v2 offset:1232
	ds_load_b128 v[20:23], v2 offset:1248
	s_wait_loadcnt_dscnt 0x601
	v_mul_f64_e32 v[142:143], v[4:5], v[124:125]
	v_mul_f64_e32 v[124:125], v[6:7], v[124:125]
	v_add_f64_e32 v[18:19], v[110:111], v[114:115]
	v_add_f64_e32 v[110:111], v[116:117], v[154:155]
	s_wait_loadcnt_dscnt 0x500
	v_mul_f64_e32 v[114:115], v[20:21], v[128:129]
	v_mul_f64_e32 v[116:117], v[22:23], v[128:129]
	v_fmac_f64_e32 v[142:143], v[6:7], v[122:123]
	v_fma_f64 v[118:119], v[4:5], v[122:123], -v[124:125]
	v_add_f64_e32 v[120:121], v[18:19], v[16:17]
	v_add_f64_e32 v[110:111], v[110:111], v[112:113]
	ds_load_b128 v[4:7], v2 offset:1264
	ds_load_b128 v[16:19], v2 offset:1280
	v_fmac_f64_e32 v[114:115], v[22:23], v[126:127]
	v_fma_f64 v[20:21], v[20:21], v[126:127], -v[116:117]
	s_wait_loadcnt_dscnt 0x401
	v_mul_f64_e32 v[112:113], v[4:5], v[136:137]
	v_mul_f64_e32 v[122:123], v[6:7], v[136:137]
	s_wait_loadcnt_dscnt 0x300
	v_mul_f64_e32 v[116:117], v[16:17], v[148:149]
	v_add_f64_e32 v[22:23], v[120:121], v[118:119]
	v_add_f64_e32 v[110:111], v[110:111], v[142:143]
	v_mul_f64_e32 v[118:119], v[18:19], v[148:149]
	v_fmac_f64_e32 v[112:113], v[6:7], v[134:135]
	v_fma_f64 v[120:121], v[4:5], v[134:135], -v[122:123]
	v_fmac_f64_e32 v[116:117], v[18:19], v[146:147]
	v_add_f64_e32 v[122:123], v[22:23], v[20:21]
	v_add_f64_e32 v[110:111], v[110:111], v[114:115]
	ds_load_b128 v[4:7], v2 offset:1296
	ds_load_b128 v[20:23], v2 offset:1312
	v_fma_f64 v[16:17], v[16:17], v[146:147], -v[118:119]
	s_wait_loadcnt_dscnt 0x201
	v_mul_f64_e32 v[114:115], v[4:5], v[132:133]
	v_mul_f64_e32 v[124:125], v[6:7], v[132:133]
	v_add_f64_e32 v[18:19], v[122:123], v[120:121]
	v_add_f64_e32 v[110:111], v[110:111], v[112:113]
	s_wait_loadcnt_dscnt 0x100
	v_mul_f64_e32 v[112:113], v[20:21], v[10:11]
	v_mul_f64_e32 v[10:11], v[22:23], v[10:11]
	v_fmac_f64_e32 v[114:115], v[6:7], v[130:131]
	v_fma_f64 v[118:119], v[4:5], v[130:131], -v[124:125]
	ds_load_b128 v[4:7], v2 offset:1328
	v_add_f64_e32 v[16:17], v[18:19], v[16:17]
	v_add_f64_e32 v[18:19], v[110:111], v[116:117]
	v_fmac_f64_e32 v[112:113], v[22:23], v[8:9]
	v_fma_f64 v[8:9], v[20:21], v[8:9], -v[10:11]
	s_wait_loadcnt_dscnt 0x0
	v_mul_f64_e32 v[110:111], v[4:5], v[14:15]
	v_mul_f64_e32 v[14:15], v[6:7], v[14:15]
	v_add_f64_e32 v[10:11], v[16:17], v[118:119]
	v_add_f64_e32 v[16:17], v[18:19], v[114:115]
	s_delay_alu instid0(VALU_DEP_4) | instskip(NEXT) | instid1(VALU_DEP_4)
	v_fmac_f64_e32 v[110:111], v[6:7], v[12:13]
	v_fma_f64 v[4:5], v[4:5], v[12:13], -v[14:15]
	s_delay_alu instid0(VALU_DEP_4) | instskip(NEXT) | instid1(VALU_DEP_4)
	v_add_f64_e32 v[6:7], v[10:11], v[8:9]
	v_add_f64_e32 v[8:9], v[16:17], v[112:113]
	s_delay_alu instid0(VALU_DEP_2) | instskip(NEXT) | instid1(VALU_DEP_2)
	v_add_f64_e32 v[4:5], v[6:7], v[4:5]
	v_add_f64_e32 v[6:7], v[8:9], v[110:111]
	s_delay_alu instid0(VALU_DEP_2) | instskip(NEXT) | instid1(VALU_DEP_2)
	v_add_f64_e64 v[4:5], v[138:139], -v[4:5]
	v_add_f64_e64 v[6:7], v[140:141], -v[6:7]
	scratch_store_b128 off, v[4:7], off offset:224
	s_wait_xcnt 0x0
	v_cmpx_lt_u32_e32 13, v1
	s_cbranch_execz .LBB41_239
; %bb.238:
	scratch_load_b128 v[6:9], off, s52
	v_dual_mov_b32 v3, v2 :: v_dual_mov_b32 v4, v2
	v_mov_b32_e32 v5, v2
	scratch_store_b128 off, v[2:5], off offset:208
	s_wait_loadcnt 0x0
	ds_store_b128 v108, v[6:9]
.LBB41_239:
	s_wait_xcnt 0x0
	s_or_b32 exec_lo, exec_lo, s2
	s_wait_storecnt_dscnt 0x0
	s_barrier_signal -1
	s_barrier_wait -1
	s_clause 0x9
	scratch_load_b128 v[4:7], off, off offset:224
	scratch_load_b128 v[8:11], off, off offset:240
	;; [unrolled: 1-line block ×10, first 2 shown]
	ds_load_b128 v[130:133], v2 offset:896
	ds_load_b128 v[138:141], v2 offset:912
	s_clause 0x2
	scratch_load_b128 v[134:137], off, off offset:384
	scratch_load_b128 v[142:145], off, off offset:208
	;; [unrolled: 1-line block ×3, first 2 shown]
	s_mov_b32 s2, exec_lo
	s_wait_loadcnt_dscnt 0xc01
	v_mul_f64_e32 v[150:151], v[132:133], v[6:7]
	v_mul_f64_e32 v[154:155], v[130:131], v[6:7]
	s_wait_loadcnt_dscnt 0xb00
	v_mul_f64_e32 v[156:157], v[138:139], v[10:11]
	v_mul_f64_e32 v[10:11], v[140:141], v[10:11]
	s_delay_alu instid0(VALU_DEP_4) | instskip(NEXT) | instid1(VALU_DEP_4)
	v_fma_f64 v[158:159], v[130:131], v[4:5], -v[150:151]
	v_fmac_f64_e32 v[154:155], v[132:133], v[4:5]
	ds_load_b128 v[4:7], v2 offset:928
	ds_load_b128 v[130:133], v2 offset:944
	scratch_load_b128 v[150:153], off, off offset:416
	v_fmac_f64_e32 v[156:157], v[140:141], v[8:9]
	v_fma_f64 v[138:139], v[138:139], v[8:9], -v[10:11]
	scratch_load_b128 v[8:11], off, off offset:432
	s_wait_loadcnt_dscnt 0xc01
	v_mul_f64_e32 v[160:161], v[4:5], v[14:15]
	v_mul_f64_e32 v[14:15], v[6:7], v[14:15]
	v_add_f64_e32 v[140:141], 0, v[158:159]
	v_add_f64_e32 v[154:155], 0, v[154:155]
	s_wait_loadcnt_dscnt 0xb00
	v_mul_f64_e32 v[158:159], v[130:131], v[18:19]
	v_mul_f64_e32 v[18:19], v[132:133], v[18:19]
	v_fmac_f64_e32 v[160:161], v[6:7], v[12:13]
	v_fma_f64 v[162:163], v[4:5], v[12:13], -v[14:15]
	ds_load_b128 v[4:7], v2 offset:960
	ds_load_b128 v[12:15], v2 offset:976
	v_add_f64_e32 v[164:165], v[140:141], v[138:139]
	v_add_f64_e32 v[154:155], v[154:155], v[156:157]
	scratch_load_b128 v[138:141], off, off offset:448
	v_fmac_f64_e32 v[158:159], v[132:133], v[16:17]
	v_fma_f64 v[130:131], v[130:131], v[16:17], -v[18:19]
	scratch_load_b128 v[16:19], off, off offset:464
	s_wait_loadcnt_dscnt 0xc01
	v_mul_f64_e32 v[156:157], v[4:5], v[22:23]
	v_mul_f64_e32 v[22:23], v[6:7], v[22:23]
	v_add_f64_e32 v[132:133], v[164:165], v[162:163]
	v_add_f64_e32 v[154:155], v[154:155], v[160:161]
	s_wait_loadcnt_dscnt 0xb00
	v_mul_f64_e32 v[160:161], v[12:13], v[112:113]
	v_mul_f64_e32 v[112:113], v[14:15], v[112:113]
	v_fmac_f64_e32 v[156:157], v[6:7], v[20:21]
	v_fma_f64 v[162:163], v[4:5], v[20:21], -v[22:23]
	ds_load_b128 v[4:7], v2 offset:992
	ds_load_b128 v[20:23], v2 offset:1008
	v_add_f64_e32 v[164:165], v[132:133], v[130:131]
	v_add_f64_e32 v[154:155], v[154:155], v[158:159]
	scratch_load_b128 v[130:133], off, off offset:480
	s_wait_loadcnt_dscnt 0xb01
	v_mul_f64_e32 v[158:159], v[4:5], v[116:117]
	v_mul_f64_e32 v[116:117], v[6:7], v[116:117]
	v_fmac_f64_e32 v[160:161], v[14:15], v[110:111]
	v_fma_f64 v[110:111], v[12:13], v[110:111], -v[112:113]
	scratch_load_b128 v[12:15], off, off offset:496
	v_add_f64_e32 v[112:113], v[164:165], v[162:163]
	v_add_f64_e32 v[154:155], v[154:155], v[156:157]
	s_wait_loadcnt_dscnt 0xb00
	v_mul_f64_e32 v[156:157], v[20:21], v[120:121]
	v_mul_f64_e32 v[120:121], v[22:23], v[120:121]
	v_fmac_f64_e32 v[158:159], v[6:7], v[114:115]
	v_fma_f64 v[162:163], v[4:5], v[114:115], -v[116:117]
	v_add_f64_e32 v[164:165], v[112:113], v[110:111]
	v_add_f64_e32 v[154:155], v[154:155], v[160:161]
	ds_load_b128 v[4:7], v2 offset:1024
	ds_load_b128 v[110:113], v2 offset:1040
	scratch_load_b128 v[114:117], off, off offset:512
	v_fmac_f64_e32 v[156:157], v[22:23], v[118:119]
	v_fma_f64 v[118:119], v[20:21], v[118:119], -v[120:121]
	scratch_load_b128 v[20:23], off, off offset:528
	s_wait_loadcnt_dscnt 0xc01
	v_mul_f64_e32 v[160:161], v[4:5], v[124:125]
	v_mul_f64_e32 v[124:125], v[6:7], v[124:125]
	v_add_f64_e32 v[120:121], v[164:165], v[162:163]
	v_add_f64_e32 v[154:155], v[154:155], v[158:159]
	s_wait_loadcnt_dscnt 0xb00
	v_mul_f64_e32 v[158:159], v[110:111], v[128:129]
	v_mul_f64_e32 v[128:129], v[112:113], v[128:129]
	v_fmac_f64_e32 v[160:161], v[6:7], v[122:123]
	v_fma_f64 v[162:163], v[4:5], v[122:123], -v[124:125]
	v_add_f64_e32 v[164:165], v[120:121], v[118:119]
	v_add_f64_e32 v[154:155], v[154:155], v[156:157]
	ds_load_b128 v[4:7], v2 offset:1056
	ds_load_b128 v[118:121], v2 offset:1072
	scratch_load_b128 v[122:125], off, off offset:544
	v_fmac_f64_e32 v[158:159], v[112:113], v[126:127]
	v_fma_f64 v[126:127], v[110:111], v[126:127], -v[128:129]
	scratch_load_b128 v[110:113], off, off offset:560
	s_wait_loadcnt_dscnt 0xc01
	v_mul_f64_e32 v[156:157], v[4:5], v[136:137]
	v_mul_f64_e32 v[136:137], v[6:7], v[136:137]
	;; [unrolled: 18-line block ×5, first 2 shown]
	v_add_f64_e32 v[148:149], v[164:165], v[162:163]
	v_add_f64_e32 v[154:155], v[154:155], v[160:161]
	s_wait_loadcnt_dscnt 0xa00
	v_mul_f64_e32 v[160:161], v[126:127], v[14:15]
	v_mul_f64_e32 v[14:15], v[128:129], v[14:15]
	v_fmac_f64_e32 v[156:157], v[6:7], v[130:131]
	v_fma_f64 v[162:163], v[4:5], v[130:131], -v[132:133]
	ds_load_b128 v[4:7], v2 offset:1184
	ds_load_b128 v[130:133], v2 offset:1200
	v_add_f64_e32 v[146:147], v[148:149], v[146:147]
	v_add_f64_e32 v[148:149], v[154:155], v[158:159]
	v_fmac_f64_e32 v[160:161], v[128:129], v[12:13]
	v_fma_f64 v[12:13], v[126:127], v[12:13], -v[14:15]
	s_wait_loadcnt_dscnt 0x901
	v_mul_f64_e32 v[154:155], v[4:5], v[116:117]
	v_mul_f64_e32 v[116:117], v[6:7], v[116:117]
	s_wait_loadcnt_dscnt 0x800
	v_mul_f64_e32 v[128:129], v[130:131], v[22:23]
	v_mul_f64_e32 v[22:23], v[132:133], v[22:23]
	v_add_f64_e32 v[14:15], v[146:147], v[162:163]
	v_add_f64_e32 v[126:127], v[148:149], v[156:157]
	v_fmac_f64_e32 v[154:155], v[6:7], v[114:115]
	v_fma_f64 v[114:115], v[4:5], v[114:115], -v[116:117]
	v_fmac_f64_e32 v[128:129], v[132:133], v[20:21]
	v_fma_f64 v[20:21], v[130:131], v[20:21], -v[22:23]
	v_add_f64_e32 v[116:117], v[14:15], v[12:13]
	v_add_f64_e32 v[126:127], v[126:127], v[160:161]
	ds_load_b128 v[4:7], v2 offset:1216
	ds_load_b128 v[12:15], v2 offset:1232
	s_wait_loadcnt_dscnt 0x701
	v_mul_f64_e32 v[146:147], v[4:5], v[124:125]
	v_mul_f64_e32 v[124:125], v[6:7], v[124:125]
	v_add_f64_e32 v[22:23], v[116:117], v[114:115]
	v_add_f64_e32 v[114:115], v[126:127], v[154:155]
	s_wait_loadcnt_dscnt 0x600
	v_mul_f64_e32 v[116:117], v[12:13], v[112:113]
	v_mul_f64_e32 v[112:113], v[14:15], v[112:113]
	v_fmac_f64_e32 v[146:147], v[6:7], v[122:123]
	v_fma_f64 v[122:123], v[4:5], v[122:123], -v[124:125]
	v_add_f64_e32 v[124:125], v[22:23], v[20:21]
	v_add_f64_e32 v[114:115], v[114:115], v[128:129]
	ds_load_b128 v[4:7], v2 offset:1248
	ds_load_b128 v[20:23], v2 offset:1264
	v_fmac_f64_e32 v[116:117], v[14:15], v[110:111]
	v_fma_f64 v[12:13], v[12:13], v[110:111], -v[112:113]
	s_wait_loadcnt_dscnt 0x501
	v_mul_f64_e32 v[126:127], v[4:5], v[136:137]
	v_mul_f64_e32 v[128:129], v[6:7], v[136:137]
	s_wait_loadcnt_dscnt 0x400
	v_mul_f64_e32 v[112:113], v[20:21], v[120:121]
	v_add_f64_e32 v[14:15], v[124:125], v[122:123]
	v_add_f64_e32 v[110:111], v[114:115], v[146:147]
	v_mul_f64_e32 v[114:115], v[22:23], v[120:121]
	v_fmac_f64_e32 v[126:127], v[6:7], v[134:135]
	v_fma_f64 v[120:121], v[4:5], v[134:135], -v[128:129]
	v_fmac_f64_e32 v[112:113], v[22:23], v[118:119]
	v_add_f64_e32 v[122:123], v[14:15], v[12:13]
	v_add_f64_e32 v[110:111], v[110:111], v[116:117]
	ds_load_b128 v[4:7], v2 offset:1280
	ds_load_b128 v[12:15], v2 offset:1296
	v_fma_f64 v[20:21], v[20:21], v[118:119], -v[114:115]
	s_wait_loadcnt_dscnt 0x301
	v_mul_f64_e32 v[116:117], v[4:5], v[152:153]
	v_mul_f64_e32 v[124:125], v[6:7], v[152:153]
	s_wait_loadcnt_dscnt 0x200
	v_mul_f64_e32 v[114:115], v[12:13], v[10:11]
	v_mul_f64_e32 v[10:11], v[14:15], v[10:11]
	v_add_f64_e32 v[22:23], v[122:123], v[120:121]
	v_add_f64_e32 v[110:111], v[110:111], v[126:127]
	v_fmac_f64_e32 v[116:117], v[6:7], v[150:151]
	v_fma_f64 v[118:119], v[4:5], v[150:151], -v[124:125]
	v_fmac_f64_e32 v[114:115], v[14:15], v[8:9]
	v_fma_f64 v[8:9], v[12:13], v[8:9], -v[10:11]
	v_add_f64_e32 v[120:121], v[22:23], v[20:21]
	v_add_f64_e32 v[110:111], v[110:111], v[112:113]
	ds_load_b128 v[4:7], v2 offset:1312
	ds_load_b128 v[20:23], v2 offset:1328
	s_wait_loadcnt_dscnt 0x101
	v_mul_f64_e32 v[2:3], v[4:5], v[140:141]
	v_mul_f64_e32 v[112:113], v[6:7], v[140:141]
	s_wait_loadcnt_dscnt 0x0
	v_mul_f64_e32 v[14:15], v[20:21], v[18:19]
	v_mul_f64_e32 v[18:19], v[22:23], v[18:19]
	v_add_f64_e32 v[10:11], v[120:121], v[118:119]
	v_add_f64_e32 v[12:13], v[110:111], v[116:117]
	v_fmac_f64_e32 v[2:3], v[6:7], v[138:139]
	v_fma_f64 v[4:5], v[4:5], v[138:139], -v[112:113]
	v_fmac_f64_e32 v[14:15], v[22:23], v[16:17]
	v_add_f64_e32 v[6:7], v[10:11], v[8:9]
	v_add_f64_e32 v[8:9], v[12:13], v[114:115]
	v_fma_f64 v[10:11], v[20:21], v[16:17], -v[18:19]
	s_delay_alu instid0(VALU_DEP_3) | instskip(NEXT) | instid1(VALU_DEP_3)
	v_add_f64_e32 v[4:5], v[6:7], v[4:5]
	v_add_f64_e32 v[2:3], v[8:9], v[2:3]
	s_delay_alu instid0(VALU_DEP_2) | instskip(NEXT) | instid1(VALU_DEP_2)
	v_add_f64_e32 v[4:5], v[4:5], v[10:11]
	v_add_f64_e32 v[6:7], v[2:3], v[14:15]
	s_delay_alu instid0(VALU_DEP_2) | instskip(NEXT) | instid1(VALU_DEP_2)
	v_add_f64_e64 v[2:3], v[142:143], -v[4:5]
	v_add_f64_e64 v[4:5], v[144:145], -v[6:7]
	scratch_store_b128 off, v[2:5], off offset:208
	s_wait_xcnt 0x0
	v_cmpx_lt_u32_e32 12, v1
	s_cbranch_execz .LBB41_241
; %bb.240:
	scratch_load_b128 v[2:5], off, s51
	v_mov_b32_e32 v6, 0
	s_delay_alu instid0(VALU_DEP_1)
	v_dual_mov_b32 v7, v6 :: v_dual_mov_b32 v8, v6
	v_mov_b32_e32 v9, v6
	scratch_store_b128 off, v[6:9], off offset:192
	s_wait_loadcnt 0x0
	ds_store_b128 v108, v[2:5]
.LBB41_241:
	s_wait_xcnt 0x0
	s_or_b32 exec_lo, exec_lo, s2
	s_wait_storecnt_dscnt 0x0
	s_barrier_signal -1
	s_barrier_wait -1
	s_clause 0x9
	scratch_load_b128 v[4:7], off, off offset:208
	scratch_load_b128 v[8:11], off, off offset:224
	;; [unrolled: 1-line block ×10, first 2 shown]
	v_mov_b32_e32 v2, 0
	s_mov_b32 s2, exec_lo
	ds_load_b128 v[130:133], v2 offset:880
	s_clause 0x2
	scratch_load_b128 v[134:137], off, off offset:368
	scratch_load_b128 v[138:141], off, off offset:192
	;; [unrolled: 1-line block ×3, first 2 shown]
	s_wait_loadcnt_dscnt 0xc00
	v_mul_f64_e32 v[150:151], v[132:133], v[6:7]
	v_mul_f64_e32 v[154:155], v[130:131], v[6:7]
	ds_load_b128 v[142:145], v2 offset:896
	v_fma_f64 v[158:159], v[130:131], v[4:5], -v[150:151]
	v_fmac_f64_e32 v[154:155], v[132:133], v[4:5]
	ds_load_b128 v[4:7], v2 offset:912
	s_wait_loadcnt_dscnt 0xb01
	v_mul_f64_e32 v[156:157], v[142:143], v[10:11]
	v_mul_f64_e32 v[10:11], v[144:145], v[10:11]
	scratch_load_b128 v[130:133], off, off offset:400
	ds_load_b128 v[150:153], v2 offset:928
	s_wait_loadcnt_dscnt 0xb01
	v_mul_f64_e32 v[160:161], v[4:5], v[14:15]
	v_mul_f64_e32 v[14:15], v[6:7], v[14:15]
	v_add_f64_e32 v[154:155], 0, v[154:155]
	v_fmac_f64_e32 v[156:157], v[144:145], v[8:9]
	v_fma_f64 v[142:143], v[142:143], v[8:9], -v[10:11]
	v_add_f64_e32 v[144:145], 0, v[158:159]
	scratch_load_b128 v[8:11], off, off offset:416
	v_fmac_f64_e32 v[160:161], v[6:7], v[12:13]
	v_fma_f64 v[162:163], v[4:5], v[12:13], -v[14:15]
	ds_load_b128 v[4:7], v2 offset:944
	s_wait_loadcnt_dscnt 0xb01
	v_mul_f64_e32 v[158:159], v[150:151], v[18:19]
	v_mul_f64_e32 v[18:19], v[152:153], v[18:19]
	scratch_load_b128 v[12:15], off, off offset:432
	v_add_f64_e32 v[154:155], v[154:155], v[156:157]
	v_add_f64_e32 v[164:165], v[144:145], v[142:143]
	ds_load_b128 v[142:145], v2 offset:960
	s_wait_loadcnt_dscnt 0xb01
	v_mul_f64_e32 v[156:157], v[4:5], v[22:23]
	v_mul_f64_e32 v[22:23], v[6:7], v[22:23]
	v_fmac_f64_e32 v[158:159], v[152:153], v[16:17]
	v_fma_f64 v[150:151], v[150:151], v[16:17], -v[18:19]
	scratch_load_b128 v[16:19], off, off offset:448
	v_add_f64_e32 v[154:155], v[154:155], v[160:161]
	v_add_f64_e32 v[152:153], v[164:165], v[162:163]
	v_fmac_f64_e32 v[156:157], v[6:7], v[20:21]
	v_fma_f64 v[162:163], v[4:5], v[20:21], -v[22:23]
	ds_load_b128 v[4:7], v2 offset:976
	s_wait_loadcnt_dscnt 0xb01
	v_mul_f64_e32 v[160:161], v[142:143], v[112:113]
	v_mul_f64_e32 v[112:113], v[144:145], v[112:113]
	scratch_load_b128 v[20:23], off, off offset:464
	v_add_f64_e32 v[154:155], v[154:155], v[158:159]
	s_wait_loadcnt_dscnt 0xb00
	v_mul_f64_e32 v[158:159], v[4:5], v[116:117]
	v_add_f64_e32 v[164:165], v[152:153], v[150:151]
	v_mul_f64_e32 v[116:117], v[6:7], v[116:117]
	ds_load_b128 v[150:153], v2 offset:992
	v_fmac_f64_e32 v[160:161], v[144:145], v[110:111]
	v_fma_f64 v[142:143], v[142:143], v[110:111], -v[112:113]
	scratch_load_b128 v[110:113], off, off offset:480
	v_add_f64_e32 v[154:155], v[154:155], v[156:157]
	v_fmac_f64_e32 v[158:159], v[6:7], v[114:115]
	v_add_f64_e32 v[144:145], v[164:165], v[162:163]
	v_fma_f64 v[162:163], v[4:5], v[114:115], -v[116:117]
	ds_load_b128 v[4:7], v2 offset:1008
	s_wait_loadcnt_dscnt 0xb01
	v_mul_f64_e32 v[156:157], v[150:151], v[120:121]
	v_mul_f64_e32 v[120:121], v[152:153], v[120:121]
	scratch_load_b128 v[114:117], off, off offset:496
	v_add_f64_e32 v[154:155], v[154:155], v[160:161]
	s_wait_loadcnt_dscnt 0xb00
	v_mul_f64_e32 v[160:161], v[4:5], v[124:125]
	v_add_f64_e32 v[164:165], v[144:145], v[142:143]
	v_mul_f64_e32 v[124:125], v[6:7], v[124:125]
	ds_load_b128 v[142:145], v2 offset:1024
	v_fmac_f64_e32 v[156:157], v[152:153], v[118:119]
	v_fma_f64 v[150:151], v[150:151], v[118:119], -v[120:121]
	scratch_load_b128 v[118:121], off, off offset:512
	v_add_f64_e32 v[154:155], v[154:155], v[158:159]
	v_fmac_f64_e32 v[160:161], v[6:7], v[122:123]
	v_add_f64_e32 v[152:153], v[164:165], v[162:163]
	;; [unrolled: 18-line block ×3, first 2 shown]
	v_fma_f64 v[162:163], v[4:5], v[134:135], -v[136:137]
	ds_load_b128 v[4:7], v2 offset:1072
	s_wait_loadcnt_dscnt 0xa01
	v_mul_f64_e32 v[160:161], v[150:151], v[148:149]
	v_mul_f64_e32 v[148:149], v[152:153], v[148:149]
	scratch_load_b128 v[134:137], off, off offset:560
	v_add_f64_e32 v[154:155], v[154:155], v[158:159]
	v_add_f64_e32 v[164:165], v[144:145], v[142:143]
	s_wait_loadcnt_dscnt 0xa00
	v_mul_f64_e32 v[158:159], v[4:5], v[132:133]
	v_mul_f64_e32 v[132:133], v[6:7], v[132:133]
	v_fmac_f64_e32 v[160:161], v[152:153], v[146:147]
	v_fma_f64 v[150:151], v[150:151], v[146:147], -v[148:149]
	ds_load_b128 v[142:145], v2 offset:1088
	scratch_load_b128 v[146:149], off, off offset:576
	v_add_f64_e32 v[154:155], v[154:155], v[156:157]
	v_add_f64_e32 v[152:153], v[164:165], v[162:163]
	v_fmac_f64_e32 v[158:159], v[6:7], v[130:131]
	v_fma_f64 v[162:163], v[4:5], v[130:131], -v[132:133]
	ds_load_b128 v[4:7], v2 offset:1104
	s_wait_loadcnt_dscnt 0xa01
	v_mul_f64_e32 v[156:157], v[142:143], v[10:11]
	v_mul_f64_e32 v[10:11], v[144:145], v[10:11]
	scratch_load_b128 v[130:133], off, off offset:592
	v_add_f64_e32 v[154:155], v[154:155], v[160:161]
	s_wait_loadcnt_dscnt 0xa00
	v_mul_f64_e32 v[160:161], v[4:5], v[14:15]
	v_add_f64_e32 v[164:165], v[152:153], v[150:151]
	v_mul_f64_e32 v[14:15], v[6:7], v[14:15]
	ds_load_b128 v[150:153], v2 offset:1120
	v_fmac_f64_e32 v[156:157], v[144:145], v[8:9]
	v_fma_f64 v[142:143], v[142:143], v[8:9], -v[10:11]
	scratch_load_b128 v[8:11], off, off offset:608
	v_add_f64_e32 v[154:155], v[154:155], v[158:159]
	v_fmac_f64_e32 v[160:161], v[6:7], v[12:13]
	v_add_f64_e32 v[144:145], v[164:165], v[162:163]
	v_fma_f64 v[162:163], v[4:5], v[12:13], -v[14:15]
	ds_load_b128 v[4:7], v2 offset:1136
	s_wait_loadcnt_dscnt 0xa01
	v_mul_f64_e32 v[158:159], v[150:151], v[18:19]
	v_mul_f64_e32 v[18:19], v[152:153], v[18:19]
	scratch_load_b128 v[12:15], off, off offset:624
	v_add_f64_e32 v[154:155], v[154:155], v[156:157]
	s_wait_loadcnt_dscnt 0xa00
	v_mul_f64_e32 v[156:157], v[4:5], v[22:23]
	v_add_f64_e32 v[164:165], v[144:145], v[142:143]
	v_mul_f64_e32 v[22:23], v[6:7], v[22:23]
	ds_load_b128 v[142:145], v2 offset:1152
	v_fmac_f64_e32 v[158:159], v[152:153], v[16:17]
	v_fma_f64 v[150:151], v[150:151], v[16:17], -v[18:19]
	scratch_load_b128 v[16:19], off, off offset:640
	v_add_f64_e32 v[154:155], v[154:155], v[160:161]
	v_fmac_f64_e32 v[156:157], v[6:7], v[20:21]
	v_add_f64_e32 v[152:153], v[164:165], v[162:163]
	v_fma_f64 v[162:163], v[4:5], v[20:21], -v[22:23]
	ds_load_b128 v[4:7], v2 offset:1168
	s_wait_loadcnt_dscnt 0xa01
	v_mul_f64_e32 v[160:161], v[142:143], v[112:113]
	v_mul_f64_e32 v[112:113], v[144:145], v[112:113]
	scratch_load_b128 v[20:23], off, off offset:656
	v_add_f64_e32 v[154:155], v[154:155], v[158:159]
	s_wait_loadcnt_dscnt 0xa00
	v_mul_f64_e32 v[158:159], v[4:5], v[116:117]
	v_add_f64_e32 v[164:165], v[152:153], v[150:151]
	v_mul_f64_e32 v[116:117], v[6:7], v[116:117]
	ds_load_b128 v[150:153], v2 offset:1184
	v_fmac_f64_e32 v[160:161], v[144:145], v[110:111]
	v_fma_f64 v[110:111], v[142:143], v[110:111], -v[112:113]
	s_wait_loadcnt_dscnt 0x900
	v_mul_f64_e32 v[144:145], v[150:151], v[120:121]
	v_mul_f64_e32 v[120:121], v[152:153], v[120:121]
	v_add_f64_e32 v[142:143], v[154:155], v[156:157]
	v_fmac_f64_e32 v[158:159], v[6:7], v[114:115]
	v_add_f64_e32 v[112:113], v[164:165], v[162:163]
	v_fma_f64 v[114:115], v[4:5], v[114:115], -v[116:117]
	v_fmac_f64_e32 v[144:145], v[152:153], v[118:119]
	v_fma_f64 v[118:119], v[150:151], v[118:119], -v[120:121]
	v_add_f64_e32 v[142:143], v[142:143], v[160:161]
	v_add_f64_e32 v[116:117], v[112:113], v[110:111]
	ds_load_b128 v[4:7], v2 offset:1200
	ds_load_b128 v[110:113], v2 offset:1216
	s_wait_loadcnt_dscnt 0x801
	v_mul_f64_e32 v[154:155], v[4:5], v[124:125]
	v_mul_f64_e32 v[124:125], v[6:7], v[124:125]
	s_wait_loadcnt_dscnt 0x700
	v_mul_f64_e32 v[120:121], v[110:111], v[128:129]
	v_mul_f64_e32 v[128:129], v[112:113], v[128:129]
	v_add_f64_e32 v[114:115], v[116:117], v[114:115]
	v_add_f64_e32 v[116:117], v[142:143], v[158:159]
	v_fmac_f64_e32 v[154:155], v[6:7], v[122:123]
	v_fma_f64 v[122:123], v[4:5], v[122:123], -v[124:125]
	v_fmac_f64_e32 v[120:121], v[112:113], v[126:127]
	v_fma_f64 v[110:111], v[110:111], v[126:127], -v[128:129]
	v_add_f64_e32 v[118:119], v[114:115], v[118:119]
	v_add_f64_e32 v[124:125], v[116:117], v[144:145]
	ds_load_b128 v[4:7], v2 offset:1232
	ds_load_b128 v[114:117], v2 offset:1248
	s_wait_loadcnt_dscnt 0x601
	v_mul_f64_e32 v[142:143], v[4:5], v[136:137]
	v_mul_f64_e32 v[136:137], v[6:7], v[136:137]
	v_add_f64_e32 v[112:113], v[118:119], v[122:123]
	v_add_f64_e32 v[118:119], v[124:125], v[154:155]
	s_wait_loadcnt_dscnt 0x500
	v_mul_f64_e32 v[122:123], v[114:115], v[148:149]
	v_mul_f64_e32 v[124:125], v[116:117], v[148:149]
	v_fmac_f64_e32 v[142:143], v[6:7], v[134:135]
	v_fma_f64 v[126:127], v[4:5], v[134:135], -v[136:137]
	v_add_f64_e32 v[128:129], v[112:113], v[110:111]
	v_add_f64_e32 v[118:119], v[118:119], v[120:121]
	ds_load_b128 v[4:7], v2 offset:1264
	ds_load_b128 v[110:113], v2 offset:1280
	v_fmac_f64_e32 v[122:123], v[116:117], v[146:147]
	v_fma_f64 v[114:115], v[114:115], v[146:147], -v[124:125]
	s_wait_loadcnt_dscnt 0x401
	v_mul_f64_e32 v[120:121], v[4:5], v[132:133]
	v_mul_f64_e32 v[132:133], v[6:7], v[132:133]
	s_wait_loadcnt_dscnt 0x300
	v_mul_f64_e32 v[124:125], v[110:111], v[10:11]
	v_mul_f64_e32 v[10:11], v[112:113], v[10:11]
	v_add_f64_e32 v[116:117], v[128:129], v[126:127]
	v_add_f64_e32 v[118:119], v[118:119], v[142:143]
	v_fmac_f64_e32 v[120:121], v[6:7], v[130:131]
	v_fma_f64 v[126:127], v[4:5], v[130:131], -v[132:133]
	v_fmac_f64_e32 v[124:125], v[112:113], v[8:9]
	v_fma_f64 v[8:9], v[110:111], v[8:9], -v[10:11]
	v_add_f64_e32 v[128:129], v[116:117], v[114:115]
	v_add_f64_e32 v[118:119], v[118:119], v[122:123]
	ds_load_b128 v[4:7], v2 offset:1296
	ds_load_b128 v[114:117], v2 offset:1312
	s_wait_loadcnt_dscnt 0x201
	v_mul_f64_e32 v[122:123], v[4:5], v[14:15]
	v_mul_f64_e32 v[14:15], v[6:7], v[14:15]
	s_wait_loadcnt_dscnt 0x100
	v_mul_f64_e32 v[112:113], v[114:115], v[18:19]
	v_mul_f64_e32 v[18:19], v[116:117], v[18:19]
	v_add_f64_e32 v[10:11], v[128:129], v[126:127]
	v_add_f64_e32 v[110:111], v[118:119], v[120:121]
	v_fmac_f64_e32 v[122:123], v[6:7], v[12:13]
	v_fma_f64 v[12:13], v[4:5], v[12:13], -v[14:15]
	ds_load_b128 v[4:7], v2 offset:1328
	v_fmac_f64_e32 v[112:113], v[116:117], v[16:17]
	v_fma_f64 v[16:17], v[114:115], v[16:17], -v[18:19]
	v_add_f64_e32 v[8:9], v[10:11], v[8:9]
	v_add_f64_e32 v[10:11], v[110:111], v[124:125]
	s_wait_loadcnt_dscnt 0x0
	v_mul_f64_e32 v[14:15], v[4:5], v[22:23]
	v_mul_f64_e32 v[22:23], v[6:7], v[22:23]
	s_delay_alu instid0(VALU_DEP_4) | instskip(NEXT) | instid1(VALU_DEP_4)
	v_add_f64_e32 v[8:9], v[8:9], v[12:13]
	v_add_f64_e32 v[10:11], v[10:11], v[122:123]
	s_delay_alu instid0(VALU_DEP_4) | instskip(NEXT) | instid1(VALU_DEP_4)
	v_fmac_f64_e32 v[14:15], v[6:7], v[20:21]
	v_fma_f64 v[4:5], v[4:5], v[20:21], -v[22:23]
	s_delay_alu instid0(VALU_DEP_4) | instskip(NEXT) | instid1(VALU_DEP_4)
	v_add_f64_e32 v[6:7], v[8:9], v[16:17]
	v_add_f64_e32 v[8:9], v[10:11], v[112:113]
	s_delay_alu instid0(VALU_DEP_2) | instskip(NEXT) | instid1(VALU_DEP_2)
	v_add_f64_e32 v[4:5], v[6:7], v[4:5]
	v_add_f64_e32 v[6:7], v[8:9], v[14:15]
	s_delay_alu instid0(VALU_DEP_2) | instskip(NEXT) | instid1(VALU_DEP_2)
	v_add_f64_e64 v[4:5], v[138:139], -v[4:5]
	v_add_f64_e64 v[6:7], v[140:141], -v[6:7]
	scratch_store_b128 off, v[4:7], off offset:192
	s_wait_xcnt 0x0
	v_cmpx_lt_u32_e32 11, v1
	s_cbranch_execz .LBB41_243
; %bb.242:
	scratch_load_b128 v[6:9], off, s49
	v_dual_mov_b32 v3, v2 :: v_dual_mov_b32 v4, v2
	v_mov_b32_e32 v5, v2
	scratch_store_b128 off, v[2:5], off offset:176
	s_wait_loadcnt 0x0
	ds_store_b128 v108, v[6:9]
.LBB41_243:
	s_wait_xcnt 0x0
	s_or_b32 exec_lo, exec_lo, s2
	s_wait_storecnt_dscnt 0x0
	s_barrier_signal -1
	s_barrier_wait -1
	s_clause 0x9
	scratch_load_b128 v[4:7], off, off offset:192
	scratch_load_b128 v[8:11], off, off offset:208
	;; [unrolled: 1-line block ×10, first 2 shown]
	ds_load_b128 v[130:133], v2 offset:864
	ds_load_b128 v[138:141], v2 offset:880
	s_clause 0x2
	scratch_load_b128 v[134:137], off, off offset:352
	scratch_load_b128 v[142:145], off, off offset:176
	;; [unrolled: 1-line block ×3, first 2 shown]
	s_mov_b32 s2, exec_lo
	s_wait_loadcnt_dscnt 0xc01
	v_mul_f64_e32 v[150:151], v[132:133], v[6:7]
	v_mul_f64_e32 v[154:155], v[130:131], v[6:7]
	s_wait_loadcnt_dscnt 0xb00
	v_mul_f64_e32 v[156:157], v[138:139], v[10:11]
	v_mul_f64_e32 v[10:11], v[140:141], v[10:11]
	s_delay_alu instid0(VALU_DEP_4) | instskip(NEXT) | instid1(VALU_DEP_4)
	v_fma_f64 v[158:159], v[130:131], v[4:5], -v[150:151]
	v_fmac_f64_e32 v[154:155], v[132:133], v[4:5]
	ds_load_b128 v[4:7], v2 offset:896
	ds_load_b128 v[130:133], v2 offset:912
	scratch_load_b128 v[150:153], off, off offset:384
	v_fmac_f64_e32 v[156:157], v[140:141], v[8:9]
	v_fma_f64 v[138:139], v[138:139], v[8:9], -v[10:11]
	scratch_load_b128 v[8:11], off, off offset:400
	s_wait_loadcnt_dscnt 0xc01
	v_mul_f64_e32 v[160:161], v[4:5], v[14:15]
	v_mul_f64_e32 v[14:15], v[6:7], v[14:15]
	v_add_f64_e32 v[140:141], 0, v[158:159]
	v_add_f64_e32 v[154:155], 0, v[154:155]
	s_wait_loadcnt_dscnt 0xb00
	v_mul_f64_e32 v[158:159], v[130:131], v[18:19]
	v_mul_f64_e32 v[18:19], v[132:133], v[18:19]
	v_fmac_f64_e32 v[160:161], v[6:7], v[12:13]
	v_fma_f64 v[162:163], v[4:5], v[12:13], -v[14:15]
	ds_load_b128 v[4:7], v2 offset:928
	ds_load_b128 v[12:15], v2 offset:944
	v_add_f64_e32 v[164:165], v[140:141], v[138:139]
	v_add_f64_e32 v[154:155], v[154:155], v[156:157]
	scratch_load_b128 v[138:141], off, off offset:416
	v_fmac_f64_e32 v[158:159], v[132:133], v[16:17]
	v_fma_f64 v[130:131], v[130:131], v[16:17], -v[18:19]
	scratch_load_b128 v[16:19], off, off offset:432
	s_wait_loadcnt_dscnt 0xc01
	v_mul_f64_e32 v[156:157], v[4:5], v[22:23]
	v_mul_f64_e32 v[22:23], v[6:7], v[22:23]
	v_add_f64_e32 v[132:133], v[164:165], v[162:163]
	v_add_f64_e32 v[154:155], v[154:155], v[160:161]
	s_wait_loadcnt_dscnt 0xb00
	v_mul_f64_e32 v[160:161], v[12:13], v[112:113]
	v_mul_f64_e32 v[112:113], v[14:15], v[112:113]
	v_fmac_f64_e32 v[156:157], v[6:7], v[20:21]
	v_fma_f64 v[162:163], v[4:5], v[20:21], -v[22:23]
	ds_load_b128 v[4:7], v2 offset:960
	ds_load_b128 v[20:23], v2 offset:976
	v_add_f64_e32 v[164:165], v[132:133], v[130:131]
	v_add_f64_e32 v[154:155], v[154:155], v[158:159]
	scratch_load_b128 v[130:133], off, off offset:448
	s_wait_loadcnt_dscnt 0xb01
	v_mul_f64_e32 v[158:159], v[4:5], v[116:117]
	v_mul_f64_e32 v[116:117], v[6:7], v[116:117]
	v_fmac_f64_e32 v[160:161], v[14:15], v[110:111]
	v_fma_f64 v[110:111], v[12:13], v[110:111], -v[112:113]
	scratch_load_b128 v[12:15], off, off offset:464
	v_add_f64_e32 v[112:113], v[164:165], v[162:163]
	v_add_f64_e32 v[154:155], v[154:155], v[156:157]
	s_wait_loadcnt_dscnt 0xb00
	v_mul_f64_e32 v[156:157], v[20:21], v[120:121]
	v_mul_f64_e32 v[120:121], v[22:23], v[120:121]
	v_fmac_f64_e32 v[158:159], v[6:7], v[114:115]
	v_fma_f64 v[162:163], v[4:5], v[114:115], -v[116:117]
	v_add_f64_e32 v[164:165], v[112:113], v[110:111]
	v_add_f64_e32 v[154:155], v[154:155], v[160:161]
	ds_load_b128 v[4:7], v2 offset:992
	ds_load_b128 v[110:113], v2 offset:1008
	scratch_load_b128 v[114:117], off, off offset:480
	v_fmac_f64_e32 v[156:157], v[22:23], v[118:119]
	v_fma_f64 v[118:119], v[20:21], v[118:119], -v[120:121]
	scratch_load_b128 v[20:23], off, off offset:496
	s_wait_loadcnt_dscnt 0xc01
	v_mul_f64_e32 v[160:161], v[4:5], v[124:125]
	v_mul_f64_e32 v[124:125], v[6:7], v[124:125]
	v_add_f64_e32 v[120:121], v[164:165], v[162:163]
	v_add_f64_e32 v[154:155], v[154:155], v[158:159]
	s_wait_loadcnt_dscnt 0xb00
	v_mul_f64_e32 v[158:159], v[110:111], v[128:129]
	v_mul_f64_e32 v[128:129], v[112:113], v[128:129]
	v_fmac_f64_e32 v[160:161], v[6:7], v[122:123]
	v_fma_f64 v[162:163], v[4:5], v[122:123], -v[124:125]
	v_add_f64_e32 v[164:165], v[120:121], v[118:119]
	v_add_f64_e32 v[154:155], v[154:155], v[156:157]
	ds_load_b128 v[4:7], v2 offset:1024
	ds_load_b128 v[118:121], v2 offset:1040
	scratch_load_b128 v[122:125], off, off offset:512
	v_fmac_f64_e32 v[158:159], v[112:113], v[126:127]
	v_fma_f64 v[126:127], v[110:111], v[126:127], -v[128:129]
	scratch_load_b128 v[110:113], off, off offset:528
	s_wait_loadcnt_dscnt 0xc01
	v_mul_f64_e32 v[156:157], v[4:5], v[136:137]
	v_mul_f64_e32 v[136:137], v[6:7], v[136:137]
	;; [unrolled: 18-line block ×5, first 2 shown]
	v_add_f64_e32 v[148:149], v[164:165], v[162:163]
	v_add_f64_e32 v[154:155], v[154:155], v[160:161]
	s_wait_loadcnt_dscnt 0xa00
	v_mul_f64_e32 v[160:161], v[126:127], v[14:15]
	v_mul_f64_e32 v[14:15], v[128:129], v[14:15]
	v_fmac_f64_e32 v[156:157], v[6:7], v[130:131]
	v_fma_f64 v[162:163], v[4:5], v[130:131], -v[132:133]
	ds_load_b128 v[4:7], v2 offset:1152
	ds_load_b128 v[130:133], v2 offset:1168
	v_add_f64_e32 v[164:165], v[148:149], v[146:147]
	v_add_f64_e32 v[154:155], v[154:155], v[158:159]
	scratch_load_b128 v[146:149], off, off offset:640
	v_fmac_f64_e32 v[160:161], v[128:129], v[12:13]
	v_fma_f64 v[126:127], v[126:127], v[12:13], -v[14:15]
	scratch_load_b128 v[12:15], off, off offset:656
	s_wait_loadcnt_dscnt 0xb01
	v_mul_f64_e32 v[158:159], v[4:5], v[116:117]
	v_mul_f64_e32 v[116:117], v[6:7], v[116:117]
	v_add_f64_e32 v[128:129], v[164:165], v[162:163]
	v_add_f64_e32 v[154:155], v[154:155], v[156:157]
	s_wait_loadcnt_dscnt 0xa00
	v_mul_f64_e32 v[156:157], v[130:131], v[22:23]
	v_mul_f64_e32 v[22:23], v[132:133], v[22:23]
	v_fmac_f64_e32 v[158:159], v[6:7], v[114:115]
	v_fma_f64 v[162:163], v[4:5], v[114:115], -v[116:117]
	ds_load_b128 v[4:7], v2 offset:1184
	ds_load_b128 v[114:117], v2 offset:1200
	v_add_f64_e32 v[126:127], v[128:129], v[126:127]
	v_add_f64_e32 v[128:129], v[154:155], v[160:161]
	v_fmac_f64_e32 v[156:157], v[132:133], v[20:21]
	s_wait_loadcnt_dscnt 0x901
	v_mul_f64_e32 v[154:155], v[4:5], v[124:125]
	v_mul_f64_e32 v[124:125], v[6:7], v[124:125]
	v_fma_f64 v[20:21], v[130:131], v[20:21], -v[22:23]
	v_add_f64_e32 v[22:23], v[126:127], v[162:163]
	v_add_f64_e32 v[126:127], v[128:129], v[158:159]
	s_wait_loadcnt_dscnt 0x800
	v_mul_f64_e32 v[128:129], v[114:115], v[112:113]
	v_mul_f64_e32 v[112:113], v[116:117], v[112:113]
	v_fmac_f64_e32 v[154:155], v[6:7], v[122:123]
	v_fma_f64 v[122:123], v[4:5], v[122:123], -v[124:125]
	v_add_f64_e32 v[124:125], v[22:23], v[20:21]
	v_add_f64_e32 v[126:127], v[126:127], v[156:157]
	ds_load_b128 v[4:7], v2 offset:1216
	ds_load_b128 v[20:23], v2 offset:1232
	v_fmac_f64_e32 v[128:129], v[116:117], v[110:111]
	v_fma_f64 v[110:111], v[114:115], v[110:111], -v[112:113]
	s_wait_loadcnt_dscnt 0x701
	v_mul_f64_e32 v[130:131], v[4:5], v[136:137]
	v_mul_f64_e32 v[132:133], v[6:7], v[136:137]
	s_wait_loadcnt_dscnt 0x600
	v_mul_f64_e32 v[116:117], v[20:21], v[120:121]
	v_mul_f64_e32 v[120:121], v[22:23], v[120:121]
	v_add_f64_e32 v[112:113], v[124:125], v[122:123]
	v_add_f64_e32 v[114:115], v[126:127], v[154:155]
	v_fmac_f64_e32 v[130:131], v[6:7], v[134:135]
	v_fma_f64 v[122:123], v[4:5], v[134:135], -v[132:133]
	v_fmac_f64_e32 v[116:117], v[22:23], v[118:119]
	v_fma_f64 v[20:21], v[20:21], v[118:119], -v[120:121]
	v_add_f64_e32 v[124:125], v[112:113], v[110:111]
	v_add_f64_e32 v[114:115], v[114:115], v[128:129]
	ds_load_b128 v[4:7], v2 offset:1248
	ds_load_b128 v[110:113], v2 offset:1264
	s_wait_loadcnt_dscnt 0x501
	v_mul_f64_e32 v[126:127], v[4:5], v[152:153]
	v_mul_f64_e32 v[128:129], v[6:7], v[152:153]
	s_wait_loadcnt_dscnt 0x400
	v_mul_f64_e32 v[118:119], v[110:111], v[10:11]
	v_mul_f64_e32 v[10:11], v[112:113], v[10:11]
	v_add_f64_e32 v[22:23], v[124:125], v[122:123]
	v_add_f64_e32 v[114:115], v[114:115], v[130:131]
	v_fmac_f64_e32 v[126:127], v[6:7], v[150:151]
	v_fma_f64 v[120:121], v[4:5], v[150:151], -v[128:129]
	v_fmac_f64_e32 v[118:119], v[112:113], v[8:9]
	v_fma_f64 v[8:9], v[110:111], v[8:9], -v[10:11]
	v_add_f64_e32 v[122:123], v[22:23], v[20:21]
	v_add_f64_e32 v[114:115], v[114:115], v[116:117]
	ds_load_b128 v[4:7], v2 offset:1280
	ds_load_b128 v[20:23], v2 offset:1296
	;; [unrolled: 16-line block ×3, first 2 shown]
	s_wait_loadcnt_dscnt 0x101
	v_mul_f64_e32 v[2:3], v[4:5], v[148:149]
	v_mul_f64_e32 v[118:119], v[6:7], v[148:149]
	s_wait_loadcnt_dscnt 0x0
	v_mul_f64_e32 v[22:23], v[8:9], v[14:15]
	v_mul_f64_e32 v[14:15], v[10:11], v[14:15]
	v_add_f64_e32 v[18:19], v[120:121], v[114:115]
	v_add_f64_e32 v[20:21], v[110:111], v[116:117]
	v_fmac_f64_e32 v[2:3], v[6:7], v[146:147]
	v_fma_f64 v[4:5], v[4:5], v[146:147], -v[118:119]
	v_fmac_f64_e32 v[22:23], v[10:11], v[12:13]
	v_fma_f64 v[8:9], v[8:9], v[12:13], -v[14:15]
	v_add_f64_e32 v[6:7], v[18:19], v[16:17]
	v_add_f64_e32 v[16:17], v[20:21], v[112:113]
	s_delay_alu instid0(VALU_DEP_2) | instskip(NEXT) | instid1(VALU_DEP_2)
	v_add_f64_e32 v[4:5], v[6:7], v[4:5]
	v_add_f64_e32 v[2:3], v[16:17], v[2:3]
	s_delay_alu instid0(VALU_DEP_2) | instskip(NEXT) | instid1(VALU_DEP_2)
	;; [unrolled: 3-line block ×3, first 2 shown]
	v_add_f64_e64 v[2:3], v[142:143], -v[4:5]
	v_add_f64_e64 v[4:5], v[144:145], -v[6:7]
	scratch_store_b128 off, v[2:5], off offset:176
	s_wait_xcnt 0x0
	v_cmpx_lt_u32_e32 10, v1
	s_cbranch_execz .LBB41_245
; %bb.244:
	scratch_load_b128 v[2:5], off, s46
	v_mov_b32_e32 v6, 0
	s_delay_alu instid0(VALU_DEP_1)
	v_dual_mov_b32 v7, v6 :: v_dual_mov_b32 v8, v6
	v_mov_b32_e32 v9, v6
	scratch_store_b128 off, v[6:9], off offset:160
	s_wait_loadcnt 0x0
	ds_store_b128 v108, v[2:5]
.LBB41_245:
	s_wait_xcnt 0x0
	s_or_b32 exec_lo, exec_lo, s2
	s_wait_storecnt_dscnt 0x0
	s_barrier_signal -1
	s_barrier_wait -1
	s_clause 0x9
	scratch_load_b128 v[4:7], off, off offset:176
	scratch_load_b128 v[8:11], off, off offset:192
	;; [unrolled: 1-line block ×10, first 2 shown]
	v_mov_b32_e32 v2, 0
	s_mov_b32 s2, exec_lo
	ds_load_b128 v[130:133], v2 offset:848
	s_clause 0x2
	scratch_load_b128 v[134:137], off, off offset:336
	scratch_load_b128 v[138:141], off, off offset:160
	;; [unrolled: 1-line block ×3, first 2 shown]
	s_wait_loadcnt_dscnt 0xc00
	v_mul_f64_e32 v[150:151], v[132:133], v[6:7]
	v_mul_f64_e32 v[154:155], v[130:131], v[6:7]
	ds_load_b128 v[142:145], v2 offset:864
	v_fma_f64 v[158:159], v[130:131], v[4:5], -v[150:151]
	v_fmac_f64_e32 v[154:155], v[132:133], v[4:5]
	ds_load_b128 v[4:7], v2 offset:880
	s_wait_loadcnt_dscnt 0xb01
	v_mul_f64_e32 v[156:157], v[142:143], v[10:11]
	v_mul_f64_e32 v[10:11], v[144:145], v[10:11]
	scratch_load_b128 v[130:133], off, off offset:368
	ds_load_b128 v[150:153], v2 offset:896
	s_wait_loadcnt_dscnt 0xb01
	v_mul_f64_e32 v[160:161], v[4:5], v[14:15]
	v_mul_f64_e32 v[14:15], v[6:7], v[14:15]
	v_add_f64_e32 v[154:155], 0, v[154:155]
	v_fmac_f64_e32 v[156:157], v[144:145], v[8:9]
	v_fma_f64 v[142:143], v[142:143], v[8:9], -v[10:11]
	v_add_f64_e32 v[144:145], 0, v[158:159]
	scratch_load_b128 v[8:11], off, off offset:384
	v_fmac_f64_e32 v[160:161], v[6:7], v[12:13]
	v_fma_f64 v[162:163], v[4:5], v[12:13], -v[14:15]
	ds_load_b128 v[4:7], v2 offset:912
	s_wait_loadcnt_dscnt 0xb01
	v_mul_f64_e32 v[158:159], v[150:151], v[18:19]
	v_mul_f64_e32 v[18:19], v[152:153], v[18:19]
	scratch_load_b128 v[12:15], off, off offset:400
	v_add_f64_e32 v[154:155], v[154:155], v[156:157]
	v_add_f64_e32 v[164:165], v[144:145], v[142:143]
	ds_load_b128 v[142:145], v2 offset:928
	s_wait_loadcnt_dscnt 0xb01
	v_mul_f64_e32 v[156:157], v[4:5], v[22:23]
	v_mul_f64_e32 v[22:23], v[6:7], v[22:23]
	v_fmac_f64_e32 v[158:159], v[152:153], v[16:17]
	v_fma_f64 v[150:151], v[150:151], v[16:17], -v[18:19]
	scratch_load_b128 v[16:19], off, off offset:416
	v_add_f64_e32 v[154:155], v[154:155], v[160:161]
	v_add_f64_e32 v[152:153], v[164:165], v[162:163]
	v_fmac_f64_e32 v[156:157], v[6:7], v[20:21]
	v_fma_f64 v[162:163], v[4:5], v[20:21], -v[22:23]
	ds_load_b128 v[4:7], v2 offset:944
	s_wait_loadcnt_dscnt 0xb01
	v_mul_f64_e32 v[160:161], v[142:143], v[112:113]
	v_mul_f64_e32 v[112:113], v[144:145], v[112:113]
	scratch_load_b128 v[20:23], off, off offset:432
	v_add_f64_e32 v[154:155], v[154:155], v[158:159]
	s_wait_loadcnt_dscnt 0xb00
	v_mul_f64_e32 v[158:159], v[4:5], v[116:117]
	v_add_f64_e32 v[164:165], v[152:153], v[150:151]
	v_mul_f64_e32 v[116:117], v[6:7], v[116:117]
	ds_load_b128 v[150:153], v2 offset:960
	v_fmac_f64_e32 v[160:161], v[144:145], v[110:111]
	v_fma_f64 v[142:143], v[142:143], v[110:111], -v[112:113]
	scratch_load_b128 v[110:113], off, off offset:448
	v_add_f64_e32 v[154:155], v[154:155], v[156:157]
	v_fmac_f64_e32 v[158:159], v[6:7], v[114:115]
	v_add_f64_e32 v[144:145], v[164:165], v[162:163]
	v_fma_f64 v[162:163], v[4:5], v[114:115], -v[116:117]
	ds_load_b128 v[4:7], v2 offset:976
	s_wait_loadcnt_dscnt 0xb01
	v_mul_f64_e32 v[156:157], v[150:151], v[120:121]
	v_mul_f64_e32 v[120:121], v[152:153], v[120:121]
	scratch_load_b128 v[114:117], off, off offset:464
	v_add_f64_e32 v[154:155], v[154:155], v[160:161]
	s_wait_loadcnt_dscnt 0xb00
	v_mul_f64_e32 v[160:161], v[4:5], v[124:125]
	v_add_f64_e32 v[164:165], v[144:145], v[142:143]
	v_mul_f64_e32 v[124:125], v[6:7], v[124:125]
	ds_load_b128 v[142:145], v2 offset:992
	v_fmac_f64_e32 v[156:157], v[152:153], v[118:119]
	v_fma_f64 v[150:151], v[150:151], v[118:119], -v[120:121]
	scratch_load_b128 v[118:121], off, off offset:480
	v_add_f64_e32 v[154:155], v[154:155], v[158:159]
	v_fmac_f64_e32 v[160:161], v[6:7], v[122:123]
	v_add_f64_e32 v[152:153], v[164:165], v[162:163]
	;; [unrolled: 18-line block ×3, first 2 shown]
	v_fma_f64 v[162:163], v[4:5], v[134:135], -v[136:137]
	ds_load_b128 v[4:7], v2 offset:1040
	s_wait_loadcnt_dscnt 0xa01
	v_mul_f64_e32 v[160:161], v[150:151], v[148:149]
	v_mul_f64_e32 v[148:149], v[152:153], v[148:149]
	scratch_load_b128 v[134:137], off, off offset:528
	v_add_f64_e32 v[154:155], v[154:155], v[158:159]
	v_add_f64_e32 v[164:165], v[144:145], v[142:143]
	s_wait_loadcnt_dscnt 0xa00
	v_mul_f64_e32 v[158:159], v[4:5], v[132:133]
	v_mul_f64_e32 v[132:133], v[6:7], v[132:133]
	v_fmac_f64_e32 v[160:161], v[152:153], v[146:147]
	v_fma_f64 v[150:151], v[150:151], v[146:147], -v[148:149]
	ds_load_b128 v[142:145], v2 offset:1056
	scratch_load_b128 v[146:149], off, off offset:544
	v_add_f64_e32 v[154:155], v[154:155], v[156:157]
	v_add_f64_e32 v[152:153], v[164:165], v[162:163]
	v_fmac_f64_e32 v[158:159], v[6:7], v[130:131]
	v_fma_f64 v[162:163], v[4:5], v[130:131], -v[132:133]
	ds_load_b128 v[4:7], v2 offset:1072
	s_wait_loadcnt_dscnt 0xa01
	v_mul_f64_e32 v[156:157], v[142:143], v[10:11]
	v_mul_f64_e32 v[10:11], v[144:145], v[10:11]
	scratch_load_b128 v[130:133], off, off offset:560
	v_add_f64_e32 v[154:155], v[154:155], v[160:161]
	s_wait_loadcnt_dscnt 0xa00
	v_mul_f64_e32 v[160:161], v[4:5], v[14:15]
	v_add_f64_e32 v[164:165], v[152:153], v[150:151]
	v_mul_f64_e32 v[14:15], v[6:7], v[14:15]
	ds_load_b128 v[150:153], v2 offset:1088
	v_fmac_f64_e32 v[156:157], v[144:145], v[8:9]
	v_fma_f64 v[142:143], v[142:143], v[8:9], -v[10:11]
	scratch_load_b128 v[8:11], off, off offset:576
	v_add_f64_e32 v[154:155], v[154:155], v[158:159]
	v_fmac_f64_e32 v[160:161], v[6:7], v[12:13]
	v_add_f64_e32 v[144:145], v[164:165], v[162:163]
	v_fma_f64 v[162:163], v[4:5], v[12:13], -v[14:15]
	ds_load_b128 v[4:7], v2 offset:1104
	s_wait_loadcnt_dscnt 0xa01
	v_mul_f64_e32 v[158:159], v[150:151], v[18:19]
	v_mul_f64_e32 v[18:19], v[152:153], v[18:19]
	scratch_load_b128 v[12:15], off, off offset:592
	v_add_f64_e32 v[154:155], v[154:155], v[156:157]
	s_wait_loadcnt_dscnt 0xa00
	v_mul_f64_e32 v[156:157], v[4:5], v[22:23]
	v_add_f64_e32 v[164:165], v[144:145], v[142:143]
	v_mul_f64_e32 v[22:23], v[6:7], v[22:23]
	ds_load_b128 v[142:145], v2 offset:1120
	v_fmac_f64_e32 v[158:159], v[152:153], v[16:17]
	v_fma_f64 v[150:151], v[150:151], v[16:17], -v[18:19]
	scratch_load_b128 v[16:19], off, off offset:608
	v_add_f64_e32 v[154:155], v[154:155], v[160:161]
	v_fmac_f64_e32 v[156:157], v[6:7], v[20:21]
	v_add_f64_e32 v[152:153], v[164:165], v[162:163]
	;; [unrolled: 18-line block ×3, first 2 shown]
	v_fma_f64 v[162:163], v[4:5], v[114:115], -v[116:117]
	ds_load_b128 v[4:7], v2 offset:1168
	s_wait_loadcnt_dscnt 0xa01
	v_mul_f64_e32 v[156:157], v[150:151], v[120:121]
	v_mul_f64_e32 v[120:121], v[152:153], v[120:121]
	scratch_load_b128 v[114:117], off, off offset:656
	v_add_f64_e32 v[154:155], v[154:155], v[160:161]
	s_wait_loadcnt_dscnt 0xa00
	v_mul_f64_e32 v[160:161], v[4:5], v[124:125]
	v_add_f64_e32 v[164:165], v[144:145], v[142:143]
	v_mul_f64_e32 v[124:125], v[6:7], v[124:125]
	ds_load_b128 v[142:145], v2 offset:1184
	v_fmac_f64_e32 v[156:157], v[152:153], v[118:119]
	v_fma_f64 v[118:119], v[150:151], v[118:119], -v[120:121]
	s_wait_loadcnt_dscnt 0x900
	v_mul_f64_e32 v[152:153], v[142:143], v[128:129]
	v_mul_f64_e32 v[128:129], v[144:145], v[128:129]
	v_add_f64_e32 v[150:151], v[154:155], v[158:159]
	v_fmac_f64_e32 v[160:161], v[6:7], v[122:123]
	v_add_f64_e32 v[120:121], v[164:165], v[162:163]
	v_fma_f64 v[122:123], v[4:5], v[122:123], -v[124:125]
	v_fmac_f64_e32 v[152:153], v[144:145], v[126:127]
	v_fma_f64 v[126:127], v[142:143], v[126:127], -v[128:129]
	v_add_f64_e32 v[150:151], v[150:151], v[156:157]
	v_add_f64_e32 v[124:125], v[120:121], v[118:119]
	ds_load_b128 v[4:7], v2 offset:1200
	ds_load_b128 v[118:121], v2 offset:1216
	s_wait_loadcnt_dscnt 0x801
	v_mul_f64_e32 v[154:155], v[4:5], v[136:137]
	v_mul_f64_e32 v[136:137], v[6:7], v[136:137]
	s_wait_loadcnt_dscnt 0x700
	v_mul_f64_e32 v[128:129], v[118:119], v[148:149]
	v_mul_f64_e32 v[142:143], v[120:121], v[148:149]
	v_add_f64_e32 v[122:123], v[124:125], v[122:123]
	v_add_f64_e32 v[124:125], v[150:151], v[160:161]
	v_fmac_f64_e32 v[154:155], v[6:7], v[134:135]
	v_fma_f64 v[134:135], v[4:5], v[134:135], -v[136:137]
	v_fmac_f64_e32 v[128:129], v[120:121], v[146:147]
	v_fma_f64 v[118:119], v[118:119], v[146:147], -v[142:143]
	v_add_f64_e32 v[126:127], v[122:123], v[126:127]
	v_add_f64_e32 v[136:137], v[124:125], v[152:153]
	ds_load_b128 v[4:7], v2 offset:1232
	ds_load_b128 v[122:125], v2 offset:1248
	s_wait_loadcnt_dscnt 0x601
	v_mul_f64_e32 v[144:145], v[4:5], v[132:133]
	v_mul_f64_e32 v[132:133], v[6:7], v[132:133]
	v_add_f64_e32 v[120:121], v[126:127], v[134:135]
	v_add_f64_e32 v[126:127], v[136:137], v[154:155]
	s_wait_loadcnt_dscnt 0x500
	v_mul_f64_e32 v[134:135], v[122:123], v[10:11]
	v_mul_f64_e32 v[10:11], v[124:125], v[10:11]
	v_fmac_f64_e32 v[144:145], v[6:7], v[130:131]
	v_fma_f64 v[130:131], v[4:5], v[130:131], -v[132:133]
	v_add_f64_e32 v[132:133], v[120:121], v[118:119]
	v_add_f64_e32 v[126:127], v[126:127], v[128:129]
	ds_load_b128 v[4:7], v2 offset:1264
	ds_load_b128 v[118:121], v2 offset:1280
	v_fmac_f64_e32 v[134:135], v[124:125], v[8:9]
	v_fma_f64 v[8:9], v[122:123], v[8:9], -v[10:11]
	s_wait_loadcnt_dscnt 0x401
	v_mul_f64_e32 v[128:129], v[4:5], v[14:15]
	v_mul_f64_e32 v[14:15], v[6:7], v[14:15]
	s_wait_loadcnt_dscnt 0x300
	v_mul_f64_e32 v[124:125], v[118:119], v[18:19]
	v_mul_f64_e32 v[18:19], v[120:121], v[18:19]
	v_add_f64_e32 v[10:11], v[132:133], v[130:131]
	v_add_f64_e32 v[122:123], v[126:127], v[144:145]
	v_fmac_f64_e32 v[128:129], v[6:7], v[12:13]
	v_fma_f64 v[12:13], v[4:5], v[12:13], -v[14:15]
	v_fmac_f64_e32 v[124:125], v[120:121], v[16:17]
	v_fma_f64 v[16:17], v[118:119], v[16:17], -v[18:19]
	v_add_f64_e32 v[14:15], v[10:11], v[8:9]
	v_add_f64_e32 v[122:123], v[122:123], v[134:135]
	ds_load_b128 v[4:7], v2 offset:1296
	ds_load_b128 v[8:11], v2 offset:1312
	s_wait_loadcnt_dscnt 0x201
	v_mul_f64_e32 v[126:127], v[4:5], v[22:23]
	v_mul_f64_e32 v[22:23], v[6:7], v[22:23]
	s_wait_loadcnt_dscnt 0x100
	v_mul_f64_e32 v[18:19], v[8:9], v[112:113]
	v_mul_f64_e32 v[112:113], v[10:11], v[112:113]
	v_add_f64_e32 v[12:13], v[14:15], v[12:13]
	v_add_f64_e32 v[14:15], v[122:123], v[128:129]
	v_fmac_f64_e32 v[126:127], v[6:7], v[20:21]
	v_fma_f64 v[20:21], v[4:5], v[20:21], -v[22:23]
	ds_load_b128 v[4:7], v2 offset:1328
	v_fmac_f64_e32 v[18:19], v[10:11], v[110:111]
	v_fma_f64 v[8:9], v[8:9], v[110:111], -v[112:113]
	v_add_f64_e32 v[12:13], v[12:13], v[16:17]
	v_add_f64_e32 v[14:15], v[14:15], v[124:125]
	s_wait_loadcnt_dscnt 0x0
	v_mul_f64_e32 v[16:17], v[4:5], v[116:117]
	v_mul_f64_e32 v[22:23], v[6:7], v[116:117]
	s_delay_alu instid0(VALU_DEP_4) | instskip(NEXT) | instid1(VALU_DEP_4)
	v_add_f64_e32 v[10:11], v[12:13], v[20:21]
	v_add_f64_e32 v[12:13], v[14:15], v[126:127]
	s_delay_alu instid0(VALU_DEP_4) | instskip(NEXT) | instid1(VALU_DEP_4)
	v_fmac_f64_e32 v[16:17], v[6:7], v[114:115]
	v_fma_f64 v[4:5], v[4:5], v[114:115], -v[22:23]
	s_delay_alu instid0(VALU_DEP_4) | instskip(NEXT) | instid1(VALU_DEP_4)
	v_add_f64_e32 v[6:7], v[10:11], v[8:9]
	v_add_f64_e32 v[8:9], v[12:13], v[18:19]
	s_delay_alu instid0(VALU_DEP_2) | instskip(NEXT) | instid1(VALU_DEP_2)
	v_add_f64_e32 v[4:5], v[6:7], v[4:5]
	v_add_f64_e32 v[6:7], v[8:9], v[16:17]
	s_delay_alu instid0(VALU_DEP_2) | instskip(NEXT) | instid1(VALU_DEP_2)
	v_add_f64_e64 v[4:5], v[138:139], -v[4:5]
	v_add_f64_e64 v[6:7], v[140:141], -v[6:7]
	scratch_store_b128 off, v[4:7], off offset:160
	s_wait_xcnt 0x0
	v_cmpx_lt_u32_e32 9, v1
	s_cbranch_execz .LBB41_247
; %bb.246:
	scratch_load_b128 v[6:9], off, s44
	v_dual_mov_b32 v3, v2 :: v_dual_mov_b32 v4, v2
	v_mov_b32_e32 v5, v2
	scratch_store_b128 off, v[2:5], off offset:144
	s_wait_loadcnt 0x0
	ds_store_b128 v108, v[6:9]
.LBB41_247:
	s_wait_xcnt 0x0
	s_or_b32 exec_lo, exec_lo, s2
	s_wait_storecnt_dscnt 0x0
	s_barrier_signal -1
	s_barrier_wait -1
	s_clause 0x9
	scratch_load_b128 v[4:7], off, off offset:160
	scratch_load_b128 v[8:11], off, off offset:176
	;; [unrolled: 1-line block ×10, first 2 shown]
	ds_load_b128 v[130:133], v2 offset:832
	ds_load_b128 v[138:141], v2 offset:848
	s_clause 0x2
	scratch_load_b128 v[134:137], off, off offset:320
	scratch_load_b128 v[142:145], off, off offset:144
	;; [unrolled: 1-line block ×3, first 2 shown]
	s_mov_b32 s2, exec_lo
	s_wait_loadcnt_dscnt 0xc01
	v_mul_f64_e32 v[150:151], v[132:133], v[6:7]
	v_mul_f64_e32 v[154:155], v[130:131], v[6:7]
	s_wait_loadcnt_dscnt 0xb00
	v_mul_f64_e32 v[156:157], v[138:139], v[10:11]
	v_mul_f64_e32 v[10:11], v[140:141], v[10:11]
	s_delay_alu instid0(VALU_DEP_4) | instskip(NEXT) | instid1(VALU_DEP_4)
	v_fma_f64 v[158:159], v[130:131], v[4:5], -v[150:151]
	v_fmac_f64_e32 v[154:155], v[132:133], v[4:5]
	ds_load_b128 v[4:7], v2 offset:864
	ds_load_b128 v[130:133], v2 offset:880
	scratch_load_b128 v[150:153], off, off offset:352
	v_fmac_f64_e32 v[156:157], v[140:141], v[8:9]
	v_fma_f64 v[138:139], v[138:139], v[8:9], -v[10:11]
	scratch_load_b128 v[8:11], off, off offset:368
	s_wait_loadcnt_dscnt 0xc01
	v_mul_f64_e32 v[160:161], v[4:5], v[14:15]
	v_mul_f64_e32 v[14:15], v[6:7], v[14:15]
	v_add_f64_e32 v[140:141], 0, v[158:159]
	v_add_f64_e32 v[154:155], 0, v[154:155]
	s_wait_loadcnt_dscnt 0xb00
	v_mul_f64_e32 v[158:159], v[130:131], v[18:19]
	v_mul_f64_e32 v[18:19], v[132:133], v[18:19]
	v_fmac_f64_e32 v[160:161], v[6:7], v[12:13]
	v_fma_f64 v[162:163], v[4:5], v[12:13], -v[14:15]
	ds_load_b128 v[4:7], v2 offset:896
	ds_load_b128 v[12:15], v2 offset:912
	v_add_f64_e32 v[164:165], v[140:141], v[138:139]
	v_add_f64_e32 v[154:155], v[154:155], v[156:157]
	scratch_load_b128 v[138:141], off, off offset:384
	v_fmac_f64_e32 v[158:159], v[132:133], v[16:17]
	v_fma_f64 v[130:131], v[130:131], v[16:17], -v[18:19]
	scratch_load_b128 v[16:19], off, off offset:400
	s_wait_loadcnt_dscnt 0xc01
	v_mul_f64_e32 v[156:157], v[4:5], v[22:23]
	v_mul_f64_e32 v[22:23], v[6:7], v[22:23]
	v_add_f64_e32 v[132:133], v[164:165], v[162:163]
	v_add_f64_e32 v[154:155], v[154:155], v[160:161]
	s_wait_loadcnt_dscnt 0xb00
	v_mul_f64_e32 v[160:161], v[12:13], v[112:113]
	v_mul_f64_e32 v[112:113], v[14:15], v[112:113]
	v_fmac_f64_e32 v[156:157], v[6:7], v[20:21]
	v_fma_f64 v[162:163], v[4:5], v[20:21], -v[22:23]
	ds_load_b128 v[4:7], v2 offset:928
	ds_load_b128 v[20:23], v2 offset:944
	v_add_f64_e32 v[164:165], v[132:133], v[130:131]
	v_add_f64_e32 v[154:155], v[154:155], v[158:159]
	scratch_load_b128 v[130:133], off, off offset:416
	s_wait_loadcnt_dscnt 0xb01
	v_mul_f64_e32 v[158:159], v[4:5], v[116:117]
	v_mul_f64_e32 v[116:117], v[6:7], v[116:117]
	v_fmac_f64_e32 v[160:161], v[14:15], v[110:111]
	v_fma_f64 v[110:111], v[12:13], v[110:111], -v[112:113]
	scratch_load_b128 v[12:15], off, off offset:432
	v_add_f64_e32 v[112:113], v[164:165], v[162:163]
	v_add_f64_e32 v[154:155], v[154:155], v[156:157]
	s_wait_loadcnt_dscnt 0xb00
	v_mul_f64_e32 v[156:157], v[20:21], v[120:121]
	v_mul_f64_e32 v[120:121], v[22:23], v[120:121]
	v_fmac_f64_e32 v[158:159], v[6:7], v[114:115]
	v_fma_f64 v[162:163], v[4:5], v[114:115], -v[116:117]
	v_add_f64_e32 v[164:165], v[112:113], v[110:111]
	v_add_f64_e32 v[154:155], v[154:155], v[160:161]
	ds_load_b128 v[4:7], v2 offset:960
	ds_load_b128 v[110:113], v2 offset:976
	scratch_load_b128 v[114:117], off, off offset:448
	v_fmac_f64_e32 v[156:157], v[22:23], v[118:119]
	v_fma_f64 v[118:119], v[20:21], v[118:119], -v[120:121]
	scratch_load_b128 v[20:23], off, off offset:464
	s_wait_loadcnt_dscnt 0xc01
	v_mul_f64_e32 v[160:161], v[4:5], v[124:125]
	v_mul_f64_e32 v[124:125], v[6:7], v[124:125]
	v_add_f64_e32 v[120:121], v[164:165], v[162:163]
	v_add_f64_e32 v[154:155], v[154:155], v[158:159]
	s_wait_loadcnt_dscnt 0xb00
	v_mul_f64_e32 v[158:159], v[110:111], v[128:129]
	v_mul_f64_e32 v[128:129], v[112:113], v[128:129]
	v_fmac_f64_e32 v[160:161], v[6:7], v[122:123]
	v_fma_f64 v[162:163], v[4:5], v[122:123], -v[124:125]
	v_add_f64_e32 v[164:165], v[120:121], v[118:119]
	v_add_f64_e32 v[154:155], v[154:155], v[156:157]
	ds_load_b128 v[4:7], v2 offset:992
	ds_load_b128 v[118:121], v2 offset:1008
	scratch_load_b128 v[122:125], off, off offset:480
	v_fmac_f64_e32 v[158:159], v[112:113], v[126:127]
	v_fma_f64 v[126:127], v[110:111], v[126:127], -v[128:129]
	scratch_load_b128 v[110:113], off, off offset:496
	s_wait_loadcnt_dscnt 0xc01
	v_mul_f64_e32 v[156:157], v[4:5], v[136:137]
	v_mul_f64_e32 v[136:137], v[6:7], v[136:137]
	;; [unrolled: 18-line block ×5, first 2 shown]
	v_add_f64_e32 v[148:149], v[164:165], v[162:163]
	v_add_f64_e32 v[154:155], v[154:155], v[160:161]
	s_wait_loadcnt_dscnt 0xa00
	v_mul_f64_e32 v[160:161], v[126:127], v[14:15]
	v_mul_f64_e32 v[14:15], v[128:129], v[14:15]
	v_fmac_f64_e32 v[156:157], v[6:7], v[130:131]
	v_fma_f64 v[162:163], v[4:5], v[130:131], -v[132:133]
	ds_load_b128 v[4:7], v2 offset:1120
	ds_load_b128 v[130:133], v2 offset:1136
	v_add_f64_e32 v[164:165], v[148:149], v[146:147]
	v_add_f64_e32 v[154:155], v[154:155], v[158:159]
	scratch_load_b128 v[146:149], off, off offset:608
	v_fmac_f64_e32 v[160:161], v[128:129], v[12:13]
	v_fma_f64 v[126:127], v[126:127], v[12:13], -v[14:15]
	scratch_load_b128 v[12:15], off, off offset:624
	s_wait_loadcnt_dscnt 0xb01
	v_mul_f64_e32 v[158:159], v[4:5], v[116:117]
	v_mul_f64_e32 v[116:117], v[6:7], v[116:117]
	v_add_f64_e32 v[128:129], v[164:165], v[162:163]
	v_add_f64_e32 v[154:155], v[154:155], v[156:157]
	s_wait_loadcnt_dscnt 0xa00
	v_mul_f64_e32 v[156:157], v[130:131], v[22:23]
	v_mul_f64_e32 v[22:23], v[132:133], v[22:23]
	v_fmac_f64_e32 v[158:159], v[6:7], v[114:115]
	v_fma_f64 v[162:163], v[4:5], v[114:115], -v[116:117]
	ds_load_b128 v[4:7], v2 offset:1152
	ds_load_b128 v[114:117], v2 offset:1168
	v_add_f64_e32 v[164:165], v[128:129], v[126:127]
	v_add_f64_e32 v[154:155], v[154:155], v[160:161]
	scratch_load_b128 v[126:129], off, off offset:640
	s_wait_loadcnt_dscnt 0xa01
	v_mul_f64_e32 v[160:161], v[4:5], v[124:125]
	v_mul_f64_e32 v[124:125], v[6:7], v[124:125]
	v_fmac_f64_e32 v[156:157], v[132:133], v[20:21]
	v_fma_f64 v[130:131], v[130:131], v[20:21], -v[22:23]
	scratch_load_b128 v[20:23], off, off offset:656
	v_add_f64_e32 v[132:133], v[164:165], v[162:163]
	v_add_f64_e32 v[154:155], v[154:155], v[158:159]
	s_wait_loadcnt_dscnt 0xa00
	v_mul_f64_e32 v[158:159], v[114:115], v[112:113]
	v_mul_f64_e32 v[112:113], v[116:117], v[112:113]
	v_fmac_f64_e32 v[160:161], v[6:7], v[122:123]
	v_fma_f64 v[162:163], v[4:5], v[122:123], -v[124:125]
	ds_load_b128 v[4:7], v2 offset:1184
	ds_load_b128 v[122:125], v2 offset:1200
	v_add_f64_e32 v[130:131], v[132:133], v[130:131]
	v_add_f64_e32 v[132:133], v[154:155], v[156:157]
	v_fmac_f64_e32 v[158:159], v[116:117], v[110:111]
	s_wait_loadcnt_dscnt 0x901
	v_mul_f64_e32 v[154:155], v[4:5], v[136:137]
	v_mul_f64_e32 v[136:137], v[6:7], v[136:137]
	v_fma_f64 v[110:111], v[114:115], v[110:111], -v[112:113]
	s_wait_loadcnt_dscnt 0x800
	v_mul_f64_e32 v[116:117], v[122:123], v[120:121]
	v_mul_f64_e32 v[120:121], v[124:125], v[120:121]
	v_add_f64_e32 v[112:113], v[130:131], v[162:163]
	v_add_f64_e32 v[114:115], v[132:133], v[160:161]
	v_fmac_f64_e32 v[154:155], v[6:7], v[134:135]
	v_fma_f64 v[130:131], v[4:5], v[134:135], -v[136:137]
	v_fmac_f64_e32 v[116:117], v[124:125], v[118:119]
	v_fma_f64 v[118:119], v[122:123], v[118:119], -v[120:121]
	v_add_f64_e32 v[132:133], v[112:113], v[110:111]
	v_add_f64_e32 v[114:115], v[114:115], v[158:159]
	ds_load_b128 v[4:7], v2 offset:1216
	ds_load_b128 v[110:113], v2 offset:1232
	s_wait_loadcnt_dscnt 0x701
	v_mul_f64_e32 v[134:135], v[4:5], v[152:153]
	v_mul_f64_e32 v[136:137], v[6:7], v[152:153]
	s_wait_loadcnt_dscnt 0x600
	v_mul_f64_e32 v[122:123], v[110:111], v[10:11]
	v_mul_f64_e32 v[10:11], v[112:113], v[10:11]
	v_add_f64_e32 v[120:121], v[132:133], v[130:131]
	v_add_f64_e32 v[114:115], v[114:115], v[154:155]
	v_fmac_f64_e32 v[134:135], v[6:7], v[150:151]
	v_fma_f64 v[124:125], v[4:5], v[150:151], -v[136:137]
	v_fmac_f64_e32 v[122:123], v[112:113], v[8:9]
	v_fma_f64 v[8:9], v[110:111], v[8:9], -v[10:11]
	v_add_f64_e32 v[118:119], v[120:121], v[118:119]
	v_add_f64_e32 v[120:121], v[114:115], v[116:117]
	ds_load_b128 v[4:7], v2 offset:1248
	ds_load_b128 v[114:117], v2 offset:1264
	s_wait_loadcnt_dscnt 0x501
	v_mul_f64_e32 v[130:131], v[4:5], v[140:141]
	v_mul_f64_e32 v[132:133], v[6:7], v[140:141]
	;; [unrolled: 16-line block ×4, first 2 shown]
	v_add_f64_e32 v[10:11], v[18:19], v[118:119]
	v_add_f64_e32 v[12:13], v[110:111], v[122:123]
	s_wait_loadcnt_dscnt 0x0
	v_mul_f64_e32 v[18:19], v[14:15], v[22:23]
	v_mul_f64_e32 v[22:23], v[16:17], v[22:23]
	v_fmac_f64_e32 v[2:3], v[6:7], v[126:127]
	v_fma_f64 v[4:5], v[4:5], v[126:127], -v[112:113]
	v_add_f64_e32 v[6:7], v[10:11], v[8:9]
	v_add_f64_e32 v[8:9], v[12:13], v[114:115]
	v_fmac_f64_e32 v[18:19], v[16:17], v[20:21]
	v_fma_f64 v[10:11], v[14:15], v[20:21], -v[22:23]
	s_delay_alu instid0(VALU_DEP_4) | instskip(NEXT) | instid1(VALU_DEP_4)
	v_add_f64_e32 v[4:5], v[6:7], v[4:5]
	v_add_f64_e32 v[2:3], v[8:9], v[2:3]
	s_delay_alu instid0(VALU_DEP_2) | instskip(NEXT) | instid1(VALU_DEP_2)
	v_add_f64_e32 v[4:5], v[4:5], v[10:11]
	v_add_f64_e32 v[6:7], v[2:3], v[18:19]
	s_delay_alu instid0(VALU_DEP_2) | instskip(NEXT) | instid1(VALU_DEP_2)
	v_add_f64_e64 v[2:3], v[142:143], -v[4:5]
	v_add_f64_e64 v[4:5], v[144:145], -v[6:7]
	scratch_store_b128 off, v[2:5], off offset:144
	s_wait_xcnt 0x0
	v_cmpx_lt_u32_e32 8, v1
	s_cbranch_execz .LBB41_249
; %bb.248:
	scratch_load_b128 v[2:5], off, s43
	v_mov_b32_e32 v6, 0
	s_delay_alu instid0(VALU_DEP_1)
	v_dual_mov_b32 v7, v6 :: v_dual_mov_b32 v8, v6
	v_mov_b32_e32 v9, v6
	scratch_store_b128 off, v[6:9], off offset:128
	s_wait_loadcnt 0x0
	ds_store_b128 v108, v[2:5]
.LBB41_249:
	s_wait_xcnt 0x0
	s_or_b32 exec_lo, exec_lo, s2
	s_wait_storecnt_dscnt 0x0
	s_barrier_signal -1
	s_barrier_wait -1
	s_clause 0x9
	scratch_load_b128 v[4:7], off, off offset:144
	scratch_load_b128 v[8:11], off, off offset:160
	;; [unrolled: 1-line block ×10, first 2 shown]
	v_mov_b32_e32 v2, 0
	s_mov_b32 s2, exec_lo
	ds_load_b128 v[130:133], v2 offset:816
	s_clause 0x2
	scratch_load_b128 v[134:137], off, off offset:304
	scratch_load_b128 v[138:141], off, off offset:128
	;; [unrolled: 1-line block ×3, first 2 shown]
	s_wait_loadcnt_dscnt 0xc00
	v_mul_f64_e32 v[150:151], v[132:133], v[6:7]
	v_mul_f64_e32 v[154:155], v[130:131], v[6:7]
	ds_load_b128 v[142:145], v2 offset:832
	v_fma_f64 v[158:159], v[130:131], v[4:5], -v[150:151]
	v_fmac_f64_e32 v[154:155], v[132:133], v[4:5]
	ds_load_b128 v[4:7], v2 offset:848
	s_wait_loadcnt_dscnt 0xb01
	v_mul_f64_e32 v[156:157], v[142:143], v[10:11]
	v_mul_f64_e32 v[10:11], v[144:145], v[10:11]
	scratch_load_b128 v[130:133], off, off offset:336
	ds_load_b128 v[150:153], v2 offset:864
	s_wait_loadcnt_dscnt 0xb01
	v_mul_f64_e32 v[160:161], v[4:5], v[14:15]
	v_mul_f64_e32 v[14:15], v[6:7], v[14:15]
	v_add_f64_e32 v[154:155], 0, v[154:155]
	v_fmac_f64_e32 v[156:157], v[144:145], v[8:9]
	v_fma_f64 v[142:143], v[142:143], v[8:9], -v[10:11]
	v_add_f64_e32 v[144:145], 0, v[158:159]
	scratch_load_b128 v[8:11], off, off offset:352
	v_fmac_f64_e32 v[160:161], v[6:7], v[12:13]
	v_fma_f64 v[162:163], v[4:5], v[12:13], -v[14:15]
	ds_load_b128 v[4:7], v2 offset:880
	s_wait_loadcnt_dscnt 0xb01
	v_mul_f64_e32 v[158:159], v[150:151], v[18:19]
	v_mul_f64_e32 v[18:19], v[152:153], v[18:19]
	scratch_load_b128 v[12:15], off, off offset:368
	v_add_f64_e32 v[154:155], v[154:155], v[156:157]
	v_add_f64_e32 v[164:165], v[144:145], v[142:143]
	ds_load_b128 v[142:145], v2 offset:896
	s_wait_loadcnt_dscnt 0xb01
	v_mul_f64_e32 v[156:157], v[4:5], v[22:23]
	v_mul_f64_e32 v[22:23], v[6:7], v[22:23]
	v_fmac_f64_e32 v[158:159], v[152:153], v[16:17]
	v_fma_f64 v[150:151], v[150:151], v[16:17], -v[18:19]
	scratch_load_b128 v[16:19], off, off offset:384
	v_add_f64_e32 v[154:155], v[154:155], v[160:161]
	v_add_f64_e32 v[152:153], v[164:165], v[162:163]
	v_fmac_f64_e32 v[156:157], v[6:7], v[20:21]
	v_fma_f64 v[162:163], v[4:5], v[20:21], -v[22:23]
	ds_load_b128 v[4:7], v2 offset:912
	s_wait_loadcnt_dscnt 0xb01
	v_mul_f64_e32 v[160:161], v[142:143], v[112:113]
	v_mul_f64_e32 v[112:113], v[144:145], v[112:113]
	scratch_load_b128 v[20:23], off, off offset:400
	v_add_f64_e32 v[154:155], v[154:155], v[158:159]
	s_wait_loadcnt_dscnt 0xb00
	v_mul_f64_e32 v[158:159], v[4:5], v[116:117]
	v_add_f64_e32 v[164:165], v[152:153], v[150:151]
	v_mul_f64_e32 v[116:117], v[6:7], v[116:117]
	ds_load_b128 v[150:153], v2 offset:928
	v_fmac_f64_e32 v[160:161], v[144:145], v[110:111]
	v_fma_f64 v[142:143], v[142:143], v[110:111], -v[112:113]
	scratch_load_b128 v[110:113], off, off offset:416
	v_add_f64_e32 v[154:155], v[154:155], v[156:157]
	v_fmac_f64_e32 v[158:159], v[6:7], v[114:115]
	v_add_f64_e32 v[144:145], v[164:165], v[162:163]
	v_fma_f64 v[162:163], v[4:5], v[114:115], -v[116:117]
	ds_load_b128 v[4:7], v2 offset:944
	s_wait_loadcnt_dscnt 0xb01
	v_mul_f64_e32 v[156:157], v[150:151], v[120:121]
	v_mul_f64_e32 v[120:121], v[152:153], v[120:121]
	scratch_load_b128 v[114:117], off, off offset:432
	v_add_f64_e32 v[154:155], v[154:155], v[160:161]
	s_wait_loadcnt_dscnt 0xb00
	v_mul_f64_e32 v[160:161], v[4:5], v[124:125]
	v_add_f64_e32 v[164:165], v[144:145], v[142:143]
	v_mul_f64_e32 v[124:125], v[6:7], v[124:125]
	ds_load_b128 v[142:145], v2 offset:960
	v_fmac_f64_e32 v[156:157], v[152:153], v[118:119]
	v_fma_f64 v[150:151], v[150:151], v[118:119], -v[120:121]
	scratch_load_b128 v[118:121], off, off offset:448
	v_add_f64_e32 v[154:155], v[154:155], v[158:159]
	v_fmac_f64_e32 v[160:161], v[6:7], v[122:123]
	v_add_f64_e32 v[152:153], v[164:165], v[162:163]
	;; [unrolled: 18-line block ×3, first 2 shown]
	v_fma_f64 v[162:163], v[4:5], v[134:135], -v[136:137]
	ds_load_b128 v[4:7], v2 offset:1008
	s_wait_loadcnt_dscnt 0xa01
	v_mul_f64_e32 v[160:161], v[150:151], v[148:149]
	v_mul_f64_e32 v[148:149], v[152:153], v[148:149]
	scratch_load_b128 v[134:137], off, off offset:496
	v_add_f64_e32 v[154:155], v[154:155], v[158:159]
	v_add_f64_e32 v[164:165], v[144:145], v[142:143]
	s_wait_loadcnt_dscnt 0xa00
	v_mul_f64_e32 v[158:159], v[4:5], v[132:133]
	v_mul_f64_e32 v[132:133], v[6:7], v[132:133]
	v_fmac_f64_e32 v[160:161], v[152:153], v[146:147]
	v_fma_f64 v[150:151], v[150:151], v[146:147], -v[148:149]
	ds_load_b128 v[142:145], v2 offset:1024
	scratch_load_b128 v[146:149], off, off offset:512
	v_add_f64_e32 v[154:155], v[154:155], v[156:157]
	v_add_f64_e32 v[152:153], v[164:165], v[162:163]
	v_fmac_f64_e32 v[158:159], v[6:7], v[130:131]
	v_fma_f64 v[162:163], v[4:5], v[130:131], -v[132:133]
	ds_load_b128 v[4:7], v2 offset:1040
	s_wait_loadcnt_dscnt 0xa01
	v_mul_f64_e32 v[156:157], v[142:143], v[10:11]
	v_mul_f64_e32 v[10:11], v[144:145], v[10:11]
	scratch_load_b128 v[130:133], off, off offset:528
	v_add_f64_e32 v[154:155], v[154:155], v[160:161]
	s_wait_loadcnt_dscnt 0xa00
	v_mul_f64_e32 v[160:161], v[4:5], v[14:15]
	v_add_f64_e32 v[164:165], v[152:153], v[150:151]
	v_mul_f64_e32 v[14:15], v[6:7], v[14:15]
	ds_load_b128 v[150:153], v2 offset:1056
	v_fmac_f64_e32 v[156:157], v[144:145], v[8:9]
	v_fma_f64 v[142:143], v[142:143], v[8:9], -v[10:11]
	scratch_load_b128 v[8:11], off, off offset:544
	v_add_f64_e32 v[154:155], v[154:155], v[158:159]
	v_fmac_f64_e32 v[160:161], v[6:7], v[12:13]
	v_add_f64_e32 v[144:145], v[164:165], v[162:163]
	v_fma_f64 v[162:163], v[4:5], v[12:13], -v[14:15]
	ds_load_b128 v[4:7], v2 offset:1072
	s_wait_loadcnt_dscnt 0xa01
	v_mul_f64_e32 v[158:159], v[150:151], v[18:19]
	v_mul_f64_e32 v[18:19], v[152:153], v[18:19]
	scratch_load_b128 v[12:15], off, off offset:560
	v_add_f64_e32 v[154:155], v[154:155], v[156:157]
	s_wait_loadcnt_dscnt 0xa00
	v_mul_f64_e32 v[156:157], v[4:5], v[22:23]
	v_add_f64_e32 v[164:165], v[144:145], v[142:143]
	v_mul_f64_e32 v[22:23], v[6:7], v[22:23]
	ds_load_b128 v[142:145], v2 offset:1088
	v_fmac_f64_e32 v[158:159], v[152:153], v[16:17]
	v_fma_f64 v[150:151], v[150:151], v[16:17], -v[18:19]
	scratch_load_b128 v[16:19], off, off offset:576
	v_add_f64_e32 v[154:155], v[154:155], v[160:161]
	v_fmac_f64_e32 v[156:157], v[6:7], v[20:21]
	v_add_f64_e32 v[152:153], v[164:165], v[162:163]
	;; [unrolled: 18-line block ×4, first 2 shown]
	v_fma_f64 v[162:163], v[4:5], v[122:123], -v[124:125]
	ds_load_b128 v[4:7], v2 offset:1168
	s_wait_loadcnt_dscnt 0xa01
	v_mul_f64_e32 v[158:159], v[142:143], v[128:129]
	v_mul_f64_e32 v[128:129], v[144:145], v[128:129]
	scratch_load_b128 v[122:125], off, off offset:656
	v_add_f64_e32 v[154:155], v[154:155], v[156:157]
	s_wait_loadcnt_dscnt 0xa00
	v_mul_f64_e32 v[156:157], v[4:5], v[136:137]
	v_add_f64_e32 v[164:165], v[152:153], v[150:151]
	v_mul_f64_e32 v[136:137], v[6:7], v[136:137]
	ds_load_b128 v[150:153], v2 offset:1184
	v_fmac_f64_e32 v[158:159], v[144:145], v[126:127]
	v_fma_f64 v[126:127], v[142:143], v[126:127], -v[128:129]
	s_wait_loadcnt_dscnt 0x900
	v_mul_f64_e32 v[144:145], v[150:151], v[148:149]
	v_mul_f64_e32 v[148:149], v[152:153], v[148:149]
	v_add_f64_e32 v[142:143], v[154:155], v[160:161]
	v_fmac_f64_e32 v[156:157], v[6:7], v[134:135]
	v_add_f64_e32 v[128:129], v[164:165], v[162:163]
	v_fma_f64 v[134:135], v[4:5], v[134:135], -v[136:137]
	v_fmac_f64_e32 v[144:145], v[152:153], v[146:147]
	v_fma_f64 v[146:147], v[150:151], v[146:147], -v[148:149]
	v_add_f64_e32 v[142:143], v[142:143], v[158:159]
	v_add_f64_e32 v[136:137], v[128:129], v[126:127]
	ds_load_b128 v[4:7], v2 offset:1200
	ds_load_b128 v[126:129], v2 offset:1216
	s_wait_loadcnt_dscnt 0x801
	v_mul_f64_e32 v[154:155], v[4:5], v[132:133]
	v_mul_f64_e32 v[132:133], v[6:7], v[132:133]
	v_add_f64_e32 v[134:135], v[136:137], v[134:135]
	v_add_f64_e32 v[136:137], v[142:143], v[156:157]
	s_wait_loadcnt_dscnt 0x700
	v_mul_f64_e32 v[142:143], v[126:127], v[10:11]
	v_mul_f64_e32 v[10:11], v[128:129], v[10:11]
	v_fmac_f64_e32 v[154:155], v[6:7], v[130:131]
	v_fma_f64 v[148:149], v[4:5], v[130:131], -v[132:133]
	ds_load_b128 v[4:7], v2 offset:1232
	ds_load_b128 v[130:133], v2 offset:1248
	v_add_f64_e32 v[134:135], v[134:135], v[146:147]
	v_add_f64_e32 v[136:137], v[136:137], v[144:145]
	v_fmac_f64_e32 v[142:143], v[128:129], v[8:9]
	v_fma_f64 v[8:9], v[126:127], v[8:9], -v[10:11]
	s_wait_loadcnt_dscnt 0x601
	v_mul_f64_e32 v[144:145], v[4:5], v[14:15]
	v_mul_f64_e32 v[14:15], v[6:7], v[14:15]
	s_wait_loadcnt_dscnt 0x500
	v_mul_f64_e32 v[128:129], v[130:131], v[18:19]
	v_mul_f64_e32 v[18:19], v[132:133], v[18:19]
	v_add_f64_e32 v[10:11], v[134:135], v[148:149]
	v_add_f64_e32 v[126:127], v[136:137], v[154:155]
	v_fmac_f64_e32 v[144:145], v[6:7], v[12:13]
	v_fma_f64 v[12:13], v[4:5], v[12:13], -v[14:15]
	v_fmac_f64_e32 v[128:129], v[132:133], v[16:17]
	v_fma_f64 v[16:17], v[130:131], v[16:17], -v[18:19]
	v_add_f64_e32 v[14:15], v[10:11], v[8:9]
	v_add_f64_e32 v[126:127], v[126:127], v[142:143]
	ds_load_b128 v[4:7], v2 offset:1264
	ds_load_b128 v[8:11], v2 offset:1280
	s_wait_loadcnt_dscnt 0x401
	v_mul_f64_e32 v[134:135], v[4:5], v[22:23]
	v_mul_f64_e32 v[22:23], v[6:7], v[22:23]
	s_wait_loadcnt_dscnt 0x300
	v_mul_f64_e32 v[18:19], v[8:9], v[112:113]
	v_mul_f64_e32 v[112:113], v[10:11], v[112:113]
	v_add_f64_e32 v[12:13], v[14:15], v[12:13]
	v_add_f64_e32 v[14:15], v[126:127], v[144:145]
	v_fmac_f64_e32 v[134:135], v[6:7], v[20:21]
	v_fma_f64 v[20:21], v[4:5], v[20:21], -v[22:23]
	v_fmac_f64_e32 v[18:19], v[10:11], v[110:111]
	v_fma_f64 v[8:9], v[8:9], v[110:111], -v[112:113]
	v_add_f64_e32 v[16:17], v[12:13], v[16:17]
	v_add_f64_e32 v[22:23], v[14:15], v[128:129]
	ds_load_b128 v[4:7], v2 offset:1296
	ds_load_b128 v[12:15], v2 offset:1312
	s_wait_loadcnt_dscnt 0x201
	v_mul_f64_e32 v[126:127], v[4:5], v[116:117]
	v_mul_f64_e32 v[116:117], v[6:7], v[116:117]
	v_add_f64_e32 v[10:11], v[16:17], v[20:21]
	v_add_f64_e32 v[16:17], v[22:23], v[134:135]
	s_wait_loadcnt_dscnt 0x100
	v_mul_f64_e32 v[20:21], v[12:13], v[120:121]
	v_mul_f64_e32 v[22:23], v[14:15], v[120:121]
	v_fmac_f64_e32 v[126:127], v[6:7], v[114:115]
	v_fma_f64 v[110:111], v[4:5], v[114:115], -v[116:117]
	ds_load_b128 v[4:7], v2 offset:1328
	v_add_f64_e32 v[8:9], v[10:11], v[8:9]
	v_add_f64_e32 v[10:11], v[16:17], v[18:19]
	v_fmac_f64_e32 v[20:21], v[14:15], v[118:119]
	v_fma_f64 v[12:13], v[12:13], v[118:119], -v[22:23]
	s_wait_loadcnt_dscnt 0x0
	v_mul_f64_e32 v[16:17], v[4:5], v[124:125]
	v_mul_f64_e32 v[18:19], v[6:7], v[124:125]
	v_add_f64_e32 v[8:9], v[8:9], v[110:111]
	v_add_f64_e32 v[10:11], v[10:11], v[126:127]
	s_delay_alu instid0(VALU_DEP_4) | instskip(NEXT) | instid1(VALU_DEP_4)
	v_fmac_f64_e32 v[16:17], v[6:7], v[122:123]
	v_fma_f64 v[4:5], v[4:5], v[122:123], -v[18:19]
	s_delay_alu instid0(VALU_DEP_4) | instskip(NEXT) | instid1(VALU_DEP_4)
	v_add_f64_e32 v[6:7], v[8:9], v[12:13]
	v_add_f64_e32 v[8:9], v[10:11], v[20:21]
	s_delay_alu instid0(VALU_DEP_2) | instskip(NEXT) | instid1(VALU_DEP_2)
	v_add_f64_e32 v[4:5], v[6:7], v[4:5]
	v_add_f64_e32 v[6:7], v[8:9], v[16:17]
	s_delay_alu instid0(VALU_DEP_2) | instskip(NEXT) | instid1(VALU_DEP_2)
	v_add_f64_e64 v[4:5], v[138:139], -v[4:5]
	v_add_f64_e64 v[6:7], v[140:141], -v[6:7]
	scratch_store_b128 off, v[4:7], off offset:128
	s_wait_xcnt 0x0
	v_cmpx_lt_u32_e32 7, v1
	s_cbranch_execz .LBB41_251
; %bb.250:
	scratch_load_b128 v[6:9], off, s50
	v_dual_mov_b32 v3, v2 :: v_dual_mov_b32 v4, v2
	v_mov_b32_e32 v5, v2
	scratch_store_b128 off, v[2:5], off offset:112
	s_wait_loadcnt 0x0
	ds_store_b128 v108, v[6:9]
.LBB41_251:
	s_wait_xcnt 0x0
	s_or_b32 exec_lo, exec_lo, s2
	s_wait_storecnt_dscnt 0x0
	s_barrier_signal -1
	s_barrier_wait -1
	s_clause 0x9
	scratch_load_b128 v[4:7], off, off offset:128
	scratch_load_b128 v[8:11], off, off offset:144
	;; [unrolled: 1-line block ×10, first 2 shown]
	ds_load_b128 v[130:133], v2 offset:800
	ds_load_b128 v[138:141], v2 offset:816
	s_clause 0x2
	scratch_load_b128 v[134:137], off, off offset:288
	scratch_load_b128 v[142:145], off, off offset:112
	;; [unrolled: 1-line block ×3, first 2 shown]
	s_mov_b32 s2, exec_lo
	s_wait_loadcnt_dscnt 0xc01
	v_mul_f64_e32 v[150:151], v[132:133], v[6:7]
	v_mul_f64_e32 v[154:155], v[130:131], v[6:7]
	s_wait_loadcnt_dscnt 0xb00
	v_mul_f64_e32 v[156:157], v[138:139], v[10:11]
	v_mul_f64_e32 v[10:11], v[140:141], v[10:11]
	s_delay_alu instid0(VALU_DEP_4) | instskip(NEXT) | instid1(VALU_DEP_4)
	v_fma_f64 v[158:159], v[130:131], v[4:5], -v[150:151]
	v_fmac_f64_e32 v[154:155], v[132:133], v[4:5]
	ds_load_b128 v[4:7], v2 offset:832
	ds_load_b128 v[130:133], v2 offset:848
	scratch_load_b128 v[150:153], off, off offset:320
	v_fmac_f64_e32 v[156:157], v[140:141], v[8:9]
	v_fma_f64 v[138:139], v[138:139], v[8:9], -v[10:11]
	scratch_load_b128 v[8:11], off, off offset:336
	s_wait_loadcnt_dscnt 0xc01
	v_mul_f64_e32 v[160:161], v[4:5], v[14:15]
	v_mul_f64_e32 v[14:15], v[6:7], v[14:15]
	v_add_f64_e32 v[140:141], 0, v[158:159]
	v_add_f64_e32 v[154:155], 0, v[154:155]
	s_wait_loadcnt_dscnt 0xb00
	v_mul_f64_e32 v[158:159], v[130:131], v[18:19]
	v_mul_f64_e32 v[18:19], v[132:133], v[18:19]
	v_fmac_f64_e32 v[160:161], v[6:7], v[12:13]
	v_fma_f64 v[162:163], v[4:5], v[12:13], -v[14:15]
	ds_load_b128 v[4:7], v2 offset:864
	ds_load_b128 v[12:15], v2 offset:880
	v_add_f64_e32 v[164:165], v[140:141], v[138:139]
	v_add_f64_e32 v[154:155], v[154:155], v[156:157]
	scratch_load_b128 v[138:141], off, off offset:352
	v_fmac_f64_e32 v[158:159], v[132:133], v[16:17]
	v_fma_f64 v[130:131], v[130:131], v[16:17], -v[18:19]
	scratch_load_b128 v[16:19], off, off offset:368
	s_wait_loadcnt_dscnt 0xc01
	v_mul_f64_e32 v[156:157], v[4:5], v[22:23]
	v_mul_f64_e32 v[22:23], v[6:7], v[22:23]
	v_add_f64_e32 v[132:133], v[164:165], v[162:163]
	v_add_f64_e32 v[154:155], v[154:155], v[160:161]
	s_wait_loadcnt_dscnt 0xb00
	v_mul_f64_e32 v[160:161], v[12:13], v[112:113]
	v_mul_f64_e32 v[112:113], v[14:15], v[112:113]
	v_fmac_f64_e32 v[156:157], v[6:7], v[20:21]
	v_fma_f64 v[162:163], v[4:5], v[20:21], -v[22:23]
	ds_load_b128 v[4:7], v2 offset:896
	ds_load_b128 v[20:23], v2 offset:912
	v_add_f64_e32 v[164:165], v[132:133], v[130:131]
	v_add_f64_e32 v[154:155], v[154:155], v[158:159]
	scratch_load_b128 v[130:133], off, off offset:384
	s_wait_loadcnt_dscnt 0xb01
	v_mul_f64_e32 v[158:159], v[4:5], v[116:117]
	v_mul_f64_e32 v[116:117], v[6:7], v[116:117]
	v_fmac_f64_e32 v[160:161], v[14:15], v[110:111]
	v_fma_f64 v[110:111], v[12:13], v[110:111], -v[112:113]
	scratch_load_b128 v[12:15], off, off offset:400
	v_add_f64_e32 v[112:113], v[164:165], v[162:163]
	v_add_f64_e32 v[154:155], v[154:155], v[156:157]
	s_wait_loadcnt_dscnt 0xb00
	v_mul_f64_e32 v[156:157], v[20:21], v[120:121]
	v_mul_f64_e32 v[120:121], v[22:23], v[120:121]
	v_fmac_f64_e32 v[158:159], v[6:7], v[114:115]
	v_fma_f64 v[162:163], v[4:5], v[114:115], -v[116:117]
	v_add_f64_e32 v[164:165], v[112:113], v[110:111]
	v_add_f64_e32 v[154:155], v[154:155], v[160:161]
	ds_load_b128 v[4:7], v2 offset:928
	ds_load_b128 v[110:113], v2 offset:944
	scratch_load_b128 v[114:117], off, off offset:416
	v_fmac_f64_e32 v[156:157], v[22:23], v[118:119]
	v_fma_f64 v[118:119], v[20:21], v[118:119], -v[120:121]
	scratch_load_b128 v[20:23], off, off offset:432
	s_wait_loadcnt_dscnt 0xc01
	v_mul_f64_e32 v[160:161], v[4:5], v[124:125]
	v_mul_f64_e32 v[124:125], v[6:7], v[124:125]
	v_add_f64_e32 v[120:121], v[164:165], v[162:163]
	v_add_f64_e32 v[154:155], v[154:155], v[158:159]
	s_wait_loadcnt_dscnt 0xb00
	v_mul_f64_e32 v[158:159], v[110:111], v[128:129]
	v_mul_f64_e32 v[128:129], v[112:113], v[128:129]
	v_fmac_f64_e32 v[160:161], v[6:7], v[122:123]
	v_fma_f64 v[162:163], v[4:5], v[122:123], -v[124:125]
	v_add_f64_e32 v[164:165], v[120:121], v[118:119]
	v_add_f64_e32 v[154:155], v[154:155], v[156:157]
	ds_load_b128 v[4:7], v2 offset:960
	ds_load_b128 v[118:121], v2 offset:976
	scratch_load_b128 v[122:125], off, off offset:448
	v_fmac_f64_e32 v[158:159], v[112:113], v[126:127]
	v_fma_f64 v[126:127], v[110:111], v[126:127], -v[128:129]
	scratch_load_b128 v[110:113], off, off offset:464
	s_wait_loadcnt_dscnt 0xc01
	v_mul_f64_e32 v[156:157], v[4:5], v[136:137]
	v_mul_f64_e32 v[136:137], v[6:7], v[136:137]
	v_add_f64_e32 v[128:129], v[164:165], v[162:163]
	v_add_f64_e32 v[154:155], v[154:155], v[160:161]
	s_wait_loadcnt_dscnt 0xa00
	v_mul_f64_e32 v[160:161], v[118:119], v[148:149]
	v_mul_f64_e32 v[148:149], v[120:121], v[148:149]
	v_fmac_f64_e32 v[156:157], v[6:7], v[134:135]
	v_fma_f64 v[162:163], v[4:5], v[134:135], -v[136:137]
	v_add_f64_e32 v[164:165], v[128:129], v[126:127]
	v_add_f64_e32 v[154:155], v[154:155], v[158:159]
	ds_load_b128 v[4:7], v2 offset:992
	ds_load_b128 v[126:129], v2 offset:1008
	scratch_load_b128 v[134:137], off, off offset:480
	v_fmac_f64_e32 v[160:161], v[120:121], v[146:147]
	v_fma_f64 v[146:147], v[118:119], v[146:147], -v[148:149]
	scratch_load_b128 v[118:121], off, off offset:496
	s_wait_loadcnt_dscnt 0xb01
	v_mul_f64_e32 v[158:159], v[4:5], v[152:153]
	v_mul_f64_e32 v[152:153], v[6:7], v[152:153]
	v_add_f64_e32 v[148:149], v[164:165], v[162:163]
	v_add_f64_e32 v[154:155], v[154:155], v[156:157]
	s_wait_loadcnt_dscnt 0xa00
	v_mul_f64_e32 v[156:157], v[126:127], v[10:11]
	v_mul_f64_e32 v[10:11], v[128:129], v[10:11]
	v_fmac_f64_e32 v[158:159], v[6:7], v[150:151]
	v_fma_f64 v[162:163], v[4:5], v[150:151], -v[152:153]
	v_add_f64_e32 v[164:165], v[148:149], v[146:147]
	v_add_f64_e32 v[154:155], v[154:155], v[160:161]
	ds_load_b128 v[4:7], v2 offset:1024
	ds_load_b128 v[146:149], v2 offset:1040
	scratch_load_b128 v[150:153], off, off offset:512
	v_fmac_f64_e32 v[156:157], v[128:129], v[8:9]
	v_fma_f64 v[126:127], v[126:127], v[8:9], -v[10:11]
	scratch_load_b128 v[8:11], off, off offset:528
	s_wait_loadcnt_dscnt 0xb01
	v_mul_f64_e32 v[160:161], v[4:5], v[140:141]
	v_mul_f64_e32 v[140:141], v[6:7], v[140:141]
	v_add_f64_e32 v[128:129], v[164:165], v[162:163]
	v_add_f64_e32 v[154:155], v[154:155], v[158:159]
	s_wait_loadcnt_dscnt 0xa00
	v_mul_f64_e32 v[158:159], v[146:147], v[18:19]
	v_mul_f64_e32 v[18:19], v[148:149], v[18:19]
	v_fmac_f64_e32 v[160:161], v[6:7], v[138:139]
	v_fma_f64 v[162:163], v[4:5], v[138:139], -v[140:141]
	v_add_f64_e32 v[164:165], v[128:129], v[126:127]
	v_add_f64_e32 v[154:155], v[154:155], v[156:157]
	ds_load_b128 v[4:7], v2 offset:1056
	ds_load_b128 v[126:129], v2 offset:1072
	scratch_load_b128 v[138:141], off, off offset:544
	v_fmac_f64_e32 v[158:159], v[148:149], v[16:17]
	v_fma_f64 v[146:147], v[146:147], v[16:17], -v[18:19]
	scratch_load_b128 v[16:19], off, off offset:560
	s_wait_loadcnt_dscnt 0xb01
	v_mul_f64_e32 v[156:157], v[4:5], v[132:133]
	v_mul_f64_e32 v[132:133], v[6:7], v[132:133]
	v_add_f64_e32 v[148:149], v[164:165], v[162:163]
	v_add_f64_e32 v[154:155], v[154:155], v[160:161]
	s_wait_loadcnt_dscnt 0xa00
	v_mul_f64_e32 v[160:161], v[126:127], v[14:15]
	v_mul_f64_e32 v[14:15], v[128:129], v[14:15]
	v_fmac_f64_e32 v[156:157], v[6:7], v[130:131]
	v_fma_f64 v[162:163], v[4:5], v[130:131], -v[132:133]
	ds_load_b128 v[4:7], v2 offset:1088
	ds_load_b128 v[130:133], v2 offset:1104
	v_add_f64_e32 v[164:165], v[148:149], v[146:147]
	v_add_f64_e32 v[154:155], v[154:155], v[158:159]
	scratch_load_b128 v[146:149], off, off offset:576
	v_fmac_f64_e32 v[160:161], v[128:129], v[12:13]
	v_fma_f64 v[126:127], v[126:127], v[12:13], -v[14:15]
	scratch_load_b128 v[12:15], off, off offset:592
	s_wait_loadcnt_dscnt 0xb01
	v_mul_f64_e32 v[158:159], v[4:5], v[116:117]
	v_mul_f64_e32 v[116:117], v[6:7], v[116:117]
	v_add_f64_e32 v[128:129], v[164:165], v[162:163]
	v_add_f64_e32 v[154:155], v[154:155], v[156:157]
	s_wait_loadcnt_dscnt 0xa00
	v_mul_f64_e32 v[156:157], v[130:131], v[22:23]
	v_mul_f64_e32 v[22:23], v[132:133], v[22:23]
	v_fmac_f64_e32 v[158:159], v[6:7], v[114:115]
	v_fma_f64 v[162:163], v[4:5], v[114:115], -v[116:117]
	ds_load_b128 v[4:7], v2 offset:1120
	ds_load_b128 v[114:117], v2 offset:1136
	v_add_f64_e32 v[164:165], v[128:129], v[126:127]
	v_add_f64_e32 v[154:155], v[154:155], v[160:161]
	scratch_load_b128 v[126:129], off, off offset:608
	s_wait_loadcnt_dscnt 0xa01
	v_mul_f64_e32 v[160:161], v[4:5], v[124:125]
	v_mul_f64_e32 v[124:125], v[6:7], v[124:125]
	v_fmac_f64_e32 v[156:157], v[132:133], v[20:21]
	v_fma_f64 v[130:131], v[130:131], v[20:21], -v[22:23]
	scratch_load_b128 v[20:23], off, off offset:624
	v_add_f64_e32 v[132:133], v[164:165], v[162:163]
	v_add_f64_e32 v[154:155], v[154:155], v[158:159]
	s_wait_loadcnt_dscnt 0xa00
	v_mul_f64_e32 v[158:159], v[114:115], v[112:113]
	v_mul_f64_e32 v[112:113], v[116:117], v[112:113]
	v_fmac_f64_e32 v[160:161], v[6:7], v[122:123]
	v_fma_f64 v[162:163], v[4:5], v[122:123], -v[124:125]
	ds_load_b128 v[4:7], v2 offset:1152
	ds_load_b128 v[122:125], v2 offset:1168
	v_add_f64_e32 v[164:165], v[132:133], v[130:131]
	v_add_f64_e32 v[154:155], v[154:155], v[156:157]
	scratch_load_b128 v[130:133], off, off offset:640
	s_wait_loadcnt_dscnt 0xa01
	v_mul_f64_e32 v[156:157], v[4:5], v[136:137]
	v_mul_f64_e32 v[136:137], v[6:7], v[136:137]
	v_fmac_f64_e32 v[158:159], v[116:117], v[110:111]
	v_fma_f64 v[114:115], v[114:115], v[110:111], -v[112:113]
	scratch_load_b128 v[110:113], off, off offset:656
	v_add_f64_e32 v[116:117], v[164:165], v[162:163]
	v_add_f64_e32 v[154:155], v[154:155], v[160:161]
	s_wait_loadcnt_dscnt 0xa00
	v_mul_f64_e32 v[160:161], v[122:123], v[120:121]
	v_mul_f64_e32 v[120:121], v[124:125], v[120:121]
	v_fmac_f64_e32 v[156:157], v[6:7], v[134:135]
	v_fma_f64 v[134:135], v[4:5], v[134:135], -v[136:137]
	v_add_f64_e32 v[136:137], v[116:117], v[114:115]
	v_add_f64_e32 v[154:155], v[154:155], v[158:159]
	ds_load_b128 v[4:7], v2 offset:1184
	ds_load_b128 v[114:117], v2 offset:1200
	v_fmac_f64_e32 v[160:161], v[124:125], v[118:119]
	v_fma_f64 v[118:119], v[122:123], v[118:119], -v[120:121]
	s_wait_loadcnt_dscnt 0x901
	v_mul_f64_e32 v[158:159], v[4:5], v[152:153]
	v_mul_f64_e32 v[152:153], v[6:7], v[152:153]
	s_wait_loadcnt_dscnt 0x800
	v_mul_f64_e32 v[124:125], v[114:115], v[10:11]
	v_mul_f64_e32 v[10:11], v[116:117], v[10:11]
	v_add_f64_e32 v[120:121], v[136:137], v[134:135]
	v_add_f64_e32 v[122:123], v[154:155], v[156:157]
	v_fmac_f64_e32 v[158:159], v[6:7], v[150:151]
	v_fma_f64 v[134:135], v[4:5], v[150:151], -v[152:153]
	v_fmac_f64_e32 v[124:125], v[116:117], v[8:9]
	v_fma_f64 v[8:9], v[114:115], v[8:9], -v[10:11]
	v_add_f64_e32 v[136:137], v[120:121], v[118:119]
	v_add_f64_e32 v[122:123], v[122:123], v[160:161]
	ds_load_b128 v[4:7], v2 offset:1216
	ds_load_b128 v[118:121], v2 offset:1232
	s_wait_loadcnt_dscnt 0x701
	v_mul_f64_e32 v[150:151], v[4:5], v[140:141]
	v_mul_f64_e32 v[140:141], v[6:7], v[140:141]
	s_wait_loadcnt_dscnt 0x600
	v_mul_f64_e32 v[116:117], v[118:119], v[18:19]
	v_mul_f64_e32 v[18:19], v[120:121], v[18:19]
	v_add_f64_e32 v[10:11], v[136:137], v[134:135]
	v_add_f64_e32 v[114:115], v[122:123], v[158:159]
	v_fmac_f64_e32 v[150:151], v[6:7], v[138:139]
	v_fma_f64 v[122:123], v[4:5], v[138:139], -v[140:141]
	v_fmac_f64_e32 v[116:117], v[120:121], v[16:17]
	v_fma_f64 v[16:17], v[118:119], v[16:17], -v[18:19]
	v_add_f64_e32 v[134:135], v[10:11], v[8:9]
	v_add_f64_e32 v[114:115], v[114:115], v[124:125]
	ds_load_b128 v[4:7], v2 offset:1248
	ds_load_b128 v[8:11], v2 offset:1264
	s_wait_loadcnt_dscnt 0x501
	v_mul_f64_e32 v[124:125], v[4:5], v[148:149]
	v_mul_f64_e32 v[136:137], v[6:7], v[148:149]
	s_wait_loadcnt_dscnt 0x400
	v_mul_f64_e32 v[118:119], v[8:9], v[14:15]
	v_mul_f64_e32 v[120:121], v[10:11], v[14:15]
	v_add_f64_e32 v[18:19], v[134:135], v[122:123]
	v_add_f64_e32 v[114:115], v[114:115], v[150:151]
	v_fmac_f64_e32 v[124:125], v[6:7], v[146:147]
	v_fma_f64 v[122:123], v[4:5], v[146:147], -v[136:137]
	v_fmac_f64_e32 v[118:119], v[10:11], v[12:13]
	v_fma_f64 v[8:9], v[8:9], v[12:13], -v[120:121]
	v_add_f64_e32 v[18:19], v[18:19], v[16:17]
	v_add_f64_e32 v[114:115], v[114:115], v[116:117]
	ds_load_b128 v[4:7], v2 offset:1280
	ds_load_b128 v[14:17], v2 offset:1296
	s_wait_loadcnt_dscnt 0x301
	v_mul_f64_e32 v[116:117], v[4:5], v[128:129]
	v_mul_f64_e32 v[128:129], v[6:7], v[128:129]
	v_add_f64_e32 v[10:11], v[18:19], v[122:123]
	v_add_f64_e32 v[12:13], v[114:115], v[124:125]
	s_wait_loadcnt_dscnt 0x200
	v_mul_f64_e32 v[18:19], v[14:15], v[22:23]
	v_mul_f64_e32 v[22:23], v[16:17], v[22:23]
	v_fmac_f64_e32 v[116:117], v[6:7], v[126:127]
	v_fma_f64 v[114:115], v[4:5], v[126:127], -v[128:129]
	v_add_f64_e32 v[120:121], v[10:11], v[8:9]
	v_add_f64_e32 v[12:13], v[12:13], v[118:119]
	ds_load_b128 v[4:7], v2 offset:1312
	ds_load_b128 v[8:11], v2 offset:1328
	v_fmac_f64_e32 v[18:19], v[16:17], v[20:21]
	v_fma_f64 v[14:15], v[14:15], v[20:21], -v[22:23]
	s_wait_loadcnt_dscnt 0x101
	v_mul_f64_e32 v[2:3], v[4:5], v[132:133]
	v_mul_f64_e32 v[118:119], v[6:7], v[132:133]
	s_wait_loadcnt_dscnt 0x0
	v_mul_f64_e32 v[20:21], v[8:9], v[112:113]
	v_mul_f64_e32 v[22:23], v[10:11], v[112:113]
	v_add_f64_e32 v[16:17], v[120:121], v[114:115]
	v_add_f64_e32 v[12:13], v[12:13], v[116:117]
	v_fmac_f64_e32 v[2:3], v[6:7], v[130:131]
	v_fma_f64 v[4:5], v[4:5], v[130:131], -v[118:119]
	v_fmac_f64_e32 v[20:21], v[10:11], v[110:111]
	v_fma_f64 v[8:9], v[8:9], v[110:111], -v[22:23]
	v_add_f64_e32 v[6:7], v[16:17], v[14:15]
	v_add_f64_e32 v[12:13], v[12:13], v[18:19]
	s_delay_alu instid0(VALU_DEP_2) | instskip(NEXT) | instid1(VALU_DEP_2)
	v_add_f64_e32 v[4:5], v[6:7], v[4:5]
	v_add_f64_e32 v[2:3], v[12:13], v[2:3]
	s_delay_alu instid0(VALU_DEP_2) | instskip(NEXT) | instid1(VALU_DEP_2)
	;; [unrolled: 3-line block ×3, first 2 shown]
	v_add_f64_e64 v[2:3], v[142:143], -v[4:5]
	v_add_f64_e64 v[4:5], v[144:145], -v[6:7]
	scratch_store_b128 off, v[2:5], off offset:112
	s_wait_xcnt 0x0
	v_cmpx_lt_u32_e32 6, v1
	s_cbranch_execz .LBB41_253
; %bb.252:
	scratch_load_b128 v[2:5], off, s47
	v_mov_b32_e32 v6, 0
	s_delay_alu instid0(VALU_DEP_1)
	v_dual_mov_b32 v7, v6 :: v_dual_mov_b32 v8, v6
	v_mov_b32_e32 v9, v6
	scratch_store_b128 off, v[6:9], off offset:96
	s_wait_loadcnt 0x0
	ds_store_b128 v108, v[2:5]
.LBB41_253:
	s_wait_xcnt 0x0
	s_or_b32 exec_lo, exec_lo, s2
	s_wait_storecnt_dscnt 0x0
	s_barrier_signal -1
	s_barrier_wait -1
	s_clause 0x9
	scratch_load_b128 v[4:7], off, off offset:112
	scratch_load_b128 v[8:11], off, off offset:128
	;; [unrolled: 1-line block ×10, first 2 shown]
	v_mov_b32_e32 v2, 0
	s_mov_b32 s2, exec_lo
	ds_load_b128 v[130:133], v2 offset:784
	s_clause 0x2
	scratch_load_b128 v[134:137], off, off offset:272
	scratch_load_b128 v[138:141], off, off offset:96
	;; [unrolled: 1-line block ×3, first 2 shown]
	s_wait_loadcnt_dscnt 0xc00
	v_mul_f64_e32 v[150:151], v[132:133], v[6:7]
	v_mul_f64_e32 v[154:155], v[130:131], v[6:7]
	ds_load_b128 v[142:145], v2 offset:800
	v_fma_f64 v[158:159], v[130:131], v[4:5], -v[150:151]
	v_fmac_f64_e32 v[154:155], v[132:133], v[4:5]
	ds_load_b128 v[4:7], v2 offset:816
	s_wait_loadcnt_dscnt 0xb01
	v_mul_f64_e32 v[156:157], v[142:143], v[10:11]
	v_mul_f64_e32 v[10:11], v[144:145], v[10:11]
	scratch_load_b128 v[130:133], off, off offset:304
	ds_load_b128 v[150:153], v2 offset:832
	s_wait_loadcnt_dscnt 0xb01
	v_mul_f64_e32 v[160:161], v[4:5], v[14:15]
	v_mul_f64_e32 v[14:15], v[6:7], v[14:15]
	v_add_f64_e32 v[154:155], 0, v[154:155]
	v_fmac_f64_e32 v[156:157], v[144:145], v[8:9]
	v_fma_f64 v[142:143], v[142:143], v[8:9], -v[10:11]
	v_add_f64_e32 v[144:145], 0, v[158:159]
	scratch_load_b128 v[8:11], off, off offset:320
	v_fmac_f64_e32 v[160:161], v[6:7], v[12:13]
	v_fma_f64 v[162:163], v[4:5], v[12:13], -v[14:15]
	ds_load_b128 v[4:7], v2 offset:848
	s_wait_loadcnt_dscnt 0xb01
	v_mul_f64_e32 v[158:159], v[150:151], v[18:19]
	v_mul_f64_e32 v[18:19], v[152:153], v[18:19]
	scratch_load_b128 v[12:15], off, off offset:336
	v_add_f64_e32 v[154:155], v[154:155], v[156:157]
	v_add_f64_e32 v[164:165], v[144:145], v[142:143]
	ds_load_b128 v[142:145], v2 offset:864
	s_wait_loadcnt_dscnt 0xb01
	v_mul_f64_e32 v[156:157], v[4:5], v[22:23]
	v_mul_f64_e32 v[22:23], v[6:7], v[22:23]
	v_fmac_f64_e32 v[158:159], v[152:153], v[16:17]
	v_fma_f64 v[150:151], v[150:151], v[16:17], -v[18:19]
	scratch_load_b128 v[16:19], off, off offset:352
	v_add_f64_e32 v[154:155], v[154:155], v[160:161]
	v_add_f64_e32 v[152:153], v[164:165], v[162:163]
	v_fmac_f64_e32 v[156:157], v[6:7], v[20:21]
	v_fma_f64 v[162:163], v[4:5], v[20:21], -v[22:23]
	ds_load_b128 v[4:7], v2 offset:880
	s_wait_loadcnt_dscnt 0xb01
	v_mul_f64_e32 v[160:161], v[142:143], v[112:113]
	v_mul_f64_e32 v[112:113], v[144:145], v[112:113]
	scratch_load_b128 v[20:23], off, off offset:368
	v_add_f64_e32 v[154:155], v[154:155], v[158:159]
	s_wait_loadcnt_dscnt 0xb00
	v_mul_f64_e32 v[158:159], v[4:5], v[116:117]
	v_add_f64_e32 v[164:165], v[152:153], v[150:151]
	v_mul_f64_e32 v[116:117], v[6:7], v[116:117]
	ds_load_b128 v[150:153], v2 offset:896
	v_fmac_f64_e32 v[160:161], v[144:145], v[110:111]
	v_fma_f64 v[142:143], v[142:143], v[110:111], -v[112:113]
	scratch_load_b128 v[110:113], off, off offset:384
	v_add_f64_e32 v[154:155], v[154:155], v[156:157]
	v_fmac_f64_e32 v[158:159], v[6:7], v[114:115]
	v_add_f64_e32 v[144:145], v[164:165], v[162:163]
	v_fma_f64 v[162:163], v[4:5], v[114:115], -v[116:117]
	ds_load_b128 v[4:7], v2 offset:912
	s_wait_loadcnt_dscnt 0xb01
	v_mul_f64_e32 v[156:157], v[150:151], v[120:121]
	v_mul_f64_e32 v[120:121], v[152:153], v[120:121]
	scratch_load_b128 v[114:117], off, off offset:400
	v_add_f64_e32 v[154:155], v[154:155], v[160:161]
	s_wait_loadcnt_dscnt 0xb00
	v_mul_f64_e32 v[160:161], v[4:5], v[124:125]
	v_add_f64_e32 v[164:165], v[144:145], v[142:143]
	v_mul_f64_e32 v[124:125], v[6:7], v[124:125]
	ds_load_b128 v[142:145], v2 offset:928
	v_fmac_f64_e32 v[156:157], v[152:153], v[118:119]
	v_fma_f64 v[150:151], v[150:151], v[118:119], -v[120:121]
	scratch_load_b128 v[118:121], off, off offset:416
	v_add_f64_e32 v[154:155], v[154:155], v[158:159]
	v_fmac_f64_e32 v[160:161], v[6:7], v[122:123]
	v_add_f64_e32 v[152:153], v[164:165], v[162:163]
	;; [unrolled: 18-line block ×3, first 2 shown]
	v_fma_f64 v[162:163], v[4:5], v[134:135], -v[136:137]
	ds_load_b128 v[4:7], v2 offset:976
	s_wait_loadcnt_dscnt 0xa01
	v_mul_f64_e32 v[160:161], v[150:151], v[148:149]
	v_mul_f64_e32 v[148:149], v[152:153], v[148:149]
	scratch_load_b128 v[134:137], off, off offset:464
	v_add_f64_e32 v[154:155], v[154:155], v[158:159]
	v_add_f64_e32 v[164:165], v[144:145], v[142:143]
	s_wait_loadcnt_dscnt 0xa00
	v_mul_f64_e32 v[158:159], v[4:5], v[132:133]
	v_mul_f64_e32 v[132:133], v[6:7], v[132:133]
	v_fmac_f64_e32 v[160:161], v[152:153], v[146:147]
	v_fma_f64 v[150:151], v[150:151], v[146:147], -v[148:149]
	ds_load_b128 v[142:145], v2 offset:992
	scratch_load_b128 v[146:149], off, off offset:480
	v_add_f64_e32 v[154:155], v[154:155], v[156:157]
	v_add_f64_e32 v[152:153], v[164:165], v[162:163]
	v_fmac_f64_e32 v[158:159], v[6:7], v[130:131]
	v_fma_f64 v[162:163], v[4:5], v[130:131], -v[132:133]
	ds_load_b128 v[4:7], v2 offset:1008
	s_wait_loadcnt_dscnt 0xa01
	v_mul_f64_e32 v[156:157], v[142:143], v[10:11]
	v_mul_f64_e32 v[10:11], v[144:145], v[10:11]
	scratch_load_b128 v[130:133], off, off offset:496
	v_add_f64_e32 v[154:155], v[154:155], v[160:161]
	s_wait_loadcnt_dscnt 0xa00
	v_mul_f64_e32 v[160:161], v[4:5], v[14:15]
	v_add_f64_e32 v[164:165], v[152:153], v[150:151]
	v_mul_f64_e32 v[14:15], v[6:7], v[14:15]
	ds_load_b128 v[150:153], v2 offset:1024
	v_fmac_f64_e32 v[156:157], v[144:145], v[8:9]
	v_fma_f64 v[142:143], v[142:143], v[8:9], -v[10:11]
	scratch_load_b128 v[8:11], off, off offset:512
	v_add_f64_e32 v[154:155], v[154:155], v[158:159]
	v_fmac_f64_e32 v[160:161], v[6:7], v[12:13]
	v_add_f64_e32 v[144:145], v[164:165], v[162:163]
	v_fma_f64 v[162:163], v[4:5], v[12:13], -v[14:15]
	ds_load_b128 v[4:7], v2 offset:1040
	s_wait_loadcnt_dscnt 0xa01
	v_mul_f64_e32 v[158:159], v[150:151], v[18:19]
	v_mul_f64_e32 v[18:19], v[152:153], v[18:19]
	scratch_load_b128 v[12:15], off, off offset:528
	v_add_f64_e32 v[154:155], v[154:155], v[156:157]
	s_wait_loadcnt_dscnt 0xa00
	v_mul_f64_e32 v[156:157], v[4:5], v[22:23]
	v_add_f64_e32 v[164:165], v[144:145], v[142:143]
	v_mul_f64_e32 v[22:23], v[6:7], v[22:23]
	ds_load_b128 v[142:145], v2 offset:1056
	v_fmac_f64_e32 v[158:159], v[152:153], v[16:17]
	v_fma_f64 v[150:151], v[150:151], v[16:17], -v[18:19]
	scratch_load_b128 v[16:19], off, off offset:544
	v_add_f64_e32 v[154:155], v[154:155], v[160:161]
	v_fmac_f64_e32 v[156:157], v[6:7], v[20:21]
	v_add_f64_e32 v[152:153], v[164:165], v[162:163]
	;; [unrolled: 18-line block ×5, first 2 shown]
	v_fma_f64 v[162:163], v[4:5], v[134:135], -v[136:137]
	ds_load_b128 v[4:7], v2 offset:1168
	s_wait_loadcnt_dscnt 0xa01
	v_mul_f64_e32 v[160:161], v[150:151], v[148:149]
	v_mul_f64_e32 v[148:149], v[152:153], v[148:149]
	scratch_load_b128 v[134:137], off, off offset:656
	v_add_f64_e32 v[154:155], v[154:155], v[158:159]
	s_wait_loadcnt_dscnt 0xa00
	v_mul_f64_e32 v[158:159], v[4:5], v[132:133]
	v_add_f64_e32 v[164:165], v[144:145], v[142:143]
	v_mul_f64_e32 v[132:133], v[6:7], v[132:133]
	ds_load_b128 v[142:145], v2 offset:1184
	v_fmac_f64_e32 v[160:161], v[152:153], v[146:147]
	v_fma_f64 v[146:147], v[150:151], v[146:147], -v[148:149]
	s_wait_loadcnt_dscnt 0x900
	v_mul_f64_e32 v[152:153], v[142:143], v[10:11]
	v_mul_f64_e32 v[10:11], v[144:145], v[10:11]
	v_add_f64_e32 v[150:151], v[154:155], v[156:157]
	v_fmac_f64_e32 v[158:159], v[6:7], v[130:131]
	v_add_f64_e32 v[148:149], v[164:165], v[162:163]
	v_fma_f64 v[154:155], v[4:5], v[130:131], -v[132:133]
	ds_load_b128 v[4:7], v2 offset:1200
	ds_load_b128 v[130:133], v2 offset:1216
	v_fmac_f64_e32 v[152:153], v[144:145], v[8:9]
	v_fma_f64 v[8:9], v[142:143], v[8:9], -v[10:11]
	v_add_f64_e32 v[146:147], v[148:149], v[146:147]
	v_add_f64_e32 v[148:149], v[150:151], v[160:161]
	s_wait_loadcnt_dscnt 0x801
	v_mul_f64_e32 v[150:151], v[4:5], v[14:15]
	v_mul_f64_e32 v[14:15], v[6:7], v[14:15]
	s_wait_loadcnt_dscnt 0x700
	v_mul_f64_e32 v[144:145], v[130:131], v[18:19]
	v_mul_f64_e32 v[18:19], v[132:133], v[18:19]
	v_add_f64_e32 v[10:11], v[146:147], v[154:155]
	v_add_f64_e32 v[142:143], v[148:149], v[158:159]
	v_fmac_f64_e32 v[150:151], v[6:7], v[12:13]
	v_fma_f64 v[12:13], v[4:5], v[12:13], -v[14:15]
	v_fmac_f64_e32 v[144:145], v[132:133], v[16:17]
	v_fma_f64 v[16:17], v[130:131], v[16:17], -v[18:19]
	v_add_f64_e32 v[14:15], v[10:11], v[8:9]
	v_add_f64_e32 v[142:143], v[142:143], v[152:153]
	ds_load_b128 v[4:7], v2 offset:1232
	ds_load_b128 v[8:11], v2 offset:1248
	s_wait_loadcnt_dscnt 0x601
	v_mul_f64_e32 v[146:147], v[4:5], v[22:23]
	v_mul_f64_e32 v[22:23], v[6:7], v[22:23]
	s_wait_loadcnt_dscnt 0x500
	v_mul_f64_e32 v[18:19], v[8:9], v[112:113]
	v_mul_f64_e32 v[112:113], v[10:11], v[112:113]
	v_add_f64_e32 v[12:13], v[14:15], v[12:13]
	v_add_f64_e32 v[14:15], v[142:143], v[150:151]
	v_fmac_f64_e32 v[146:147], v[6:7], v[20:21]
	v_fma_f64 v[20:21], v[4:5], v[20:21], -v[22:23]
	v_fmac_f64_e32 v[18:19], v[10:11], v[110:111]
	v_fma_f64 v[8:9], v[8:9], v[110:111], -v[112:113]
	v_add_f64_e32 v[16:17], v[12:13], v[16:17]
	v_add_f64_e32 v[22:23], v[14:15], v[144:145]
	ds_load_b128 v[4:7], v2 offset:1264
	ds_load_b128 v[12:15], v2 offset:1280
	s_wait_loadcnt_dscnt 0x401
	v_mul_f64_e32 v[130:131], v[4:5], v[116:117]
	v_mul_f64_e32 v[116:117], v[6:7], v[116:117]
	v_add_f64_e32 v[10:11], v[16:17], v[20:21]
	v_add_f64_e32 v[16:17], v[22:23], v[146:147]
	s_wait_loadcnt_dscnt 0x300
	v_mul_f64_e32 v[20:21], v[12:13], v[120:121]
	v_mul_f64_e32 v[22:23], v[14:15], v[120:121]
	v_fmac_f64_e32 v[130:131], v[6:7], v[114:115]
	v_fma_f64 v[110:111], v[4:5], v[114:115], -v[116:117]
	v_add_f64_e32 v[112:113], v[10:11], v[8:9]
	v_add_f64_e32 v[16:17], v[16:17], v[18:19]
	ds_load_b128 v[4:7], v2 offset:1296
	ds_load_b128 v[8:11], v2 offset:1312
	v_fmac_f64_e32 v[20:21], v[14:15], v[118:119]
	v_fma_f64 v[12:13], v[12:13], v[118:119], -v[22:23]
	s_wait_loadcnt_dscnt 0x201
	v_mul_f64_e32 v[18:19], v[4:5], v[124:125]
	v_mul_f64_e32 v[114:115], v[6:7], v[124:125]
	s_wait_loadcnt_dscnt 0x100
	v_mul_f64_e32 v[22:23], v[8:9], v[128:129]
	v_add_f64_e32 v[14:15], v[112:113], v[110:111]
	v_add_f64_e32 v[16:17], v[16:17], v[130:131]
	v_mul_f64_e32 v[110:111], v[10:11], v[128:129]
	v_fmac_f64_e32 v[18:19], v[6:7], v[122:123]
	v_fma_f64 v[112:113], v[4:5], v[122:123], -v[114:115]
	ds_load_b128 v[4:7], v2 offset:1328
	v_fmac_f64_e32 v[22:23], v[10:11], v[126:127]
	v_add_f64_e32 v[12:13], v[14:15], v[12:13]
	v_add_f64_e32 v[14:15], v[16:17], v[20:21]
	v_fma_f64 v[8:9], v[8:9], v[126:127], -v[110:111]
	s_wait_loadcnt_dscnt 0x0
	v_mul_f64_e32 v[16:17], v[4:5], v[136:137]
	v_mul_f64_e32 v[20:21], v[6:7], v[136:137]
	v_add_f64_e32 v[10:11], v[12:13], v[112:113]
	v_add_f64_e32 v[12:13], v[14:15], v[18:19]
	s_delay_alu instid0(VALU_DEP_4) | instskip(NEXT) | instid1(VALU_DEP_4)
	v_fmac_f64_e32 v[16:17], v[6:7], v[134:135]
	v_fma_f64 v[4:5], v[4:5], v[134:135], -v[20:21]
	s_delay_alu instid0(VALU_DEP_4) | instskip(NEXT) | instid1(VALU_DEP_4)
	v_add_f64_e32 v[6:7], v[10:11], v[8:9]
	v_add_f64_e32 v[8:9], v[12:13], v[22:23]
	s_delay_alu instid0(VALU_DEP_2) | instskip(NEXT) | instid1(VALU_DEP_2)
	v_add_f64_e32 v[4:5], v[6:7], v[4:5]
	v_add_f64_e32 v[6:7], v[8:9], v[16:17]
	s_delay_alu instid0(VALU_DEP_2) | instskip(NEXT) | instid1(VALU_DEP_2)
	v_add_f64_e64 v[4:5], v[138:139], -v[4:5]
	v_add_f64_e64 v[6:7], v[140:141], -v[6:7]
	scratch_store_b128 off, v[4:7], off offset:96
	s_wait_xcnt 0x0
	v_cmpx_lt_u32_e32 5, v1
	s_cbranch_execz .LBB41_255
; %bb.254:
	scratch_load_b128 v[6:9], off, s45
	v_dual_mov_b32 v3, v2 :: v_dual_mov_b32 v4, v2
	v_mov_b32_e32 v5, v2
	scratch_store_b128 off, v[2:5], off offset:80
	s_wait_loadcnt 0x0
	ds_store_b128 v108, v[6:9]
.LBB41_255:
	s_wait_xcnt 0x0
	s_or_b32 exec_lo, exec_lo, s2
	s_wait_storecnt_dscnt 0x0
	s_barrier_signal -1
	s_barrier_wait -1
	s_clause 0x9
	scratch_load_b128 v[4:7], off, off offset:96
	scratch_load_b128 v[8:11], off, off offset:112
	;; [unrolled: 1-line block ×10, first 2 shown]
	ds_load_b128 v[130:133], v2 offset:768
	ds_load_b128 v[138:141], v2 offset:784
	s_clause 0x2
	scratch_load_b128 v[134:137], off, off offset:256
	scratch_load_b128 v[142:145], off, off offset:80
	;; [unrolled: 1-line block ×3, first 2 shown]
	s_mov_b32 s2, exec_lo
	s_wait_loadcnt_dscnt 0xc01
	v_mul_f64_e32 v[150:151], v[132:133], v[6:7]
	v_mul_f64_e32 v[154:155], v[130:131], v[6:7]
	s_wait_loadcnt_dscnt 0xb00
	v_mul_f64_e32 v[156:157], v[138:139], v[10:11]
	v_mul_f64_e32 v[10:11], v[140:141], v[10:11]
	s_delay_alu instid0(VALU_DEP_4) | instskip(NEXT) | instid1(VALU_DEP_4)
	v_fma_f64 v[158:159], v[130:131], v[4:5], -v[150:151]
	v_fmac_f64_e32 v[154:155], v[132:133], v[4:5]
	ds_load_b128 v[4:7], v2 offset:800
	ds_load_b128 v[130:133], v2 offset:816
	scratch_load_b128 v[150:153], off, off offset:288
	v_fmac_f64_e32 v[156:157], v[140:141], v[8:9]
	v_fma_f64 v[138:139], v[138:139], v[8:9], -v[10:11]
	scratch_load_b128 v[8:11], off, off offset:304
	s_wait_loadcnt_dscnt 0xc01
	v_mul_f64_e32 v[160:161], v[4:5], v[14:15]
	v_mul_f64_e32 v[14:15], v[6:7], v[14:15]
	v_add_f64_e32 v[140:141], 0, v[158:159]
	v_add_f64_e32 v[154:155], 0, v[154:155]
	s_wait_loadcnt_dscnt 0xb00
	v_mul_f64_e32 v[158:159], v[130:131], v[18:19]
	v_mul_f64_e32 v[18:19], v[132:133], v[18:19]
	v_fmac_f64_e32 v[160:161], v[6:7], v[12:13]
	v_fma_f64 v[162:163], v[4:5], v[12:13], -v[14:15]
	ds_load_b128 v[4:7], v2 offset:832
	ds_load_b128 v[12:15], v2 offset:848
	v_add_f64_e32 v[164:165], v[140:141], v[138:139]
	v_add_f64_e32 v[154:155], v[154:155], v[156:157]
	scratch_load_b128 v[138:141], off, off offset:320
	v_fmac_f64_e32 v[158:159], v[132:133], v[16:17]
	v_fma_f64 v[130:131], v[130:131], v[16:17], -v[18:19]
	scratch_load_b128 v[16:19], off, off offset:336
	s_wait_loadcnt_dscnt 0xc01
	v_mul_f64_e32 v[156:157], v[4:5], v[22:23]
	v_mul_f64_e32 v[22:23], v[6:7], v[22:23]
	v_add_f64_e32 v[132:133], v[164:165], v[162:163]
	v_add_f64_e32 v[154:155], v[154:155], v[160:161]
	s_wait_loadcnt_dscnt 0xb00
	v_mul_f64_e32 v[160:161], v[12:13], v[112:113]
	v_mul_f64_e32 v[112:113], v[14:15], v[112:113]
	v_fmac_f64_e32 v[156:157], v[6:7], v[20:21]
	v_fma_f64 v[162:163], v[4:5], v[20:21], -v[22:23]
	ds_load_b128 v[4:7], v2 offset:864
	ds_load_b128 v[20:23], v2 offset:880
	v_add_f64_e32 v[164:165], v[132:133], v[130:131]
	v_add_f64_e32 v[154:155], v[154:155], v[158:159]
	scratch_load_b128 v[130:133], off, off offset:352
	s_wait_loadcnt_dscnt 0xb01
	v_mul_f64_e32 v[158:159], v[4:5], v[116:117]
	v_mul_f64_e32 v[116:117], v[6:7], v[116:117]
	v_fmac_f64_e32 v[160:161], v[14:15], v[110:111]
	v_fma_f64 v[110:111], v[12:13], v[110:111], -v[112:113]
	scratch_load_b128 v[12:15], off, off offset:368
	v_add_f64_e32 v[112:113], v[164:165], v[162:163]
	v_add_f64_e32 v[154:155], v[154:155], v[156:157]
	s_wait_loadcnt_dscnt 0xb00
	v_mul_f64_e32 v[156:157], v[20:21], v[120:121]
	v_mul_f64_e32 v[120:121], v[22:23], v[120:121]
	v_fmac_f64_e32 v[158:159], v[6:7], v[114:115]
	v_fma_f64 v[162:163], v[4:5], v[114:115], -v[116:117]
	v_add_f64_e32 v[164:165], v[112:113], v[110:111]
	v_add_f64_e32 v[154:155], v[154:155], v[160:161]
	ds_load_b128 v[4:7], v2 offset:896
	ds_load_b128 v[110:113], v2 offset:912
	scratch_load_b128 v[114:117], off, off offset:384
	v_fmac_f64_e32 v[156:157], v[22:23], v[118:119]
	v_fma_f64 v[118:119], v[20:21], v[118:119], -v[120:121]
	scratch_load_b128 v[20:23], off, off offset:400
	s_wait_loadcnt_dscnt 0xc01
	v_mul_f64_e32 v[160:161], v[4:5], v[124:125]
	v_mul_f64_e32 v[124:125], v[6:7], v[124:125]
	v_add_f64_e32 v[120:121], v[164:165], v[162:163]
	v_add_f64_e32 v[154:155], v[154:155], v[158:159]
	s_wait_loadcnt_dscnt 0xb00
	v_mul_f64_e32 v[158:159], v[110:111], v[128:129]
	v_mul_f64_e32 v[128:129], v[112:113], v[128:129]
	v_fmac_f64_e32 v[160:161], v[6:7], v[122:123]
	v_fma_f64 v[162:163], v[4:5], v[122:123], -v[124:125]
	v_add_f64_e32 v[164:165], v[120:121], v[118:119]
	v_add_f64_e32 v[154:155], v[154:155], v[156:157]
	ds_load_b128 v[4:7], v2 offset:928
	ds_load_b128 v[118:121], v2 offset:944
	scratch_load_b128 v[122:125], off, off offset:416
	v_fmac_f64_e32 v[158:159], v[112:113], v[126:127]
	v_fma_f64 v[126:127], v[110:111], v[126:127], -v[128:129]
	scratch_load_b128 v[110:113], off, off offset:432
	s_wait_loadcnt_dscnt 0xc01
	v_mul_f64_e32 v[156:157], v[4:5], v[136:137]
	v_mul_f64_e32 v[136:137], v[6:7], v[136:137]
	;; [unrolled: 18-line block ×5, first 2 shown]
	v_add_f64_e32 v[148:149], v[164:165], v[162:163]
	v_add_f64_e32 v[154:155], v[154:155], v[160:161]
	s_wait_loadcnt_dscnt 0xa00
	v_mul_f64_e32 v[160:161], v[126:127], v[14:15]
	v_mul_f64_e32 v[14:15], v[128:129], v[14:15]
	v_fmac_f64_e32 v[156:157], v[6:7], v[130:131]
	v_fma_f64 v[162:163], v[4:5], v[130:131], -v[132:133]
	ds_load_b128 v[4:7], v2 offset:1056
	ds_load_b128 v[130:133], v2 offset:1072
	v_add_f64_e32 v[164:165], v[148:149], v[146:147]
	v_add_f64_e32 v[154:155], v[154:155], v[158:159]
	scratch_load_b128 v[146:149], off, off offset:544
	v_fmac_f64_e32 v[160:161], v[128:129], v[12:13]
	v_fma_f64 v[126:127], v[126:127], v[12:13], -v[14:15]
	scratch_load_b128 v[12:15], off, off offset:560
	s_wait_loadcnt_dscnt 0xb01
	v_mul_f64_e32 v[158:159], v[4:5], v[116:117]
	v_mul_f64_e32 v[116:117], v[6:7], v[116:117]
	v_add_f64_e32 v[128:129], v[164:165], v[162:163]
	v_add_f64_e32 v[154:155], v[154:155], v[156:157]
	s_wait_loadcnt_dscnt 0xa00
	v_mul_f64_e32 v[156:157], v[130:131], v[22:23]
	v_mul_f64_e32 v[22:23], v[132:133], v[22:23]
	v_fmac_f64_e32 v[158:159], v[6:7], v[114:115]
	v_fma_f64 v[162:163], v[4:5], v[114:115], -v[116:117]
	ds_load_b128 v[4:7], v2 offset:1088
	ds_load_b128 v[114:117], v2 offset:1104
	v_add_f64_e32 v[164:165], v[128:129], v[126:127]
	v_add_f64_e32 v[154:155], v[154:155], v[160:161]
	scratch_load_b128 v[126:129], off, off offset:576
	s_wait_loadcnt_dscnt 0xa01
	v_mul_f64_e32 v[160:161], v[4:5], v[124:125]
	v_mul_f64_e32 v[124:125], v[6:7], v[124:125]
	v_fmac_f64_e32 v[156:157], v[132:133], v[20:21]
	v_fma_f64 v[130:131], v[130:131], v[20:21], -v[22:23]
	scratch_load_b128 v[20:23], off, off offset:592
	v_add_f64_e32 v[132:133], v[164:165], v[162:163]
	v_add_f64_e32 v[154:155], v[154:155], v[158:159]
	s_wait_loadcnt_dscnt 0xa00
	v_mul_f64_e32 v[158:159], v[114:115], v[112:113]
	v_mul_f64_e32 v[112:113], v[116:117], v[112:113]
	v_fmac_f64_e32 v[160:161], v[6:7], v[122:123]
	v_fma_f64 v[162:163], v[4:5], v[122:123], -v[124:125]
	ds_load_b128 v[4:7], v2 offset:1120
	ds_load_b128 v[122:125], v2 offset:1136
	v_add_f64_e32 v[164:165], v[132:133], v[130:131]
	v_add_f64_e32 v[154:155], v[154:155], v[156:157]
	scratch_load_b128 v[130:133], off, off offset:608
	s_wait_loadcnt_dscnt 0xa01
	v_mul_f64_e32 v[156:157], v[4:5], v[136:137]
	v_mul_f64_e32 v[136:137], v[6:7], v[136:137]
	v_fmac_f64_e32 v[158:159], v[116:117], v[110:111]
	v_fma_f64 v[114:115], v[114:115], v[110:111], -v[112:113]
	scratch_load_b128 v[110:113], off, off offset:624
	v_add_f64_e32 v[116:117], v[164:165], v[162:163]
	v_add_f64_e32 v[154:155], v[154:155], v[160:161]
	s_wait_loadcnt_dscnt 0xa00
	v_mul_f64_e32 v[160:161], v[122:123], v[120:121]
	v_mul_f64_e32 v[120:121], v[124:125], v[120:121]
	v_fmac_f64_e32 v[156:157], v[6:7], v[134:135]
	v_fma_f64 v[162:163], v[4:5], v[134:135], -v[136:137]
	v_add_f64_e32 v[164:165], v[116:117], v[114:115]
	v_add_f64_e32 v[154:155], v[154:155], v[158:159]
	ds_load_b128 v[4:7], v2 offset:1152
	ds_load_b128 v[114:117], v2 offset:1168
	scratch_load_b128 v[134:137], off, off offset:640
	v_fmac_f64_e32 v[160:161], v[124:125], v[118:119]
	v_fma_f64 v[122:123], v[122:123], v[118:119], -v[120:121]
	scratch_load_b128 v[118:121], off, off offset:656
	s_wait_loadcnt_dscnt 0xb01
	v_mul_f64_e32 v[158:159], v[4:5], v[152:153]
	v_mul_f64_e32 v[152:153], v[6:7], v[152:153]
	v_add_f64_e32 v[124:125], v[164:165], v[162:163]
	v_add_f64_e32 v[154:155], v[154:155], v[156:157]
	s_wait_loadcnt_dscnt 0xa00
	v_mul_f64_e32 v[156:157], v[114:115], v[10:11]
	v_mul_f64_e32 v[10:11], v[116:117], v[10:11]
	v_fmac_f64_e32 v[158:159], v[6:7], v[150:151]
	v_fma_f64 v[150:151], v[4:5], v[150:151], -v[152:153]
	v_add_f64_e32 v[152:153], v[124:125], v[122:123]
	v_add_f64_e32 v[154:155], v[154:155], v[160:161]
	ds_load_b128 v[4:7], v2 offset:1184
	ds_load_b128 v[122:125], v2 offset:1200
	v_fmac_f64_e32 v[156:157], v[116:117], v[8:9]
	v_fma_f64 v[8:9], v[114:115], v[8:9], -v[10:11]
	s_wait_loadcnt_dscnt 0x901
	v_mul_f64_e32 v[160:161], v[4:5], v[140:141]
	v_mul_f64_e32 v[140:141], v[6:7], v[140:141]
	s_wait_loadcnt_dscnt 0x800
	v_mul_f64_e32 v[116:117], v[122:123], v[18:19]
	v_mul_f64_e32 v[18:19], v[124:125], v[18:19]
	v_add_f64_e32 v[10:11], v[152:153], v[150:151]
	v_add_f64_e32 v[114:115], v[154:155], v[158:159]
	v_fmac_f64_e32 v[160:161], v[6:7], v[138:139]
	v_fma_f64 v[138:139], v[4:5], v[138:139], -v[140:141]
	v_fmac_f64_e32 v[116:117], v[124:125], v[16:17]
	v_fma_f64 v[16:17], v[122:123], v[16:17], -v[18:19]
	v_add_f64_e32 v[140:141], v[10:11], v[8:9]
	v_add_f64_e32 v[114:115], v[114:115], v[156:157]
	ds_load_b128 v[4:7], v2 offset:1216
	ds_load_b128 v[8:11], v2 offset:1232
	s_wait_loadcnt_dscnt 0x701
	v_mul_f64_e32 v[150:151], v[4:5], v[148:149]
	v_mul_f64_e32 v[148:149], v[6:7], v[148:149]
	s_wait_loadcnt_dscnt 0x600
	v_mul_f64_e32 v[122:123], v[8:9], v[14:15]
	v_mul_f64_e32 v[124:125], v[10:11], v[14:15]
	v_add_f64_e32 v[18:19], v[140:141], v[138:139]
	v_add_f64_e32 v[114:115], v[114:115], v[160:161]
	v_fmac_f64_e32 v[150:151], v[6:7], v[146:147]
	v_fma_f64 v[138:139], v[4:5], v[146:147], -v[148:149]
	v_fmac_f64_e32 v[122:123], v[10:11], v[12:13]
	v_fma_f64 v[8:9], v[8:9], v[12:13], -v[124:125]
	v_add_f64_e32 v[18:19], v[18:19], v[16:17]
	v_add_f64_e32 v[114:115], v[114:115], v[116:117]
	ds_load_b128 v[4:7], v2 offset:1248
	ds_load_b128 v[14:17], v2 offset:1264
	s_wait_loadcnt_dscnt 0x501
	v_mul_f64_e32 v[116:117], v[4:5], v[128:129]
	v_mul_f64_e32 v[128:129], v[6:7], v[128:129]
	v_add_f64_e32 v[10:11], v[18:19], v[138:139]
	v_add_f64_e32 v[12:13], v[114:115], v[150:151]
	s_wait_loadcnt_dscnt 0x400
	v_mul_f64_e32 v[18:19], v[14:15], v[22:23]
	v_mul_f64_e32 v[22:23], v[16:17], v[22:23]
	v_fmac_f64_e32 v[116:117], v[6:7], v[126:127]
	v_fma_f64 v[114:115], v[4:5], v[126:127], -v[128:129]
	v_add_f64_e32 v[124:125], v[10:11], v[8:9]
	v_add_f64_e32 v[12:13], v[12:13], v[122:123]
	ds_load_b128 v[4:7], v2 offset:1280
	ds_load_b128 v[8:11], v2 offset:1296
	v_fmac_f64_e32 v[18:19], v[16:17], v[20:21]
	v_fma_f64 v[14:15], v[14:15], v[20:21], -v[22:23]
	s_wait_loadcnt_dscnt 0x301
	v_mul_f64_e32 v[122:123], v[4:5], v[132:133]
	v_mul_f64_e32 v[126:127], v[6:7], v[132:133]
	s_wait_loadcnt_dscnt 0x200
	v_mul_f64_e32 v[20:21], v[8:9], v[112:113]
	v_mul_f64_e32 v[22:23], v[10:11], v[112:113]
	v_add_f64_e32 v[16:17], v[124:125], v[114:115]
	v_add_f64_e32 v[12:13], v[12:13], v[116:117]
	v_fmac_f64_e32 v[122:123], v[6:7], v[130:131]
	v_fma_f64 v[112:113], v[4:5], v[130:131], -v[126:127]
	v_fmac_f64_e32 v[20:21], v[10:11], v[110:111]
	v_fma_f64 v[8:9], v[8:9], v[110:111], -v[22:23]
	v_add_f64_e32 v[16:17], v[16:17], v[14:15]
	v_add_f64_e32 v[18:19], v[12:13], v[18:19]
	ds_load_b128 v[4:7], v2 offset:1312
	ds_load_b128 v[12:15], v2 offset:1328
	s_wait_loadcnt_dscnt 0x101
	v_mul_f64_e32 v[2:3], v[4:5], v[136:137]
	v_mul_f64_e32 v[114:115], v[6:7], v[136:137]
	s_wait_loadcnt_dscnt 0x0
	v_mul_f64_e32 v[22:23], v[14:15], v[120:121]
	v_add_f64_e32 v[10:11], v[16:17], v[112:113]
	v_add_f64_e32 v[16:17], v[18:19], v[122:123]
	v_mul_f64_e32 v[18:19], v[12:13], v[120:121]
	v_fmac_f64_e32 v[2:3], v[6:7], v[134:135]
	v_fma_f64 v[4:5], v[4:5], v[134:135], -v[114:115]
	v_add_f64_e32 v[6:7], v[10:11], v[8:9]
	v_add_f64_e32 v[8:9], v[16:17], v[20:21]
	v_fmac_f64_e32 v[18:19], v[14:15], v[118:119]
	v_fma_f64 v[10:11], v[12:13], v[118:119], -v[22:23]
	s_delay_alu instid0(VALU_DEP_4) | instskip(NEXT) | instid1(VALU_DEP_4)
	v_add_f64_e32 v[4:5], v[6:7], v[4:5]
	v_add_f64_e32 v[2:3], v[8:9], v[2:3]
	s_delay_alu instid0(VALU_DEP_2) | instskip(NEXT) | instid1(VALU_DEP_2)
	v_add_f64_e32 v[4:5], v[4:5], v[10:11]
	v_add_f64_e32 v[6:7], v[2:3], v[18:19]
	s_delay_alu instid0(VALU_DEP_2) | instskip(NEXT) | instid1(VALU_DEP_2)
	v_add_f64_e64 v[2:3], v[142:143], -v[4:5]
	v_add_f64_e64 v[4:5], v[144:145], -v[6:7]
	scratch_store_b128 off, v[2:5], off offset:80
	s_wait_xcnt 0x0
	v_cmpx_lt_u32_e32 4, v1
	s_cbranch_execz .LBB41_257
; %bb.256:
	scratch_load_b128 v[2:5], off, s40
	v_mov_b32_e32 v6, 0
	s_delay_alu instid0(VALU_DEP_1)
	v_dual_mov_b32 v7, v6 :: v_dual_mov_b32 v8, v6
	v_mov_b32_e32 v9, v6
	scratch_store_b128 off, v[6:9], off offset:64
	s_wait_loadcnt 0x0
	ds_store_b128 v108, v[2:5]
.LBB41_257:
	s_wait_xcnt 0x0
	s_or_b32 exec_lo, exec_lo, s2
	s_wait_storecnt_dscnt 0x0
	s_barrier_signal -1
	s_barrier_wait -1
	s_clause 0x9
	scratch_load_b128 v[4:7], off, off offset:80
	scratch_load_b128 v[8:11], off, off offset:96
	;; [unrolled: 1-line block ×10, first 2 shown]
	v_mov_b32_e32 v2, 0
	s_mov_b32 s2, exec_lo
	ds_load_b128 v[130:133], v2 offset:752
	s_clause 0x2
	scratch_load_b128 v[134:137], off, off offset:240
	scratch_load_b128 v[138:141], off, off offset:64
	;; [unrolled: 1-line block ×3, first 2 shown]
	s_wait_loadcnt_dscnt 0xc00
	v_mul_f64_e32 v[150:151], v[132:133], v[6:7]
	v_mul_f64_e32 v[154:155], v[130:131], v[6:7]
	ds_load_b128 v[142:145], v2 offset:768
	v_fma_f64 v[158:159], v[130:131], v[4:5], -v[150:151]
	v_fmac_f64_e32 v[154:155], v[132:133], v[4:5]
	ds_load_b128 v[4:7], v2 offset:784
	s_wait_loadcnt_dscnt 0xb01
	v_mul_f64_e32 v[156:157], v[142:143], v[10:11]
	v_mul_f64_e32 v[10:11], v[144:145], v[10:11]
	scratch_load_b128 v[130:133], off, off offset:272
	ds_load_b128 v[150:153], v2 offset:800
	s_wait_loadcnt_dscnt 0xb01
	v_mul_f64_e32 v[160:161], v[4:5], v[14:15]
	v_mul_f64_e32 v[14:15], v[6:7], v[14:15]
	v_add_f64_e32 v[154:155], 0, v[154:155]
	v_fmac_f64_e32 v[156:157], v[144:145], v[8:9]
	v_fma_f64 v[142:143], v[142:143], v[8:9], -v[10:11]
	v_add_f64_e32 v[144:145], 0, v[158:159]
	scratch_load_b128 v[8:11], off, off offset:288
	v_fmac_f64_e32 v[160:161], v[6:7], v[12:13]
	v_fma_f64 v[162:163], v[4:5], v[12:13], -v[14:15]
	ds_load_b128 v[4:7], v2 offset:816
	s_wait_loadcnt_dscnt 0xb01
	v_mul_f64_e32 v[158:159], v[150:151], v[18:19]
	v_mul_f64_e32 v[18:19], v[152:153], v[18:19]
	scratch_load_b128 v[12:15], off, off offset:304
	v_add_f64_e32 v[154:155], v[154:155], v[156:157]
	v_add_f64_e32 v[164:165], v[144:145], v[142:143]
	ds_load_b128 v[142:145], v2 offset:832
	s_wait_loadcnt_dscnt 0xb01
	v_mul_f64_e32 v[156:157], v[4:5], v[22:23]
	v_mul_f64_e32 v[22:23], v[6:7], v[22:23]
	v_fmac_f64_e32 v[158:159], v[152:153], v[16:17]
	v_fma_f64 v[150:151], v[150:151], v[16:17], -v[18:19]
	scratch_load_b128 v[16:19], off, off offset:320
	v_add_f64_e32 v[154:155], v[154:155], v[160:161]
	v_add_f64_e32 v[152:153], v[164:165], v[162:163]
	v_fmac_f64_e32 v[156:157], v[6:7], v[20:21]
	v_fma_f64 v[162:163], v[4:5], v[20:21], -v[22:23]
	ds_load_b128 v[4:7], v2 offset:848
	s_wait_loadcnt_dscnt 0xb01
	v_mul_f64_e32 v[160:161], v[142:143], v[112:113]
	v_mul_f64_e32 v[112:113], v[144:145], v[112:113]
	scratch_load_b128 v[20:23], off, off offset:336
	v_add_f64_e32 v[154:155], v[154:155], v[158:159]
	s_wait_loadcnt_dscnt 0xb00
	v_mul_f64_e32 v[158:159], v[4:5], v[116:117]
	v_add_f64_e32 v[164:165], v[152:153], v[150:151]
	v_mul_f64_e32 v[116:117], v[6:7], v[116:117]
	ds_load_b128 v[150:153], v2 offset:864
	v_fmac_f64_e32 v[160:161], v[144:145], v[110:111]
	v_fma_f64 v[142:143], v[142:143], v[110:111], -v[112:113]
	scratch_load_b128 v[110:113], off, off offset:352
	v_add_f64_e32 v[154:155], v[154:155], v[156:157]
	v_fmac_f64_e32 v[158:159], v[6:7], v[114:115]
	v_add_f64_e32 v[144:145], v[164:165], v[162:163]
	v_fma_f64 v[162:163], v[4:5], v[114:115], -v[116:117]
	ds_load_b128 v[4:7], v2 offset:880
	s_wait_loadcnt_dscnt 0xb01
	v_mul_f64_e32 v[156:157], v[150:151], v[120:121]
	v_mul_f64_e32 v[120:121], v[152:153], v[120:121]
	scratch_load_b128 v[114:117], off, off offset:368
	v_add_f64_e32 v[154:155], v[154:155], v[160:161]
	s_wait_loadcnt_dscnt 0xb00
	v_mul_f64_e32 v[160:161], v[4:5], v[124:125]
	v_add_f64_e32 v[164:165], v[144:145], v[142:143]
	v_mul_f64_e32 v[124:125], v[6:7], v[124:125]
	ds_load_b128 v[142:145], v2 offset:896
	v_fmac_f64_e32 v[156:157], v[152:153], v[118:119]
	v_fma_f64 v[150:151], v[150:151], v[118:119], -v[120:121]
	scratch_load_b128 v[118:121], off, off offset:384
	v_add_f64_e32 v[154:155], v[154:155], v[158:159]
	v_fmac_f64_e32 v[160:161], v[6:7], v[122:123]
	v_add_f64_e32 v[152:153], v[164:165], v[162:163]
	v_fma_f64 v[162:163], v[4:5], v[122:123], -v[124:125]
	ds_load_b128 v[4:7], v2 offset:912
	s_wait_loadcnt_dscnt 0xb01
	v_mul_f64_e32 v[158:159], v[142:143], v[128:129]
	v_mul_f64_e32 v[128:129], v[144:145], v[128:129]
	scratch_load_b128 v[122:125], off, off offset:400
	v_add_f64_e32 v[154:155], v[154:155], v[156:157]
	s_wait_loadcnt_dscnt 0xb00
	v_mul_f64_e32 v[156:157], v[4:5], v[136:137]
	v_add_f64_e32 v[164:165], v[152:153], v[150:151]
	v_mul_f64_e32 v[136:137], v[6:7], v[136:137]
	ds_load_b128 v[150:153], v2 offset:928
	v_fmac_f64_e32 v[158:159], v[144:145], v[126:127]
	v_fma_f64 v[142:143], v[142:143], v[126:127], -v[128:129]
	scratch_load_b128 v[126:129], off, off offset:416
	v_add_f64_e32 v[154:155], v[154:155], v[160:161]
	v_fmac_f64_e32 v[156:157], v[6:7], v[134:135]
	v_add_f64_e32 v[144:145], v[164:165], v[162:163]
	v_fma_f64 v[162:163], v[4:5], v[134:135], -v[136:137]
	ds_load_b128 v[4:7], v2 offset:944
	s_wait_loadcnt_dscnt 0xa01
	v_mul_f64_e32 v[160:161], v[150:151], v[148:149]
	v_mul_f64_e32 v[148:149], v[152:153], v[148:149]
	scratch_load_b128 v[134:137], off, off offset:432
	v_add_f64_e32 v[154:155], v[154:155], v[158:159]
	v_add_f64_e32 v[164:165], v[144:145], v[142:143]
	s_wait_loadcnt_dscnt 0xa00
	v_mul_f64_e32 v[158:159], v[4:5], v[132:133]
	v_mul_f64_e32 v[132:133], v[6:7], v[132:133]
	v_fmac_f64_e32 v[160:161], v[152:153], v[146:147]
	v_fma_f64 v[150:151], v[150:151], v[146:147], -v[148:149]
	ds_load_b128 v[142:145], v2 offset:960
	scratch_load_b128 v[146:149], off, off offset:448
	v_add_f64_e32 v[154:155], v[154:155], v[156:157]
	v_add_f64_e32 v[152:153], v[164:165], v[162:163]
	v_fmac_f64_e32 v[158:159], v[6:7], v[130:131]
	v_fma_f64 v[162:163], v[4:5], v[130:131], -v[132:133]
	ds_load_b128 v[4:7], v2 offset:976
	s_wait_loadcnt_dscnt 0xa01
	v_mul_f64_e32 v[156:157], v[142:143], v[10:11]
	v_mul_f64_e32 v[10:11], v[144:145], v[10:11]
	scratch_load_b128 v[130:133], off, off offset:464
	v_add_f64_e32 v[154:155], v[154:155], v[160:161]
	s_wait_loadcnt_dscnt 0xa00
	v_mul_f64_e32 v[160:161], v[4:5], v[14:15]
	v_add_f64_e32 v[164:165], v[152:153], v[150:151]
	v_mul_f64_e32 v[14:15], v[6:7], v[14:15]
	ds_load_b128 v[150:153], v2 offset:992
	v_fmac_f64_e32 v[156:157], v[144:145], v[8:9]
	v_fma_f64 v[142:143], v[142:143], v[8:9], -v[10:11]
	scratch_load_b128 v[8:11], off, off offset:480
	v_add_f64_e32 v[154:155], v[154:155], v[158:159]
	v_fmac_f64_e32 v[160:161], v[6:7], v[12:13]
	v_add_f64_e32 v[144:145], v[164:165], v[162:163]
	v_fma_f64 v[162:163], v[4:5], v[12:13], -v[14:15]
	ds_load_b128 v[4:7], v2 offset:1008
	s_wait_loadcnt_dscnt 0xa01
	v_mul_f64_e32 v[158:159], v[150:151], v[18:19]
	v_mul_f64_e32 v[18:19], v[152:153], v[18:19]
	scratch_load_b128 v[12:15], off, off offset:496
	v_add_f64_e32 v[154:155], v[154:155], v[156:157]
	s_wait_loadcnt_dscnt 0xa00
	v_mul_f64_e32 v[156:157], v[4:5], v[22:23]
	v_add_f64_e32 v[164:165], v[144:145], v[142:143]
	v_mul_f64_e32 v[22:23], v[6:7], v[22:23]
	ds_load_b128 v[142:145], v2 offset:1024
	v_fmac_f64_e32 v[158:159], v[152:153], v[16:17]
	v_fma_f64 v[150:151], v[150:151], v[16:17], -v[18:19]
	scratch_load_b128 v[16:19], off, off offset:512
	v_add_f64_e32 v[154:155], v[154:155], v[160:161]
	v_fmac_f64_e32 v[156:157], v[6:7], v[20:21]
	v_add_f64_e32 v[152:153], v[164:165], v[162:163]
	;; [unrolled: 18-line block ×6, first 2 shown]
	v_fma_f64 v[162:163], v[4:5], v[130:131], -v[132:133]
	ds_load_b128 v[4:7], v2 offset:1168
	s_wait_loadcnt_dscnt 0xa01
	v_mul_f64_e32 v[156:157], v[142:143], v[10:11]
	v_mul_f64_e32 v[10:11], v[144:145], v[10:11]
	scratch_load_b128 v[130:133], off, off offset:656
	v_add_f64_e32 v[154:155], v[154:155], v[160:161]
	s_wait_loadcnt_dscnt 0xa00
	v_mul_f64_e32 v[160:161], v[4:5], v[14:15]
	v_add_f64_e32 v[164:165], v[152:153], v[150:151]
	v_mul_f64_e32 v[14:15], v[6:7], v[14:15]
	ds_load_b128 v[150:153], v2 offset:1184
	v_fmac_f64_e32 v[156:157], v[144:145], v[8:9]
	v_fma_f64 v[8:9], v[142:143], v[8:9], -v[10:11]
	s_wait_loadcnt_dscnt 0x900
	v_mul_f64_e32 v[144:145], v[150:151], v[18:19]
	v_mul_f64_e32 v[18:19], v[152:153], v[18:19]
	v_add_f64_e32 v[142:143], v[154:155], v[158:159]
	v_fmac_f64_e32 v[160:161], v[6:7], v[12:13]
	v_add_f64_e32 v[10:11], v[164:165], v[162:163]
	v_fma_f64 v[12:13], v[4:5], v[12:13], -v[14:15]
	v_fmac_f64_e32 v[144:145], v[152:153], v[16:17]
	v_fma_f64 v[16:17], v[150:151], v[16:17], -v[18:19]
	v_add_f64_e32 v[142:143], v[142:143], v[156:157]
	v_add_f64_e32 v[14:15], v[10:11], v[8:9]
	ds_load_b128 v[4:7], v2 offset:1200
	ds_load_b128 v[8:11], v2 offset:1216
	s_wait_loadcnt_dscnt 0x801
	v_mul_f64_e32 v[154:155], v[4:5], v[22:23]
	v_mul_f64_e32 v[22:23], v[6:7], v[22:23]
	s_wait_loadcnt_dscnt 0x700
	v_mul_f64_e32 v[18:19], v[8:9], v[112:113]
	v_mul_f64_e32 v[112:113], v[10:11], v[112:113]
	v_add_f64_e32 v[12:13], v[14:15], v[12:13]
	v_add_f64_e32 v[14:15], v[142:143], v[160:161]
	v_fmac_f64_e32 v[154:155], v[6:7], v[20:21]
	v_fma_f64 v[20:21], v[4:5], v[20:21], -v[22:23]
	v_fmac_f64_e32 v[18:19], v[10:11], v[110:111]
	v_fma_f64 v[8:9], v[8:9], v[110:111], -v[112:113]
	v_add_f64_e32 v[16:17], v[12:13], v[16:17]
	v_add_f64_e32 v[22:23], v[14:15], v[144:145]
	ds_load_b128 v[4:7], v2 offset:1232
	ds_load_b128 v[12:15], v2 offset:1248
	s_wait_loadcnt_dscnt 0x601
	v_mul_f64_e32 v[142:143], v[4:5], v[116:117]
	v_mul_f64_e32 v[116:117], v[6:7], v[116:117]
	v_add_f64_e32 v[10:11], v[16:17], v[20:21]
	v_add_f64_e32 v[16:17], v[22:23], v[154:155]
	s_wait_loadcnt_dscnt 0x500
	v_mul_f64_e32 v[20:21], v[12:13], v[120:121]
	v_mul_f64_e32 v[22:23], v[14:15], v[120:121]
	v_fmac_f64_e32 v[142:143], v[6:7], v[114:115]
	v_fma_f64 v[110:111], v[4:5], v[114:115], -v[116:117]
	v_add_f64_e32 v[112:113], v[10:11], v[8:9]
	v_add_f64_e32 v[16:17], v[16:17], v[18:19]
	ds_load_b128 v[4:7], v2 offset:1264
	ds_load_b128 v[8:11], v2 offset:1280
	v_fmac_f64_e32 v[20:21], v[14:15], v[118:119]
	v_fma_f64 v[12:13], v[12:13], v[118:119], -v[22:23]
	s_wait_loadcnt_dscnt 0x401
	v_mul_f64_e32 v[18:19], v[4:5], v[124:125]
	v_mul_f64_e32 v[114:115], v[6:7], v[124:125]
	s_wait_loadcnt_dscnt 0x300
	v_mul_f64_e32 v[22:23], v[8:9], v[128:129]
	v_add_f64_e32 v[14:15], v[112:113], v[110:111]
	v_add_f64_e32 v[16:17], v[16:17], v[142:143]
	v_mul_f64_e32 v[110:111], v[10:11], v[128:129]
	v_fmac_f64_e32 v[18:19], v[6:7], v[122:123]
	v_fma_f64 v[112:113], v[4:5], v[122:123], -v[114:115]
	v_fmac_f64_e32 v[22:23], v[10:11], v[126:127]
	v_add_f64_e32 v[114:115], v[14:15], v[12:13]
	v_add_f64_e32 v[16:17], v[16:17], v[20:21]
	ds_load_b128 v[4:7], v2 offset:1296
	ds_load_b128 v[12:15], v2 offset:1312
	v_fma_f64 v[8:9], v[8:9], v[126:127], -v[110:111]
	s_wait_loadcnt_dscnt 0x201
	v_mul_f64_e32 v[20:21], v[4:5], v[136:137]
	v_mul_f64_e32 v[116:117], v[6:7], v[136:137]
	s_wait_loadcnt_dscnt 0x100
	v_mul_f64_e32 v[110:111], v[14:15], v[148:149]
	v_add_f64_e32 v[10:11], v[114:115], v[112:113]
	v_add_f64_e32 v[16:17], v[16:17], v[18:19]
	v_mul_f64_e32 v[18:19], v[12:13], v[148:149]
	v_fmac_f64_e32 v[20:21], v[6:7], v[134:135]
	v_fma_f64 v[112:113], v[4:5], v[134:135], -v[116:117]
	ds_load_b128 v[4:7], v2 offset:1328
	v_fma_f64 v[12:13], v[12:13], v[146:147], -v[110:111]
	v_add_f64_e32 v[8:9], v[10:11], v[8:9]
	v_add_f64_e32 v[10:11], v[16:17], v[22:23]
	v_fmac_f64_e32 v[18:19], v[14:15], v[146:147]
	s_wait_loadcnt_dscnt 0x0
	v_mul_f64_e32 v[16:17], v[4:5], v[132:133]
	v_mul_f64_e32 v[22:23], v[6:7], v[132:133]
	v_add_f64_e32 v[8:9], v[8:9], v[112:113]
	v_add_f64_e32 v[10:11], v[10:11], v[20:21]
	s_delay_alu instid0(VALU_DEP_4) | instskip(NEXT) | instid1(VALU_DEP_4)
	v_fmac_f64_e32 v[16:17], v[6:7], v[130:131]
	v_fma_f64 v[4:5], v[4:5], v[130:131], -v[22:23]
	s_delay_alu instid0(VALU_DEP_4) | instskip(NEXT) | instid1(VALU_DEP_4)
	v_add_f64_e32 v[6:7], v[8:9], v[12:13]
	v_add_f64_e32 v[8:9], v[10:11], v[18:19]
	s_delay_alu instid0(VALU_DEP_2) | instskip(NEXT) | instid1(VALU_DEP_2)
	v_add_f64_e32 v[4:5], v[6:7], v[4:5]
	v_add_f64_e32 v[6:7], v[8:9], v[16:17]
	s_delay_alu instid0(VALU_DEP_2) | instskip(NEXT) | instid1(VALU_DEP_2)
	v_add_f64_e64 v[4:5], v[138:139], -v[4:5]
	v_add_f64_e64 v[6:7], v[140:141], -v[6:7]
	scratch_store_b128 off, v[4:7], off offset:64
	s_wait_xcnt 0x0
	v_cmpx_lt_u32_e32 3, v1
	s_cbranch_execz .LBB41_259
; %bb.258:
	scratch_load_b128 v[6:9], off, s39
	v_dual_mov_b32 v3, v2 :: v_dual_mov_b32 v4, v2
	v_mov_b32_e32 v5, v2
	scratch_store_b128 off, v[2:5], off offset:48
	s_wait_loadcnt 0x0
	ds_store_b128 v108, v[6:9]
.LBB41_259:
	s_wait_xcnt 0x0
	s_or_b32 exec_lo, exec_lo, s2
	s_wait_storecnt_dscnt 0x0
	s_barrier_signal -1
	s_barrier_wait -1
	s_clause 0x9
	scratch_load_b128 v[4:7], off, off offset:64
	scratch_load_b128 v[8:11], off, off offset:80
	;; [unrolled: 1-line block ×10, first 2 shown]
	ds_load_b128 v[130:133], v2 offset:736
	ds_load_b128 v[138:141], v2 offset:752
	s_clause 0x2
	scratch_load_b128 v[134:137], off, off offset:224
	scratch_load_b128 v[142:145], off, off offset:48
	;; [unrolled: 1-line block ×3, first 2 shown]
	s_mov_b32 s2, exec_lo
	s_wait_loadcnt_dscnt 0xc01
	v_mul_f64_e32 v[150:151], v[132:133], v[6:7]
	v_mul_f64_e32 v[154:155], v[130:131], v[6:7]
	s_wait_loadcnt_dscnt 0xb00
	v_mul_f64_e32 v[156:157], v[138:139], v[10:11]
	v_mul_f64_e32 v[10:11], v[140:141], v[10:11]
	s_delay_alu instid0(VALU_DEP_4) | instskip(NEXT) | instid1(VALU_DEP_4)
	v_fma_f64 v[158:159], v[130:131], v[4:5], -v[150:151]
	v_fmac_f64_e32 v[154:155], v[132:133], v[4:5]
	ds_load_b128 v[4:7], v2 offset:768
	ds_load_b128 v[130:133], v2 offset:784
	scratch_load_b128 v[150:153], off, off offset:256
	v_fmac_f64_e32 v[156:157], v[140:141], v[8:9]
	v_fma_f64 v[138:139], v[138:139], v[8:9], -v[10:11]
	scratch_load_b128 v[8:11], off, off offset:272
	s_wait_loadcnt_dscnt 0xc01
	v_mul_f64_e32 v[160:161], v[4:5], v[14:15]
	v_mul_f64_e32 v[14:15], v[6:7], v[14:15]
	v_add_f64_e32 v[140:141], 0, v[158:159]
	v_add_f64_e32 v[154:155], 0, v[154:155]
	s_wait_loadcnt_dscnt 0xb00
	v_mul_f64_e32 v[158:159], v[130:131], v[18:19]
	v_mul_f64_e32 v[18:19], v[132:133], v[18:19]
	v_fmac_f64_e32 v[160:161], v[6:7], v[12:13]
	v_fma_f64 v[162:163], v[4:5], v[12:13], -v[14:15]
	ds_load_b128 v[4:7], v2 offset:800
	ds_load_b128 v[12:15], v2 offset:816
	v_add_f64_e32 v[164:165], v[140:141], v[138:139]
	v_add_f64_e32 v[154:155], v[154:155], v[156:157]
	scratch_load_b128 v[138:141], off, off offset:288
	v_fmac_f64_e32 v[158:159], v[132:133], v[16:17]
	v_fma_f64 v[130:131], v[130:131], v[16:17], -v[18:19]
	scratch_load_b128 v[16:19], off, off offset:304
	s_wait_loadcnt_dscnt 0xc01
	v_mul_f64_e32 v[156:157], v[4:5], v[22:23]
	v_mul_f64_e32 v[22:23], v[6:7], v[22:23]
	v_add_f64_e32 v[132:133], v[164:165], v[162:163]
	v_add_f64_e32 v[154:155], v[154:155], v[160:161]
	s_wait_loadcnt_dscnt 0xb00
	v_mul_f64_e32 v[160:161], v[12:13], v[112:113]
	v_mul_f64_e32 v[112:113], v[14:15], v[112:113]
	v_fmac_f64_e32 v[156:157], v[6:7], v[20:21]
	v_fma_f64 v[162:163], v[4:5], v[20:21], -v[22:23]
	ds_load_b128 v[4:7], v2 offset:832
	ds_load_b128 v[20:23], v2 offset:848
	v_add_f64_e32 v[164:165], v[132:133], v[130:131]
	v_add_f64_e32 v[154:155], v[154:155], v[158:159]
	scratch_load_b128 v[130:133], off, off offset:320
	s_wait_loadcnt_dscnt 0xb01
	v_mul_f64_e32 v[158:159], v[4:5], v[116:117]
	v_mul_f64_e32 v[116:117], v[6:7], v[116:117]
	v_fmac_f64_e32 v[160:161], v[14:15], v[110:111]
	v_fma_f64 v[110:111], v[12:13], v[110:111], -v[112:113]
	scratch_load_b128 v[12:15], off, off offset:336
	v_add_f64_e32 v[112:113], v[164:165], v[162:163]
	v_add_f64_e32 v[154:155], v[154:155], v[156:157]
	s_wait_loadcnt_dscnt 0xb00
	v_mul_f64_e32 v[156:157], v[20:21], v[120:121]
	v_mul_f64_e32 v[120:121], v[22:23], v[120:121]
	v_fmac_f64_e32 v[158:159], v[6:7], v[114:115]
	v_fma_f64 v[162:163], v[4:5], v[114:115], -v[116:117]
	v_add_f64_e32 v[164:165], v[112:113], v[110:111]
	v_add_f64_e32 v[154:155], v[154:155], v[160:161]
	ds_load_b128 v[4:7], v2 offset:864
	ds_load_b128 v[110:113], v2 offset:880
	scratch_load_b128 v[114:117], off, off offset:352
	v_fmac_f64_e32 v[156:157], v[22:23], v[118:119]
	v_fma_f64 v[118:119], v[20:21], v[118:119], -v[120:121]
	scratch_load_b128 v[20:23], off, off offset:368
	s_wait_loadcnt_dscnt 0xc01
	v_mul_f64_e32 v[160:161], v[4:5], v[124:125]
	v_mul_f64_e32 v[124:125], v[6:7], v[124:125]
	v_add_f64_e32 v[120:121], v[164:165], v[162:163]
	v_add_f64_e32 v[154:155], v[154:155], v[158:159]
	s_wait_loadcnt_dscnt 0xb00
	v_mul_f64_e32 v[158:159], v[110:111], v[128:129]
	v_mul_f64_e32 v[128:129], v[112:113], v[128:129]
	v_fmac_f64_e32 v[160:161], v[6:7], v[122:123]
	v_fma_f64 v[162:163], v[4:5], v[122:123], -v[124:125]
	v_add_f64_e32 v[164:165], v[120:121], v[118:119]
	v_add_f64_e32 v[154:155], v[154:155], v[156:157]
	ds_load_b128 v[4:7], v2 offset:896
	ds_load_b128 v[118:121], v2 offset:912
	scratch_load_b128 v[122:125], off, off offset:384
	v_fmac_f64_e32 v[158:159], v[112:113], v[126:127]
	v_fma_f64 v[126:127], v[110:111], v[126:127], -v[128:129]
	scratch_load_b128 v[110:113], off, off offset:400
	s_wait_loadcnt_dscnt 0xc01
	v_mul_f64_e32 v[156:157], v[4:5], v[136:137]
	v_mul_f64_e32 v[136:137], v[6:7], v[136:137]
	;; [unrolled: 18-line block ×5, first 2 shown]
	v_add_f64_e32 v[148:149], v[164:165], v[162:163]
	v_add_f64_e32 v[154:155], v[154:155], v[160:161]
	s_wait_loadcnt_dscnt 0xa00
	v_mul_f64_e32 v[160:161], v[126:127], v[14:15]
	v_mul_f64_e32 v[14:15], v[128:129], v[14:15]
	v_fmac_f64_e32 v[156:157], v[6:7], v[130:131]
	v_fma_f64 v[162:163], v[4:5], v[130:131], -v[132:133]
	ds_load_b128 v[4:7], v2 offset:1024
	ds_load_b128 v[130:133], v2 offset:1040
	v_add_f64_e32 v[164:165], v[148:149], v[146:147]
	v_add_f64_e32 v[154:155], v[154:155], v[158:159]
	scratch_load_b128 v[146:149], off, off offset:512
	v_fmac_f64_e32 v[160:161], v[128:129], v[12:13]
	v_fma_f64 v[126:127], v[126:127], v[12:13], -v[14:15]
	scratch_load_b128 v[12:15], off, off offset:528
	s_wait_loadcnt_dscnt 0xb01
	v_mul_f64_e32 v[158:159], v[4:5], v[116:117]
	v_mul_f64_e32 v[116:117], v[6:7], v[116:117]
	v_add_f64_e32 v[128:129], v[164:165], v[162:163]
	v_add_f64_e32 v[154:155], v[154:155], v[156:157]
	s_wait_loadcnt_dscnt 0xa00
	v_mul_f64_e32 v[156:157], v[130:131], v[22:23]
	v_mul_f64_e32 v[22:23], v[132:133], v[22:23]
	v_fmac_f64_e32 v[158:159], v[6:7], v[114:115]
	v_fma_f64 v[162:163], v[4:5], v[114:115], -v[116:117]
	ds_load_b128 v[4:7], v2 offset:1056
	ds_load_b128 v[114:117], v2 offset:1072
	v_add_f64_e32 v[164:165], v[128:129], v[126:127]
	v_add_f64_e32 v[154:155], v[154:155], v[160:161]
	scratch_load_b128 v[126:129], off, off offset:544
	s_wait_loadcnt_dscnt 0xa01
	v_mul_f64_e32 v[160:161], v[4:5], v[124:125]
	v_mul_f64_e32 v[124:125], v[6:7], v[124:125]
	v_fmac_f64_e32 v[156:157], v[132:133], v[20:21]
	v_fma_f64 v[130:131], v[130:131], v[20:21], -v[22:23]
	scratch_load_b128 v[20:23], off, off offset:560
	v_add_f64_e32 v[132:133], v[164:165], v[162:163]
	v_add_f64_e32 v[154:155], v[154:155], v[158:159]
	s_wait_loadcnt_dscnt 0xa00
	v_mul_f64_e32 v[158:159], v[114:115], v[112:113]
	v_mul_f64_e32 v[112:113], v[116:117], v[112:113]
	v_fmac_f64_e32 v[160:161], v[6:7], v[122:123]
	v_fma_f64 v[162:163], v[4:5], v[122:123], -v[124:125]
	ds_load_b128 v[4:7], v2 offset:1088
	ds_load_b128 v[122:125], v2 offset:1104
	v_add_f64_e32 v[164:165], v[132:133], v[130:131]
	v_add_f64_e32 v[154:155], v[154:155], v[156:157]
	scratch_load_b128 v[130:133], off, off offset:576
	s_wait_loadcnt_dscnt 0xa01
	v_mul_f64_e32 v[156:157], v[4:5], v[136:137]
	v_mul_f64_e32 v[136:137], v[6:7], v[136:137]
	v_fmac_f64_e32 v[158:159], v[116:117], v[110:111]
	v_fma_f64 v[114:115], v[114:115], v[110:111], -v[112:113]
	scratch_load_b128 v[110:113], off, off offset:592
	v_add_f64_e32 v[116:117], v[164:165], v[162:163]
	v_add_f64_e32 v[154:155], v[154:155], v[160:161]
	s_wait_loadcnt_dscnt 0xa00
	v_mul_f64_e32 v[160:161], v[122:123], v[120:121]
	v_mul_f64_e32 v[120:121], v[124:125], v[120:121]
	v_fmac_f64_e32 v[156:157], v[6:7], v[134:135]
	v_fma_f64 v[162:163], v[4:5], v[134:135], -v[136:137]
	v_add_f64_e32 v[164:165], v[116:117], v[114:115]
	v_add_f64_e32 v[154:155], v[154:155], v[158:159]
	ds_load_b128 v[4:7], v2 offset:1120
	ds_load_b128 v[114:117], v2 offset:1136
	scratch_load_b128 v[134:137], off, off offset:608
	v_fmac_f64_e32 v[160:161], v[124:125], v[118:119]
	v_fma_f64 v[122:123], v[122:123], v[118:119], -v[120:121]
	scratch_load_b128 v[118:121], off, off offset:624
	s_wait_loadcnt_dscnt 0xb01
	v_mul_f64_e32 v[158:159], v[4:5], v[152:153]
	v_mul_f64_e32 v[152:153], v[6:7], v[152:153]
	v_add_f64_e32 v[124:125], v[164:165], v[162:163]
	v_add_f64_e32 v[154:155], v[154:155], v[156:157]
	s_wait_loadcnt_dscnt 0xa00
	v_mul_f64_e32 v[156:157], v[114:115], v[10:11]
	v_mul_f64_e32 v[10:11], v[116:117], v[10:11]
	v_fmac_f64_e32 v[158:159], v[6:7], v[150:151]
	v_fma_f64 v[162:163], v[4:5], v[150:151], -v[152:153]
	v_add_f64_e32 v[164:165], v[124:125], v[122:123]
	v_add_f64_e32 v[154:155], v[154:155], v[160:161]
	ds_load_b128 v[4:7], v2 offset:1152
	ds_load_b128 v[122:125], v2 offset:1168
	scratch_load_b128 v[150:153], off, off offset:640
	v_fmac_f64_e32 v[156:157], v[116:117], v[8:9]
	v_fma_f64 v[114:115], v[114:115], v[8:9], -v[10:11]
	scratch_load_b128 v[8:11], off, off offset:656
	s_wait_loadcnt_dscnt 0xb01
	v_mul_f64_e32 v[160:161], v[4:5], v[140:141]
	v_mul_f64_e32 v[140:141], v[6:7], v[140:141]
	v_add_f64_e32 v[116:117], v[164:165], v[162:163]
	v_add_f64_e32 v[154:155], v[154:155], v[158:159]
	s_wait_loadcnt_dscnt 0xa00
	v_mul_f64_e32 v[158:159], v[122:123], v[18:19]
	v_mul_f64_e32 v[18:19], v[124:125], v[18:19]
	v_fmac_f64_e32 v[160:161], v[6:7], v[138:139]
	v_fma_f64 v[138:139], v[4:5], v[138:139], -v[140:141]
	v_add_f64_e32 v[140:141], v[116:117], v[114:115]
	v_add_f64_e32 v[154:155], v[154:155], v[156:157]
	ds_load_b128 v[4:7], v2 offset:1184
	ds_load_b128 v[114:117], v2 offset:1200
	v_fmac_f64_e32 v[158:159], v[124:125], v[16:17]
	v_fma_f64 v[16:17], v[122:123], v[16:17], -v[18:19]
	s_wait_loadcnt_dscnt 0x901
	v_mul_f64_e32 v[156:157], v[4:5], v[148:149]
	v_mul_f64_e32 v[148:149], v[6:7], v[148:149]
	s_wait_loadcnt_dscnt 0x800
	v_mul_f64_e32 v[124:125], v[114:115], v[14:15]
	v_add_f64_e32 v[18:19], v[140:141], v[138:139]
	v_add_f64_e32 v[122:123], v[154:155], v[160:161]
	v_mul_f64_e32 v[138:139], v[116:117], v[14:15]
	v_fmac_f64_e32 v[156:157], v[6:7], v[146:147]
	v_fma_f64 v[140:141], v[4:5], v[146:147], -v[148:149]
	v_fmac_f64_e32 v[124:125], v[116:117], v[12:13]
	v_add_f64_e32 v[18:19], v[18:19], v[16:17]
	v_add_f64_e32 v[122:123], v[122:123], v[158:159]
	ds_load_b128 v[4:7], v2 offset:1216
	ds_load_b128 v[14:17], v2 offset:1232
	v_fma_f64 v[12:13], v[114:115], v[12:13], -v[138:139]
	s_wait_loadcnt_dscnt 0x701
	v_mul_f64_e32 v[146:147], v[4:5], v[128:129]
	v_mul_f64_e32 v[128:129], v[6:7], v[128:129]
	v_add_f64_e32 v[18:19], v[18:19], v[140:141]
	v_add_f64_e32 v[114:115], v[122:123], v[156:157]
	s_wait_loadcnt_dscnt 0x600
	v_mul_f64_e32 v[122:123], v[14:15], v[22:23]
	v_mul_f64_e32 v[22:23], v[16:17], v[22:23]
	v_fmac_f64_e32 v[146:147], v[6:7], v[126:127]
	v_fma_f64 v[126:127], v[4:5], v[126:127], -v[128:129]
	v_add_f64_e32 v[12:13], v[18:19], v[12:13]
	v_add_f64_e32 v[18:19], v[114:115], v[124:125]
	ds_load_b128 v[4:7], v2 offset:1248
	ds_load_b128 v[114:117], v2 offset:1264
	v_fmac_f64_e32 v[122:123], v[16:17], v[20:21]
	v_fma_f64 v[14:15], v[14:15], v[20:21], -v[22:23]
	s_wait_loadcnt_dscnt 0x501
	v_mul_f64_e32 v[124:125], v[4:5], v[132:133]
	v_mul_f64_e32 v[128:129], v[6:7], v[132:133]
	s_wait_loadcnt_dscnt 0x400
	v_mul_f64_e32 v[20:21], v[116:117], v[112:113]
	v_add_f64_e32 v[12:13], v[12:13], v[126:127]
	v_add_f64_e32 v[16:17], v[18:19], v[146:147]
	v_mul_f64_e32 v[18:19], v[114:115], v[112:113]
	v_fmac_f64_e32 v[124:125], v[6:7], v[130:131]
	v_fma_f64 v[22:23], v[4:5], v[130:131], -v[128:129]
	v_fma_f64 v[20:21], v[114:115], v[110:111], -v[20:21]
	v_add_f64_e32 v[112:113], v[12:13], v[14:15]
	v_add_f64_e32 v[16:17], v[16:17], v[122:123]
	ds_load_b128 v[4:7], v2 offset:1280
	ds_load_b128 v[12:15], v2 offset:1296
	v_fmac_f64_e32 v[18:19], v[116:117], v[110:111]
	s_wait_loadcnt_dscnt 0x301
	v_mul_f64_e32 v[122:123], v[4:5], v[136:137]
	v_mul_f64_e32 v[126:127], v[6:7], v[136:137]
	s_wait_loadcnt_dscnt 0x200
	v_mul_f64_e32 v[110:111], v[12:13], v[120:121]
	v_add_f64_e32 v[22:23], v[112:113], v[22:23]
	v_add_f64_e32 v[16:17], v[16:17], v[124:125]
	v_mul_f64_e32 v[112:113], v[14:15], v[120:121]
	v_fmac_f64_e32 v[122:123], v[6:7], v[134:135]
	v_fma_f64 v[114:115], v[4:5], v[134:135], -v[126:127]
	v_fmac_f64_e32 v[110:111], v[14:15], v[118:119]
	v_add_f64_e32 v[20:21], v[22:23], v[20:21]
	v_add_f64_e32 v[22:23], v[16:17], v[18:19]
	ds_load_b128 v[4:7], v2 offset:1312
	ds_load_b128 v[16:19], v2 offset:1328
	v_fma_f64 v[12:13], v[12:13], v[118:119], -v[112:113]
	s_wait_loadcnt_dscnt 0x101
	v_mul_f64_e32 v[2:3], v[4:5], v[152:153]
	v_mul_f64_e32 v[116:117], v[6:7], v[152:153]
	v_add_f64_e32 v[14:15], v[20:21], v[114:115]
	v_add_f64_e32 v[20:21], v[22:23], v[122:123]
	s_wait_loadcnt_dscnt 0x0
	v_mul_f64_e32 v[22:23], v[16:17], v[10:11]
	v_mul_f64_e32 v[10:11], v[18:19], v[10:11]
	v_fmac_f64_e32 v[2:3], v[6:7], v[150:151]
	v_fma_f64 v[4:5], v[4:5], v[150:151], -v[116:117]
	v_add_f64_e32 v[6:7], v[14:15], v[12:13]
	v_add_f64_e32 v[12:13], v[20:21], v[110:111]
	v_fmac_f64_e32 v[22:23], v[18:19], v[8:9]
	v_fma_f64 v[8:9], v[16:17], v[8:9], -v[10:11]
	s_delay_alu instid0(VALU_DEP_4) | instskip(NEXT) | instid1(VALU_DEP_4)
	v_add_f64_e32 v[4:5], v[6:7], v[4:5]
	v_add_f64_e32 v[2:3], v[12:13], v[2:3]
	s_delay_alu instid0(VALU_DEP_2) | instskip(NEXT) | instid1(VALU_DEP_2)
	v_add_f64_e32 v[4:5], v[4:5], v[8:9]
	v_add_f64_e32 v[6:7], v[2:3], v[22:23]
	s_delay_alu instid0(VALU_DEP_2) | instskip(NEXT) | instid1(VALU_DEP_2)
	v_add_f64_e64 v[2:3], v[142:143], -v[4:5]
	v_add_f64_e64 v[4:5], v[144:145], -v[6:7]
	scratch_store_b128 off, v[2:5], off offset:48
	s_wait_xcnt 0x0
	v_cmpx_lt_u32_e32 2, v1
	s_cbranch_execz .LBB41_261
; %bb.260:
	scratch_load_b128 v[2:5], off, s38
	v_mov_b32_e32 v6, 0
	s_delay_alu instid0(VALU_DEP_1)
	v_dual_mov_b32 v7, v6 :: v_dual_mov_b32 v8, v6
	v_mov_b32_e32 v9, v6
	scratch_store_b128 off, v[6:9], off offset:32
	s_wait_loadcnt 0x0
	ds_store_b128 v108, v[2:5]
.LBB41_261:
	s_wait_xcnt 0x0
	s_or_b32 exec_lo, exec_lo, s2
	s_wait_storecnt_dscnt 0x0
	s_barrier_signal -1
	s_barrier_wait -1
	s_clause 0x9
	scratch_load_b128 v[4:7], off, off offset:48
	scratch_load_b128 v[8:11], off, off offset:64
	scratch_load_b128 v[12:15], off, off offset:80
	scratch_load_b128 v[16:19], off, off offset:96
	scratch_load_b128 v[20:23], off, off offset:112
	scratch_load_b128 v[110:113], off, off offset:128
	scratch_load_b128 v[114:117], off, off offset:144
	scratch_load_b128 v[118:121], off, off offset:160
	scratch_load_b128 v[122:125], off, off offset:176
	scratch_load_b128 v[126:129], off, off offset:192
	v_mov_b32_e32 v2, 0
	s_mov_b32 s2, exec_lo
	v_dual_ashrrev_i32 v29, 31, v28 :: v_dual_ashrrev_i32 v31, 31, v30
	v_ashrrev_i32_e32 v33, 31, v32
	ds_load_b128 v[130:133], v2 offset:720
	s_clause 0x2
	scratch_load_b128 v[134:137], off, off offset:208
	scratch_load_b128 v[138:141], off, off offset:32
	;; [unrolled: 1-line block ×3, first 2 shown]
	v_ashrrev_i32_e32 v37, 31, v36
	v_ashrrev_i32_e32 v41, 31, v40
	v_dual_ashrrev_i32 v45, 31, v44 :: v_dual_ashrrev_i32 v35, 31, v34
	v_ashrrev_i32_e32 v49, 31, v48
	v_dual_ashrrev_i32 v53, 31, v52 :: v_dual_ashrrev_i32 v39, 31, v38
	;; [unrolled: 2-line block ×3, first 2 shown]
	v_ashrrev_i32_e32 v65, 31, v64
	v_ashrrev_i32_e32 v69, 31, v68
	v_dual_ashrrev_i32 v73, 31, v72 :: v_dual_ashrrev_i32 v47, 31, v46
	v_dual_ashrrev_i32 v51, 31, v50 :: v_dual_ashrrev_i32 v77, 31, v76
	v_ashrrev_i32_e32 v55, 31, v54
	v_ashrrev_i32_e32 v59, 31, v58
	v_dual_ashrrev_i32 v63, 31, v62 :: v_dual_ashrrev_i32 v81, 31, v80
	v_dual_ashrrev_i32 v85, 31, v84 :: v_dual_ashrrev_i32 v67, 31, v66
	v_dual_ashrrev_i32 v71, 31, v70 :: v_dual_ashrrev_i32 v89, 31, v88
	v_dual_ashrrev_i32 v75, 31, v74 :: v_dual_ashrrev_i32 v93, 31, v92
	v_ashrrev_i32_e32 v79, 31, v78
	v_dual_ashrrev_i32 v83, 31, v82 :: v_dual_ashrrev_i32 v97, 31, v96
	v_dual_ashrrev_i32 v87, 31, v86 :: v_dual_ashrrev_i32 v101, 31, v100
	v_ashrrev_i32_e32 v91, 31, v90
	v_dual_ashrrev_i32 v95, 31, v94 :: v_dual_ashrrev_i32 v105, 31, v104
	v_ashrrev_i32_e32 v99, 31, v98
	v_ashrrev_i32_e32 v103, 31, v102
	;; [unrolled: 1-line block ×3, first 2 shown]
	s_wait_loadcnt_dscnt 0xc00
	v_mul_f64_e32 v[150:151], v[132:133], v[6:7]
	v_mul_f64_e32 v[154:155], v[130:131], v[6:7]
	ds_load_b128 v[142:145], v2 offset:736
	v_fma_f64 v[158:159], v[130:131], v[4:5], -v[150:151]
	v_fmac_f64_e32 v[154:155], v[132:133], v[4:5]
	ds_load_b128 v[4:7], v2 offset:752
	s_wait_loadcnt_dscnt 0xb01
	v_mul_f64_e32 v[156:157], v[142:143], v[10:11]
	v_mul_f64_e32 v[10:11], v[144:145], v[10:11]
	scratch_load_b128 v[130:133], off, off offset:240
	ds_load_b128 v[150:153], v2 offset:768
	s_wait_loadcnt_dscnt 0xb01
	v_mul_f64_e32 v[160:161], v[4:5], v[14:15]
	v_mul_f64_e32 v[14:15], v[6:7], v[14:15]
	v_add_f64_e32 v[154:155], 0, v[154:155]
	v_fmac_f64_e32 v[156:157], v[144:145], v[8:9]
	v_fma_f64 v[142:143], v[142:143], v[8:9], -v[10:11]
	v_add_f64_e32 v[144:145], 0, v[158:159]
	scratch_load_b128 v[8:11], off, off offset:256
	v_fmac_f64_e32 v[160:161], v[6:7], v[12:13]
	v_fma_f64 v[162:163], v[4:5], v[12:13], -v[14:15]
	ds_load_b128 v[4:7], v2 offset:784
	s_wait_loadcnt_dscnt 0xb01
	v_mul_f64_e32 v[158:159], v[150:151], v[18:19]
	v_mul_f64_e32 v[18:19], v[152:153], v[18:19]
	scratch_load_b128 v[12:15], off, off offset:272
	v_add_f64_e32 v[154:155], v[154:155], v[156:157]
	v_add_f64_e32 v[164:165], v[144:145], v[142:143]
	ds_load_b128 v[142:145], v2 offset:800
	s_wait_loadcnt_dscnt 0xb01
	v_mul_f64_e32 v[156:157], v[4:5], v[22:23]
	v_mul_f64_e32 v[22:23], v[6:7], v[22:23]
	v_fmac_f64_e32 v[158:159], v[152:153], v[16:17]
	v_fma_f64 v[150:151], v[150:151], v[16:17], -v[18:19]
	scratch_load_b128 v[16:19], off, off offset:288
	v_add_f64_e32 v[154:155], v[154:155], v[160:161]
	v_add_f64_e32 v[152:153], v[164:165], v[162:163]
	v_fmac_f64_e32 v[156:157], v[6:7], v[20:21]
	v_fma_f64 v[162:163], v[4:5], v[20:21], -v[22:23]
	ds_load_b128 v[4:7], v2 offset:816
	s_wait_loadcnt_dscnt 0xb01
	v_mul_f64_e32 v[160:161], v[142:143], v[112:113]
	v_mul_f64_e32 v[112:113], v[144:145], v[112:113]
	scratch_load_b128 v[20:23], off, off offset:304
	v_add_f64_e32 v[154:155], v[154:155], v[158:159]
	s_wait_loadcnt_dscnt 0xb00
	v_mul_f64_e32 v[158:159], v[4:5], v[116:117]
	v_add_f64_e32 v[164:165], v[152:153], v[150:151]
	v_mul_f64_e32 v[116:117], v[6:7], v[116:117]
	ds_load_b128 v[150:153], v2 offset:832
	v_fmac_f64_e32 v[160:161], v[144:145], v[110:111]
	v_fma_f64 v[142:143], v[142:143], v[110:111], -v[112:113]
	scratch_load_b128 v[110:113], off, off offset:320
	v_add_f64_e32 v[154:155], v[154:155], v[156:157]
	v_fmac_f64_e32 v[158:159], v[6:7], v[114:115]
	v_add_f64_e32 v[144:145], v[164:165], v[162:163]
	v_fma_f64 v[162:163], v[4:5], v[114:115], -v[116:117]
	ds_load_b128 v[4:7], v2 offset:848
	s_wait_loadcnt_dscnt 0xb01
	v_mul_f64_e32 v[156:157], v[150:151], v[120:121]
	v_mul_f64_e32 v[120:121], v[152:153], v[120:121]
	scratch_load_b128 v[114:117], off, off offset:336
	v_add_f64_e32 v[154:155], v[154:155], v[160:161]
	s_wait_loadcnt_dscnt 0xb00
	v_mul_f64_e32 v[160:161], v[4:5], v[124:125]
	v_add_f64_e32 v[164:165], v[144:145], v[142:143]
	v_mul_f64_e32 v[124:125], v[6:7], v[124:125]
	ds_load_b128 v[142:145], v2 offset:864
	v_fmac_f64_e32 v[156:157], v[152:153], v[118:119]
	v_fma_f64 v[150:151], v[150:151], v[118:119], -v[120:121]
	scratch_load_b128 v[118:121], off, off offset:352
	v_add_f64_e32 v[154:155], v[154:155], v[158:159]
	v_fmac_f64_e32 v[160:161], v[6:7], v[122:123]
	v_add_f64_e32 v[152:153], v[164:165], v[162:163]
	;; [unrolled: 18-line block ×3, first 2 shown]
	v_fma_f64 v[162:163], v[4:5], v[134:135], -v[136:137]
	ds_load_b128 v[4:7], v2 offset:912
	s_wait_loadcnt_dscnt 0xa01
	v_mul_f64_e32 v[160:161], v[150:151], v[148:149]
	v_mul_f64_e32 v[148:149], v[152:153], v[148:149]
	scratch_load_b128 v[134:137], off, off offset:400
	v_add_f64_e32 v[154:155], v[154:155], v[158:159]
	v_add_f64_e32 v[164:165], v[144:145], v[142:143]
	s_wait_loadcnt_dscnt 0xa00
	v_mul_f64_e32 v[158:159], v[4:5], v[132:133]
	v_mul_f64_e32 v[132:133], v[6:7], v[132:133]
	v_fmac_f64_e32 v[160:161], v[152:153], v[146:147]
	v_fma_f64 v[150:151], v[150:151], v[146:147], -v[148:149]
	ds_load_b128 v[142:145], v2 offset:928
	scratch_load_b128 v[146:149], off, off offset:416
	v_add_f64_e32 v[154:155], v[154:155], v[156:157]
	v_add_f64_e32 v[152:153], v[164:165], v[162:163]
	v_fmac_f64_e32 v[158:159], v[6:7], v[130:131]
	v_fma_f64 v[162:163], v[4:5], v[130:131], -v[132:133]
	ds_load_b128 v[4:7], v2 offset:944
	s_wait_loadcnt_dscnt 0xa01
	v_mul_f64_e32 v[156:157], v[142:143], v[10:11]
	v_mul_f64_e32 v[10:11], v[144:145], v[10:11]
	scratch_load_b128 v[130:133], off, off offset:432
	v_add_f64_e32 v[154:155], v[154:155], v[160:161]
	s_wait_loadcnt_dscnt 0xa00
	v_mul_f64_e32 v[160:161], v[4:5], v[14:15]
	v_add_f64_e32 v[164:165], v[152:153], v[150:151]
	v_mul_f64_e32 v[14:15], v[6:7], v[14:15]
	ds_load_b128 v[150:153], v2 offset:960
	v_fmac_f64_e32 v[156:157], v[144:145], v[8:9]
	v_fma_f64 v[142:143], v[142:143], v[8:9], -v[10:11]
	scratch_load_b128 v[8:11], off, off offset:448
	v_add_f64_e32 v[154:155], v[154:155], v[158:159]
	v_fmac_f64_e32 v[160:161], v[6:7], v[12:13]
	v_add_f64_e32 v[144:145], v[164:165], v[162:163]
	v_fma_f64 v[162:163], v[4:5], v[12:13], -v[14:15]
	ds_load_b128 v[4:7], v2 offset:976
	s_wait_loadcnt_dscnt 0xa01
	v_mul_f64_e32 v[158:159], v[150:151], v[18:19]
	v_mul_f64_e32 v[18:19], v[152:153], v[18:19]
	scratch_load_b128 v[12:15], off, off offset:464
	v_add_f64_e32 v[154:155], v[154:155], v[156:157]
	s_wait_loadcnt_dscnt 0xa00
	v_mul_f64_e32 v[156:157], v[4:5], v[22:23]
	v_add_f64_e32 v[164:165], v[144:145], v[142:143]
	v_mul_f64_e32 v[22:23], v[6:7], v[22:23]
	ds_load_b128 v[142:145], v2 offset:992
	v_fmac_f64_e32 v[158:159], v[152:153], v[16:17]
	v_fma_f64 v[150:151], v[150:151], v[16:17], -v[18:19]
	scratch_load_b128 v[16:19], off, off offset:480
	v_add_f64_e32 v[154:155], v[154:155], v[160:161]
	v_fmac_f64_e32 v[156:157], v[6:7], v[20:21]
	v_add_f64_e32 v[152:153], v[164:165], v[162:163]
	;; [unrolled: 18-line block ×7, first 2 shown]
	v_fma_f64 v[162:163], v[4:5], v[12:13], -v[14:15]
	ds_load_b128 v[4:7], v2 offset:1168
	s_wait_loadcnt_dscnt 0xa01
	v_mul_f64_e32 v[158:159], v[150:151], v[18:19]
	v_mul_f64_e32 v[18:19], v[152:153], v[18:19]
	scratch_load_b128 v[12:15], off, off offset:656
	v_add_f64_e32 v[154:155], v[154:155], v[156:157]
	s_wait_loadcnt_dscnt 0xa00
	v_mul_f64_e32 v[156:157], v[4:5], v[22:23]
	v_add_f64_e32 v[164:165], v[144:145], v[142:143]
	v_mul_f64_e32 v[22:23], v[6:7], v[22:23]
	ds_load_b128 v[142:145], v2 offset:1184
	v_fmac_f64_e32 v[158:159], v[152:153], v[16:17]
	v_fma_f64 v[16:17], v[150:151], v[16:17], -v[18:19]
	s_wait_loadcnt_dscnt 0x900
	v_mul_f64_e32 v[152:153], v[142:143], v[112:113]
	v_mul_f64_e32 v[112:113], v[144:145], v[112:113]
	v_add_f64_e32 v[150:151], v[154:155], v[160:161]
	v_fmac_f64_e32 v[156:157], v[6:7], v[20:21]
	v_add_f64_e32 v[18:19], v[164:165], v[162:163]
	v_fma_f64 v[20:21], v[4:5], v[20:21], -v[22:23]
	v_fmac_f64_e32 v[152:153], v[144:145], v[110:111]
	v_fma_f64 v[110:111], v[142:143], v[110:111], -v[112:113]
	v_add_f64_e32 v[150:151], v[150:151], v[158:159]
	v_add_f64_e32 v[22:23], v[18:19], v[16:17]
	ds_load_b128 v[4:7], v2 offset:1200
	ds_load_b128 v[16:19], v2 offset:1216
	s_wait_loadcnt_dscnt 0x801
	v_mul_f64_e32 v[154:155], v[4:5], v[116:117]
	v_mul_f64_e32 v[116:117], v[6:7], v[116:117]
	s_wait_loadcnt_dscnt 0x700
	v_mul_f64_e32 v[112:113], v[16:17], v[120:121]
	v_mul_f64_e32 v[120:121], v[18:19], v[120:121]
	v_add_f64_e32 v[20:21], v[22:23], v[20:21]
	v_add_f64_e32 v[22:23], v[150:151], v[156:157]
	v_fmac_f64_e32 v[154:155], v[6:7], v[114:115]
	v_fma_f64 v[114:115], v[4:5], v[114:115], -v[116:117]
	v_fmac_f64_e32 v[112:113], v[18:19], v[118:119]
	v_fma_f64 v[16:17], v[16:17], v[118:119], -v[120:121]
	v_add_f64_e32 v[110:111], v[20:21], v[110:111]
	v_add_f64_e32 v[116:117], v[22:23], v[152:153]
	ds_load_b128 v[4:7], v2 offset:1232
	ds_load_b128 v[20:23], v2 offset:1248
	s_wait_loadcnt_dscnt 0x601
	v_mul_f64_e32 v[142:143], v[4:5], v[124:125]
	v_mul_f64_e32 v[124:125], v[6:7], v[124:125]
	v_add_f64_e32 v[18:19], v[110:111], v[114:115]
	v_add_f64_e32 v[110:111], v[116:117], v[154:155]
	s_wait_loadcnt_dscnt 0x500
	v_mul_f64_e32 v[114:115], v[20:21], v[128:129]
	v_mul_f64_e32 v[116:117], v[22:23], v[128:129]
	v_fmac_f64_e32 v[142:143], v[6:7], v[122:123]
	v_fma_f64 v[118:119], v[4:5], v[122:123], -v[124:125]
	v_add_f64_e32 v[120:121], v[18:19], v[16:17]
	v_add_f64_e32 v[110:111], v[110:111], v[112:113]
	ds_load_b128 v[4:7], v2 offset:1264
	ds_load_b128 v[16:19], v2 offset:1280
	v_fmac_f64_e32 v[114:115], v[22:23], v[126:127]
	v_fma_f64 v[20:21], v[20:21], v[126:127], -v[116:117]
	s_wait_loadcnt_dscnt 0x401
	v_mul_f64_e32 v[112:113], v[4:5], v[136:137]
	v_mul_f64_e32 v[122:123], v[6:7], v[136:137]
	s_wait_loadcnt_dscnt 0x300
	v_mul_f64_e32 v[116:117], v[16:17], v[148:149]
	v_add_f64_e32 v[22:23], v[120:121], v[118:119]
	v_add_f64_e32 v[110:111], v[110:111], v[142:143]
	v_mul_f64_e32 v[118:119], v[18:19], v[148:149]
	v_fmac_f64_e32 v[112:113], v[6:7], v[134:135]
	v_fma_f64 v[120:121], v[4:5], v[134:135], -v[122:123]
	v_fmac_f64_e32 v[116:117], v[18:19], v[146:147]
	v_add_f64_e32 v[122:123], v[22:23], v[20:21]
	v_add_f64_e32 v[110:111], v[110:111], v[114:115]
	ds_load_b128 v[4:7], v2 offset:1296
	ds_load_b128 v[20:23], v2 offset:1312
	v_fma_f64 v[16:17], v[16:17], v[146:147], -v[118:119]
	s_wait_loadcnt_dscnt 0x201
	v_mul_f64_e32 v[114:115], v[4:5], v[132:133]
	v_mul_f64_e32 v[124:125], v[6:7], v[132:133]
	v_add_f64_e32 v[18:19], v[122:123], v[120:121]
	v_add_f64_e32 v[110:111], v[110:111], v[112:113]
	s_wait_loadcnt_dscnt 0x100
	v_mul_f64_e32 v[112:113], v[20:21], v[10:11]
	v_mul_f64_e32 v[10:11], v[22:23], v[10:11]
	v_fmac_f64_e32 v[114:115], v[6:7], v[130:131]
	v_fma_f64 v[118:119], v[4:5], v[130:131], -v[124:125]
	ds_load_b128 v[4:7], v2 offset:1328
	v_add_f64_e32 v[16:17], v[18:19], v[16:17]
	v_add_f64_e32 v[18:19], v[110:111], v[116:117]
	v_fmac_f64_e32 v[112:113], v[22:23], v[8:9]
	v_fma_f64 v[8:9], v[20:21], v[8:9], -v[10:11]
	s_wait_loadcnt_dscnt 0x0
	v_mul_f64_e32 v[110:111], v[4:5], v[14:15]
	v_mul_f64_e32 v[14:15], v[6:7], v[14:15]
	v_add_f64_e32 v[10:11], v[16:17], v[118:119]
	v_add_f64_e32 v[16:17], v[18:19], v[114:115]
	s_delay_alu instid0(VALU_DEP_4) | instskip(NEXT) | instid1(VALU_DEP_4)
	v_fmac_f64_e32 v[110:111], v[6:7], v[12:13]
	v_fma_f64 v[4:5], v[4:5], v[12:13], -v[14:15]
	s_delay_alu instid0(VALU_DEP_4) | instskip(NEXT) | instid1(VALU_DEP_4)
	v_add_f64_e32 v[6:7], v[10:11], v[8:9]
	v_add_f64_e32 v[8:9], v[16:17], v[112:113]
	s_delay_alu instid0(VALU_DEP_2) | instskip(NEXT) | instid1(VALU_DEP_2)
	v_add_f64_e32 v[4:5], v[6:7], v[4:5]
	v_add_f64_e32 v[6:7], v[8:9], v[110:111]
	s_delay_alu instid0(VALU_DEP_2) | instskip(NEXT) | instid1(VALU_DEP_2)
	v_add_f64_e64 v[4:5], v[138:139], -v[4:5]
	v_add_f64_e64 v[6:7], v[140:141], -v[6:7]
	scratch_store_b128 off, v[4:7], off offset:32
	s_wait_xcnt 0x0
	v_cmpx_lt_u32_e32 1, v1
	s_cbranch_execz .LBB41_263
; %bb.262:
	scratch_load_b128 v[6:9], off, s42
	v_dual_mov_b32 v3, v2 :: v_dual_mov_b32 v4, v2
	v_mov_b32_e32 v5, v2
	scratch_store_b128 off, v[2:5], off offset:16
	s_wait_loadcnt 0x0
	ds_store_b128 v108, v[6:9]
.LBB41_263:
	s_wait_xcnt 0x0
	s_or_b32 exec_lo, exec_lo, s2
	s_wait_storecnt_dscnt 0x0
	s_barrier_signal -1
	s_barrier_wait -1
	s_clause 0x9
	scratch_load_b128 v[4:7], off, off offset:32
	scratch_load_b128 v[8:11], off, off offset:48
	scratch_load_b128 v[12:15], off, off offset:64
	scratch_load_b128 v[16:19], off, off offset:80
	scratch_load_b128 v[20:23], off, off offset:96
	scratch_load_b128 v[110:113], off, off offset:112
	scratch_load_b128 v[114:117], off, off offset:128
	scratch_load_b128 v[118:121], off, off offset:144
	scratch_load_b128 v[122:125], off, off offset:160
	scratch_load_b128 v[126:129], off, off offset:176
	ds_load_b128 v[130:133], v2 offset:704
	ds_load_b128 v[138:141], v2 offset:720
	s_clause 0x2
	scratch_load_b128 v[134:137], off, off offset:192
	scratch_load_b128 v[142:145], off, off offset:16
	;; [unrolled: 1-line block ×3, first 2 shown]
	s_mov_b32 s2, exec_lo
	s_wait_loadcnt_dscnt 0xc01
	v_mul_f64_e32 v[150:151], v[132:133], v[6:7]
	v_mul_f64_e32 v[154:155], v[130:131], v[6:7]
	s_wait_loadcnt_dscnt 0xb00
	v_mul_f64_e32 v[156:157], v[138:139], v[10:11]
	v_mul_f64_e32 v[10:11], v[140:141], v[10:11]
	s_delay_alu instid0(VALU_DEP_4) | instskip(NEXT) | instid1(VALU_DEP_4)
	v_fma_f64 v[158:159], v[130:131], v[4:5], -v[150:151]
	v_fmac_f64_e32 v[154:155], v[132:133], v[4:5]
	ds_load_b128 v[4:7], v2 offset:736
	ds_load_b128 v[130:133], v2 offset:752
	scratch_load_b128 v[150:153], off, off offset:224
	v_fmac_f64_e32 v[156:157], v[140:141], v[8:9]
	v_fma_f64 v[138:139], v[138:139], v[8:9], -v[10:11]
	scratch_load_b128 v[8:11], off, off offset:240
	s_wait_loadcnt_dscnt 0xc01
	v_mul_f64_e32 v[160:161], v[4:5], v[14:15]
	v_mul_f64_e32 v[14:15], v[6:7], v[14:15]
	v_add_f64_e32 v[140:141], 0, v[158:159]
	v_add_f64_e32 v[154:155], 0, v[154:155]
	s_wait_loadcnt_dscnt 0xb00
	v_mul_f64_e32 v[158:159], v[130:131], v[18:19]
	v_mul_f64_e32 v[18:19], v[132:133], v[18:19]
	v_fmac_f64_e32 v[160:161], v[6:7], v[12:13]
	v_fma_f64 v[162:163], v[4:5], v[12:13], -v[14:15]
	ds_load_b128 v[4:7], v2 offset:768
	ds_load_b128 v[12:15], v2 offset:784
	v_add_f64_e32 v[164:165], v[140:141], v[138:139]
	v_add_f64_e32 v[154:155], v[154:155], v[156:157]
	scratch_load_b128 v[138:141], off, off offset:256
	v_fmac_f64_e32 v[158:159], v[132:133], v[16:17]
	v_fma_f64 v[130:131], v[130:131], v[16:17], -v[18:19]
	scratch_load_b128 v[16:19], off, off offset:272
	s_wait_loadcnt_dscnt 0xc01
	v_mul_f64_e32 v[156:157], v[4:5], v[22:23]
	v_mul_f64_e32 v[22:23], v[6:7], v[22:23]
	v_add_f64_e32 v[132:133], v[164:165], v[162:163]
	v_add_f64_e32 v[154:155], v[154:155], v[160:161]
	s_wait_loadcnt_dscnt 0xb00
	v_mul_f64_e32 v[160:161], v[12:13], v[112:113]
	v_mul_f64_e32 v[112:113], v[14:15], v[112:113]
	v_fmac_f64_e32 v[156:157], v[6:7], v[20:21]
	v_fma_f64 v[162:163], v[4:5], v[20:21], -v[22:23]
	ds_load_b128 v[4:7], v2 offset:800
	ds_load_b128 v[20:23], v2 offset:816
	v_add_f64_e32 v[164:165], v[132:133], v[130:131]
	v_add_f64_e32 v[154:155], v[154:155], v[158:159]
	scratch_load_b128 v[130:133], off, off offset:288
	s_wait_loadcnt_dscnt 0xb01
	v_mul_f64_e32 v[158:159], v[4:5], v[116:117]
	v_mul_f64_e32 v[116:117], v[6:7], v[116:117]
	v_fmac_f64_e32 v[160:161], v[14:15], v[110:111]
	v_fma_f64 v[110:111], v[12:13], v[110:111], -v[112:113]
	scratch_load_b128 v[12:15], off, off offset:304
	v_add_f64_e32 v[112:113], v[164:165], v[162:163]
	v_add_f64_e32 v[154:155], v[154:155], v[156:157]
	s_wait_loadcnt_dscnt 0xb00
	v_mul_f64_e32 v[156:157], v[20:21], v[120:121]
	v_mul_f64_e32 v[120:121], v[22:23], v[120:121]
	v_fmac_f64_e32 v[158:159], v[6:7], v[114:115]
	v_fma_f64 v[162:163], v[4:5], v[114:115], -v[116:117]
	v_add_f64_e32 v[164:165], v[112:113], v[110:111]
	v_add_f64_e32 v[154:155], v[154:155], v[160:161]
	ds_load_b128 v[4:7], v2 offset:832
	ds_load_b128 v[110:113], v2 offset:848
	scratch_load_b128 v[114:117], off, off offset:320
	v_fmac_f64_e32 v[156:157], v[22:23], v[118:119]
	v_fma_f64 v[118:119], v[20:21], v[118:119], -v[120:121]
	scratch_load_b128 v[20:23], off, off offset:336
	s_wait_loadcnt_dscnt 0xc01
	v_mul_f64_e32 v[160:161], v[4:5], v[124:125]
	v_mul_f64_e32 v[124:125], v[6:7], v[124:125]
	v_add_f64_e32 v[120:121], v[164:165], v[162:163]
	v_add_f64_e32 v[154:155], v[154:155], v[158:159]
	s_wait_loadcnt_dscnt 0xb00
	v_mul_f64_e32 v[158:159], v[110:111], v[128:129]
	v_mul_f64_e32 v[128:129], v[112:113], v[128:129]
	v_fmac_f64_e32 v[160:161], v[6:7], v[122:123]
	v_fma_f64 v[162:163], v[4:5], v[122:123], -v[124:125]
	v_add_f64_e32 v[164:165], v[120:121], v[118:119]
	v_add_f64_e32 v[154:155], v[154:155], v[156:157]
	ds_load_b128 v[4:7], v2 offset:864
	ds_load_b128 v[118:121], v2 offset:880
	scratch_load_b128 v[122:125], off, off offset:352
	v_fmac_f64_e32 v[158:159], v[112:113], v[126:127]
	v_fma_f64 v[126:127], v[110:111], v[126:127], -v[128:129]
	scratch_load_b128 v[110:113], off, off offset:368
	s_wait_loadcnt_dscnt 0xc01
	v_mul_f64_e32 v[156:157], v[4:5], v[136:137]
	v_mul_f64_e32 v[136:137], v[6:7], v[136:137]
	v_add_f64_e32 v[128:129], v[164:165], v[162:163]
	v_add_f64_e32 v[154:155], v[154:155], v[160:161]
	s_wait_loadcnt_dscnt 0xa00
	v_mul_f64_e32 v[160:161], v[118:119], v[148:149]
	v_mul_f64_e32 v[148:149], v[120:121], v[148:149]
	v_fmac_f64_e32 v[156:157], v[6:7], v[134:135]
	v_fma_f64 v[162:163], v[4:5], v[134:135], -v[136:137]
	v_add_f64_e32 v[164:165], v[128:129], v[126:127]
	v_add_f64_e32 v[154:155], v[154:155], v[158:159]
	ds_load_b128 v[4:7], v2 offset:896
	ds_load_b128 v[126:129], v2 offset:912
	scratch_load_b128 v[134:137], off, off offset:384
	v_fmac_f64_e32 v[160:161], v[120:121], v[146:147]
	v_fma_f64 v[146:147], v[118:119], v[146:147], -v[148:149]
	scratch_load_b128 v[118:121], off, off offset:400
	s_wait_loadcnt_dscnt 0xb01
	v_mul_f64_e32 v[158:159], v[4:5], v[152:153]
	v_mul_f64_e32 v[152:153], v[6:7], v[152:153]
	v_add_f64_e32 v[148:149], v[164:165], v[162:163]
	v_add_f64_e32 v[154:155], v[154:155], v[156:157]
	s_wait_loadcnt_dscnt 0xa00
	v_mul_f64_e32 v[156:157], v[126:127], v[10:11]
	v_mul_f64_e32 v[10:11], v[128:129], v[10:11]
	v_fmac_f64_e32 v[158:159], v[6:7], v[150:151]
	v_fma_f64 v[162:163], v[4:5], v[150:151], -v[152:153]
	v_add_f64_e32 v[164:165], v[148:149], v[146:147]
	v_add_f64_e32 v[154:155], v[154:155], v[160:161]
	ds_load_b128 v[4:7], v2 offset:928
	ds_load_b128 v[146:149], v2 offset:944
	scratch_load_b128 v[150:153], off, off offset:416
	v_fmac_f64_e32 v[156:157], v[128:129], v[8:9]
	v_fma_f64 v[126:127], v[126:127], v[8:9], -v[10:11]
	scratch_load_b128 v[8:11], off, off offset:432
	s_wait_loadcnt_dscnt 0xb01
	v_mul_f64_e32 v[160:161], v[4:5], v[140:141]
	v_mul_f64_e32 v[140:141], v[6:7], v[140:141]
	v_add_f64_e32 v[128:129], v[164:165], v[162:163]
	v_add_f64_e32 v[154:155], v[154:155], v[158:159]
	s_wait_loadcnt_dscnt 0xa00
	v_mul_f64_e32 v[158:159], v[146:147], v[18:19]
	v_mul_f64_e32 v[18:19], v[148:149], v[18:19]
	v_fmac_f64_e32 v[160:161], v[6:7], v[138:139]
	v_fma_f64 v[162:163], v[4:5], v[138:139], -v[140:141]
	v_add_f64_e32 v[164:165], v[128:129], v[126:127]
	v_add_f64_e32 v[154:155], v[154:155], v[156:157]
	ds_load_b128 v[4:7], v2 offset:960
	ds_load_b128 v[126:129], v2 offset:976
	scratch_load_b128 v[138:141], off, off offset:448
	v_fmac_f64_e32 v[158:159], v[148:149], v[16:17]
	v_fma_f64 v[146:147], v[146:147], v[16:17], -v[18:19]
	scratch_load_b128 v[16:19], off, off offset:464
	s_wait_loadcnt_dscnt 0xb01
	v_mul_f64_e32 v[156:157], v[4:5], v[132:133]
	v_mul_f64_e32 v[132:133], v[6:7], v[132:133]
	v_add_f64_e32 v[148:149], v[164:165], v[162:163]
	v_add_f64_e32 v[154:155], v[154:155], v[160:161]
	s_wait_loadcnt_dscnt 0xa00
	v_mul_f64_e32 v[160:161], v[126:127], v[14:15]
	v_mul_f64_e32 v[14:15], v[128:129], v[14:15]
	v_fmac_f64_e32 v[156:157], v[6:7], v[130:131]
	v_fma_f64 v[162:163], v[4:5], v[130:131], -v[132:133]
	ds_load_b128 v[4:7], v2 offset:992
	ds_load_b128 v[130:133], v2 offset:1008
	v_add_f64_e32 v[164:165], v[148:149], v[146:147]
	v_add_f64_e32 v[154:155], v[154:155], v[158:159]
	scratch_load_b128 v[146:149], off, off offset:480
	v_fmac_f64_e32 v[160:161], v[128:129], v[12:13]
	v_fma_f64 v[126:127], v[126:127], v[12:13], -v[14:15]
	scratch_load_b128 v[12:15], off, off offset:496
	s_wait_loadcnt_dscnt 0xb01
	v_mul_f64_e32 v[158:159], v[4:5], v[116:117]
	v_mul_f64_e32 v[116:117], v[6:7], v[116:117]
	v_add_f64_e32 v[128:129], v[164:165], v[162:163]
	v_add_f64_e32 v[154:155], v[154:155], v[156:157]
	s_wait_loadcnt_dscnt 0xa00
	v_mul_f64_e32 v[156:157], v[130:131], v[22:23]
	v_mul_f64_e32 v[22:23], v[132:133], v[22:23]
	v_fmac_f64_e32 v[158:159], v[6:7], v[114:115]
	v_fma_f64 v[162:163], v[4:5], v[114:115], -v[116:117]
	ds_load_b128 v[4:7], v2 offset:1024
	ds_load_b128 v[114:117], v2 offset:1040
	v_add_f64_e32 v[164:165], v[128:129], v[126:127]
	v_add_f64_e32 v[154:155], v[154:155], v[160:161]
	scratch_load_b128 v[126:129], off, off offset:512
	s_wait_loadcnt_dscnt 0xa01
	v_mul_f64_e32 v[160:161], v[4:5], v[124:125]
	v_mul_f64_e32 v[124:125], v[6:7], v[124:125]
	v_fmac_f64_e32 v[156:157], v[132:133], v[20:21]
	v_fma_f64 v[130:131], v[130:131], v[20:21], -v[22:23]
	scratch_load_b128 v[20:23], off, off offset:528
	v_add_f64_e32 v[132:133], v[164:165], v[162:163]
	v_add_f64_e32 v[154:155], v[154:155], v[158:159]
	s_wait_loadcnt_dscnt 0xa00
	v_mul_f64_e32 v[158:159], v[114:115], v[112:113]
	v_mul_f64_e32 v[112:113], v[116:117], v[112:113]
	v_fmac_f64_e32 v[160:161], v[6:7], v[122:123]
	v_fma_f64 v[162:163], v[4:5], v[122:123], -v[124:125]
	ds_load_b128 v[4:7], v2 offset:1056
	ds_load_b128 v[122:125], v2 offset:1072
	v_add_f64_e32 v[164:165], v[132:133], v[130:131]
	v_add_f64_e32 v[154:155], v[154:155], v[156:157]
	scratch_load_b128 v[130:133], off, off offset:544
	s_wait_loadcnt_dscnt 0xa01
	v_mul_f64_e32 v[156:157], v[4:5], v[136:137]
	v_mul_f64_e32 v[136:137], v[6:7], v[136:137]
	v_fmac_f64_e32 v[158:159], v[116:117], v[110:111]
	v_fma_f64 v[114:115], v[114:115], v[110:111], -v[112:113]
	scratch_load_b128 v[110:113], off, off offset:560
	v_add_f64_e32 v[116:117], v[164:165], v[162:163]
	v_add_f64_e32 v[154:155], v[154:155], v[160:161]
	s_wait_loadcnt_dscnt 0xa00
	v_mul_f64_e32 v[160:161], v[122:123], v[120:121]
	v_mul_f64_e32 v[120:121], v[124:125], v[120:121]
	v_fmac_f64_e32 v[156:157], v[6:7], v[134:135]
	v_fma_f64 v[162:163], v[4:5], v[134:135], -v[136:137]
	v_add_f64_e32 v[164:165], v[116:117], v[114:115]
	v_add_f64_e32 v[154:155], v[154:155], v[158:159]
	ds_load_b128 v[4:7], v2 offset:1088
	ds_load_b128 v[114:117], v2 offset:1104
	scratch_load_b128 v[134:137], off, off offset:576
	v_fmac_f64_e32 v[160:161], v[124:125], v[118:119]
	v_fma_f64 v[122:123], v[122:123], v[118:119], -v[120:121]
	scratch_load_b128 v[118:121], off, off offset:592
	s_wait_loadcnt_dscnt 0xb01
	v_mul_f64_e32 v[158:159], v[4:5], v[152:153]
	v_mul_f64_e32 v[152:153], v[6:7], v[152:153]
	v_add_f64_e32 v[124:125], v[164:165], v[162:163]
	v_add_f64_e32 v[154:155], v[154:155], v[156:157]
	s_wait_loadcnt_dscnt 0xa00
	v_mul_f64_e32 v[156:157], v[114:115], v[10:11]
	v_mul_f64_e32 v[10:11], v[116:117], v[10:11]
	v_fmac_f64_e32 v[158:159], v[6:7], v[150:151]
	v_fma_f64 v[162:163], v[4:5], v[150:151], -v[152:153]
	v_add_f64_e32 v[164:165], v[124:125], v[122:123]
	v_add_f64_e32 v[154:155], v[154:155], v[160:161]
	ds_load_b128 v[4:7], v2 offset:1120
	ds_load_b128 v[122:125], v2 offset:1136
	scratch_load_b128 v[150:153], off, off offset:608
	v_fmac_f64_e32 v[156:157], v[116:117], v[8:9]
	v_fma_f64 v[114:115], v[114:115], v[8:9], -v[10:11]
	scratch_load_b128 v[8:11], off, off offset:624
	s_wait_loadcnt_dscnt 0xb01
	v_mul_f64_e32 v[160:161], v[4:5], v[140:141]
	v_mul_f64_e32 v[140:141], v[6:7], v[140:141]
	;; [unrolled: 18-line block ×3, first 2 shown]
	v_add_f64_e32 v[124:125], v[164:165], v[162:163]
	v_add_f64_e32 v[154:155], v[154:155], v[160:161]
	s_wait_loadcnt_dscnt 0xa00
	v_mul_f64_e32 v[160:161], v[114:115], v[14:15]
	v_mul_f64_e32 v[14:15], v[116:117], v[14:15]
	v_fmac_f64_e32 v[156:157], v[6:7], v[146:147]
	v_fma_f64 v[146:147], v[4:5], v[146:147], -v[148:149]
	v_add_f64_e32 v[148:149], v[124:125], v[122:123]
	v_add_f64_e32 v[154:155], v[154:155], v[158:159]
	ds_load_b128 v[4:7], v2 offset:1184
	ds_load_b128 v[122:125], v2 offset:1200
	v_fmac_f64_e32 v[160:161], v[116:117], v[12:13]
	v_fma_f64 v[12:13], v[114:115], v[12:13], -v[14:15]
	s_wait_loadcnt_dscnt 0x901
	v_mul_f64_e32 v[158:159], v[4:5], v[128:129]
	v_mul_f64_e32 v[128:129], v[6:7], v[128:129]
	s_wait_loadcnt_dscnt 0x800
	v_mul_f64_e32 v[116:117], v[122:123], v[22:23]
	v_mul_f64_e32 v[22:23], v[124:125], v[22:23]
	v_add_f64_e32 v[14:15], v[148:149], v[146:147]
	v_add_f64_e32 v[114:115], v[154:155], v[156:157]
	v_fmac_f64_e32 v[158:159], v[6:7], v[126:127]
	v_fma_f64 v[126:127], v[4:5], v[126:127], -v[128:129]
	v_fmac_f64_e32 v[116:117], v[124:125], v[20:21]
	v_fma_f64 v[20:21], v[122:123], v[20:21], -v[22:23]
	v_add_f64_e32 v[128:129], v[14:15], v[12:13]
	v_add_f64_e32 v[114:115], v[114:115], v[160:161]
	ds_load_b128 v[4:7], v2 offset:1216
	ds_load_b128 v[12:15], v2 offset:1232
	s_wait_loadcnt_dscnt 0x701
	v_mul_f64_e32 v[146:147], v[4:5], v[132:133]
	v_mul_f64_e32 v[132:133], v[6:7], v[132:133]
	s_wait_loadcnt_dscnt 0x600
	v_mul_f64_e32 v[122:123], v[12:13], v[112:113]
	v_mul_f64_e32 v[112:113], v[14:15], v[112:113]
	v_add_f64_e32 v[22:23], v[128:129], v[126:127]
	v_add_f64_e32 v[114:115], v[114:115], v[158:159]
	v_fmac_f64_e32 v[146:147], v[6:7], v[130:131]
	v_fma_f64 v[124:125], v[4:5], v[130:131], -v[132:133]
	v_fmac_f64_e32 v[122:123], v[14:15], v[110:111]
	v_fma_f64 v[12:13], v[12:13], v[110:111], -v[112:113]
	v_add_f64_e32 v[126:127], v[22:23], v[20:21]
	v_add_f64_e32 v[114:115], v[114:115], v[116:117]
	ds_load_b128 v[4:7], v2 offset:1248
	ds_load_b128 v[20:23], v2 offset:1264
	s_wait_loadcnt_dscnt 0x501
	v_mul_f64_e32 v[116:117], v[4:5], v[136:137]
	v_mul_f64_e32 v[128:129], v[6:7], v[136:137]
	s_wait_loadcnt_dscnt 0x400
	v_mul_f64_e32 v[112:113], v[20:21], v[120:121]
	v_add_f64_e32 v[14:15], v[126:127], v[124:125]
	v_add_f64_e32 v[110:111], v[114:115], v[146:147]
	v_mul_f64_e32 v[114:115], v[22:23], v[120:121]
	v_fmac_f64_e32 v[116:117], v[6:7], v[134:135]
	v_fma_f64 v[120:121], v[4:5], v[134:135], -v[128:129]
	v_fmac_f64_e32 v[112:113], v[22:23], v[118:119]
	v_add_f64_e32 v[124:125], v[14:15], v[12:13]
	v_add_f64_e32 v[110:111], v[110:111], v[122:123]
	ds_load_b128 v[4:7], v2 offset:1280
	ds_load_b128 v[12:15], v2 offset:1296
	v_fma_f64 v[20:21], v[20:21], v[118:119], -v[114:115]
	s_wait_loadcnt_dscnt 0x301
	v_mul_f64_e32 v[122:123], v[4:5], v[152:153]
	v_mul_f64_e32 v[126:127], v[6:7], v[152:153]
	s_wait_loadcnt_dscnt 0x200
	v_mul_f64_e32 v[114:115], v[12:13], v[10:11]
	v_mul_f64_e32 v[10:11], v[14:15], v[10:11]
	v_add_f64_e32 v[22:23], v[124:125], v[120:121]
	v_add_f64_e32 v[110:111], v[110:111], v[116:117]
	v_fmac_f64_e32 v[122:123], v[6:7], v[150:151]
	v_fma_f64 v[116:117], v[4:5], v[150:151], -v[126:127]
	v_fmac_f64_e32 v[114:115], v[14:15], v[8:9]
	v_fma_f64 v[8:9], v[12:13], v[8:9], -v[10:11]
	v_add_f64_e32 v[118:119], v[22:23], v[20:21]
	v_add_f64_e32 v[110:111], v[110:111], v[112:113]
	ds_load_b128 v[4:7], v2 offset:1312
	ds_load_b128 v[20:23], v2 offset:1328
	s_wait_loadcnt_dscnt 0x101
	v_mul_f64_e32 v[2:3], v[4:5], v[140:141]
	v_mul_f64_e32 v[112:113], v[6:7], v[140:141]
	s_wait_loadcnt_dscnt 0x0
	v_mul_f64_e32 v[14:15], v[20:21], v[18:19]
	v_mul_f64_e32 v[18:19], v[22:23], v[18:19]
	v_add_f64_e32 v[10:11], v[118:119], v[116:117]
	v_add_f64_e32 v[12:13], v[110:111], v[122:123]
	v_fmac_f64_e32 v[2:3], v[6:7], v[138:139]
	v_fma_f64 v[4:5], v[4:5], v[138:139], -v[112:113]
	v_fmac_f64_e32 v[14:15], v[22:23], v[16:17]
	v_add_f64_e32 v[6:7], v[10:11], v[8:9]
	v_add_f64_e32 v[8:9], v[12:13], v[114:115]
	v_fma_f64 v[10:11], v[20:21], v[16:17], -v[18:19]
	s_delay_alu instid0(VALU_DEP_3) | instskip(NEXT) | instid1(VALU_DEP_3)
	v_add_f64_e32 v[4:5], v[6:7], v[4:5]
	v_add_f64_e32 v[2:3], v[8:9], v[2:3]
	s_delay_alu instid0(VALU_DEP_2) | instskip(NEXT) | instid1(VALU_DEP_2)
	v_add_f64_e32 v[4:5], v[4:5], v[10:11]
	v_add_f64_e32 v[6:7], v[2:3], v[14:15]
	s_delay_alu instid0(VALU_DEP_2) | instskip(NEXT) | instid1(VALU_DEP_2)
	v_add_f64_e64 v[2:3], v[142:143], -v[4:5]
	v_add_f64_e64 v[4:5], v[144:145], -v[6:7]
	scratch_store_b128 off, v[2:5], off offset:16
	s_wait_xcnt 0x0
	v_cmpx_ne_u32_e32 0, v1
	s_cbranch_execz .LBB41_265
; %bb.264:
	scratch_load_b128 v[2:5], off, off
	v_mov_b32_e32 v6, 0
	s_delay_alu instid0(VALU_DEP_1)
	v_dual_mov_b32 v7, v6 :: v_dual_mov_b32 v8, v6
	v_mov_b32_e32 v9, v6
	scratch_store_b128 off, v[6:9], off
	s_wait_loadcnt 0x0
	ds_store_b128 v108, v[2:5]
.LBB41_265:
	s_wait_xcnt 0x0
	s_or_b32 exec_lo, exec_lo, s2
	s_wait_storecnt_dscnt 0x0
	s_barrier_signal -1
	s_barrier_wait -1
	s_clause 0x9
	scratch_load_b128 v[2:5], off, off offset:16
	scratch_load_b128 v[6:9], off, off offset:32
	;; [unrolled: 1-line block ×10, first 2 shown]
	v_mov_b32_e32 v124, 0
	s_and_b32 vcc_lo, exec_lo, s54
	ds_load_b128 v[130:133], v124 offset:688
	s_clause 0x2
	scratch_load_b128 v[134:137], off, off offset:176
	scratch_load_b128 v[138:141], off, off
	scratch_load_b128 v[146:149], off, off offset:192
	s_wait_loadcnt_dscnt 0xc00
	v_mul_f64_e32 v[22:23], v[132:133], v[4:5]
	v_mul_f64_e32 v[154:155], v[130:131], v[4:5]
	ds_load_b128 v[142:145], v124 offset:704
	ds_load_b128 v[150:153], v124 offset:736
	v_fma_f64 v[22:23], v[130:131], v[2:3], -v[22:23]
	v_fmac_f64_e32 v[154:155], v[132:133], v[2:3]
	ds_load_b128 v[2:5], v124 offset:720
	s_wait_loadcnt_dscnt 0xb02
	v_mul_f64_e32 v[156:157], v[142:143], v[8:9]
	v_mul_f64_e32 v[8:9], v[144:145], v[8:9]
	scratch_load_b128 v[130:133], off, off offset:208
	s_wait_loadcnt_dscnt 0xb00
	v_mul_f64_e32 v[158:159], v[2:3], v[12:13]
	v_mul_f64_e32 v[12:13], v[4:5], v[12:13]
	v_add_f64_e32 v[22:23], 0, v[22:23]
	v_fmac_f64_e32 v[156:157], v[144:145], v[6:7]
	v_fma_f64 v[142:143], v[142:143], v[6:7], -v[8:9]
	v_add_f64_e32 v[144:145], 0, v[154:155]
	scratch_load_b128 v[6:9], off, off offset:224
	v_fmac_f64_e32 v[158:159], v[4:5], v[10:11]
	v_fma_f64 v[160:161], v[2:3], v[10:11], -v[12:13]
	ds_load_b128 v[2:5], v124 offset:752
	s_wait_loadcnt 0xb
	v_mul_f64_e32 v[154:155], v[150:151], v[16:17]
	v_mul_f64_e32 v[16:17], v[152:153], v[16:17]
	scratch_load_b128 v[10:13], off, off offset:240
	v_add_f64_e32 v[22:23], v[22:23], v[142:143]
	v_add_f64_e32 v[156:157], v[144:145], v[156:157]
	ds_load_b128 v[142:145], v124 offset:768
	s_wait_loadcnt_dscnt 0xb01
	v_mul_f64_e32 v[162:163], v[2:3], v[20:21]
	v_mul_f64_e32 v[20:21], v[4:5], v[20:21]
	v_fmac_f64_e32 v[154:155], v[152:153], v[14:15]
	v_fma_f64 v[150:151], v[150:151], v[14:15], -v[16:17]
	scratch_load_b128 v[14:17], off, off offset:256
	v_add_f64_e32 v[22:23], v[22:23], v[160:161]
	v_add_f64_e32 v[152:153], v[156:157], v[158:159]
	v_fmac_f64_e32 v[162:163], v[4:5], v[18:19]
	v_fma_f64 v[158:159], v[2:3], v[18:19], -v[20:21]
	ds_load_b128 v[2:5], v124 offset:784
	s_wait_loadcnt_dscnt 0xb01
	v_mul_f64_e32 v[156:157], v[142:143], v[110:111]
	v_mul_f64_e32 v[110:111], v[144:145], v[110:111]
	scratch_load_b128 v[18:21], off, off offset:272
	s_wait_loadcnt_dscnt 0xb00
	v_mul_f64_e32 v[160:161], v[2:3], v[114:115]
	v_mul_f64_e32 v[114:115], v[4:5], v[114:115]
	v_add_f64_e32 v[22:23], v[22:23], v[150:151]
	v_add_f64_e32 v[154:155], v[152:153], v[154:155]
	ds_load_b128 v[150:153], v124 offset:800
	v_fmac_f64_e32 v[156:157], v[144:145], v[108:109]
	v_fma_f64 v[142:143], v[142:143], v[108:109], -v[110:111]
	scratch_load_b128 v[108:111], off, off offset:288
	v_fmac_f64_e32 v[160:161], v[4:5], v[112:113]
	v_add_f64_e32 v[22:23], v[22:23], v[158:159]
	v_add_f64_e32 v[144:145], v[154:155], v[162:163]
	v_fma_f64 v[158:159], v[2:3], v[112:113], -v[114:115]
	ds_load_b128 v[2:5], v124 offset:816
	s_wait_loadcnt_dscnt 0xb01
	v_mul_f64_e32 v[154:155], v[150:151], v[118:119]
	v_mul_f64_e32 v[118:119], v[152:153], v[118:119]
	scratch_load_b128 v[112:115], off, off offset:304
	s_wait_loadcnt_dscnt 0xb00
	v_mul_f64_e32 v[162:163], v[2:3], v[122:123]
	v_mul_f64_e32 v[122:123], v[4:5], v[122:123]
	v_add_f64_e32 v[22:23], v[22:23], v[142:143]
	v_add_f64_e32 v[156:157], v[144:145], v[156:157]
	ds_load_b128 v[142:145], v124 offset:832
	v_fmac_f64_e32 v[154:155], v[152:153], v[116:117]
	v_fma_f64 v[150:151], v[150:151], v[116:117], -v[118:119]
	scratch_load_b128 v[116:119], off, off offset:320
	v_fmac_f64_e32 v[162:163], v[4:5], v[120:121]
	v_add_f64_e32 v[22:23], v[22:23], v[158:159]
	v_add_f64_e32 v[152:153], v[156:157], v[160:161]
	;; [unrolled: 18-line block ×3, first 2 shown]
	v_fma_f64 v[158:159], v[2:3], v[134:135], -v[136:137]
	ds_load_b128 v[2:5], v124 offset:880
	s_wait_loadcnt_dscnt 0xa01
	v_mul_f64_e32 v[154:155], v[150:151], v[148:149]
	v_mul_f64_e32 v[148:149], v[152:153], v[148:149]
	scratch_load_b128 v[134:137], off, off offset:368
	v_add_f64_e32 v[22:23], v[22:23], v[142:143]
	v_add_f64_e32 v[156:157], v[144:145], v[156:157]
	s_wait_loadcnt_dscnt 0xa00
	v_mul_f64_e32 v[162:163], v[2:3], v[132:133]
	v_mul_f64_e32 v[132:133], v[4:5], v[132:133]
	v_fmac_f64_e32 v[154:155], v[152:153], v[146:147]
	v_fma_f64 v[150:151], v[150:151], v[146:147], -v[148:149]
	ds_load_b128 v[142:145], v124 offset:896
	scratch_load_b128 v[146:149], off, off offset:384
	v_add_f64_e32 v[22:23], v[22:23], v[158:159]
	v_add_f64_e32 v[152:153], v[156:157], v[160:161]
	v_fmac_f64_e32 v[162:163], v[4:5], v[130:131]
	v_fma_f64 v[158:159], v[2:3], v[130:131], -v[132:133]
	ds_load_b128 v[2:5], v124 offset:912
	s_wait_loadcnt_dscnt 0xa01
	v_mul_f64_e32 v[156:157], v[142:143], v[8:9]
	v_mul_f64_e32 v[8:9], v[144:145], v[8:9]
	scratch_load_b128 v[130:133], off, off offset:400
	s_wait_loadcnt_dscnt 0xa00
	v_mul_f64_e32 v[160:161], v[2:3], v[12:13]
	v_mul_f64_e32 v[12:13], v[4:5], v[12:13]
	v_add_f64_e32 v[22:23], v[22:23], v[150:151]
	v_add_f64_e32 v[154:155], v[152:153], v[154:155]
	ds_load_b128 v[150:153], v124 offset:928
	v_fmac_f64_e32 v[156:157], v[144:145], v[6:7]
	v_fma_f64 v[142:143], v[142:143], v[6:7], -v[8:9]
	scratch_load_b128 v[6:9], off, off offset:416
	v_fmac_f64_e32 v[160:161], v[4:5], v[10:11]
	v_add_f64_e32 v[22:23], v[22:23], v[158:159]
	v_add_f64_e32 v[144:145], v[154:155], v[162:163]
	v_fma_f64 v[158:159], v[2:3], v[10:11], -v[12:13]
	ds_load_b128 v[2:5], v124 offset:944
	s_wait_loadcnt_dscnt 0xa01
	v_mul_f64_e32 v[154:155], v[150:151], v[16:17]
	v_mul_f64_e32 v[16:17], v[152:153], v[16:17]
	scratch_load_b128 v[10:13], off, off offset:432
	s_wait_loadcnt_dscnt 0xa00
	v_mul_f64_e32 v[162:163], v[2:3], v[20:21]
	v_mul_f64_e32 v[20:21], v[4:5], v[20:21]
	v_add_f64_e32 v[22:23], v[22:23], v[142:143]
	v_add_f64_e32 v[156:157], v[144:145], v[156:157]
	ds_load_b128 v[142:145], v124 offset:960
	v_fmac_f64_e32 v[154:155], v[152:153], v[14:15]
	v_fma_f64 v[150:151], v[150:151], v[14:15], -v[16:17]
	scratch_load_b128 v[14:17], off, off offset:448
	v_fmac_f64_e32 v[162:163], v[4:5], v[18:19]
	v_add_f64_e32 v[22:23], v[22:23], v[158:159]
	v_add_f64_e32 v[152:153], v[156:157], v[160:161]
	;; [unrolled: 18-line block ×8, first 2 shown]
	v_fma_f64 v[158:159], v[2:3], v[18:19], -v[20:21]
	ds_load_b128 v[2:5], v124 offset:1168
	s_wait_loadcnt_dscnt 0xa01
	v_mul_f64_e32 v[156:157], v[142:143], v[110:111]
	v_mul_f64_e32 v[110:111], v[144:145], v[110:111]
	scratch_load_b128 v[18:21], off, off offset:656
	s_wait_loadcnt_dscnt 0xa00
	v_mul_f64_e32 v[160:161], v[2:3], v[114:115]
	v_mul_f64_e32 v[114:115], v[4:5], v[114:115]
	v_add_f64_e32 v[22:23], v[22:23], v[150:151]
	v_add_f64_e32 v[154:155], v[152:153], v[154:155]
	ds_load_b128 v[150:153], v124 offset:1184
	v_fmac_f64_e32 v[156:157], v[144:145], v[108:109]
	v_fma_f64 v[108:109], v[142:143], v[108:109], -v[110:111]
	s_wait_loadcnt_dscnt 0x900
	v_mul_f64_e32 v[142:143], v[150:151], v[118:119]
	v_mul_f64_e32 v[118:119], v[152:153], v[118:119]
	v_fmac_f64_e32 v[160:161], v[4:5], v[112:113]
	v_fma_f64 v[112:113], v[2:3], v[112:113], -v[114:115]
	v_add_f64_e32 v[22:23], v[22:23], v[158:159]
	v_add_f64_e32 v[110:111], v[154:155], v[162:163]
	v_fmac_f64_e32 v[142:143], v[152:153], v[116:117]
	v_fma_f64 v[116:117], v[150:151], v[116:117], -v[118:119]
	s_delay_alu instid0(VALU_DEP_4) | instskip(NEXT) | instid1(VALU_DEP_4)
	v_add_f64_e32 v[22:23], v[22:23], v[108:109]
	v_add_f64_e32 v[114:115], v[110:111], v[156:157]
	ds_load_b128 v[2:5], v124 offset:1200
	ds_load_b128 v[108:111], v124 offset:1216
	s_wait_loadcnt_dscnt 0x801
	v_mul_f64_e32 v[144:145], v[2:3], v[122:123]
	v_mul_f64_e32 v[122:123], v[4:5], v[122:123]
	s_wait_loadcnt_dscnt 0x700
	v_mul_f64_e32 v[118:119], v[108:109], v[128:129]
	v_mul_f64_e32 v[128:129], v[110:111], v[128:129]
	v_add_f64_e32 v[22:23], v[22:23], v[112:113]
	v_add_f64_e32 v[112:113], v[114:115], v[160:161]
	v_fmac_f64_e32 v[144:145], v[4:5], v[120:121]
	v_fma_f64 v[120:121], v[2:3], v[120:121], -v[122:123]
	v_fmac_f64_e32 v[118:119], v[110:111], v[126:127]
	v_fma_f64 v[108:109], v[108:109], v[126:127], -v[128:129]
	v_add_f64_e32 v[22:23], v[22:23], v[116:117]
	v_add_f64_e32 v[116:117], v[112:113], v[142:143]
	ds_load_b128 v[2:5], v124 offset:1232
	ds_load_b128 v[112:115], v124 offset:1248
	s_wait_loadcnt_dscnt 0x601
	v_mul_f64_e32 v[122:123], v[2:3], v[136:137]
	v_mul_f64_e32 v[136:137], v[4:5], v[136:137]
	v_add_f64_e32 v[22:23], v[22:23], v[120:121]
	v_add_f64_e32 v[110:111], v[116:117], v[144:145]
	s_wait_loadcnt_dscnt 0x500
	v_mul_f64_e32 v[116:117], v[112:113], v[148:149]
	v_mul_f64_e32 v[120:121], v[114:115], v[148:149]
	v_fmac_f64_e32 v[122:123], v[4:5], v[134:135]
	v_fma_f64 v[126:127], v[2:3], v[134:135], -v[136:137]
	v_add_f64_e32 v[22:23], v[22:23], v[108:109]
	v_add_f64_e32 v[118:119], v[110:111], v[118:119]
	ds_load_b128 v[2:5], v124 offset:1264
	ds_load_b128 v[108:111], v124 offset:1280
	v_fmac_f64_e32 v[116:117], v[114:115], v[146:147]
	v_fma_f64 v[112:113], v[112:113], v[146:147], -v[120:121]
	s_wait_loadcnt_dscnt 0x401
	v_mul_f64_e32 v[128:129], v[2:3], v[132:133]
	v_mul_f64_e32 v[132:133], v[4:5], v[132:133]
	v_add_f64_e32 v[22:23], v[22:23], v[126:127]
	v_add_f64_e32 v[114:115], v[118:119], v[122:123]
	s_wait_loadcnt_dscnt 0x300
	v_mul_f64_e32 v[118:119], v[108:109], v[8:9]
	v_mul_f64_e32 v[8:9], v[110:111], v[8:9]
	v_fmac_f64_e32 v[128:129], v[4:5], v[130:131]
	v_fma_f64 v[120:121], v[2:3], v[130:131], -v[132:133]
	v_add_f64_e32 v[22:23], v[22:23], v[112:113]
	v_add_f64_e32 v[116:117], v[114:115], v[116:117]
	ds_load_b128 v[2:5], v124 offset:1296
	ds_load_b128 v[112:115], v124 offset:1312
	v_fmac_f64_e32 v[118:119], v[110:111], v[6:7]
	v_fma_f64 v[6:7], v[108:109], v[6:7], -v[8:9]
	v_lshl_add_u64 v[110:111], v[42:43], 4, s[4:5]
	v_lshl_add_u64 v[42:43], v[80:81], 4, s[4:5]
	s_wait_loadcnt_dscnt 0x201
	v_mul_f64_e32 v[122:123], v[2:3], v[12:13]
	v_mul_f64_e32 v[12:13], v[4:5], v[12:13]
	s_wait_loadcnt_dscnt 0x100
	v_mul_f64_e32 v[108:109], v[112:113], v[16:17]
	v_mul_f64_e32 v[16:17], v[114:115], v[16:17]
	v_add_f64_e32 v[8:9], v[22:23], v[120:121]
	v_add_f64_e32 v[22:23], v[116:117], v[128:129]
	v_lshl_add_u64 v[120:121], v[30:31], 4, s[4:5]
	v_lshl_add_u64 v[116:117], v[32:33], 4, s[4:5]
	;; [unrolled: 1-line block ×5, first 2 shown]
	v_fmac_f64_e32 v[122:123], v[4:5], v[10:11]
	v_fma_f64 v[10:11], v[2:3], v[10:11], -v[12:13]
	ds_load_b128 v[2:5], v124 offset:1328
	v_fmac_f64_e32 v[108:109], v[114:115], v[14:15]
	v_fma_f64 v[14:15], v[112:113], v[14:15], -v[16:17]
	v_lshl_add_u64 v[114:115], v[36:37], 4, s[4:5]
	v_lshl_add_u64 v[112:113], v[38:39], 4, s[4:5]
	v_lshl_add_u64 v[16:17], v[58:59], 4, s[4:5]
	v_lshl_add_u64 v[36:37], v[74:75], 4, s[4:5]
	v_lshl_add_u64 v[38:39], v[76:77], 4, s[4:5]
	v_lshl_add_u64 v[58:59], v[96:97], 4, s[4:5]
	v_add_f64_e32 v[6:7], v[8:9], v[6:7]
	v_add_f64_e32 v[8:9], v[22:23], v[118:119]
	v_lshl_add_u64 v[118:119], v[34:35], 4, s[4:5]
	v_lshl_add_u64 v[22:23], v[64:65], 4, s[4:5]
	;; [unrolled: 1-line block ×4, first 2 shown]
	s_wait_loadcnt_dscnt 0x0
	v_mul_f64_e32 v[12:13], v[2:3], v[20:21]
	v_mul_f64_e32 v[20:21], v[4:5], v[20:21]
	v_add_f64_e32 v[6:7], v[6:7], v[10:11]
	v_add_f64_e32 v[8:9], v[8:9], v[122:123]
	v_lshl_add_u64 v[122:123], v[28:29], 4, s[4:5]
	v_lshl_add_u64 v[10:11], v[52:53], 4, s[4:5]
	;; [unrolled: 1-line block ×5, first 2 shown]
	v_fmac_f64_e32 v[12:13], v[4:5], v[18:19]
	v_fma_f64 v[2:3], v[2:3], v[18:19], -v[20:21]
	v_lshl_add_u64 v[18:19], v[60:61], 4, s[4:5]
	v_lshl_add_u64 v[20:21], v[62:63], 4, s[4:5]
	;; [unrolled: 1-line block ×4, first 2 shown]
	v_add_f64_e32 v[4:5], v[6:7], v[14:15]
	v_add_f64_e32 v[6:7], v[8:9], v[108:109]
	v_lshl_add_u64 v[108:109], v[40:41], 4, s[4:5]
	v_lshl_add_u64 v[14:15], v[56:57], 4, s[4:5]
	;; [unrolled: 1-line block ×4, first 2 shown]
	v_add_f64_e32 v[8:9], v[4:5], v[2:3]
	v_add_f64_e32 v[6:7], v[6:7], v[12:13]
	v_lshl_add_u64 v[4:5], v[44:45], 4, s[4:5]
	v_lshl_add_u64 v[2:3], v[46:47], 4, s[4:5]
	;; [unrolled: 1-line block ×6, first 2 shown]
	v_add_f64_e64 v[126:127], v[138:139], -v[8:9]
	v_add_f64_e64 v[128:129], v[140:141], -v[6:7]
	v_lshl_add_u64 v[6:7], v[48:49], 4, s[4:5]
	v_lshl_add_u64 v[8:9], v[50:51], 4, s[4:5]
	;; [unrolled: 1-line block ×4, first 2 shown]
	scratch_store_b128 off, v[126:129], off
	s_cbranch_vccz .LBB41_348
; %bb.266:
	global_load_b32 v70, v124, s[16:17] offset:160
	s_load_b64 s[2:3], s[0:1], 0x4
	v_bfe_u32 v71, v0, 10, 10
	v_bfe_u32 v0, v0, 20, 10
	s_wait_kmcnt 0x0
	s_lshr_b32 s0, s2, 16
	s_delay_alu instid0(VALU_DEP_2) | instskip(SKIP_1) | instid1(SALU_CYCLE_1)
	v_mul_u32_u24_e32 v71, s3, v71
	s_mul_i32 s0, s0, s3
	v_mul_u32_u24_e32 v1, s0, v1
	s_delay_alu instid0(VALU_DEP_1) | instskip(NEXT) | instid1(VALU_DEP_1)
	v_add3_u32 v0, v1, v71, v0
	v_lshl_add_u32 v0, v0, 4, 0x548
	s_wait_loadcnt 0x0
	v_cmp_ne_u32_e32 vcc_lo, 41, v70
	s_cbranch_vccz .LBB41_268
; %bb.267:
	v_lshlrev_b32_e32 v1, 4, v70
	s_clause 0x1
	scratch_load_b128 v[70:73], off, s23
	scratch_load_b128 v[74:77], v1, off offset:-16
	s_wait_loadcnt 0x1
	ds_store_2addr_b64 v0, v[70:71], v[72:73] offset1:1
	s_wait_loadcnt 0x0
	s_clause 0x1
	scratch_store_b128 off, v[74:77], s23
	scratch_store_b128 v1, v[70:73], off offset:-16
.LBB41_268:
	s_wait_xcnt 0x0
	v_mov_b32_e32 v1, 0
	global_load_b32 v70, v1, s[16:17] offset:156
	s_wait_loadcnt 0x0
	v_cmp_eq_u32_e32 vcc_lo, 40, v70
	s_cbranch_vccnz .LBB41_270
; %bb.269:
	v_lshlrev_b32_e32 v70, 4, v70
	s_delay_alu instid0(VALU_DEP_1)
	v_mov_b32_e32 v78, v70
	s_clause 0x1
	scratch_load_b128 v[70:73], off, s22
	scratch_load_b128 v[74:77], v78, off offset:-16
	s_wait_loadcnt 0x1
	ds_store_2addr_b64 v0, v[70:71], v[72:73] offset1:1
	s_wait_loadcnt 0x0
	s_clause 0x1
	scratch_store_b128 off, v[74:77], s22
	scratch_store_b128 v78, v[70:73], off offset:-16
.LBB41_270:
	global_load_b32 v1, v1, s[16:17] offset:152
	s_wait_loadcnt 0x0
	v_cmp_eq_u32_e32 vcc_lo, 39, v1
	s_cbranch_vccnz .LBB41_272
; %bb.271:
	s_wait_xcnt 0x0
	v_lshlrev_b32_e32 v1, 4, v1
	s_clause 0x1
	scratch_load_b128 v[70:73], off, s29
	scratch_load_b128 v[74:77], v1, off offset:-16
	s_wait_loadcnt 0x1
	ds_store_2addr_b64 v0, v[70:71], v[72:73] offset1:1
	s_wait_loadcnt 0x0
	s_clause 0x1
	scratch_store_b128 off, v[74:77], s29
	scratch_store_b128 v1, v[70:73], off offset:-16
.LBB41_272:
	s_wait_xcnt 0x0
	v_mov_b32_e32 v1, 0
	global_load_b32 v70, v1, s[16:17] offset:148
	s_wait_loadcnt 0x0
	v_cmp_eq_u32_e32 vcc_lo, 38, v70
	s_cbranch_vccnz .LBB41_274
; %bb.273:
	v_lshlrev_b32_e32 v70, 4, v70
	s_delay_alu instid0(VALU_DEP_1)
	v_mov_b32_e32 v78, v70
	s_clause 0x1
	scratch_load_b128 v[70:73], off, s27
	scratch_load_b128 v[74:77], v78, off offset:-16
	s_wait_loadcnt 0x1
	ds_store_2addr_b64 v0, v[70:71], v[72:73] offset1:1
	s_wait_loadcnt 0x0
	s_clause 0x1
	scratch_store_b128 off, v[74:77], s27
	scratch_store_b128 v78, v[70:73], off offset:-16
.LBB41_274:
	global_load_b32 v1, v1, s[16:17] offset:144
	s_wait_loadcnt 0x0
	v_cmp_eq_u32_e32 vcc_lo, 37, v1
	s_cbranch_vccnz .LBB41_276
; %bb.275:
	s_wait_xcnt 0x0
	v_lshlrev_b32_e32 v1, 4, v1
	s_clause 0x1
	scratch_load_b128 v[70:73], off, s35
	scratch_load_b128 v[74:77], v1, off offset:-16
	s_wait_loadcnt 0x1
	ds_store_2addr_b64 v0, v[70:71], v[72:73] offset1:1
	s_wait_loadcnt 0x0
	s_clause 0x1
	scratch_store_b128 off, v[74:77], s35
	scratch_store_b128 v1, v[70:73], off offset:-16
.LBB41_276:
	;; [unrolled: 37-line block ×19, first 2 shown]
	s_wait_xcnt 0x0
	v_mov_b32_e32 v1, 0
	global_load_b32 v70, v1, s[16:17] offset:4
	s_wait_loadcnt 0x0
	v_cmp_eq_u32_e32 vcc_lo, 2, v70
	s_cbranch_vccnz .LBB41_346
; %bb.345:
	v_lshlrev_b32_e32 v70, 4, v70
	s_delay_alu instid0(VALU_DEP_1)
	v_mov_b32_e32 v78, v70
	s_clause 0x1
	scratch_load_b128 v[70:73], off, s42
	scratch_load_b128 v[74:77], v78, off offset:-16
	s_wait_loadcnt 0x1
	ds_store_2addr_b64 v0, v[70:71], v[72:73] offset1:1
	s_wait_loadcnt 0x0
	s_clause 0x1
	scratch_store_b128 off, v[74:77], s42
	scratch_store_b128 v78, v[70:73], off offset:-16
.LBB41_346:
	global_load_b32 v1, v1, s[16:17]
	s_wait_loadcnt 0x0
	v_cmp_eq_u32_e32 vcc_lo, 1, v1
	s_cbranch_vccnz .LBB41_348
; %bb.347:
	s_wait_xcnt 0x0
	v_lshlrev_b32_e32 v1, 4, v1
	scratch_load_b128 v[70:73], off, off
	scratch_load_b128 v[74:77], v1, off offset:-16
	s_wait_loadcnt 0x1
	ds_store_2addr_b64 v0, v[70:71], v[72:73] offset1:1
	s_wait_loadcnt 0x0
	scratch_store_b128 off, v[74:77], off
	scratch_store_b128 v1, v[70:73], off offset:-16
.LBB41_348:
	scratch_load_b128 v[70:73], off, off
	s_clause 0x18
	scratch_load_b128 v[74:77], off, s42
	scratch_load_b128 v[78:81], off, s38
	;; [unrolled: 1-line block ×15, first 2 shown]
	; meta instruction
	; meta instruction
	;; [unrolled: 1-line block ×15, first 2 shown]
	scratch_load_b128 v[152:155], off, s20
	scratch_load_b128 v[156:159], off, s26
	;; [unrolled: 1-line block ×10, first 2 shown]
	s_wait_loadcnt 0x19
	global_store_b128 v[24:25], v[70:73], off
	s_wait_loadcnt 0x18
	global_store_b128 v[26:27], v[74:77], off
	s_clause 0x1
	scratch_load_b128 v[24:27], off, s21
	scratch_load_b128 v[70:73], off, s25
	s_wait_loadcnt 0x19
	global_store_b128 v[122:123], v[78:81], off
	s_clause 0x1
	scratch_load_b128 v[74:77], off, s14
	scratch_load_b128 v[78:81], off, s15
	;; [unrolled: 5-line block ×3, first 2 shown]
	s_wait_loadcnt 0x1b
	global_store_b128 v[116:117], v[86:89], off
	s_wait_loadcnt 0x1a
	global_store_b128 v[118:119], v[90:93], off
	s_clause 0x1
	scratch_load_b128 v[86:89], off, s10
	scratch_load_b128 v[90:93], off, s11
	s_wait_loadcnt 0x1b
	global_store_b128 v[114:115], v[94:97], off
	s_clause 0x1
	scratch_load_b128 v[94:97], off, s8
	scratch_load_b128 v[114:117], off, s9
	;; [unrolled: 5-line block ×3, first 2 shown]
	s_wait_loadcnt 0x1d
	global_store_b128 v[108:109], v[102:105], off
	s_wait_loadcnt 0x1c
	global_store_b128 v[110:111], v[124:127], off
	s_clause 0x1
	scratch_load_b128 v[102:105], off, s27
	scratch_load_b128 v[106:109], off, s29
	s_wait_loadcnt 0x1d
	global_store_b128 v[4:5], v[128:131], off
	s_clause 0x1
	scratch_load_b128 v[110:113], off, s22
	scratch_load_b128 v[124:127], off, s23
	s_wait_loadcnt 0x1e
	global_store_b128 v[2:3], v[132:135], off
	s_wait_loadcnt 0x1d
	global_store_b128 v[6:7], v[136:139], off
	;; [unrolled: 2-line block ×29, first 2 shown]
	s_wait_loadcnt 0x0
	s_clause 0x1
	global_store_b128 v[66:67], v[124:127], off
	global_store_b128 v[68:69], v[188:191], off
	s_sendmsg sendmsg(MSG_DEALLOC_VGPRS)
	s_endpgm
	.section	.rodata,"a",@progbits
	.p2align	6, 0x0
	.amdhsa_kernel _ZN9rocsolver6v33100L18getri_kernel_smallILi42E19rocblas_complex_numIdEPS3_EEvT1_iilPiilS6_bb
		.amdhsa_group_segment_fixed_size 2376
		.amdhsa_private_segment_fixed_size 688
		.amdhsa_kernarg_size 60
		.amdhsa_user_sgpr_count 4
		.amdhsa_user_sgpr_dispatch_ptr 1
		.amdhsa_user_sgpr_queue_ptr 0
		.amdhsa_user_sgpr_kernarg_segment_ptr 1
		.amdhsa_user_sgpr_dispatch_id 0
		.amdhsa_user_sgpr_kernarg_preload_length 0
		.amdhsa_user_sgpr_kernarg_preload_offset 0
		.amdhsa_user_sgpr_private_segment_size 0
		.amdhsa_wavefront_size32 1
		.amdhsa_uses_dynamic_stack 0
		.amdhsa_enable_private_segment 1
		.amdhsa_system_sgpr_workgroup_id_x 1
		.amdhsa_system_sgpr_workgroup_id_y 0
		.amdhsa_system_sgpr_workgroup_id_z 0
		.amdhsa_system_sgpr_workgroup_info 0
		.amdhsa_system_vgpr_workitem_id 2
		.amdhsa_next_free_vgpr 196
		.amdhsa_next_free_sgpr 71
		.amdhsa_named_barrier_count 0
		.amdhsa_reserve_vcc 1
		.amdhsa_float_round_mode_32 0
		.amdhsa_float_round_mode_16_64 0
		.amdhsa_float_denorm_mode_32 3
		.amdhsa_float_denorm_mode_16_64 3
		.amdhsa_fp16_overflow 0
		.amdhsa_memory_ordered 1
		.amdhsa_forward_progress 1
		.amdhsa_inst_pref_size 255
		.amdhsa_round_robin_scheduling 0
		.amdhsa_exception_fp_ieee_invalid_op 0
		.amdhsa_exception_fp_denorm_src 0
		.amdhsa_exception_fp_ieee_div_zero 0
		.amdhsa_exception_fp_ieee_overflow 0
		.amdhsa_exception_fp_ieee_underflow 0
		.amdhsa_exception_fp_ieee_inexact 0
		.amdhsa_exception_int_div_zero 0
	.end_amdhsa_kernel
	.section	.text._ZN9rocsolver6v33100L18getri_kernel_smallILi42E19rocblas_complex_numIdEPS3_EEvT1_iilPiilS6_bb,"axG",@progbits,_ZN9rocsolver6v33100L18getri_kernel_smallILi42E19rocblas_complex_numIdEPS3_EEvT1_iilPiilS6_bb,comdat
.Lfunc_end41:
	.size	_ZN9rocsolver6v33100L18getri_kernel_smallILi42E19rocblas_complex_numIdEPS3_EEvT1_iilPiilS6_bb, .Lfunc_end41-_ZN9rocsolver6v33100L18getri_kernel_smallILi42E19rocblas_complex_numIdEPS3_EEvT1_iilPiilS6_bb
                                        ; -- End function
	.set _ZN9rocsolver6v33100L18getri_kernel_smallILi42E19rocblas_complex_numIdEPS3_EEvT1_iilPiilS6_bb.num_vgpr, 196
	.set _ZN9rocsolver6v33100L18getri_kernel_smallILi42E19rocblas_complex_numIdEPS3_EEvT1_iilPiilS6_bb.num_agpr, 0
	.set _ZN9rocsolver6v33100L18getri_kernel_smallILi42E19rocblas_complex_numIdEPS3_EEvT1_iilPiilS6_bb.numbered_sgpr, 71
	.set _ZN9rocsolver6v33100L18getri_kernel_smallILi42E19rocblas_complex_numIdEPS3_EEvT1_iilPiilS6_bb.num_named_barrier, 0
	.set _ZN9rocsolver6v33100L18getri_kernel_smallILi42E19rocblas_complex_numIdEPS3_EEvT1_iilPiilS6_bb.private_seg_size, 688
	.set _ZN9rocsolver6v33100L18getri_kernel_smallILi42E19rocblas_complex_numIdEPS3_EEvT1_iilPiilS6_bb.uses_vcc, 1
	.set _ZN9rocsolver6v33100L18getri_kernel_smallILi42E19rocblas_complex_numIdEPS3_EEvT1_iilPiilS6_bb.uses_flat_scratch, 1
	.set _ZN9rocsolver6v33100L18getri_kernel_smallILi42E19rocblas_complex_numIdEPS3_EEvT1_iilPiilS6_bb.has_dyn_sized_stack, 0
	.set _ZN9rocsolver6v33100L18getri_kernel_smallILi42E19rocblas_complex_numIdEPS3_EEvT1_iilPiilS6_bb.has_recursion, 0
	.set _ZN9rocsolver6v33100L18getri_kernel_smallILi42E19rocblas_complex_numIdEPS3_EEvT1_iilPiilS6_bb.has_indirect_call, 0
	.section	.AMDGPU.csdata,"",@progbits
; Kernel info:
; codeLenInByte = 71064
; TotalNumSgprs: 73
; NumVgprs: 196
; ScratchSize: 688
; MemoryBound: 0
; FloatMode: 240
; IeeeMode: 1
; LDSByteSize: 2376 bytes/workgroup (compile time only)
; SGPRBlocks: 0
; VGPRBlocks: 12
; NumSGPRsForWavesPerEU: 73
; NumVGPRsForWavesPerEU: 196
; NamedBarCnt: 0
; Occupancy: 4
; WaveLimiterHint : 1
; COMPUTE_PGM_RSRC2:SCRATCH_EN: 1
; COMPUTE_PGM_RSRC2:USER_SGPR: 4
; COMPUTE_PGM_RSRC2:TRAP_HANDLER: 0
; COMPUTE_PGM_RSRC2:TGID_X_EN: 1
; COMPUTE_PGM_RSRC2:TGID_Y_EN: 0
; COMPUTE_PGM_RSRC2:TGID_Z_EN: 0
; COMPUTE_PGM_RSRC2:TIDIG_COMP_CNT: 2
	.section	.text._ZN9rocsolver6v33100L18getri_kernel_smallILi43E19rocblas_complex_numIdEPS3_EEvT1_iilPiilS6_bb,"axG",@progbits,_ZN9rocsolver6v33100L18getri_kernel_smallILi43E19rocblas_complex_numIdEPS3_EEvT1_iilPiilS6_bb,comdat
	.globl	_ZN9rocsolver6v33100L18getri_kernel_smallILi43E19rocblas_complex_numIdEPS3_EEvT1_iilPiilS6_bb ; -- Begin function _ZN9rocsolver6v33100L18getri_kernel_smallILi43E19rocblas_complex_numIdEPS3_EEvT1_iilPiilS6_bb
	.p2align	8
	.type	_ZN9rocsolver6v33100L18getri_kernel_smallILi43E19rocblas_complex_numIdEPS3_EEvT1_iilPiilS6_bb,@function
_ZN9rocsolver6v33100L18getri_kernel_smallILi43E19rocblas_complex_numIdEPS3_EEvT1_iilPiilS6_bb: ; @_ZN9rocsolver6v33100L18getri_kernel_smallILi43E19rocblas_complex_numIdEPS3_EEvT1_iilPiilS6_bb
; %bb.0:
	v_and_b32_e32 v1, 0x3ff, v0
	s_mov_b32 s4, exec_lo
	s_delay_alu instid0(VALU_DEP_1)
	v_cmpx_gt_u32_e32 43, v1
	s_cbranch_execz .LBB42_186
; %bb.1:
	s_clause 0x2
	s_load_b32 s8, s[2:3], 0x38
	s_load_b128 s[12:15], s[2:3], 0x10
	s_load_b128 s[4:7], s[2:3], 0x28
	s_getreg_b32 s11, hwreg(HW_REG_IB_STS2, 6, 4)
                                        ; implicit-def: $sgpr16_sgpr17
	s_wait_kmcnt 0x0
	s_bitcmp1_b32 s8, 8
	s_cselect_b32 s55, -1, 0
	s_bfe_u32 s9, ttmp6, 0x4000c
	s_and_b32 s10, ttmp6, 15
	s_add_co_i32 s9, s9, 1
	s_delay_alu instid0(SALU_CYCLE_1) | instskip(NEXT) | instid1(SALU_CYCLE_1)
	s_mul_i32 s9, ttmp9, s9
	s_add_co_i32 s10, s10, s9
	s_cmp_eq_u32 s11, 0
	s_cselect_b32 s18, ttmp9, s10
	s_bfe_u32 s8, s8, 0x10008
	s_ashr_i32 s19, s18, 31
	s_cmp_eq_u32 s8, 0
	s_cbranch_scc1 .LBB42_3
; %bb.2:
	s_load_b32 s8, s[2:3], 0x20
	s_mul_u64 s[4:5], s[4:5], s[18:19]
	s_delay_alu instid0(SALU_CYCLE_1) | instskip(NEXT) | instid1(SALU_CYCLE_1)
	s_lshl_b64 s[4:5], s[4:5], 2
	s_add_nc_u64 s[4:5], s[14:15], s[4:5]
	s_wait_kmcnt 0x0
	s_ashr_i32 s9, s8, 31
	s_delay_alu instid0(SALU_CYCLE_1) | instskip(NEXT) | instid1(SALU_CYCLE_1)
	s_lshl_b64 s[8:9], s[8:9], 2
	s_add_nc_u64 s[16:17], s[4:5], s[8:9]
.LBB42_3:
	s_clause 0x1
	s_load_b128 s[8:11], s[2:3], 0x0
	s_load_b32 s56, s[2:3], 0x38
	s_wait_xcnt 0x0
	s_mul_u64 s[2:3], s[12:13], s[18:19]
	s_movk_i32 s57, 0x190
	s_lshl_b64 s[2:3], s[2:3], 4
	s_movk_i32 s58, 0x1a0
	s_movk_i32 s59, 0x1b0
	;; [unrolled: 1-line block ×15, first 2 shown]
	s_wait_kmcnt 0x0
	v_add3_u32 v28, s11, s11, v1
	s_ashr_i32 s5, s10, 31
	s_mov_b32 s4, s10
	s_add_nc_u64 s[2:3], s[8:9], s[2:3]
	s_lshl_b64 s[4:5], s[4:5], 4
	v_add_nc_u32_e32 v30, s11, v28
	s_add_nc_u64 s[4:5], s[2:3], s[4:5]
	s_ashr_i32 s3, s11, 31
	s_mov_b32 s2, s11
	s_movk_i32 s73, 0x290
	v_add_nc_u32_e32 v32, s11, v30
	s_movk_i32 s74, 0x2a0
	s_mov_b32 s43, 16
	s_mov_b32 s38, 32
	;; [unrolled: 1-line block ×3, first 2 shown]
	v_dual_add_nc_u32 v34, s11, v32 :: v_dual_lshlrev_b32 v14, 4, v1
	s_mov_b32 s42, 64
	s_movk_i32 s46, 0x50
	s_movk_i32 s48, 0x60
	s_delay_alu instid0(VALU_DEP_1)
	v_add_nc_u32_e32 v36, s11, v34
	s_clause 0x1
	global_load_b128 v[2:5], v28, s[4:5] scale_offset
	global_load_b128 v[6:9], v30, s[4:5] scale_offset
	s_movk_i32 s51, 0x70
	s_movk_i32 s44, 0x80
	s_movk_i32 s45, 0x90
	v_dual_mov_b32 v15, 0 :: v_dual_add_nc_u32 v38, s11, v36
	global_load_b128 v[10:13], v32, s[4:5] scale_offset
	s_movk_i32 s47, 0xa0
	s_movk_i32 s50, 0xb0
	v_add_nc_u32_e32 v40, s11, v38
	v_add_nc_u64_e32 v[24:25], s[4:5], v[14:15]
	s_movk_i32 s52, 0xc0
	s_movk_i32 s53, 0xd0
	;; [unrolled: 1-line block ×3, first 2 shown]
	v_add_nc_u32_e32 v42, s11, v40
	s_movk_i32 s49, 0xf0
	s_movk_i32 s30, 0x100
	v_lshl_add_u64 v[26:27], s[2:3], 4, v[24:25]
	s_movk_i32 s31, 0x110
	v_add_nc_u32_e32 v44, s11, v42
	s_clause 0x4
	global_load_b128 v[16:19], v1, s[4:5] scale_offset
	global_load_b128 v[20:23], v[26:27], off
	global_load_b128 v[100:103], v34, s[4:5] scale_offset
	global_load_b128 v[104:107], v36, s[4:5] scale_offset
	;; [unrolled: 1-line block ×3, first 2 shown]
	s_movk_i32 s35, 0x120
	v_add_nc_u32_e32 v46, s11, v44
	s_movk_i32 s36, 0x130
	s_movk_i32 s39, 0x140
	;; [unrolled: 1-line block ×4, first 2 shown]
	v_add_nc_u32_e32 v48, s11, v46
	s_clause 0x1
	global_load_b128 v[112:115], v40, s[4:5] scale_offset
	global_load_b128 v[116:119], v42, s[4:5] scale_offset
	s_movk_i32 s37, 0x170
	s_movk_i32 s40, 0x180
	s_mov_b32 s28, s57
	v_add_nc_u32_e32 v50, s11, v48
	s_mov_b32 s29, s58
	s_mov_b32 s26, s59
	;; [unrolled: 1-line block ×4, first 2 shown]
	v_add_nc_u32_e32 v52, s11, v50
	s_clause 0x2
	global_load_b128 v[120:123], v44, s[4:5] scale_offset
	global_load_b128 v[124:127], v46, s[4:5] scale_offset
	;; [unrolled: 1-line block ×3, first 2 shown]
	s_mov_b32 s25, s62
	s_mov_b32 s15, s63
	s_clause 0x1
	global_load_b128 v[132:135], v50, s[4:5] scale_offset
	global_load_b128 v[136:139], v52, s[4:5] scale_offset
	v_add_nc_u32_e32 v54, s11, v52
	s_mov_b32 s21, s64
	s_mov_b32 s13, s65
	;; [unrolled: 1-line block ×4, first 2 shown]
	v_add_nc_u32_e32 v56, s11, v54
	s_mov_b32 s9, s69
	s_mov_b32 s10, s70
	;; [unrolled: 1-line block ×4, first 2 shown]
	v_add_nc_u32_e32 v58, s11, v56
	s_mov_b32 s20, s73
	s_mov_b32 s22, s74
	s_bitcmp0_b32 s56, 0
	s_mov_b32 s3, -1
	v_add_nc_u32_e32 v60, s11, v58
	s_delay_alu instid0(VALU_DEP_1) | instskip(NEXT) | instid1(VALU_DEP_1)
	v_add_nc_u32_e32 v62, s11, v60
	v_add_nc_u32_e32 v64, s11, v62
	s_clause 0x4
	global_load_b128 v[140:143], v54, s[4:5] scale_offset
	global_load_b128 v[144:147], v56, s[4:5] scale_offset
	global_load_b128 v[148:151], v58, s[4:5] scale_offset
	global_load_b128 v[152:155], v60, s[4:5] scale_offset
	global_load_b128 v[156:159], v62, s[4:5] scale_offset
	v_add_nc_u32_e32 v66, s11, v64
	s_delay_alu instid0(VALU_DEP_1) | instskip(NEXT) | instid1(VALU_DEP_1)
	v_add_nc_u32_e32 v68, s11, v66
	v_add_nc_u32_e32 v70, s11, v68
	s_delay_alu instid0(VALU_DEP_1) | instskip(NEXT) | instid1(VALU_DEP_1)
	v_add_nc_u32_e32 v72, s11, v70
	v_add_nc_u32_e32 v74, s11, v72
	s_delay_alu instid0(VALU_DEP_1)
	v_add_nc_u32_e32 v76, s11, v74
	s_clause 0x3
	global_load_b128 v[160:163], v64, s[4:5] scale_offset
	global_load_b128 v[164:167], v66, s[4:5] scale_offset
	;; [unrolled: 1-line block ×4, first 2 shown]
	v_add_nc_u32_e32 v78, s11, v76
	s_delay_alu instid0(VALU_DEP_1) | instskip(NEXT) | instid1(VALU_DEP_1)
	v_add_nc_u32_e32 v80, s11, v78
	v_add_nc_u32_e32 v82, s11, v80
	s_delay_alu instid0(VALU_DEP_1)
	v_add_nc_u32_e32 v84, s11, v82
	s_clause 0x3
	global_load_b128 v[176:179], v72, s[4:5] scale_offset
	global_load_b128 v[180:183], v74, s[4:5] scale_offset
	;; [unrolled: 1-line block ×4, first 2 shown]
	v_add_nc_u32_e32 v86, s11, v84
	s_delay_alu instid0(VALU_DEP_1) | instskip(NEXT) | instid1(VALU_DEP_1)
	v_add_nc_u32_e32 v88, s11, v86
	v_add_nc_u32_e32 v90, s11, v88
	s_delay_alu instid0(VALU_DEP_1) | instskip(NEXT) | instid1(VALU_DEP_1)
	v_add_nc_u32_e32 v92, s11, v90
	;; [unrolled: 3-line block ×3, first 2 shown]
	v_add_nc_u32_e32 v98, s11, v96
	s_wait_loadcnt 0x1b
	scratch_store_b128 off, v[2:5], off offset:32
	s_wait_loadcnt 0x1a
	scratch_store_b128 off, v[6:9], off offset:48
	s_wait_loadcnt 0x19
	scratch_store_b128 off, v[10:13], off offset:64
	s_clause 0x1
	global_load_b128 v[2:5], v80, s[4:5] scale_offset
	global_load_b128 v[6:9], v82, s[4:5] scale_offset
	s_wait_loadcnt 0x1a
	scratch_store_b128 off, v[16:19], off
	s_wait_loadcnt 0x19
	scratch_store_b128 off, v[20:23], off offset:16
	s_clause 0x1
	global_load_b128 v[10:13], v84, s[4:5] scale_offset
	global_load_b128 v[16:19], v86, s[4:5] scale_offset
	s_wait_loadcnt 0x1a
	scratch_store_b128 off, v[100:103], off offset:80
	s_wait_xcnt 0x0
	v_add_nc_u32_e32 v100, s11, v98
	s_wait_loadcnt 0x19
	scratch_store_b128 off, v[104:107], off offset:96
	s_wait_loadcnt 0x18
	scratch_store_b128 off, v[108:111], off offset:112
	s_clause 0x1
	global_load_b128 v[20:23], v88, s[4:5] scale_offset
	global_load_b128 v[192:195], v90, s[4:5] scale_offset
	s_wait_loadcnt 0x19
	scratch_store_b128 off, v[112:115], off offset:128
	s_wait_loadcnt 0x18
	scratch_store_b128 off, v[116:119], off offset:144
	v_add_nc_u32_e32 v102, s11, v100
	s_clause 0x1
	global_load_b128 v[110:113], v92, s[4:5] scale_offset
	global_load_b128 v[114:117], v94, s[4:5] scale_offset
	v_add_nc_u32_e32 v104, s11, v102
	s_wait_loadcnt 0x19
	scratch_store_b128 off, v[120:123], off offset:160
	s_wait_loadcnt 0x18
	scratch_store_b128 off, v[124:127], off offset:176
	;; [unrolled: 2-line block ×3, first 2 shown]
	v_add_nc_u32_e32 v106, s11, v104
	s_clause 0x1
	global_load_b128 v[118:121], v96, s[4:5] scale_offset
	global_load_b128 v[122:125], v98, s[4:5] scale_offset
	s_wait_loadcnt 0x18
	scratch_store_b128 off, v[132:135], off offset:208
	s_wait_loadcnt 0x17
	scratch_store_b128 off, v[136:139], off offset:224
	v_add_nc_u32_e32 v108, s11, v106
	s_clause 0x1
	global_load_b128 v[126:129], v100, s[4:5] scale_offset
	global_load_b128 v[130:133], v102, s[4:5] scale_offset
	s_mov_b32 s11, s67
	s_wait_loadcnt 0x18
	scratch_store_b128 off, v[140:143], off offset:240
	s_wait_loadcnt 0x17
	scratch_store_b128 off, v[144:147], off offset:256
	s_clause 0x2
	global_load_b128 v[134:137], v104, s[4:5] scale_offset
	global_load_b128 v[138:141], v106, s[4:5] scale_offset
	global_load_b128 v[142:145], v108, s[4:5] scale_offset
	s_wait_loadcnt 0x19
	scratch_store_b128 off, v[148:151], off offset:272
	s_wait_loadcnt 0x18
	scratch_store_b128 off, v[152:155], off offset:288
	s_wait_loadcnt 0x17
	scratch_store_b128 off, v[156:159], off offset:304
	s_wait_loadcnt 0x16
	scratch_store_b128 off, v[160:163], off offset:320
	s_wait_loadcnt 0x15
	scratch_store_b128 off, v[164:167], off offset:336
	s_wait_loadcnt 0x14
	scratch_store_b128 off, v[168:171], off offset:352
	s_wait_loadcnt 0x13
	scratch_store_b128 off, v[172:175], off offset:368
	s_wait_loadcnt 0x12
	scratch_store_b128 off, v[176:179], off offset:384
	s_wait_loadcnt 0x11
	scratch_store_b128 off, v[180:183], off offset:400
	s_wait_loadcnt 0x10
	scratch_store_b128 off, v[184:187], off offset:416
	s_wait_loadcnt 0xf
	scratch_store_b128 off, v[188:191], off offset:432
	s_wait_loadcnt 0xe
	scratch_store_b128 off, v[2:5], off offset:448
	s_wait_loadcnt 0xd
	scratch_store_b128 off, v[6:9], off offset:464
	s_wait_loadcnt 0xc
	scratch_store_b128 off, v[10:13], off offset:480
	s_wait_loadcnt 0xb
	scratch_store_b128 off, v[16:19], off offset:496
	s_wait_loadcnt 0xa
	scratch_store_b128 off, v[20:23], off offset:512
	s_wait_loadcnt 0x9
	scratch_store_b128 off, v[192:195], off offset:528
	s_wait_loadcnt 0x8
	scratch_store_b128 off, v[110:113], off offset:544
	s_wait_loadcnt 0x7
	scratch_store_b128 off, v[114:117], off offset:560
	s_wait_loadcnt 0x6
	scratch_store_b128 off, v[118:121], off offset:576
	s_wait_loadcnt 0x5
	scratch_store_b128 off, v[122:125], off offset:592
	s_wait_loadcnt 0x4
	scratch_store_b128 off, v[126:129], off offset:608
	s_wait_loadcnt 0x3
	scratch_store_b128 off, v[130:133], off offset:624
	s_wait_loadcnt 0x2
	scratch_store_b128 off, v[134:137], off offset:640
	s_wait_loadcnt 0x1
	scratch_store_b128 off, v[138:141], off offset:656
	s_wait_loadcnt 0x0
	scratch_store_b128 off, v[142:145], off offset:672
	s_cbranch_scc1 .LBB42_184
; %bb.4:
	v_cmp_eq_u32_e64 s2, 0, v1
	s_wait_xcnt 0x0
	s_and_saveexec_b32 s3, s2
; %bb.5:
	v_mov_b32_e32 v2, 0
	ds_store_b32 v2, v2 offset:1376
; %bb.6:
	s_or_b32 exec_lo, exec_lo, s3
	s_wait_storecnt_dscnt 0x0
	s_barrier_signal -1
	s_barrier_wait -1
	scratch_load_b128 v[2:5], v1, off scale_offset
	s_wait_loadcnt 0x0
	v_cmp_eq_f64_e32 vcc_lo, 0, v[2:3]
	v_cmp_eq_f64_e64 s3, 0, v[4:5]
	s_and_b32 s3, vcc_lo, s3
	s_delay_alu instid0(SALU_CYCLE_1)
	s_and_saveexec_b32 s56, s3
	s_cbranch_execz .LBB42_10
; %bb.7:
	v_mov_b32_e32 v2, 0
	s_mov_b32 s57, 0
	ds_load_b32 v3, v2 offset:1376
	s_wait_dscnt 0x0
	v_readfirstlane_b32 s3, v3
	v_add_nc_u32_e32 v3, 1, v1
	s_cmp_eq_u32 s3, 0
	s_delay_alu instid0(VALU_DEP_1) | instskip(SKIP_1) | instid1(SALU_CYCLE_1)
	v_cmp_gt_i32_e32 vcc_lo, s3, v3
	s_cselect_b32 s58, -1, 0
	s_or_b32 s58, s58, vcc_lo
	s_delay_alu instid0(SALU_CYCLE_1)
	s_and_b32 exec_lo, exec_lo, s58
	s_cbranch_execz .LBB42_10
; %bb.8:
	v_mov_b32_e32 v4, s3
.LBB42_9:                               ; =>This Inner Loop Header: Depth=1
	ds_cmpstore_rtn_b32 v4, v2, v3, v4 offset:1376
	s_wait_dscnt 0x0
	v_cmp_ne_u32_e32 vcc_lo, 0, v4
	v_cmp_le_i32_e64 s3, v4, v3
	s_and_b32 s3, vcc_lo, s3
	s_delay_alu instid0(SALU_CYCLE_1) | instskip(NEXT) | instid1(SALU_CYCLE_1)
	s_and_b32 s3, exec_lo, s3
	s_or_b32 s57, s3, s57
	s_delay_alu instid0(SALU_CYCLE_1)
	s_and_not1_b32 exec_lo, exec_lo, s57
	s_cbranch_execnz .LBB42_9
.LBB42_10:
	s_or_b32 exec_lo, exec_lo, s56
	v_mov_b32_e32 v2, 0
	s_barrier_signal -1
	s_barrier_wait -1
	ds_load_b32 v3, v2 offset:1376
	s_and_saveexec_b32 s3, s2
	s_cbranch_execz .LBB42_12
; %bb.11:
	s_lshl_b64 s[56:57], s[18:19], 2
	s_delay_alu instid0(SALU_CYCLE_1)
	s_add_nc_u64 s[56:57], s[6:7], s[56:57]
	s_wait_dscnt 0x0
	global_store_b32 v2, v3, s[56:57]
.LBB42_12:
	s_wait_xcnt 0x0
	s_or_b32 exec_lo, exec_lo, s3
	s_wait_dscnt 0x0
	v_cmp_ne_u32_e32 vcc_lo, 0, v3
	s_mov_b32 s3, 0
	s_cbranch_vccnz .LBB42_184
; %bb.13:
	v_lshl_add_u32 v15, v1, 4, 0
                                        ; implicit-def: $vgpr6_vgpr7
                                        ; implicit-def: $vgpr10_vgpr11
	scratch_load_b128 v[2:5], v15, off
	s_wait_loadcnt 0x0
	v_cmp_ngt_f64_e64 s3, |v[2:3]|, |v[4:5]|
	s_wait_xcnt 0x0
	s_and_saveexec_b32 s56, s3
	s_delay_alu instid0(SALU_CYCLE_1)
	s_xor_b32 s3, exec_lo, s56
	s_cbranch_execz .LBB42_15
; %bb.14:
	v_div_scale_f64 v[6:7], null, v[4:5], v[4:5], v[2:3]
	v_div_scale_f64 v[12:13], vcc_lo, v[2:3], v[4:5], v[2:3]
	s_delay_alu instid0(VALU_DEP_2) | instskip(SKIP_1) | instid1(TRANS32_DEP_1)
	v_rcp_f64_e32 v[8:9], v[6:7]
	v_nop
	v_fma_f64 v[10:11], -v[6:7], v[8:9], 1.0
	s_delay_alu instid0(VALU_DEP_1) | instskip(NEXT) | instid1(VALU_DEP_1)
	v_fmac_f64_e32 v[8:9], v[8:9], v[10:11]
	v_fma_f64 v[10:11], -v[6:7], v[8:9], 1.0
	s_delay_alu instid0(VALU_DEP_1) | instskip(NEXT) | instid1(VALU_DEP_1)
	v_fmac_f64_e32 v[8:9], v[8:9], v[10:11]
	v_mul_f64_e32 v[10:11], v[12:13], v[8:9]
	s_delay_alu instid0(VALU_DEP_1) | instskip(NEXT) | instid1(VALU_DEP_1)
	v_fma_f64 v[6:7], -v[6:7], v[10:11], v[12:13]
	v_div_fmas_f64 v[6:7], v[6:7], v[8:9], v[10:11]
	s_delay_alu instid0(VALU_DEP_1) | instskip(NEXT) | instid1(VALU_DEP_1)
	v_div_fixup_f64 v[6:7], v[6:7], v[4:5], v[2:3]
	v_fmac_f64_e32 v[4:5], v[2:3], v[6:7]
	s_delay_alu instid0(VALU_DEP_1) | instskip(SKIP_1) | instid1(VALU_DEP_2)
	v_div_scale_f64 v[2:3], null, v[4:5], v[4:5], 1.0
	v_div_scale_f64 v[12:13], vcc_lo, 1.0, v[4:5], 1.0
	v_rcp_f64_e32 v[8:9], v[2:3]
	v_nop
	s_delay_alu instid0(TRANS32_DEP_1) | instskip(NEXT) | instid1(VALU_DEP_1)
	v_fma_f64 v[10:11], -v[2:3], v[8:9], 1.0
	v_fmac_f64_e32 v[8:9], v[8:9], v[10:11]
	s_delay_alu instid0(VALU_DEP_1) | instskip(NEXT) | instid1(VALU_DEP_1)
	v_fma_f64 v[10:11], -v[2:3], v[8:9], 1.0
	v_fmac_f64_e32 v[8:9], v[8:9], v[10:11]
	s_delay_alu instid0(VALU_DEP_1) | instskip(NEXT) | instid1(VALU_DEP_1)
	v_mul_f64_e32 v[10:11], v[12:13], v[8:9]
	v_fma_f64 v[2:3], -v[2:3], v[10:11], v[12:13]
	s_delay_alu instid0(VALU_DEP_1) | instskip(NEXT) | instid1(VALU_DEP_1)
	v_div_fmas_f64 v[2:3], v[2:3], v[8:9], v[10:11]
	v_div_fixup_f64 v[8:9], v[2:3], v[4:5], 1.0
                                        ; implicit-def: $vgpr2_vgpr3
	s_delay_alu instid0(VALU_DEP_1) | instskip(SKIP_1) | instid1(VALU_DEP_2)
	v_mul_f64_e32 v[6:7], v[6:7], v[8:9]
	v_xor_b32_e32 v9, 0x80000000, v9
	v_xor_b32_e32 v11, 0x80000000, v7
	s_delay_alu instid0(VALU_DEP_3)
	v_mov_b32_e32 v10, v6
.LBB42_15:
	s_and_not1_saveexec_b32 s3, s3
	s_cbranch_execz .LBB42_17
; %bb.16:
	v_div_scale_f64 v[6:7], null, v[2:3], v[2:3], v[4:5]
	v_div_scale_f64 v[12:13], vcc_lo, v[4:5], v[2:3], v[4:5]
	s_delay_alu instid0(VALU_DEP_2) | instskip(SKIP_1) | instid1(TRANS32_DEP_1)
	v_rcp_f64_e32 v[8:9], v[6:7]
	v_nop
	v_fma_f64 v[10:11], -v[6:7], v[8:9], 1.0
	s_delay_alu instid0(VALU_DEP_1) | instskip(NEXT) | instid1(VALU_DEP_1)
	v_fmac_f64_e32 v[8:9], v[8:9], v[10:11]
	v_fma_f64 v[10:11], -v[6:7], v[8:9], 1.0
	s_delay_alu instid0(VALU_DEP_1) | instskip(NEXT) | instid1(VALU_DEP_1)
	v_fmac_f64_e32 v[8:9], v[8:9], v[10:11]
	v_mul_f64_e32 v[10:11], v[12:13], v[8:9]
	s_delay_alu instid0(VALU_DEP_1) | instskip(NEXT) | instid1(VALU_DEP_1)
	v_fma_f64 v[6:7], -v[6:7], v[10:11], v[12:13]
	v_div_fmas_f64 v[6:7], v[6:7], v[8:9], v[10:11]
	s_delay_alu instid0(VALU_DEP_1) | instskip(NEXT) | instid1(VALU_DEP_1)
	v_div_fixup_f64 v[8:9], v[6:7], v[2:3], v[4:5]
	v_fmac_f64_e32 v[2:3], v[4:5], v[8:9]
	s_delay_alu instid0(VALU_DEP_1) | instskip(NEXT) | instid1(VALU_DEP_1)
	v_div_scale_f64 v[4:5], null, v[2:3], v[2:3], 1.0
	v_rcp_f64_e32 v[6:7], v[4:5]
	v_nop
	s_delay_alu instid0(TRANS32_DEP_1) | instskip(NEXT) | instid1(VALU_DEP_1)
	v_fma_f64 v[10:11], -v[4:5], v[6:7], 1.0
	v_fmac_f64_e32 v[6:7], v[6:7], v[10:11]
	s_delay_alu instid0(VALU_DEP_1) | instskip(NEXT) | instid1(VALU_DEP_1)
	v_fma_f64 v[10:11], -v[4:5], v[6:7], 1.0
	v_fmac_f64_e32 v[6:7], v[6:7], v[10:11]
	v_div_scale_f64 v[10:11], vcc_lo, 1.0, v[2:3], 1.0
	s_delay_alu instid0(VALU_DEP_1) | instskip(NEXT) | instid1(VALU_DEP_1)
	v_mul_f64_e32 v[12:13], v[10:11], v[6:7]
	v_fma_f64 v[4:5], -v[4:5], v[12:13], v[10:11]
	s_delay_alu instid0(VALU_DEP_1) | instskip(NEXT) | instid1(VALU_DEP_1)
	v_div_fmas_f64 v[4:5], v[4:5], v[6:7], v[12:13]
	v_div_fixup_f64 v[6:7], v[4:5], v[2:3], 1.0
	s_delay_alu instid0(VALU_DEP_1)
	v_mul_f64_e64 v[8:9], v[8:9], -v[6:7]
	v_xor_b32_e32 v11, 0x80000000, v7
	v_mov_b32_e32 v10, v6
.LBB42_17:
	s_or_b32 exec_lo, exec_lo, s3
	s_clause 0x1
	scratch_store_b128 v15, v[6:9], off
	scratch_load_b128 v[2:5], off, s43
	v_xor_b32_e32 v13, 0x80000000, v9
	v_mov_b32_e32 v12, v8
	s_wait_xcnt 0x1
	v_add_nc_u32_e32 v6, 0x2b0, v14
	ds_store_b128 v14, v[10:13]
	s_wait_loadcnt 0x0
	ds_store_b128 v14, v[2:5] offset:688
	s_wait_storecnt_dscnt 0x0
	s_barrier_signal -1
	s_barrier_wait -1
	s_wait_xcnt 0x0
	s_and_saveexec_b32 s3, s2
	s_cbranch_execz .LBB42_19
; %bb.18:
	scratch_load_b128 v[2:5], v15, off
	ds_load_b128 v[8:11], v6
	v_mov_b32_e32 v7, 0
	ds_load_b128 v[16:19], v7 offset:16
	s_wait_loadcnt_dscnt 0x1
	v_mul_f64_e32 v[12:13], v[8:9], v[4:5]
	v_mul_f64_e32 v[4:5], v[10:11], v[4:5]
	s_delay_alu instid0(VALU_DEP_2) | instskip(NEXT) | instid1(VALU_DEP_2)
	v_fmac_f64_e32 v[12:13], v[10:11], v[2:3]
	v_fma_f64 v[2:3], v[8:9], v[2:3], -v[4:5]
	s_delay_alu instid0(VALU_DEP_2) | instskip(NEXT) | instid1(VALU_DEP_2)
	v_add_f64_e32 v[8:9], 0, v[12:13]
	v_add_f64_e32 v[2:3], 0, v[2:3]
	s_wait_dscnt 0x0
	s_delay_alu instid0(VALU_DEP_2) | instskip(NEXT) | instid1(VALU_DEP_2)
	v_mul_f64_e32 v[10:11], v[8:9], v[18:19]
	v_mul_f64_e32 v[4:5], v[2:3], v[18:19]
	s_delay_alu instid0(VALU_DEP_2) | instskip(NEXT) | instid1(VALU_DEP_2)
	v_fma_f64 v[2:3], v[2:3], v[16:17], -v[10:11]
	v_fmac_f64_e32 v[4:5], v[8:9], v[16:17]
	scratch_store_b128 off, v[2:5], off offset:16
.LBB42_19:
	s_wait_xcnt 0x0
	s_or_b32 exec_lo, exec_lo, s3
	s_wait_storecnt 0x0
	s_barrier_signal -1
	s_barrier_wait -1
	scratch_load_b128 v[2:5], off, s38
	s_mov_b32 s3, exec_lo
	s_wait_loadcnt 0x0
	ds_store_b128 v6, v[2:5]
	s_wait_dscnt 0x0
	s_barrier_signal -1
	s_barrier_wait -1
	v_cmpx_gt_u32_e32 2, v1
	s_cbranch_execz .LBB42_23
; %bb.20:
	scratch_load_b128 v[2:5], v15, off
	ds_load_b128 v[8:11], v6
	s_wait_loadcnt_dscnt 0x0
	v_mul_f64_e32 v[12:13], v[10:11], v[4:5]
	v_mul_f64_e32 v[16:17], v[8:9], v[4:5]
	s_delay_alu instid0(VALU_DEP_2) | instskip(NEXT) | instid1(VALU_DEP_2)
	v_fma_f64 v[4:5], v[8:9], v[2:3], -v[12:13]
	v_fmac_f64_e32 v[16:17], v[10:11], v[2:3]
	s_delay_alu instid0(VALU_DEP_2) | instskip(NEXT) | instid1(VALU_DEP_2)
	v_add_f64_e32 v[4:5], 0, v[4:5]
	v_add_f64_e32 v[2:3], 0, v[16:17]
	s_and_saveexec_b32 s56, s2
	s_cbranch_execz .LBB42_22
; %bb.21:
	scratch_load_b128 v[8:11], off, off offset:16
	v_mov_b32_e32 v7, 0
	ds_load_b128 v[16:19], v7 offset:704
	s_wait_loadcnt_dscnt 0x0
	v_mul_f64_e32 v[12:13], v[16:17], v[10:11]
	v_mul_f64_e32 v[10:11], v[18:19], v[10:11]
	s_delay_alu instid0(VALU_DEP_2) | instskip(NEXT) | instid1(VALU_DEP_2)
	v_fmac_f64_e32 v[12:13], v[18:19], v[8:9]
	v_fma_f64 v[8:9], v[16:17], v[8:9], -v[10:11]
	s_delay_alu instid0(VALU_DEP_2) | instskip(NEXT) | instid1(VALU_DEP_2)
	v_add_f64_e32 v[2:3], v[2:3], v[12:13]
	v_add_f64_e32 v[4:5], v[4:5], v[8:9]
.LBB42_22:
	s_or_b32 exec_lo, exec_lo, s56
	v_mov_b32_e32 v7, 0
	ds_load_b128 v[8:11], v7 offset:32
	s_wait_dscnt 0x0
	v_mul_f64_e32 v[16:17], v[2:3], v[10:11]
	v_mul_f64_e32 v[12:13], v[4:5], v[10:11]
	s_delay_alu instid0(VALU_DEP_2) | instskip(NEXT) | instid1(VALU_DEP_2)
	v_fma_f64 v[10:11], v[4:5], v[8:9], -v[16:17]
	v_fmac_f64_e32 v[12:13], v[2:3], v[8:9]
	scratch_store_b128 off, v[10:13], off offset:32
.LBB42_23:
	s_wait_xcnt 0x0
	s_or_b32 exec_lo, exec_lo, s3
	s_wait_storecnt 0x0
	s_barrier_signal -1
	s_barrier_wait -1
	scratch_load_b128 v[2:5], off, s41
	v_add_nc_u32_e32 v7, -1, v1
	s_mov_b32 s2, exec_lo
	s_wait_loadcnt 0x0
	ds_store_b128 v6, v[2:5]
	s_wait_dscnt 0x0
	s_barrier_signal -1
	s_barrier_wait -1
	v_cmpx_gt_u32_e32 3, v1
	s_cbranch_execz .LBB42_27
; %bb.24:
	v_dual_mov_b32 v10, v14 :: v_dual_add_nc_u32 v8, -1, v1
	v_mov_b64_e32 v[2:3], 0
	v_mov_b64_e32 v[4:5], 0
	v_add_nc_u32_e32 v9, 0x2b0, v14
	s_delay_alu instid0(VALU_DEP_4)
	v_or_b32_e32 v10, 8, v10
	s_mov_b32 s3, 0
.LBB42_25:                              ; =>This Inner Loop Header: Depth=1
	scratch_load_b128 v[16:19], v10, off offset:-8
	ds_load_b128 v[20:23], v9
	v_dual_add_nc_u32 v8, 1, v8 :: v_dual_add_nc_u32 v9, 16, v9
	s_wait_xcnt 0x0
	v_add_nc_u32_e32 v10, 16, v10
	s_delay_alu instid0(VALU_DEP_2) | instskip(SKIP_4) | instid1(VALU_DEP_2)
	v_cmp_lt_u32_e32 vcc_lo, 1, v8
	s_or_b32 s3, vcc_lo, s3
	s_wait_loadcnt_dscnt 0x0
	v_mul_f64_e32 v[12:13], v[22:23], v[18:19]
	v_mul_f64_e32 v[18:19], v[20:21], v[18:19]
	v_fma_f64 v[12:13], v[20:21], v[16:17], -v[12:13]
	s_delay_alu instid0(VALU_DEP_2) | instskip(NEXT) | instid1(VALU_DEP_2)
	v_fmac_f64_e32 v[18:19], v[22:23], v[16:17]
	v_add_f64_e32 v[4:5], v[4:5], v[12:13]
	s_delay_alu instid0(VALU_DEP_2)
	v_add_f64_e32 v[2:3], v[2:3], v[18:19]
	s_and_not1_b32 exec_lo, exec_lo, s3
	s_cbranch_execnz .LBB42_25
; %bb.26:
	s_or_b32 exec_lo, exec_lo, s3
	v_mov_b32_e32 v8, 0
	ds_load_b128 v[8:11], v8 offset:48
	s_wait_dscnt 0x0
	v_mul_f64_e32 v[16:17], v[2:3], v[10:11]
	v_mul_f64_e32 v[12:13], v[4:5], v[10:11]
	s_delay_alu instid0(VALU_DEP_2) | instskip(NEXT) | instid1(VALU_DEP_2)
	v_fma_f64 v[10:11], v[4:5], v[8:9], -v[16:17]
	v_fmac_f64_e32 v[12:13], v[2:3], v[8:9]
	scratch_store_b128 off, v[10:13], off offset:48
.LBB42_27:
	s_wait_xcnt 0x0
	s_or_b32 exec_lo, exec_lo, s2
	s_wait_storecnt 0x0
	s_barrier_signal -1
	s_barrier_wait -1
	scratch_load_b128 v[2:5], off, s42
	s_mov_b32 s2, exec_lo
	s_wait_loadcnt 0x0
	ds_store_b128 v6, v[2:5]
	s_wait_dscnt 0x0
	s_barrier_signal -1
	s_barrier_wait -1
	v_cmpx_gt_u32_e32 4, v1
	s_cbranch_execz .LBB42_31
; %bb.28:
	v_dual_mov_b32 v10, v14 :: v_dual_add_nc_u32 v8, -1, v1
	v_mov_b64_e32 v[2:3], 0
	v_mov_b64_e32 v[4:5], 0
	v_add_nc_u32_e32 v9, 0x2b0, v14
	s_delay_alu instid0(VALU_DEP_4)
	v_or_b32_e32 v10, 8, v10
	s_mov_b32 s3, 0
.LBB42_29:                              ; =>This Inner Loop Header: Depth=1
	scratch_load_b128 v[16:19], v10, off offset:-8
	ds_load_b128 v[20:23], v9
	v_dual_add_nc_u32 v8, 1, v8 :: v_dual_add_nc_u32 v9, 16, v9
	s_wait_xcnt 0x0
	v_add_nc_u32_e32 v10, 16, v10
	s_delay_alu instid0(VALU_DEP_2) | instskip(SKIP_4) | instid1(VALU_DEP_2)
	v_cmp_lt_u32_e32 vcc_lo, 2, v8
	s_or_b32 s3, vcc_lo, s3
	s_wait_loadcnt_dscnt 0x0
	v_mul_f64_e32 v[12:13], v[22:23], v[18:19]
	v_mul_f64_e32 v[18:19], v[20:21], v[18:19]
	v_fma_f64 v[12:13], v[20:21], v[16:17], -v[12:13]
	s_delay_alu instid0(VALU_DEP_2) | instskip(NEXT) | instid1(VALU_DEP_2)
	v_fmac_f64_e32 v[18:19], v[22:23], v[16:17]
	v_add_f64_e32 v[4:5], v[4:5], v[12:13]
	s_delay_alu instid0(VALU_DEP_2)
	v_add_f64_e32 v[2:3], v[2:3], v[18:19]
	s_and_not1_b32 exec_lo, exec_lo, s3
	s_cbranch_execnz .LBB42_29
; %bb.30:
	s_or_b32 exec_lo, exec_lo, s3
	v_mov_b32_e32 v8, 0
	ds_load_b128 v[8:11], v8 offset:64
	s_wait_dscnt 0x0
	v_mul_f64_e32 v[16:17], v[2:3], v[10:11]
	v_mul_f64_e32 v[12:13], v[4:5], v[10:11]
	s_delay_alu instid0(VALU_DEP_2) | instskip(NEXT) | instid1(VALU_DEP_2)
	v_fma_f64 v[10:11], v[4:5], v[8:9], -v[16:17]
	v_fmac_f64_e32 v[12:13], v[2:3], v[8:9]
	scratch_store_b128 off, v[10:13], off offset:64
.LBB42_31:
	s_wait_xcnt 0x0
	s_or_b32 exec_lo, exec_lo, s2
	s_wait_storecnt 0x0
	s_barrier_signal -1
	s_barrier_wait -1
	scratch_load_b128 v[2:5], off, s46
	;; [unrolled: 54-line block ×19, first 2 shown]
	s_mov_b32 s2, exec_lo
	s_wait_loadcnt 0x0
	ds_store_b128 v6, v[2:5]
	s_wait_dscnt 0x0
	s_barrier_signal -1
	s_barrier_wait -1
	v_cmpx_gt_u32_e32 22, v1
	s_cbranch_execz .LBB42_103
; %bb.100:
	v_dual_mov_b32 v10, v14 :: v_dual_add_nc_u32 v8, -1, v1
	v_mov_b64_e32 v[2:3], 0
	v_mov_b64_e32 v[4:5], 0
	v_add_nc_u32_e32 v9, 0x2b0, v14
	s_delay_alu instid0(VALU_DEP_4)
	v_or_b32_e32 v10, 8, v10
	s_mov_b32 s3, 0
.LBB42_101:                             ; =>This Inner Loop Header: Depth=1
	scratch_load_b128 v[16:19], v10, off offset:-8
	ds_load_b128 v[20:23], v9
	v_dual_add_nc_u32 v8, 1, v8 :: v_dual_add_nc_u32 v9, 16, v9
	s_wait_xcnt 0x0
	v_add_nc_u32_e32 v10, 16, v10
	s_delay_alu instid0(VALU_DEP_2) | instskip(SKIP_4) | instid1(VALU_DEP_2)
	v_cmp_lt_u32_e32 vcc_lo, 20, v8
	s_or_b32 s3, vcc_lo, s3
	s_wait_loadcnt_dscnt 0x0
	v_mul_f64_e32 v[12:13], v[22:23], v[18:19]
	v_mul_f64_e32 v[18:19], v[20:21], v[18:19]
	v_fma_f64 v[12:13], v[20:21], v[16:17], -v[12:13]
	s_delay_alu instid0(VALU_DEP_2) | instskip(NEXT) | instid1(VALU_DEP_2)
	v_fmac_f64_e32 v[18:19], v[22:23], v[16:17]
	v_add_f64_e32 v[4:5], v[4:5], v[12:13]
	s_delay_alu instid0(VALU_DEP_2)
	v_add_f64_e32 v[2:3], v[2:3], v[18:19]
	s_and_not1_b32 exec_lo, exec_lo, s3
	s_cbranch_execnz .LBB42_101
; %bb.102:
	s_or_b32 exec_lo, exec_lo, s3
	v_mov_b32_e32 v8, 0
	ds_load_b128 v[8:11], v8 offset:352
	s_wait_dscnt 0x0
	v_mul_f64_e32 v[16:17], v[2:3], v[10:11]
	v_mul_f64_e32 v[12:13], v[4:5], v[10:11]
	s_delay_alu instid0(VALU_DEP_2) | instskip(NEXT) | instid1(VALU_DEP_2)
	v_fma_f64 v[10:11], v[4:5], v[8:9], -v[16:17]
	v_fmac_f64_e32 v[12:13], v[2:3], v[8:9]
	scratch_store_b128 off, v[10:13], off offset:352
.LBB42_103:
	s_wait_xcnt 0x0
	s_or_b32 exec_lo, exec_lo, s2
	s_wait_storecnt 0x0
	s_barrier_signal -1
	s_barrier_wait -1
	scratch_load_b128 v[2:5], off, s37
	s_mov_b32 s2, exec_lo
	s_wait_loadcnt 0x0
	ds_store_b128 v6, v[2:5]
	s_wait_dscnt 0x0
	s_barrier_signal -1
	s_barrier_wait -1
	v_cmpx_gt_u32_e32 23, v1
	s_cbranch_execz .LBB42_107
; %bb.104:
	v_dual_mov_b32 v10, v14 :: v_dual_add_nc_u32 v8, -1, v1
	v_mov_b64_e32 v[2:3], 0
	v_mov_b64_e32 v[4:5], 0
	v_add_nc_u32_e32 v9, 0x2b0, v14
	s_delay_alu instid0(VALU_DEP_4)
	v_or_b32_e32 v10, 8, v10
	s_mov_b32 s3, 0
.LBB42_105:                             ; =>This Inner Loop Header: Depth=1
	scratch_load_b128 v[16:19], v10, off offset:-8
	ds_load_b128 v[20:23], v9
	v_dual_add_nc_u32 v8, 1, v8 :: v_dual_add_nc_u32 v9, 16, v9
	s_wait_xcnt 0x0
	v_add_nc_u32_e32 v10, 16, v10
	s_delay_alu instid0(VALU_DEP_2) | instskip(SKIP_4) | instid1(VALU_DEP_2)
	v_cmp_lt_u32_e32 vcc_lo, 21, v8
	s_or_b32 s3, vcc_lo, s3
	s_wait_loadcnt_dscnt 0x0
	v_mul_f64_e32 v[12:13], v[22:23], v[18:19]
	v_mul_f64_e32 v[18:19], v[20:21], v[18:19]
	v_fma_f64 v[12:13], v[20:21], v[16:17], -v[12:13]
	s_delay_alu instid0(VALU_DEP_2) | instskip(NEXT) | instid1(VALU_DEP_2)
	v_fmac_f64_e32 v[18:19], v[22:23], v[16:17]
	v_add_f64_e32 v[4:5], v[4:5], v[12:13]
	s_delay_alu instid0(VALU_DEP_2)
	v_add_f64_e32 v[2:3], v[2:3], v[18:19]
	s_and_not1_b32 exec_lo, exec_lo, s3
	s_cbranch_execnz .LBB42_105
; %bb.106:
	s_or_b32 exec_lo, exec_lo, s3
	v_mov_b32_e32 v8, 0
	ds_load_b128 v[8:11], v8 offset:368
	s_wait_dscnt 0x0
	v_mul_f64_e32 v[16:17], v[2:3], v[10:11]
	v_mul_f64_e32 v[12:13], v[4:5], v[10:11]
	s_delay_alu instid0(VALU_DEP_2) | instskip(NEXT) | instid1(VALU_DEP_2)
	v_fma_f64 v[10:11], v[4:5], v[8:9], -v[16:17]
	v_fmac_f64_e32 v[12:13], v[2:3], v[8:9]
	scratch_store_b128 off, v[10:13], off offset:368
.LBB42_107:
	s_wait_xcnt 0x0
	s_or_b32 exec_lo, exec_lo, s2
	s_wait_storecnt 0x0
	s_barrier_signal -1
	s_barrier_wait -1
	scratch_load_b128 v[2:5], off, s40
	;; [unrolled: 54-line block ×20, first 2 shown]
	s_mov_b32 s2, exec_lo
	s_wait_loadcnt 0x0
	ds_store_b128 v6, v[2:5]
	s_wait_dscnt 0x0
	s_barrier_signal -1
	s_barrier_wait -1
	v_cmpx_ne_u32_e32 42, v1
	s_cbranch_execz .LBB42_183
; %bb.180:
	v_mov_b32_e32 v8, v14
	v_mov_b64_e32 v[2:3], 0
	v_mov_b64_e32 v[4:5], 0
	s_mov_b32 s3, 0
	s_delay_alu instid0(VALU_DEP_3)
	v_or_b32_e32 v8, 8, v8
.LBB42_181:                             ; =>This Inner Loop Header: Depth=1
	scratch_load_b128 v[10:13], v8, off offset:-8
	ds_load_b128 v[14:17], v6
	v_dual_add_nc_u32 v7, 1, v7 :: v_dual_add_nc_u32 v6, 16, v6
	s_wait_xcnt 0x0
	v_add_nc_u32_e32 v8, 16, v8
	s_delay_alu instid0(VALU_DEP_2) | instskip(SKIP_4) | instid1(VALU_DEP_2)
	v_cmp_lt_u32_e32 vcc_lo, 40, v7
	s_or_b32 s3, vcc_lo, s3
	s_wait_loadcnt_dscnt 0x0
	v_mul_f64_e32 v[18:19], v[16:17], v[12:13]
	v_mul_f64_e32 v[12:13], v[14:15], v[12:13]
	v_fma_f64 v[14:15], v[14:15], v[10:11], -v[18:19]
	s_delay_alu instid0(VALU_DEP_2) | instskip(NEXT) | instid1(VALU_DEP_2)
	v_fmac_f64_e32 v[12:13], v[16:17], v[10:11]
	v_add_f64_e32 v[4:5], v[4:5], v[14:15]
	s_delay_alu instid0(VALU_DEP_2)
	v_add_f64_e32 v[2:3], v[2:3], v[12:13]
	s_and_not1_b32 exec_lo, exec_lo, s3
	s_cbranch_execnz .LBB42_181
; %bb.182:
	s_or_b32 exec_lo, exec_lo, s3
	v_mov_b32_e32 v6, 0
	ds_load_b128 v[6:9], v6 offset:672
	s_wait_dscnt 0x0
	v_mul_f64_e32 v[12:13], v[2:3], v[8:9]
	v_mul_f64_e32 v[10:11], v[4:5], v[8:9]
	s_delay_alu instid0(VALU_DEP_2) | instskip(NEXT) | instid1(VALU_DEP_2)
	v_fma_f64 v[8:9], v[4:5], v[6:7], -v[12:13]
	v_fmac_f64_e32 v[10:11], v[2:3], v[6:7]
	scratch_store_b128 off, v[8:11], off offset:672
.LBB42_183:
	s_wait_xcnt 0x0
	s_or_b32 exec_lo, exec_lo, s2
	s_mov_b32 s3, -1
	s_wait_storecnt 0x0
	s_barrier_signal -1
	s_barrier_wait -1
.LBB42_184:
	s_and_b32 vcc_lo, exec_lo, s3
	s_cbranch_vccz .LBB42_186
; %bb.185:
	s_wait_xcnt 0xe
	v_mov_b32_e32 v2, 0
	s_lshl_b64 s[2:3], s[18:19], 2
	s_delay_alu instid0(SALU_CYCLE_1)
	s_add_nc_u64 s[2:3], s[6:7], s[2:3]
	global_load_b32 v2, v2, s[2:3]
	s_wait_loadcnt 0x0
	v_cmp_ne_u32_e32 vcc_lo, 0, v2
	s_cbranch_vccz .LBB42_187
.LBB42_186:
	s_sendmsg sendmsg(MSG_DEALLOC_VGPRS)
	s_endpgm
.LBB42_187:
	s_wait_xcnt 0x9
	v_lshl_add_u32 v110, v1, 4, 0x2b0
	s_wait_xcnt 0x0
	s_mov_b32 s2, exec_lo
	v_cmpx_eq_u32_e32 42, v1
	s_cbranch_execz .LBB42_189
; %bb.188:
	scratch_load_b128 v[2:5], off, s20
	v_mov_b32_e32 v6, 0
	s_delay_alu instid0(VALU_DEP_1)
	v_dual_mov_b32 v7, v6 :: v_dual_mov_b32 v8, v6
	v_mov_b32_e32 v9, v6
	scratch_store_b128 off, v[6:9], off offset:656
	s_wait_loadcnt 0x0
	ds_store_b128 v110, v[2:5]
.LBB42_189:
	s_wait_xcnt 0x0
	s_or_b32 exec_lo, exec_lo, s2
	s_wait_storecnt_dscnt 0x0
	s_barrier_signal -1
	s_barrier_wait -1
	s_clause 0x1
	scratch_load_b128 v[4:7], off, off offset:672
	scratch_load_b128 v[8:11], off, off offset:656
	v_mov_b32_e32 v2, 0
	s_mov_b32 s2, exec_lo
	ds_load_b128 v[12:15], v2 offset:1360
	s_wait_loadcnt_dscnt 0x100
	v_mul_f64_e32 v[16:17], v[14:15], v[6:7]
	v_mul_f64_e32 v[6:7], v[12:13], v[6:7]
	s_delay_alu instid0(VALU_DEP_2) | instskip(NEXT) | instid1(VALU_DEP_2)
	v_fma_f64 v[12:13], v[12:13], v[4:5], -v[16:17]
	v_fmac_f64_e32 v[6:7], v[14:15], v[4:5]
	s_delay_alu instid0(VALU_DEP_2) | instskip(NEXT) | instid1(VALU_DEP_2)
	v_add_f64_e32 v[4:5], 0, v[12:13]
	v_add_f64_e32 v[6:7], 0, v[6:7]
	s_wait_loadcnt 0x0
	s_delay_alu instid0(VALU_DEP_2) | instskip(NEXT) | instid1(VALU_DEP_2)
	v_add_f64_e64 v[4:5], v[8:9], -v[4:5]
	v_add_f64_e64 v[6:7], v[10:11], -v[6:7]
	scratch_store_b128 off, v[4:7], off offset:656
	s_wait_xcnt 0x0
	v_cmpx_lt_u32_e32 40, v1
	s_cbranch_execz .LBB42_191
; %bb.190:
	scratch_load_b128 v[6:9], off, s24
	v_dual_mov_b32 v3, v2 :: v_dual_mov_b32 v4, v2
	v_mov_b32_e32 v5, v2
	scratch_store_b128 off, v[2:5], off offset:640
	s_wait_loadcnt 0x0
	ds_store_b128 v110, v[6:9]
.LBB42_191:
	s_wait_xcnt 0x0
	s_or_b32 exec_lo, exec_lo, s2
	s_wait_storecnt_dscnt 0x0
	s_barrier_signal -1
	s_barrier_wait -1
	s_clause 0x2
	scratch_load_b128 v[4:7], off, off offset:656
	scratch_load_b128 v[8:11], off, off offset:672
	;; [unrolled: 1-line block ×3, first 2 shown]
	ds_load_b128 v[16:19], v2 offset:1344
	ds_load_b128 v[20:23], v2 offset:1360
	s_mov_b32 s2, exec_lo
	s_wait_loadcnt_dscnt 0x201
	v_mul_f64_e32 v[2:3], v[18:19], v[6:7]
	v_mul_f64_e32 v[6:7], v[16:17], v[6:7]
	s_wait_loadcnt_dscnt 0x100
	v_mul_f64_e32 v[112:113], v[20:21], v[10:11]
	v_mul_f64_e32 v[10:11], v[22:23], v[10:11]
	s_delay_alu instid0(VALU_DEP_4) | instskip(NEXT) | instid1(VALU_DEP_4)
	v_fma_f64 v[2:3], v[16:17], v[4:5], -v[2:3]
	v_fmac_f64_e32 v[6:7], v[18:19], v[4:5]
	s_delay_alu instid0(VALU_DEP_4) | instskip(NEXT) | instid1(VALU_DEP_4)
	v_fmac_f64_e32 v[112:113], v[22:23], v[8:9]
	v_fma_f64 v[4:5], v[20:21], v[8:9], -v[10:11]
	s_delay_alu instid0(VALU_DEP_4) | instskip(NEXT) | instid1(VALU_DEP_4)
	v_add_f64_e32 v[2:3], 0, v[2:3]
	v_add_f64_e32 v[6:7], 0, v[6:7]
	s_delay_alu instid0(VALU_DEP_2) | instskip(NEXT) | instid1(VALU_DEP_2)
	v_add_f64_e32 v[2:3], v[2:3], v[4:5]
	v_add_f64_e32 v[4:5], v[6:7], v[112:113]
	s_wait_loadcnt 0x0
	s_delay_alu instid0(VALU_DEP_2) | instskip(NEXT) | instid1(VALU_DEP_2)
	v_add_f64_e64 v[2:3], v[12:13], -v[2:3]
	v_add_f64_e64 v[4:5], v[14:15], -v[4:5]
	scratch_store_b128 off, v[2:5], off offset:640
	s_wait_xcnt 0x0
	v_cmpx_lt_u32_e32 39, v1
	s_cbranch_execz .LBB42_193
; %bb.192:
	scratch_load_b128 v[2:5], off, s8
	v_mov_b32_e32 v6, 0
	s_delay_alu instid0(VALU_DEP_1)
	v_dual_mov_b32 v7, v6 :: v_dual_mov_b32 v8, v6
	v_mov_b32_e32 v9, v6
	scratch_store_b128 off, v[6:9], off offset:624
	s_wait_loadcnt 0x0
	ds_store_b128 v110, v[2:5]
.LBB42_193:
	s_wait_xcnt 0x0
	s_or_b32 exec_lo, exec_lo, s2
	s_wait_storecnt_dscnt 0x0
	s_barrier_signal -1
	s_barrier_wait -1
	s_clause 0x3
	scratch_load_b128 v[4:7], off, off offset:640
	scratch_load_b128 v[8:11], off, off offset:656
	;; [unrolled: 1-line block ×4, first 2 shown]
	v_mov_b32_e32 v2, 0
	ds_load_b128 v[20:23], v2 offset:1328
	ds_load_b128 v[112:115], v2 offset:1344
	s_mov_b32 s2, exec_lo
	s_wait_loadcnt_dscnt 0x301
	v_mul_f64_e32 v[116:117], v[22:23], v[6:7]
	v_mul_f64_e32 v[118:119], v[20:21], v[6:7]
	s_wait_loadcnt_dscnt 0x200
	v_mul_f64_e32 v[120:121], v[112:113], v[10:11]
	v_mul_f64_e32 v[10:11], v[114:115], v[10:11]
	s_delay_alu instid0(VALU_DEP_4) | instskip(NEXT) | instid1(VALU_DEP_4)
	v_fma_f64 v[20:21], v[20:21], v[4:5], -v[116:117]
	v_fmac_f64_e32 v[118:119], v[22:23], v[4:5]
	ds_load_b128 v[4:7], v2 offset:1360
	v_fmac_f64_e32 v[120:121], v[114:115], v[8:9]
	v_fma_f64 v[8:9], v[112:113], v[8:9], -v[10:11]
	s_wait_loadcnt_dscnt 0x100
	v_mul_f64_e32 v[22:23], v[4:5], v[14:15]
	v_mul_f64_e32 v[14:15], v[6:7], v[14:15]
	v_add_f64_e32 v[10:11], 0, v[20:21]
	v_add_f64_e32 v[20:21], 0, v[118:119]
	s_delay_alu instid0(VALU_DEP_4) | instskip(NEXT) | instid1(VALU_DEP_4)
	v_fmac_f64_e32 v[22:23], v[6:7], v[12:13]
	v_fma_f64 v[4:5], v[4:5], v[12:13], -v[14:15]
	s_delay_alu instid0(VALU_DEP_4) | instskip(NEXT) | instid1(VALU_DEP_4)
	v_add_f64_e32 v[6:7], v[10:11], v[8:9]
	v_add_f64_e32 v[8:9], v[20:21], v[120:121]
	s_delay_alu instid0(VALU_DEP_2) | instskip(NEXT) | instid1(VALU_DEP_2)
	v_add_f64_e32 v[4:5], v[6:7], v[4:5]
	v_add_f64_e32 v[6:7], v[8:9], v[22:23]
	s_wait_loadcnt 0x0
	s_delay_alu instid0(VALU_DEP_2) | instskip(NEXT) | instid1(VALU_DEP_2)
	v_add_f64_e64 v[4:5], v[16:17], -v[4:5]
	v_add_f64_e64 v[6:7], v[18:19], -v[6:7]
	scratch_store_b128 off, v[4:7], off offset:624
	s_wait_xcnt 0x0
	v_cmpx_lt_u32_e32 38, v1
	s_cbranch_execz .LBB42_195
; %bb.194:
	scratch_load_b128 v[6:9], off, s10
	v_dual_mov_b32 v3, v2 :: v_dual_mov_b32 v4, v2
	v_mov_b32_e32 v5, v2
	scratch_store_b128 off, v[2:5], off offset:608
	s_wait_loadcnt 0x0
	ds_store_b128 v110, v[6:9]
.LBB42_195:
	s_wait_xcnt 0x0
	s_or_b32 exec_lo, exec_lo, s2
	s_wait_storecnt_dscnt 0x0
	s_barrier_signal -1
	s_barrier_wait -1
	s_clause 0x4
	scratch_load_b128 v[4:7], off, off offset:624
	scratch_load_b128 v[8:11], off, off offset:640
	scratch_load_b128 v[12:15], off, off offset:656
	scratch_load_b128 v[16:19], off, off offset:672
	scratch_load_b128 v[20:23], off, off offset:608
	ds_load_b128 v[112:115], v2 offset:1312
	ds_load_b128 v[116:119], v2 offset:1328
	s_mov_b32 s2, exec_lo
	s_wait_loadcnt_dscnt 0x401
	v_mul_f64_e32 v[120:121], v[114:115], v[6:7]
	v_mul_f64_e32 v[122:123], v[112:113], v[6:7]
	s_wait_loadcnt_dscnt 0x300
	v_mul_f64_e32 v[124:125], v[116:117], v[10:11]
	v_mul_f64_e32 v[10:11], v[118:119], v[10:11]
	s_delay_alu instid0(VALU_DEP_4) | instskip(NEXT) | instid1(VALU_DEP_4)
	v_fma_f64 v[120:121], v[112:113], v[4:5], -v[120:121]
	v_fmac_f64_e32 v[122:123], v[114:115], v[4:5]
	ds_load_b128 v[4:7], v2 offset:1344
	ds_load_b128 v[112:115], v2 offset:1360
	v_fmac_f64_e32 v[124:125], v[118:119], v[8:9]
	v_fma_f64 v[8:9], v[116:117], v[8:9], -v[10:11]
	s_wait_loadcnt_dscnt 0x201
	v_mul_f64_e32 v[2:3], v[4:5], v[14:15]
	v_mul_f64_e32 v[14:15], v[6:7], v[14:15]
	s_wait_loadcnt_dscnt 0x100
	v_mul_f64_e32 v[118:119], v[112:113], v[18:19]
	v_mul_f64_e32 v[18:19], v[114:115], v[18:19]
	v_add_f64_e32 v[10:11], 0, v[120:121]
	v_add_f64_e32 v[116:117], 0, v[122:123]
	v_fmac_f64_e32 v[2:3], v[6:7], v[12:13]
	v_fma_f64 v[4:5], v[4:5], v[12:13], -v[14:15]
	v_fmac_f64_e32 v[118:119], v[114:115], v[16:17]
	v_add_f64_e32 v[6:7], v[10:11], v[8:9]
	v_add_f64_e32 v[8:9], v[116:117], v[124:125]
	v_fma_f64 v[10:11], v[112:113], v[16:17], -v[18:19]
	s_delay_alu instid0(VALU_DEP_3) | instskip(NEXT) | instid1(VALU_DEP_3)
	v_add_f64_e32 v[4:5], v[6:7], v[4:5]
	v_add_f64_e32 v[2:3], v[8:9], v[2:3]
	s_delay_alu instid0(VALU_DEP_2) | instskip(NEXT) | instid1(VALU_DEP_2)
	v_add_f64_e32 v[4:5], v[4:5], v[10:11]
	v_add_f64_e32 v[6:7], v[2:3], v[118:119]
	s_wait_loadcnt 0x0
	s_delay_alu instid0(VALU_DEP_2) | instskip(NEXT) | instid1(VALU_DEP_2)
	v_add_f64_e64 v[2:3], v[20:21], -v[4:5]
	v_add_f64_e64 v[4:5], v[22:23], -v[6:7]
	scratch_store_b128 off, v[2:5], off offset:608
	s_wait_xcnt 0x0
	v_cmpx_lt_u32_e32 37, v1
	s_cbranch_execz .LBB42_197
; %bb.196:
	scratch_load_b128 v[2:5], off, s9
	v_mov_b32_e32 v6, 0
	s_delay_alu instid0(VALU_DEP_1)
	v_dual_mov_b32 v7, v6 :: v_dual_mov_b32 v8, v6
	v_mov_b32_e32 v9, v6
	scratch_store_b128 off, v[6:9], off offset:592
	s_wait_loadcnt 0x0
	ds_store_b128 v110, v[2:5]
.LBB42_197:
	s_wait_xcnt 0x0
	s_or_b32 exec_lo, exec_lo, s2
	s_wait_storecnt_dscnt 0x0
	s_barrier_signal -1
	s_barrier_wait -1
	s_clause 0x5
	scratch_load_b128 v[4:7], off, off offset:608
	scratch_load_b128 v[8:11], off, off offset:624
	;; [unrolled: 1-line block ×6, first 2 shown]
	v_mov_b32_e32 v2, 0
	ds_load_b128 v[116:119], v2 offset:1296
	ds_load_b128 v[120:123], v2 offset:1312
	s_mov_b32 s2, exec_lo
	s_wait_loadcnt_dscnt 0x501
	v_mul_f64_e32 v[124:125], v[118:119], v[6:7]
	v_mul_f64_e32 v[126:127], v[116:117], v[6:7]
	s_wait_loadcnt_dscnt 0x400
	v_mul_f64_e32 v[128:129], v[120:121], v[10:11]
	v_mul_f64_e32 v[10:11], v[122:123], v[10:11]
	s_delay_alu instid0(VALU_DEP_4) | instskip(NEXT) | instid1(VALU_DEP_4)
	v_fma_f64 v[124:125], v[116:117], v[4:5], -v[124:125]
	v_fmac_f64_e32 v[126:127], v[118:119], v[4:5]
	ds_load_b128 v[4:7], v2 offset:1328
	ds_load_b128 v[116:119], v2 offset:1344
	v_fmac_f64_e32 v[128:129], v[122:123], v[8:9]
	v_fma_f64 v[8:9], v[120:121], v[8:9], -v[10:11]
	s_wait_loadcnt_dscnt 0x301
	v_mul_f64_e32 v[130:131], v[4:5], v[14:15]
	v_mul_f64_e32 v[14:15], v[6:7], v[14:15]
	s_wait_loadcnt_dscnt 0x200
	v_mul_f64_e32 v[122:123], v[116:117], v[18:19]
	v_mul_f64_e32 v[18:19], v[118:119], v[18:19]
	v_add_f64_e32 v[10:11], 0, v[124:125]
	v_add_f64_e32 v[120:121], 0, v[126:127]
	v_fmac_f64_e32 v[130:131], v[6:7], v[12:13]
	v_fma_f64 v[12:13], v[4:5], v[12:13], -v[14:15]
	ds_load_b128 v[4:7], v2 offset:1360
	v_fmac_f64_e32 v[122:123], v[118:119], v[16:17]
	v_fma_f64 v[16:17], v[116:117], v[16:17], -v[18:19]
	v_add_f64_e32 v[8:9], v[10:11], v[8:9]
	v_add_f64_e32 v[10:11], v[120:121], v[128:129]
	s_wait_loadcnt_dscnt 0x100
	v_mul_f64_e32 v[14:15], v[4:5], v[22:23]
	v_mul_f64_e32 v[22:23], v[6:7], v[22:23]
	s_delay_alu instid0(VALU_DEP_4) | instskip(NEXT) | instid1(VALU_DEP_4)
	v_add_f64_e32 v[8:9], v[8:9], v[12:13]
	v_add_f64_e32 v[10:11], v[10:11], v[130:131]
	s_delay_alu instid0(VALU_DEP_4) | instskip(NEXT) | instid1(VALU_DEP_4)
	v_fmac_f64_e32 v[14:15], v[6:7], v[20:21]
	v_fma_f64 v[4:5], v[4:5], v[20:21], -v[22:23]
	s_delay_alu instid0(VALU_DEP_4) | instskip(NEXT) | instid1(VALU_DEP_4)
	v_add_f64_e32 v[6:7], v[8:9], v[16:17]
	v_add_f64_e32 v[8:9], v[10:11], v[122:123]
	s_delay_alu instid0(VALU_DEP_2) | instskip(NEXT) | instid1(VALU_DEP_2)
	v_add_f64_e32 v[4:5], v[6:7], v[4:5]
	v_add_f64_e32 v[6:7], v[8:9], v[14:15]
	s_wait_loadcnt 0x0
	s_delay_alu instid0(VALU_DEP_2) | instskip(NEXT) | instid1(VALU_DEP_2)
	v_add_f64_e64 v[4:5], v[112:113], -v[4:5]
	v_add_f64_e64 v[6:7], v[114:115], -v[6:7]
	scratch_store_b128 off, v[4:7], off offset:592
	s_wait_xcnt 0x0
	v_cmpx_lt_u32_e32 36, v1
	s_cbranch_execz .LBB42_199
; %bb.198:
	scratch_load_b128 v[6:9], off, s12
	v_dual_mov_b32 v3, v2 :: v_dual_mov_b32 v4, v2
	v_mov_b32_e32 v5, v2
	scratch_store_b128 off, v[2:5], off offset:576
	s_wait_loadcnt 0x0
	ds_store_b128 v110, v[6:9]
.LBB42_199:
	s_wait_xcnt 0x0
	s_or_b32 exec_lo, exec_lo, s2
	s_wait_storecnt_dscnt 0x0
	s_barrier_signal -1
	s_barrier_wait -1
	s_clause 0x6
	scratch_load_b128 v[4:7], off, off offset:592
	scratch_load_b128 v[8:11], off, off offset:608
	;; [unrolled: 1-line block ×7, first 2 shown]
	ds_load_b128 v[120:123], v2 offset:1280
	ds_load_b128 v[124:127], v2 offset:1296
	s_mov_b32 s2, exec_lo
	s_wait_loadcnt_dscnt 0x601
	v_mul_f64_e32 v[128:129], v[122:123], v[6:7]
	v_mul_f64_e32 v[130:131], v[120:121], v[6:7]
	s_wait_loadcnt_dscnt 0x500
	v_mul_f64_e32 v[132:133], v[124:125], v[10:11]
	v_mul_f64_e32 v[10:11], v[126:127], v[10:11]
	s_delay_alu instid0(VALU_DEP_4) | instskip(NEXT) | instid1(VALU_DEP_4)
	v_fma_f64 v[128:129], v[120:121], v[4:5], -v[128:129]
	v_fmac_f64_e32 v[130:131], v[122:123], v[4:5]
	ds_load_b128 v[4:7], v2 offset:1312
	ds_load_b128 v[120:123], v2 offset:1328
	v_fmac_f64_e32 v[132:133], v[126:127], v[8:9]
	v_fma_f64 v[8:9], v[124:125], v[8:9], -v[10:11]
	s_wait_loadcnt_dscnt 0x401
	v_mul_f64_e32 v[134:135], v[4:5], v[14:15]
	v_mul_f64_e32 v[14:15], v[6:7], v[14:15]
	s_wait_loadcnt_dscnt 0x300
	v_mul_f64_e32 v[126:127], v[120:121], v[18:19]
	v_mul_f64_e32 v[18:19], v[122:123], v[18:19]
	v_add_f64_e32 v[10:11], 0, v[128:129]
	v_add_f64_e32 v[124:125], 0, v[130:131]
	v_fmac_f64_e32 v[134:135], v[6:7], v[12:13]
	v_fma_f64 v[12:13], v[4:5], v[12:13], -v[14:15]
	v_fmac_f64_e32 v[126:127], v[122:123], v[16:17]
	v_fma_f64 v[16:17], v[120:121], v[16:17], -v[18:19]
	v_add_f64_e32 v[14:15], v[10:11], v[8:9]
	v_add_f64_e32 v[124:125], v[124:125], v[132:133]
	ds_load_b128 v[4:7], v2 offset:1344
	ds_load_b128 v[8:11], v2 offset:1360
	s_wait_loadcnt_dscnt 0x201
	v_mul_f64_e32 v[2:3], v[4:5], v[22:23]
	v_mul_f64_e32 v[22:23], v[6:7], v[22:23]
	s_wait_loadcnt_dscnt 0x100
	v_mul_f64_e32 v[18:19], v[8:9], v[114:115]
	v_mul_f64_e32 v[114:115], v[10:11], v[114:115]
	v_add_f64_e32 v[12:13], v[14:15], v[12:13]
	v_add_f64_e32 v[14:15], v[124:125], v[134:135]
	v_fmac_f64_e32 v[2:3], v[6:7], v[20:21]
	v_fma_f64 v[4:5], v[4:5], v[20:21], -v[22:23]
	v_fmac_f64_e32 v[18:19], v[10:11], v[112:113]
	v_fma_f64 v[8:9], v[8:9], v[112:113], -v[114:115]
	v_add_f64_e32 v[6:7], v[12:13], v[16:17]
	v_add_f64_e32 v[12:13], v[14:15], v[126:127]
	s_delay_alu instid0(VALU_DEP_2) | instskip(NEXT) | instid1(VALU_DEP_2)
	v_add_f64_e32 v[4:5], v[6:7], v[4:5]
	v_add_f64_e32 v[2:3], v[12:13], v[2:3]
	s_delay_alu instid0(VALU_DEP_2) | instskip(NEXT) | instid1(VALU_DEP_2)
	v_add_f64_e32 v[4:5], v[4:5], v[8:9]
	v_add_f64_e32 v[6:7], v[2:3], v[18:19]
	s_wait_loadcnt 0x0
	s_delay_alu instid0(VALU_DEP_2) | instskip(NEXT) | instid1(VALU_DEP_2)
	v_add_f64_e64 v[2:3], v[116:117], -v[4:5]
	v_add_f64_e64 v[4:5], v[118:119], -v[6:7]
	scratch_store_b128 off, v[2:5], off offset:576
	s_wait_xcnt 0x0
	v_cmpx_lt_u32_e32 35, v1
	s_cbranch_execz .LBB42_201
; %bb.200:
	scratch_load_b128 v[2:5], off, s11
	v_mov_b32_e32 v6, 0
	s_delay_alu instid0(VALU_DEP_1)
	v_dual_mov_b32 v7, v6 :: v_dual_mov_b32 v8, v6
	v_mov_b32_e32 v9, v6
	scratch_store_b128 off, v[6:9], off offset:560
	s_wait_loadcnt 0x0
	ds_store_b128 v110, v[2:5]
.LBB42_201:
	s_wait_xcnt 0x0
	s_or_b32 exec_lo, exec_lo, s2
	s_wait_storecnt_dscnt 0x0
	s_barrier_signal -1
	s_barrier_wait -1
	s_clause 0x7
	scratch_load_b128 v[4:7], off, off offset:576
	scratch_load_b128 v[8:11], off, off offset:592
	;; [unrolled: 1-line block ×8, first 2 shown]
	v_mov_b32_e32 v2, 0
	ds_load_b128 v[124:127], v2 offset:1264
	ds_load_b128 v[128:131], v2 offset:1280
	s_mov_b32 s2, exec_lo
	s_wait_loadcnt_dscnt 0x701
	v_mul_f64_e32 v[132:133], v[126:127], v[6:7]
	v_mul_f64_e32 v[134:135], v[124:125], v[6:7]
	s_wait_loadcnt_dscnt 0x600
	v_mul_f64_e32 v[136:137], v[128:129], v[10:11]
	v_mul_f64_e32 v[10:11], v[130:131], v[10:11]
	s_delay_alu instid0(VALU_DEP_4) | instskip(NEXT) | instid1(VALU_DEP_4)
	v_fma_f64 v[132:133], v[124:125], v[4:5], -v[132:133]
	v_fmac_f64_e32 v[134:135], v[126:127], v[4:5]
	ds_load_b128 v[4:7], v2 offset:1296
	ds_load_b128 v[124:127], v2 offset:1312
	v_fmac_f64_e32 v[136:137], v[130:131], v[8:9]
	v_fma_f64 v[8:9], v[128:129], v[8:9], -v[10:11]
	s_wait_loadcnt_dscnt 0x501
	v_mul_f64_e32 v[138:139], v[4:5], v[14:15]
	v_mul_f64_e32 v[14:15], v[6:7], v[14:15]
	s_wait_loadcnt_dscnt 0x400
	v_mul_f64_e32 v[130:131], v[124:125], v[18:19]
	v_mul_f64_e32 v[18:19], v[126:127], v[18:19]
	v_add_f64_e32 v[10:11], 0, v[132:133]
	v_add_f64_e32 v[128:129], 0, v[134:135]
	v_fmac_f64_e32 v[138:139], v[6:7], v[12:13]
	v_fma_f64 v[12:13], v[4:5], v[12:13], -v[14:15]
	v_fmac_f64_e32 v[130:131], v[126:127], v[16:17]
	v_fma_f64 v[16:17], v[124:125], v[16:17], -v[18:19]
	v_add_f64_e32 v[14:15], v[10:11], v[8:9]
	v_add_f64_e32 v[128:129], v[128:129], v[136:137]
	ds_load_b128 v[4:7], v2 offset:1328
	ds_load_b128 v[8:11], v2 offset:1344
	s_wait_loadcnt_dscnt 0x301
	v_mul_f64_e32 v[132:133], v[4:5], v[22:23]
	v_mul_f64_e32 v[22:23], v[6:7], v[22:23]
	s_wait_loadcnt_dscnt 0x200
	v_mul_f64_e32 v[18:19], v[8:9], v[114:115]
	v_mul_f64_e32 v[114:115], v[10:11], v[114:115]
	v_add_f64_e32 v[12:13], v[14:15], v[12:13]
	v_add_f64_e32 v[14:15], v[128:129], v[138:139]
	v_fmac_f64_e32 v[132:133], v[6:7], v[20:21]
	v_fma_f64 v[20:21], v[4:5], v[20:21], -v[22:23]
	ds_load_b128 v[4:7], v2 offset:1360
	v_fmac_f64_e32 v[18:19], v[10:11], v[112:113]
	v_fma_f64 v[8:9], v[8:9], v[112:113], -v[114:115]
	v_add_f64_e32 v[12:13], v[12:13], v[16:17]
	v_add_f64_e32 v[14:15], v[14:15], v[130:131]
	s_wait_loadcnt_dscnt 0x100
	v_mul_f64_e32 v[16:17], v[4:5], v[118:119]
	v_mul_f64_e32 v[22:23], v[6:7], v[118:119]
	s_delay_alu instid0(VALU_DEP_4) | instskip(NEXT) | instid1(VALU_DEP_4)
	v_add_f64_e32 v[10:11], v[12:13], v[20:21]
	v_add_f64_e32 v[12:13], v[14:15], v[132:133]
	s_delay_alu instid0(VALU_DEP_4) | instskip(NEXT) | instid1(VALU_DEP_4)
	v_fmac_f64_e32 v[16:17], v[6:7], v[116:117]
	v_fma_f64 v[4:5], v[4:5], v[116:117], -v[22:23]
	s_delay_alu instid0(VALU_DEP_4) | instskip(NEXT) | instid1(VALU_DEP_4)
	v_add_f64_e32 v[6:7], v[10:11], v[8:9]
	v_add_f64_e32 v[8:9], v[12:13], v[18:19]
	s_delay_alu instid0(VALU_DEP_2) | instskip(NEXT) | instid1(VALU_DEP_2)
	v_add_f64_e32 v[4:5], v[6:7], v[4:5]
	v_add_f64_e32 v[6:7], v[8:9], v[16:17]
	s_wait_loadcnt 0x0
	s_delay_alu instid0(VALU_DEP_2) | instskip(NEXT) | instid1(VALU_DEP_2)
	v_add_f64_e64 v[4:5], v[120:121], -v[4:5]
	v_add_f64_e64 v[6:7], v[122:123], -v[6:7]
	scratch_store_b128 off, v[4:7], off offset:560
	s_wait_xcnt 0x0
	v_cmpx_lt_u32_e32 34, v1
	s_cbranch_execz .LBB42_203
; %bb.202:
	scratch_load_b128 v[6:9], off, s14
	v_dual_mov_b32 v3, v2 :: v_dual_mov_b32 v4, v2
	v_mov_b32_e32 v5, v2
	scratch_store_b128 off, v[2:5], off offset:544
	s_wait_loadcnt 0x0
	ds_store_b128 v110, v[6:9]
.LBB42_203:
	s_wait_xcnt 0x0
	s_or_b32 exec_lo, exec_lo, s2
	s_wait_storecnt_dscnt 0x0
	s_barrier_signal -1
	s_barrier_wait -1
	s_clause 0x7
	scratch_load_b128 v[4:7], off, off offset:560
	scratch_load_b128 v[8:11], off, off offset:576
	;; [unrolled: 1-line block ×8, first 2 shown]
	ds_load_b128 v[124:127], v2 offset:1248
	ds_load_b128 v[128:131], v2 offset:1264
	scratch_load_b128 v[132:135], off, off offset:544
	s_mov_b32 s2, exec_lo
	s_wait_loadcnt_dscnt 0x801
	v_mul_f64_e32 v[136:137], v[126:127], v[6:7]
	v_mul_f64_e32 v[138:139], v[124:125], v[6:7]
	s_wait_loadcnt_dscnt 0x700
	v_mul_f64_e32 v[140:141], v[128:129], v[10:11]
	v_mul_f64_e32 v[10:11], v[130:131], v[10:11]
	s_delay_alu instid0(VALU_DEP_4) | instskip(NEXT) | instid1(VALU_DEP_4)
	v_fma_f64 v[136:137], v[124:125], v[4:5], -v[136:137]
	v_fmac_f64_e32 v[138:139], v[126:127], v[4:5]
	ds_load_b128 v[4:7], v2 offset:1280
	ds_load_b128 v[124:127], v2 offset:1296
	v_fmac_f64_e32 v[140:141], v[130:131], v[8:9]
	v_fma_f64 v[8:9], v[128:129], v[8:9], -v[10:11]
	s_wait_loadcnt_dscnt 0x601
	v_mul_f64_e32 v[142:143], v[4:5], v[14:15]
	v_mul_f64_e32 v[14:15], v[6:7], v[14:15]
	s_wait_loadcnt_dscnt 0x500
	v_mul_f64_e32 v[130:131], v[124:125], v[18:19]
	v_mul_f64_e32 v[18:19], v[126:127], v[18:19]
	v_add_f64_e32 v[10:11], 0, v[136:137]
	v_add_f64_e32 v[128:129], 0, v[138:139]
	v_fmac_f64_e32 v[142:143], v[6:7], v[12:13]
	v_fma_f64 v[12:13], v[4:5], v[12:13], -v[14:15]
	v_fmac_f64_e32 v[130:131], v[126:127], v[16:17]
	v_fma_f64 v[16:17], v[124:125], v[16:17], -v[18:19]
	v_add_f64_e32 v[14:15], v[10:11], v[8:9]
	v_add_f64_e32 v[128:129], v[128:129], v[140:141]
	ds_load_b128 v[4:7], v2 offset:1312
	ds_load_b128 v[8:11], v2 offset:1328
	s_wait_loadcnt_dscnt 0x401
	v_mul_f64_e32 v[136:137], v[4:5], v[22:23]
	v_mul_f64_e32 v[22:23], v[6:7], v[22:23]
	s_wait_loadcnt_dscnt 0x300
	v_mul_f64_e32 v[18:19], v[8:9], v[114:115]
	v_mul_f64_e32 v[114:115], v[10:11], v[114:115]
	v_add_f64_e32 v[12:13], v[14:15], v[12:13]
	v_add_f64_e32 v[14:15], v[128:129], v[142:143]
	v_fmac_f64_e32 v[136:137], v[6:7], v[20:21]
	v_fma_f64 v[20:21], v[4:5], v[20:21], -v[22:23]
	v_fmac_f64_e32 v[18:19], v[10:11], v[112:113]
	v_fma_f64 v[8:9], v[8:9], v[112:113], -v[114:115]
	v_add_f64_e32 v[16:17], v[12:13], v[16:17]
	v_add_f64_e32 v[22:23], v[14:15], v[130:131]
	ds_load_b128 v[4:7], v2 offset:1344
	ds_load_b128 v[12:15], v2 offset:1360
	s_wait_loadcnt_dscnt 0x201
	v_mul_f64_e32 v[2:3], v[4:5], v[118:119]
	v_mul_f64_e32 v[118:119], v[6:7], v[118:119]
	v_add_f64_e32 v[10:11], v[16:17], v[20:21]
	v_add_f64_e32 v[16:17], v[22:23], v[136:137]
	s_wait_loadcnt_dscnt 0x100
	v_mul_f64_e32 v[20:21], v[12:13], v[122:123]
	v_mul_f64_e32 v[22:23], v[14:15], v[122:123]
	v_fmac_f64_e32 v[2:3], v[6:7], v[116:117]
	v_fma_f64 v[4:5], v[4:5], v[116:117], -v[118:119]
	v_add_f64_e32 v[6:7], v[10:11], v[8:9]
	v_add_f64_e32 v[8:9], v[16:17], v[18:19]
	v_fmac_f64_e32 v[20:21], v[14:15], v[120:121]
	v_fma_f64 v[10:11], v[12:13], v[120:121], -v[22:23]
	s_delay_alu instid0(VALU_DEP_4) | instskip(NEXT) | instid1(VALU_DEP_4)
	v_add_f64_e32 v[4:5], v[6:7], v[4:5]
	v_add_f64_e32 v[2:3], v[8:9], v[2:3]
	s_delay_alu instid0(VALU_DEP_2) | instskip(NEXT) | instid1(VALU_DEP_2)
	v_add_f64_e32 v[4:5], v[4:5], v[10:11]
	v_add_f64_e32 v[6:7], v[2:3], v[20:21]
	s_wait_loadcnt 0x0
	s_delay_alu instid0(VALU_DEP_2) | instskip(NEXT) | instid1(VALU_DEP_2)
	v_add_f64_e64 v[2:3], v[132:133], -v[4:5]
	v_add_f64_e64 v[4:5], v[134:135], -v[6:7]
	scratch_store_b128 off, v[2:5], off offset:544
	s_wait_xcnt 0x0
	v_cmpx_lt_u32_e32 33, v1
	s_cbranch_execz .LBB42_205
; %bb.204:
	scratch_load_b128 v[2:5], off, s13
	v_mov_b32_e32 v6, 0
	s_delay_alu instid0(VALU_DEP_1)
	v_dual_mov_b32 v7, v6 :: v_dual_mov_b32 v8, v6
	v_mov_b32_e32 v9, v6
	scratch_store_b128 off, v[6:9], off offset:528
	s_wait_loadcnt 0x0
	ds_store_b128 v110, v[2:5]
.LBB42_205:
	s_wait_xcnt 0x0
	s_or_b32 exec_lo, exec_lo, s2
	s_wait_storecnt_dscnt 0x0
	s_barrier_signal -1
	s_barrier_wait -1
	s_clause 0x8
	scratch_load_b128 v[4:7], off, off offset:544
	scratch_load_b128 v[8:11], off, off offset:560
	;; [unrolled: 1-line block ×9, first 2 shown]
	v_mov_b32_e32 v2, 0
	scratch_load_b128 v[132:135], off, off offset:528
	s_mov_b32 s2, exec_lo
	ds_load_b128 v[128:131], v2 offset:1232
	ds_load_b128 v[136:139], v2 offset:1248
	s_wait_loadcnt_dscnt 0x901
	v_mul_f64_e32 v[140:141], v[130:131], v[6:7]
	v_mul_f64_e32 v[142:143], v[128:129], v[6:7]
	s_wait_loadcnt_dscnt 0x800
	v_mul_f64_e32 v[144:145], v[136:137], v[10:11]
	v_mul_f64_e32 v[10:11], v[138:139], v[10:11]
	s_delay_alu instid0(VALU_DEP_4) | instskip(NEXT) | instid1(VALU_DEP_4)
	v_fma_f64 v[140:141], v[128:129], v[4:5], -v[140:141]
	v_fmac_f64_e32 v[142:143], v[130:131], v[4:5]
	ds_load_b128 v[4:7], v2 offset:1264
	ds_load_b128 v[128:131], v2 offset:1280
	v_fmac_f64_e32 v[144:145], v[138:139], v[8:9]
	v_fma_f64 v[8:9], v[136:137], v[8:9], -v[10:11]
	s_wait_loadcnt_dscnt 0x701
	v_mul_f64_e32 v[146:147], v[4:5], v[14:15]
	v_mul_f64_e32 v[14:15], v[6:7], v[14:15]
	s_wait_loadcnt_dscnt 0x600
	v_mul_f64_e32 v[138:139], v[128:129], v[18:19]
	v_mul_f64_e32 v[18:19], v[130:131], v[18:19]
	v_add_f64_e32 v[10:11], 0, v[140:141]
	v_add_f64_e32 v[136:137], 0, v[142:143]
	v_fmac_f64_e32 v[146:147], v[6:7], v[12:13]
	v_fma_f64 v[12:13], v[4:5], v[12:13], -v[14:15]
	v_fmac_f64_e32 v[138:139], v[130:131], v[16:17]
	v_fma_f64 v[16:17], v[128:129], v[16:17], -v[18:19]
	v_add_f64_e32 v[14:15], v[10:11], v[8:9]
	v_add_f64_e32 v[136:137], v[136:137], v[144:145]
	ds_load_b128 v[4:7], v2 offset:1296
	ds_load_b128 v[8:11], v2 offset:1312
	s_wait_loadcnt_dscnt 0x501
	v_mul_f64_e32 v[140:141], v[4:5], v[22:23]
	v_mul_f64_e32 v[22:23], v[6:7], v[22:23]
	s_wait_loadcnt_dscnt 0x400
	v_mul_f64_e32 v[18:19], v[8:9], v[114:115]
	v_mul_f64_e32 v[114:115], v[10:11], v[114:115]
	v_add_f64_e32 v[12:13], v[14:15], v[12:13]
	v_add_f64_e32 v[14:15], v[136:137], v[146:147]
	v_fmac_f64_e32 v[140:141], v[6:7], v[20:21]
	v_fma_f64 v[20:21], v[4:5], v[20:21], -v[22:23]
	v_fmac_f64_e32 v[18:19], v[10:11], v[112:113]
	v_fma_f64 v[8:9], v[8:9], v[112:113], -v[114:115]
	v_add_f64_e32 v[16:17], v[12:13], v[16:17]
	v_add_f64_e32 v[22:23], v[14:15], v[138:139]
	ds_load_b128 v[4:7], v2 offset:1328
	ds_load_b128 v[12:15], v2 offset:1344
	s_wait_loadcnt_dscnt 0x301
	v_mul_f64_e32 v[128:129], v[4:5], v[118:119]
	v_mul_f64_e32 v[118:119], v[6:7], v[118:119]
	v_add_f64_e32 v[10:11], v[16:17], v[20:21]
	v_add_f64_e32 v[16:17], v[22:23], v[140:141]
	s_wait_loadcnt_dscnt 0x200
	v_mul_f64_e32 v[20:21], v[12:13], v[122:123]
	v_mul_f64_e32 v[22:23], v[14:15], v[122:123]
	v_fmac_f64_e32 v[128:129], v[6:7], v[116:117]
	v_fma_f64 v[112:113], v[4:5], v[116:117], -v[118:119]
	ds_load_b128 v[4:7], v2 offset:1360
	v_add_f64_e32 v[8:9], v[10:11], v[8:9]
	v_add_f64_e32 v[10:11], v[16:17], v[18:19]
	v_fmac_f64_e32 v[20:21], v[14:15], v[120:121]
	v_fma_f64 v[12:13], v[12:13], v[120:121], -v[22:23]
	s_wait_loadcnt_dscnt 0x100
	v_mul_f64_e32 v[16:17], v[4:5], v[126:127]
	v_mul_f64_e32 v[18:19], v[6:7], v[126:127]
	v_add_f64_e32 v[8:9], v[8:9], v[112:113]
	v_add_f64_e32 v[10:11], v[10:11], v[128:129]
	s_delay_alu instid0(VALU_DEP_4) | instskip(NEXT) | instid1(VALU_DEP_4)
	v_fmac_f64_e32 v[16:17], v[6:7], v[124:125]
	v_fma_f64 v[4:5], v[4:5], v[124:125], -v[18:19]
	s_delay_alu instid0(VALU_DEP_4) | instskip(NEXT) | instid1(VALU_DEP_4)
	v_add_f64_e32 v[6:7], v[8:9], v[12:13]
	v_add_f64_e32 v[8:9], v[10:11], v[20:21]
	s_delay_alu instid0(VALU_DEP_2) | instskip(NEXT) | instid1(VALU_DEP_2)
	v_add_f64_e32 v[4:5], v[6:7], v[4:5]
	v_add_f64_e32 v[6:7], v[8:9], v[16:17]
	s_wait_loadcnt 0x0
	s_delay_alu instid0(VALU_DEP_2) | instskip(NEXT) | instid1(VALU_DEP_2)
	v_add_f64_e64 v[4:5], v[132:133], -v[4:5]
	v_add_f64_e64 v[6:7], v[134:135], -v[6:7]
	scratch_store_b128 off, v[4:7], off offset:528
	s_wait_xcnt 0x0
	v_cmpx_lt_u32_e32 32, v1
	s_cbranch_execz .LBB42_207
; %bb.206:
	scratch_load_b128 v[6:9], off, s21
	v_dual_mov_b32 v3, v2 :: v_dual_mov_b32 v4, v2
	v_mov_b32_e32 v5, v2
	scratch_store_b128 off, v[2:5], off offset:512
	s_wait_loadcnt 0x0
	ds_store_b128 v110, v[6:9]
.LBB42_207:
	s_wait_xcnt 0x0
	s_or_b32 exec_lo, exec_lo, s2
	s_wait_storecnt_dscnt 0x0
	s_barrier_signal -1
	s_barrier_wait -1
	s_clause 0x9
	scratch_load_b128 v[4:7], off, off offset:528
	scratch_load_b128 v[8:11], off, off offset:544
	;; [unrolled: 1-line block ×10, first 2 shown]
	ds_load_b128 v[132:135], v2 offset:1216
	ds_load_b128 v[136:139], v2 offset:1232
	scratch_load_b128 v[140:143], off, off offset:512
	s_mov_b32 s2, exec_lo
	s_wait_loadcnt_dscnt 0xa01
	v_mul_f64_e32 v[144:145], v[134:135], v[6:7]
	v_mul_f64_e32 v[146:147], v[132:133], v[6:7]
	s_wait_loadcnt_dscnt 0x900
	v_mul_f64_e32 v[148:149], v[136:137], v[10:11]
	v_mul_f64_e32 v[10:11], v[138:139], v[10:11]
	s_delay_alu instid0(VALU_DEP_4) | instskip(NEXT) | instid1(VALU_DEP_4)
	v_fma_f64 v[144:145], v[132:133], v[4:5], -v[144:145]
	v_fmac_f64_e32 v[146:147], v[134:135], v[4:5]
	ds_load_b128 v[4:7], v2 offset:1248
	ds_load_b128 v[132:135], v2 offset:1264
	v_fmac_f64_e32 v[148:149], v[138:139], v[8:9]
	v_fma_f64 v[8:9], v[136:137], v[8:9], -v[10:11]
	s_wait_loadcnt_dscnt 0x801
	v_mul_f64_e32 v[150:151], v[4:5], v[14:15]
	v_mul_f64_e32 v[14:15], v[6:7], v[14:15]
	s_wait_loadcnt_dscnt 0x700
	v_mul_f64_e32 v[138:139], v[132:133], v[18:19]
	v_mul_f64_e32 v[18:19], v[134:135], v[18:19]
	v_add_f64_e32 v[10:11], 0, v[144:145]
	v_add_f64_e32 v[136:137], 0, v[146:147]
	v_fmac_f64_e32 v[150:151], v[6:7], v[12:13]
	v_fma_f64 v[12:13], v[4:5], v[12:13], -v[14:15]
	v_fmac_f64_e32 v[138:139], v[134:135], v[16:17]
	v_fma_f64 v[16:17], v[132:133], v[16:17], -v[18:19]
	v_add_f64_e32 v[14:15], v[10:11], v[8:9]
	v_add_f64_e32 v[136:137], v[136:137], v[148:149]
	ds_load_b128 v[4:7], v2 offset:1280
	ds_load_b128 v[8:11], v2 offset:1296
	s_wait_loadcnt_dscnt 0x601
	v_mul_f64_e32 v[144:145], v[4:5], v[22:23]
	v_mul_f64_e32 v[22:23], v[6:7], v[22:23]
	s_wait_loadcnt_dscnt 0x500
	v_mul_f64_e32 v[18:19], v[8:9], v[114:115]
	v_mul_f64_e32 v[114:115], v[10:11], v[114:115]
	v_add_f64_e32 v[12:13], v[14:15], v[12:13]
	v_add_f64_e32 v[14:15], v[136:137], v[150:151]
	v_fmac_f64_e32 v[144:145], v[6:7], v[20:21]
	v_fma_f64 v[20:21], v[4:5], v[20:21], -v[22:23]
	v_fmac_f64_e32 v[18:19], v[10:11], v[112:113]
	v_fma_f64 v[8:9], v[8:9], v[112:113], -v[114:115]
	v_add_f64_e32 v[16:17], v[12:13], v[16:17]
	v_add_f64_e32 v[22:23], v[14:15], v[138:139]
	ds_load_b128 v[4:7], v2 offset:1312
	ds_load_b128 v[12:15], v2 offset:1328
	s_wait_loadcnt_dscnt 0x401
	v_mul_f64_e32 v[132:133], v[4:5], v[118:119]
	v_mul_f64_e32 v[118:119], v[6:7], v[118:119]
	v_add_f64_e32 v[10:11], v[16:17], v[20:21]
	v_add_f64_e32 v[16:17], v[22:23], v[144:145]
	s_wait_loadcnt_dscnt 0x300
	v_mul_f64_e32 v[20:21], v[12:13], v[122:123]
	v_mul_f64_e32 v[22:23], v[14:15], v[122:123]
	v_fmac_f64_e32 v[132:133], v[6:7], v[116:117]
	v_fma_f64 v[112:113], v[4:5], v[116:117], -v[118:119]
	v_add_f64_e32 v[114:115], v[10:11], v[8:9]
	v_add_f64_e32 v[16:17], v[16:17], v[18:19]
	ds_load_b128 v[4:7], v2 offset:1344
	ds_load_b128 v[8:11], v2 offset:1360
	v_fmac_f64_e32 v[20:21], v[14:15], v[120:121]
	v_fma_f64 v[12:13], v[12:13], v[120:121], -v[22:23]
	s_wait_loadcnt_dscnt 0x201
	v_mul_f64_e32 v[2:3], v[4:5], v[126:127]
	v_mul_f64_e32 v[18:19], v[6:7], v[126:127]
	s_wait_loadcnt_dscnt 0x100
	v_mul_f64_e32 v[22:23], v[8:9], v[130:131]
	v_add_f64_e32 v[14:15], v[114:115], v[112:113]
	v_add_f64_e32 v[16:17], v[16:17], v[132:133]
	v_mul_f64_e32 v[112:113], v[10:11], v[130:131]
	v_fmac_f64_e32 v[2:3], v[6:7], v[124:125]
	v_fma_f64 v[4:5], v[4:5], v[124:125], -v[18:19]
	v_fmac_f64_e32 v[22:23], v[10:11], v[128:129]
	v_add_f64_e32 v[6:7], v[14:15], v[12:13]
	v_add_f64_e32 v[12:13], v[16:17], v[20:21]
	v_fma_f64 v[8:9], v[8:9], v[128:129], -v[112:113]
	s_delay_alu instid0(VALU_DEP_3) | instskip(NEXT) | instid1(VALU_DEP_3)
	v_add_f64_e32 v[4:5], v[6:7], v[4:5]
	v_add_f64_e32 v[2:3], v[12:13], v[2:3]
	s_delay_alu instid0(VALU_DEP_2) | instskip(NEXT) | instid1(VALU_DEP_2)
	v_add_f64_e32 v[4:5], v[4:5], v[8:9]
	v_add_f64_e32 v[6:7], v[2:3], v[22:23]
	s_wait_loadcnt 0x0
	s_delay_alu instid0(VALU_DEP_2) | instskip(NEXT) | instid1(VALU_DEP_2)
	v_add_f64_e64 v[2:3], v[140:141], -v[4:5]
	v_add_f64_e64 v[4:5], v[142:143], -v[6:7]
	scratch_store_b128 off, v[2:5], off offset:512
	s_wait_xcnt 0x0
	v_cmpx_lt_u32_e32 31, v1
	s_cbranch_execz .LBB42_209
; %bb.208:
	scratch_load_b128 v[2:5], off, s15
	v_mov_b32_e32 v6, 0
	s_delay_alu instid0(VALU_DEP_1)
	v_dual_mov_b32 v7, v6 :: v_dual_mov_b32 v8, v6
	v_mov_b32_e32 v9, v6
	scratch_store_b128 off, v[6:9], off offset:496
	s_wait_loadcnt 0x0
	ds_store_b128 v110, v[2:5]
.LBB42_209:
	s_wait_xcnt 0x0
	s_or_b32 exec_lo, exec_lo, s2
	s_wait_storecnt_dscnt 0x0
	s_barrier_signal -1
	s_barrier_wait -1
	s_clause 0x9
	scratch_load_b128 v[4:7], off, off offset:512
	scratch_load_b128 v[8:11], off, off offset:528
	;; [unrolled: 1-line block ×10, first 2 shown]
	v_mov_b32_e32 v2, 0
	s_mov_b32 s2, exec_lo
	ds_load_b128 v[132:135], v2 offset:1200
	s_clause 0x1
	scratch_load_b128 v[136:139], off, off offset:672
	scratch_load_b128 v[140:143], off, off offset:496
	s_wait_loadcnt_dscnt 0xb00
	v_mul_f64_e32 v[148:149], v[134:135], v[6:7]
	v_mul_f64_e32 v[150:151], v[132:133], v[6:7]
	ds_load_b128 v[144:147], v2 offset:1216
	s_wait_loadcnt_dscnt 0xa00
	v_mul_f64_e32 v[152:153], v[144:145], v[10:11]
	v_mul_f64_e32 v[10:11], v[146:147], v[10:11]
	v_fma_f64 v[148:149], v[132:133], v[4:5], -v[148:149]
	v_fmac_f64_e32 v[150:151], v[134:135], v[4:5]
	ds_load_b128 v[4:7], v2 offset:1232
	ds_load_b128 v[132:135], v2 offset:1248
	s_wait_loadcnt_dscnt 0x901
	v_mul_f64_e32 v[154:155], v[4:5], v[14:15]
	v_mul_f64_e32 v[14:15], v[6:7], v[14:15]
	v_fmac_f64_e32 v[152:153], v[146:147], v[8:9]
	v_fma_f64 v[8:9], v[144:145], v[8:9], -v[10:11]
	s_wait_loadcnt_dscnt 0x800
	v_mul_f64_e32 v[146:147], v[132:133], v[18:19]
	v_mul_f64_e32 v[18:19], v[134:135], v[18:19]
	v_add_f64_e32 v[10:11], 0, v[148:149]
	v_add_f64_e32 v[144:145], 0, v[150:151]
	v_fmac_f64_e32 v[154:155], v[6:7], v[12:13]
	v_fma_f64 v[12:13], v[4:5], v[12:13], -v[14:15]
	v_fmac_f64_e32 v[146:147], v[134:135], v[16:17]
	v_fma_f64 v[16:17], v[132:133], v[16:17], -v[18:19]
	v_add_f64_e32 v[14:15], v[10:11], v[8:9]
	v_add_f64_e32 v[144:145], v[144:145], v[152:153]
	ds_load_b128 v[4:7], v2 offset:1264
	ds_load_b128 v[8:11], v2 offset:1280
	s_wait_loadcnt_dscnt 0x701
	v_mul_f64_e32 v[148:149], v[4:5], v[22:23]
	v_mul_f64_e32 v[22:23], v[6:7], v[22:23]
	s_wait_loadcnt_dscnt 0x600
	v_mul_f64_e32 v[18:19], v[8:9], v[114:115]
	v_mul_f64_e32 v[114:115], v[10:11], v[114:115]
	v_add_f64_e32 v[12:13], v[14:15], v[12:13]
	v_add_f64_e32 v[14:15], v[144:145], v[154:155]
	v_fmac_f64_e32 v[148:149], v[6:7], v[20:21]
	v_fma_f64 v[20:21], v[4:5], v[20:21], -v[22:23]
	v_fmac_f64_e32 v[18:19], v[10:11], v[112:113]
	v_fma_f64 v[8:9], v[8:9], v[112:113], -v[114:115]
	v_add_f64_e32 v[16:17], v[12:13], v[16:17]
	v_add_f64_e32 v[22:23], v[14:15], v[146:147]
	ds_load_b128 v[4:7], v2 offset:1296
	ds_load_b128 v[12:15], v2 offset:1312
	s_wait_loadcnt_dscnt 0x501
	v_mul_f64_e32 v[132:133], v[4:5], v[118:119]
	v_mul_f64_e32 v[118:119], v[6:7], v[118:119]
	v_add_f64_e32 v[10:11], v[16:17], v[20:21]
	v_add_f64_e32 v[16:17], v[22:23], v[148:149]
	s_wait_loadcnt_dscnt 0x400
	v_mul_f64_e32 v[20:21], v[12:13], v[122:123]
	v_mul_f64_e32 v[22:23], v[14:15], v[122:123]
	v_fmac_f64_e32 v[132:133], v[6:7], v[116:117]
	v_fma_f64 v[112:113], v[4:5], v[116:117], -v[118:119]
	v_add_f64_e32 v[114:115], v[10:11], v[8:9]
	v_add_f64_e32 v[16:17], v[16:17], v[18:19]
	ds_load_b128 v[4:7], v2 offset:1328
	ds_load_b128 v[8:11], v2 offset:1344
	v_fmac_f64_e32 v[20:21], v[14:15], v[120:121]
	v_fma_f64 v[12:13], v[12:13], v[120:121], -v[22:23]
	s_wait_loadcnt_dscnt 0x301
	v_mul_f64_e32 v[18:19], v[4:5], v[126:127]
	v_mul_f64_e32 v[116:117], v[6:7], v[126:127]
	s_wait_loadcnt_dscnt 0x200
	v_mul_f64_e32 v[22:23], v[8:9], v[130:131]
	v_add_f64_e32 v[14:15], v[114:115], v[112:113]
	v_add_f64_e32 v[16:17], v[16:17], v[132:133]
	v_mul_f64_e32 v[112:113], v[10:11], v[130:131]
	v_fmac_f64_e32 v[18:19], v[6:7], v[124:125]
	v_fma_f64 v[114:115], v[4:5], v[124:125], -v[116:117]
	ds_load_b128 v[4:7], v2 offset:1360
	v_fmac_f64_e32 v[22:23], v[10:11], v[128:129]
	v_add_f64_e32 v[12:13], v[14:15], v[12:13]
	v_add_f64_e32 v[14:15], v[16:17], v[20:21]
	v_fma_f64 v[8:9], v[8:9], v[128:129], -v[112:113]
	s_wait_loadcnt_dscnt 0x100
	v_mul_f64_e32 v[16:17], v[4:5], v[138:139]
	v_mul_f64_e32 v[20:21], v[6:7], v[138:139]
	v_add_f64_e32 v[10:11], v[12:13], v[114:115]
	v_add_f64_e32 v[12:13], v[14:15], v[18:19]
	s_delay_alu instid0(VALU_DEP_4) | instskip(NEXT) | instid1(VALU_DEP_4)
	v_fmac_f64_e32 v[16:17], v[6:7], v[136:137]
	v_fma_f64 v[4:5], v[4:5], v[136:137], -v[20:21]
	s_delay_alu instid0(VALU_DEP_4) | instskip(NEXT) | instid1(VALU_DEP_4)
	v_add_f64_e32 v[6:7], v[10:11], v[8:9]
	v_add_f64_e32 v[8:9], v[12:13], v[22:23]
	s_delay_alu instid0(VALU_DEP_2) | instskip(NEXT) | instid1(VALU_DEP_2)
	v_add_f64_e32 v[4:5], v[6:7], v[4:5]
	v_add_f64_e32 v[6:7], v[8:9], v[16:17]
	s_wait_loadcnt 0x0
	s_delay_alu instid0(VALU_DEP_2) | instskip(NEXT) | instid1(VALU_DEP_2)
	v_add_f64_e64 v[4:5], v[140:141], -v[4:5]
	v_add_f64_e64 v[6:7], v[142:143], -v[6:7]
	scratch_store_b128 off, v[4:7], off offset:496
	s_wait_xcnt 0x0
	v_cmpx_lt_u32_e32 30, v1
	s_cbranch_execz .LBB42_211
; %bb.210:
	scratch_load_b128 v[6:9], off, s25
	v_dual_mov_b32 v3, v2 :: v_dual_mov_b32 v4, v2
	v_mov_b32_e32 v5, v2
	scratch_store_b128 off, v[2:5], off offset:480
	s_wait_loadcnt 0x0
	ds_store_b128 v110, v[6:9]
.LBB42_211:
	s_wait_xcnt 0x0
	s_or_b32 exec_lo, exec_lo, s2
	s_wait_storecnt_dscnt 0x0
	s_barrier_signal -1
	s_barrier_wait -1
	s_clause 0x9
	scratch_load_b128 v[4:7], off, off offset:496
	scratch_load_b128 v[8:11], off, off offset:512
	;; [unrolled: 1-line block ×10, first 2 shown]
	ds_load_b128 v[132:135], v2 offset:1184
	ds_load_b128 v[140:143], v2 offset:1200
	s_clause 0x2
	scratch_load_b128 v[136:139], off, off offset:656
	scratch_load_b128 v[144:147], off, off offset:480
	;; [unrolled: 1-line block ×3, first 2 shown]
	s_mov_b32 s2, exec_lo
	s_wait_loadcnt_dscnt 0xc01
	v_mul_f64_e32 v[152:153], v[134:135], v[6:7]
	v_mul_f64_e32 v[154:155], v[132:133], v[6:7]
	s_wait_loadcnt_dscnt 0xb00
	v_mul_f64_e32 v[156:157], v[140:141], v[10:11]
	v_mul_f64_e32 v[10:11], v[142:143], v[10:11]
	s_delay_alu instid0(VALU_DEP_4) | instskip(NEXT) | instid1(VALU_DEP_4)
	v_fma_f64 v[152:153], v[132:133], v[4:5], -v[152:153]
	v_fmac_f64_e32 v[154:155], v[134:135], v[4:5]
	ds_load_b128 v[4:7], v2 offset:1216
	ds_load_b128 v[132:135], v2 offset:1232
	v_fmac_f64_e32 v[156:157], v[142:143], v[8:9]
	v_fma_f64 v[8:9], v[140:141], v[8:9], -v[10:11]
	s_wait_loadcnt_dscnt 0xa01
	v_mul_f64_e32 v[158:159], v[4:5], v[14:15]
	v_mul_f64_e32 v[14:15], v[6:7], v[14:15]
	s_wait_loadcnt_dscnt 0x900
	v_mul_f64_e32 v[142:143], v[132:133], v[18:19]
	v_mul_f64_e32 v[18:19], v[134:135], v[18:19]
	v_add_f64_e32 v[10:11], 0, v[152:153]
	v_add_f64_e32 v[140:141], 0, v[154:155]
	v_fmac_f64_e32 v[158:159], v[6:7], v[12:13]
	v_fma_f64 v[12:13], v[4:5], v[12:13], -v[14:15]
	v_fmac_f64_e32 v[142:143], v[134:135], v[16:17]
	v_fma_f64 v[16:17], v[132:133], v[16:17], -v[18:19]
	v_add_f64_e32 v[14:15], v[10:11], v[8:9]
	v_add_f64_e32 v[140:141], v[140:141], v[156:157]
	ds_load_b128 v[4:7], v2 offset:1248
	ds_load_b128 v[8:11], v2 offset:1264
	s_wait_loadcnt_dscnt 0x801
	v_mul_f64_e32 v[152:153], v[4:5], v[22:23]
	v_mul_f64_e32 v[22:23], v[6:7], v[22:23]
	s_wait_loadcnt_dscnt 0x700
	v_mul_f64_e32 v[18:19], v[8:9], v[114:115]
	v_mul_f64_e32 v[114:115], v[10:11], v[114:115]
	v_add_f64_e32 v[12:13], v[14:15], v[12:13]
	v_add_f64_e32 v[14:15], v[140:141], v[158:159]
	v_fmac_f64_e32 v[152:153], v[6:7], v[20:21]
	v_fma_f64 v[20:21], v[4:5], v[20:21], -v[22:23]
	v_fmac_f64_e32 v[18:19], v[10:11], v[112:113]
	v_fma_f64 v[8:9], v[8:9], v[112:113], -v[114:115]
	v_add_f64_e32 v[16:17], v[12:13], v[16:17]
	v_add_f64_e32 v[22:23], v[14:15], v[142:143]
	ds_load_b128 v[4:7], v2 offset:1280
	ds_load_b128 v[12:15], v2 offset:1296
	s_wait_loadcnt_dscnt 0x601
	v_mul_f64_e32 v[132:133], v[4:5], v[118:119]
	v_mul_f64_e32 v[118:119], v[6:7], v[118:119]
	v_add_f64_e32 v[10:11], v[16:17], v[20:21]
	v_add_f64_e32 v[16:17], v[22:23], v[152:153]
	s_wait_loadcnt_dscnt 0x500
	v_mul_f64_e32 v[20:21], v[12:13], v[122:123]
	v_mul_f64_e32 v[22:23], v[14:15], v[122:123]
	v_fmac_f64_e32 v[132:133], v[6:7], v[116:117]
	v_fma_f64 v[112:113], v[4:5], v[116:117], -v[118:119]
	v_add_f64_e32 v[114:115], v[10:11], v[8:9]
	v_add_f64_e32 v[16:17], v[16:17], v[18:19]
	ds_load_b128 v[4:7], v2 offset:1312
	ds_load_b128 v[8:11], v2 offset:1328
	v_fmac_f64_e32 v[20:21], v[14:15], v[120:121]
	v_fma_f64 v[12:13], v[12:13], v[120:121], -v[22:23]
	s_wait_loadcnt_dscnt 0x401
	v_mul_f64_e32 v[18:19], v[4:5], v[126:127]
	v_mul_f64_e32 v[116:117], v[6:7], v[126:127]
	s_wait_loadcnt_dscnt 0x300
	v_mul_f64_e32 v[22:23], v[8:9], v[130:131]
	v_add_f64_e32 v[14:15], v[114:115], v[112:113]
	v_add_f64_e32 v[16:17], v[16:17], v[132:133]
	v_mul_f64_e32 v[112:113], v[10:11], v[130:131]
	v_fmac_f64_e32 v[18:19], v[6:7], v[124:125]
	v_fma_f64 v[114:115], v[4:5], v[124:125], -v[116:117]
	v_fmac_f64_e32 v[22:23], v[10:11], v[128:129]
	v_add_f64_e32 v[116:117], v[14:15], v[12:13]
	v_add_f64_e32 v[16:17], v[16:17], v[20:21]
	ds_load_b128 v[4:7], v2 offset:1344
	ds_load_b128 v[12:15], v2 offset:1360
	v_fma_f64 v[8:9], v[8:9], v[128:129], -v[112:113]
	s_wait_loadcnt_dscnt 0x201
	v_mul_f64_e32 v[2:3], v[4:5], v[138:139]
	v_mul_f64_e32 v[20:21], v[6:7], v[138:139]
	s_wait_loadcnt_dscnt 0x0
	v_mul_f64_e32 v[112:113], v[14:15], v[150:151]
	v_add_f64_e32 v[10:11], v[116:117], v[114:115]
	v_add_f64_e32 v[16:17], v[16:17], v[18:19]
	v_mul_f64_e32 v[18:19], v[12:13], v[150:151]
	v_fmac_f64_e32 v[2:3], v[6:7], v[136:137]
	v_fma_f64 v[4:5], v[4:5], v[136:137], -v[20:21]
	v_add_f64_e32 v[6:7], v[10:11], v[8:9]
	v_add_f64_e32 v[8:9], v[16:17], v[22:23]
	v_fmac_f64_e32 v[18:19], v[14:15], v[148:149]
	v_fma_f64 v[10:11], v[12:13], v[148:149], -v[112:113]
	s_delay_alu instid0(VALU_DEP_4) | instskip(NEXT) | instid1(VALU_DEP_4)
	v_add_f64_e32 v[4:5], v[6:7], v[4:5]
	v_add_f64_e32 v[2:3], v[8:9], v[2:3]
	s_delay_alu instid0(VALU_DEP_2) | instskip(NEXT) | instid1(VALU_DEP_2)
	v_add_f64_e32 v[4:5], v[4:5], v[10:11]
	v_add_f64_e32 v[6:7], v[2:3], v[18:19]
	s_delay_alu instid0(VALU_DEP_2) | instskip(NEXT) | instid1(VALU_DEP_2)
	v_add_f64_e64 v[2:3], v[144:145], -v[4:5]
	v_add_f64_e64 v[4:5], v[146:147], -v[6:7]
	scratch_store_b128 off, v[2:5], off offset:480
	s_wait_xcnt 0x0
	v_cmpx_lt_u32_e32 29, v1
	s_cbranch_execz .LBB42_213
; %bb.212:
	scratch_load_b128 v[2:5], off, s23
	v_mov_b32_e32 v6, 0
	s_delay_alu instid0(VALU_DEP_1)
	v_dual_mov_b32 v7, v6 :: v_dual_mov_b32 v8, v6
	v_mov_b32_e32 v9, v6
	scratch_store_b128 off, v[6:9], off offset:464
	s_wait_loadcnt 0x0
	ds_store_b128 v110, v[2:5]
.LBB42_213:
	s_wait_xcnt 0x0
	s_or_b32 exec_lo, exec_lo, s2
	s_wait_storecnt_dscnt 0x0
	s_barrier_signal -1
	s_barrier_wait -1
	s_clause 0x9
	scratch_load_b128 v[4:7], off, off offset:480
	scratch_load_b128 v[8:11], off, off offset:496
	;; [unrolled: 1-line block ×10, first 2 shown]
	v_mov_b32_e32 v2, 0
	s_mov_b32 s2, exec_lo
	ds_load_b128 v[132:135], v2 offset:1168
	s_clause 0x2
	scratch_load_b128 v[136:139], off, off offset:640
	scratch_load_b128 v[140:143], off, off offset:464
	;; [unrolled: 1-line block ×3, first 2 shown]
	s_wait_loadcnt_dscnt 0xc00
	v_mul_f64_e32 v[152:153], v[134:135], v[6:7]
	v_mul_f64_e32 v[156:157], v[132:133], v[6:7]
	ds_load_b128 v[144:147], v2 offset:1184
	v_fma_f64 v[160:161], v[132:133], v[4:5], -v[152:153]
	v_fmac_f64_e32 v[156:157], v[134:135], v[4:5]
	ds_load_b128 v[4:7], v2 offset:1200
	s_wait_loadcnt_dscnt 0xb01
	v_mul_f64_e32 v[158:159], v[144:145], v[10:11]
	v_mul_f64_e32 v[10:11], v[146:147], v[10:11]
	scratch_load_b128 v[132:135], off, off offset:672
	ds_load_b128 v[152:155], v2 offset:1216
	s_wait_loadcnt_dscnt 0xb01
	v_mul_f64_e32 v[162:163], v[4:5], v[14:15]
	v_mul_f64_e32 v[14:15], v[6:7], v[14:15]
	v_fmac_f64_e32 v[158:159], v[146:147], v[8:9]
	v_fma_f64 v[8:9], v[144:145], v[8:9], -v[10:11]
	v_add_f64_e32 v[10:11], 0, v[160:161]
	v_add_f64_e32 v[144:145], 0, v[156:157]
	s_wait_loadcnt_dscnt 0xa00
	v_mul_f64_e32 v[146:147], v[152:153], v[18:19]
	v_mul_f64_e32 v[18:19], v[154:155], v[18:19]
	v_fmac_f64_e32 v[162:163], v[6:7], v[12:13]
	v_fma_f64 v[12:13], v[4:5], v[12:13], -v[14:15]
	v_add_f64_e32 v[14:15], v[10:11], v[8:9]
	v_add_f64_e32 v[144:145], v[144:145], v[158:159]
	ds_load_b128 v[4:7], v2 offset:1232
	ds_load_b128 v[8:11], v2 offset:1248
	v_fmac_f64_e32 v[146:147], v[154:155], v[16:17]
	v_fma_f64 v[16:17], v[152:153], v[16:17], -v[18:19]
	s_wait_loadcnt_dscnt 0x901
	v_mul_f64_e32 v[156:157], v[4:5], v[22:23]
	v_mul_f64_e32 v[22:23], v[6:7], v[22:23]
	s_wait_loadcnt_dscnt 0x800
	v_mul_f64_e32 v[18:19], v[8:9], v[114:115]
	v_mul_f64_e32 v[114:115], v[10:11], v[114:115]
	v_add_f64_e32 v[12:13], v[14:15], v[12:13]
	v_add_f64_e32 v[14:15], v[144:145], v[162:163]
	v_fmac_f64_e32 v[156:157], v[6:7], v[20:21]
	v_fma_f64 v[20:21], v[4:5], v[20:21], -v[22:23]
	v_fmac_f64_e32 v[18:19], v[10:11], v[112:113]
	v_fma_f64 v[8:9], v[8:9], v[112:113], -v[114:115]
	v_add_f64_e32 v[16:17], v[12:13], v[16:17]
	v_add_f64_e32 v[22:23], v[14:15], v[146:147]
	ds_load_b128 v[4:7], v2 offset:1264
	ds_load_b128 v[12:15], v2 offset:1280
	s_wait_loadcnt_dscnt 0x701
	v_mul_f64_e32 v[144:145], v[4:5], v[118:119]
	v_mul_f64_e32 v[118:119], v[6:7], v[118:119]
	v_add_f64_e32 v[10:11], v[16:17], v[20:21]
	v_add_f64_e32 v[16:17], v[22:23], v[156:157]
	s_wait_loadcnt_dscnt 0x600
	v_mul_f64_e32 v[20:21], v[12:13], v[122:123]
	v_mul_f64_e32 v[22:23], v[14:15], v[122:123]
	v_fmac_f64_e32 v[144:145], v[6:7], v[116:117]
	v_fma_f64 v[112:113], v[4:5], v[116:117], -v[118:119]
	v_add_f64_e32 v[114:115], v[10:11], v[8:9]
	v_add_f64_e32 v[16:17], v[16:17], v[18:19]
	ds_load_b128 v[4:7], v2 offset:1296
	ds_load_b128 v[8:11], v2 offset:1312
	v_fmac_f64_e32 v[20:21], v[14:15], v[120:121]
	v_fma_f64 v[12:13], v[12:13], v[120:121], -v[22:23]
	s_wait_loadcnt_dscnt 0x501
	v_mul_f64_e32 v[18:19], v[4:5], v[126:127]
	v_mul_f64_e32 v[116:117], v[6:7], v[126:127]
	s_wait_loadcnt_dscnt 0x400
	v_mul_f64_e32 v[22:23], v[8:9], v[130:131]
	v_add_f64_e32 v[14:15], v[114:115], v[112:113]
	v_add_f64_e32 v[16:17], v[16:17], v[144:145]
	v_mul_f64_e32 v[112:113], v[10:11], v[130:131]
	v_fmac_f64_e32 v[18:19], v[6:7], v[124:125]
	v_fma_f64 v[114:115], v[4:5], v[124:125], -v[116:117]
	v_fmac_f64_e32 v[22:23], v[10:11], v[128:129]
	v_add_f64_e32 v[116:117], v[14:15], v[12:13]
	v_add_f64_e32 v[16:17], v[16:17], v[20:21]
	ds_load_b128 v[4:7], v2 offset:1328
	ds_load_b128 v[12:15], v2 offset:1344
	v_fma_f64 v[8:9], v[8:9], v[128:129], -v[112:113]
	s_wait_loadcnt_dscnt 0x301
	v_mul_f64_e32 v[20:21], v[4:5], v[138:139]
	v_mul_f64_e32 v[118:119], v[6:7], v[138:139]
	s_wait_loadcnt_dscnt 0x100
	v_mul_f64_e32 v[112:113], v[14:15], v[150:151]
	v_add_f64_e32 v[10:11], v[116:117], v[114:115]
	v_add_f64_e32 v[16:17], v[16:17], v[18:19]
	v_mul_f64_e32 v[18:19], v[12:13], v[150:151]
	v_fmac_f64_e32 v[20:21], v[6:7], v[136:137]
	v_fma_f64 v[114:115], v[4:5], v[136:137], -v[118:119]
	ds_load_b128 v[4:7], v2 offset:1360
	v_fma_f64 v[12:13], v[12:13], v[148:149], -v[112:113]
	v_add_f64_e32 v[8:9], v[10:11], v[8:9]
	v_add_f64_e32 v[10:11], v[16:17], v[22:23]
	v_fmac_f64_e32 v[18:19], v[14:15], v[148:149]
	s_wait_loadcnt_dscnt 0x0
	v_mul_f64_e32 v[16:17], v[4:5], v[134:135]
	v_mul_f64_e32 v[22:23], v[6:7], v[134:135]
	v_add_f64_e32 v[8:9], v[8:9], v[114:115]
	v_add_f64_e32 v[10:11], v[10:11], v[20:21]
	s_delay_alu instid0(VALU_DEP_4) | instskip(NEXT) | instid1(VALU_DEP_4)
	v_fmac_f64_e32 v[16:17], v[6:7], v[132:133]
	v_fma_f64 v[4:5], v[4:5], v[132:133], -v[22:23]
	s_delay_alu instid0(VALU_DEP_4) | instskip(NEXT) | instid1(VALU_DEP_4)
	v_add_f64_e32 v[6:7], v[8:9], v[12:13]
	v_add_f64_e32 v[8:9], v[10:11], v[18:19]
	s_delay_alu instid0(VALU_DEP_2) | instskip(NEXT) | instid1(VALU_DEP_2)
	v_add_f64_e32 v[4:5], v[6:7], v[4:5]
	v_add_f64_e32 v[6:7], v[8:9], v[16:17]
	s_delay_alu instid0(VALU_DEP_2) | instskip(NEXT) | instid1(VALU_DEP_2)
	v_add_f64_e64 v[4:5], v[140:141], -v[4:5]
	v_add_f64_e64 v[6:7], v[142:143], -v[6:7]
	scratch_store_b128 off, v[4:7], off offset:464
	s_wait_xcnt 0x0
	v_cmpx_lt_u32_e32 28, v1
	s_cbranch_execz .LBB42_215
; %bb.214:
	scratch_load_b128 v[6:9], off, s27
	v_dual_mov_b32 v3, v2 :: v_dual_mov_b32 v4, v2
	v_mov_b32_e32 v5, v2
	scratch_store_b128 off, v[2:5], off offset:448
	s_wait_loadcnt 0x0
	ds_store_b128 v110, v[6:9]
.LBB42_215:
	s_wait_xcnt 0x0
	s_or_b32 exec_lo, exec_lo, s2
	s_wait_storecnt_dscnt 0x0
	s_barrier_signal -1
	s_barrier_wait -1
	s_clause 0x9
	scratch_load_b128 v[4:7], off, off offset:464
	scratch_load_b128 v[8:11], off, off offset:480
	scratch_load_b128 v[12:15], off, off offset:496
	scratch_load_b128 v[16:19], off, off offset:512
	scratch_load_b128 v[20:23], off, off offset:528
	scratch_load_b128 v[112:115], off, off offset:544
	scratch_load_b128 v[116:119], off, off offset:560
	scratch_load_b128 v[120:123], off, off offset:576
	scratch_load_b128 v[124:127], off, off offset:592
	scratch_load_b128 v[128:131], off, off offset:608
	ds_load_b128 v[132:135], v2 offset:1152
	ds_load_b128 v[140:143], v2 offset:1168
	s_clause 0x2
	scratch_load_b128 v[136:139], off, off offset:624
	scratch_load_b128 v[144:147], off, off offset:448
	;; [unrolled: 1-line block ×3, first 2 shown]
	s_mov_b32 s2, exec_lo
	s_wait_loadcnt_dscnt 0xc01
	v_mul_f64_e32 v[152:153], v[134:135], v[6:7]
	v_mul_f64_e32 v[156:157], v[132:133], v[6:7]
	s_wait_loadcnt_dscnt 0xb00
	v_mul_f64_e32 v[158:159], v[140:141], v[10:11]
	v_mul_f64_e32 v[10:11], v[142:143], v[10:11]
	s_delay_alu instid0(VALU_DEP_4) | instskip(NEXT) | instid1(VALU_DEP_4)
	v_fma_f64 v[160:161], v[132:133], v[4:5], -v[152:153]
	v_fmac_f64_e32 v[156:157], v[134:135], v[4:5]
	ds_load_b128 v[4:7], v2 offset:1184
	ds_load_b128 v[132:135], v2 offset:1200
	scratch_load_b128 v[152:155], off, off offset:656
	v_fmac_f64_e32 v[158:159], v[142:143], v[8:9]
	v_fma_f64 v[140:141], v[140:141], v[8:9], -v[10:11]
	scratch_load_b128 v[8:11], off, off offset:672
	s_wait_loadcnt_dscnt 0xc01
	v_mul_f64_e32 v[162:163], v[4:5], v[14:15]
	v_mul_f64_e32 v[14:15], v[6:7], v[14:15]
	v_add_f64_e32 v[142:143], 0, v[160:161]
	v_add_f64_e32 v[156:157], 0, v[156:157]
	s_wait_loadcnt_dscnt 0xb00
	v_mul_f64_e32 v[160:161], v[132:133], v[18:19]
	v_mul_f64_e32 v[18:19], v[134:135], v[18:19]
	v_fmac_f64_e32 v[162:163], v[6:7], v[12:13]
	v_fma_f64 v[164:165], v[4:5], v[12:13], -v[14:15]
	ds_load_b128 v[4:7], v2 offset:1216
	ds_load_b128 v[12:15], v2 offset:1232
	v_add_f64_e32 v[140:141], v[142:143], v[140:141]
	v_add_f64_e32 v[142:143], v[156:157], v[158:159]
	v_fmac_f64_e32 v[160:161], v[134:135], v[16:17]
	v_fma_f64 v[16:17], v[132:133], v[16:17], -v[18:19]
	s_wait_loadcnt_dscnt 0xa01
	v_mul_f64_e32 v[156:157], v[4:5], v[22:23]
	v_mul_f64_e32 v[22:23], v[6:7], v[22:23]
	s_wait_loadcnt_dscnt 0x900
	v_mul_f64_e32 v[134:135], v[12:13], v[114:115]
	v_mul_f64_e32 v[114:115], v[14:15], v[114:115]
	v_add_f64_e32 v[18:19], v[140:141], v[164:165]
	v_add_f64_e32 v[132:133], v[142:143], v[162:163]
	v_fmac_f64_e32 v[156:157], v[6:7], v[20:21]
	v_fma_f64 v[20:21], v[4:5], v[20:21], -v[22:23]
	v_fmac_f64_e32 v[134:135], v[14:15], v[112:113]
	v_fma_f64 v[12:13], v[12:13], v[112:113], -v[114:115]
	v_add_f64_e32 v[22:23], v[18:19], v[16:17]
	v_add_f64_e32 v[132:133], v[132:133], v[160:161]
	ds_load_b128 v[4:7], v2 offset:1248
	ds_load_b128 v[16:19], v2 offset:1264
	s_wait_loadcnt_dscnt 0x801
	v_mul_f64_e32 v[140:141], v[4:5], v[118:119]
	v_mul_f64_e32 v[118:119], v[6:7], v[118:119]
	s_wait_loadcnt_dscnt 0x700
	v_mul_f64_e32 v[112:113], v[18:19], v[122:123]
	v_add_f64_e32 v[14:15], v[22:23], v[20:21]
	v_add_f64_e32 v[20:21], v[132:133], v[156:157]
	v_mul_f64_e32 v[22:23], v[16:17], v[122:123]
	v_fmac_f64_e32 v[140:141], v[6:7], v[116:117]
	v_fma_f64 v[114:115], v[4:5], v[116:117], -v[118:119]
	v_fma_f64 v[16:17], v[16:17], v[120:121], -v[112:113]
	v_add_f64_e32 v[116:117], v[14:15], v[12:13]
	v_add_f64_e32 v[20:21], v[20:21], v[134:135]
	ds_load_b128 v[4:7], v2 offset:1280
	ds_load_b128 v[12:15], v2 offset:1296
	v_fmac_f64_e32 v[22:23], v[18:19], v[120:121]
	s_wait_loadcnt_dscnt 0x601
	v_mul_f64_e32 v[118:119], v[4:5], v[126:127]
	v_mul_f64_e32 v[122:123], v[6:7], v[126:127]
	s_wait_loadcnt_dscnt 0x500
	v_mul_f64_e32 v[112:113], v[12:13], v[130:131]
	v_add_f64_e32 v[18:19], v[116:117], v[114:115]
	v_add_f64_e32 v[20:21], v[20:21], v[140:141]
	v_mul_f64_e32 v[114:115], v[14:15], v[130:131]
	v_fmac_f64_e32 v[118:119], v[6:7], v[124:125]
	v_fma_f64 v[116:117], v[4:5], v[124:125], -v[122:123]
	v_fmac_f64_e32 v[112:113], v[14:15], v[128:129]
	v_add_f64_e32 v[120:121], v[18:19], v[16:17]
	v_add_f64_e32 v[20:21], v[20:21], v[22:23]
	ds_load_b128 v[4:7], v2 offset:1312
	ds_load_b128 v[16:19], v2 offset:1328
	v_fma_f64 v[12:13], v[12:13], v[128:129], -v[114:115]
	s_wait_loadcnt_dscnt 0x401
	v_mul_f64_e32 v[22:23], v[4:5], v[138:139]
	v_mul_f64_e32 v[122:123], v[6:7], v[138:139]
	s_wait_loadcnt_dscnt 0x200
	v_mul_f64_e32 v[114:115], v[16:17], v[150:151]
	v_add_f64_e32 v[14:15], v[120:121], v[116:117]
	v_add_f64_e32 v[20:21], v[20:21], v[118:119]
	v_mul_f64_e32 v[116:117], v[18:19], v[150:151]
	v_fmac_f64_e32 v[22:23], v[6:7], v[136:137]
	v_fma_f64 v[118:119], v[4:5], v[136:137], -v[122:123]
	v_fmac_f64_e32 v[114:115], v[18:19], v[148:149]
	v_add_f64_e32 v[120:121], v[14:15], v[12:13]
	v_add_f64_e32 v[20:21], v[20:21], v[112:113]
	ds_load_b128 v[4:7], v2 offset:1344
	ds_load_b128 v[12:15], v2 offset:1360
	v_fma_f64 v[16:17], v[16:17], v[148:149], -v[116:117]
	s_wait_loadcnt_dscnt 0x101
	v_mul_f64_e32 v[2:3], v[4:5], v[154:155]
	v_mul_f64_e32 v[112:113], v[6:7], v[154:155]
	v_add_f64_e32 v[18:19], v[120:121], v[118:119]
	v_add_f64_e32 v[20:21], v[20:21], v[22:23]
	s_wait_loadcnt_dscnt 0x0
	v_mul_f64_e32 v[22:23], v[12:13], v[10:11]
	v_mul_f64_e32 v[10:11], v[14:15], v[10:11]
	v_fmac_f64_e32 v[2:3], v[6:7], v[152:153]
	v_fma_f64 v[4:5], v[4:5], v[152:153], -v[112:113]
	v_add_f64_e32 v[6:7], v[18:19], v[16:17]
	v_add_f64_e32 v[16:17], v[20:21], v[114:115]
	v_fmac_f64_e32 v[22:23], v[14:15], v[8:9]
	v_fma_f64 v[8:9], v[12:13], v[8:9], -v[10:11]
	s_delay_alu instid0(VALU_DEP_4) | instskip(NEXT) | instid1(VALU_DEP_4)
	v_add_f64_e32 v[4:5], v[6:7], v[4:5]
	v_add_f64_e32 v[2:3], v[16:17], v[2:3]
	s_delay_alu instid0(VALU_DEP_2) | instskip(NEXT) | instid1(VALU_DEP_2)
	v_add_f64_e32 v[4:5], v[4:5], v[8:9]
	v_add_f64_e32 v[6:7], v[2:3], v[22:23]
	s_delay_alu instid0(VALU_DEP_2) | instskip(NEXT) | instid1(VALU_DEP_2)
	v_add_f64_e64 v[2:3], v[144:145], -v[4:5]
	v_add_f64_e64 v[4:5], v[146:147], -v[6:7]
	scratch_store_b128 off, v[2:5], off offset:448
	s_wait_xcnt 0x0
	v_cmpx_lt_u32_e32 27, v1
	s_cbranch_execz .LBB42_217
; %bb.216:
	scratch_load_b128 v[2:5], off, s26
	v_mov_b32_e32 v6, 0
	s_delay_alu instid0(VALU_DEP_1)
	v_dual_mov_b32 v7, v6 :: v_dual_mov_b32 v8, v6
	v_mov_b32_e32 v9, v6
	scratch_store_b128 off, v[6:9], off offset:432
	s_wait_loadcnt 0x0
	ds_store_b128 v110, v[2:5]
.LBB42_217:
	s_wait_xcnt 0x0
	s_or_b32 exec_lo, exec_lo, s2
	s_wait_storecnt_dscnt 0x0
	s_barrier_signal -1
	s_barrier_wait -1
	s_clause 0x9
	scratch_load_b128 v[4:7], off, off offset:448
	scratch_load_b128 v[8:11], off, off offset:464
	;; [unrolled: 1-line block ×10, first 2 shown]
	v_mov_b32_e32 v2, 0
	s_mov_b32 s2, exec_lo
	ds_load_b128 v[132:135], v2 offset:1136
	s_clause 0x2
	scratch_load_b128 v[136:139], off, off offset:608
	scratch_load_b128 v[140:143], off, off offset:432
	;; [unrolled: 1-line block ×3, first 2 shown]
	s_wait_loadcnt_dscnt 0xc00
	v_mul_f64_e32 v[152:153], v[134:135], v[6:7]
	v_mul_f64_e32 v[156:157], v[132:133], v[6:7]
	ds_load_b128 v[144:147], v2 offset:1152
	v_fma_f64 v[160:161], v[132:133], v[4:5], -v[152:153]
	v_fmac_f64_e32 v[156:157], v[134:135], v[4:5]
	ds_load_b128 v[4:7], v2 offset:1168
	s_wait_loadcnt_dscnt 0xb01
	v_mul_f64_e32 v[158:159], v[144:145], v[10:11]
	v_mul_f64_e32 v[10:11], v[146:147], v[10:11]
	scratch_load_b128 v[132:135], off, off offset:640
	ds_load_b128 v[152:155], v2 offset:1184
	s_wait_loadcnt_dscnt 0xb01
	v_mul_f64_e32 v[162:163], v[4:5], v[14:15]
	v_mul_f64_e32 v[14:15], v[6:7], v[14:15]
	v_add_f64_e32 v[156:157], 0, v[156:157]
	v_fmac_f64_e32 v[158:159], v[146:147], v[8:9]
	v_fma_f64 v[144:145], v[144:145], v[8:9], -v[10:11]
	v_add_f64_e32 v[146:147], 0, v[160:161]
	scratch_load_b128 v[8:11], off, off offset:656
	v_fmac_f64_e32 v[162:163], v[6:7], v[12:13]
	v_fma_f64 v[164:165], v[4:5], v[12:13], -v[14:15]
	ds_load_b128 v[4:7], v2 offset:1200
	s_wait_loadcnt_dscnt 0xb01
	v_mul_f64_e32 v[160:161], v[152:153], v[18:19]
	v_mul_f64_e32 v[18:19], v[154:155], v[18:19]
	scratch_load_b128 v[12:15], off, off offset:672
	v_add_f64_e32 v[156:157], v[156:157], v[158:159]
	v_add_f64_e32 v[166:167], v[146:147], v[144:145]
	ds_load_b128 v[144:147], v2 offset:1216
	s_wait_loadcnt_dscnt 0xb01
	v_mul_f64_e32 v[158:159], v[4:5], v[22:23]
	v_mul_f64_e32 v[22:23], v[6:7], v[22:23]
	v_fmac_f64_e32 v[160:161], v[154:155], v[16:17]
	v_fma_f64 v[16:17], v[152:153], v[16:17], -v[18:19]
	s_wait_loadcnt_dscnt 0xa00
	v_mul_f64_e32 v[154:155], v[144:145], v[114:115]
	v_mul_f64_e32 v[114:115], v[146:147], v[114:115]
	v_add_f64_e32 v[152:153], v[156:157], v[162:163]
	v_add_f64_e32 v[18:19], v[166:167], v[164:165]
	v_fmac_f64_e32 v[158:159], v[6:7], v[20:21]
	v_fma_f64 v[20:21], v[4:5], v[20:21], -v[22:23]
	v_fmac_f64_e32 v[154:155], v[146:147], v[112:113]
	v_fma_f64 v[112:113], v[144:145], v[112:113], -v[114:115]
	v_add_f64_e32 v[152:153], v[152:153], v[160:161]
	v_add_f64_e32 v[22:23], v[18:19], v[16:17]
	ds_load_b128 v[4:7], v2 offset:1232
	ds_load_b128 v[16:19], v2 offset:1248
	s_wait_loadcnt_dscnt 0x901
	v_mul_f64_e32 v[156:157], v[4:5], v[118:119]
	v_mul_f64_e32 v[118:119], v[6:7], v[118:119]
	s_wait_loadcnt_dscnt 0x800
	v_mul_f64_e32 v[114:115], v[16:17], v[122:123]
	v_mul_f64_e32 v[122:123], v[18:19], v[122:123]
	v_add_f64_e32 v[20:21], v[22:23], v[20:21]
	v_add_f64_e32 v[22:23], v[152:153], v[158:159]
	v_fmac_f64_e32 v[156:157], v[6:7], v[116:117]
	v_fma_f64 v[116:117], v[4:5], v[116:117], -v[118:119]
	v_fmac_f64_e32 v[114:115], v[18:19], v[120:121]
	v_fma_f64 v[16:17], v[16:17], v[120:121], -v[122:123]
	v_add_f64_e32 v[112:113], v[20:21], v[112:113]
	v_add_f64_e32 v[118:119], v[22:23], v[154:155]
	ds_load_b128 v[4:7], v2 offset:1264
	ds_load_b128 v[20:23], v2 offset:1280
	s_wait_loadcnt_dscnt 0x701
	v_mul_f64_e32 v[144:145], v[4:5], v[126:127]
	v_mul_f64_e32 v[126:127], v[6:7], v[126:127]
	v_add_f64_e32 v[18:19], v[112:113], v[116:117]
	v_add_f64_e32 v[112:113], v[118:119], v[156:157]
	s_wait_loadcnt_dscnt 0x600
	v_mul_f64_e32 v[116:117], v[20:21], v[130:131]
	v_mul_f64_e32 v[118:119], v[22:23], v[130:131]
	v_fmac_f64_e32 v[144:145], v[6:7], v[124:125]
	v_fma_f64 v[120:121], v[4:5], v[124:125], -v[126:127]
	v_add_f64_e32 v[122:123], v[18:19], v[16:17]
	v_add_f64_e32 v[112:113], v[112:113], v[114:115]
	ds_load_b128 v[4:7], v2 offset:1296
	ds_load_b128 v[16:19], v2 offset:1312
	v_fmac_f64_e32 v[116:117], v[22:23], v[128:129]
	v_fma_f64 v[20:21], v[20:21], v[128:129], -v[118:119]
	s_wait_loadcnt_dscnt 0x501
	v_mul_f64_e32 v[114:115], v[4:5], v[138:139]
	v_mul_f64_e32 v[124:125], v[6:7], v[138:139]
	s_wait_loadcnt_dscnt 0x300
	v_mul_f64_e32 v[118:119], v[16:17], v[150:151]
	v_add_f64_e32 v[22:23], v[122:123], v[120:121]
	v_add_f64_e32 v[112:113], v[112:113], v[144:145]
	v_mul_f64_e32 v[120:121], v[18:19], v[150:151]
	v_fmac_f64_e32 v[114:115], v[6:7], v[136:137]
	v_fma_f64 v[122:123], v[4:5], v[136:137], -v[124:125]
	v_fmac_f64_e32 v[118:119], v[18:19], v[148:149]
	v_add_f64_e32 v[124:125], v[22:23], v[20:21]
	v_add_f64_e32 v[112:113], v[112:113], v[116:117]
	ds_load_b128 v[4:7], v2 offset:1328
	ds_load_b128 v[20:23], v2 offset:1344
	v_fma_f64 v[16:17], v[16:17], v[148:149], -v[120:121]
	s_wait_loadcnt_dscnt 0x201
	v_mul_f64_e32 v[116:117], v[4:5], v[134:135]
	v_mul_f64_e32 v[126:127], v[6:7], v[134:135]
	v_add_f64_e32 v[18:19], v[124:125], v[122:123]
	v_add_f64_e32 v[112:113], v[112:113], v[114:115]
	s_wait_loadcnt_dscnt 0x100
	v_mul_f64_e32 v[114:115], v[20:21], v[10:11]
	v_mul_f64_e32 v[10:11], v[22:23], v[10:11]
	v_fmac_f64_e32 v[116:117], v[6:7], v[132:133]
	v_fma_f64 v[120:121], v[4:5], v[132:133], -v[126:127]
	ds_load_b128 v[4:7], v2 offset:1360
	v_add_f64_e32 v[16:17], v[18:19], v[16:17]
	v_add_f64_e32 v[18:19], v[112:113], v[118:119]
	v_fmac_f64_e32 v[114:115], v[22:23], v[8:9]
	v_fma_f64 v[8:9], v[20:21], v[8:9], -v[10:11]
	s_wait_loadcnt_dscnt 0x0
	v_mul_f64_e32 v[112:113], v[4:5], v[14:15]
	v_mul_f64_e32 v[14:15], v[6:7], v[14:15]
	v_add_f64_e32 v[10:11], v[16:17], v[120:121]
	v_add_f64_e32 v[16:17], v[18:19], v[116:117]
	s_delay_alu instid0(VALU_DEP_4) | instskip(NEXT) | instid1(VALU_DEP_4)
	v_fmac_f64_e32 v[112:113], v[6:7], v[12:13]
	v_fma_f64 v[4:5], v[4:5], v[12:13], -v[14:15]
	s_delay_alu instid0(VALU_DEP_4) | instskip(NEXT) | instid1(VALU_DEP_4)
	v_add_f64_e32 v[6:7], v[10:11], v[8:9]
	v_add_f64_e32 v[8:9], v[16:17], v[114:115]
	s_delay_alu instid0(VALU_DEP_2) | instskip(NEXT) | instid1(VALU_DEP_2)
	v_add_f64_e32 v[4:5], v[6:7], v[4:5]
	v_add_f64_e32 v[6:7], v[8:9], v[112:113]
	s_delay_alu instid0(VALU_DEP_2) | instskip(NEXT) | instid1(VALU_DEP_2)
	v_add_f64_e64 v[4:5], v[140:141], -v[4:5]
	v_add_f64_e64 v[6:7], v[142:143], -v[6:7]
	scratch_store_b128 off, v[4:7], off offset:432
	s_wait_xcnt 0x0
	v_cmpx_lt_u32_e32 26, v1
	s_cbranch_execz .LBB42_219
; %bb.218:
	scratch_load_b128 v[6:9], off, s29
	v_dual_mov_b32 v3, v2 :: v_dual_mov_b32 v4, v2
	v_mov_b32_e32 v5, v2
	scratch_store_b128 off, v[2:5], off offset:416
	s_wait_loadcnt 0x0
	ds_store_b128 v110, v[6:9]
.LBB42_219:
	s_wait_xcnt 0x0
	s_or_b32 exec_lo, exec_lo, s2
	s_wait_storecnt_dscnt 0x0
	s_barrier_signal -1
	s_barrier_wait -1
	s_clause 0x9
	scratch_load_b128 v[4:7], off, off offset:432
	scratch_load_b128 v[8:11], off, off offset:448
	;; [unrolled: 1-line block ×10, first 2 shown]
	ds_load_b128 v[132:135], v2 offset:1120
	ds_load_b128 v[140:143], v2 offset:1136
	s_clause 0x2
	scratch_load_b128 v[136:139], off, off offset:592
	scratch_load_b128 v[144:147], off, off offset:416
	;; [unrolled: 1-line block ×3, first 2 shown]
	s_mov_b32 s2, exec_lo
	s_wait_loadcnt_dscnt 0xc01
	v_mul_f64_e32 v[152:153], v[134:135], v[6:7]
	v_mul_f64_e32 v[156:157], v[132:133], v[6:7]
	s_wait_loadcnt_dscnt 0xb00
	v_mul_f64_e32 v[158:159], v[140:141], v[10:11]
	v_mul_f64_e32 v[10:11], v[142:143], v[10:11]
	s_delay_alu instid0(VALU_DEP_4) | instskip(NEXT) | instid1(VALU_DEP_4)
	v_fma_f64 v[160:161], v[132:133], v[4:5], -v[152:153]
	v_fmac_f64_e32 v[156:157], v[134:135], v[4:5]
	ds_load_b128 v[4:7], v2 offset:1152
	ds_load_b128 v[132:135], v2 offset:1168
	scratch_load_b128 v[152:155], off, off offset:624
	v_fmac_f64_e32 v[158:159], v[142:143], v[8:9]
	v_fma_f64 v[140:141], v[140:141], v[8:9], -v[10:11]
	scratch_load_b128 v[8:11], off, off offset:640
	s_wait_loadcnt_dscnt 0xc01
	v_mul_f64_e32 v[162:163], v[4:5], v[14:15]
	v_mul_f64_e32 v[14:15], v[6:7], v[14:15]
	v_add_f64_e32 v[142:143], 0, v[160:161]
	v_add_f64_e32 v[156:157], 0, v[156:157]
	s_wait_loadcnt_dscnt 0xb00
	v_mul_f64_e32 v[160:161], v[132:133], v[18:19]
	v_mul_f64_e32 v[18:19], v[134:135], v[18:19]
	v_fmac_f64_e32 v[162:163], v[6:7], v[12:13]
	v_fma_f64 v[164:165], v[4:5], v[12:13], -v[14:15]
	ds_load_b128 v[4:7], v2 offset:1184
	ds_load_b128 v[12:15], v2 offset:1200
	v_add_f64_e32 v[166:167], v[142:143], v[140:141]
	v_add_f64_e32 v[156:157], v[156:157], v[158:159]
	scratch_load_b128 v[140:143], off, off offset:656
	v_fmac_f64_e32 v[160:161], v[134:135], v[16:17]
	v_fma_f64 v[132:133], v[132:133], v[16:17], -v[18:19]
	scratch_load_b128 v[16:19], off, off offset:672
	s_wait_loadcnt_dscnt 0xc01
	v_mul_f64_e32 v[158:159], v[4:5], v[22:23]
	v_mul_f64_e32 v[22:23], v[6:7], v[22:23]
	v_add_f64_e32 v[134:135], v[166:167], v[164:165]
	v_add_f64_e32 v[156:157], v[156:157], v[162:163]
	s_wait_loadcnt_dscnt 0xb00
	v_mul_f64_e32 v[162:163], v[12:13], v[114:115]
	v_mul_f64_e32 v[114:115], v[14:15], v[114:115]
	v_fmac_f64_e32 v[158:159], v[6:7], v[20:21]
	v_fma_f64 v[164:165], v[4:5], v[20:21], -v[22:23]
	ds_load_b128 v[4:7], v2 offset:1216
	ds_load_b128 v[20:23], v2 offset:1232
	v_add_f64_e32 v[132:133], v[134:135], v[132:133]
	v_add_f64_e32 v[134:135], v[156:157], v[160:161]
	s_wait_loadcnt_dscnt 0xa01
	v_mul_f64_e32 v[156:157], v[4:5], v[118:119]
	v_mul_f64_e32 v[118:119], v[6:7], v[118:119]
	v_fmac_f64_e32 v[162:163], v[14:15], v[112:113]
	v_fma_f64 v[12:13], v[12:13], v[112:113], -v[114:115]
	s_wait_loadcnt_dscnt 0x900
	v_mul_f64_e32 v[114:115], v[20:21], v[122:123]
	v_mul_f64_e32 v[122:123], v[22:23], v[122:123]
	v_add_f64_e32 v[14:15], v[132:133], v[164:165]
	v_add_f64_e32 v[112:113], v[134:135], v[158:159]
	v_fmac_f64_e32 v[156:157], v[6:7], v[116:117]
	v_fma_f64 v[116:117], v[4:5], v[116:117], -v[118:119]
	v_fmac_f64_e32 v[114:115], v[22:23], v[120:121]
	v_fma_f64 v[20:21], v[20:21], v[120:121], -v[122:123]
	v_add_f64_e32 v[118:119], v[14:15], v[12:13]
	v_add_f64_e32 v[112:113], v[112:113], v[162:163]
	ds_load_b128 v[4:7], v2 offset:1248
	ds_load_b128 v[12:15], v2 offset:1264
	s_wait_loadcnt_dscnt 0x801
	v_mul_f64_e32 v[132:133], v[4:5], v[126:127]
	v_mul_f64_e32 v[126:127], v[6:7], v[126:127]
	v_add_f64_e32 v[22:23], v[118:119], v[116:117]
	v_add_f64_e32 v[112:113], v[112:113], v[156:157]
	s_wait_loadcnt_dscnt 0x700
	v_mul_f64_e32 v[116:117], v[12:13], v[130:131]
	v_mul_f64_e32 v[118:119], v[14:15], v[130:131]
	v_fmac_f64_e32 v[132:133], v[6:7], v[124:125]
	v_fma_f64 v[120:121], v[4:5], v[124:125], -v[126:127]
	v_add_f64_e32 v[122:123], v[22:23], v[20:21]
	v_add_f64_e32 v[112:113], v[112:113], v[114:115]
	ds_load_b128 v[4:7], v2 offset:1280
	ds_load_b128 v[20:23], v2 offset:1296
	v_fmac_f64_e32 v[116:117], v[14:15], v[128:129]
	v_fma_f64 v[12:13], v[12:13], v[128:129], -v[118:119]
	s_wait_loadcnt_dscnt 0x601
	v_mul_f64_e32 v[114:115], v[4:5], v[138:139]
	v_mul_f64_e32 v[124:125], v[6:7], v[138:139]
	s_wait_loadcnt_dscnt 0x400
	v_mul_f64_e32 v[118:119], v[20:21], v[150:151]
	v_add_f64_e32 v[14:15], v[122:123], v[120:121]
	v_add_f64_e32 v[112:113], v[112:113], v[132:133]
	v_mul_f64_e32 v[120:121], v[22:23], v[150:151]
	v_fmac_f64_e32 v[114:115], v[6:7], v[136:137]
	v_fma_f64 v[122:123], v[4:5], v[136:137], -v[124:125]
	v_fmac_f64_e32 v[118:119], v[22:23], v[148:149]
	v_add_f64_e32 v[124:125], v[14:15], v[12:13]
	v_add_f64_e32 v[112:113], v[112:113], v[116:117]
	ds_load_b128 v[4:7], v2 offset:1312
	ds_load_b128 v[12:15], v2 offset:1328
	v_fma_f64 v[20:21], v[20:21], v[148:149], -v[120:121]
	s_wait_loadcnt_dscnt 0x301
	v_mul_f64_e32 v[116:117], v[4:5], v[154:155]
	v_mul_f64_e32 v[126:127], v[6:7], v[154:155]
	v_add_f64_e32 v[22:23], v[124:125], v[122:123]
	v_add_f64_e32 v[112:113], v[112:113], v[114:115]
	s_wait_loadcnt_dscnt 0x200
	v_mul_f64_e32 v[114:115], v[12:13], v[10:11]
	v_mul_f64_e32 v[10:11], v[14:15], v[10:11]
	v_fmac_f64_e32 v[116:117], v[6:7], v[152:153]
	v_fma_f64 v[120:121], v[4:5], v[152:153], -v[126:127]
	v_add_f64_e32 v[122:123], v[22:23], v[20:21]
	v_add_f64_e32 v[112:113], v[112:113], v[118:119]
	ds_load_b128 v[4:7], v2 offset:1344
	ds_load_b128 v[20:23], v2 offset:1360
	v_fmac_f64_e32 v[114:115], v[14:15], v[8:9]
	v_fma_f64 v[8:9], v[12:13], v[8:9], -v[10:11]
	s_wait_loadcnt_dscnt 0x101
	v_mul_f64_e32 v[2:3], v[4:5], v[142:143]
	v_mul_f64_e32 v[118:119], v[6:7], v[142:143]
	s_wait_loadcnt_dscnt 0x0
	v_mul_f64_e32 v[14:15], v[20:21], v[18:19]
	v_mul_f64_e32 v[18:19], v[22:23], v[18:19]
	v_add_f64_e32 v[10:11], v[122:123], v[120:121]
	v_add_f64_e32 v[12:13], v[112:113], v[116:117]
	v_fmac_f64_e32 v[2:3], v[6:7], v[140:141]
	v_fma_f64 v[4:5], v[4:5], v[140:141], -v[118:119]
	v_fmac_f64_e32 v[14:15], v[22:23], v[16:17]
	v_add_f64_e32 v[6:7], v[10:11], v[8:9]
	v_add_f64_e32 v[8:9], v[12:13], v[114:115]
	v_fma_f64 v[10:11], v[20:21], v[16:17], -v[18:19]
	s_delay_alu instid0(VALU_DEP_3) | instskip(NEXT) | instid1(VALU_DEP_3)
	v_add_f64_e32 v[4:5], v[6:7], v[4:5]
	v_add_f64_e32 v[2:3], v[8:9], v[2:3]
	s_delay_alu instid0(VALU_DEP_2) | instskip(NEXT) | instid1(VALU_DEP_2)
	v_add_f64_e32 v[4:5], v[4:5], v[10:11]
	v_add_f64_e32 v[6:7], v[2:3], v[14:15]
	s_delay_alu instid0(VALU_DEP_2) | instskip(NEXT) | instid1(VALU_DEP_2)
	v_add_f64_e64 v[2:3], v[144:145], -v[4:5]
	v_add_f64_e64 v[4:5], v[146:147], -v[6:7]
	scratch_store_b128 off, v[2:5], off offset:416
	s_wait_xcnt 0x0
	v_cmpx_lt_u32_e32 25, v1
	s_cbranch_execz .LBB42_221
; %bb.220:
	scratch_load_b128 v[2:5], off, s28
	v_mov_b32_e32 v6, 0
	s_delay_alu instid0(VALU_DEP_1)
	v_dual_mov_b32 v7, v6 :: v_dual_mov_b32 v8, v6
	v_mov_b32_e32 v9, v6
	scratch_store_b128 off, v[6:9], off offset:400
	s_wait_loadcnt 0x0
	ds_store_b128 v110, v[2:5]
.LBB42_221:
	s_wait_xcnt 0x0
	s_or_b32 exec_lo, exec_lo, s2
	s_wait_storecnt_dscnt 0x0
	s_barrier_signal -1
	s_barrier_wait -1
	s_clause 0x9
	scratch_load_b128 v[4:7], off, off offset:416
	scratch_load_b128 v[8:11], off, off offset:432
	;; [unrolled: 1-line block ×10, first 2 shown]
	v_mov_b32_e32 v2, 0
	s_mov_b32 s2, exec_lo
	ds_load_b128 v[132:135], v2 offset:1104
	s_clause 0x2
	scratch_load_b128 v[136:139], off, off offset:576
	scratch_load_b128 v[140:143], off, off offset:400
	;; [unrolled: 1-line block ×3, first 2 shown]
	s_wait_loadcnt_dscnt 0xc00
	v_mul_f64_e32 v[152:153], v[134:135], v[6:7]
	v_mul_f64_e32 v[156:157], v[132:133], v[6:7]
	ds_load_b128 v[144:147], v2 offset:1120
	v_fma_f64 v[160:161], v[132:133], v[4:5], -v[152:153]
	v_fmac_f64_e32 v[156:157], v[134:135], v[4:5]
	ds_load_b128 v[4:7], v2 offset:1136
	s_wait_loadcnt_dscnt 0xb01
	v_mul_f64_e32 v[158:159], v[144:145], v[10:11]
	v_mul_f64_e32 v[10:11], v[146:147], v[10:11]
	scratch_load_b128 v[132:135], off, off offset:608
	ds_load_b128 v[152:155], v2 offset:1152
	s_wait_loadcnt_dscnt 0xb01
	v_mul_f64_e32 v[162:163], v[4:5], v[14:15]
	v_mul_f64_e32 v[14:15], v[6:7], v[14:15]
	v_add_f64_e32 v[156:157], 0, v[156:157]
	v_fmac_f64_e32 v[158:159], v[146:147], v[8:9]
	v_fma_f64 v[144:145], v[144:145], v[8:9], -v[10:11]
	v_add_f64_e32 v[146:147], 0, v[160:161]
	scratch_load_b128 v[8:11], off, off offset:624
	v_fmac_f64_e32 v[162:163], v[6:7], v[12:13]
	v_fma_f64 v[164:165], v[4:5], v[12:13], -v[14:15]
	ds_load_b128 v[4:7], v2 offset:1168
	s_wait_loadcnt_dscnt 0xb01
	v_mul_f64_e32 v[160:161], v[152:153], v[18:19]
	v_mul_f64_e32 v[18:19], v[154:155], v[18:19]
	scratch_load_b128 v[12:15], off, off offset:640
	v_add_f64_e32 v[156:157], v[156:157], v[158:159]
	v_add_f64_e32 v[166:167], v[146:147], v[144:145]
	ds_load_b128 v[144:147], v2 offset:1184
	s_wait_loadcnt_dscnt 0xb01
	v_mul_f64_e32 v[158:159], v[4:5], v[22:23]
	v_mul_f64_e32 v[22:23], v[6:7], v[22:23]
	v_fmac_f64_e32 v[160:161], v[154:155], v[16:17]
	v_fma_f64 v[152:153], v[152:153], v[16:17], -v[18:19]
	scratch_load_b128 v[16:19], off, off offset:656
	v_add_f64_e32 v[156:157], v[156:157], v[162:163]
	v_add_f64_e32 v[154:155], v[166:167], v[164:165]
	v_fmac_f64_e32 v[158:159], v[6:7], v[20:21]
	v_fma_f64 v[164:165], v[4:5], v[20:21], -v[22:23]
	ds_load_b128 v[4:7], v2 offset:1200
	s_wait_loadcnt_dscnt 0xb01
	v_mul_f64_e32 v[162:163], v[144:145], v[114:115]
	v_mul_f64_e32 v[114:115], v[146:147], v[114:115]
	scratch_load_b128 v[20:23], off, off offset:672
	v_add_f64_e32 v[156:157], v[156:157], v[160:161]
	s_wait_loadcnt_dscnt 0xb00
	v_mul_f64_e32 v[160:161], v[4:5], v[118:119]
	v_add_f64_e32 v[166:167], v[154:155], v[152:153]
	v_mul_f64_e32 v[118:119], v[6:7], v[118:119]
	ds_load_b128 v[152:155], v2 offset:1216
	v_fmac_f64_e32 v[162:163], v[146:147], v[112:113]
	v_fma_f64 v[112:113], v[144:145], v[112:113], -v[114:115]
	s_wait_loadcnt_dscnt 0xa00
	v_mul_f64_e32 v[146:147], v[152:153], v[122:123]
	v_mul_f64_e32 v[122:123], v[154:155], v[122:123]
	v_add_f64_e32 v[144:145], v[156:157], v[158:159]
	v_fmac_f64_e32 v[160:161], v[6:7], v[116:117]
	v_add_f64_e32 v[114:115], v[166:167], v[164:165]
	v_fma_f64 v[116:117], v[4:5], v[116:117], -v[118:119]
	v_fmac_f64_e32 v[146:147], v[154:155], v[120:121]
	v_fma_f64 v[120:121], v[152:153], v[120:121], -v[122:123]
	v_add_f64_e32 v[144:145], v[144:145], v[162:163]
	v_add_f64_e32 v[118:119], v[114:115], v[112:113]
	ds_load_b128 v[4:7], v2 offset:1232
	ds_load_b128 v[112:115], v2 offset:1248
	s_wait_loadcnt_dscnt 0x901
	v_mul_f64_e32 v[156:157], v[4:5], v[126:127]
	v_mul_f64_e32 v[126:127], v[6:7], v[126:127]
	s_wait_loadcnt_dscnt 0x800
	v_mul_f64_e32 v[122:123], v[112:113], v[130:131]
	v_mul_f64_e32 v[130:131], v[114:115], v[130:131]
	v_add_f64_e32 v[116:117], v[118:119], v[116:117]
	v_add_f64_e32 v[118:119], v[144:145], v[160:161]
	v_fmac_f64_e32 v[156:157], v[6:7], v[124:125]
	v_fma_f64 v[124:125], v[4:5], v[124:125], -v[126:127]
	v_fmac_f64_e32 v[122:123], v[114:115], v[128:129]
	v_fma_f64 v[112:113], v[112:113], v[128:129], -v[130:131]
	v_add_f64_e32 v[120:121], v[116:117], v[120:121]
	v_add_f64_e32 v[126:127], v[118:119], v[146:147]
	ds_load_b128 v[4:7], v2 offset:1264
	ds_load_b128 v[116:119], v2 offset:1280
	s_wait_loadcnt_dscnt 0x701
	v_mul_f64_e32 v[144:145], v[4:5], v[138:139]
	v_mul_f64_e32 v[138:139], v[6:7], v[138:139]
	v_add_f64_e32 v[114:115], v[120:121], v[124:125]
	v_add_f64_e32 v[120:121], v[126:127], v[156:157]
	s_wait_loadcnt_dscnt 0x500
	v_mul_f64_e32 v[124:125], v[116:117], v[150:151]
	v_mul_f64_e32 v[126:127], v[118:119], v[150:151]
	v_fmac_f64_e32 v[144:145], v[6:7], v[136:137]
	v_fma_f64 v[128:129], v[4:5], v[136:137], -v[138:139]
	v_add_f64_e32 v[130:131], v[114:115], v[112:113]
	v_add_f64_e32 v[120:121], v[120:121], v[122:123]
	ds_load_b128 v[4:7], v2 offset:1296
	ds_load_b128 v[112:115], v2 offset:1312
	v_fmac_f64_e32 v[124:125], v[118:119], v[148:149]
	v_fma_f64 v[116:117], v[116:117], v[148:149], -v[126:127]
	s_wait_loadcnt_dscnt 0x401
	v_mul_f64_e32 v[122:123], v[4:5], v[134:135]
	v_mul_f64_e32 v[134:135], v[6:7], v[134:135]
	v_add_f64_e32 v[118:119], v[130:131], v[128:129]
	v_add_f64_e32 v[120:121], v[120:121], v[144:145]
	s_wait_loadcnt_dscnt 0x300
	v_mul_f64_e32 v[126:127], v[112:113], v[10:11]
	v_mul_f64_e32 v[10:11], v[114:115], v[10:11]
	v_fmac_f64_e32 v[122:123], v[6:7], v[132:133]
	v_fma_f64 v[128:129], v[4:5], v[132:133], -v[134:135]
	v_add_f64_e32 v[130:131], v[118:119], v[116:117]
	v_add_f64_e32 v[120:121], v[120:121], v[124:125]
	ds_load_b128 v[4:7], v2 offset:1328
	ds_load_b128 v[116:119], v2 offset:1344
	v_fmac_f64_e32 v[126:127], v[114:115], v[8:9]
	v_fma_f64 v[8:9], v[112:113], v[8:9], -v[10:11]
	s_wait_loadcnt_dscnt 0x201
	v_mul_f64_e32 v[124:125], v[4:5], v[14:15]
	v_mul_f64_e32 v[14:15], v[6:7], v[14:15]
	s_wait_loadcnt_dscnt 0x100
	v_mul_f64_e32 v[114:115], v[116:117], v[18:19]
	v_mul_f64_e32 v[18:19], v[118:119], v[18:19]
	v_add_f64_e32 v[10:11], v[130:131], v[128:129]
	v_add_f64_e32 v[112:113], v[120:121], v[122:123]
	v_fmac_f64_e32 v[124:125], v[6:7], v[12:13]
	v_fma_f64 v[12:13], v[4:5], v[12:13], -v[14:15]
	ds_load_b128 v[4:7], v2 offset:1360
	v_fmac_f64_e32 v[114:115], v[118:119], v[16:17]
	v_fma_f64 v[16:17], v[116:117], v[16:17], -v[18:19]
	v_add_f64_e32 v[8:9], v[10:11], v[8:9]
	v_add_f64_e32 v[10:11], v[112:113], v[126:127]
	s_wait_loadcnt_dscnt 0x0
	v_mul_f64_e32 v[14:15], v[4:5], v[22:23]
	v_mul_f64_e32 v[22:23], v[6:7], v[22:23]
	s_delay_alu instid0(VALU_DEP_4) | instskip(NEXT) | instid1(VALU_DEP_4)
	v_add_f64_e32 v[8:9], v[8:9], v[12:13]
	v_add_f64_e32 v[10:11], v[10:11], v[124:125]
	s_delay_alu instid0(VALU_DEP_4) | instskip(NEXT) | instid1(VALU_DEP_4)
	v_fmac_f64_e32 v[14:15], v[6:7], v[20:21]
	v_fma_f64 v[4:5], v[4:5], v[20:21], -v[22:23]
	s_delay_alu instid0(VALU_DEP_4) | instskip(NEXT) | instid1(VALU_DEP_4)
	v_add_f64_e32 v[6:7], v[8:9], v[16:17]
	v_add_f64_e32 v[8:9], v[10:11], v[114:115]
	s_delay_alu instid0(VALU_DEP_2) | instskip(NEXT) | instid1(VALU_DEP_2)
	v_add_f64_e32 v[4:5], v[6:7], v[4:5]
	v_add_f64_e32 v[6:7], v[8:9], v[14:15]
	s_delay_alu instid0(VALU_DEP_2) | instskip(NEXT) | instid1(VALU_DEP_2)
	v_add_f64_e64 v[4:5], v[140:141], -v[4:5]
	v_add_f64_e64 v[6:7], v[142:143], -v[6:7]
	scratch_store_b128 off, v[4:7], off offset:400
	s_wait_xcnt 0x0
	v_cmpx_lt_u32_e32 24, v1
	s_cbranch_execz .LBB42_223
; %bb.222:
	scratch_load_b128 v[6:9], off, s40
	v_dual_mov_b32 v3, v2 :: v_dual_mov_b32 v4, v2
	v_mov_b32_e32 v5, v2
	scratch_store_b128 off, v[2:5], off offset:384
	s_wait_loadcnt 0x0
	ds_store_b128 v110, v[6:9]
.LBB42_223:
	s_wait_xcnt 0x0
	s_or_b32 exec_lo, exec_lo, s2
	s_wait_storecnt_dscnt 0x0
	s_barrier_signal -1
	s_barrier_wait -1
	s_clause 0x9
	scratch_load_b128 v[4:7], off, off offset:400
	scratch_load_b128 v[8:11], off, off offset:416
	;; [unrolled: 1-line block ×10, first 2 shown]
	ds_load_b128 v[132:135], v2 offset:1088
	ds_load_b128 v[140:143], v2 offset:1104
	s_clause 0x2
	scratch_load_b128 v[136:139], off, off offset:560
	scratch_load_b128 v[144:147], off, off offset:384
	;; [unrolled: 1-line block ×3, first 2 shown]
	s_mov_b32 s2, exec_lo
	s_wait_loadcnt_dscnt 0xc01
	v_mul_f64_e32 v[152:153], v[134:135], v[6:7]
	v_mul_f64_e32 v[156:157], v[132:133], v[6:7]
	s_wait_loadcnt_dscnt 0xb00
	v_mul_f64_e32 v[158:159], v[140:141], v[10:11]
	v_mul_f64_e32 v[10:11], v[142:143], v[10:11]
	s_delay_alu instid0(VALU_DEP_4) | instskip(NEXT) | instid1(VALU_DEP_4)
	v_fma_f64 v[160:161], v[132:133], v[4:5], -v[152:153]
	v_fmac_f64_e32 v[156:157], v[134:135], v[4:5]
	ds_load_b128 v[4:7], v2 offset:1120
	ds_load_b128 v[132:135], v2 offset:1136
	scratch_load_b128 v[152:155], off, off offset:592
	v_fmac_f64_e32 v[158:159], v[142:143], v[8:9]
	v_fma_f64 v[140:141], v[140:141], v[8:9], -v[10:11]
	scratch_load_b128 v[8:11], off, off offset:608
	s_wait_loadcnt_dscnt 0xc01
	v_mul_f64_e32 v[162:163], v[4:5], v[14:15]
	v_mul_f64_e32 v[14:15], v[6:7], v[14:15]
	v_add_f64_e32 v[142:143], 0, v[160:161]
	v_add_f64_e32 v[156:157], 0, v[156:157]
	s_wait_loadcnt_dscnt 0xb00
	v_mul_f64_e32 v[160:161], v[132:133], v[18:19]
	v_mul_f64_e32 v[18:19], v[134:135], v[18:19]
	v_fmac_f64_e32 v[162:163], v[6:7], v[12:13]
	v_fma_f64 v[164:165], v[4:5], v[12:13], -v[14:15]
	ds_load_b128 v[4:7], v2 offset:1152
	ds_load_b128 v[12:15], v2 offset:1168
	v_add_f64_e32 v[166:167], v[142:143], v[140:141]
	v_add_f64_e32 v[156:157], v[156:157], v[158:159]
	scratch_load_b128 v[140:143], off, off offset:624
	v_fmac_f64_e32 v[160:161], v[134:135], v[16:17]
	v_fma_f64 v[132:133], v[132:133], v[16:17], -v[18:19]
	scratch_load_b128 v[16:19], off, off offset:640
	s_wait_loadcnt_dscnt 0xc01
	v_mul_f64_e32 v[158:159], v[4:5], v[22:23]
	v_mul_f64_e32 v[22:23], v[6:7], v[22:23]
	v_add_f64_e32 v[134:135], v[166:167], v[164:165]
	v_add_f64_e32 v[156:157], v[156:157], v[162:163]
	s_wait_loadcnt_dscnt 0xb00
	v_mul_f64_e32 v[162:163], v[12:13], v[114:115]
	v_mul_f64_e32 v[114:115], v[14:15], v[114:115]
	v_fmac_f64_e32 v[158:159], v[6:7], v[20:21]
	v_fma_f64 v[164:165], v[4:5], v[20:21], -v[22:23]
	ds_load_b128 v[4:7], v2 offset:1184
	ds_load_b128 v[20:23], v2 offset:1200
	v_add_f64_e32 v[166:167], v[134:135], v[132:133]
	v_add_f64_e32 v[156:157], v[156:157], v[160:161]
	scratch_load_b128 v[132:135], off, off offset:656
	s_wait_loadcnt_dscnt 0xb01
	v_mul_f64_e32 v[160:161], v[4:5], v[118:119]
	v_mul_f64_e32 v[118:119], v[6:7], v[118:119]
	v_fmac_f64_e32 v[162:163], v[14:15], v[112:113]
	v_fma_f64 v[112:113], v[12:13], v[112:113], -v[114:115]
	scratch_load_b128 v[12:15], off, off offset:672
	v_add_f64_e32 v[114:115], v[166:167], v[164:165]
	v_add_f64_e32 v[156:157], v[156:157], v[158:159]
	s_wait_loadcnt_dscnt 0xb00
	v_mul_f64_e32 v[158:159], v[20:21], v[122:123]
	v_mul_f64_e32 v[122:123], v[22:23], v[122:123]
	v_fmac_f64_e32 v[160:161], v[6:7], v[116:117]
	v_fma_f64 v[116:117], v[4:5], v[116:117], -v[118:119]
	v_add_f64_e32 v[118:119], v[114:115], v[112:113]
	v_add_f64_e32 v[156:157], v[156:157], v[162:163]
	ds_load_b128 v[4:7], v2 offset:1216
	ds_load_b128 v[112:115], v2 offset:1232
	v_fmac_f64_e32 v[158:159], v[22:23], v[120:121]
	v_fma_f64 v[20:21], v[20:21], v[120:121], -v[122:123]
	s_wait_loadcnt_dscnt 0xa01
	v_mul_f64_e32 v[162:163], v[4:5], v[126:127]
	v_mul_f64_e32 v[126:127], v[6:7], v[126:127]
	s_wait_loadcnt_dscnt 0x900
	v_mul_f64_e32 v[120:121], v[114:115], v[130:131]
	v_add_f64_e32 v[22:23], v[118:119], v[116:117]
	v_add_f64_e32 v[116:117], v[156:157], v[160:161]
	v_mul_f64_e32 v[118:119], v[112:113], v[130:131]
	v_fmac_f64_e32 v[162:163], v[6:7], v[124:125]
	v_fma_f64 v[122:123], v[4:5], v[124:125], -v[126:127]
	v_fma_f64 v[112:113], v[112:113], v[128:129], -v[120:121]
	v_add_f64_e32 v[124:125], v[22:23], v[20:21]
	v_add_f64_e32 v[116:117], v[116:117], v[158:159]
	ds_load_b128 v[4:7], v2 offset:1248
	ds_load_b128 v[20:23], v2 offset:1264
	v_fmac_f64_e32 v[118:119], v[114:115], v[128:129]
	s_wait_loadcnt_dscnt 0x801
	v_mul_f64_e32 v[126:127], v[4:5], v[138:139]
	v_mul_f64_e32 v[130:131], v[6:7], v[138:139]
	s_wait_loadcnt_dscnt 0x600
	v_mul_f64_e32 v[120:121], v[20:21], v[150:151]
	v_add_f64_e32 v[114:115], v[124:125], v[122:123]
	v_add_f64_e32 v[116:117], v[116:117], v[162:163]
	v_mul_f64_e32 v[122:123], v[22:23], v[150:151]
	v_fmac_f64_e32 v[126:127], v[6:7], v[136:137]
	v_fma_f64 v[124:125], v[4:5], v[136:137], -v[130:131]
	v_fmac_f64_e32 v[120:121], v[22:23], v[148:149]
	v_add_f64_e32 v[128:129], v[114:115], v[112:113]
	v_add_f64_e32 v[116:117], v[116:117], v[118:119]
	ds_load_b128 v[4:7], v2 offset:1280
	ds_load_b128 v[112:115], v2 offset:1296
	v_fma_f64 v[20:21], v[20:21], v[148:149], -v[122:123]
	s_wait_loadcnt_dscnt 0x501
	v_mul_f64_e32 v[118:119], v[4:5], v[154:155]
	v_mul_f64_e32 v[130:131], v[6:7], v[154:155]
	s_wait_loadcnt_dscnt 0x400
	v_mul_f64_e32 v[122:123], v[112:113], v[10:11]
	v_mul_f64_e32 v[10:11], v[114:115], v[10:11]
	v_add_f64_e32 v[22:23], v[128:129], v[124:125]
	v_add_f64_e32 v[116:117], v[116:117], v[126:127]
	v_fmac_f64_e32 v[118:119], v[6:7], v[152:153]
	v_fma_f64 v[124:125], v[4:5], v[152:153], -v[130:131]
	v_fmac_f64_e32 v[122:123], v[114:115], v[8:9]
	v_fma_f64 v[8:9], v[112:113], v[8:9], -v[10:11]
	v_add_f64_e32 v[126:127], v[22:23], v[20:21]
	v_add_f64_e32 v[116:117], v[116:117], v[120:121]
	ds_load_b128 v[4:7], v2 offset:1312
	ds_load_b128 v[20:23], v2 offset:1328
	s_wait_loadcnt_dscnt 0x301
	v_mul_f64_e32 v[120:121], v[4:5], v[142:143]
	v_mul_f64_e32 v[128:129], v[6:7], v[142:143]
	s_wait_loadcnt_dscnt 0x200
	v_mul_f64_e32 v[114:115], v[20:21], v[18:19]
	v_mul_f64_e32 v[18:19], v[22:23], v[18:19]
	v_add_f64_e32 v[10:11], v[126:127], v[124:125]
	v_add_f64_e32 v[112:113], v[116:117], v[118:119]
	v_fmac_f64_e32 v[120:121], v[6:7], v[140:141]
	v_fma_f64 v[116:117], v[4:5], v[140:141], -v[128:129]
	v_fmac_f64_e32 v[114:115], v[22:23], v[16:17]
	v_fma_f64 v[16:17], v[20:21], v[16:17], -v[18:19]
	v_add_f64_e32 v[118:119], v[10:11], v[8:9]
	v_add_f64_e32 v[112:113], v[112:113], v[122:123]
	ds_load_b128 v[4:7], v2 offset:1344
	ds_load_b128 v[8:11], v2 offset:1360
	s_wait_loadcnt_dscnt 0x101
	v_mul_f64_e32 v[2:3], v[4:5], v[134:135]
	v_mul_f64_e32 v[122:123], v[6:7], v[134:135]
	s_wait_loadcnt_dscnt 0x0
	v_mul_f64_e32 v[22:23], v[8:9], v[14:15]
	v_mul_f64_e32 v[14:15], v[10:11], v[14:15]
	v_add_f64_e32 v[18:19], v[118:119], v[116:117]
	v_add_f64_e32 v[20:21], v[112:113], v[120:121]
	v_fmac_f64_e32 v[2:3], v[6:7], v[132:133]
	v_fma_f64 v[4:5], v[4:5], v[132:133], -v[122:123]
	v_fmac_f64_e32 v[22:23], v[10:11], v[12:13]
	v_fma_f64 v[8:9], v[8:9], v[12:13], -v[14:15]
	v_add_f64_e32 v[6:7], v[18:19], v[16:17]
	v_add_f64_e32 v[16:17], v[20:21], v[114:115]
	s_delay_alu instid0(VALU_DEP_2) | instskip(NEXT) | instid1(VALU_DEP_2)
	v_add_f64_e32 v[4:5], v[6:7], v[4:5]
	v_add_f64_e32 v[2:3], v[16:17], v[2:3]
	s_delay_alu instid0(VALU_DEP_2) | instskip(NEXT) | instid1(VALU_DEP_2)
	;; [unrolled: 3-line block ×3, first 2 shown]
	v_add_f64_e64 v[2:3], v[144:145], -v[4:5]
	v_add_f64_e64 v[4:5], v[146:147], -v[6:7]
	scratch_store_b128 off, v[2:5], off offset:384
	s_wait_xcnt 0x0
	v_cmpx_lt_u32_e32 23, v1
	s_cbranch_execz .LBB42_225
; %bb.224:
	scratch_load_b128 v[2:5], off, s37
	v_mov_b32_e32 v6, 0
	s_delay_alu instid0(VALU_DEP_1)
	v_dual_mov_b32 v7, v6 :: v_dual_mov_b32 v8, v6
	v_mov_b32_e32 v9, v6
	scratch_store_b128 off, v[6:9], off offset:368
	s_wait_loadcnt 0x0
	ds_store_b128 v110, v[2:5]
.LBB42_225:
	s_wait_xcnt 0x0
	s_or_b32 exec_lo, exec_lo, s2
	s_wait_storecnt_dscnt 0x0
	s_barrier_signal -1
	s_barrier_wait -1
	s_clause 0x9
	scratch_load_b128 v[4:7], off, off offset:384
	scratch_load_b128 v[8:11], off, off offset:400
	;; [unrolled: 1-line block ×10, first 2 shown]
	v_mov_b32_e32 v2, 0
	s_mov_b32 s2, exec_lo
	ds_load_b128 v[132:135], v2 offset:1072
	s_clause 0x2
	scratch_load_b128 v[136:139], off, off offset:544
	scratch_load_b128 v[140:143], off, off offset:368
	;; [unrolled: 1-line block ×3, first 2 shown]
	s_wait_loadcnt_dscnt 0xc00
	v_mul_f64_e32 v[152:153], v[134:135], v[6:7]
	v_mul_f64_e32 v[156:157], v[132:133], v[6:7]
	ds_load_b128 v[144:147], v2 offset:1088
	v_fma_f64 v[160:161], v[132:133], v[4:5], -v[152:153]
	v_fmac_f64_e32 v[156:157], v[134:135], v[4:5]
	ds_load_b128 v[4:7], v2 offset:1104
	s_wait_loadcnt_dscnt 0xb01
	v_mul_f64_e32 v[158:159], v[144:145], v[10:11]
	v_mul_f64_e32 v[10:11], v[146:147], v[10:11]
	scratch_load_b128 v[132:135], off, off offset:576
	ds_load_b128 v[152:155], v2 offset:1120
	s_wait_loadcnt_dscnt 0xb01
	v_mul_f64_e32 v[162:163], v[4:5], v[14:15]
	v_mul_f64_e32 v[14:15], v[6:7], v[14:15]
	v_add_f64_e32 v[156:157], 0, v[156:157]
	v_fmac_f64_e32 v[158:159], v[146:147], v[8:9]
	v_fma_f64 v[144:145], v[144:145], v[8:9], -v[10:11]
	v_add_f64_e32 v[146:147], 0, v[160:161]
	scratch_load_b128 v[8:11], off, off offset:592
	v_fmac_f64_e32 v[162:163], v[6:7], v[12:13]
	v_fma_f64 v[164:165], v[4:5], v[12:13], -v[14:15]
	ds_load_b128 v[4:7], v2 offset:1136
	s_wait_loadcnt_dscnt 0xb01
	v_mul_f64_e32 v[160:161], v[152:153], v[18:19]
	v_mul_f64_e32 v[18:19], v[154:155], v[18:19]
	scratch_load_b128 v[12:15], off, off offset:608
	v_add_f64_e32 v[156:157], v[156:157], v[158:159]
	v_add_f64_e32 v[166:167], v[146:147], v[144:145]
	ds_load_b128 v[144:147], v2 offset:1152
	s_wait_loadcnt_dscnt 0xb01
	v_mul_f64_e32 v[158:159], v[4:5], v[22:23]
	v_mul_f64_e32 v[22:23], v[6:7], v[22:23]
	v_fmac_f64_e32 v[160:161], v[154:155], v[16:17]
	v_fma_f64 v[152:153], v[152:153], v[16:17], -v[18:19]
	scratch_load_b128 v[16:19], off, off offset:624
	v_add_f64_e32 v[156:157], v[156:157], v[162:163]
	v_add_f64_e32 v[154:155], v[166:167], v[164:165]
	v_fmac_f64_e32 v[158:159], v[6:7], v[20:21]
	v_fma_f64 v[164:165], v[4:5], v[20:21], -v[22:23]
	ds_load_b128 v[4:7], v2 offset:1168
	s_wait_loadcnt_dscnt 0xb01
	v_mul_f64_e32 v[162:163], v[144:145], v[114:115]
	v_mul_f64_e32 v[114:115], v[146:147], v[114:115]
	scratch_load_b128 v[20:23], off, off offset:640
	v_add_f64_e32 v[156:157], v[156:157], v[160:161]
	s_wait_loadcnt_dscnt 0xb00
	v_mul_f64_e32 v[160:161], v[4:5], v[118:119]
	v_add_f64_e32 v[166:167], v[154:155], v[152:153]
	v_mul_f64_e32 v[118:119], v[6:7], v[118:119]
	ds_load_b128 v[152:155], v2 offset:1184
	v_fmac_f64_e32 v[162:163], v[146:147], v[112:113]
	v_fma_f64 v[144:145], v[144:145], v[112:113], -v[114:115]
	scratch_load_b128 v[112:115], off, off offset:656
	v_add_f64_e32 v[156:157], v[156:157], v[158:159]
	v_fmac_f64_e32 v[160:161], v[6:7], v[116:117]
	v_add_f64_e32 v[146:147], v[166:167], v[164:165]
	v_fma_f64 v[164:165], v[4:5], v[116:117], -v[118:119]
	ds_load_b128 v[4:7], v2 offset:1200
	s_wait_loadcnt_dscnt 0xb01
	v_mul_f64_e32 v[158:159], v[152:153], v[122:123]
	v_mul_f64_e32 v[122:123], v[154:155], v[122:123]
	scratch_load_b128 v[116:119], off, off offset:672
	v_add_f64_e32 v[156:157], v[156:157], v[162:163]
	s_wait_loadcnt_dscnt 0xb00
	v_mul_f64_e32 v[162:163], v[4:5], v[126:127]
	v_add_f64_e32 v[166:167], v[146:147], v[144:145]
	v_mul_f64_e32 v[126:127], v[6:7], v[126:127]
	ds_load_b128 v[144:147], v2 offset:1216
	v_fmac_f64_e32 v[158:159], v[154:155], v[120:121]
	v_fma_f64 v[120:121], v[152:153], v[120:121], -v[122:123]
	s_wait_loadcnt_dscnt 0xa00
	v_mul_f64_e32 v[154:155], v[144:145], v[130:131]
	v_mul_f64_e32 v[130:131], v[146:147], v[130:131]
	v_add_f64_e32 v[152:153], v[156:157], v[160:161]
	v_fmac_f64_e32 v[162:163], v[6:7], v[124:125]
	v_add_f64_e32 v[122:123], v[166:167], v[164:165]
	v_fma_f64 v[124:125], v[4:5], v[124:125], -v[126:127]
	v_fmac_f64_e32 v[154:155], v[146:147], v[128:129]
	v_fma_f64 v[128:129], v[144:145], v[128:129], -v[130:131]
	v_add_f64_e32 v[152:153], v[152:153], v[158:159]
	v_add_f64_e32 v[126:127], v[122:123], v[120:121]
	ds_load_b128 v[4:7], v2 offset:1232
	ds_load_b128 v[120:123], v2 offset:1248
	s_wait_loadcnt_dscnt 0x901
	v_mul_f64_e32 v[156:157], v[4:5], v[138:139]
	v_mul_f64_e32 v[138:139], v[6:7], v[138:139]
	s_wait_loadcnt_dscnt 0x700
	v_mul_f64_e32 v[130:131], v[120:121], v[150:151]
	v_mul_f64_e32 v[144:145], v[122:123], v[150:151]
	v_add_f64_e32 v[124:125], v[126:127], v[124:125]
	v_add_f64_e32 v[126:127], v[152:153], v[162:163]
	v_fmac_f64_e32 v[156:157], v[6:7], v[136:137]
	v_fma_f64 v[136:137], v[4:5], v[136:137], -v[138:139]
	v_fmac_f64_e32 v[130:131], v[122:123], v[148:149]
	v_fma_f64 v[120:121], v[120:121], v[148:149], -v[144:145]
	v_add_f64_e32 v[128:129], v[124:125], v[128:129]
	v_add_f64_e32 v[138:139], v[126:127], v[154:155]
	ds_load_b128 v[4:7], v2 offset:1264
	ds_load_b128 v[124:127], v2 offset:1280
	s_wait_loadcnt_dscnt 0x601
	v_mul_f64_e32 v[146:147], v[4:5], v[134:135]
	v_mul_f64_e32 v[134:135], v[6:7], v[134:135]
	v_add_f64_e32 v[122:123], v[128:129], v[136:137]
	v_add_f64_e32 v[128:129], v[138:139], v[156:157]
	s_wait_loadcnt_dscnt 0x500
	v_mul_f64_e32 v[136:137], v[124:125], v[10:11]
	v_mul_f64_e32 v[10:11], v[126:127], v[10:11]
	v_fmac_f64_e32 v[146:147], v[6:7], v[132:133]
	v_fma_f64 v[132:133], v[4:5], v[132:133], -v[134:135]
	v_add_f64_e32 v[134:135], v[122:123], v[120:121]
	v_add_f64_e32 v[128:129], v[128:129], v[130:131]
	ds_load_b128 v[4:7], v2 offset:1296
	ds_load_b128 v[120:123], v2 offset:1312
	v_fmac_f64_e32 v[136:137], v[126:127], v[8:9]
	v_fma_f64 v[8:9], v[124:125], v[8:9], -v[10:11]
	s_wait_loadcnt_dscnt 0x401
	v_mul_f64_e32 v[130:131], v[4:5], v[14:15]
	v_mul_f64_e32 v[14:15], v[6:7], v[14:15]
	s_wait_loadcnt_dscnt 0x300
	v_mul_f64_e32 v[126:127], v[120:121], v[18:19]
	v_mul_f64_e32 v[18:19], v[122:123], v[18:19]
	v_add_f64_e32 v[10:11], v[134:135], v[132:133]
	v_add_f64_e32 v[124:125], v[128:129], v[146:147]
	v_fmac_f64_e32 v[130:131], v[6:7], v[12:13]
	v_fma_f64 v[12:13], v[4:5], v[12:13], -v[14:15]
	v_fmac_f64_e32 v[126:127], v[122:123], v[16:17]
	v_fma_f64 v[16:17], v[120:121], v[16:17], -v[18:19]
	v_add_f64_e32 v[14:15], v[10:11], v[8:9]
	v_add_f64_e32 v[124:125], v[124:125], v[136:137]
	ds_load_b128 v[4:7], v2 offset:1328
	ds_load_b128 v[8:11], v2 offset:1344
	s_wait_loadcnt_dscnt 0x201
	v_mul_f64_e32 v[128:129], v[4:5], v[22:23]
	v_mul_f64_e32 v[22:23], v[6:7], v[22:23]
	s_wait_loadcnt_dscnt 0x100
	v_mul_f64_e32 v[18:19], v[8:9], v[114:115]
	v_mul_f64_e32 v[114:115], v[10:11], v[114:115]
	v_add_f64_e32 v[12:13], v[14:15], v[12:13]
	v_add_f64_e32 v[14:15], v[124:125], v[130:131]
	v_fmac_f64_e32 v[128:129], v[6:7], v[20:21]
	v_fma_f64 v[20:21], v[4:5], v[20:21], -v[22:23]
	ds_load_b128 v[4:7], v2 offset:1360
	v_fmac_f64_e32 v[18:19], v[10:11], v[112:113]
	v_fma_f64 v[8:9], v[8:9], v[112:113], -v[114:115]
	v_add_f64_e32 v[12:13], v[12:13], v[16:17]
	v_add_f64_e32 v[14:15], v[14:15], v[126:127]
	s_wait_loadcnt_dscnt 0x0
	v_mul_f64_e32 v[16:17], v[4:5], v[118:119]
	v_mul_f64_e32 v[22:23], v[6:7], v[118:119]
	s_delay_alu instid0(VALU_DEP_4) | instskip(NEXT) | instid1(VALU_DEP_4)
	v_add_f64_e32 v[10:11], v[12:13], v[20:21]
	v_add_f64_e32 v[12:13], v[14:15], v[128:129]
	s_delay_alu instid0(VALU_DEP_4) | instskip(NEXT) | instid1(VALU_DEP_4)
	v_fmac_f64_e32 v[16:17], v[6:7], v[116:117]
	v_fma_f64 v[4:5], v[4:5], v[116:117], -v[22:23]
	s_delay_alu instid0(VALU_DEP_4) | instskip(NEXT) | instid1(VALU_DEP_4)
	v_add_f64_e32 v[6:7], v[10:11], v[8:9]
	v_add_f64_e32 v[8:9], v[12:13], v[18:19]
	s_delay_alu instid0(VALU_DEP_2) | instskip(NEXT) | instid1(VALU_DEP_2)
	v_add_f64_e32 v[4:5], v[6:7], v[4:5]
	v_add_f64_e32 v[6:7], v[8:9], v[16:17]
	s_delay_alu instid0(VALU_DEP_2) | instskip(NEXT) | instid1(VALU_DEP_2)
	v_add_f64_e64 v[4:5], v[140:141], -v[4:5]
	v_add_f64_e64 v[6:7], v[142:143], -v[6:7]
	scratch_store_b128 off, v[4:7], off offset:368
	s_wait_xcnt 0x0
	v_cmpx_lt_u32_e32 22, v1
	s_cbranch_execz .LBB42_227
; %bb.226:
	scratch_load_b128 v[6:9], off, s34
	v_dual_mov_b32 v3, v2 :: v_dual_mov_b32 v4, v2
	v_mov_b32_e32 v5, v2
	scratch_store_b128 off, v[2:5], off offset:352
	s_wait_loadcnt 0x0
	ds_store_b128 v110, v[6:9]
.LBB42_227:
	s_wait_xcnt 0x0
	s_or_b32 exec_lo, exec_lo, s2
	s_wait_storecnt_dscnt 0x0
	s_barrier_signal -1
	s_barrier_wait -1
	s_clause 0x9
	scratch_load_b128 v[4:7], off, off offset:368
	scratch_load_b128 v[8:11], off, off offset:384
	;; [unrolled: 1-line block ×10, first 2 shown]
	ds_load_b128 v[132:135], v2 offset:1056
	ds_load_b128 v[140:143], v2 offset:1072
	s_clause 0x2
	scratch_load_b128 v[136:139], off, off offset:528
	scratch_load_b128 v[144:147], off, off offset:352
	;; [unrolled: 1-line block ×3, first 2 shown]
	s_mov_b32 s2, exec_lo
	s_wait_loadcnt_dscnt 0xc01
	v_mul_f64_e32 v[152:153], v[134:135], v[6:7]
	v_mul_f64_e32 v[156:157], v[132:133], v[6:7]
	s_wait_loadcnt_dscnt 0xb00
	v_mul_f64_e32 v[158:159], v[140:141], v[10:11]
	v_mul_f64_e32 v[10:11], v[142:143], v[10:11]
	s_delay_alu instid0(VALU_DEP_4) | instskip(NEXT) | instid1(VALU_DEP_4)
	v_fma_f64 v[160:161], v[132:133], v[4:5], -v[152:153]
	v_fmac_f64_e32 v[156:157], v[134:135], v[4:5]
	ds_load_b128 v[4:7], v2 offset:1088
	ds_load_b128 v[132:135], v2 offset:1104
	scratch_load_b128 v[152:155], off, off offset:560
	v_fmac_f64_e32 v[158:159], v[142:143], v[8:9]
	v_fma_f64 v[140:141], v[140:141], v[8:9], -v[10:11]
	scratch_load_b128 v[8:11], off, off offset:576
	s_wait_loadcnt_dscnt 0xc01
	v_mul_f64_e32 v[162:163], v[4:5], v[14:15]
	v_mul_f64_e32 v[14:15], v[6:7], v[14:15]
	v_add_f64_e32 v[142:143], 0, v[160:161]
	v_add_f64_e32 v[156:157], 0, v[156:157]
	s_wait_loadcnt_dscnt 0xb00
	v_mul_f64_e32 v[160:161], v[132:133], v[18:19]
	v_mul_f64_e32 v[18:19], v[134:135], v[18:19]
	v_fmac_f64_e32 v[162:163], v[6:7], v[12:13]
	v_fma_f64 v[164:165], v[4:5], v[12:13], -v[14:15]
	ds_load_b128 v[4:7], v2 offset:1120
	ds_load_b128 v[12:15], v2 offset:1136
	v_add_f64_e32 v[166:167], v[142:143], v[140:141]
	v_add_f64_e32 v[156:157], v[156:157], v[158:159]
	scratch_load_b128 v[140:143], off, off offset:592
	v_fmac_f64_e32 v[160:161], v[134:135], v[16:17]
	v_fma_f64 v[132:133], v[132:133], v[16:17], -v[18:19]
	scratch_load_b128 v[16:19], off, off offset:608
	s_wait_loadcnt_dscnt 0xc01
	v_mul_f64_e32 v[158:159], v[4:5], v[22:23]
	v_mul_f64_e32 v[22:23], v[6:7], v[22:23]
	v_add_f64_e32 v[134:135], v[166:167], v[164:165]
	v_add_f64_e32 v[156:157], v[156:157], v[162:163]
	s_wait_loadcnt_dscnt 0xb00
	v_mul_f64_e32 v[162:163], v[12:13], v[114:115]
	v_mul_f64_e32 v[114:115], v[14:15], v[114:115]
	v_fmac_f64_e32 v[158:159], v[6:7], v[20:21]
	v_fma_f64 v[164:165], v[4:5], v[20:21], -v[22:23]
	ds_load_b128 v[4:7], v2 offset:1152
	ds_load_b128 v[20:23], v2 offset:1168
	v_add_f64_e32 v[166:167], v[134:135], v[132:133]
	v_add_f64_e32 v[156:157], v[156:157], v[160:161]
	scratch_load_b128 v[132:135], off, off offset:624
	s_wait_loadcnt_dscnt 0xb01
	v_mul_f64_e32 v[160:161], v[4:5], v[118:119]
	v_mul_f64_e32 v[118:119], v[6:7], v[118:119]
	v_fmac_f64_e32 v[162:163], v[14:15], v[112:113]
	v_fma_f64 v[112:113], v[12:13], v[112:113], -v[114:115]
	scratch_load_b128 v[12:15], off, off offset:640
	v_add_f64_e32 v[114:115], v[166:167], v[164:165]
	v_add_f64_e32 v[156:157], v[156:157], v[158:159]
	s_wait_loadcnt_dscnt 0xb00
	v_mul_f64_e32 v[158:159], v[20:21], v[122:123]
	v_mul_f64_e32 v[122:123], v[22:23], v[122:123]
	v_fmac_f64_e32 v[160:161], v[6:7], v[116:117]
	v_fma_f64 v[164:165], v[4:5], v[116:117], -v[118:119]
	v_add_f64_e32 v[166:167], v[114:115], v[112:113]
	v_add_f64_e32 v[156:157], v[156:157], v[162:163]
	ds_load_b128 v[4:7], v2 offset:1184
	ds_load_b128 v[112:115], v2 offset:1200
	scratch_load_b128 v[116:119], off, off offset:656
	v_fmac_f64_e32 v[158:159], v[22:23], v[120:121]
	v_fma_f64 v[120:121], v[20:21], v[120:121], -v[122:123]
	scratch_load_b128 v[20:23], off, off offset:672
	s_wait_loadcnt_dscnt 0xc01
	v_mul_f64_e32 v[162:163], v[4:5], v[126:127]
	v_mul_f64_e32 v[126:127], v[6:7], v[126:127]
	v_add_f64_e32 v[122:123], v[166:167], v[164:165]
	v_add_f64_e32 v[156:157], v[156:157], v[160:161]
	s_wait_loadcnt_dscnt 0xb00
	v_mul_f64_e32 v[160:161], v[112:113], v[130:131]
	v_mul_f64_e32 v[130:131], v[114:115], v[130:131]
	v_fmac_f64_e32 v[162:163], v[6:7], v[124:125]
	v_fma_f64 v[124:125], v[4:5], v[124:125], -v[126:127]
	v_add_f64_e32 v[126:127], v[122:123], v[120:121]
	v_add_f64_e32 v[156:157], v[156:157], v[158:159]
	ds_load_b128 v[4:7], v2 offset:1216
	ds_load_b128 v[120:123], v2 offset:1232
	v_fmac_f64_e32 v[160:161], v[114:115], v[128:129]
	v_fma_f64 v[112:113], v[112:113], v[128:129], -v[130:131]
	s_wait_loadcnt_dscnt 0xa01
	v_mul_f64_e32 v[158:159], v[4:5], v[138:139]
	v_mul_f64_e32 v[138:139], v[6:7], v[138:139]
	s_wait_loadcnt_dscnt 0x800
	v_mul_f64_e32 v[128:129], v[122:123], v[150:151]
	v_add_f64_e32 v[114:115], v[126:127], v[124:125]
	v_add_f64_e32 v[124:125], v[156:157], v[162:163]
	v_mul_f64_e32 v[126:127], v[120:121], v[150:151]
	v_fmac_f64_e32 v[158:159], v[6:7], v[136:137]
	v_fma_f64 v[130:131], v[4:5], v[136:137], -v[138:139]
	v_fma_f64 v[120:121], v[120:121], v[148:149], -v[128:129]
	v_add_f64_e32 v[136:137], v[114:115], v[112:113]
	v_add_f64_e32 v[124:125], v[124:125], v[160:161]
	ds_load_b128 v[4:7], v2 offset:1248
	ds_load_b128 v[112:115], v2 offset:1264
	v_fmac_f64_e32 v[126:127], v[122:123], v[148:149]
	s_wait_loadcnt_dscnt 0x701
	v_mul_f64_e32 v[138:139], v[4:5], v[154:155]
	v_mul_f64_e32 v[150:151], v[6:7], v[154:155]
	s_wait_loadcnt_dscnt 0x600
	v_mul_f64_e32 v[128:129], v[112:113], v[10:11]
	v_mul_f64_e32 v[10:11], v[114:115], v[10:11]
	v_add_f64_e32 v[122:123], v[136:137], v[130:131]
	v_add_f64_e32 v[124:125], v[124:125], v[158:159]
	v_fmac_f64_e32 v[138:139], v[6:7], v[152:153]
	v_fma_f64 v[130:131], v[4:5], v[152:153], -v[150:151]
	v_fmac_f64_e32 v[128:129], v[114:115], v[8:9]
	v_fma_f64 v[8:9], v[112:113], v[8:9], -v[10:11]
	v_add_f64_e32 v[136:137], v[122:123], v[120:121]
	v_add_f64_e32 v[124:125], v[124:125], v[126:127]
	ds_load_b128 v[4:7], v2 offset:1280
	ds_load_b128 v[120:123], v2 offset:1296
	s_wait_loadcnt_dscnt 0x501
	v_mul_f64_e32 v[126:127], v[4:5], v[142:143]
	v_mul_f64_e32 v[142:143], v[6:7], v[142:143]
	s_wait_loadcnt_dscnt 0x400
	v_mul_f64_e32 v[114:115], v[120:121], v[18:19]
	v_mul_f64_e32 v[18:19], v[122:123], v[18:19]
	v_add_f64_e32 v[10:11], v[136:137], v[130:131]
	v_add_f64_e32 v[112:113], v[124:125], v[138:139]
	v_fmac_f64_e32 v[126:127], v[6:7], v[140:141]
	v_fma_f64 v[124:125], v[4:5], v[140:141], -v[142:143]
	v_fmac_f64_e32 v[114:115], v[122:123], v[16:17]
	v_fma_f64 v[16:17], v[120:121], v[16:17], -v[18:19]
	v_add_f64_e32 v[130:131], v[10:11], v[8:9]
	v_add_f64_e32 v[112:113], v[112:113], v[128:129]
	ds_load_b128 v[4:7], v2 offset:1312
	ds_load_b128 v[8:11], v2 offset:1328
	;; [unrolled: 16-line block ×3, first 2 shown]
	s_wait_loadcnt_dscnt 0x101
	v_mul_f64_e32 v[2:3], v[4:5], v[118:119]
	v_mul_f64_e32 v[114:115], v[6:7], v[118:119]
	v_add_f64_e32 v[10:11], v[18:19], v[124:125]
	v_add_f64_e32 v[12:13], v[112:113], v[128:129]
	s_wait_loadcnt_dscnt 0x0
	v_mul_f64_e32 v[18:19], v[14:15], v[22:23]
	v_mul_f64_e32 v[22:23], v[16:17], v[22:23]
	v_fmac_f64_e32 v[2:3], v[6:7], v[116:117]
	v_fma_f64 v[4:5], v[4:5], v[116:117], -v[114:115]
	v_add_f64_e32 v[6:7], v[10:11], v[8:9]
	v_add_f64_e32 v[8:9], v[12:13], v[120:121]
	v_fmac_f64_e32 v[18:19], v[16:17], v[20:21]
	v_fma_f64 v[10:11], v[14:15], v[20:21], -v[22:23]
	s_delay_alu instid0(VALU_DEP_4) | instskip(NEXT) | instid1(VALU_DEP_4)
	v_add_f64_e32 v[4:5], v[6:7], v[4:5]
	v_add_f64_e32 v[2:3], v[8:9], v[2:3]
	s_delay_alu instid0(VALU_DEP_2) | instskip(NEXT) | instid1(VALU_DEP_2)
	v_add_f64_e32 v[4:5], v[4:5], v[10:11]
	v_add_f64_e32 v[6:7], v[2:3], v[18:19]
	s_delay_alu instid0(VALU_DEP_2) | instskip(NEXT) | instid1(VALU_DEP_2)
	v_add_f64_e64 v[2:3], v[144:145], -v[4:5]
	v_add_f64_e64 v[4:5], v[146:147], -v[6:7]
	scratch_store_b128 off, v[2:5], off offset:352
	s_wait_xcnt 0x0
	v_cmpx_lt_u32_e32 21, v1
	s_cbranch_execz .LBB42_229
; %bb.228:
	scratch_load_b128 v[2:5], off, s33
	v_mov_b32_e32 v6, 0
	s_delay_alu instid0(VALU_DEP_1)
	v_dual_mov_b32 v7, v6 :: v_dual_mov_b32 v8, v6
	v_mov_b32_e32 v9, v6
	scratch_store_b128 off, v[6:9], off offset:336
	s_wait_loadcnt 0x0
	ds_store_b128 v110, v[2:5]
.LBB42_229:
	s_wait_xcnt 0x0
	s_or_b32 exec_lo, exec_lo, s2
	s_wait_storecnt_dscnt 0x0
	s_barrier_signal -1
	s_barrier_wait -1
	s_clause 0x9
	scratch_load_b128 v[4:7], off, off offset:352
	scratch_load_b128 v[8:11], off, off offset:368
	;; [unrolled: 1-line block ×10, first 2 shown]
	v_mov_b32_e32 v2, 0
	s_mov_b32 s2, exec_lo
	ds_load_b128 v[132:135], v2 offset:1040
	s_clause 0x2
	scratch_load_b128 v[136:139], off, off offset:512
	scratch_load_b128 v[140:143], off, off offset:336
	;; [unrolled: 1-line block ×3, first 2 shown]
	s_wait_loadcnt_dscnt 0xc00
	v_mul_f64_e32 v[152:153], v[134:135], v[6:7]
	v_mul_f64_e32 v[156:157], v[132:133], v[6:7]
	ds_load_b128 v[144:147], v2 offset:1056
	v_fma_f64 v[160:161], v[132:133], v[4:5], -v[152:153]
	v_fmac_f64_e32 v[156:157], v[134:135], v[4:5]
	ds_load_b128 v[4:7], v2 offset:1072
	s_wait_loadcnt_dscnt 0xb01
	v_mul_f64_e32 v[158:159], v[144:145], v[10:11]
	v_mul_f64_e32 v[10:11], v[146:147], v[10:11]
	scratch_load_b128 v[132:135], off, off offset:544
	ds_load_b128 v[152:155], v2 offset:1088
	s_wait_loadcnt_dscnt 0xb01
	v_mul_f64_e32 v[162:163], v[4:5], v[14:15]
	v_mul_f64_e32 v[14:15], v[6:7], v[14:15]
	v_add_f64_e32 v[156:157], 0, v[156:157]
	v_fmac_f64_e32 v[158:159], v[146:147], v[8:9]
	v_fma_f64 v[144:145], v[144:145], v[8:9], -v[10:11]
	v_add_f64_e32 v[146:147], 0, v[160:161]
	scratch_load_b128 v[8:11], off, off offset:560
	v_fmac_f64_e32 v[162:163], v[6:7], v[12:13]
	v_fma_f64 v[164:165], v[4:5], v[12:13], -v[14:15]
	ds_load_b128 v[4:7], v2 offset:1104
	s_wait_loadcnt_dscnt 0xb01
	v_mul_f64_e32 v[160:161], v[152:153], v[18:19]
	v_mul_f64_e32 v[18:19], v[154:155], v[18:19]
	scratch_load_b128 v[12:15], off, off offset:576
	v_add_f64_e32 v[156:157], v[156:157], v[158:159]
	v_add_f64_e32 v[166:167], v[146:147], v[144:145]
	ds_load_b128 v[144:147], v2 offset:1120
	s_wait_loadcnt_dscnt 0xb01
	v_mul_f64_e32 v[158:159], v[4:5], v[22:23]
	v_mul_f64_e32 v[22:23], v[6:7], v[22:23]
	v_fmac_f64_e32 v[160:161], v[154:155], v[16:17]
	v_fma_f64 v[152:153], v[152:153], v[16:17], -v[18:19]
	scratch_load_b128 v[16:19], off, off offset:592
	v_add_f64_e32 v[156:157], v[156:157], v[162:163]
	v_add_f64_e32 v[154:155], v[166:167], v[164:165]
	v_fmac_f64_e32 v[158:159], v[6:7], v[20:21]
	v_fma_f64 v[164:165], v[4:5], v[20:21], -v[22:23]
	ds_load_b128 v[4:7], v2 offset:1136
	s_wait_loadcnt_dscnt 0xb01
	v_mul_f64_e32 v[162:163], v[144:145], v[114:115]
	v_mul_f64_e32 v[114:115], v[146:147], v[114:115]
	scratch_load_b128 v[20:23], off, off offset:608
	v_add_f64_e32 v[156:157], v[156:157], v[160:161]
	s_wait_loadcnt_dscnt 0xb00
	v_mul_f64_e32 v[160:161], v[4:5], v[118:119]
	v_add_f64_e32 v[166:167], v[154:155], v[152:153]
	v_mul_f64_e32 v[118:119], v[6:7], v[118:119]
	ds_load_b128 v[152:155], v2 offset:1152
	v_fmac_f64_e32 v[162:163], v[146:147], v[112:113]
	v_fma_f64 v[144:145], v[144:145], v[112:113], -v[114:115]
	scratch_load_b128 v[112:115], off, off offset:624
	v_add_f64_e32 v[156:157], v[156:157], v[158:159]
	v_fmac_f64_e32 v[160:161], v[6:7], v[116:117]
	v_add_f64_e32 v[146:147], v[166:167], v[164:165]
	v_fma_f64 v[164:165], v[4:5], v[116:117], -v[118:119]
	ds_load_b128 v[4:7], v2 offset:1168
	s_wait_loadcnt_dscnt 0xb01
	v_mul_f64_e32 v[158:159], v[152:153], v[122:123]
	v_mul_f64_e32 v[122:123], v[154:155], v[122:123]
	scratch_load_b128 v[116:119], off, off offset:640
	v_add_f64_e32 v[156:157], v[156:157], v[162:163]
	s_wait_loadcnt_dscnt 0xb00
	v_mul_f64_e32 v[162:163], v[4:5], v[126:127]
	v_add_f64_e32 v[166:167], v[146:147], v[144:145]
	v_mul_f64_e32 v[126:127], v[6:7], v[126:127]
	ds_load_b128 v[144:147], v2 offset:1184
	v_fmac_f64_e32 v[158:159], v[154:155], v[120:121]
	v_fma_f64 v[152:153], v[152:153], v[120:121], -v[122:123]
	scratch_load_b128 v[120:123], off, off offset:656
	v_add_f64_e32 v[156:157], v[156:157], v[160:161]
	v_fmac_f64_e32 v[162:163], v[6:7], v[124:125]
	v_add_f64_e32 v[154:155], v[166:167], v[164:165]
	v_fma_f64 v[164:165], v[4:5], v[124:125], -v[126:127]
	ds_load_b128 v[4:7], v2 offset:1200
	s_wait_loadcnt_dscnt 0xb01
	v_mul_f64_e32 v[160:161], v[144:145], v[130:131]
	v_mul_f64_e32 v[130:131], v[146:147], v[130:131]
	scratch_load_b128 v[124:127], off, off offset:672
	v_add_f64_e32 v[156:157], v[156:157], v[158:159]
	s_wait_loadcnt_dscnt 0xb00
	v_mul_f64_e32 v[158:159], v[4:5], v[138:139]
	v_add_f64_e32 v[166:167], v[154:155], v[152:153]
	v_mul_f64_e32 v[138:139], v[6:7], v[138:139]
	ds_load_b128 v[152:155], v2 offset:1216
	v_fmac_f64_e32 v[160:161], v[146:147], v[128:129]
	v_fma_f64 v[128:129], v[144:145], v[128:129], -v[130:131]
	s_wait_loadcnt_dscnt 0x900
	v_mul_f64_e32 v[146:147], v[152:153], v[150:151]
	v_mul_f64_e32 v[150:151], v[154:155], v[150:151]
	v_add_f64_e32 v[144:145], v[156:157], v[162:163]
	v_fmac_f64_e32 v[158:159], v[6:7], v[136:137]
	v_add_f64_e32 v[130:131], v[166:167], v[164:165]
	v_fma_f64 v[136:137], v[4:5], v[136:137], -v[138:139]
	v_fmac_f64_e32 v[146:147], v[154:155], v[148:149]
	v_fma_f64 v[148:149], v[152:153], v[148:149], -v[150:151]
	v_add_f64_e32 v[144:145], v[144:145], v[160:161]
	v_add_f64_e32 v[138:139], v[130:131], v[128:129]
	ds_load_b128 v[4:7], v2 offset:1232
	ds_load_b128 v[128:131], v2 offset:1248
	s_wait_loadcnt_dscnt 0x801
	v_mul_f64_e32 v[156:157], v[4:5], v[134:135]
	v_mul_f64_e32 v[134:135], v[6:7], v[134:135]
	v_add_f64_e32 v[136:137], v[138:139], v[136:137]
	v_add_f64_e32 v[138:139], v[144:145], v[158:159]
	s_wait_loadcnt_dscnt 0x700
	v_mul_f64_e32 v[144:145], v[128:129], v[10:11]
	v_mul_f64_e32 v[10:11], v[130:131], v[10:11]
	v_fmac_f64_e32 v[156:157], v[6:7], v[132:133]
	v_fma_f64 v[150:151], v[4:5], v[132:133], -v[134:135]
	ds_load_b128 v[4:7], v2 offset:1264
	ds_load_b128 v[132:135], v2 offset:1280
	v_add_f64_e32 v[136:137], v[136:137], v[148:149]
	v_add_f64_e32 v[138:139], v[138:139], v[146:147]
	v_fmac_f64_e32 v[144:145], v[130:131], v[8:9]
	v_fma_f64 v[8:9], v[128:129], v[8:9], -v[10:11]
	s_wait_loadcnt_dscnt 0x601
	v_mul_f64_e32 v[146:147], v[4:5], v[14:15]
	v_mul_f64_e32 v[14:15], v[6:7], v[14:15]
	s_wait_loadcnt_dscnt 0x500
	v_mul_f64_e32 v[130:131], v[132:133], v[18:19]
	v_mul_f64_e32 v[18:19], v[134:135], v[18:19]
	v_add_f64_e32 v[10:11], v[136:137], v[150:151]
	v_add_f64_e32 v[128:129], v[138:139], v[156:157]
	v_fmac_f64_e32 v[146:147], v[6:7], v[12:13]
	v_fma_f64 v[12:13], v[4:5], v[12:13], -v[14:15]
	v_fmac_f64_e32 v[130:131], v[134:135], v[16:17]
	v_fma_f64 v[16:17], v[132:133], v[16:17], -v[18:19]
	v_add_f64_e32 v[14:15], v[10:11], v[8:9]
	v_add_f64_e32 v[128:129], v[128:129], v[144:145]
	ds_load_b128 v[4:7], v2 offset:1296
	ds_load_b128 v[8:11], v2 offset:1312
	s_wait_loadcnt_dscnt 0x401
	v_mul_f64_e32 v[136:137], v[4:5], v[22:23]
	v_mul_f64_e32 v[22:23], v[6:7], v[22:23]
	s_wait_loadcnt_dscnt 0x300
	v_mul_f64_e32 v[18:19], v[8:9], v[114:115]
	v_mul_f64_e32 v[114:115], v[10:11], v[114:115]
	v_add_f64_e32 v[12:13], v[14:15], v[12:13]
	v_add_f64_e32 v[14:15], v[128:129], v[146:147]
	v_fmac_f64_e32 v[136:137], v[6:7], v[20:21]
	v_fma_f64 v[20:21], v[4:5], v[20:21], -v[22:23]
	v_fmac_f64_e32 v[18:19], v[10:11], v[112:113]
	v_fma_f64 v[8:9], v[8:9], v[112:113], -v[114:115]
	v_add_f64_e32 v[16:17], v[12:13], v[16:17]
	v_add_f64_e32 v[22:23], v[14:15], v[130:131]
	ds_load_b128 v[4:7], v2 offset:1328
	ds_load_b128 v[12:15], v2 offset:1344
	s_wait_loadcnt_dscnt 0x201
	v_mul_f64_e32 v[128:129], v[4:5], v[118:119]
	v_mul_f64_e32 v[118:119], v[6:7], v[118:119]
	v_add_f64_e32 v[10:11], v[16:17], v[20:21]
	v_add_f64_e32 v[16:17], v[22:23], v[136:137]
	s_wait_loadcnt_dscnt 0x100
	v_mul_f64_e32 v[20:21], v[12:13], v[122:123]
	v_mul_f64_e32 v[22:23], v[14:15], v[122:123]
	v_fmac_f64_e32 v[128:129], v[6:7], v[116:117]
	v_fma_f64 v[112:113], v[4:5], v[116:117], -v[118:119]
	ds_load_b128 v[4:7], v2 offset:1360
	v_add_f64_e32 v[8:9], v[10:11], v[8:9]
	v_add_f64_e32 v[10:11], v[16:17], v[18:19]
	v_fmac_f64_e32 v[20:21], v[14:15], v[120:121]
	v_fma_f64 v[12:13], v[12:13], v[120:121], -v[22:23]
	s_wait_loadcnt_dscnt 0x0
	v_mul_f64_e32 v[16:17], v[4:5], v[126:127]
	v_mul_f64_e32 v[18:19], v[6:7], v[126:127]
	v_add_f64_e32 v[8:9], v[8:9], v[112:113]
	v_add_f64_e32 v[10:11], v[10:11], v[128:129]
	s_delay_alu instid0(VALU_DEP_4) | instskip(NEXT) | instid1(VALU_DEP_4)
	v_fmac_f64_e32 v[16:17], v[6:7], v[124:125]
	v_fma_f64 v[4:5], v[4:5], v[124:125], -v[18:19]
	s_delay_alu instid0(VALU_DEP_4) | instskip(NEXT) | instid1(VALU_DEP_4)
	v_add_f64_e32 v[6:7], v[8:9], v[12:13]
	v_add_f64_e32 v[8:9], v[10:11], v[20:21]
	s_delay_alu instid0(VALU_DEP_2) | instskip(NEXT) | instid1(VALU_DEP_2)
	v_add_f64_e32 v[4:5], v[6:7], v[4:5]
	v_add_f64_e32 v[6:7], v[8:9], v[16:17]
	s_delay_alu instid0(VALU_DEP_2) | instskip(NEXT) | instid1(VALU_DEP_2)
	v_add_f64_e64 v[4:5], v[140:141], -v[4:5]
	v_add_f64_e64 v[6:7], v[142:143], -v[6:7]
	scratch_store_b128 off, v[4:7], off offset:336
	s_wait_xcnt 0x0
	v_cmpx_lt_u32_e32 20, v1
	s_cbranch_execz .LBB42_231
; %bb.230:
	scratch_load_b128 v[6:9], off, s39
	v_dual_mov_b32 v3, v2 :: v_dual_mov_b32 v4, v2
	v_mov_b32_e32 v5, v2
	scratch_store_b128 off, v[2:5], off offset:320
	s_wait_loadcnt 0x0
	ds_store_b128 v110, v[6:9]
.LBB42_231:
	s_wait_xcnt 0x0
	s_or_b32 exec_lo, exec_lo, s2
	s_wait_storecnt_dscnt 0x0
	s_barrier_signal -1
	s_barrier_wait -1
	s_clause 0x9
	scratch_load_b128 v[4:7], off, off offset:336
	scratch_load_b128 v[8:11], off, off offset:352
	;; [unrolled: 1-line block ×10, first 2 shown]
	ds_load_b128 v[132:135], v2 offset:1024
	ds_load_b128 v[140:143], v2 offset:1040
	s_clause 0x2
	scratch_load_b128 v[136:139], off, off offset:496
	scratch_load_b128 v[144:147], off, off offset:320
	;; [unrolled: 1-line block ×3, first 2 shown]
	s_mov_b32 s2, exec_lo
	s_wait_loadcnt_dscnt 0xc01
	v_mul_f64_e32 v[152:153], v[134:135], v[6:7]
	v_mul_f64_e32 v[156:157], v[132:133], v[6:7]
	s_wait_loadcnt_dscnt 0xb00
	v_mul_f64_e32 v[158:159], v[140:141], v[10:11]
	v_mul_f64_e32 v[10:11], v[142:143], v[10:11]
	s_delay_alu instid0(VALU_DEP_4) | instskip(NEXT) | instid1(VALU_DEP_4)
	v_fma_f64 v[160:161], v[132:133], v[4:5], -v[152:153]
	v_fmac_f64_e32 v[156:157], v[134:135], v[4:5]
	ds_load_b128 v[4:7], v2 offset:1056
	ds_load_b128 v[132:135], v2 offset:1072
	scratch_load_b128 v[152:155], off, off offset:528
	v_fmac_f64_e32 v[158:159], v[142:143], v[8:9]
	v_fma_f64 v[140:141], v[140:141], v[8:9], -v[10:11]
	scratch_load_b128 v[8:11], off, off offset:544
	s_wait_loadcnt_dscnt 0xc01
	v_mul_f64_e32 v[162:163], v[4:5], v[14:15]
	v_mul_f64_e32 v[14:15], v[6:7], v[14:15]
	v_add_f64_e32 v[142:143], 0, v[160:161]
	v_add_f64_e32 v[156:157], 0, v[156:157]
	s_wait_loadcnt_dscnt 0xb00
	v_mul_f64_e32 v[160:161], v[132:133], v[18:19]
	v_mul_f64_e32 v[18:19], v[134:135], v[18:19]
	v_fmac_f64_e32 v[162:163], v[6:7], v[12:13]
	v_fma_f64 v[164:165], v[4:5], v[12:13], -v[14:15]
	ds_load_b128 v[4:7], v2 offset:1088
	ds_load_b128 v[12:15], v2 offset:1104
	v_add_f64_e32 v[166:167], v[142:143], v[140:141]
	v_add_f64_e32 v[156:157], v[156:157], v[158:159]
	scratch_load_b128 v[140:143], off, off offset:560
	v_fmac_f64_e32 v[160:161], v[134:135], v[16:17]
	v_fma_f64 v[132:133], v[132:133], v[16:17], -v[18:19]
	scratch_load_b128 v[16:19], off, off offset:576
	s_wait_loadcnt_dscnt 0xc01
	v_mul_f64_e32 v[158:159], v[4:5], v[22:23]
	v_mul_f64_e32 v[22:23], v[6:7], v[22:23]
	v_add_f64_e32 v[134:135], v[166:167], v[164:165]
	v_add_f64_e32 v[156:157], v[156:157], v[162:163]
	s_wait_loadcnt_dscnt 0xb00
	v_mul_f64_e32 v[162:163], v[12:13], v[114:115]
	v_mul_f64_e32 v[114:115], v[14:15], v[114:115]
	v_fmac_f64_e32 v[158:159], v[6:7], v[20:21]
	v_fma_f64 v[164:165], v[4:5], v[20:21], -v[22:23]
	ds_load_b128 v[4:7], v2 offset:1120
	ds_load_b128 v[20:23], v2 offset:1136
	v_add_f64_e32 v[166:167], v[134:135], v[132:133]
	v_add_f64_e32 v[156:157], v[156:157], v[160:161]
	scratch_load_b128 v[132:135], off, off offset:592
	s_wait_loadcnt_dscnt 0xb01
	v_mul_f64_e32 v[160:161], v[4:5], v[118:119]
	v_mul_f64_e32 v[118:119], v[6:7], v[118:119]
	v_fmac_f64_e32 v[162:163], v[14:15], v[112:113]
	v_fma_f64 v[112:113], v[12:13], v[112:113], -v[114:115]
	scratch_load_b128 v[12:15], off, off offset:608
	v_add_f64_e32 v[114:115], v[166:167], v[164:165]
	v_add_f64_e32 v[156:157], v[156:157], v[158:159]
	s_wait_loadcnt_dscnt 0xb00
	v_mul_f64_e32 v[158:159], v[20:21], v[122:123]
	v_mul_f64_e32 v[122:123], v[22:23], v[122:123]
	v_fmac_f64_e32 v[160:161], v[6:7], v[116:117]
	v_fma_f64 v[164:165], v[4:5], v[116:117], -v[118:119]
	v_add_f64_e32 v[166:167], v[114:115], v[112:113]
	v_add_f64_e32 v[156:157], v[156:157], v[162:163]
	ds_load_b128 v[4:7], v2 offset:1152
	ds_load_b128 v[112:115], v2 offset:1168
	scratch_load_b128 v[116:119], off, off offset:624
	v_fmac_f64_e32 v[158:159], v[22:23], v[120:121]
	v_fma_f64 v[120:121], v[20:21], v[120:121], -v[122:123]
	scratch_load_b128 v[20:23], off, off offset:640
	s_wait_loadcnt_dscnt 0xc01
	v_mul_f64_e32 v[162:163], v[4:5], v[126:127]
	v_mul_f64_e32 v[126:127], v[6:7], v[126:127]
	v_add_f64_e32 v[122:123], v[166:167], v[164:165]
	v_add_f64_e32 v[156:157], v[156:157], v[160:161]
	s_wait_loadcnt_dscnt 0xb00
	v_mul_f64_e32 v[160:161], v[112:113], v[130:131]
	v_mul_f64_e32 v[130:131], v[114:115], v[130:131]
	v_fmac_f64_e32 v[162:163], v[6:7], v[124:125]
	v_fma_f64 v[164:165], v[4:5], v[124:125], -v[126:127]
	v_add_f64_e32 v[166:167], v[122:123], v[120:121]
	v_add_f64_e32 v[156:157], v[156:157], v[158:159]
	ds_load_b128 v[4:7], v2 offset:1184
	ds_load_b128 v[120:123], v2 offset:1200
	scratch_load_b128 v[124:127], off, off offset:656
	v_fmac_f64_e32 v[160:161], v[114:115], v[128:129]
	v_fma_f64 v[128:129], v[112:113], v[128:129], -v[130:131]
	scratch_load_b128 v[112:115], off, off offset:672
	s_wait_loadcnt_dscnt 0xc01
	v_mul_f64_e32 v[158:159], v[4:5], v[138:139]
	v_mul_f64_e32 v[138:139], v[6:7], v[138:139]
	v_add_f64_e32 v[130:131], v[166:167], v[164:165]
	v_add_f64_e32 v[156:157], v[156:157], v[162:163]
	s_wait_loadcnt_dscnt 0xa00
	v_mul_f64_e32 v[162:163], v[120:121], v[150:151]
	v_mul_f64_e32 v[150:151], v[122:123], v[150:151]
	v_fmac_f64_e32 v[158:159], v[6:7], v[136:137]
	v_fma_f64 v[136:137], v[4:5], v[136:137], -v[138:139]
	v_add_f64_e32 v[138:139], v[130:131], v[128:129]
	v_add_f64_e32 v[156:157], v[156:157], v[160:161]
	ds_load_b128 v[4:7], v2 offset:1216
	ds_load_b128 v[128:131], v2 offset:1232
	v_fmac_f64_e32 v[162:163], v[122:123], v[148:149]
	v_fma_f64 v[120:121], v[120:121], v[148:149], -v[150:151]
	s_wait_loadcnt_dscnt 0x901
	v_mul_f64_e32 v[160:161], v[4:5], v[154:155]
	v_mul_f64_e32 v[154:155], v[6:7], v[154:155]
	v_add_f64_e32 v[122:123], v[138:139], v[136:137]
	v_add_f64_e32 v[136:137], v[156:157], v[158:159]
	s_wait_loadcnt_dscnt 0x800
	v_mul_f64_e32 v[138:139], v[128:129], v[10:11]
	v_mul_f64_e32 v[10:11], v[130:131], v[10:11]
	v_fmac_f64_e32 v[160:161], v[6:7], v[152:153]
	v_fma_f64 v[148:149], v[4:5], v[152:153], -v[154:155]
	v_add_f64_e32 v[150:151], v[122:123], v[120:121]
	v_add_f64_e32 v[136:137], v[136:137], v[162:163]
	ds_load_b128 v[4:7], v2 offset:1248
	ds_load_b128 v[120:123], v2 offset:1264
	v_fmac_f64_e32 v[138:139], v[130:131], v[8:9]
	v_fma_f64 v[8:9], v[128:129], v[8:9], -v[10:11]
	s_wait_loadcnt_dscnt 0x701
	v_mul_f64_e32 v[152:153], v[4:5], v[142:143]
	v_mul_f64_e32 v[142:143], v[6:7], v[142:143]
	s_wait_loadcnt_dscnt 0x600
	v_mul_f64_e32 v[130:131], v[120:121], v[18:19]
	v_mul_f64_e32 v[18:19], v[122:123], v[18:19]
	v_add_f64_e32 v[10:11], v[150:151], v[148:149]
	v_add_f64_e32 v[128:129], v[136:137], v[160:161]
	v_fmac_f64_e32 v[152:153], v[6:7], v[140:141]
	v_fma_f64 v[136:137], v[4:5], v[140:141], -v[142:143]
	v_fmac_f64_e32 v[130:131], v[122:123], v[16:17]
	v_fma_f64 v[16:17], v[120:121], v[16:17], -v[18:19]
	v_add_f64_e32 v[140:141], v[10:11], v[8:9]
	v_add_f64_e32 v[128:129], v[128:129], v[138:139]
	ds_load_b128 v[4:7], v2 offset:1280
	ds_load_b128 v[8:11], v2 offset:1296
	s_wait_loadcnt_dscnt 0x501
	v_mul_f64_e32 v[138:139], v[4:5], v[134:135]
	v_mul_f64_e32 v[134:135], v[6:7], v[134:135]
	s_wait_loadcnt_dscnt 0x400
	v_mul_f64_e32 v[122:123], v[8:9], v[14:15]
	v_add_f64_e32 v[18:19], v[140:141], v[136:137]
	v_add_f64_e32 v[120:121], v[128:129], v[152:153]
	v_mul_f64_e32 v[128:129], v[10:11], v[14:15]
	v_fmac_f64_e32 v[138:139], v[6:7], v[132:133]
	v_fma_f64 v[132:133], v[4:5], v[132:133], -v[134:135]
	v_fmac_f64_e32 v[122:123], v[10:11], v[12:13]
	v_add_f64_e32 v[18:19], v[18:19], v[16:17]
	v_add_f64_e32 v[120:121], v[120:121], v[130:131]
	ds_load_b128 v[4:7], v2 offset:1312
	ds_load_b128 v[14:17], v2 offset:1328
	v_fma_f64 v[8:9], v[8:9], v[12:13], -v[128:129]
	s_wait_loadcnt_dscnt 0x301
	v_mul_f64_e32 v[130:131], v[4:5], v[118:119]
	v_mul_f64_e32 v[118:119], v[6:7], v[118:119]
	v_add_f64_e32 v[10:11], v[18:19], v[132:133]
	v_add_f64_e32 v[12:13], v[120:121], v[138:139]
	s_wait_loadcnt_dscnt 0x200
	v_mul_f64_e32 v[18:19], v[14:15], v[22:23]
	v_mul_f64_e32 v[22:23], v[16:17], v[22:23]
	v_fmac_f64_e32 v[130:131], v[6:7], v[116:117]
	v_fma_f64 v[116:117], v[4:5], v[116:117], -v[118:119]
	v_add_f64_e32 v[118:119], v[10:11], v[8:9]
	v_add_f64_e32 v[12:13], v[12:13], v[122:123]
	ds_load_b128 v[4:7], v2 offset:1344
	ds_load_b128 v[8:11], v2 offset:1360
	v_fmac_f64_e32 v[18:19], v[16:17], v[20:21]
	v_fma_f64 v[14:15], v[14:15], v[20:21], -v[22:23]
	s_wait_loadcnt_dscnt 0x101
	v_mul_f64_e32 v[2:3], v[4:5], v[126:127]
	v_mul_f64_e32 v[120:121], v[6:7], v[126:127]
	s_wait_loadcnt_dscnt 0x0
	v_mul_f64_e32 v[20:21], v[8:9], v[114:115]
	v_mul_f64_e32 v[22:23], v[10:11], v[114:115]
	v_add_f64_e32 v[16:17], v[118:119], v[116:117]
	v_add_f64_e32 v[12:13], v[12:13], v[130:131]
	v_fmac_f64_e32 v[2:3], v[6:7], v[124:125]
	v_fma_f64 v[4:5], v[4:5], v[124:125], -v[120:121]
	v_fmac_f64_e32 v[20:21], v[10:11], v[112:113]
	v_fma_f64 v[8:9], v[8:9], v[112:113], -v[22:23]
	v_add_f64_e32 v[6:7], v[16:17], v[14:15]
	v_add_f64_e32 v[12:13], v[12:13], v[18:19]
	s_delay_alu instid0(VALU_DEP_2) | instskip(NEXT) | instid1(VALU_DEP_2)
	v_add_f64_e32 v[4:5], v[6:7], v[4:5]
	v_add_f64_e32 v[2:3], v[12:13], v[2:3]
	s_delay_alu instid0(VALU_DEP_2) | instskip(NEXT) | instid1(VALU_DEP_2)
	;; [unrolled: 3-line block ×3, first 2 shown]
	v_add_f64_e64 v[2:3], v[144:145], -v[4:5]
	v_add_f64_e64 v[4:5], v[146:147], -v[6:7]
	scratch_store_b128 off, v[2:5], off offset:320
	s_wait_xcnt 0x0
	v_cmpx_lt_u32_e32 19, v1
	s_cbranch_execz .LBB42_233
; %bb.232:
	scratch_load_b128 v[2:5], off, s36
	v_mov_b32_e32 v6, 0
	s_delay_alu instid0(VALU_DEP_1)
	v_dual_mov_b32 v7, v6 :: v_dual_mov_b32 v8, v6
	v_mov_b32_e32 v9, v6
	scratch_store_b128 off, v[6:9], off offset:304
	s_wait_loadcnt 0x0
	ds_store_b128 v110, v[2:5]
.LBB42_233:
	s_wait_xcnt 0x0
	s_or_b32 exec_lo, exec_lo, s2
	s_wait_storecnt_dscnt 0x0
	s_barrier_signal -1
	s_barrier_wait -1
	s_clause 0x9
	scratch_load_b128 v[4:7], off, off offset:320
	scratch_load_b128 v[8:11], off, off offset:336
	;; [unrolled: 1-line block ×10, first 2 shown]
	v_mov_b32_e32 v2, 0
	s_mov_b32 s2, exec_lo
	ds_load_b128 v[132:135], v2 offset:1008
	s_clause 0x2
	scratch_load_b128 v[136:139], off, off offset:480
	scratch_load_b128 v[140:143], off, off offset:304
	;; [unrolled: 1-line block ×3, first 2 shown]
	s_wait_loadcnt_dscnt 0xc00
	v_mul_f64_e32 v[152:153], v[134:135], v[6:7]
	v_mul_f64_e32 v[156:157], v[132:133], v[6:7]
	ds_load_b128 v[144:147], v2 offset:1024
	v_fma_f64 v[160:161], v[132:133], v[4:5], -v[152:153]
	v_fmac_f64_e32 v[156:157], v[134:135], v[4:5]
	ds_load_b128 v[4:7], v2 offset:1040
	s_wait_loadcnt_dscnt 0xb01
	v_mul_f64_e32 v[158:159], v[144:145], v[10:11]
	v_mul_f64_e32 v[10:11], v[146:147], v[10:11]
	scratch_load_b128 v[132:135], off, off offset:512
	ds_load_b128 v[152:155], v2 offset:1056
	s_wait_loadcnt_dscnt 0xb01
	v_mul_f64_e32 v[162:163], v[4:5], v[14:15]
	v_mul_f64_e32 v[14:15], v[6:7], v[14:15]
	v_add_f64_e32 v[156:157], 0, v[156:157]
	v_fmac_f64_e32 v[158:159], v[146:147], v[8:9]
	v_fma_f64 v[144:145], v[144:145], v[8:9], -v[10:11]
	v_add_f64_e32 v[146:147], 0, v[160:161]
	scratch_load_b128 v[8:11], off, off offset:528
	v_fmac_f64_e32 v[162:163], v[6:7], v[12:13]
	v_fma_f64 v[164:165], v[4:5], v[12:13], -v[14:15]
	ds_load_b128 v[4:7], v2 offset:1072
	s_wait_loadcnt_dscnt 0xb01
	v_mul_f64_e32 v[160:161], v[152:153], v[18:19]
	v_mul_f64_e32 v[18:19], v[154:155], v[18:19]
	scratch_load_b128 v[12:15], off, off offset:544
	v_add_f64_e32 v[156:157], v[156:157], v[158:159]
	v_add_f64_e32 v[166:167], v[146:147], v[144:145]
	ds_load_b128 v[144:147], v2 offset:1088
	s_wait_loadcnt_dscnt 0xb01
	v_mul_f64_e32 v[158:159], v[4:5], v[22:23]
	v_mul_f64_e32 v[22:23], v[6:7], v[22:23]
	v_fmac_f64_e32 v[160:161], v[154:155], v[16:17]
	v_fma_f64 v[152:153], v[152:153], v[16:17], -v[18:19]
	scratch_load_b128 v[16:19], off, off offset:560
	v_add_f64_e32 v[156:157], v[156:157], v[162:163]
	v_add_f64_e32 v[154:155], v[166:167], v[164:165]
	v_fmac_f64_e32 v[158:159], v[6:7], v[20:21]
	v_fma_f64 v[164:165], v[4:5], v[20:21], -v[22:23]
	ds_load_b128 v[4:7], v2 offset:1104
	s_wait_loadcnt_dscnt 0xb01
	v_mul_f64_e32 v[162:163], v[144:145], v[114:115]
	v_mul_f64_e32 v[114:115], v[146:147], v[114:115]
	scratch_load_b128 v[20:23], off, off offset:576
	v_add_f64_e32 v[156:157], v[156:157], v[160:161]
	s_wait_loadcnt_dscnt 0xb00
	v_mul_f64_e32 v[160:161], v[4:5], v[118:119]
	v_add_f64_e32 v[166:167], v[154:155], v[152:153]
	v_mul_f64_e32 v[118:119], v[6:7], v[118:119]
	ds_load_b128 v[152:155], v2 offset:1120
	v_fmac_f64_e32 v[162:163], v[146:147], v[112:113]
	v_fma_f64 v[144:145], v[144:145], v[112:113], -v[114:115]
	scratch_load_b128 v[112:115], off, off offset:592
	v_add_f64_e32 v[156:157], v[156:157], v[158:159]
	v_fmac_f64_e32 v[160:161], v[6:7], v[116:117]
	v_add_f64_e32 v[146:147], v[166:167], v[164:165]
	v_fma_f64 v[164:165], v[4:5], v[116:117], -v[118:119]
	ds_load_b128 v[4:7], v2 offset:1136
	s_wait_loadcnt_dscnt 0xb01
	v_mul_f64_e32 v[158:159], v[152:153], v[122:123]
	v_mul_f64_e32 v[122:123], v[154:155], v[122:123]
	scratch_load_b128 v[116:119], off, off offset:608
	v_add_f64_e32 v[156:157], v[156:157], v[162:163]
	s_wait_loadcnt_dscnt 0xb00
	v_mul_f64_e32 v[162:163], v[4:5], v[126:127]
	v_add_f64_e32 v[166:167], v[146:147], v[144:145]
	v_mul_f64_e32 v[126:127], v[6:7], v[126:127]
	ds_load_b128 v[144:147], v2 offset:1152
	v_fmac_f64_e32 v[158:159], v[154:155], v[120:121]
	v_fma_f64 v[152:153], v[152:153], v[120:121], -v[122:123]
	scratch_load_b128 v[120:123], off, off offset:624
	v_add_f64_e32 v[156:157], v[156:157], v[160:161]
	v_fmac_f64_e32 v[162:163], v[6:7], v[124:125]
	v_add_f64_e32 v[154:155], v[166:167], v[164:165]
	;; [unrolled: 18-line block ×3, first 2 shown]
	v_fma_f64 v[164:165], v[4:5], v[136:137], -v[138:139]
	ds_load_b128 v[4:7], v2 offset:1200
	s_wait_loadcnt_dscnt 0xa01
	v_mul_f64_e32 v[162:163], v[152:153], v[150:151]
	v_mul_f64_e32 v[150:151], v[154:155], v[150:151]
	scratch_load_b128 v[136:139], off, off offset:672
	v_add_f64_e32 v[156:157], v[156:157], v[160:161]
	v_add_f64_e32 v[166:167], v[146:147], v[144:145]
	s_wait_loadcnt_dscnt 0xa00
	v_mul_f64_e32 v[160:161], v[4:5], v[134:135]
	v_mul_f64_e32 v[134:135], v[6:7], v[134:135]
	v_fmac_f64_e32 v[162:163], v[154:155], v[148:149]
	v_fma_f64 v[148:149], v[152:153], v[148:149], -v[150:151]
	ds_load_b128 v[144:147], v2 offset:1216
	v_add_f64_e32 v[152:153], v[156:157], v[158:159]
	v_add_f64_e32 v[150:151], v[166:167], v[164:165]
	s_wait_loadcnt_dscnt 0x900
	v_mul_f64_e32 v[154:155], v[144:145], v[10:11]
	v_mul_f64_e32 v[10:11], v[146:147], v[10:11]
	v_fmac_f64_e32 v[160:161], v[6:7], v[132:133]
	v_fma_f64 v[156:157], v[4:5], v[132:133], -v[134:135]
	ds_load_b128 v[4:7], v2 offset:1232
	ds_load_b128 v[132:135], v2 offset:1248
	v_add_f64_e32 v[148:149], v[150:151], v[148:149]
	v_add_f64_e32 v[150:151], v[152:153], v[162:163]
	s_wait_loadcnt_dscnt 0x801
	v_mul_f64_e32 v[152:153], v[4:5], v[14:15]
	v_mul_f64_e32 v[14:15], v[6:7], v[14:15]
	v_fmac_f64_e32 v[154:155], v[146:147], v[8:9]
	v_fma_f64 v[8:9], v[144:145], v[8:9], -v[10:11]
	s_wait_loadcnt_dscnt 0x700
	v_mul_f64_e32 v[146:147], v[132:133], v[18:19]
	v_mul_f64_e32 v[18:19], v[134:135], v[18:19]
	v_add_f64_e32 v[10:11], v[148:149], v[156:157]
	v_add_f64_e32 v[144:145], v[150:151], v[160:161]
	v_fmac_f64_e32 v[152:153], v[6:7], v[12:13]
	v_fma_f64 v[12:13], v[4:5], v[12:13], -v[14:15]
	v_fmac_f64_e32 v[146:147], v[134:135], v[16:17]
	v_fma_f64 v[16:17], v[132:133], v[16:17], -v[18:19]
	v_add_f64_e32 v[14:15], v[10:11], v[8:9]
	v_add_f64_e32 v[144:145], v[144:145], v[154:155]
	ds_load_b128 v[4:7], v2 offset:1264
	ds_load_b128 v[8:11], v2 offset:1280
	s_wait_loadcnt_dscnt 0x601
	v_mul_f64_e32 v[148:149], v[4:5], v[22:23]
	v_mul_f64_e32 v[22:23], v[6:7], v[22:23]
	s_wait_loadcnt_dscnt 0x500
	v_mul_f64_e32 v[18:19], v[8:9], v[114:115]
	v_mul_f64_e32 v[114:115], v[10:11], v[114:115]
	v_add_f64_e32 v[12:13], v[14:15], v[12:13]
	v_add_f64_e32 v[14:15], v[144:145], v[152:153]
	v_fmac_f64_e32 v[148:149], v[6:7], v[20:21]
	v_fma_f64 v[20:21], v[4:5], v[20:21], -v[22:23]
	v_fmac_f64_e32 v[18:19], v[10:11], v[112:113]
	v_fma_f64 v[8:9], v[8:9], v[112:113], -v[114:115]
	v_add_f64_e32 v[16:17], v[12:13], v[16:17]
	v_add_f64_e32 v[22:23], v[14:15], v[146:147]
	ds_load_b128 v[4:7], v2 offset:1296
	ds_load_b128 v[12:15], v2 offset:1312
	s_wait_loadcnt_dscnt 0x401
	v_mul_f64_e32 v[132:133], v[4:5], v[118:119]
	v_mul_f64_e32 v[118:119], v[6:7], v[118:119]
	v_add_f64_e32 v[10:11], v[16:17], v[20:21]
	v_add_f64_e32 v[16:17], v[22:23], v[148:149]
	s_wait_loadcnt_dscnt 0x300
	v_mul_f64_e32 v[20:21], v[12:13], v[122:123]
	v_mul_f64_e32 v[22:23], v[14:15], v[122:123]
	v_fmac_f64_e32 v[132:133], v[6:7], v[116:117]
	v_fma_f64 v[112:113], v[4:5], v[116:117], -v[118:119]
	v_add_f64_e32 v[114:115], v[10:11], v[8:9]
	v_add_f64_e32 v[16:17], v[16:17], v[18:19]
	ds_load_b128 v[4:7], v2 offset:1328
	ds_load_b128 v[8:11], v2 offset:1344
	v_fmac_f64_e32 v[20:21], v[14:15], v[120:121]
	v_fma_f64 v[12:13], v[12:13], v[120:121], -v[22:23]
	s_wait_loadcnt_dscnt 0x201
	v_mul_f64_e32 v[18:19], v[4:5], v[126:127]
	v_mul_f64_e32 v[116:117], v[6:7], v[126:127]
	s_wait_loadcnt_dscnt 0x100
	v_mul_f64_e32 v[22:23], v[8:9], v[130:131]
	v_add_f64_e32 v[14:15], v[114:115], v[112:113]
	v_add_f64_e32 v[16:17], v[16:17], v[132:133]
	v_mul_f64_e32 v[112:113], v[10:11], v[130:131]
	v_fmac_f64_e32 v[18:19], v[6:7], v[124:125]
	v_fma_f64 v[114:115], v[4:5], v[124:125], -v[116:117]
	ds_load_b128 v[4:7], v2 offset:1360
	v_fmac_f64_e32 v[22:23], v[10:11], v[128:129]
	v_add_f64_e32 v[12:13], v[14:15], v[12:13]
	v_add_f64_e32 v[14:15], v[16:17], v[20:21]
	v_fma_f64 v[8:9], v[8:9], v[128:129], -v[112:113]
	s_wait_loadcnt_dscnt 0x0
	v_mul_f64_e32 v[16:17], v[4:5], v[138:139]
	v_mul_f64_e32 v[20:21], v[6:7], v[138:139]
	v_add_f64_e32 v[10:11], v[12:13], v[114:115]
	v_add_f64_e32 v[12:13], v[14:15], v[18:19]
	s_delay_alu instid0(VALU_DEP_4) | instskip(NEXT) | instid1(VALU_DEP_4)
	v_fmac_f64_e32 v[16:17], v[6:7], v[136:137]
	v_fma_f64 v[4:5], v[4:5], v[136:137], -v[20:21]
	s_delay_alu instid0(VALU_DEP_4) | instskip(NEXT) | instid1(VALU_DEP_4)
	v_add_f64_e32 v[6:7], v[10:11], v[8:9]
	v_add_f64_e32 v[8:9], v[12:13], v[22:23]
	s_delay_alu instid0(VALU_DEP_2) | instskip(NEXT) | instid1(VALU_DEP_2)
	v_add_f64_e32 v[4:5], v[6:7], v[4:5]
	v_add_f64_e32 v[6:7], v[8:9], v[16:17]
	s_delay_alu instid0(VALU_DEP_2) | instskip(NEXT) | instid1(VALU_DEP_2)
	v_add_f64_e64 v[4:5], v[140:141], -v[4:5]
	v_add_f64_e64 v[6:7], v[142:143], -v[6:7]
	scratch_store_b128 off, v[4:7], off offset:304
	s_wait_xcnt 0x0
	v_cmpx_lt_u32_e32 18, v1
	s_cbranch_execz .LBB42_235
; %bb.234:
	scratch_load_b128 v[6:9], off, s35
	v_dual_mov_b32 v3, v2 :: v_dual_mov_b32 v4, v2
	v_mov_b32_e32 v5, v2
	scratch_store_b128 off, v[2:5], off offset:288
	s_wait_loadcnt 0x0
	ds_store_b128 v110, v[6:9]
.LBB42_235:
	s_wait_xcnt 0x0
	s_or_b32 exec_lo, exec_lo, s2
	s_wait_storecnt_dscnt 0x0
	s_barrier_signal -1
	s_barrier_wait -1
	s_clause 0x9
	scratch_load_b128 v[4:7], off, off offset:304
	scratch_load_b128 v[8:11], off, off offset:320
	;; [unrolled: 1-line block ×10, first 2 shown]
	ds_load_b128 v[132:135], v2 offset:992
	ds_load_b128 v[140:143], v2 offset:1008
	s_clause 0x2
	scratch_load_b128 v[136:139], off, off offset:464
	scratch_load_b128 v[144:147], off, off offset:288
	;; [unrolled: 1-line block ×3, first 2 shown]
	s_mov_b32 s2, exec_lo
	s_wait_loadcnt_dscnt 0xc01
	v_mul_f64_e32 v[152:153], v[134:135], v[6:7]
	v_mul_f64_e32 v[156:157], v[132:133], v[6:7]
	s_wait_loadcnt_dscnt 0xb00
	v_mul_f64_e32 v[158:159], v[140:141], v[10:11]
	v_mul_f64_e32 v[10:11], v[142:143], v[10:11]
	s_delay_alu instid0(VALU_DEP_4) | instskip(NEXT) | instid1(VALU_DEP_4)
	v_fma_f64 v[160:161], v[132:133], v[4:5], -v[152:153]
	v_fmac_f64_e32 v[156:157], v[134:135], v[4:5]
	ds_load_b128 v[4:7], v2 offset:1024
	ds_load_b128 v[132:135], v2 offset:1040
	scratch_load_b128 v[152:155], off, off offset:496
	v_fmac_f64_e32 v[158:159], v[142:143], v[8:9]
	v_fma_f64 v[140:141], v[140:141], v[8:9], -v[10:11]
	scratch_load_b128 v[8:11], off, off offset:512
	s_wait_loadcnt_dscnt 0xc01
	v_mul_f64_e32 v[162:163], v[4:5], v[14:15]
	v_mul_f64_e32 v[14:15], v[6:7], v[14:15]
	v_add_f64_e32 v[142:143], 0, v[160:161]
	v_add_f64_e32 v[156:157], 0, v[156:157]
	s_wait_loadcnt_dscnt 0xb00
	v_mul_f64_e32 v[160:161], v[132:133], v[18:19]
	v_mul_f64_e32 v[18:19], v[134:135], v[18:19]
	v_fmac_f64_e32 v[162:163], v[6:7], v[12:13]
	v_fma_f64 v[164:165], v[4:5], v[12:13], -v[14:15]
	ds_load_b128 v[4:7], v2 offset:1056
	ds_load_b128 v[12:15], v2 offset:1072
	v_add_f64_e32 v[166:167], v[142:143], v[140:141]
	v_add_f64_e32 v[156:157], v[156:157], v[158:159]
	scratch_load_b128 v[140:143], off, off offset:528
	v_fmac_f64_e32 v[160:161], v[134:135], v[16:17]
	v_fma_f64 v[132:133], v[132:133], v[16:17], -v[18:19]
	scratch_load_b128 v[16:19], off, off offset:544
	s_wait_loadcnt_dscnt 0xc01
	v_mul_f64_e32 v[158:159], v[4:5], v[22:23]
	v_mul_f64_e32 v[22:23], v[6:7], v[22:23]
	v_add_f64_e32 v[134:135], v[166:167], v[164:165]
	v_add_f64_e32 v[156:157], v[156:157], v[162:163]
	s_wait_loadcnt_dscnt 0xb00
	v_mul_f64_e32 v[162:163], v[12:13], v[114:115]
	v_mul_f64_e32 v[114:115], v[14:15], v[114:115]
	v_fmac_f64_e32 v[158:159], v[6:7], v[20:21]
	v_fma_f64 v[164:165], v[4:5], v[20:21], -v[22:23]
	ds_load_b128 v[4:7], v2 offset:1088
	ds_load_b128 v[20:23], v2 offset:1104
	v_add_f64_e32 v[166:167], v[134:135], v[132:133]
	v_add_f64_e32 v[156:157], v[156:157], v[160:161]
	scratch_load_b128 v[132:135], off, off offset:560
	s_wait_loadcnt_dscnt 0xb01
	v_mul_f64_e32 v[160:161], v[4:5], v[118:119]
	v_mul_f64_e32 v[118:119], v[6:7], v[118:119]
	v_fmac_f64_e32 v[162:163], v[14:15], v[112:113]
	v_fma_f64 v[112:113], v[12:13], v[112:113], -v[114:115]
	scratch_load_b128 v[12:15], off, off offset:576
	v_add_f64_e32 v[114:115], v[166:167], v[164:165]
	v_add_f64_e32 v[156:157], v[156:157], v[158:159]
	s_wait_loadcnt_dscnt 0xb00
	v_mul_f64_e32 v[158:159], v[20:21], v[122:123]
	v_mul_f64_e32 v[122:123], v[22:23], v[122:123]
	v_fmac_f64_e32 v[160:161], v[6:7], v[116:117]
	v_fma_f64 v[164:165], v[4:5], v[116:117], -v[118:119]
	v_add_f64_e32 v[166:167], v[114:115], v[112:113]
	v_add_f64_e32 v[156:157], v[156:157], v[162:163]
	ds_load_b128 v[4:7], v2 offset:1120
	ds_load_b128 v[112:115], v2 offset:1136
	scratch_load_b128 v[116:119], off, off offset:592
	v_fmac_f64_e32 v[158:159], v[22:23], v[120:121]
	v_fma_f64 v[120:121], v[20:21], v[120:121], -v[122:123]
	scratch_load_b128 v[20:23], off, off offset:608
	s_wait_loadcnt_dscnt 0xc01
	v_mul_f64_e32 v[162:163], v[4:5], v[126:127]
	v_mul_f64_e32 v[126:127], v[6:7], v[126:127]
	v_add_f64_e32 v[122:123], v[166:167], v[164:165]
	v_add_f64_e32 v[156:157], v[156:157], v[160:161]
	s_wait_loadcnt_dscnt 0xb00
	v_mul_f64_e32 v[160:161], v[112:113], v[130:131]
	v_mul_f64_e32 v[130:131], v[114:115], v[130:131]
	v_fmac_f64_e32 v[162:163], v[6:7], v[124:125]
	v_fma_f64 v[164:165], v[4:5], v[124:125], -v[126:127]
	v_add_f64_e32 v[166:167], v[122:123], v[120:121]
	v_add_f64_e32 v[156:157], v[156:157], v[158:159]
	ds_load_b128 v[4:7], v2 offset:1152
	ds_load_b128 v[120:123], v2 offset:1168
	scratch_load_b128 v[124:127], off, off offset:624
	v_fmac_f64_e32 v[160:161], v[114:115], v[128:129]
	v_fma_f64 v[128:129], v[112:113], v[128:129], -v[130:131]
	scratch_load_b128 v[112:115], off, off offset:640
	s_wait_loadcnt_dscnt 0xc01
	v_mul_f64_e32 v[158:159], v[4:5], v[138:139]
	v_mul_f64_e32 v[138:139], v[6:7], v[138:139]
	;; [unrolled: 18-line block ×3, first 2 shown]
	v_add_f64_e32 v[150:151], v[166:167], v[164:165]
	v_add_f64_e32 v[156:157], v[156:157], v[158:159]
	s_wait_loadcnt_dscnt 0xa00
	v_mul_f64_e32 v[158:159], v[128:129], v[10:11]
	v_mul_f64_e32 v[10:11], v[130:131], v[10:11]
	v_fmac_f64_e32 v[160:161], v[6:7], v[152:153]
	v_fma_f64 v[152:153], v[4:5], v[152:153], -v[154:155]
	v_add_f64_e32 v[154:155], v[150:151], v[148:149]
	v_add_f64_e32 v[156:157], v[156:157], v[162:163]
	ds_load_b128 v[4:7], v2 offset:1216
	ds_load_b128 v[148:151], v2 offset:1232
	v_fmac_f64_e32 v[158:159], v[130:131], v[8:9]
	v_fma_f64 v[8:9], v[128:129], v[8:9], -v[10:11]
	s_wait_loadcnt_dscnt 0x901
	v_mul_f64_e32 v[162:163], v[4:5], v[142:143]
	v_mul_f64_e32 v[142:143], v[6:7], v[142:143]
	s_wait_loadcnt_dscnt 0x800
	v_mul_f64_e32 v[130:131], v[148:149], v[18:19]
	v_mul_f64_e32 v[18:19], v[150:151], v[18:19]
	v_add_f64_e32 v[10:11], v[154:155], v[152:153]
	v_add_f64_e32 v[128:129], v[156:157], v[160:161]
	v_fmac_f64_e32 v[162:163], v[6:7], v[140:141]
	v_fma_f64 v[140:141], v[4:5], v[140:141], -v[142:143]
	v_fmac_f64_e32 v[130:131], v[150:151], v[16:17]
	v_fma_f64 v[16:17], v[148:149], v[16:17], -v[18:19]
	v_add_f64_e32 v[142:143], v[10:11], v[8:9]
	v_add_f64_e32 v[128:129], v[128:129], v[158:159]
	ds_load_b128 v[4:7], v2 offset:1248
	ds_load_b128 v[8:11], v2 offset:1264
	s_wait_loadcnt_dscnt 0x701
	v_mul_f64_e32 v[152:153], v[4:5], v[134:135]
	v_mul_f64_e32 v[134:135], v[6:7], v[134:135]
	v_add_f64_e32 v[18:19], v[142:143], v[140:141]
	v_add_f64_e32 v[128:129], v[128:129], v[162:163]
	s_wait_loadcnt_dscnt 0x600
	v_mul_f64_e32 v[140:141], v[8:9], v[14:15]
	v_mul_f64_e32 v[142:143], v[10:11], v[14:15]
	v_fmac_f64_e32 v[152:153], v[6:7], v[132:133]
	v_fma_f64 v[132:133], v[4:5], v[132:133], -v[134:135]
	v_add_f64_e32 v[18:19], v[18:19], v[16:17]
	v_add_f64_e32 v[128:129], v[128:129], v[130:131]
	ds_load_b128 v[4:7], v2 offset:1280
	ds_load_b128 v[14:17], v2 offset:1296
	v_fmac_f64_e32 v[140:141], v[10:11], v[12:13]
	v_fma_f64 v[8:9], v[8:9], v[12:13], -v[142:143]
	s_wait_loadcnt_dscnt 0x501
	v_mul_f64_e32 v[130:131], v[4:5], v[118:119]
	v_mul_f64_e32 v[118:119], v[6:7], v[118:119]
	v_add_f64_e32 v[10:11], v[18:19], v[132:133]
	v_add_f64_e32 v[12:13], v[128:129], v[152:153]
	s_wait_loadcnt_dscnt 0x400
	v_mul_f64_e32 v[18:19], v[14:15], v[22:23]
	v_mul_f64_e32 v[22:23], v[16:17], v[22:23]
	v_fmac_f64_e32 v[130:131], v[6:7], v[116:117]
	v_fma_f64 v[116:117], v[4:5], v[116:117], -v[118:119]
	v_add_f64_e32 v[118:119], v[10:11], v[8:9]
	v_add_f64_e32 v[12:13], v[12:13], v[140:141]
	ds_load_b128 v[4:7], v2 offset:1312
	ds_load_b128 v[8:11], v2 offset:1328
	v_fmac_f64_e32 v[18:19], v[16:17], v[20:21]
	v_fma_f64 v[14:15], v[14:15], v[20:21], -v[22:23]
	s_wait_loadcnt_dscnt 0x301
	v_mul_f64_e32 v[128:129], v[4:5], v[126:127]
	v_mul_f64_e32 v[126:127], v[6:7], v[126:127]
	s_wait_loadcnt_dscnt 0x200
	v_mul_f64_e32 v[20:21], v[8:9], v[114:115]
	v_mul_f64_e32 v[22:23], v[10:11], v[114:115]
	v_add_f64_e32 v[16:17], v[118:119], v[116:117]
	v_add_f64_e32 v[12:13], v[12:13], v[130:131]
	v_fmac_f64_e32 v[128:129], v[6:7], v[124:125]
	v_fma_f64 v[114:115], v[4:5], v[124:125], -v[126:127]
	v_fmac_f64_e32 v[20:21], v[10:11], v[112:113]
	v_fma_f64 v[8:9], v[8:9], v[112:113], -v[22:23]
	v_add_f64_e32 v[16:17], v[16:17], v[14:15]
	v_add_f64_e32 v[18:19], v[12:13], v[18:19]
	ds_load_b128 v[4:7], v2 offset:1344
	ds_load_b128 v[12:15], v2 offset:1360
	s_wait_loadcnt_dscnt 0x101
	v_mul_f64_e32 v[2:3], v[4:5], v[138:139]
	v_mul_f64_e32 v[116:117], v[6:7], v[138:139]
	s_wait_loadcnt_dscnt 0x0
	v_mul_f64_e32 v[22:23], v[14:15], v[122:123]
	v_add_f64_e32 v[10:11], v[16:17], v[114:115]
	v_add_f64_e32 v[16:17], v[18:19], v[128:129]
	v_mul_f64_e32 v[18:19], v[12:13], v[122:123]
	v_fmac_f64_e32 v[2:3], v[6:7], v[136:137]
	v_fma_f64 v[4:5], v[4:5], v[136:137], -v[116:117]
	v_add_f64_e32 v[6:7], v[10:11], v[8:9]
	v_add_f64_e32 v[8:9], v[16:17], v[20:21]
	v_fmac_f64_e32 v[18:19], v[14:15], v[120:121]
	v_fma_f64 v[10:11], v[12:13], v[120:121], -v[22:23]
	s_delay_alu instid0(VALU_DEP_4) | instskip(NEXT) | instid1(VALU_DEP_4)
	v_add_f64_e32 v[4:5], v[6:7], v[4:5]
	v_add_f64_e32 v[2:3], v[8:9], v[2:3]
	s_delay_alu instid0(VALU_DEP_2) | instskip(NEXT) | instid1(VALU_DEP_2)
	v_add_f64_e32 v[4:5], v[4:5], v[10:11]
	v_add_f64_e32 v[6:7], v[2:3], v[18:19]
	s_delay_alu instid0(VALU_DEP_2) | instskip(NEXT) | instid1(VALU_DEP_2)
	v_add_f64_e64 v[2:3], v[144:145], -v[4:5]
	v_add_f64_e64 v[4:5], v[146:147], -v[6:7]
	scratch_store_b128 off, v[2:5], off offset:288
	s_wait_xcnt 0x0
	v_cmpx_lt_u32_e32 17, v1
	s_cbranch_execz .LBB42_237
; %bb.236:
	scratch_load_b128 v[2:5], off, s31
	v_mov_b32_e32 v6, 0
	s_delay_alu instid0(VALU_DEP_1)
	v_dual_mov_b32 v7, v6 :: v_dual_mov_b32 v8, v6
	v_mov_b32_e32 v9, v6
	scratch_store_b128 off, v[6:9], off offset:272
	s_wait_loadcnt 0x0
	ds_store_b128 v110, v[2:5]
.LBB42_237:
	s_wait_xcnt 0x0
	s_or_b32 exec_lo, exec_lo, s2
	s_wait_storecnt_dscnt 0x0
	s_barrier_signal -1
	s_barrier_wait -1
	s_clause 0x9
	scratch_load_b128 v[4:7], off, off offset:288
	scratch_load_b128 v[8:11], off, off offset:304
	scratch_load_b128 v[12:15], off, off offset:320
	scratch_load_b128 v[16:19], off, off offset:336
	scratch_load_b128 v[20:23], off, off offset:352
	scratch_load_b128 v[112:115], off, off offset:368
	scratch_load_b128 v[116:119], off, off offset:384
	scratch_load_b128 v[120:123], off, off offset:400
	scratch_load_b128 v[124:127], off, off offset:416
	scratch_load_b128 v[128:131], off, off offset:432
	v_mov_b32_e32 v2, 0
	s_mov_b32 s2, exec_lo
	ds_load_b128 v[132:135], v2 offset:976
	s_clause 0x2
	scratch_load_b128 v[136:139], off, off offset:448
	scratch_load_b128 v[140:143], off, off offset:272
	;; [unrolled: 1-line block ×3, first 2 shown]
	s_wait_loadcnt_dscnt 0xc00
	v_mul_f64_e32 v[152:153], v[134:135], v[6:7]
	v_mul_f64_e32 v[156:157], v[132:133], v[6:7]
	ds_load_b128 v[144:147], v2 offset:992
	v_fma_f64 v[160:161], v[132:133], v[4:5], -v[152:153]
	v_fmac_f64_e32 v[156:157], v[134:135], v[4:5]
	ds_load_b128 v[4:7], v2 offset:1008
	s_wait_loadcnt_dscnt 0xb01
	v_mul_f64_e32 v[158:159], v[144:145], v[10:11]
	v_mul_f64_e32 v[10:11], v[146:147], v[10:11]
	scratch_load_b128 v[132:135], off, off offset:480
	ds_load_b128 v[152:155], v2 offset:1024
	s_wait_loadcnt_dscnt 0xb01
	v_mul_f64_e32 v[162:163], v[4:5], v[14:15]
	v_mul_f64_e32 v[14:15], v[6:7], v[14:15]
	v_add_f64_e32 v[156:157], 0, v[156:157]
	v_fmac_f64_e32 v[158:159], v[146:147], v[8:9]
	v_fma_f64 v[144:145], v[144:145], v[8:9], -v[10:11]
	v_add_f64_e32 v[146:147], 0, v[160:161]
	scratch_load_b128 v[8:11], off, off offset:496
	v_fmac_f64_e32 v[162:163], v[6:7], v[12:13]
	v_fma_f64 v[164:165], v[4:5], v[12:13], -v[14:15]
	ds_load_b128 v[4:7], v2 offset:1040
	s_wait_loadcnt_dscnt 0xb01
	v_mul_f64_e32 v[160:161], v[152:153], v[18:19]
	v_mul_f64_e32 v[18:19], v[154:155], v[18:19]
	scratch_load_b128 v[12:15], off, off offset:512
	v_add_f64_e32 v[156:157], v[156:157], v[158:159]
	v_add_f64_e32 v[166:167], v[146:147], v[144:145]
	ds_load_b128 v[144:147], v2 offset:1056
	s_wait_loadcnt_dscnt 0xb01
	v_mul_f64_e32 v[158:159], v[4:5], v[22:23]
	v_mul_f64_e32 v[22:23], v[6:7], v[22:23]
	v_fmac_f64_e32 v[160:161], v[154:155], v[16:17]
	v_fma_f64 v[152:153], v[152:153], v[16:17], -v[18:19]
	scratch_load_b128 v[16:19], off, off offset:528
	v_add_f64_e32 v[156:157], v[156:157], v[162:163]
	v_add_f64_e32 v[154:155], v[166:167], v[164:165]
	v_fmac_f64_e32 v[158:159], v[6:7], v[20:21]
	v_fma_f64 v[164:165], v[4:5], v[20:21], -v[22:23]
	ds_load_b128 v[4:7], v2 offset:1072
	s_wait_loadcnt_dscnt 0xb01
	v_mul_f64_e32 v[162:163], v[144:145], v[114:115]
	v_mul_f64_e32 v[114:115], v[146:147], v[114:115]
	scratch_load_b128 v[20:23], off, off offset:544
	v_add_f64_e32 v[156:157], v[156:157], v[160:161]
	s_wait_loadcnt_dscnt 0xb00
	v_mul_f64_e32 v[160:161], v[4:5], v[118:119]
	v_add_f64_e32 v[166:167], v[154:155], v[152:153]
	v_mul_f64_e32 v[118:119], v[6:7], v[118:119]
	ds_load_b128 v[152:155], v2 offset:1088
	v_fmac_f64_e32 v[162:163], v[146:147], v[112:113]
	v_fma_f64 v[144:145], v[144:145], v[112:113], -v[114:115]
	scratch_load_b128 v[112:115], off, off offset:560
	v_add_f64_e32 v[156:157], v[156:157], v[158:159]
	v_fmac_f64_e32 v[160:161], v[6:7], v[116:117]
	v_add_f64_e32 v[146:147], v[166:167], v[164:165]
	v_fma_f64 v[164:165], v[4:5], v[116:117], -v[118:119]
	ds_load_b128 v[4:7], v2 offset:1104
	s_wait_loadcnt_dscnt 0xb01
	v_mul_f64_e32 v[158:159], v[152:153], v[122:123]
	v_mul_f64_e32 v[122:123], v[154:155], v[122:123]
	scratch_load_b128 v[116:119], off, off offset:576
	v_add_f64_e32 v[156:157], v[156:157], v[162:163]
	s_wait_loadcnt_dscnt 0xb00
	v_mul_f64_e32 v[162:163], v[4:5], v[126:127]
	v_add_f64_e32 v[166:167], v[146:147], v[144:145]
	v_mul_f64_e32 v[126:127], v[6:7], v[126:127]
	ds_load_b128 v[144:147], v2 offset:1120
	v_fmac_f64_e32 v[158:159], v[154:155], v[120:121]
	v_fma_f64 v[152:153], v[152:153], v[120:121], -v[122:123]
	scratch_load_b128 v[120:123], off, off offset:592
	v_add_f64_e32 v[156:157], v[156:157], v[160:161]
	v_fmac_f64_e32 v[162:163], v[6:7], v[124:125]
	v_add_f64_e32 v[154:155], v[166:167], v[164:165]
	;; [unrolled: 18-line block ×3, first 2 shown]
	v_fma_f64 v[164:165], v[4:5], v[136:137], -v[138:139]
	ds_load_b128 v[4:7], v2 offset:1168
	s_wait_loadcnt_dscnt 0xa01
	v_mul_f64_e32 v[162:163], v[152:153], v[150:151]
	v_mul_f64_e32 v[150:151], v[154:155], v[150:151]
	scratch_load_b128 v[136:139], off, off offset:640
	v_add_f64_e32 v[156:157], v[156:157], v[160:161]
	v_add_f64_e32 v[166:167], v[146:147], v[144:145]
	s_wait_loadcnt_dscnt 0xa00
	v_mul_f64_e32 v[160:161], v[4:5], v[134:135]
	v_mul_f64_e32 v[134:135], v[6:7], v[134:135]
	v_fmac_f64_e32 v[162:163], v[154:155], v[148:149]
	v_fma_f64 v[152:153], v[152:153], v[148:149], -v[150:151]
	ds_load_b128 v[144:147], v2 offset:1184
	scratch_load_b128 v[148:151], off, off offset:656
	v_add_f64_e32 v[156:157], v[156:157], v[158:159]
	v_add_f64_e32 v[154:155], v[166:167], v[164:165]
	v_fmac_f64_e32 v[160:161], v[6:7], v[132:133]
	v_fma_f64 v[164:165], v[4:5], v[132:133], -v[134:135]
	ds_load_b128 v[4:7], v2 offset:1200
	s_wait_loadcnt_dscnt 0xa01
	v_mul_f64_e32 v[158:159], v[144:145], v[10:11]
	v_mul_f64_e32 v[10:11], v[146:147], v[10:11]
	scratch_load_b128 v[132:135], off, off offset:672
	v_add_f64_e32 v[156:157], v[156:157], v[162:163]
	s_wait_loadcnt_dscnt 0xa00
	v_mul_f64_e32 v[162:163], v[4:5], v[14:15]
	v_add_f64_e32 v[166:167], v[154:155], v[152:153]
	v_mul_f64_e32 v[14:15], v[6:7], v[14:15]
	ds_load_b128 v[152:155], v2 offset:1216
	v_fmac_f64_e32 v[158:159], v[146:147], v[8:9]
	v_fma_f64 v[8:9], v[144:145], v[8:9], -v[10:11]
	s_wait_loadcnt_dscnt 0x900
	v_mul_f64_e32 v[146:147], v[152:153], v[18:19]
	v_mul_f64_e32 v[18:19], v[154:155], v[18:19]
	v_add_f64_e32 v[144:145], v[156:157], v[160:161]
	v_fmac_f64_e32 v[162:163], v[6:7], v[12:13]
	v_add_f64_e32 v[10:11], v[166:167], v[164:165]
	v_fma_f64 v[12:13], v[4:5], v[12:13], -v[14:15]
	v_fmac_f64_e32 v[146:147], v[154:155], v[16:17]
	v_fma_f64 v[16:17], v[152:153], v[16:17], -v[18:19]
	v_add_f64_e32 v[144:145], v[144:145], v[158:159]
	v_add_f64_e32 v[14:15], v[10:11], v[8:9]
	ds_load_b128 v[4:7], v2 offset:1232
	ds_load_b128 v[8:11], v2 offset:1248
	s_wait_loadcnt_dscnt 0x801
	v_mul_f64_e32 v[156:157], v[4:5], v[22:23]
	v_mul_f64_e32 v[22:23], v[6:7], v[22:23]
	s_wait_loadcnt_dscnt 0x700
	v_mul_f64_e32 v[18:19], v[8:9], v[114:115]
	v_mul_f64_e32 v[114:115], v[10:11], v[114:115]
	v_add_f64_e32 v[12:13], v[14:15], v[12:13]
	v_add_f64_e32 v[14:15], v[144:145], v[162:163]
	v_fmac_f64_e32 v[156:157], v[6:7], v[20:21]
	v_fma_f64 v[20:21], v[4:5], v[20:21], -v[22:23]
	v_fmac_f64_e32 v[18:19], v[10:11], v[112:113]
	v_fma_f64 v[8:9], v[8:9], v[112:113], -v[114:115]
	v_add_f64_e32 v[16:17], v[12:13], v[16:17]
	v_add_f64_e32 v[22:23], v[14:15], v[146:147]
	ds_load_b128 v[4:7], v2 offset:1264
	ds_load_b128 v[12:15], v2 offset:1280
	s_wait_loadcnt_dscnt 0x601
	v_mul_f64_e32 v[144:145], v[4:5], v[118:119]
	v_mul_f64_e32 v[118:119], v[6:7], v[118:119]
	v_add_f64_e32 v[10:11], v[16:17], v[20:21]
	v_add_f64_e32 v[16:17], v[22:23], v[156:157]
	s_wait_loadcnt_dscnt 0x500
	v_mul_f64_e32 v[20:21], v[12:13], v[122:123]
	v_mul_f64_e32 v[22:23], v[14:15], v[122:123]
	v_fmac_f64_e32 v[144:145], v[6:7], v[116:117]
	v_fma_f64 v[112:113], v[4:5], v[116:117], -v[118:119]
	v_add_f64_e32 v[114:115], v[10:11], v[8:9]
	v_add_f64_e32 v[16:17], v[16:17], v[18:19]
	ds_load_b128 v[4:7], v2 offset:1296
	ds_load_b128 v[8:11], v2 offset:1312
	v_fmac_f64_e32 v[20:21], v[14:15], v[120:121]
	v_fma_f64 v[12:13], v[12:13], v[120:121], -v[22:23]
	s_wait_loadcnt_dscnt 0x401
	v_mul_f64_e32 v[18:19], v[4:5], v[126:127]
	v_mul_f64_e32 v[116:117], v[6:7], v[126:127]
	s_wait_loadcnt_dscnt 0x300
	v_mul_f64_e32 v[22:23], v[8:9], v[130:131]
	v_add_f64_e32 v[14:15], v[114:115], v[112:113]
	v_add_f64_e32 v[16:17], v[16:17], v[144:145]
	v_mul_f64_e32 v[112:113], v[10:11], v[130:131]
	v_fmac_f64_e32 v[18:19], v[6:7], v[124:125]
	v_fma_f64 v[114:115], v[4:5], v[124:125], -v[116:117]
	v_fmac_f64_e32 v[22:23], v[10:11], v[128:129]
	v_add_f64_e32 v[116:117], v[14:15], v[12:13]
	v_add_f64_e32 v[16:17], v[16:17], v[20:21]
	ds_load_b128 v[4:7], v2 offset:1328
	ds_load_b128 v[12:15], v2 offset:1344
	v_fma_f64 v[8:9], v[8:9], v[128:129], -v[112:113]
	s_wait_loadcnt_dscnt 0x201
	v_mul_f64_e32 v[20:21], v[4:5], v[138:139]
	v_mul_f64_e32 v[118:119], v[6:7], v[138:139]
	s_wait_loadcnt_dscnt 0x100
	v_mul_f64_e32 v[112:113], v[14:15], v[150:151]
	v_add_f64_e32 v[10:11], v[116:117], v[114:115]
	v_add_f64_e32 v[16:17], v[16:17], v[18:19]
	v_mul_f64_e32 v[18:19], v[12:13], v[150:151]
	v_fmac_f64_e32 v[20:21], v[6:7], v[136:137]
	v_fma_f64 v[114:115], v[4:5], v[136:137], -v[118:119]
	ds_load_b128 v[4:7], v2 offset:1360
	v_fma_f64 v[12:13], v[12:13], v[148:149], -v[112:113]
	v_add_f64_e32 v[8:9], v[10:11], v[8:9]
	v_add_f64_e32 v[10:11], v[16:17], v[22:23]
	v_fmac_f64_e32 v[18:19], v[14:15], v[148:149]
	s_wait_loadcnt_dscnt 0x0
	v_mul_f64_e32 v[16:17], v[4:5], v[134:135]
	v_mul_f64_e32 v[22:23], v[6:7], v[134:135]
	v_add_f64_e32 v[8:9], v[8:9], v[114:115]
	v_add_f64_e32 v[10:11], v[10:11], v[20:21]
	s_delay_alu instid0(VALU_DEP_4) | instskip(NEXT) | instid1(VALU_DEP_4)
	v_fmac_f64_e32 v[16:17], v[6:7], v[132:133]
	v_fma_f64 v[4:5], v[4:5], v[132:133], -v[22:23]
	s_delay_alu instid0(VALU_DEP_4) | instskip(NEXT) | instid1(VALU_DEP_4)
	v_add_f64_e32 v[6:7], v[8:9], v[12:13]
	v_add_f64_e32 v[8:9], v[10:11], v[18:19]
	s_delay_alu instid0(VALU_DEP_2) | instskip(NEXT) | instid1(VALU_DEP_2)
	v_add_f64_e32 v[4:5], v[6:7], v[4:5]
	v_add_f64_e32 v[6:7], v[8:9], v[16:17]
	s_delay_alu instid0(VALU_DEP_2) | instskip(NEXT) | instid1(VALU_DEP_2)
	v_add_f64_e64 v[4:5], v[140:141], -v[4:5]
	v_add_f64_e64 v[6:7], v[142:143], -v[6:7]
	scratch_store_b128 off, v[4:7], off offset:272
	s_wait_xcnt 0x0
	v_cmpx_lt_u32_e32 16, v1
	s_cbranch_execz .LBB42_239
; %bb.238:
	scratch_load_b128 v[6:9], off, s30
	v_dual_mov_b32 v3, v2 :: v_dual_mov_b32 v4, v2
	v_mov_b32_e32 v5, v2
	scratch_store_b128 off, v[2:5], off offset:256
	s_wait_loadcnt 0x0
	ds_store_b128 v110, v[6:9]
.LBB42_239:
	s_wait_xcnt 0x0
	s_or_b32 exec_lo, exec_lo, s2
	s_wait_storecnt_dscnt 0x0
	s_barrier_signal -1
	s_barrier_wait -1
	s_clause 0x9
	scratch_load_b128 v[4:7], off, off offset:272
	scratch_load_b128 v[8:11], off, off offset:288
	;; [unrolled: 1-line block ×10, first 2 shown]
	ds_load_b128 v[132:135], v2 offset:960
	ds_load_b128 v[140:143], v2 offset:976
	s_clause 0x2
	scratch_load_b128 v[136:139], off, off offset:432
	scratch_load_b128 v[144:147], off, off offset:256
	;; [unrolled: 1-line block ×3, first 2 shown]
	s_mov_b32 s2, exec_lo
	s_wait_loadcnt_dscnt 0xc01
	v_mul_f64_e32 v[152:153], v[134:135], v[6:7]
	v_mul_f64_e32 v[156:157], v[132:133], v[6:7]
	s_wait_loadcnt_dscnt 0xb00
	v_mul_f64_e32 v[158:159], v[140:141], v[10:11]
	v_mul_f64_e32 v[10:11], v[142:143], v[10:11]
	s_delay_alu instid0(VALU_DEP_4) | instskip(NEXT) | instid1(VALU_DEP_4)
	v_fma_f64 v[160:161], v[132:133], v[4:5], -v[152:153]
	v_fmac_f64_e32 v[156:157], v[134:135], v[4:5]
	ds_load_b128 v[4:7], v2 offset:992
	ds_load_b128 v[132:135], v2 offset:1008
	scratch_load_b128 v[152:155], off, off offset:464
	v_fmac_f64_e32 v[158:159], v[142:143], v[8:9]
	v_fma_f64 v[140:141], v[140:141], v[8:9], -v[10:11]
	scratch_load_b128 v[8:11], off, off offset:480
	s_wait_loadcnt_dscnt 0xc01
	v_mul_f64_e32 v[162:163], v[4:5], v[14:15]
	v_mul_f64_e32 v[14:15], v[6:7], v[14:15]
	v_add_f64_e32 v[142:143], 0, v[160:161]
	v_add_f64_e32 v[156:157], 0, v[156:157]
	s_wait_loadcnt_dscnt 0xb00
	v_mul_f64_e32 v[160:161], v[132:133], v[18:19]
	v_mul_f64_e32 v[18:19], v[134:135], v[18:19]
	v_fmac_f64_e32 v[162:163], v[6:7], v[12:13]
	v_fma_f64 v[164:165], v[4:5], v[12:13], -v[14:15]
	ds_load_b128 v[4:7], v2 offset:1024
	ds_load_b128 v[12:15], v2 offset:1040
	v_add_f64_e32 v[166:167], v[142:143], v[140:141]
	v_add_f64_e32 v[156:157], v[156:157], v[158:159]
	scratch_load_b128 v[140:143], off, off offset:496
	v_fmac_f64_e32 v[160:161], v[134:135], v[16:17]
	v_fma_f64 v[132:133], v[132:133], v[16:17], -v[18:19]
	scratch_load_b128 v[16:19], off, off offset:512
	s_wait_loadcnt_dscnt 0xc01
	v_mul_f64_e32 v[158:159], v[4:5], v[22:23]
	v_mul_f64_e32 v[22:23], v[6:7], v[22:23]
	v_add_f64_e32 v[134:135], v[166:167], v[164:165]
	v_add_f64_e32 v[156:157], v[156:157], v[162:163]
	s_wait_loadcnt_dscnt 0xb00
	v_mul_f64_e32 v[162:163], v[12:13], v[114:115]
	v_mul_f64_e32 v[114:115], v[14:15], v[114:115]
	v_fmac_f64_e32 v[158:159], v[6:7], v[20:21]
	v_fma_f64 v[164:165], v[4:5], v[20:21], -v[22:23]
	ds_load_b128 v[4:7], v2 offset:1056
	ds_load_b128 v[20:23], v2 offset:1072
	v_add_f64_e32 v[166:167], v[134:135], v[132:133]
	v_add_f64_e32 v[156:157], v[156:157], v[160:161]
	scratch_load_b128 v[132:135], off, off offset:528
	s_wait_loadcnt_dscnt 0xb01
	v_mul_f64_e32 v[160:161], v[4:5], v[118:119]
	v_mul_f64_e32 v[118:119], v[6:7], v[118:119]
	v_fmac_f64_e32 v[162:163], v[14:15], v[112:113]
	v_fma_f64 v[112:113], v[12:13], v[112:113], -v[114:115]
	scratch_load_b128 v[12:15], off, off offset:544
	v_add_f64_e32 v[114:115], v[166:167], v[164:165]
	v_add_f64_e32 v[156:157], v[156:157], v[158:159]
	s_wait_loadcnt_dscnt 0xb00
	v_mul_f64_e32 v[158:159], v[20:21], v[122:123]
	v_mul_f64_e32 v[122:123], v[22:23], v[122:123]
	v_fmac_f64_e32 v[160:161], v[6:7], v[116:117]
	v_fma_f64 v[164:165], v[4:5], v[116:117], -v[118:119]
	v_add_f64_e32 v[166:167], v[114:115], v[112:113]
	v_add_f64_e32 v[156:157], v[156:157], v[162:163]
	ds_load_b128 v[4:7], v2 offset:1088
	ds_load_b128 v[112:115], v2 offset:1104
	scratch_load_b128 v[116:119], off, off offset:560
	v_fmac_f64_e32 v[158:159], v[22:23], v[120:121]
	v_fma_f64 v[120:121], v[20:21], v[120:121], -v[122:123]
	scratch_load_b128 v[20:23], off, off offset:576
	s_wait_loadcnt_dscnt 0xc01
	v_mul_f64_e32 v[162:163], v[4:5], v[126:127]
	v_mul_f64_e32 v[126:127], v[6:7], v[126:127]
	v_add_f64_e32 v[122:123], v[166:167], v[164:165]
	v_add_f64_e32 v[156:157], v[156:157], v[160:161]
	s_wait_loadcnt_dscnt 0xb00
	v_mul_f64_e32 v[160:161], v[112:113], v[130:131]
	v_mul_f64_e32 v[130:131], v[114:115], v[130:131]
	v_fmac_f64_e32 v[162:163], v[6:7], v[124:125]
	v_fma_f64 v[164:165], v[4:5], v[124:125], -v[126:127]
	v_add_f64_e32 v[166:167], v[122:123], v[120:121]
	v_add_f64_e32 v[156:157], v[156:157], v[158:159]
	ds_load_b128 v[4:7], v2 offset:1120
	ds_load_b128 v[120:123], v2 offset:1136
	scratch_load_b128 v[124:127], off, off offset:592
	v_fmac_f64_e32 v[160:161], v[114:115], v[128:129]
	v_fma_f64 v[128:129], v[112:113], v[128:129], -v[130:131]
	scratch_load_b128 v[112:115], off, off offset:608
	s_wait_loadcnt_dscnt 0xc01
	v_mul_f64_e32 v[158:159], v[4:5], v[138:139]
	v_mul_f64_e32 v[138:139], v[6:7], v[138:139]
	;; [unrolled: 18-line block ×4, first 2 shown]
	v_add_f64_e32 v[130:131], v[166:167], v[164:165]
	v_add_f64_e32 v[156:157], v[156:157], v[160:161]
	s_wait_loadcnt_dscnt 0xa00
	v_mul_f64_e32 v[160:161], v[148:149], v[18:19]
	v_mul_f64_e32 v[18:19], v[150:151], v[18:19]
	v_fmac_f64_e32 v[162:163], v[6:7], v[140:141]
	v_fma_f64 v[140:141], v[4:5], v[140:141], -v[142:143]
	v_add_f64_e32 v[142:143], v[130:131], v[128:129]
	v_add_f64_e32 v[156:157], v[156:157], v[158:159]
	ds_load_b128 v[4:7], v2 offset:1216
	ds_load_b128 v[128:131], v2 offset:1232
	v_fmac_f64_e32 v[160:161], v[150:151], v[16:17]
	v_fma_f64 v[16:17], v[148:149], v[16:17], -v[18:19]
	s_wait_loadcnt_dscnt 0x901
	v_mul_f64_e32 v[158:159], v[4:5], v[134:135]
	v_mul_f64_e32 v[134:135], v[6:7], v[134:135]
	s_wait_loadcnt_dscnt 0x800
	v_mul_f64_e32 v[148:149], v[130:131], v[14:15]
	v_add_f64_e32 v[18:19], v[142:143], v[140:141]
	v_add_f64_e32 v[140:141], v[156:157], v[162:163]
	v_mul_f64_e32 v[142:143], v[128:129], v[14:15]
	v_fmac_f64_e32 v[158:159], v[6:7], v[132:133]
	v_fma_f64 v[132:133], v[4:5], v[132:133], -v[134:135]
	v_add_f64_e32 v[18:19], v[18:19], v[16:17]
	v_add_f64_e32 v[134:135], v[140:141], v[160:161]
	ds_load_b128 v[4:7], v2 offset:1248
	ds_load_b128 v[14:17], v2 offset:1264
	v_fmac_f64_e32 v[142:143], v[130:131], v[12:13]
	v_fma_f64 v[12:13], v[128:129], v[12:13], -v[148:149]
	s_wait_loadcnt_dscnt 0x701
	v_mul_f64_e32 v[140:141], v[4:5], v[118:119]
	v_mul_f64_e32 v[118:119], v[6:7], v[118:119]
	s_wait_loadcnt_dscnt 0x600
	v_mul_f64_e32 v[130:131], v[14:15], v[22:23]
	v_mul_f64_e32 v[22:23], v[16:17], v[22:23]
	v_add_f64_e32 v[18:19], v[18:19], v[132:133]
	v_add_f64_e32 v[128:129], v[134:135], v[158:159]
	v_fmac_f64_e32 v[140:141], v[6:7], v[116:117]
	v_fma_f64 v[132:133], v[4:5], v[116:117], -v[118:119]
	ds_load_b128 v[4:7], v2 offset:1280
	ds_load_b128 v[116:119], v2 offset:1296
	v_fmac_f64_e32 v[130:131], v[16:17], v[20:21]
	v_fma_f64 v[14:15], v[14:15], v[20:21], -v[22:23]
	v_add_f64_e32 v[12:13], v[18:19], v[12:13]
	v_add_f64_e32 v[18:19], v[128:129], v[142:143]
	s_wait_loadcnt_dscnt 0x501
	v_mul_f64_e32 v[128:129], v[4:5], v[126:127]
	v_mul_f64_e32 v[126:127], v[6:7], v[126:127]
	s_wait_loadcnt_dscnt 0x400
	v_mul_f64_e32 v[20:21], v[118:119], v[114:115]
	v_add_f64_e32 v[12:13], v[12:13], v[132:133]
	v_add_f64_e32 v[16:17], v[18:19], v[140:141]
	v_mul_f64_e32 v[18:19], v[116:117], v[114:115]
	v_fmac_f64_e32 v[128:129], v[6:7], v[124:125]
	v_fma_f64 v[22:23], v[4:5], v[124:125], -v[126:127]
	v_fma_f64 v[20:21], v[116:117], v[112:113], -v[20:21]
	v_add_f64_e32 v[114:115], v[12:13], v[14:15]
	v_add_f64_e32 v[16:17], v[16:17], v[130:131]
	ds_load_b128 v[4:7], v2 offset:1312
	ds_load_b128 v[12:15], v2 offset:1328
	v_fmac_f64_e32 v[18:19], v[118:119], v[112:113]
	s_wait_loadcnt_dscnt 0x301
	v_mul_f64_e32 v[124:125], v[4:5], v[138:139]
	v_mul_f64_e32 v[126:127], v[6:7], v[138:139]
	s_wait_loadcnt_dscnt 0x200
	v_mul_f64_e32 v[112:113], v[12:13], v[122:123]
	v_add_f64_e32 v[22:23], v[114:115], v[22:23]
	v_add_f64_e32 v[16:17], v[16:17], v[128:129]
	v_mul_f64_e32 v[114:115], v[14:15], v[122:123]
	v_fmac_f64_e32 v[124:125], v[6:7], v[136:137]
	v_fma_f64 v[116:117], v[4:5], v[136:137], -v[126:127]
	v_fmac_f64_e32 v[112:113], v[14:15], v[120:121]
	v_add_f64_e32 v[20:21], v[22:23], v[20:21]
	v_add_f64_e32 v[22:23], v[16:17], v[18:19]
	ds_load_b128 v[4:7], v2 offset:1344
	ds_load_b128 v[16:19], v2 offset:1360
	v_fma_f64 v[12:13], v[12:13], v[120:121], -v[114:115]
	s_wait_loadcnt_dscnt 0x101
	v_mul_f64_e32 v[2:3], v[4:5], v[154:155]
	v_mul_f64_e32 v[118:119], v[6:7], v[154:155]
	v_add_f64_e32 v[14:15], v[20:21], v[116:117]
	v_add_f64_e32 v[20:21], v[22:23], v[124:125]
	s_wait_loadcnt_dscnt 0x0
	v_mul_f64_e32 v[22:23], v[16:17], v[10:11]
	v_mul_f64_e32 v[10:11], v[18:19], v[10:11]
	v_fmac_f64_e32 v[2:3], v[6:7], v[152:153]
	v_fma_f64 v[4:5], v[4:5], v[152:153], -v[118:119]
	v_add_f64_e32 v[6:7], v[14:15], v[12:13]
	v_add_f64_e32 v[12:13], v[20:21], v[112:113]
	v_fmac_f64_e32 v[22:23], v[18:19], v[8:9]
	v_fma_f64 v[8:9], v[16:17], v[8:9], -v[10:11]
	s_delay_alu instid0(VALU_DEP_4) | instskip(NEXT) | instid1(VALU_DEP_4)
	v_add_f64_e32 v[4:5], v[6:7], v[4:5]
	v_add_f64_e32 v[2:3], v[12:13], v[2:3]
	s_delay_alu instid0(VALU_DEP_2) | instskip(NEXT) | instid1(VALU_DEP_2)
	v_add_f64_e32 v[4:5], v[4:5], v[8:9]
	v_add_f64_e32 v[6:7], v[2:3], v[22:23]
	s_delay_alu instid0(VALU_DEP_2) | instskip(NEXT) | instid1(VALU_DEP_2)
	v_add_f64_e64 v[2:3], v[144:145], -v[4:5]
	v_add_f64_e64 v[4:5], v[146:147], -v[6:7]
	scratch_store_b128 off, v[2:5], off offset:256
	s_wait_xcnt 0x0
	v_cmpx_lt_u32_e32 15, v1
	s_cbranch_execz .LBB42_241
; %bb.240:
	scratch_load_b128 v[2:5], off, s49
	v_mov_b32_e32 v6, 0
	s_delay_alu instid0(VALU_DEP_1)
	v_dual_mov_b32 v7, v6 :: v_dual_mov_b32 v8, v6
	v_mov_b32_e32 v9, v6
	scratch_store_b128 off, v[6:9], off offset:240
	s_wait_loadcnt 0x0
	ds_store_b128 v110, v[2:5]
.LBB42_241:
	s_wait_xcnt 0x0
	s_or_b32 exec_lo, exec_lo, s2
	s_wait_storecnt_dscnt 0x0
	s_barrier_signal -1
	s_barrier_wait -1
	s_clause 0x9
	scratch_load_b128 v[4:7], off, off offset:256
	scratch_load_b128 v[8:11], off, off offset:272
	;; [unrolled: 1-line block ×10, first 2 shown]
	v_mov_b32_e32 v2, 0
	s_mov_b32 s2, exec_lo
	ds_load_b128 v[132:135], v2 offset:944
	s_clause 0x2
	scratch_load_b128 v[136:139], off, off offset:416
	scratch_load_b128 v[140:143], off, off offset:240
	;; [unrolled: 1-line block ×3, first 2 shown]
	s_wait_loadcnt_dscnt 0xc00
	v_mul_f64_e32 v[152:153], v[134:135], v[6:7]
	v_mul_f64_e32 v[156:157], v[132:133], v[6:7]
	ds_load_b128 v[144:147], v2 offset:960
	v_fma_f64 v[160:161], v[132:133], v[4:5], -v[152:153]
	v_fmac_f64_e32 v[156:157], v[134:135], v[4:5]
	ds_load_b128 v[4:7], v2 offset:976
	s_wait_loadcnt_dscnt 0xb01
	v_mul_f64_e32 v[158:159], v[144:145], v[10:11]
	v_mul_f64_e32 v[10:11], v[146:147], v[10:11]
	scratch_load_b128 v[132:135], off, off offset:448
	ds_load_b128 v[152:155], v2 offset:992
	s_wait_loadcnt_dscnt 0xb01
	v_mul_f64_e32 v[162:163], v[4:5], v[14:15]
	v_mul_f64_e32 v[14:15], v[6:7], v[14:15]
	v_add_f64_e32 v[156:157], 0, v[156:157]
	v_fmac_f64_e32 v[158:159], v[146:147], v[8:9]
	v_fma_f64 v[144:145], v[144:145], v[8:9], -v[10:11]
	v_add_f64_e32 v[146:147], 0, v[160:161]
	scratch_load_b128 v[8:11], off, off offset:464
	v_fmac_f64_e32 v[162:163], v[6:7], v[12:13]
	v_fma_f64 v[164:165], v[4:5], v[12:13], -v[14:15]
	ds_load_b128 v[4:7], v2 offset:1008
	s_wait_loadcnt_dscnt 0xb01
	v_mul_f64_e32 v[160:161], v[152:153], v[18:19]
	v_mul_f64_e32 v[18:19], v[154:155], v[18:19]
	scratch_load_b128 v[12:15], off, off offset:480
	v_add_f64_e32 v[156:157], v[156:157], v[158:159]
	v_add_f64_e32 v[166:167], v[146:147], v[144:145]
	ds_load_b128 v[144:147], v2 offset:1024
	s_wait_loadcnt_dscnt 0xb01
	v_mul_f64_e32 v[158:159], v[4:5], v[22:23]
	v_mul_f64_e32 v[22:23], v[6:7], v[22:23]
	v_fmac_f64_e32 v[160:161], v[154:155], v[16:17]
	v_fma_f64 v[152:153], v[152:153], v[16:17], -v[18:19]
	scratch_load_b128 v[16:19], off, off offset:496
	v_add_f64_e32 v[156:157], v[156:157], v[162:163]
	v_add_f64_e32 v[154:155], v[166:167], v[164:165]
	v_fmac_f64_e32 v[158:159], v[6:7], v[20:21]
	v_fma_f64 v[164:165], v[4:5], v[20:21], -v[22:23]
	ds_load_b128 v[4:7], v2 offset:1040
	s_wait_loadcnt_dscnt 0xb01
	v_mul_f64_e32 v[162:163], v[144:145], v[114:115]
	v_mul_f64_e32 v[114:115], v[146:147], v[114:115]
	scratch_load_b128 v[20:23], off, off offset:512
	v_add_f64_e32 v[156:157], v[156:157], v[160:161]
	s_wait_loadcnt_dscnt 0xb00
	v_mul_f64_e32 v[160:161], v[4:5], v[118:119]
	v_add_f64_e32 v[166:167], v[154:155], v[152:153]
	v_mul_f64_e32 v[118:119], v[6:7], v[118:119]
	ds_load_b128 v[152:155], v2 offset:1056
	v_fmac_f64_e32 v[162:163], v[146:147], v[112:113]
	v_fma_f64 v[144:145], v[144:145], v[112:113], -v[114:115]
	scratch_load_b128 v[112:115], off, off offset:528
	v_add_f64_e32 v[156:157], v[156:157], v[158:159]
	v_fmac_f64_e32 v[160:161], v[6:7], v[116:117]
	v_add_f64_e32 v[146:147], v[166:167], v[164:165]
	v_fma_f64 v[164:165], v[4:5], v[116:117], -v[118:119]
	ds_load_b128 v[4:7], v2 offset:1072
	s_wait_loadcnt_dscnt 0xb01
	v_mul_f64_e32 v[158:159], v[152:153], v[122:123]
	v_mul_f64_e32 v[122:123], v[154:155], v[122:123]
	scratch_load_b128 v[116:119], off, off offset:544
	v_add_f64_e32 v[156:157], v[156:157], v[162:163]
	s_wait_loadcnt_dscnt 0xb00
	v_mul_f64_e32 v[162:163], v[4:5], v[126:127]
	v_add_f64_e32 v[166:167], v[146:147], v[144:145]
	v_mul_f64_e32 v[126:127], v[6:7], v[126:127]
	ds_load_b128 v[144:147], v2 offset:1088
	v_fmac_f64_e32 v[158:159], v[154:155], v[120:121]
	v_fma_f64 v[152:153], v[152:153], v[120:121], -v[122:123]
	scratch_load_b128 v[120:123], off, off offset:560
	v_add_f64_e32 v[156:157], v[156:157], v[160:161]
	v_fmac_f64_e32 v[162:163], v[6:7], v[124:125]
	v_add_f64_e32 v[154:155], v[166:167], v[164:165]
	;; [unrolled: 18-line block ×3, first 2 shown]
	v_fma_f64 v[164:165], v[4:5], v[136:137], -v[138:139]
	ds_load_b128 v[4:7], v2 offset:1136
	s_wait_loadcnt_dscnt 0xa01
	v_mul_f64_e32 v[162:163], v[152:153], v[150:151]
	v_mul_f64_e32 v[150:151], v[154:155], v[150:151]
	scratch_load_b128 v[136:139], off, off offset:608
	v_add_f64_e32 v[156:157], v[156:157], v[160:161]
	v_add_f64_e32 v[166:167], v[146:147], v[144:145]
	s_wait_loadcnt_dscnt 0xa00
	v_mul_f64_e32 v[160:161], v[4:5], v[134:135]
	v_mul_f64_e32 v[134:135], v[6:7], v[134:135]
	v_fmac_f64_e32 v[162:163], v[154:155], v[148:149]
	v_fma_f64 v[152:153], v[152:153], v[148:149], -v[150:151]
	ds_load_b128 v[144:147], v2 offset:1152
	scratch_load_b128 v[148:151], off, off offset:624
	v_add_f64_e32 v[156:157], v[156:157], v[158:159]
	v_add_f64_e32 v[154:155], v[166:167], v[164:165]
	v_fmac_f64_e32 v[160:161], v[6:7], v[132:133]
	v_fma_f64 v[164:165], v[4:5], v[132:133], -v[134:135]
	ds_load_b128 v[4:7], v2 offset:1168
	s_wait_loadcnt_dscnt 0xa01
	v_mul_f64_e32 v[158:159], v[144:145], v[10:11]
	v_mul_f64_e32 v[10:11], v[146:147], v[10:11]
	scratch_load_b128 v[132:135], off, off offset:640
	v_add_f64_e32 v[156:157], v[156:157], v[162:163]
	s_wait_loadcnt_dscnt 0xa00
	v_mul_f64_e32 v[162:163], v[4:5], v[14:15]
	v_add_f64_e32 v[166:167], v[154:155], v[152:153]
	v_mul_f64_e32 v[14:15], v[6:7], v[14:15]
	ds_load_b128 v[152:155], v2 offset:1184
	v_fmac_f64_e32 v[158:159], v[146:147], v[8:9]
	v_fma_f64 v[144:145], v[144:145], v[8:9], -v[10:11]
	scratch_load_b128 v[8:11], off, off offset:656
	v_add_f64_e32 v[156:157], v[156:157], v[160:161]
	v_fmac_f64_e32 v[162:163], v[6:7], v[12:13]
	v_add_f64_e32 v[146:147], v[166:167], v[164:165]
	v_fma_f64 v[164:165], v[4:5], v[12:13], -v[14:15]
	ds_load_b128 v[4:7], v2 offset:1200
	s_wait_loadcnt_dscnt 0xa01
	v_mul_f64_e32 v[160:161], v[152:153], v[18:19]
	v_mul_f64_e32 v[18:19], v[154:155], v[18:19]
	scratch_load_b128 v[12:15], off, off offset:672
	v_add_f64_e32 v[156:157], v[156:157], v[158:159]
	s_wait_loadcnt_dscnt 0xa00
	v_mul_f64_e32 v[158:159], v[4:5], v[22:23]
	v_add_f64_e32 v[166:167], v[146:147], v[144:145]
	v_mul_f64_e32 v[22:23], v[6:7], v[22:23]
	ds_load_b128 v[144:147], v2 offset:1216
	v_fmac_f64_e32 v[160:161], v[154:155], v[16:17]
	v_fma_f64 v[16:17], v[152:153], v[16:17], -v[18:19]
	s_wait_loadcnt_dscnt 0x900
	v_mul_f64_e32 v[154:155], v[144:145], v[114:115]
	v_mul_f64_e32 v[114:115], v[146:147], v[114:115]
	v_add_f64_e32 v[152:153], v[156:157], v[162:163]
	v_fmac_f64_e32 v[158:159], v[6:7], v[20:21]
	v_add_f64_e32 v[18:19], v[166:167], v[164:165]
	v_fma_f64 v[20:21], v[4:5], v[20:21], -v[22:23]
	v_fmac_f64_e32 v[154:155], v[146:147], v[112:113]
	v_fma_f64 v[112:113], v[144:145], v[112:113], -v[114:115]
	v_add_f64_e32 v[152:153], v[152:153], v[160:161]
	v_add_f64_e32 v[22:23], v[18:19], v[16:17]
	ds_load_b128 v[4:7], v2 offset:1232
	ds_load_b128 v[16:19], v2 offset:1248
	s_wait_loadcnt_dscnt 0x801
	v_mul_f64_e32 v[156:157], v[4:5], v[118:119]
	v_mul_f64_e32 v[118:119], v[6:7], v[118:119]
	s_wait_loadcnt_dscnt 0x700
	v_mul_f64_e32 v[114:115], v[16:17], v[122:123]
	v_mul_f64_e32 v[122:123], v[18:19], v[122:123]
	v_add_f64_e32 v[20:21], v[22:23], v[20:21]
	v_add_f64_e32 v[22:23], v[152:153], v[158:159]
	v_fmac_f64_e32 v[156:157], v[6:7], v[116:117]
	v_fma_f64 v[116:117], v[4:5], v[116:117], -v[118:119]
	v_fmac_f64_e32 v[114:115], v[18:19], v[120:121]
	v_fma_f64 v[16:17], v[16:17], v[120:121], -v[122:123]
	v_add_f64_e32 v[112:113], v[20:21], v[112:113]
	v_add_f64_e32 v[118:119], v[22:23], v[154:155]
	ds_load_b128 v[4:7], v2 offset:1264
	ds_load_b128 v[20:23], v2 offset:1280
	s_wait_loadcnt_dscnt 0x601
	v_mul_f64_e32 v[144:145], v[4:5], v[126:127]
	v_mul_f64_e32 v[126:127], v[6:7], v[126:127]
	v_add_f64_e32 v[18:19], v[112:113], v[116:117]
	v_add_f64_e32 v[112:113], v[118:119], v[156:157]
	s_wait_loadcnt_dscnt 0x500
	v_mul_f64_e32 v[116:117], v[20:21], v[130:131]
	v_mul_f64_e32 v[118:119], v[22:23], v[130:131]
	v_fmac_f64_e32 v[144:145], v[6:7], v[124:125]
	v_fma_f64 v[120:121], v[4:5], v[124:125], -v[126:127]
	v_add_f64_e32 v[122:123], v[18:19], v[16:17]
	v_add_f64_e32 v[112:113], v[112:113], v[114:115]
	ds_load_b128 v[4:7], v2 offset:1296
	ds_load_b128 v[16:19], v2 offset:1312
	v_fmac_f64_e32 v[116:117], v[22:23], v[128:129]
	v_fma_f64 v[20:21], v[20:21], v[128:129], -v[118:119]
	s_wait_loadcnt_dscnt 0x401
	v_mul_f64_e32 v[114:115], v[4:5], v[138:139]
	v_mul_f64_e32 v[124:125], v[6:7], v[138:139]
	s_wait_loadcnt_dscnt 0x300
	v_mul_f64_e32 v[118:119], v[16:17], v[150:151]
	v_add_f64_e32 v[22:23], v[122:123], v[120:121]
	v_add_f64_e32 v[112:113], v[112:113], v[144:145]
	v_mul_f64_e32 v[120:121], v[18:19], v[150:151]
	v_fmac_f64_e32 v[114:115], v[6:7], v[136:137]
	v_fma_f64 v[122:123], v[4:5], v[136:137], -v[124:125]
	v_fmac_f64_e32 v[118:119], v[18:19], v[148:149]
	v_add_f64_e32 v[124:125], v[22:23], v[20:21]
	v_add_f64_e32 v[112:113], v[112:113], v[116:117]
	ds_load_b128 v[4:7], v2 offset:1328
	ds_load_b128 v[20:23], v2 offset:1344
	v_fma_f64 v[16:17], v[16:17], v[148:149], -v[120:121]
	s_wait_loadcnt_dscnt 0x201
	v_mul_f64_e32 v[116:117], v[4:5], v[134:135]
	v_mul_f64_e32 v[126:127], v[6:7], v[134:135]
	v_add_f64_e32 v[18:19], v[124:125], v[122:123]
	v_add_f64_e32 v[112:113], v[112:113], v[114:115]
	s_wait_loadcnt_dscnt 0x100
	v_mul_f64_e32 v[114:115], v[20:21], v[10:11]
	v_mul_f64_e32 v[10:11], v[22:23], v[10:11]
	v_fmac_f64_e32 v[116:117], v[6:7], v[132:133]
	v_fma_f64 v[120:121], v[4:5], v[132:133], -v[126:127]
	ds_load_b128 v[4:7], v2 offset:1360
	v_add_f64_e32 v[16:17], v[18:19], v[16:17]
	v_add_f64_e32 v[18:19], v[112:113], v[118:119]
	v_fmac_f64_e32 v[114:115], v[22:23], v[8:9]
	v_fma_f64 v[8:9], v[20:21], v[8:9], -v[10:11]
	s_wait_loadcnt_dscnt 0x0
	v_mul_f64_e32 v[112:113], v[4:5], v[14:15]
	v_mul_f64_e32 v[14:15], v[6:7], v[14:15]
	v_add_f64_e32 v[10:11], v[16:17], v[120:121]
	v_add_f64_e32 v[16:17], v[18:19], v[116:117]
	s_delay_alu instid0(VALU_DEP_4) | instskip(NEXT) | instid1(VALU_DEP_4)
	v_fmac_f64_e32 v[112:113], v[6:7], v[12:13]
	v_fma_f64 v[4:5], v[4:5], v[12:13], -v[14:15]
	s_delay_alu instid0(VALU_DEP_4) | instskip(NEXT) | instid1(VALU_DEP_4)
	v_add_f64_e32 v[6:7], v[10:11], v[8:9]
	v_add_f64_e32 v[8:9], v[16:17], v[114:115]
	s_delay_alu instid0(VALU_DEP_2) | instskip(NEXT) | instid1(VALU_DEP_2)
	v_add_f64_e32 v[4:5], v[6:7], v[4:5]
	v_add_f64_e32 v[6:7], v[8:9], v[112:113]
	s_delay_alu instid0(VALU_DEP_2) | instskip(NEXT) | instid1(VALU_DEP_2)
	v_add_f64_e64 v[4:5], v[140:141], -v[4:5]
	v_add_f64_e64 v[6:7], v[142:143], -v[6:7]
	scratch_store_b128 off, v[4:7], off offset:240
	s_wait_xcnt 0x0
	v_cmpx_lt_u32_e32 14, v1
	s_cbranch_execz .LBB42_243
; %bb.242:
	scratch_load_b128 v[6:9], off, s54
	v_dual_mov_b32 v3, v2 :: v_dual_mov_b32 v4, v2
	v_mov_b32_e32 v5, v2
	scratch_store_b128 off, v[2:5], off offset:224
	s_wait_loadcnt 0x0
	ds_store_b128 v110, v[6:9]
.LBB42_243:
	s_wait_xcnt 0x0
	s_or_b32 exec_lo, exec_lo, s2
	s_wait_storecnt_dscnt 0x0
	s_barrier_signal -1
	s_barrier_wait -1
	s_clause 0x9
	scratch_load_b128 v[4:7], off, off offset:240
	scratch_load_b128 v[8:11], off, off offset:256
	;; [unrolled: 1-line block ×10, first 2 shown]
	ds_load_b128 v[132:135], v2 offset:928
	ds_load_b128 v[140:143], v2 offset:944
	s_clause 0x2
	scratch_load_b128 v[136:139], off, off offset:400
	scratch_load_b128 v[144:147], off, off offset:224
	;; [unrolled: 1-line block ×3, first 2 shown]
	s_mov_b32 s2, exec_lo
	s_wait_loadcnt_dscnt 0xc01
	v_mul_f64_e32 v[152:153], v[134:135], v[6:7]
	v_mul_f64_e32 v[156:157], v[132:133], v[6:7]
	s_wait_loadcnt_dscnt 0xb00
	v_mul_f64_e32 v[158:159], v[140:141], v[10:11]
	v_mul_f64_e32 v[10:11], v[142:143], v[10:11]
	s_delay_alu instid0(VALU_DEP_4) | instskip(NEXT) | instid1(VALU_DEP_4)
	v_fma_f64 v[160:161], v[132:133], v[4:5], -v[152:153]
	v_fmac_f64_e32 v[156:157], v[134:135], v[4:5]
	ds_load_b128 v[4:7], v2 offset:960
	ds_load_b128 v[132:135], v2 offset:976
	scratch_load_b128 v[152:155], off, off offset:432
	v_fmac_f64_e32 v[158:159], v[142:143], v[8:9]
	v_fma_f64 v[140:141], v[140:141], v[8:9], -v[10:11]
	scratch_load_b128 v[8:11], off, off offset:448
	s_wait_loadcnt_dscnt 0xc01
	v_mul_f64_e32 v[162:163], v[4:5], v[14:15]
	v_mul_f64_e32 v[14:15], v[6:7], v[14:15]
	v_add_f64_e32 v[142:143], 0, v[160:161]
	v_add_f64_e32 v[156:157], 0, v[156:157]
	s_wait_loadcnt_dscnt 0xb00
	v_mul_f64_e32 v[160:161], v[132:133], v[18:19]
	v_mul_f64_e32 v[18:19], v[134:135], v[18:19]
	v_fmac_f64_e32 v[162:163], v[6:7], v[12:13]
	v_fma_f64 v[164:165], v[4:5], v[12:13], -v[14:15]
	ds_load_b128 v[4:7], v2 offset:992
	ds_load_b128 v[12:15], v2 offset:1008
	v_add_f64_e32 v[166:167], v[142:143], v[140:141]
	v_add_f64_e32 v[156:157], v[156:157], v[158:159]
	scratch_load_b128 v[140:143], off, off offset:464
	v_fmac_f64_e32 v[160:161], v[134:135], v[16:17]
	v_fma_f64 v[132:133], v[132:133], v[16:17], -v[18:19]
	scratch_load_b128 v[16:19], off, off offset:480
	s_wait_loadcnt_dscnt 0xc01
	v_mul_f64_e32 v[158:159], v[4:5], v[22:23]
	v_mul_f64_e32 v[22:23], v[6:7], v[22:23]
	v_add_f64_e32 v[134:135], v[166:167], v[164:165]
	v_add_f64_e32 v[156:157], v[156:157], v[162:163]
	s_wait_loadcnt_dscnt 0xb00
	v_mul_f64_e32 v[162:163], v[12:13], v[114:115]
	v_mul_f64_e32 v[114:115], v[14:15], v[114:115]
	v_fmac_f64_e32 v[158:159], v[6:7], v[20:21]
	v_fma_f64 v[164:165], v[4:5], v[20:21], -v[22:23]
	ds_load_b128 v[4:7], v2 offset:1024
	ds_load_b128 v[20:23], v2 offset:1040
	v_add_f64_e32 v[166:167], v[134:135], v[132:133]
	v_add_f64_e32 v[156:157], v[156:157], v[160:161]
	scratch_load_b128 v[132:135], off, off offset:496
	s_wait_loadcnt_dscnt 0xb01
	v_mul_f64_e32 v[160:161], v[4:5], v[118:119]
	v_mul_f64_e32 v[118:119], v[6:7], v[118:119]
	v_fmac_f64_e32 v[162:163], v[14:15], v[112:113]
	v_fma_f64 v[112:113], v[12:13], v[112:113], -v[114:115]
	scratch_load_b128 v[12:15], off, off offset:512
	v_add_f64_e32 v[114:115], v[166:167], v[164:165]
	v_add_f64_e32 v[156:157], v[156:157], v[158:159]
	s_wait_loadcnt_dscnt 0xb00
	v_mul_f64_e32 v[158:159], v[20:21], v[122:123]
	v_mul_f64_e32 v[122:123], v[22:23], v[122:123]
	v_fmac_f64_e32 v[160:161], v[6:7], v[116:117]
	v_fma_f64 v[164:165], v[4:5], v[116:117], -v[118:119]
	v_add_f64_e32 v[166:167], v[114:115], v[112:113]
	v_add_f64_e32 v[156:157], v[156:157], v[162:163]
	ds_load_b128 v[4:7], v2 offset:1056
	ds_load_b128 v[112:115], v2 offset:1072
	scratch_load_b128 v[116:119], off, off offset:528
	v_fmac_f64_e32 v[158:159], v[22:23], v[120:121]
	v_fma_f64 v[120:121], v[20:21], v[120:121], -v[122:123]
	scratch_load_b128 v[20:23], off, off offset:544
	s_wait_loadcnt_dscnt 0xc01
	v_mul_f64_e32 v[162:163], v[4:5], v[126:127]
	v_mul_f64_e32 v[126:127], v[6:7], v[126:127]
	v_add_f64_e32 v[122:123], v[166:167], v[164:165]
	v_add_f64_e32 v[156:157], v[156:157], v[160:161]
	s_wait_loadcnt_dscnt 0xb00
	v_mul_f64_e32 v[160:161], v[112:113], v[130:131]
	v_mul_f64_e32 v[130:131], v[114:115], v[130:131]
	v_fmac_f64_e32 v[162:163], v[6:7], v[124:125]
	v_fma_f64 v[164:165], v[4:5], v[124:125], -v[126:127]
	v_add_f64_e32 v[166:167], v[122:123], v[120:121]
	v_add_f64_e32 v[156:157], v[156:157], v[158:159]
	ds_load_b128 v[4:7], v2 offset:1088
	ds_load_b128 v[120:123], v2 offset:1104
	scratch_load_b128 v[124:127], off, off offset:560
	v_fmac_f64_e32 v[160:161], v[114:115], v[128:129]
	v_fma_f64 v[128:129], v[112:113], v[128:129], -v[130:131]
	scratch_load_b128 v[112:115], off, off offset:576
	s_wait_loadcnt_dscnt 0xc01
	v_mul_f64_e32 v[158:159], v[4:5], v[138:139]
	v_mul_f64_e32 v[138:139], v[6:7], v[138:139]
	;; [unrolled: 18-line block ×5, first 2 shown]
	v_add_f64_e32 v[150:151], v[166:167], v[164:165]
	v_add_f64_e32 v[156:157], v[156:157], v[162:163]
	s_wait_loadcnt_dscnt 0xa00
	v_mul_f64_e32 v[162:163], v[128:129], v[14:15]
	v_mul_f64_e32 v[14:15], v[130:131], v[14:15]
	v_fmac_f64_e32 v[158:159], v[6:7], v[132:133]
	v_fma_f64 v[164:165], v[4:5], v[132:133], -v[134:135]
	ds_load_b128 v[4:7], v2 offset:1216
	ds_load_b128 v[132:135], v2 offset:1232
	v_add_f64_e32 v[148:149], v[150:151], v[148:149]
	v_add_f64_e32 v[150:151], v[156:157], v[160:161]
	v_fmac_f64_e32 v[162:163], v[130:131], v[12:13]
	v_fma_f64 v[12:13], v[128:129], v[12:13], -v[14:15]
	s_wait_loadcnt_dscnt 0x901
	v_mul_f64_e32 v[156:157], v[4:5], v[118:119]
	v_mul_f64_e32 v[118:119], v[6:7], v[118:119]
	s_wait_loadcnt_dscnt 0x800
	v_mul_f64_e32 v[130:131], v[132:133], v[22:23]
	v_mul_f64_e32 v[22:23], v[134:135], v[22:23]
	v_add_f64_e32 v[14:15], v[148:149], v[164:165]
	v_add_f64_e32 v[128:129], v[150:151], v[158:159]
	v_fmac_f64_e32 v[156:157], v[6:7], v[116:117]
	v_fma_f64 v[116:117], v[4:5], v[116:117], -v[118:119]
	v_fmac_f64_e32 v[130:131], v[134:135], v[20:21]
	v_fma_f64 v[20:21], v[132:133], v[20:21], -v[22:23]
	v_add_f64_e32 v[118:119], v[14:15], v[12:13]
	v_add_f64_e32 v[128:129], v[128:129], v[162:163]
	ds_load_b128 v[4:7], v2 offset:1248
	ds_load_b128 v[12:15], v2 offset:1264
	s_wait_loadcnt_dscnt 0x701
	v_mul_f64_e32 v[148:149], v[4:5], v[126:127]
	v_mul_f64_e32 v[126:127], v[6:7], v[126:127]
	v_add_f64_e32 v[22:23], v[118:119], v[116:117]
	v_add_f64_e32 v[116:117], v[128:129], v[156:157]
	s_wait_loadcnt_dscnt 0x600
	v_mul_f64_e32 v[118:119], v[12:13], v[114:115]
	v_mul_f64_e32 v[114:115], v[14:15], v[114:115]
	v_fmac_f64_e32 v[148:149], v[6:7], v[124:125]
	v_fma_f64 v[124:125], v[4:5], v[124:125], -v[126:127]
	v_add_f64_e32 v[126:127], v[22:23], v[20:21]
	v_add_f64_e32 v[116:117], v[116:117], v[130:131]
	ds_load_b128 v[4:7], v2 offset:1280
	ds_load_b128 v[20:23], v2 offset:1296
	v_fmac_f64_e32 v[118:119], v[14:15], v[112:113]
	v_fma_f64 v[12:13], v[12:13], v[112:113], -v[114:115]
	s_wait_loadcnt_dscnt 0x501
	v_mul_f64_e32 v[128:129], v[4:5], v[138:139]
	v_mul_f64_e32 v[130:131], v[6:7], v[138:139]
	s_wait_loadcnt_dscnt 0x400
	v_mul_f64_e32 v[114:115], v[20:21], v[122:123]
	v_add_f64_e32 v[14:15], v[126:127], v[124:125]
	v_add_f64_e32 v[112:113], v[116:117], v[148:149]
	v_mul_f64_e32 v[116:117], v[22:23], v[122:123]
	v_fmac_f64_e32 v[128:129], v[6:7], v[136:137]
	v_fma_f64 v[122:123], v[4:5], v[136:137], -v[130:131]
	v_fmac_f64_e32 v[114:115], v[22:23], v[120:121]
	v_add_f64_e32 v[124:125], v[14:15], v[12:13]
	v_add_f64_e32 v[112:113], v[112:113], v[118:119]
	ds_load_b128 v[4:7], v2 offset:1312
	ds_load_b128 v[12:15], v2 offset:1328
	v_fma_f64 v[20:21], v[20:21], v[120:121], -v[116:117]
	s_wait_loadcnt_dscnt 0x301
	v_mul_f64_e32 v[118:119], v[4:5], v[154:155]
	v_mul_f64_e32 v[126:127], v[6:7], v[154:155]
	s_wait_loadcnt_dscnt 0x200
	v_mul_f64_e32 v[116:117], v[12:13], v[10:11]
	v_mul_f64_e32 v[10:11], v[14:15], v[10:11]
	v_add_f64_e32 v[22:23], v[124:125], v[122:123]
	v_add_f64_e32 v[112:113], v[112:113], v[128:129]
	v_fmac_f64_e32 v[118:119], v[6:7], v[152:153]
	v_fma_f64 v[120:121], v[4:5], v[152:153], -v[126:127]
	v_fmac_f64_e32 v[116:117], v[14:15], v[8:9]
	v_fma_f64 v[8:9], v[12:13], v[8:9], -v[10:11]
	v_add_f64_e32 v[122:123], v[22:23], v[20:21]
	v_add_f64_e32 v[112:113], v[112:113], v[114:115]
	ds_load_b128 v[4:7], v2 offset:1344
	ds_load_b128 v[20:23], v2 offset:1360
	s_wait_loadcnt_dscnt 0x101
	v_mul_f64_e32 v[2:3], v[4:5], v[142:143]
	v_mul_f64_e32 v[114:115], v[6:7], v[142:143]
	s_wait_loadcnt_dscnt 0x0
	v_mul_f64_e32 v[14:15], v[20:21], v[18:19]
	v_mul_f64_e32 v[18:19], v[22:23], v[18:19]
	v_add_f64_e32 v[10:11], v[122:123], v[120:121]
	v_add_f64_e32 v[12:13], v[112:113], v[118:119]
	v_fmac_f64_e32 v[2:3], v[6:7], v[140:141]
	v_fma_f64 v[4:5], v[4:5], v[140:141], -v[114:115]
	v_fmac_f64_e32 v[14:15], v[22:23], v[16:17]
	v_add_f64_e32 v[6:7], v[10:11], v[8:9]
	v_add_f64_e32 v[8:9], v[12:13], v[116:117]
	v_fma_f64 v[10:11], v[20:21], v[16:17], -v[18:19]
	s_delay_alu instid0(VALU_DEP_3) | instskip(NEXT) | instid1(VALU_DEP_3)
	v_add_f64_e32 v[4:5], v[6:7], v[4:5]
	v_add_f64_e32 v[2:3], v[8:9], v[2:3]
	s_delay_alu instid0(VALU_DEP_2) | instskip(NEXT) | instid1(VALU_DEP_2)
	v_add_f64_e32 v[4:5], v[4:5], v[10:11]
	v_add_f64_e32 v[6:7], v[2:3], v[14:15]
	s_delay_alu instid0(VALU_DEP_2) | instskip(NEXT) | instid1(VALU_DEP_2)
	v_add_f64_e64 v[2:3], v[144:145], -v[4:5]
	v_add_f64_e64 v[4:5], v[146:147], -v[6:7]
	scratch_store_b128 off, v[2:5], off offset:224
	s_wait_xcnt 0x0
	v_cmpx_lt_u32_e32 13, v1
	s_cbranch_execz .LBB42_245
; %bb.244:
	scratch_load_b128 v[2:5], off, s53
	v_mov_b32_e32 v6, 0
	s_delay_alu instid0(VALU_DEP_1)
	v_dual_mov_b32 v7, v6 :: v_dual_mov_b32 v8, v6
	v_mov_b32_e32 v9, v6
	scratch_store_b128 off, v[6:9], off offset:208
	s_wait_loadcnt 0x0
	ds_store_b128 v110, v[2:5]
.LBB42_245:
	s_wait_xcnt 0x0
	s_or_b32 exec_lo, exec_lo, s2
	s_wait_storecnt_dscnt 0x0
	s_barrier_signal -1
	s_barrier_wait -1
	s_clause 0x9
	scratch_load_b128 v[4:7], off, off offset:224
	scratch_load_b128 v[8:11], off, off offset:240
	scratch_load_b128 v[12:15], off, off offset:256
	scratch_load_b128 v[16:19], off, off offset:272
	scratch_load_b128 v[20:23], off, off offset:288
	scratch_load_b128 v[112:115], off, off offset:304
	scratch_load_b128 v[116:119], off, off offset:320
	scratch_load_b128 v[120:123], off, off offset:336
	scratch_load_b128 v[124:127], off, off offset:352
	scratch_load_b128 v[128:131], off, off offset:368
	v_mov_b32_e32 v2, 0
	s_mov_b32 s2, exec_lo
	ds_load_b128 v[132:135], v2 offset:912
	s_clause 0x2
	scratch_load_b128 v[136:139], off, off offset:384
	scratch_load_b128 v[140:143], off, off offset:208
	;; [unrolled: 1-line block ×3, first 2 shown]
	s_wait_loadcnt_dscnt 0xc00
	v_mul_f64_e32 v[152:153], v[134:135], v[6:7]
	v_mul_f64_e32 v[156:157], v[132:133], v[6:7]
	ds_load_b128 v[144:147], v2 offset:928
	v_fma_f64 v[160:161], v[132:133], v[4:5], -v[152:153]
	v_fmac_f64_e32 v[156:157], v[134:135], v[4:5]
	ds_load_b128 v[4:7], v2 offset:944
	s_wait_loadcnt_dscnt 0xb01
	v_mul_f64_e32 v[158:159], v[144:145], v[10:11]
	v_mul_f64_e32 v[10:11], v[146:147], v[10:11]
	scratch_load_b128 v[132:135], off, off offset:416
	ds_load_b128 v[152:155], v2 offset:960
	s_wait_loadcnt_dscnt 0xb01
	v_mul_f64_e32 v[162:163], v[4:5], v[14:15]
	v_mul_f64_e32 v[14:15], v[6:7], v[14:15]
	v_add_f64_e32 v[156:157], 0, v[156:157]
	v_fmac_f64_e32 v[158:159], v[146:147], v[8:9]
	v_fma_f64 v[144:145], v[144:145], v[8:9], -v[10:11]
	v_add_f64_e32 v[146:147], 0, v[160:161]
	scratch_load_b128 v[8:11], off, off offset:432
	v_fmac_f64_e32 v[162:163], v[6:7], v[12:13]
	v_fma_f64 v[164:165], v[4:5], v[12:13], -v[14:15]
	ds_load_b128 v[4:7], v2 offset:976
	s_wait_loadcnt_dscnt 0xb01
	v_mul_f64_e32 v[160:161], v[152:153], v[18:19]
	v_mul_f64_e32 v[18:19], v[154:155], v[18:19]
	scratch_load_b128 v[12:15], off, off offset:448
	v_add_f64_e32 v[156:157], v[156:157], v[158:159]
	v_add_f64_e32 v[166:167], v[146:147], v[144:145]
	ds_load_b128 v[144:147], v2 offset:992
	s_wait_loadcnt_dscnt 0xb01
	v_mul_f64_e32 v[158:159], v[4:5], v[22:23]
	v_mul_f64_e32 v[22:23], v[6:7], v[22:23]
	v_fmac_f64_e32 v[160:161], v[154:155], v[16:17]
	v_fma_f64 v[152:153], v[152:153], v[16:17], -v[18:19]
	scratch_load_b128 v[16:19], off, off offset:464
	v_add_f64_e32 v[156:157], v[156:157], v[162:163]
	v_add_f64_e32 v[154:155], v[166:167], v[164:165]
	v_fmac_f64_e32 v[158:159], v[6:7], v[20:21]
	v_fma_f64 v[164:165], v[4:5], v[20:21], -v[22:23]
	ds_load_b128 v[4:7], v2 offset:1008
	s_wait_loadcnt_dscnt 0xb01
	v_mul_f64_e32 v[162:163], v[144:145], v[114:115]
	v_mul_f64_e32 v[114:115], v[146:147], v[114:115]
	scratch_load_b128 v[20:23], off, off offset:480
	v_add_f64_e32 v[156:157], v[156:157], v[160:161]
	s_wait_loadcnt_dscnt 0xb00
	v_mul_f64_e32 v[160:161], v[4:5], v[118:119]
	v_add_f64_e32 v[166:167], v[154:155], v[152:153]
	v_mul_f64_e32 v[118:119], v[6:7], v[118:119]
	ds_load_b128 v[152:155], v2 offset:1024
	v_fmac_f64_e32 v[162:163], v[146:147], v[112:113]
	v_fma_f64 v[144:145], v[144:145], v[112:113], -v[114:115]
	scratch_load_b128 v[112:115], off, off offset:496
	v_add_f64_e32 v[156:157], v[156:157], v[158:159]
	v_fmac_f64_e32 v[160:161], v[6:7], v[116:117]
	v_add_f64_e32 v[146:147], v[166:167], v[164:165]
	v_fma_f64 v[164:165], v[4:5], v[116:117], -v[118:119]
	ds_load_b128 v[4:7], v2 offset:1040
	s_wait_loadcnt_dscnt 0xb01
	v_mul_f64_e32 v[158:159], v[152:153], v[122:123]
	v_mul_f64_e32 v[122:123], v[154:155], v[122:123]
	scratch_load_b128 v[116:119], off, off offset:512
	v_add_f64_e32 v[156:157], v[156:157], v[162:163]
	s_wait_loadcnt_dscnt 0xb00
	v_mul_f64_e32 v[162:163], v[4:5], v[126:127]
	v_add_f64_e32 v[166:167], v[146:147], v[144:145]
	v_mul_f64_e32 v[126:127], v[6:7], v[126:127]
	ds_load_b128 v[144:147], v2 offset:1056
	v_fmac_f64_e32 v[158:159], v[154:155], v[120:121]
	v_fma_f64 v[152:153], v[152:153], v[120:121], -v[122:123]
	scratch_load_b128 v[120:123], off, off offset:528
	v_add_f64_e32 v[156:157], v[156:157], v[160:161]
	v_fmac_f64_e32 v[162:163], v[6:7], v[124:125]
	v_add_f64_e32 v[154:155], v[166:167], v[164:165]
	;; [unrolled: 18-line block ×3, first 2 shown]
	v_fma_f64 v[164:165], v[4:5], v[136:137], -v[138:139]
	ds_load_b128 v[4:7], v2 offset:1104
	s_wait_loadcnt_dscnt 0xa01
	v_mul_f64_e32 v[162:163], v[152:153], v[150:151]
	v_mul_f64_e32 v[150:151], v[154:155], v[150:151]
	scratch_load_b128 v[136:139], off, off offset:576
	v_add_f64_e32 v[156:157], v[156:157], v[160:161]
	v_add_f64_e32 v[166:167], v[146:147], v[144:145]
	s_wait_loadcnt_dscnt 0xa00
	v_mul_f64_e32 v[160:161], v[4:5], v[134:135]
	v_mul_f64_e32 v[134:135], v[6:7], v[134:135]
	v_fmac_f64_e32 v[162:163], v[154:155], v[148:149]
	v_fma_f64 v[152:153], v[152:153], v[148:149], -v[150:151]
	ds_load_b128 v[144:147], v2 offset:1120
	scratch_load_b128 v[148:151], off, off offset:592
	v_add_f64_e32 v[156:157], v[156:157], v[158:159]
	v_add_f64_e32 v[154:155], v[166:167], v[164:165]
	v_fmac_f64_e32 v[160:161], v[6:7], v[132:133]
	v_fma_f64 v[164:165], v[4:5], v[132:133], -v[134:135]
	ds_load_b128 v[4:7], v2 offset:1136
	s_wait_loadcnt_dscnt 0xa01
	v_mul_f64_e32 v[158:159], v[144:145], v[10:11]
	v_mul_f64_e32 v[10:11], v[146:147], v[10:11]
	scratch_load_b128 v[132:135], off, off offset:608
	v_add_f64_e32 v[156:157], v[156:157], v[162:163]
	s_wait_loadcnt_dscnt 0xa00
	v_mul_f64_e32 v[162:163], v[4:5], v[14:15]
	v_add_f64_e32 v[166:167], v[154:155], v[152:153]
	v_mul_f64_e32 v[14:15], v[6:7], v[14:15]
	ds_load_b128 v[152:155], v2 offset:1152
	v_fmac_f64_e32 v[158:159], v[146:147], v[8:9]
	v_fma_f64 v[144:145], v[144:145], v[8:9], -v[10:11]
	scratch_load_b128 v[8:11], off, off offset:624
	v_add_f64_e32 v[156:157], v[156:157], v[160:161]
	v_fmac_f64_e32 v[162:163], v[6:7], v[12:13]
	v_add_f64_e32 v[146:147], v[166:167], v[164:165]
	v_fma_f64 v[164:165], v[4:5], v[12:13], -v[14:15]
	ds_load_b128 v[4:7], v2 offset:1168
	s_wait_loadcnt_dscnt 0xa01
	v_mul_f64_e32 v[160:161], v[152:153], v[18:19]
	v_mul_f64_e32 v[18:19], v[154:155], v[18:19]
	scratch_load_b128 v[12:15], off, off offset:640
	v_add_f64_e32 v[156:157], v[156:157], v[158:159]
	s_wait_loadcnt_dscnt 0xa00
	v_mul_f64_e32 v[158:159], v[4:5], v[22:23]
	v_add_f64_e32 v[166:167], v[146:147], v[144:145]
	v_mul_f64_e32 v[22:23], v[6:7], v[22:23]
	ds_load_b128 v[144:147], v2 offset:1184
	v_fmac_f64_e32 v[160:161], v[154:155], v[16:17]
	v_fma_f64 v[152:153], v[152:153], v[16:17], -v[18:19]
	scratch_load_b128 v[16:19], off, off offset:656
	v_add_f64_e32 v[156:157], v[156:157], v[162:163]
	v_fmac_f64_e32 v[158:159], v[6:7], v[20:21]
	v_add_f64_e32 v[154:155], v[166:167], v[164:165]
	v_fma_f64 v[164:165], v[4:5], v[20:21], -v[22:23]
	ds_load_b128 v[4:7], v2 offset:1200
	s_wait_loadcnt_dscnt 0xa01
	v_mul_f64_e32 v[162:163], v[144:145], v[114:115]
	v_mul_f64_e32 v[114:115], v[146:147], v[114:115]
	scratch_load_b128 v[20:23], off, off offset:672
	v_add_f64_e32 v[156:157], v[156:157], v[160:161]
	s_wait_loadcnt_dscnt 0xa00
	v_mul_f64_e32 v[160:161], v[4:5], v[118:119]
	v_add_f64_e32 v[166:167], v[154:155], v[152:153]
	v_mul_f64_e32 v[118:119], v[6:7], v[118:119]
	ds_load_b128 v[152:155], v2 offset:1216
	v_fmac_f64_e32 v[162:163], v[146:147], v[112:113]
	v_fma_f64 v[112:113], v[144:145], v[112:113], -v[114:115]
	s_wait_loadcnt_dscnt 0x900
	v_mul_f64_e32 v[146:147], v[152:153], v[122:123]
	v_mul_f64_e32 v[122:123], v[154:155], v[122:123]
	v_add_f64_e32 v[144:145], v[156:157], v[158:159]
	v_fmac_f64_e32 v[160:161], v[6:7], v[116:117]
	v_add_f64_e32 v[114:115], v[166:167], v[164:165]
	v_fma_f64 v[116:117], v[4:5], v[116:117], -v[118:119]
	v_fmac_f64_e32 v[146:147], v[154:155], v[120:121]
	v_fma_f64 v[120:121], v[152:153], v[120:121], -v[122:123]
	v_add_f64_e32 v[144:145], v[144:145], v[162:163]
	v_add_f64_e32 v[118:119], v[114:115], v[112:113]
	ds_load_b128 v[4:7], v2 offset:1232
	ds_load_b128 v[112:115], v2 offset:1248
	s_wait_loadcnt_dscnt 0x801
	v_mul_f64_e32 v[156:157], v[4:5], v[126:127]
	v_mul_f64_e32 v[126:127], v[6:7], v[126:127]
	s_wait_loadcnt_dscnt 0x700
	v_mul_f64_e32 v[122:123], v[112:113], v[130:131]
	v_mul_f64_e32 v[130:131], v[114:115], v[130:131]
	v_add_f64_e32 v[116:117], v[118:119], v[116:117]
	v_add_f64_e32 v[118:119], v[144:145], v[160:161]
	v_fmac_f64_e32 v[156:157], v[6:7], v[124:125]
	v_fma_f64 v[124:125], v[4:5], v[124:125], -v[126:127]
	v_fmac_f64_e32 v[122:123], v[114:115], v[128:129]
	v_fma_f64 v[112:113], v[112:113], v[128:129], -v[130:131]
	v_add_f64_e32 v[120:121], v[116:117], v[120:121]
	v_add_f64_e32 v[126:127], v[118:119], v[146:147]
	ds_load_b128 v[4:7], v2 offset:1264
	ds_load_b128 v[116:119], v2 offset:1280
	s_wait_loadcnt_dscnt 0x601
	v_mul_f64_e32 v[144:145], v[4:5], v[138:139]
	v_mul_f64_e32 v[138:139], v[6:7], v[138:139]
	v_add_f64_e32 v[114:115], v[120:121], v[124:125]
	v_add_f64_e32 v[120:121], v[126:127], v[156:157]
	s_wait_loadcnt_dscnt 0x500
	v_mul_f64_e32 v[124:125], v[116:117], v[150:151]
	v_mul_f64_e32 v[126:127], v[118:119], v[150:151]
	v_fmac_f64_e32 v[144:145], v[6:7], v[136:137]
	v_fma_f64 v[128:129], v[4:5], v[136:137], -v[138:139]
	v_add_f64_e32 v[130:131], v[114:115], v[112:113]
	v_add_f64_e32 v[120:121], v[120:121], v[122:123]
	ds_load_b128 v[4:7], v2 offset:1296
	ds_load_b128 v[112:115], v2 offset:1312
	v_fmac_f64_e32 v[124:125], v[118:119], v[148:149]
	v_fma_f64 v[116:117], v[116:117], v[148:149], -v[126:127]
	s_wait_loadcnt_dscnt 0x401
	v_mul_f64_e32 v[122:123], v[4:5], v[134:135]
	v_mul_f64_e32 v[134:135], v[6:7], v[134:135]
	s_wait_loadcnt_dscnt 0x300
	v_mul_f64_e32 v[126:127], v[112:113], v[10:11]
	v_mul_f64_e32 v[10:11], v[114:115], v[10:11]
	v_add_f64_e32 v[118:119], v[130:131], v[128:129]
	v_add_f64_e32 v[120:121], v[120:121], v[144:145]
	v_fmac_f64_e32 v[122:123], v[6:7], v[132:133]
	v_fma_f64 v[128:129], v[4:5], v[132:133], -v[134:135]
	v_fmac_f64_e32 v[126:127], v[114:115], v[8:9]
	v_fma_f64 v[8:9], v[112:113], v[8:9], -v[10:11]
	v_add_f64_e32 v[130:131], v[118:119], v[116:117]
	v_add_f64_e32 v[120:121], v[120:121], v[124:125]
	ds_load_b128 v[4:7], v2 offset:1328
	ds_load_b128 v[116:119], v2 offset:1344
	s_wait_loadcnt_dscnt 0x201
	v_mul_f64_e32 v[124:125], v[4:5], v[14:15]
	v_mul_f64_e32 v[14:15], v[6:7], v[14:15]
	s_wait_loadcnt_dscnt 0x100
	v_mul_f64_e32 v[114:115], v[116:117], v[18:19]
	v_mul_f64_e32 v[18:19], v[118:119], v[18:19]
	v_add_f64_e32 v[10:11], v[130:131], v[128:129]
	v_add_f64_e32 v[112:113], v[120:121], v[122:123]
	v_fmac_f64_e32 v[124:125], v[6:7], v[12:13]
	v_fma_f64 v[12:13], v[4:5], v[12:13], -v[14:15]
	ds_load_b128 v[4:7], v2 offset:1360
	v_fmac_f64_e32 v[114:115], v[118:119], v[16:17]
	v_fma_f64 v[16:17], v[116:117], v[16:17], -v[18:19]
	v_add_f64_e32 v[8:9], v[10:11], v[8:9]
	v_add_f64_e32 v[10:11], v[112:113], v[126:127]
	s_wait_loadcnt_dscnt 0x0
	v_mul_f64_e32 v[14:15], v[4:5], v[22:23]
	v_mul_f64_e32 v[22:23], v[6:7], v[22:23]
	s_delay_alu instid0(VALU_DEP_4) | instskip(NEXT) | instid1(VALU_DEP_4)
	v_add_f64_e32 v[8:9], v[8:9], v[12:13]
	v_add_f64_e32 v[10:11], v[10:11], v[124:125]
	s_delay_alu instid0(VALU_DEP_4) | instskip(NEXT) | instid1(VALU_DEP_4)
	v_fmac_f64_e32 v[14:15], v[6:7], v[20:21]
	v_fma_f64 v[4:5], v[4:5], v[20:21], -v[22:23]
	s_delay_alu instid0(VALU_DEP_4) | instskip(NEXT) | instid1(VALU_DEP_4)
	v_add_f64_e32 v[6:7], v[8:9], v[16:17]
	v_add_f64_e32 v[8:9], v[10:11], v[114:115]
	s_delay_alu instid0(VALU_DEP_2) | instskip(NEXT) | instid1(VALU_DEP_2)
	v_add_f64_e32 v[4:5], v[6:7], v[4:5]
	v_add_f64_e32 v[6:7], v[8:9], v[14:15]
	s_delay_alu instid0(VALU_DEP_2) | instskip(NEXT) | instid1(VALU_DEP_2)
	v_add_f64_e64 v[4:5], v[140:141], -v[4:5]
	v_add_f64_e64 v[6:7], v[142:143], -v[6:7]
	scratch_store_b128 off, v[4:7], off offset:208
	s_wait_xcnt 0x0
	v_cmpx_lt_u32_e32 12, v1
	s_cbranch_execz .LBB42_247
; %bb.246:
	scratch_load_b128 v[6:9], off, s52
	v_dual_mov_b32 v3, v2 :: v_dual_mov_b32 v4, v2
	v_mov_b32_e32 v5, v2
	scratch_store_b128 off, v[2:5], off offset:192
	s_wait_loadcnt 0x0
	ds_store_b128 v110, v[6:9]
.LBB42_247:
	s_wait_xcnt 0x0
	s_or_b32 exec_lo, exec_lo, s2
	s_wait_storecnt_dscnt 0x0
	s_barrier_signal -1
	s_barrier_wait -1
	s_clause 0x9
	scratch_load_b128 v[4:7], off, off offset:208
	scratch_load_b128 v[8:11], off, off offset:224
	;; [unrolled: 1-line block ×10, first 2 shown]
	ds_load_b128 v[132:135], v2 offset:896
	ds_load_b128 v[140:143], v2 offset:912
	s_clause 0x2
	scratch_load_b128 v[136:139], off, off offset:368
	scratch_load_b128 v[144:147], off, off offset:192
	scratch_load_b128 v[148:151], off, off offset:384
	s_mov_b32 s2, exec_lo
	s_wait_loadcnt_dscnt 0xc01
	v_mul_f64_e32 v[152:153], v[134:135], v[6:7]
	v_mul_f64_e32 v[156:157], v[132:133], v[6:7]
	s_wait_loadcnt_dscnt 0xb00
	v_mul_f64_e32 v[158:159], v[140:141], v[10:11]
	v_mul_f64_e32 v[10:11], v[142:143], v[10:11]
	s_delay_alu instid0(VALU_DEP_4) | instskip(NEXT) | instid1(VALU_DEP_4)
	v_fma_f64 v[160:161], v[132:133], v[4:5], -v[152:153]
	v_fmac_f64_e32 v[156:157], v[134:135], v[4:5]
	ds_load_b128 v[4:7], v2 offset:928
	ds_load_b128 v[132:135], v2 offset:944
	scratch_load_b128 v[152:155], off, off offset:400
	v_fmac_f64_e32 v[158:159], v[142:143], v[8:9]
	v_fma_f64 v[140:141], v[140:141], v[8:9], -v[10:11]
	scratch_load_b128 v[8:11], off, off offset:416
	s_wait_loadcnt_dscnt 0xc01
	v_mul_f64_e32 v[162:163], v[4:5], v[14:15]
	v_mul_f64_e32 v[14:15], v[6:7], v[14:15]
	v_add_f64_e32 v[142:143], 0, v[160:161]
	v_add_f64_e32 v[156:157], 0, v[156:157]
	s_wait_loadcnt_dscnt 0xb00
	v_mul_f64_e32 v[160:161], v[132:133], v[18:19]
	v_mul_f64_e32 v[18:19], v[134:135], v[18:19]
	v_fmac_f64_e32 v[162:163], v[6:7], v[12:13]
	v_fma_f64 v[164:165], v[4:5], v[12:13], -v[14:15]
	ds_load_b128 v[4:7], v2 offset:960
	ds_load_b128 v[12:15], v2 offset:976
	v_add_f64_e32 v[166:167], v[142:143], v[140:141]
	v_add_f64_e32 v[156:157], v[156:157], v[158:159]
	scratch_load_b128 v[140:143], off, off offset:432
	v_fmac_f64_e32 v[160:161], v[134:135], v[16:17]
	v_fma_f64 v[132:133], v[132:133], v[16:17], -v[18:19]
	scratch_load_b128 v[16:19], off, off offset:448
	s_wait_loadcnt_dscnt 0xc01
	v_mul_f64_e32 v[158:159], v[4:5], v[22:23]
	v_mul_f64_e32 v[22:23], v[6:7], v[22:23]
	v_add_f64_e32 v[134:135], v[166:167], v[164:165]
	v_add_f64_e32 v[156:157], v[156:157], v[162:163]
	s_wait_loadcnt_dscnt 0xb00
	v_mul_f64_e32 v[162:163], v[12:13], v[114:115]
	v_mul_f64_e32 v[114:115], v[14:15], v[114:115]
	v_fmac_f64_e32 v[158:159], v[6:7], v[20:21]
	v_fma_f64 v[164:165], v[4:5], v[20:21], -v[22:23]
	ds_load_b128 v[4:7], v2 offset:992
	ds_load_b128 v[20:23], v2 offset:1008
	v_add_f64_e32 v[166:167], v[134:135], v[132:133]
	v_add_f64_e32 v[156:157], v[156:157], v[160:161]
	scratch_load_b128 v[132:135], off, off offset:464
	s_wait_loadcnt_dscnt 0xb01
	v_mul_f64_e32 v[160:161], v[4:5], v[118:119]
	v_mul_f64_e32 v[118:119], v[6:7], v[118:119]
	v_fmac_f64_e32 v[162:163], v[14:15], v[112:113]
	v_fma_f64 v[112:113], v[12:13], v[112:113], -v[114:115]
	scratch_load_b128 v[12:15], off, off offset:480
	v_add_f64_e32 v[114:115], v[166:167], v[164:165]
	v_add_f64_e32 v[156:157], v[156:157], v[158:159]
	s_wait_loadcnt_dscnt 0xb00
	v_mul_f64_e32 v[158:159], v[20:21], v[122:123]
	v_mul_f64_e32 v[122:123], v[22:23], v[122:123]
	v_fmac_f64_e32 v[160:161], v[6:7], v[116:117]
	v_fma_f64 v[164:165], v[4:5], v[116:117], -v[118:119]
	v_add_f64_e32 v[166:167], v[114:115], v[112:113]
	v_add_f64_e32 v[156:157], v[156:157], v[162:163]
	ds_load_b128 v[4:7], v2 offset:1024
	ds_load_b128 v[112:115], v2 offset:1040
	scratch_load_b128 v[116:119], off, off offset:496
	v_fmac_f64_e32 v[158:159], v[22:23], v[120:121]
	v_fma_f64 v[120:121], v[20:21], v[120:121], -v[122:123]
	scratch_load_b128 v[20:23], off, off offset:512
	s_wait_loadcnt_dscnt 0xc01
	v_mul_f64_e32 v[162:163], v[4:5], v[126:127]
	v_mul_f64_e32 v[126:127], v[6:7], v[126:127]
	v_add_f64_e32 v[122:123], v[166:167], v[164:165]
	v_add_f64_e32 v[156:157], v[156:157], v[160:161]
	s_wait_loadcnt_dscnt 0xb00
	v_mul_f64_e32 v[160:161], v[112:113], v[130:131]
	v_mul_f64_e32 v[130:131], v[114:115], v[130:131]
	v_fmac_f64_e32 v[162:163], v[6:7], v[124:125]
	v_fma_f64 v[164:165], v[4:5], v[124:125], -v[126:127]
	v_add_f64_e32 v[166:167], v[122:123], v[120:121]
	v_add_f64_e32 v[156:157], v[156:157], v[158:159]
	ds_load_b128 v[4:7], v2 offset:1056
	ds_load_b128 v[120:123], v2 offset:1072
	scratch_load_b128 v[124:127], off, off offset:528
	v_fmac_f64_e32 v[160:161], v[114:115], v[128:129]
	v_fma_f64 v[128:129], v[112:113], v[128:129], -v[130:131]
	scratch_load_b128 v[112:115], off, off offset:544
	s_wait_loadcnt_dscnt 0xc01
	v_mul_f64_e32 v[158:159], v[4:5], v[138:139]
	v_mul_f64_e32 v[138:139], v[6:7], v[138:139]
	;; [unrolled: 18-line block ×5, first 2 shown]
	v_add_f64_e32 v[150:151], v[166:167], v[164:165]
	v_add_f64_e32 v[156:157], v[156:157], v[162:163]
	s_wait_loadcnt_dscnt 0xa00
	v_mul_f64_e32 v[162:163], v[128:129], v[14:15]
	v_mul_f64_e32 v[14:15], v[130:131], v[14:15]
	v_fmac_f64_e32 v[158:159], v[6:7], v[132:133]
	v_fma_f64 v[164:165], v[4:5], v[132:133], -v[134:135]
	ds_load_b128 v[4:7], v2 offset:1184
	ds_load_b128 v[132:135], v2 offset:1200
	v_add_f64_e32 v[166:167], v[150:151], v[148:149]
	v_add_f64_e32 v[156:157], v[156:157], v[160:161]
	scratch_load_b128 v[148:151], off, off offset:656
	v_fmac_f64_e32 v[162:163], v[130:131], v[12:13]
	v_fma_f64 v[128:129], v[128:129], v[12:13], -v[14:15]
	scratch_load_b128 v[12:15], off, off offset:672
	s_wait_loadcnt_dscnt 0xb01
	v_mul_f64_e32 v[160:161], v[4:5], v[118:119]
	v_mul_f64_e32 v[118:119], v[6:7], v[118:119]
	v_add_f64_e32 v[130:131], v[166:167], v[164:165]
	v_add_f64_e32 v[156:157], v[156:157], v[158:159]
	s_wait_loadcnt_dscnt 0xa00
	v_mul_f64_e32 v[158:159], v[132:133], v[22:23]
	v_mul_f64_e32 v[22:23], v[134:135], v[22:23]
	v_fmac_f64_e32 v[160:161], v[6:7], v[116:117]
	v_fma_f64 v[164:165], v[4:5], v[116:117], -v[118:119]
	ds_load_b128 v[4:7], v2 offset:1216
	ds_load_b128 v[116:119], v2 offset:1232
	v_add_f64_e32 v[128:129], v[130:131], v[128:129]
	v_add_f64_e32 v[130:131], v[156:157], v[162:163]
	v_fmac_f64_e32 v[158:159], v[134:135], v[20:21]
	s_wait_loadcnt_dscnt 0x901
	v_mul_f64_e32 v[156:157], v[4:5], v[126:127]
	v_mul_f64_e32 v[126:127], v[6:7], v[126:127]
	v_fma_f64 v[20:21], v[132:133], v[20:21], -v[22:23]
	v_add_f64_e32 v[22:23], v[128:129], v[164:165]
	v_add_f64_e32 v[128:129], v[130:131], v[160:161]
	s_wait_loadcnt_dscnt 0x800
	v_mul_f64_e32 v[130:131], v[116:117], v[114:115]
	v_mul_f64_e32 v[114:115], v[118:119], v[114:115]
	v_fmac_f64_e32 v[156:157], v[6:7], v[124:125]
	v_fma_f64 v[124:125], v[4:5], v[124:125], -v[126:127]
	v_add_f64_e32 v[126:127], v[22:23], v[20:21]
	v_add_f64_e32 v[128:129], v[128:129], v[158:159]
	ds_load_b128 v[4:7], v2 offset:1248
	ds_load_b128 v[20:23], v2 offset:1264
	v_fmac_f64_e32 v[130:131], v[118:119], v[112:113]
	v_fma_f64 v[112:113], v[116:117], v[112:113], -v[114:115]
	s_wait_loadcnt_dscnt 0x701
	v_mul_f64_e32 v[132:133], v[4:5], v[138:139]
	v_mul_f64_e32 v[134:135], v[6:7], v[138:139]
	s_wait_loadcnt_dscnt 0x600
	v_mul_f64_e32 v[118:119], v[20:21], v[122:123]
	v_mul_f64_e32 v[122:123], v[22:23], v[122:123]
	v_add_f64_e32 v[114:115], v[126:127], v[124:125]
	v_add_f64_e32 v[116:117], v[128:129], v[156:157]
	v_fmac_f64_e32 v[132:133], v[6:7], v[136:137]
	v_fma_f64 v[124:125], v[4:5], v[136:137], -v[134:135]
	v_fmac_f64_e32 v[118:119], v[22:23], v[120:121]
	v_fma_f64 v[20:21], v[20:21], v[120:121], -v[122:123]
	v_add_f64_e32 v[126:127], v[114:115], v[112:113]
	v_add_f64_e32 v[116:117], v[116:117], v[130:131]
	ds_load_b128 v[4:7], v2 offset:1280
	ds_load_b128 v[112:115], v2 offset:1296
	s_wait_loadcnt_dscnt 0x501
	v_mul_f64_e32 v[128:129], v[4:5], v[154:155]
	v_mul_f64_e32 v[130:131], v[6:7], v[154:155]
	s_wait_loadcnt_dscnt 0x400
	v_mul_f64_e32 v[120:121], v[112:113], v[10:11]
	v_mul_f64_e32 v[10:11], v[114:115], v[10:11]
	v_add_f64_e32 v[22:23], v[126:127], v[124:125]
	v_add_f64_e32 v[116:117], v[116:117], v[132:133]
	v_fmac_f64_e32 v[128:129], v[6:7], v[152:153]
	v_fma_f64 v[122:123], v[4:5], v[152:153], -v[130:131]
	v_fmac_f64_e32 v[120:121], v[114:115], v[8:9]
	v_fma_f64 v[8:9], v[112:113], v[8:9], -v[10:11]
	v_add_f64_e32 v[124:125], v[22:23], v[20:21]
	v_add_f64_e32 v[116:117], v[116:117], v[118:119]
	ds_load_b128 v[4:7], v2 offset:1312
	ds_load_b128 v[20:23], v2 offset:1328
	;; [unrolled: 16-line block ×3, first 2 shown]
	s_wait_loadcnt_dscnt 0x101
	v_mul_f64_e32 v[2:3], v[4:5], v[150:151]
	v_mul_f64_e32 v[120:121], v[6:7], v[150:151]
	s_wait_loadcnt_dscnt 0x0
	v_mul_f64_e32 v[22:23], v[8:9], v[14:15]
	v_mul_f64_e32 v[14:15], v[10:11], v[14:15]
	v_add_f64_e32 v[18:19], v[122:123], v[116:117]
	v_add_f64_e32 v[20:21], v[112:113], v[118:119]
	v_fmac_f64_e32 v[2:3], v[6:7], v[148:149]
	v_fma_f64 v[4:5], v[4:5], v[148:149], -v[120:121]
	v_fmac_f64_e32 v[22:23], v[10:11], v[12:13]
	v_fma_f64 v[8:9], v[8:9], v[12:13], -v[14:15]
	v_add_f64_e32 v[6:7], v[18:19], v[16:17]
	v_add_f64_e32 v[16:17], v[20:21], v[114:115]
	s_delay_alu instid0(VALU_DEP_2) | instskip(NEXT) | instid1(VALU_DEP_2)
	v_add_f64_e32 v[4:5], v[6:7], v[4:5]
	v_add_f64_e32 v[2:3], v[16:17], v[2:3]
	s_delay_alu instid0(VALU_DEP_2) | instskip(NEXT) | instid1(VALU_DEP_2)
	;; [unrolled: 3-line block ×3, first 2 shown]
	v_add_f64_e64 v[2:3], v[144:145], -v[4:5]
	v_add_f64_e64 v[4:5], v[146:147], -v[6:7]
	scratch_store_b128 off, v[2:5], off offset:192
	s_wait_xcnt 0x0
	v_cmpx_lt_u32_e32 11, v1
	s_cbranch_execz .LBB42_249
; %bb.248:
	scratch_load_b128 v[2:5], off, s50
	v_mov_b32_e32 v6, 0
	s_delay_alu instid0(VALU_DEP_1)
	v_dual_mov_b32 v7, v6 :: v_dual_mov_b32 v8, v6
	v_mov_b32_e32 v9, v6
	scratch_store_b128 off, v[6:9], off offset:176
	s_wait_loadcnt 0x0
	ds_store_b128 v110, v[2:5]
.LBB42_249:
	s_wait_xcnt 0x0
	s_or_b32 exec_lo, exec_lo, s2
	s_wait_storecnt_dscnt 0x0
	s_barrier_signal -1
	s_barrier_wait -1
	s_clause 0x9
	scratch_load_b128 v[4:7], off, off offset:192
	scratch_load_b128 v[8:11], off, off offset:208
	;; [unrolled: 1-line block ×10, first 2 shown]
	v_mov_b32_e32 v2, 0
	s_mov_b32 s2, exec_lo
	ds_load_b128 v[132:135], v2 offset:880
	s_clause 0x2
	scratch_load_b128 v[136:139], off, off offset:352
	scratch_load_b128 v[140:143], off, off offset:176
	;; [unrolled: 1-line block ×3, first 2 shown]
	s_wait_loadcnt_dscnt 0xc00
	v_mul_f64_e32 v[152:153], v[134:135], v[6:7]
	v_mul_f64_e32 v[156:157], v[132:133], v[6:7]
	ds_load_b128 v[144:147], v2 offset:896
	v_fma_f64 v[160:161], v[132:133], v[4:5], -v[152:153]
	v_fmac_f64_e32 v[156:157], v[134:135], v[4:5]
	ds_load_b128 v[4:7], v2 offset:912
	s_wait_loadcnt_dscnt 0xb01
	v_mul_f64_e32 v[158:159], v[144:145], v[10:11]
	v_mul_f64_e32 v[10:11], v[146:147], v[10:11]
	scratch_load_b128 v[132:135], off, off offset:384
	ds_load_b128 v[152:155], v2 offset:928
	s_wait_loadcnt_dscnt 0xb01
	v_mul_f64_e32 v[162:163], v[4:5], v[14:15]
	v_mul_f64_e32 v[14:15], v[6:7], v[14:15]
	v_add_f64_e32 v[156:157], 0, v[156:157]
	v_fmac_f64_e32 v[158:159], v[146:147], v[8:9]
	v_fma_f64 v[144:145], v[144:145], v[8:9], -v[10:11]
	v_add_f64_e32 v[146:147], 0, v[160:161]
	scratch_load_b128 v[8:11], off, off offset:400
	v_fmac_f64_e32 v[162:163], v[6:7], v[12:13]
	v_fma_f64 v[164:165], v[4:5], v[12:13], -v[14:15]
	ds_load_b128 v[4:7], v2 offset:944
	s_wait_loadcnt_dscnt 0xb01
	v_mul_f64_e32 v[160:161], v[152:153], v[18:19]
	v_mul_f64_e32 v[18:19], v[154:155], v[18:19]
	scratch_load_b128 v[12:15], off, off offset:416
	v_add_f64_e32 v[156:157], v[156:157], v[158:159]
	v_add_f64_e32 v[166:167], v[146:147], v[144:145]
	ds_load_b128 v[144:147], v2 offset:960
	s_wait_loadcnt_dscnt 0xb01
	v_mul_f64_e32 v[158:159], v[4:5], v[22:23]
	v_mul_f64_e32 v[22:23], v[6:7], v[22:23]
	v_fmac_f64_e32 v[160:161], v[154:155], v[16:17]
	v_fma_f64 v[152:153], v[152:153], v[16:17], -v[18:19]
	scratch_load_b128 v[16:19], off, off offset:432
	v_add_f64_e32 v[156:157], v[156:157], v[162:163]
	v_add_f64_e32 v[154:155], v[166:167], v[164:165]
	v_fmac_f64_e32 v[158:159], v[6:7], v[20:21]
	v_fma_f64 v[164:165], v[4:5], v[20:21], -v[22:23]
	ds_load_b128 v[4:7], v2 offset:976
	s_wait_loadcnt_dscnt 0xb01
	v_mul_f64_e32 v[162:163], v[144:145], v[114:115]
	v_mul_f64_e32 v[114:115], v[146:147], v[114:115]
	scratch_load_b128 v[20:23], off, off offset:448
	v_add_f64_e32 v[156:157], v[156:157], v[160:161]
	s_wait_loadcnt_dscnt 0xb00
	v_mul_f64_e32 v[160:161], v[4:5], v[118:119]
	v_add_f64_e32 v[166:167], v[154:155], v[152:153]
	v_mul_f64_e32 v[118:119], v[6:7], v[118:119]
	ds_load_b128 v[152:155], v2 offset:992
	v_fmac_f64_e32 v[162:163], v[146:147], v[112:113]
	v_fma_f64 v[144:145], v[144:145], v[112:113], -v[114:115]
	scratch_load_b128 v[112:115], off, off offset:464
	v_add_f64_e32 v[156:157], v[156:157], v[158:159]
	v_fmac_f64_e32 v[160:161], v[6:7], v[116:117]
	v_add_f64_e32 v[146:147], v[166:167], v[164:165]
	v_fma_f64 v[164:165], v[4:5], v[116:117], -v[118:119]
	ds_load_b128 v[4:7], v2 offset:1008
	s_wait_loadcnt_dscnt 0xb01
	v_mul_f64_e32 v[158:159], v[152:153], v[122:123]
	v_mul_f64_e32 v[122:123], v[154:155], v[122:123]
	scratch_load_b128 v[116:119], off, off offset:480
	v_add_f64_e32 v[156:157], v[156:157], v[162:163]
	s_wait_loadcnt_dscnt 0xb00
	v_mul_f64_e32 v[162:163], v[4:5], v[126:127]
	v_add_f64_e32 v[166:167], v[146:147], v[144:145]
	v_mul_f64_e32 v[126:127], v[6:7], v[126:127]
	ds_load_b128 v[144:147], v2 offset:1024
	v_fmac_f64_e32 v[158:159], v[154:155], v[120:121]
	v_fma_f64 v[152:153], v[152:153], v[120:121], -v[122:123]
	scratch_load_b128 v[120:123], off, off offset:496
	v_add_f64_e32 v[156:157], v[156:157], v[160:161]
	v_fmac_f64_e32 v[162:163], v[6:7], v[124:125]
	v_add_f64_e32 v[154:155], v[166:167], v[164:165]
	;; [unrolled: 18-line block ×3, first 2 shown]
	v_fma_f64 v[164:165], v[4:5], v[136:137], -v[138:139]
	ds_load_b128 v[4:7], v2 offset:1072
	s_wait_loadcnt_dscnt 0xa01
	v_mul_f64_e32 v[162:163], v[152:153], v[150:151]
	v_mul_f64_e32 v[150:151], v[154:155], v[150:151]
	scratch_load_b128 v[136:139], off, off offset:544
	v_add_f64_e32 v[156:157], v[156:157], v[160:161]
	v_add_f64_e32 v[166:167], v[146:147], v[144:145]
	s_wait_loadcnt_dscnt 0xa00
	v_mul_f64_e32 v[160:161], v[4:5], v[134:135]
	v_mul_f64_e32 v[134:135], v[6:7], v[134:135]
	v_fmac_f64_e32 v[162:163], v[154:155], v[148:149]
	v_fma_f64 v[152:153], v[152:153], v[148:149], -v[150:151]
	ds_load_b128 v[144:147], v2 offset:1088
	scratch_load_b128 v[148:151], off, off offset:560
	v_add_f64_e32 v[156:157], v[156:157], v[158:159]
	v_add_f64_e32 v[154:155], v[166:167], v[164:165]
	v_fmac_f64_e32 v[160:161], v[6:7], v[132:133]
	v_fma_f64 v[164:165], v[4:5], v[132:133], -v[134:135]
	ds_load_b128 v[4:7], v2 offset:1104
	s_wait_loadcnt_dscnt 0xa01
	v_mul_f64_e32 v[158:159], v[144:145], v[10:11]
	v_mul_f64_e32 v[10:11], v[146:147], v[10:11]
	scratch_load_b128 v[132:135], off, off offset:576
	v_add_f64_e32 v[156:157], v[156:157], v[162:163]
	s_wait_loadcnt_dscnt 0xa00
	v_mul_f64_e32 v[162:163], v[4:5], v[14:15]
	v_add_f64_e32 v[166:167], v[154:155], v[152:153]
	v_mul_f64_e32 v[14:15], v[6:7], v[14:15]
	ds_load_b128 v[152:155], v2 offset:1120
	v_fmac_f64_e32 v[158:159], v[146:147], v[8:9]
	v_fma_f64 v[144:145], v[144:145], v[8:9], -v[10:11]
	scratch_load_b128 v[8:11], off, off offset:592
	v_add_f64_e32 v[156:157], v[156:157], v[160:161]
	v_fmac_f64_e32 v[162:163], v[6:7], v[12:13]
	v_add_f64_e32 v[146:147], v[166:167], v[164:165]
	v_fma_f64 v[164:165], v[4:5], v[12:13], -v[14:15]
	ds_load_b128 v[4:7], v2 offset:1136
	s_wait_loadcnt_dscnt 0xa01
	v_mul_f64_e32 v[160:161], v[152:153], v[18:19]
	v_mul_f64_e32 v[18:19], v[154:155], v[18:19]
	scratch_load_b128 v[12:15], off, off offset:608
	v_add_f64_e32 v[156:157], v[156:157], v[158:159]
	s_wait_loadcnt_dscnt 0xa00
	v_mul_f64_e32 v[158:159], v[4:5], v[22:23]
	v_add_f64_e32 v[166:167], v[146:147], v[144:145]
	v_mul_f64_e32 v[22:23], v[6:7], v[22:23]
	ds_load_b128 v[144:147], v2 offset:1152
	v_fmac_f64_e32 v[160:161], v[154:155], v[16:17]
	v_fma_f64 v[152:153], v[152:153], v[16:17], -v[18:19]
	scratch_load_b128 v[16:19], off, off offset:624
	v_add_f64_e32 v[156:157], v[156:157], v[162:163]
	v_fmac_f64_e32 v[158:159], v[6:7], v[20:21]
	v_add_f64_e32 v[154:155], v[166:167], v[164:165]
	;; [unrolled: 18-line block ×3, first 2 shown]
	v_fma_f64 v[164:165], v[4:5], v[116:117], -v[118:119]
	ds_load_b128 v[4:7], v2 offset:1200
	s_wait_loadcnt_dscnt 0xa01
	v_mul_f64_e32 v[158:159], v[152:153], v[122:123]
	v_mul_f64_e32 v[122:123], v[154:155], v[122:123]
	scratch_load_b128 v[116:119], off, off offset:672
	v_add_f64_e32 v[156:157], v[156:157], v[162:163]
	s_wait_loadcnt_dscnt 0xa00
	v_mul_f64_e32 v[162:163], v[4:5], v[126:127]
	v_add_f64_e32 v[166:167], v[146:147], v[144:145]
	v_mul_f64_e32 v[126:127], v[6:7], v[126:127]
	ds_load_b128 v[144:147], v2 offset:1216
	v_fmac_f64_e32 v[158:159], v[154:155], v[120:121]
	v_fma_f64 v[120:121], v[152:153], v[120:121], -v[122:123]
	s_wait_loadcnt_dscnt 0x900
	v_mul_f64_e32 v[154:155], v[144:145], v[130:131]
	v_mul_f64_e32 v[130:131], v[146:147], v[130:131]
	v_add_f64_e32 v[152:153], v[156:157], v[160:161]
	v_fmac_f64_e32 v[162:163], v[6:7], v[124:125]
	v_add_f64_e32 v[122:123], v[166:167], v[164:165]
	v_fma_f64 v[124:125], v[4:5], v[124:125], -v[126:127]
	v_fmac_f64_e32 v[154:155], v[146:147], v[128:129]
	v_fma_f64 v[128:129], v[144:145], v[128:129], -v[130:131]
	v_add_f64_e32 v[152:153], v[152:153], v[158:159]
	v_add_f64_e32 v[126:127], v[122:123], v[120:121]
	ds_load_b128 v[4:7], v2 offset:1232
	ds_load_b128 v[120:123], v2 offset:1248
	s_wait_loadcnt_dscnt 0x801
	v_mul_f64_e32 v[156:157], v[4:5], v[138:139]
	v_mul_f64_e32 v[138:139], v[6:7], v[138:139]
	s_wait_loadcnt_dscnt 0x700
	v_mul_f64_e32 v[130:131], v[120:121], v[150:151]
	v_mul_f64_e32 v[144:145], v[122:123], v[150:151]
	v_add_f64_e32 v[124:125], v[126:127], v[124:125]
	v_add_f64_e32 v[126:127], v[152:153], v[162:163]
	v_fmac_f64_e32 v[156:157], v[6:7], v[136:137]
	v_fma_f64 v[136:137], v[4:5], v[136:137], -v[138:139]
	v_fmac_f64_e32 v[130:131], v[122:123], v[148:149]
	v_fma_f64 v[120:121], v[120:121], v[148:149], -v[144:145]
	v_add_f64_e32 v[128:129], v[124:125], v[128:129]
	v_add_f64_e32 v[138:139], v[126:127], v[154:155]
	ds_load_b128 v[4:7], v2 offset:1264
	ds_load_b128 v[124:127], v2 offset:1280
	s_wait_loadcnt_dscnt 0x601
	v_mul_f64_e32 v[146:147], v[4:5], v[134:135]
	v_mul_f64_e32 v[134:135], v[6:7], v[134:135]
	v_add_f64_e32 v[122:123], v[128:129], v[136:137]
	v_add_f64_e32 v[128:129], v[138:139], v[156:157]
	s_wait_loadcnt_dscnt 0x500
	v_mul_f64_e32 v[136:137], v[124:125], v[10:11]
	v_mul_f64_e32 v[10:11], v[126:127], v[10:11]
	v_fmac_f64_e32 v[146:147], v[6:7], v[132:133]
	v_fma_f64 v[132:133], v[4:5], v[132:133], -v[134:135]
	v_add_f64_e32 v[134:135], v[122:123], v[120:121]
	v_add_f64_e32 v[128:129], v[128:129], v[130:131]
	ds_load_b128 v[4:7], v2 offset:1296
	ds_load_b128 v[120:123], v2 offset:1312
	v_fmac_f64_e32 v[136:137], v[126:127], v[8:9]
	v_fma_f64 v[8:9], v[124:125], v[8:9], -v[10:11]
	s_wait_loadcnt_dscnt 0x401
	v_mul_f64_e32 v[130:131], v[4:5], v[14:15]
	v_mul_f64_e32 v[14:15], v[6:7], v[14:15]
	s_wait_loadcnt_dscnt 0x300
	v_mul_f64_e32 v[126:127], v[120:121], v[18:19]
	v_mul_f64_e32 v[18:19], v[122:123], v[18:19]
	v_add_f64_e32 v[10:11], v[134:135], v[132:133]
	v_add_f64_e32 v[124:125], v[128:129], v[146:147]
	v_fmac_f64_e32 v[130:131], v[6:7], v[12:13]
	v_fma_f64 v[12:13], v[4:5], v[12:13], -v[14:15]
	v_fmac_f64_e32 v[126:127], v[122:123], v[16:17]
	v_fma_f64 v[16:17], v[120:121], v[16:17], -v[18:19]
	v_add_f64_e32 v[14:15], v[10:11], v[8:9]
	v_add_f64_e32 v[124:125], v[124:125], v[136:137]
	ds_load_b128 v[4:7], v2 offset:1328
	ds_load_b128 v[8:11], v2 offset:1344
	s_wait_loadcnt_dscnt 0x201
	v_mul_f64_e32 v[128:129], v[4:5], v[22:23]
	v_mul_f64_e32 v[22:23], v[6:7], v[22:23]
	s_wait_loadcnt_dscnt 0x100
	v_mul_f64_e32 v[18:19], v[8:9], v[114:115]
	v_mul_f64_e32 v[114:115], v[10:11], v[114:115]
	v_add_f64_e32 v[12:13], v[14:15], v[12:13]
	v_add_f64_e32 v[14:15], v[124:125], v[130:131]
	v_fmac_f64_e32 v[128:129], v[6:7], v[20:21]
	v_fma_f64 v[20:21], v[4:5], v[20:21], -v[22:23]
	ds_load_b128 v[4:7], v2 offset:1360
	v_fmac_f64_e32 v[18:19], v[10:11], v[112:113]
	v_fma_f64 v[8:9], v[8:9], v[112:113], -v[114:115]
	v_add_f64_e32 v[12:13], v[12:13], v[16:17]
	v_add_f64_e32 v[14:15], v[14:15], v[126:127]
	s_wait_loadcnt_dscnt 0x0
	v_mul_f64_e32 v[16:17], v[4:5], v[118:119]
	v_mul_f64_e32 v[22:23], v[6:7], v[118:119]
	s_delay_alu instid0(VALU_DEP_4) | instskip(NEXT) | instid1(VALU_DEP_4)
	v_add_f64_e32 v[10:11], v[12:13], v[20:21]
	v_add_f64_e32 v[12:13], v[14:15], v[128:129]
	s_delay_alu instid0(VALU_DEP_4) | instskip(NEXT) | instid1(VALU_DEP_4)
	v_fmac_f64_e32 v[16:17], v[6:7], v[116:117]
	v_fma_f64 v[4:5], v[4:5], v[116:117], -v[22:23]
	s_delay_alu instid0(VALU_DEP_4) | instskip(NEXT) | instid1(VALU_DEP_4)
	v_add_f64_e32 v[6:7], v[10:11], v[8:9]
	v_add_f64_e32 v[8:9], v[12:13], v[18:19]
	s_delay_alu instid0(VALU_DEP_2) | instskip(NEXT) | instid1(VALU_DEP_2)
	v_add_f64_e32 v[4:5], v[6:7], v[4:5]
	v_add_f64_e32 v[6:7], v[8:9], v[16:17]
	s_delay_alu instid0(VALU_DEP_2) | instskip(NEXT) | instid1(VALU_DEP_2)
	v_add_f64_e64 v[4:5], v[140:141], -v[4:5]
	v_add_f64_e64 v[6:7], v[142:143], -v[6:7]
	scratch_store_b128 off, v[4:7], off offset:176
	s_wait_xcnt 0x0
	v_cmpx_lt_u32_e32 10, v1
	s_cbranch_execz .LBB42_251
; %bb.250:
	scratch_load_b128 v[6:9], off, s47
	v_dual_mov_b32 v3, v2 :: v_dual_mov_b32 v4, v2
	v_mov_b32_e32 v5, v2
	scratch_store_b128 off, v[2:5], off offset:160
	s_wait_loadcnt 0x0
	ds_store_b128 v110, v[6:9]
.LBB42_251:
	s_wait_xcnt 0x0
	s_or_b32 exec_lo, exec_lo, s2
	s_wait_storecnt_dscnt 0x0
	s_barrier_signal -1
	s_barrier_wait -1
	s_clause 0x9
	scratch_load_b128 v[4:7], off, off offset:176
	scratch_load_b128 v[8:11], off, off offset:192
	;; [unrolled: 1-line block ×10, first 2 shown]
	ds_load_b128 v[132:135], v2 offset:864
	ds_load_b128 v[140:143], v2 offset:880
	s_clause 0x2
	scratch_load_b128 v[136:139], off, off offset:336
	scratch_load_b128 v[144:147], off, off offset:160
	;; [unrolled: 1-line block ×3, first 2 shown]
	s_mov_b32 s2, exec_lo
	s_wait_loadcnt_dscnt 0xc01
	v_mul_f64_e32 v[152:153], v[134:135], v[6:7]
	v_mul_f64_e32 v[156:157], v[132:133], v[6:7]
	s_wait_loadcnt_dscnt 0xb00
	v_mul_f64_e32 v[158:159], v[140:141], v[10:11]
	v_mul_f64_e32 v[10:11], v[142:143], v[10:11]
	s_delay_alu instid0(VALU_DEP_4) | instskip(NEXT) | instid1(VALU_DEP_4)
	v_fma_f64 v[160:161], v[132:133], v[4:5], -v[152:153]
	v_fmac_f64_e32 v[156:157], v[134:135], v[4:5]
	ds_load_b128 v[4:7], v2 offset:896
	ds_load_b128 v[132:135], v2 offset:912
	scratch_load_b128 v[152:155], off, off offset:368
	v_fmac_f64_e32 v[158:159], v[142:143], v[8:9]
	v_fma_f64 v[140:141], v[140:141], v[8:9], -v[10:11]
	scratch_load_b128 v[8:11], off, off offset:384
	s_wait_loadcnt_dscnt 0xc01
	v_mul_f64_e32 v[162:163], v[4:5], v[14:15]
	v_mul_f64_e32 v[14:15], v[6:7], v[14:15]
	v_add_f64_e32 v[142:143], 0, v[160:161]
	v_add_f64_e32 v[156:157], 0, v[156:157]
	s_wait_loadcnt_dscnt 0xb00
	v_mul_f64_e32 v[160:161], v[132:133], v[18:19]
	v_mul_f64_e32 v[18:19], v[134:135], v[18:19]
	v_fmac_f64_e32 v[162:163], v[6:7], v[12:13]
	v_fma_f64 v[164:165], v[4:5], v[12:13], -v[14:15]
	ds_load_b128 v[4:7], v2 offset:928
	ds_load_b128 v[12:15], v2 offset:944
	v_add_f64_e32 v[166:167], v[142:143], v[140:141]
	v_add_f64_e32 v[156:157], v[156:157], v[158:159]
	scratch_load_b128 v[140:143], off, off offset:400
	v_fmac_f64_e32 v[160:161], v[134:135], v[16:17]
	v_fma_f64 v[132:133], v[132:133], v[16:17], -v[18:19]
	scratch_load_b128 v[16:19], off, off offset:416
	s_wait_loadcnt_dscnt 0xc01
	v_mul_f64_e32 v[158:159], v[4:5], v[22:23]
	v_mul_f64_e32 v[22:23], v[6:7], v[22:23]
	v_add_f64_e32 v[134:135], v[166:167], v[164:165]
	v_add_f64_e32 v[156:157], v[156:157], v[162:163]
	s_wait_loadcnt_dscnt 0xb00
	v_mul_f64_e32 v[162:163], v[12:13], v[114:115]
	v_mul_f64_e32 v[114:115], v[14:15], v[114:115]
	v_fmac_f64_e32 v[158:159], v[6:7], v[20:21]
	v_fma_f64 v[164:165], v[4:5], v[20:21], -v[22:23]
	ds_load_b128 v[4:7], v2 offset:960
	ds_load_b128 v[20:23], v2 offset:976
	v_add_f64_e32 v[166:167], v[134:135], v[132:133]
	v_add_f64_e32 v[156:157], v[156:157], v[160:161]
	scratch_load_b128 v[132:135], off, off offset:432
	s_wait_loadcnt_dscnt 0xb01
	v_mul_f64_e32 v[160:161], v[4:5], v[118:119]
	v_mul_f64_e32 v[118:119], v[6:7], v[118:119]
	v_fmac_f64_e32 v[162:163], v[14:15], v[112:113]
	v_fma_f64 v[112:113], v[12:13], v[112:113], -v[114:115]
	scratch_load_b128 v[12:15], off, off offset:448
	v_add_f64_e32 v[114:115], v[166:167], v[164:165]
	v_add_f64_e32 v[156:157], v[156:157], v[158:159]
	s_wait_loadcnt_dscnt 0xb00
	v_mul_f64_e32 v[158:159], v[20:21], v[122:123]
	v_mul_f64_e32 v[122:123], v[22:23], v[122:123]
	v_fmac_f64_e32 v[160:161], v[6:7], v[116:117]
	v_fma_f64 v[164:165], v[4:5], v[116:117], -v[118:119]
	v_add_f64_e32 v[166:167], v[114:115], v[112:113]
	v_add_f64_e32 v[156:157], v[156:157], v[162:163]
	ds_load_b128 v[4:7], v2 offset:992
	ds_load_b128 v[112:115], v2 offset:1008
	scratch_load_b128 v[116:119], off, off offset:464
	v_fmac_f64_e32 v[158:159], v[22:23], v[120:121]
	v_fma_f64 v[120:121], v[20:21], v[120:121], -v[122:123]
	scratch_load_b128 v[20:23], off, off offset:480
	s_wait_loadcnt_dscnt 0xc01
	v_mul_f64_e32 v[162:163], v[4:5], v[126:127]
	v_mul_f64_e32 v[126:127], v[6:7], v[126:127]
	v_add_f64_e32 v[122:123], v[166:167], v[164:165]
	v_add_f64_e32 v[156:157], v[156:157], v[160:161]
	s_wait_loadcnt_dscnt 0xb00
	v_mul_f64_e32 v[160:161], v[112:113], v[130:131]
	v_mul_f64_e32 v[130:131], v[114:115], v[130:131]
	v_fmac_f64_e32 v[162:163], v[6:7], v[124:125]
	v_fma_f64 v[164:165], v[4:5], v[124:125], -v[126:127]
	v_add_f64_e32 v[166:167], v[122:123], v[120:121]
	v_add_f64_e32 v[156:157], v[156:157], v[158:159]
	ds_load_b128 v[4:7], v2 offset:1024
	ds_load_b128 v[120:123], v2 offset:1040
	scratch_load_b128 v[124:127], off, off offset:496
	v_fmac_f64_e32 v[160:161], v[114:115], v[128:129]
	v_fma_f64 v[128:129], v[112:113], v[128:129], -v[130:131]
	scratch_load_b128 v[112:115], off, off offset:512
	s_wait_loadcnt_dscnt 0xc01
	v_mul_f64_e32 v[158:159], v[4:5], v[138:139]
	v_mul_f64_e32 v[138:139], v[6:7], v[138:139]
	;; [unrolled: 18-line block ×5, first 2 shown]
	v_add_f64_e32 v[150:151], v[166:167], v[164:165]
	v_add_f64_e32 v[156:157], v[156:157], v[162:163]
	s_wait_loadcnt_dscnt 0xa00
	v_mul_f64_e32 v[162:163], v[128:129], v[14:15]
	v_mul_f64_e32 v[14:15], v[130:131], v[14:15]
	v_fmac_f64_e32 v[158:159], v[6:7], v[132:133]
	v_fma_f64 v[164:165], v[4:5], v[132:133], -v[134:135]
	ds_load_b128 v[4:7], v2 offset:1152
	ds_load_b128 v[132:135], v2 offset:1168
	v_add_f64_e32 v[166:167], v[150:151], v[148:149]
	v_add_f64_e32 v[156:157], v[156:157], v[160:161]
	scratch_load_b128 v[148:151], off, off offset:624
	v_fmac_f64_e32 v[162:163], v[130:131], v[12:13]
	v_fma_f64 v[128:129], v[128:129], v[12:13], -v[14:15]
	scratch_load_b128 v[12:15], off, off offset:640
	s_wait_loadcnt_dscnt 0xb01
	v_mul_f64_e32 v[160:161], v[4:5], v[118:119]
	v_mul_f64_e32 v[118:119], v[6:7], v[118:119]
	v_add_f64_e32 v[130:131], v[166:167], v[164:165]
	v_add_f64_e32 v[156:157], v[156:157], v[158:159]
	s_wait_loadcnt_dscnt 0xa00
	v_mul_f64_e32 v[158:159], v[132:133], v[22:23]
	v_mul_f64_e32 v[22:23], v[134:135], v[22:23]
	v_fmac_f64_e32 v[160:161], v[6:7], v[116:117]
	v_fma_f64 v[164:165], v[4:5], v[116:117], -v[118:119]
	ds_load_b128 v[4:7], v2 offset:1184
	ds_load_b128 v[116:119], v2 offset:1200
	v_add_f64_e32 v[166:167], v[130:131], v[128:129]
	v_add_f64_e32 v[156:157], v[156:157], v[162:163]
	scratch_load_b128 v[128:131], off, off offset:656
	s_wait_loadcnt_dscnt 0xa01
	v_mul_f64_e32 v[162:163], v[4:5], v[126:127]
	v_mul_f64_e32 v[126:127], v[6:7], v[126:127]
	v_fmac_f64_e32 v[158:159], v[134:135], v[20:21]
	v_fma_f64 v[132:133], v[132:133], v[20:21], -v[22:23]
	scratch_load_b128 v[20:23], off, off offset:672
	v_add_f64_e32 v[134:135], v[166:167], v[164:165]
	v_add_f64_e32 v[156:157], v[156:157], v[160:161]
	s_wait_loadcnt_dscnt 0xa00
	v_mul_f64_e32 v[160:161], v[116:117], v[114:115]
	v_mul_f64_e32 v[114:115], v[118:119], v[114:115]
	v_fmac_f64_e32 v[162:163], v[6:7], v[124:125]
	v_fma_f64 v[164:165], v[4:5], v[124:125], -v[126:127]
	ds_load_b128 v[4:7], v2 offset:1216
	ds_load_b128 v[124:127], v2 offset:1232
	v_add_f64_e32 v[132:133], v[134:135], v[132:133]
	v_add_f64_e32 v[134:135], v[156:157], v[158:159]
	v_fmac_f64_e32 v[160:161], v[118:119], v[112:113]
	s_wait_loadcnt_dscnt 0x901
	v_mul_f64_e32 v[156:157], v[4:5], v[138:139]
	v_mul_f64_e32 v[138:139], v[6:7], v[138:139]
	v_fma_f64 v[112:113], v[116:117], v[112:113], -v[114:115]
	s_wait_loadcnt_dscnt 0x800
	v_mul_f64_e32 v[118:119], v[124:125], v[122:123]
	v_mul_f64_e32 v[122:123], v[126:127], v[122:123]
	v_add_f64_e32 v[114:115], v[132:133], v[164:165]
	v_add_f64_e32 v[116:117], v[134:135], v[162:163]
	v_fmac_f64_e32 v[156:157], v[6:7], v[136:137]
	v_fma_f64 v[132:133], v[4:5], v[136:137], -v[138:139]
	v_fmac_f64_e32 v[118:119], v[126:127], v[120:121]
	v_fma_f64 v[120:121], v[124:125], v[120:121], -v[122:123]
	v_add_f64_e32 v[134:135], v[114:115], v[112:113]
	v_add_f64_e32 v[116:117], v[116:117], v[160:161]
	ds_load_b128 v[4:7], v2 offset:1248
	ds_load_b128 v[112:115], v2 offset:1264
	s_wait_loadcnt_dscnt 0x701
	v_mul_f64_e32 v[136:137], v[4:5], v[154:155]
	v_mul_f64_e32 v[138:139], v[6:7], v[154:155]
	s_wait_loadcnt_dscnt 0x600
	v_mul_f64_e32 v[124:125], v[112:113], v[10:11]
	v_mul_f64_e32 v[10:11], v[114:115], v[10:11]
	v_add_f64_e32 v[122:123], v[134:135], v[132:133]
	v_add_f64_e32 v[116:117], v[116:117], v[156:157]
	v_fmac_f64_e32 v[136:137], v[6:7], v[152:153]
	v_fma_f64 v[126:127], v[4:5], v[152:153], -v[138:139]
	v_fmac_f64_e32 v[124:125], v[114:115], v[8:9]
	v_fma_f64 v[8:9], v[112:113], v[8:9], -v[10:11]
	v_add_f64_e32 v[120:121], v[122:123], v[120:121]
	v_add_f64_e32 v[122:123], v[116:117], v[118:119]
	ds_load_b128 v[4:7], v2 offset:1280
	ds_load_b128 v[116:119], v2 offset:1296
	s_wait_loadcnt_dscnt 0x501
	v_mul_f64_e32 v[132:133], v[4:5], v[142:143]
	v_mul_f64_e32 v[134:135], v[6:7], v[142:143]
	;; [unrolled: 16-line block ×4, first 2 shown]
	v_add_f64_e32 v[10:11], v[18:19], v[120:121]
	v_add_f64_e32 v[12:13], v[112:113], v[124:125]
	s_wait_loadcnt_dscnt 0x0
	v_mul_f64_e32 v[18:19], v[14:15], v[22:23]
	v_mul_f64_e32 v[22:23], v[16:17], v[22:23]
	v_fmac_f64_e32 v[2:3], v[6:7], v[128:129]
	v_fma_f64 v[4:5], v[4:5], v[128:129], -v[114:115]
	v_add_f64_e32 v[6:7], v[10:11], v[8:9]
	v_add_f64_e32 v[8:9], v[12:13], v[116:117]
	v_fmac_f64_e32 v[18:19], v[16:17], v[20:21]
	v_fma_f64 v[10:11], v[14:15], v[20:21], -v[22:23]
	s_delay_alu instid0(VALU_DEP_4) | instskip(NEXT) | instid1(VALU_DEP_4)
	v_add_f64_e32 v[4:5], v[6:7], v[4:5]
	v_add_f64_e32 v[2:3], v[8:9], v[2:3]
	s_delay_alu instid0(VALU_DEP_2) | instskip(NEXT) | instid1(VALU_DEP_2)
	v_add_f64_e32 v[4:5], v[4:5], v[10:11]
	v_add_f64_e32 v[6:7], v[2:3], v[18:19]
	s_delay_alu instid0(VALU_DEP_2) | instskip(NEXT) | instid1(VALU_DEP_2)
	v_add_f64_e64 v[2:3], v[144:145], -v[4:5]
	v_add_f64_e64 v[4:5], v[146:147], -v[6:7]
	scratch_store_b128 off, v[2:5], off offset:160
	s_wait_xcnt 0x0
	v_cmpx_lt_u32_e32 9, v1
	s_cbranch_execz .LBB42_253
; %bb.252:
	scratch_load_b128 v[2:5], off, s45
	v_mov_b32_e32 v6, 0
	s_delay_alu instid0(VALU_DEP_1)
	v_dual_mov_b32 v7, v6 :: v_dual_mov_b32 v8, v6
	v_mov_b32_e32 v9, v6
	scratch_store_b128 off, v[6:9], off offset:144
	s_wait_loadcnt 0x0
	ds_store_b128 v110, v[2:5]
.LBB42_253:
	s_wait_xcnt 0x0
	s_or_b32 exec_lo, exec_lo, s2
	s_wait_storecnt_dscnt 0x0
	s_barrier_signal -1
	s_barrier_wait -1
	s_clause 0x9
	scratch_load_b128 v[4:7], off, off offset:160
	scratch_load_b128 v[8:11], off, off offset:176
	;; [unrolled: 1-line block ×10, first 2 shown]
	v_mov_b32_e32 v2, 0
	s_mov_b32 s2, exec_lo
	ds_load_b128 v[132:135], v2 offset:848
	s_clause 0x2
	scratch_load_b128 v[136:139], off, off offset:320
	scratch_load_b128 v[140:143], off, off offset:144
	;; [unrolled: 1-line block ×3, first 2 shown]
	s_wait_loadcnt_dscnt 0xc00
	v_mul_f64_e32 v[152:153], v[134:135], v[6:7]
	v_mul_f64_e32 v[156:157], v[132:133], v[6:7]
	ds_load_b128 v[144:147], v2 offset:864
	v_fma_f64 v[160:161], v[132:133], v[4:5], -v[152:153]
	v_fmac_f64_e32 v[156:157], v[134:135], v[4:5]
	ds_load_b128 v[4:7], v2 offset:880
	s_wait_loadcnt_dscnt 0xb01
	v_mul_f64_e32 v[158:159], v[144:145], v[10:11]
	v_mul_f64_e32 v[10:11], v[146:147], v[10:11]
	scratch_load_b128 v[132:135], off, off offset:352
	ds_load_b128 v[152:155], v2 offset:896
	s_wait_loadcnt_dscnt 0xb01
	v_mul_f64_e32 v[162:163], v[4:5], v[14:15]
	v_mul_f64_e32 v[14:15], v[6:7], v[14:15]
	v_add_f64_e32 v[156:157], 0, v[156:157]
	v_fmac_f64_e32 v[158:159], v[146:147], v[8:9]
	v_fma_f64 v[144:145], v[144:145], v[8:9], -v[10:11]
	v_add_f64_e32 v[146:147], 0, v[160:161]
	scratch_load_b128 v[8:11], off, off offset:368
	v_fmac_f64_e32 v[162:163], v[6:7], v[12:13]
	v_fma_f64 v[164:165], v[4:5], v[12:13], -v[14:15]
	ds_load_b128 v[4:7], v2 offset:912
	s_wait_loadcnt_dscnt 0xb01
	v_mul_f64_e32 v[160:161], v[152:153], v[18:19]
	v_mul_f64_e32 v[18:19], v[154:155], v[18:19]
	scratch_load_b128 v[12:15], off, off offset:384
	v_add_f64_e32 v[156:157], v[156:157], v[158:159]
	v_add_f64_e32 v[166:167], v[146:147], v[144:145]
	ds_load_b128 v[144:147], v2 offset:928
	s_wait_loadcnt_dscnt 0xb01
	v_mul_f64_e32 v[158:159], v[4:5], v[22:23]
	v_mul_f64_e32 v[22:23], v[6:7], v[22:23]
	v_fmac_f64_e32 v[160:161], v[154:155], v[16:17]
	v_fma_f64 v[152:153], v[152:153], v[16:17], -v[18:19]
	scratch_load_b128 v[16:19], off, off offset:400
	v_add_f64_e32 v[156:157], v[156:157], v[162:163]
	v_add_f64_e32 v[154:155], v[166:167], v[164:165]
	v_fmac_f64_e32 v[158:159], v[6:7], v[20:21]
	v_fma_f64 v[164:165], v[4:5], v[20:21], -v[22:23]
	ds_load_b128 v[4:7], v2 offset:944
	s_wait_loadcnt_dscnt 0xb01
	v_mul_f64_e32 v[162:163], v[144:145], v[114:115]
	v_mul_f64_e32 v[114:115], v[146:147], v[114:115]
	scratch_load_b128 v[20:23], off, off offset:416
	v_add_f64_e32 v[156:157], v[156:157], v[160:161]
	s_wait_loadcnt_dscnt 0xb00
	v_mul_f64_e32 v[160:161], v[4:5], v[118:119]
	v_add_f64_e32 v[166:167], v[154:155], v[152:153]
	v_mul_f64_e32 v[118:119], v[6:7], v[118:119]
	ds_load_b128 v[152:155], v2 offset:960
	v_fmac_f64_e32 v[162:163], v[146:147], v[112:113]
	v_fma_f64 v[144:145], v[144:145], v[112:113], -v[114:115]
	scratch_load_b128 v[112:115], off, off offset:432
	v_add_f64_e32 v[156:157], v[156:157], v[158:159]
	v_fmac_f64_e32 v[160:161], v[6:7], v[116:117]
	v_add_f64_e32 v[146:147], v[166:167], v[164:165]
	v_fma_f64 v[164:165], v[4:5], v[116:117], -v[118:119]
	ds_load_b128 v[4:7], v2 offset:976
	s_wait_loadcnt_dscnt 0xb01
	v_mul_f64_e32 v[158:159], v[152:153], v[122:123]
	v_mul_f64_e32 v[122:123], v[154:155], v[122:123]
	scratch_load_b128 v[116:119], off, off offset:448
	v_add_f64_e32 v[156:157], v[156:157], v[162:163]
	s_wait_loadcnt_dscnt 0xb00
	v_mul_f64_e32 v[162:163], v[4:5], v[126:127]
	v_add_f64_e32 v[166:167], v[146:147], v[144:145]
	v_mul_f64_e32 v[126:127], v[6:7], v[126:127]
	ds_load_b128 v[144:147], v2 offset:992
	v_fmac_f64_e32 v[158:159], v[154:155], v[120:121]
	v_fma_f64 v[152:153], v[152:153], v[120:121], -v[122:123]
	scratch_load_b128 v[120:123], off, off offset:464
	v_add_f64_e32 v[156:157], v[156:157], v[160:161]
	v_fmac_f64_e32 v[162:163], v[6:7], v[124:125]
	v_add_f64_e32 v[154:155], v[166:167], v[164:165]
	;; [unrolled: 18-line block ×3, first 2 shown]
	v_fma_f64 v[164:165], v[4:5], v[136:137], -v[138:139]
	ds_load_b128 v[4:7], v2 offset:1040
	s_wait_loadcnt_dscnt 0xa01
	v_mul_f64_e32 v[162:163], v[152:153], v[150:151]
	v_mul_f64_e32 v[150:151], v[154:155], v[150:151]
	scratch_load_b128 v[136:139], off, off offset:512
	v_add_f64_e32 v[156:157], v[156:157], v[160:161]
	v_add_f64_e32 v[166:167], v[146:147], v[144:145]
	s_wait_loadcnt_dscnt 0xa00
	v_mul_f64_e32 v[160:161], v[4:5], v[134:135]
	v_mul_f64_e32 v[134:135], v[6:7], v[134:135]
	v_fmac_f64_e32 v[162:163], v[154:155], v[148:149]
	v_fma_f64 v[152:153], v[152:153], v[148:149], -v[150:151]
	ds_load_b128 v[144:147], v2 offset:1056
	scratch_load_b128 v[148:151], off, off offset:528
	v_add_f64_e32 v[156:157], v[156:157], v[158:159]
	v_add_f64_e32 v[154:155], v[166:167], v[164:165]
	v_fmac_f64_e32 v[160:161], v[6:7], v[132:133]
	v_fma_f64 v[164:165], v[4:5], v[132:133], -v[134:135]
	ds_load_b128 v[4:7], v2 offset:1072
	s_wait_loadcnt_dscnt 0xa01
	v_mul_f64_e32 v[158:159], v[144:145], v[10:11]
	v_mul_f64_e32 v[10:11], v[146:147], v[10:11]
	scratch_load_b128 v[132:135], off, off offset:544
	v_add_f64_e32 v[156:157], v[156:157], v[162:163]
	s_wait_loadcnt_dscnt 0xa00
	v_mul_f64_e32 v[162:163], v[4:5], v[14:15]
	v_add_f64_e32 v[166:167], v[154:155], v[152:153]
	v_mul_f64_e32 v[14:15], v[6:7], v[14:15]
	ds_load_b128 v[152:155], v2 offset:1088
	v_fmac_f64_e32 v[158:159], v[146:147], v[8:9]
	v_fma_f64 v[144:145], v[144:145], v[8:9], -v[10:11]
	scratch_load_b128 v[8:11], off, off offset:560
	v_add_f64_e32 v[156:157], v[156:157], v[160:161]
	v_fmac_f64_e32 v[162:163], v[6:7], v[12:13]
	v_add_f64_e32 v[146:147], v[166:167], v[164:165]
	v_fma_f64 v[164:165], v[4:5], v[12:13], -v[14:15]
	ds_load_b128 v[4:7], v2 offset:1104
	s_wait_loadcnt_dscnt 0xa01
	v_mul_f64_e32 v[160:161], v[152:153], v[18:19]
	v_mul_f64_e32 v[18:19], v[154:155], v[18:19]
	scratch_load_b128 v[12:15], off, off offset:576
	v_add_f64_e32 v[156:157], v[156:157], v[158:159]
	s_wait_loadcnt_dscnt 0xa00
	v_mul_f64_e32 v[158:159], v[4:5], v[22:23]
	v_add_f64_e32 v[166:167], v[146:147], v[144:145]
	v_mul_f64_e32 v[22:23], v[6:7], v[22:23]
	ds_load_b128 v[144:147], v2 offset:1120
	v_fmac_f64_e32 v[160:161], v[154:155], v[16:17]
	v_fma_f64 v[152:153], v[152:153], v[16:17], -v[18:19]
	scratch_load_b128 v[16:19], off, off offset:592
	v_add_f64_e32 v[156:157], v[156:157], v[162:163]
	v_fmac_f64_e32 v[158:159], v[6:7], v[20:21]
	v_add_f64_e32 v[154:155], v[166:167], v[164:165]
	;; [unrolled: 18-line block ×4, first 2 shown]
	v_fma_f64 v[164:165], v[4:5], v[124:125], -v[126:127]
	ds_load_b128 v[4:7], v2 offset:1200
	s_wait_loadcnt_dscnt 0xa01
	v_mul_f64_e32 v[160:161], v[144:145], v[130:131]
	v_mul_f64_e32 v[130:131], v[146:147], v[130:131]
	scratch_load_b128 v[124:127], off, off offset:672
	v_add_f64_e32 v[156:157], v[156:157], v[158:159]
	s_wait_loadcnt_dscnt 0xa00
	v_mul_f64_e32 v[158:159], v[4:5], v[138:139]
	v_add_f64_e32 v[166:167], v[154:155], v[152:153]
	v_mul_f64_e32 v[138:139], v[6:7], v[138:139]
	ds_load_b128 v[152:155], v2 offset:1216
	v_fmac_f64_e32 v[160:161], v[146:147], v[128:129]
	v_fma_f64 v[128:129], v[144:145], v[128:129], -v[130:131]
	s_wait_loadcnt_dscnt 0x900
	v_mul_f64_e32 v[146:147], v[152:153], v[150:151]
	v_mul_f64_e32 v[150:151], v[154:155], v[150:151]
	v_add_f64_e32 v[144:145], v[156:157], v[162:163]
	v_fmac_f64_e32 v[158:159], v[6:7], v[136:137]
	v_add_f64_e32 v[130:131], v[166:167], v[164:165]
	v_fma_f64 v[136:137], v[4:5], v[136:137], -v[138:139]
	v_fmac_f64_e32 v[146:147], v[154:155], v[148:149]
	v_fma_f64 v[148:149], v[152:153], v[148:149], -v[150:151]
	v_add_f64_e32 v[144:145], v[144:145], v[160:161]
	v_add_f64_e32 v[138:139], v[130:131], v[128:129]
	ds_load_b128 v[4:7], v2 offset:1232
	ds_load_b128 v[128:131], v2 offset:1248
	s_wait_loadcnt_dscnt 0x801
	v_mul_f64_e32 v[156:157], v[4:5], v[134:135]
	v_mul_f64_e32 v[134:135], v[6:7], v[134:135]
	v_add_f64_e32 v[136:137], v[138:139], v[136:137]
	v_add_f64_e32 v[138:139], v[144:145], v[158:159]
	s_wait_loadcnt_dscnt 0x700
	v_mul_f64_e32 v[144:145], v[128:129], v[10:11]
	v_mul_f64_e32 v[10:11], v[130:131], v[10:11]
	v_fmac_f64_e32 v[156:157], v[6:7], v[132:133]
	v_fma_f64 v[150:151], v[4:5], v[132:133], -v[134:135]
	ds_load_b128 v[4:7], v2 offset:1264
	ds_load_b128 v[132:135], v2 offset:1280
	v_add_f64_e32 v[136:137], v[136:137], v[148:149]
	v_add_f64_e32 v[138:139], v[138:139], v[146:147]
	v_fmac_f64_e32 v[144:145], v[130:131], v[8:9]
	v_fma_f64 v[8:9], v[128:129], v[8:9], -v[10:11]
	s_wait_loadcnt_dscnt 0x601
	v_mul_f64_e32 v[146:147], v[4:5], v[14:15]
	v_mul_f64_e32 v[14:15], v[6:7], v[14:15]
	s_wait_loadcnt_dscnt 0x500
	v_mul_f64_e32 v[130:131], v[132:133], v[18:19]
	v_mul_f64_e32 v[18:19], v[134:135], v[18:19]
	v_add_f64_e32 v[10:11], v[136:137], v[150:151]
	v_add_f64_e32 v[128:129], v[138:139], v[156:157]
	v_fmac_f64_e32 v[146:147], v[6:7], v[12:13]
	v_fma_f64 v[12:13], v[4:5], v[12:13], -v[14:15]
	v_fmac_f64_e32 v[130:131], v[134:135], v[16:17]
	v_fma_f64 v[16:17], v[132:133], v[16:17], -v[18:19]
	v_add_f64_e32 v[14:15], v[10:11], v[8:9]
	v_add_f64_e32 v[128:129], v[128:129], v[144:145]
	ds_load_b128 v[4:7], v2 offset:1296
	ds_load_b128 v[8:11], v2 offset:1312
	s_wait_loadcnt_dscnt 0x401
	v_mul_f64_e32 v[136:137], v[4:5], v[22:23]
	v_mul_f64_e32 v[22:23], v[6:7], v[22:23]
	s_wait_loadcnt_dscnt 0x300
	v_mul_f64_e32 v[18:19], v[8:9], v[114:115]
	v_mul_f64_e32 v[114:115], v[10:11], v[114:115]
	v_add_f64_e32 v[12:13], v[14:15], v[12:13]
	v_add_f64_e32 v[14:15], v[128:129], v[146:147]
	v_fmac_f64_e32 v[136:137], v[6:7], v[20:21]
	v_fma_f64 v[20:21], v[4:5], v[20:21], -v[22:23]
	v_fmac_f64_e32 v[18:19], v[10:11], v[112:113]
	v_fma_f64 v[8:9], v[8:9], v[112:113], -v[114:115]
	v_add_f64_e32 v[16:17], v[12:13], v[16:17]
	v_add_f64_e32 v[22:23], v[14:15], v[130:131]
	ds_load_b128 v[4:7], v2 offset:1328
	ds_load_b128 v[12:15], v2 offset:1344
	s_wait_loadcnt_dscnt 0x201
	v_mul_f64_e32 v[128:129], v[4:5], v[118:119]
	v_mul_f64_e32 v[118:119], v[6:7], v[118:119]
	v_add_f64_e32 v[10:11], v[16:17], v[20:21]
	v_add_f64_e32 v[16:17], v[22:23], v[136:137]
	s_wait_loadcnt_dscnt 0x100
	v_mul_f64_e32 v[20:21], v[12:13], v[122:123]
	v_mul_f64_e32 v[22:23], v[14:15], v[122:123]
	v_fmac_f64_e32 v[128:129], v[6:7], v[116:117]
	v_fma_f64 v[112:113], v[4:5], v[116:117], -v[118:119]
	ds_load_b128 v[4:7], v2 offset:1360
	v_add_f64_e32 v[8:9], v[10:11], v[8:9]
	v_add_f64_e32 v[10:11], v[16:17], v[18:19]
	v_fmac_f64_e32 v[20:21], v[14:15], v[120:121]
	v_fma_f64 v[12:13], v[12:13], v[120:121], -v[22:23]
	s_wait_loadcnt_dscnt 0x0
	v_mul_f64_e32 v[16:17], v[4:5], v[126:127]
	v_mul_f64_e32 v[18:19], v[6:7], v[126:127]
	v_add_f64_e32 v[8:9], v[8:9], v[112:113]
	v_add_f64_e32 v[10:11], v[10:11], v[128:129]
	s_delay_alu instid0(VALU_DEP_4) | instskip(NEXT) | instid1(VALU_DEP_4)
	v_fmac_f64_e32 v[16:17], v[6:7], v[124:125]
	v_fma_f64 v[4:5], v[4:5], v[124:125], -v[18:19]
	s_delay_alu instid0(VALU_DEP_4) | instskip(NEXT) | instid1(VALU_DEP_4)
	v_add_f64_e32 v[6:7], v[8:9], v[12:13]
	v_add_f64_e32 v[8:9], v[10:11], v[20:21]
	s_delay_alu instid0(VALU_DEP_2) | instskip(NEXT) | instid1(VALU_DEP_2)
	v_add_f64_e32 v[4:5], v[6:7], v[4:5]
	v_add_f64_e32 v[6:7], v[8:9], v[16:17]
	s_delay_alu instid0(VALU_DEP_2) | instskip(NEXT) | instid1(VALU_DEP_2)
	v_add_f64_e64 v[4:5], v[140:141], -v[4:5]
	v_add_f64_e64 v[6:7], v[142:143], -v[6:7]
	scratch_store_b128 off, v[4:7], off offset:144
	s_wait_xcnt 0x0
	v_cmpx_lt_u32_e32 8, v1
	s_cbranch_execz .LBB42_255
; %bb.254:
	scratch_load_b128 v[6:9], off, s44
	v_dual_mov_b32 v3, v2 :: v_dual_mov_b32 v4, v2
	v_mov_b32_e32 v5, v2
	scratch_store_b128 off, v[2:5], off offset:128
	s_wait_loadcnt 0x0
	ds_store_b128 v110, v[6:9]
.LBB42_255:
	s_wait_xcnt 0x0
	s_or_b32 exec_lo, exec_lo, s2
	s_wait_storecnt_dscnt 0x0
	s_barrier_signal -1
	s_barrier_wait -1
	s_clause 0x9
	scratch_load_b128 v[4:7], off, off offset:144
	scratch_load_b128 v[8:11], off, off offset:160
	scratch_load_b128 v[12:15], off, off offset:176
	scratch_load_b128 v[16:19], off, off offset:192
	scratch_load_b128 v[20:23], off, off offset:208
	scratch_load_b128 v[112:115], off, off offset:224
	scratch_load_b128 v[116:119], off, off offset:240
	scratch_load_b128 v[120:123], off, off offset:256
	scratch_load_b128 v[124:127], off, off offset:272
	scratch_load_b128 v[128:131], off, off offset:288
	ds_load_b128 v[132:135], v2 offset:832
	ds_load_b128 v[140:143], v2 offset:848
	s_clause 0x2
	scratch_load_b128 v[136:139], off, off offset:304
	scratch_load_b128 v[144:147], off, off offset:128
	;; [unrolled: 1-line block ×3, first 2 shown]
	s_mov_b32 s2, exec_lo
	s_wait_loadcnt_dscnt 0xc01
	v_mul_f64_e32 v[152:153], v[134:135], v[6:7]
	v_mul_f64_e32 v[156:157], v[132:133], v[6:7]
	s_wait_loadcnt_dscnt 0xb00
	v_mul_f64_e32 v[158:159], v[140:141], v[10:11]
	v_mul_f64_e32 v[10:11], v[142:143], v[10:11]
	s_delay_alu instid0(VALU_DEP_4) | instskip(NEXT) | instid1(VALU_DEP_4)
	v_fma_f64 v[160:161], v[132:133], v[4:5], -v[152:153]
	v_fmac_f64_e32 v[156:157], v[134:135], v[4:5]
	ds_load_b128 v[4:7], v2 offset:864
	ds_load_b128 v[132:135], v2 offset:880
	scratch_load_b128 v[152:155], off, off offset:336
	v_fmac_f64_e32 v[158:159], v[142:143], v[8:9]
	v_fma_f64 v[140:141], v[140:141], v[8:9], -v[10:11]
	scratch_load_b128 v[8:11], off, off offset:352
	s_wait_loadcnt_dscnt 0xc01
	v_mul_f64_e32 v[162:163], v[4:5], v[14:15]
	v_mul_f64_e32 v[14:15], v[6:7], v[14:15]
	v_add_f64_e32 v[142:143], 0, v[160:161]
	v_add_f64_e32 v[156:157], 0, v[156:157]
	s_wait_loadcnt_dscnt 0xb00
	v_mul_f64_e32 v[160:161], v[132:133], v[18:19]
	v_mul_f64_e32 v[18:19], v[134:135], v[18:19]
	v_fmac_f64_e32 v[162:163], v[6:7], v[12:13]
	v_fma_f64 v[164:165], v[4:5], v[12:13], -v[14:15]
	ds_load_b128 v[4:7], v2 offset:896
	ds_load_b128 v[12:15], v2 offset:912
	v_add_f64_e32 v[166:167], v[142:143], v[140:141]
	v_add_f64_e32 v[156:157], v[156:157], v[158:159]
	scratch_load_b128 v[140:143], off, off offset:368
	v_fmac_f64_e32 v[160:161], v[134:135], v[16:17]
	v_fma_f64 v[132:133], v[132:133], v[16:17], -v[18:19]
	scratch_load_b128 v[16:19], off, off offset:384
	s_wait_loadcnt_dscnt 0xc01
	v_mul_f64_e32 v[158:159], v[4:5], v[22:23]
	v_mul_f64_e32 v[22:23], v[6:7], v[22:23]
	v_add_f64_e32 v[134:135], v[166:167], v[164:165]
	v_add_f64_e32 v[156:157], v[156:157], v[162:163]
	s_wait_loadcnt_dscnt 0xb00
	v_mul_f64_e32 v[162:163], v[12:13], v[114:115]
	v_mul_f64_e32 v[114:115], v[14:15], v[114:115]
	v_fmac_f64_e32 v[158:159], v[6:7], v[20:21]
	v_fma_f64 v[164:165], v[4:5], v[20:21], -v[22:23]
	ds_load_b128 v[4:7], v2 offset:928
	ds_load_b128 v[20:23], v2 offset:944
	v_add_f64_e32 v[166:167], v[134:135], v[132:133]
	v_add_f64_e32 v[156:157], v[156:157], v[160:161]
	scratch_load_b128 v[132:135], off, off offset:400
	s_wait_loadcnt_dscnt 0xb01
	v_mul_f64_e32 v[160:161], v[4:5], v[118:119]
	v_mul_f64_e32 v[118:119], v[6:7], v[118:119]
	v_fmac_f64_e32 v[162:163], v[14:15], v[112:113]
	v_fma_f64 v[112:113], v[12:13], v[112:113], -v[114:115]
	scratch_load_b128 v[12:15], off, off offset:416
	v_add_f64_e32 v[114:115], v[166:167], v[164:165]
	v_add_f64_e32 v[156:157], v[156:157], v[158:159]
	s_wait_loadcnt_dscnt 0xb00
	v_mul_f64_e32 v[158:159], v[20:21], v[122:123]
	v_mul_f64_e32 v[122:123], v[22:23], v[122:123]
	v_fmac_f64_e32 v[160:161], v[6:7], v[116:117]
	v_fma_f64 v[164:165], v[4:5], v[116:117], -v[118:119]
	v_add_f64_e32 v[166:167], v[114:115], v[112:113]
	v_add_f64_e32 v[156:157], v[156:157], v[162:163]
	ds_load_b128 v[4:7], v2 offset:960
	ds_load_b128 v[112:115], v2 offset:976
	scratch_load_b128 v[116:119], off, off offset:432
	v_fmac_f64_e32 v[158:159], v[22:23], v[120:121]
	v_fma_f64 v[120:121], v[20:21], v[120:121], -v[122:123]
	scratch_load_b128 v[20:23], off, off offset:448
	s_wait_loadcnt_dscnt 0xc01
	v_mul_f64_e32 v[162:163], v[4:5], v[126:127]
	v_mul_f64_e32 v[126:127], v[6:7], v[126:127]
	v_add_f64_e32 v[122:123], v[166:167], v[164:165]
	v_add_f64_e32 v[156:157], v[156:157], v[160:161]
	s_wait_loadcnt_dscnt 0xb00
	v_mul_f64_e32 v[160:161], v[112:113], v[130:131]
	v_mul_f64_e32 v[130:131], v[114:115], v[130:131]
	v_fmac_f64_e32 v[162:163], v[6:7], v[124:125]
	v_fma_f64 v[164:165], v[4:5], v[124:125], -v[126:127]
	v_add_f64_e32 v[166:167], v[122:123], v[120:121]
	v_add_f64_e32 v[156:157], v[156:157], v[158:159]
	ds_load_b128 v[4:7], v2 offset:992
	ds_load_b128 v[120:123], v2 offset:1008
	scratch_load_b128 v[124:127], off, off offset:464
	v_fmac_f64_e32 v[160:161], v[114:115], v[128:129]
	v_fma_f64 v[128:129], v[112:113], v[128:129], -v[130:131]
	scratch_load_b128 v[112:115], off, off offset:480
	s_wait_loadcnt_dscnt 0xc01
	v_mul_f64_e32 v[158:159], v[4:5], v[138:139]
	v_mul_f64_e32 v[138:139], v[6:7], v[138:139]
	;; [unrolled: 18-line block ×5, first 2 shown]
	v_add_f64_e32 v[150:151], v[166:167], v[164:165]
	v_add_f64_e32 v[156:157], v[156:157], v[162:163]
	s_wait_loadcnt_dscnt 0xa00
	v_mul_f64_e32 v[162:163], v[128:129], v[14:15]
	v_mul_f64_e32 v[14:15], v[130:131], v[14:15]
	v_fmac_f64_e32 v[158:159], v[6:7], v[132:133]
	v_fma_f64 v[164:165], v[4:5], v[132:133], -v[134:135]
	ds_load_b128 v[4:7], v2 offset:1120
	ds_load_b128 v[132:135], v2 offset:1136
	v_add_f64_e32 v[166:167], v[150:151], v[148:149]
	v_add_f64_e32 v[156:157], v[156:157], v[160:161]
	scratch_load_b128 v[148:151], off, off offset:592
	v_fmac_f64_e32 v[162:163], v[130:131], v[12:13]
	v_fma_f64 v[128:129], v[128:129], v[12:13], -v[14:15]
	scratch_load_b128 v[12:15], off, off offset:608
	s_wait_loadcnt_dscnt 0xb01
	v_mul_f64_e32 v[160:161], v[4:5], v[118:119]
	v_mul_f64_e32 v[118:119], v[6:7], v[118:119]
	v_add_f64_e32 v[130:131], v[166:167], v[164:165]
	v_add_f64_e32 v[156:157], v[156:157], v[158:159]
	s_wait_loadcnt_dscnt 0xa00
	v_mul_f64_e32 v[158:159], v[132:133], v[22:23]
	v_mul_f64_e32 v[22:23], v[134:135], v[22:23]
	v_fmac_f64_e32 v[160:161], v[6:7], v[116:117]
	v_fma_f64 v[164:165], v[4:5], v[116:117], -v[118:119]
	ds_load_b128 v[4:7], v2 offset:1152
	ds_load_b128 v[116:119], v2 offset:1168
	v_add_f64_e32 v[166:167], v[130:131], v[128:129]
	v_add_f64_e32 v[156:157], v[156:157], v[162:163]
	scratch_load_b128 v[128:131], off, off offset:624
	s_wait_loadcnt_dscnt 0xa01
	v_mul_f64_e32 v[162:163], v[4:5], v[126:127]
	v_mul_f64_e32 v[126:127], v[6:7], v[126:127]
	v_fmac_f64_e32 v[158:159], v[134:135], v[20:21]
	v_fma_f64 v[132:133], v[132:133], v[20:21], -v[22:23]
	scratch_load_b128 v[20:23], off, off offset:640
	v_add_f64_e32 v[134:135], v[166:167], v[164:165]
	v_add_f64_e32 v[156:157], v[156:157], v[160:161]
	s_wait_loadcnt_dscnt 0xa00
	v_mul_f64_e32 v[160:161], v[116:117], v[114:115]
	v_mul_f64_e32 v[114:115], v[118:119], v[114:115]
	v_fmac_f64_e32 v[162:163], v[6:7], v[124:125]
	v_fma_f64 v[164:165], v[4:5], v[124:125], -v[126:127]
	ds_load_b128 v[4:7], v2 offset:1184
	ds_load_b128 v[124:127], v2 offset:1200
	v_add_f64_e32 v[166:167], v[134:135], v[132:133]
	v_add_f64_e32 v[156:157], v[156:157], v[158:159]
	scratch_load_b128 v[132:135], off, off offset:656
	s_wait_loadcnt_dscnt 0xa01
	v_mul_f64_e32 v[158:159], v[4:5], v[138:139]
	v_mul_f64_e32 v[138:139], v[6:7], v[138:139]
	v_fmac_f64_e32 v[160:161], v[118:119], v[112:113]
	v_fma_f64 v[116:117], v[116:117], v[112:113], -v[114:115]
	scratch_load_b128 v[112:115], off, off offset:672
	v_add_f64_e32 v[118:119], v[166:167], v[164:165]
	v_add_f64_e32 v[156:157], v[156:157], v[162:163]
	s_wait_loadcnt_dscnt 0xa00
	v_mul_f64_e32 v[162:163], v[124:125], v[122:123]
	v_mul_f64_e32 v[122:123], v[126:127], v[122:123]
	v_fmac_f64_e32 v[158:159], v[6:7], v[136:137]
	v_fma_f64 v[136:137], v[4:5], v[136:137], -v[138:139]
	v_add_f64_e32 v[138:139], v[118:119], v[116:117]
	v_add_f64_e32 v[156:157], v[156:157], v[160:161]
	ds_load_b128 v[4:7], v2 offset:1216
	ds_load_b128 v[116:119], v2 offset:1232
	v_fmac_f64_e32 v[162:163], v[126:127], v[120:121]
	v_fma_f64 v[120:121], v[124:125], v[120:121], -v[122:123]
	s_wait_loadcnt_dscnt 0x901
	v_mul_f64_e32 v[160:161], v[4:5], v[154:155]
	v_mul_f64_e32 v[154:155], v[6:7], v[154:155]
	s_wait_loadcnt_dscnt 0x800
	v_mul_f64_e32 v[126:127], v[116:117], v[10:11]
	v_mul_f64_e32 v[10:11], v[118:119], v[10:11]
	v_add_f64_e32 v[122:123], v[138:139], v[136:137]
	v_add_f64_e32 v[124:125], v[156:157], v[158:159]
	v_fmac_f64_e32 v[160:161], v[6:7], v[152:153]
	v_fma_f64 v[136:137], v[4:5], v[152:153], -v[154:155]
	v_fmac_f64_e32 v[126:127], v[118:119], v[8:9]
	v_fma_f64 v[8:9], v[116:117], v[8:9], -v[10:11]
	v_add_f64_e32 v[138:139], v[122:123], v[120:121]
	v_add_f64_e32 v[124:125], v[124:125], v[162:163]
	ds_load_b128 v[4:7], v2 offset:1248
	ds_load_b128 v[120:123], v2 offset:1264
	s_wait_loadcnt_dscnt 0x701
	v_mul_f64_e32 v[152:153], v[4:5], v[142:143]
	v_mul_f64_e32 v[142:143], v[6:7], v[142:143]
	s_wait_loadcnt_dscnt 0x600
	v_mul_f64_e32 v[118:119], v[120:121], v[18:19]
	v_mul_f64_e32 v[18:19], v[122:123], v[18:19]
	v_add_f64_e32 v[10:11], v[138:139], v[136:137]
	v_add_f64_e32 v[116:117], v[124:125], v[160:161]
	v_fmac_f64_e32 v[152:153], v[6:7], v[140:141]
	v_fma_f64 v[124:125], v[4:5], v[140:141], -v[142:143]
	v_fmac_f64_e32 v[118:119], v[122:123], v[16:17]
	v_fma_f64 v[16:17], v[120:121], v[16:17], -v[18:19]
	v_add_f64_e32 v[136:137], v[10:11], v[8:9]
	v_add_f64_e32 v[116:117], v[116:117], v[126:127]
	ds_load_b128 v[4:7], v2 offset:1280
	ds_load_b128 v[8:11], v2 offset:1296
	;; [unrolled: 16-line block ×3, first 2 shown]
	s_wait_loadcnt_dscnt 0x301
	v_mul_f64_e32 v[118:119], v[4:5], v[130:131]
	v_mul_f64_e32 v[130:131], v[6:7], v[130:131]
	v_add_f64_e32 v[10:11], v[18:19], v[124:125]
	v_add_f64_e32 v[12:13], v[116:117], v[126:127]
	s_wait_loadcnt_dscnt 0x200
	v_mul_f64_e32 v[18:19], v[14:15], v[22:23]
	v_mul_f64_e32 v[22:23], v[16:17], v[22:23]
	v_fmac_f64_e32 v[118:119], v[6:7], v[128:129]
	v_fma_f64 v[116:117], v[4:5], v[128:129], -v[130:131]
	v_add_f64_e32 v[122:123], v[10:11], v[8:9]
	v_add_f64_e32 v[12:13], v[12:13], v[120:121]
	ds_load_b128 v[4:7], v2 offset:1344
	ds_load_b128 v[8:11], v2 offset:1360
	v_fmac_f64_e32 v[18:19], v[16:17], v[20:21]
	v_fma_f64 v[14:15], v[14:15], v[20:21], -v[22:23]
	s_wait_loadcnt_dscnt 0x101
	v_mul_f64_e32 v[2:3], v[4:5], v[134:135]
	v_mul_f64_e32 v[120:121], v[6:7], v[134:135]
	s_wait_loadcnt_dscnt 0x0
	v_mul_f64_e32 v[20:21], v[8:9], v[114:115]
	v_mul_f64_e32 v[22:23], v[10:11], v[114:115]
	v_add_f64_e32 v[16:17], v[122:123], v[116:117]
	v_add_f64_e32 v[12:13], v[12:13], v[118:119]
	v_fmac_f64_e32 v[2:3], v[6:7], v[132:133]
	v_fma_f64 v[4:5], v[4:5], v[132:133], -v[120:121]
	v_fmac_f64_e32 v[20:21], v[10:11], v[112:113]
	v_fma_f64 v[8:9], v[8:9], v[112:113], -v[22:23]
	v_add_f64_e32 v[6:7], v[16:17], v[14:15]
	v_add_f64_e32 v[12:13], v[12:13], v[18:19]
	s_delay_alu instid0(VALU_DEP_2) | instskip(NEXT) | instid1(VALU_DEP_2)
	v_add_f64_e32 v[4:5], v[6:7], v[4:5]
	v_add_f64_e32 v[2:3], v[12:13], v[2:3]
	s_delay_alu instid0(VALU_DEP_2) | instskip(NEXT) | instid1(VALU_DEP_2)
	;; [unrolled: 3-line block ×3, first 2 shown]
	v_add_f64_e64 v[2:3], v[144:145], -v[4:5]
	v_add_f64_e64 v[4:5], v[146:147], -v[6:7]
	scratch_store_b128 off, v[2:5], off offset:128
	s_wait_xcnt 0x0
	v_cmpx_lt_u32_e32 7, v1
	s_cbranch_execz .LBB42_257
; %bb.256:
	scratch_load_b128 v[2:5], off, s51
	v_mov_b32_e32 v6, 0
	s_delay_alu instid0(VALU_DEP_1)
	v_dual_mov_b32 v7, v6 :: v_dual_mov_b32 v8, v6
	v_mov_b32_e32 v9, v6
	scratch_store_b128 off, v[6:9], off offset:112
	s_wait_loadcnt 0x0
	ds_store_b128 v110, v[2:5]
.LBB42_257:
	s_wait_xcnt 0x0
	s_or_b32 exec_lo, exec_lo, s2
	s_wait_storecnt_dscnt 0x0
	s_barrier_signal -1
	s_barrier_wait -1
	s_clause 0x9
	scratch_load_b128 v[4:7], off, off offset:128
	scratch_load_b128 v[8:11], off, off offset:144
	;; [unrolled: 1-line block ×10, first 2 shown]
	v_mov_b32_e32 v2, 0
	s_mov_b32 s2, exec_lo
	ds_load_b128 v[132:135], v2 offset:816
	s_clause 0x2
	scratch_load_b128 v[136:139], off, off offset:288
	scratch_load_b128 v[140:143], off, off offset:112
	;; [unrolled: 1-line block ×3, first 2 shown]
	s_wait_loadcnt_dscnt 0xc00
	v_mul_f64_e32 v[152:153], v[134:135], v[6:7]
	v_mul_f64_e32 v[156:157], v[132:133], v[6:7]
	ds_load_b128 v[144:147], v2 offset:832
	v_fma_f64 v[160:161], v[132:133], v[4:5], -v[152:153]
	v_fmac_f64_e32 v[156:157], v[134:135], v[4:5]
	ds_load_b128 v[4:7], v2 offset:848
	s_wait_loadcnt_dscnt 0xb01
	v_mul_f64_e32 v[158:159], v[144:145], v[10:11]
	v_mul_f64_e32 v[10:11], v[146:147], v[10:11]
	scratch_load_b128 v[132:135], off, off offset:320
	ds_load_b128 v[152:155], v2 offset:864
	s_wait_loadcnt_dscnt 0xb01
	v_mul_f64_e32 v[162:163], v[4:5], v[14:15]
	v_mul_f64_e32 v[14:15], v[6:7], v[14:15]
	v_add_f64_e32 v[156:157], 0, v[156:157]
	v_fmac_f64_e32 v[158:159], v[146:147], v[8:9]
	v_fma_f64 v[144:145], v[144:145], v[8:9], -v[10:11]
	v_add_f64_e32 v[146:147], 0, v[160:161]
	scratch_load_b128 v[8:11], off, off offset:336
	v_fmac_f64_e32 v[162:163], v[6:7], v[12:13]
	v_fma_f64 v[164:165], v[4:5], v[12:13], -v[14:15]
	ds_load_b128 v[4:7], v2 offset:880
	s_wait_loadcnt_dscnt 0xb01
	v_mul_f64_e32 v[160:161], v[152:153], v[18:19]
	v_mul_f64_e32 v[18:19], v[154:155], v[18:19]
	scratch_load_b128 v[12:15], off, off offset:352
	v_add_f64_e32 v[156:157], v[156:157], v[158:159]
	v_add_f64_e32 v[166:167], v[146:147], v[144:145]
	ds_load_b128 v[144:147], v2 offset:896
	s_wait_loadcnt_dscnt 0xb01
	v_mul_f64_e32 v[158:159], v[4:5], v[22:23]
	v_mul_f64_e32 v[22:23], v[6:7], v[22:23]
	v_fmac_f64_e32 v[160:161], v[154:155], v[16:17]
	v_fma_f64 v[152:153], v[152:153], v[16:17], -v[18:19]
	scratch_load_b128 v[16:19], off, off offset:368
	v_add_f64_e32 v[156:157], v[156:157], v[162:163]
	v_add_f64_e32 v[154:155], v[166:167], v[164:165]
	v_fmac_f64_e32 v[158:159], v[6:7], v[20:21]
	v_fma_f64 v[164:165], v[4:5], v[20:21], -v[22:23]
	ds_load_b128 v[4:7], v2 offset:912
	s_wait_loadcnt_dscnt 0xb01
	v_mul_f64_e32 v[162:163], v[144:145], v[114:115]
	v_mul_f64_e32 v[114:115], v[146:147], v[114:115]
	scratch_load_b128 v[20:23], off, off offset:384
	v_add_f64_e32 v[156:157], v[156:157], v[160:161]
	s_wait_loadcnt_dscnt 0xb00
	v_mul_f64_e32 v[160:161], v[4:5], v[118:119]
	v_add_f64_e32 v[166:167], v[154:155], v[152:153]
	v_mul_f64_e32 v[118:119], v[6:7], v[118:119]
	ds_load_b128 v[152:155], v2 offset:928
	v_fmac_f64_e32 v[162:163], v[146:147], v[112:113]
	v_fma_f64 v[144:145], v[144:145], v[112:113], -v[114:115]
	scratch_load_b128 v[112:115], off, off offset:400
	v_add_f64_e32 v[156:157], v[156:157], v[158:159]
	v_fmac_f64_e32 v[160:161], v[6:7], v[116:117]
	v_add_f64_e32 v[146:147], v[166:167], v[164:165]
	v_fma_f64 v[164:165], v[4:5], v[116:117], -v[118:119]
	ds_load_b128 v[4:7], v2 offset:944
	s_wait_loadcnt_dscnt 0xb01
	v_mul_f64_e32 v[158:159], v[152:153], v[122:123]
	v_mul_f64_e32 v[122:123], v[154:155], v[122:123]
	scratch_load_b128 v[116:119], off, off offset:416
	v_add_f64_e32 v[156:157], v[156:157], v[162:163]
	s_wait_loadcnt_dscnt 0xb00
	v_mul_f64_e32 v[162:163], v[4:5], v[126:127]
	v_add_f64_e32 v[166:167], v[146:147], v[144:145]
	v_mul_f64_e32 v[126:127], v[6:7], v[126:127]
	ds_load_b128 v[144:147], v2 offset:960
	v_fmac_f64_e32 v[158:159], v[154:155], v[120:121]
	v_fma_f64 v[152:153], v[152:153], v[120:121], -v[122:123]
	scratch_load_b128 v[120:123], off, off offset:432
	v_add_f64_e32 v[156:157], v[156:157], v[160:161]
	v_fmac_f64_e32 v[162:163], v[6:7], v[124:125]
	v_add_f64_e32 v[154:155], v[166:167], v[164:165]
	;; [unrolled: 18-line block ×3, first 2 shown]
	v_fma_f64 v[164:165], v[4:5], v[136:137], -v[138:139]
	ds_load_b128 v[4:7], v2 offset:1008
	s_wait_loadcnt_dscnt 0xa01
	v_mul_f64_e32 v[162:163], v[152:153], v[150:151]
	v_mul_f64_e32 v[150:151], v[154:155], v[150:151]
	scratch_load_b128 v[136:139], off, off offset:480
	v_add_f64_e32 v[156:157], v[156:157], v[160:161]
	v_add_f64_e32 v[166:167], v[146:147], v[144:145]
	s_wait_loadcnt_dscnt 0xa00
	v_mul_f64_e32 v[160:161], v[4:5], v[134:135]
	v_mul_f64_e32 v[134:135], v[6:7], v[134:135]
	v_fmac_f64_e32 v[162:163], v[154:155], v[148:149]
	v_fma_f64 v[152:153], v[152:153], v[148:149], -v[150:151]
	ds_load_b128 v[144:147], v2 offset:1024
	scratch_load_b128 v[148:151], off, off offset:496
	v_add_f64_e32 v[156:157], v[156:157], v[158:159]
	v_add_f64_e32 v[154:155], v[166:167], v[164:165]
	v_fmac_f64_e32 v[160:161], v[6:7], v[132:133]
	v_fma_f64 v[164:165], v[4:5], v[132:133], -v[134:135]
	ds_load_b128 v[4:7], v2 offset:1040
	s_wait_loadcnt_dscnt 0xa01
	v_mul_f64_e32 v[158:159], v[144:145], v[10:11]
	v_mul_f64_e32 v[10:11], v[146:147], v[10:11]
	scratch_load_b128 v[132:135], off, off offset:512
	v_add_f64_e32 v[156:157], v[156:157], v[162:163]
	s_wait_loadcnt_dscnt 0xa00
	v_mul_f64_e32 v[162:163], v[4:5], v[14:15]
	v_add_f64_e32 v[166:167], v[154:155], v[152:153]
	v_mul_f64_e32 v[14:15], v[6:7], v[14:15]
	ds_load_b128 v[152:155], v2 offset:1056
	v_fmac_f64_e32 v[158:159], v[146:147], v[8:9]
	v_fma_f64 v[144:145], v[144:145], v[8:9], -v[10:11]
	scratch_load_b128 v[8:11], off, off offset:528
	v_add_f64_e32 v[156:157], v[156:157], v[160:161]
	v_fmac_f64_e32 v[162:163], v[6:7], v[12:13]
	v_add_f64_e32 v[146:147], v[166:167], v[164:165]
	v_fma_f64 v[164:165], v[4:5], v[12:13], -v[14:15]
	ds_load_b128 v[4:7], v2 offset:1072
	s_wait_loadcnt_dscnt 0xa01
	v_mul_f64_e32 v[160:161], v[152:153], v[18:19]
	v_mul_f64_e32 v[18:19], v[154:155], v[18:19]
	scratch_load_b128 v[12:15], off, off offset:544
	v_add_f64_e32 v[156:157], v[156:157], v[158:159]
	s_wait_loadcnt_dscnt 0xa00
	v_mul_f64_e32 v[158:159], v[4:5], v[22:23]
	v_add_f64_e32 v[166:167], v[146:147], v[144:145]
	v_mul_f64_e32 v[22:23], v[6:7], v[22:23]
	ds_load_b128 v[144:147], v2 offset:1088
	v_fmac_f64_e32 v[160:161], v[154:155], v[16:17]
	v_fma_f64 v[152:153], v[152:153], v[16:17], -v[18:19]
	scratch_load_b128 v[16:19], off, off offset:560
	v_add_f64_e32 v[156:157], v[156:157], v[162:163]
	v_fmac_f64_e32 v[158:159], v[6:7], v[20:21]
	v_add_f64_e32 v[154:155], v[166:167], v[164:165]
	;; [unrolled: 18-line block ×5, first 2 shown]
	v_fma_f64 v[164:165], v[4:5], v[136:137], -v[138:139]
	ds_load_b128 v[4:7], v2 offset:1200
	s_wait_loadcnt_dscnt 0xa01
	v_mul_f64_e32 v[162:163], v[152:153], v[150:151]
	v_mul_f64_e32 v[150:151], v[154:155], v[150:151]
	scratch_load_b128 v[136:139], off, off offset:672
	v_add_f64_e32 v[156:157], v[156:157], v[160:161]
	s_wait_loadcnt_dscnt 0xa00
	v_mul_f64_e32 v[160:161], v[4:5], v[134:135]
	v_add_f64_e32 v[166:167], v[146:147], v[144:145]
	v_mul_f64_e32 v[134:135], v[6:7], v[134:135]
	ds_load_b128 v[144:147], v2 offset:1216
	v_fmac_f64_e32 v[162:163], v[154:155], v[148:149]
	v_fma_f64 v[148:149], v[152:153], v[148:149], -v[150:151]
	s_wait_loadcnt_dscnt 0x900
	v_mul_f64_e32 v[154:155], v[144:145], v[10:11]
	v_mul_f64_e32 v[10:11], v[146:147], v[10:11]
	v_add_f64_e32 v[152:153], v[156:157], v[158:159]
	v_fmac_f64_e32 v[160:161], v[6:7], v[132:133]
	v_add_f64_e32 v[150:151], v[166:167], v[164:165]
	v_fma_f64 v[156:157], v[4:5], v[132:133], -v[134:135]
	ds_load_b128 v[4:7], v2 offset:1232
	ds_load_b128 v[132:135], v2 offset:1248
	v_fmac_f64_e32 v[154:155], v[146:147], v[8:9]
	v_fma_f64 v[8:9], v[144:145], v[8:9], -v[10:11]
	v_add_f64_e32 v[148:149], v[150:151], v[148:149]
	v_add_f64_e32 v[150:151], v[152:153], v[162:163]
	s_wait_loadcnt_dscnt 0x801
	v_mul_f64_e32 v[152:153], v[4:5], v[14:15]
	v_mul_f64_e32 v[14:15], v[6:7], v[14:15]
	s_wait_loadcnt_dscnt 0x700
	v_mul_f64_e32 v[146:147], v[132:133], v[18:19]
	v_mul_f64_e32 v[18:19], v[134:135], v[18:19]
	v_add_f64_e32 v[10:11], v[148:149], v[156:157]
	v_add_f64_e32 v[144:145], v[150:151], v[160:161]
	v_fmac_f64_e32 v[152:153], v[6:7], v[12:13]
	v_fma_f64 v[12:13], v[4:5], v[12:13], -v[14:15]
	v_fmac_f64_e32 v[146:147], v[134:135], v[16:17]
	v_fma_f64 v[16:17], v[132:133], v[16:17], -v[18:19]
	v_add_f64_e32 v[14:15], v[10:11], v[8:9]
	v_add_f64_e32 v[144:145], v[144:145], v[154:155]
	ds_load_b128 v[4:7], v2 offset:1264
	ds_load_b128 v[8:11], v2 offset:1280
	s_wait_loadcnt_dscnt 0x601
	v_mul_f64_e32 v[148:149], v[4:5], v[22:23]
	v_mul_f64_e32 v[22:23], v[6:7], v[22:23]
	s_wait_loadcnt_dscnt 0x500
	v_mul_f64_e32 v[18:19], v[8:9], v[114:115]
	v_mul_f64_e32 v[114:115], v[10:11], v[114:115]
	v_add_f64_e32 v[12:13], v[14:15], v[12:13]
	v_add_f64_e32 v[14:15], v[144:145], v[152:153]
	v_fmac_f64_e32 v[148:149], v[6:7], v[20:21]
	v_fma_f64 v[20:21], v[4:5], v[20:21], -v[22:23]
	v_fmac_f64_e32 v[18:19], v[10:11], v[112:113]
	v_fma_f64 v[8:9], v[8:9], v[112:113], -v[114:115]
	v_add_f64_e32 v[16:17], v[12:13], v[16:17]
	v_add_f64_e32 v[22:23], v[14:15], v[146:147]
	ds_load_b128 v[4:7], v2 offset:1296
	ds_load_b128 v[12:15], v2 offset:1312
	s_wait_loadcnt_dscnt 0x401
	v_mul_f64_e32 v[132:133], v[4:5], v[118:119]
	v_mul_f64_e32 v[118:119], v[6:7], v[118:119]
	v_add_f64_e32 v[10:11], v[16:17], v[20:21]
	v_add_f64_e32 v[16:17], v[22:23], v[148:149]
	s_wait_loadcnt_dscnt 0x300
	v_mul_f64_e32 v[20:21], v[12:13], v[122:123]
	v_mul_f64_e32 v[22:23], v[14:15], v[122:123]
	v_fmac_f64_e32 v[132:133], v[6:7], v[116:117]
	v_fma_f64 v[112:113], v[4:5], v[116:117], -v[118:119]
	v_add_f64_e32 v[114:115], v[10:11], v[8:9]
	v_add_f64_e32 v[16:17], v[16:17], v[18:19]
	ds_load_b128 v[4:7], v2 offset:1328
	ds_load_b128 v[8:11], v2 offset:1344
	v_fmac_f64_e32 v[20:21], v[14:15], v[120:121]
	v_fma_f64 v[12:13], v[12:13], v[120:121], -v[22:23]
	s_wait_loadcnt_dscnt 0x201
	v_mul_f64_e32 v[18:19], v[4:5], v[126:127]
	v_mul_f64_e32 v[116:117], v[6:7], v[126:127]
	s_wait_loadcnt_dscnt 0x100
	v_mul_f64_e32 v[22:23], v[8:9], v[130:131]
	v_add_f64_e32 v[14:15], v[114:115], v[112:113]
	v_add_f64_e32 v[16:17], v[16:17], v[132:133]
	v_mul_f64_e32 v[112:113], v[10:11], v[130:131]
	v_fmac_f64_e32 v[18:19], v[6:7], v[124:125]
	v_fma_f64 v[114:115], v[4:5], v[124:125], -v[116:117]
	ds_load_b128 v[4:7], v2 offset:1360
	v_fmac_f64_e32 v[22:23], v[10:11], v[128:129]
	v_add_f64_e32 v[12:13], v[14:15], v[12:13]
	v_add_f64_e32 v[14:15], v[16:17], v[20:21]
	v_fma_f64 v[8:9], v[8:9], v[128:129], -v[112:113]
	s_wait_loadcnt_dscnt 0x0
	v_mul_f64_e32 v[16:17], v[4:5], v[138:139]
	v_mul_f64_e32 v[20:21], v[6:7], v[138:139]
	v_add_f64_e32 v[10:11], v[12:13], v[114:115]
	v_add_f64_e32 v[12:13], v[14:15], v[18:19]
	s_delay_alu instid0(VALU_DEP_4) | instskip(NEXT) | instid1(VALU_DEP_4)
	v_fmac_f64_e32 v[16:17], v[6:7], v[136:137]
	v_fma_f64 v[4:5], v[4:5], v[136:137], -v[20:21]
	s_delay_alu instid0(VALU_DEP_4) | instskip(NEXT) | instid1(VALU_DEP_4)
	v_add_f64_e32 v[6:7], v[10:11], v[8:9]
	v_add_f64_e32 v[8:9], v[12:13], v[22:23]
	s_delay_alu instid0(VALU_DEP_2) | instskip(NEXT) | instid1(VALU_DEP_2)
	v_add_f64_e32 v[4:5], v[6:7], v[4:5]
	v_add_f64_e32 v[6:7], v[8:9], v[16:17]
	s_delay_alu instid0(VALU_DEP_2) | instskip(NEXT) | instid1(VALU_DEP_2)
	v_add_f64_e64 v[4:5], v[140:141], -v[4:5]
	v_add_f64_e64 v[6:7], v[142:143], -v[6:7]
	scratch_store_b128 off, v[4:7], off offset:112
	s_wait_xcnt 0x0
	v_cmpx_lt_u32_e32 6, v1
	s_cbranch_execz .LBB42_259
; %bb.258:
	scratch_load_b128 v[6:9], off, s48
	v_dual_mov_b32 v3, v2 :: v_dual_mov_b32 v4, v2
	v_mov_b32_e32 v5, v2
	scratch_store_b128 off, v[2:5], off offset:96
	s_wait_loadcnt 0x0
	ds_store_b128 v110, v[6:9]
.LBB42_259:
	s_wait_xcnt 0x0
	s_or_b32 exec_lo, exec_lo, s2
	s_wait_storecnt_dscnt 0x0
	s_barrier_signal -1
	s_barrier_wait -1
	s_clause 0x9
	scratch_load_b128 v[4:7], off, off offset:112
	scratch_load_b128 v[8:11], off, off offset:128
	;; [unrolled: 1-line block ×10, first 2 shown]
	ds_load_b128 v[132:135], v2 offset:800
	ds_load_b128 v[140:143], v2 offset:816
	s_clause 0x2
	scratch_load_b128 v[136:139], off, off offset:272
	scratch_load_b128 v[144:147], off, off offset:96
	;; [unrolled: 1-line block ×3, first 2 shown]
	s_mov_b32 s2, exec_lo
	s_wait_loadcnt_dscnt 0xc01
	v_mul_f64_e32 v[152:153], v[134:135], v[6:7]
	v_mul_f64_e32 v[156:157], v[132:133], v[6:7]
	s_wait_loadcnt_dscnt 0xb00
	v_mul_f64_e32 v[158:159], v[140:141], v[10:11]
	v_mul_f64_e32 v[10:11], v[142:143], v[10:11]
	s_delay_alu instid0(VALU_DEP_4) | instskip(NEXT) | instid1(VALU_DEP_4)
	v_fma_f64 v[160:161], v[132:133], v[4:5], -v[152:153]
	v_fmac_f64_e32 v[156:157], v[134:135], v[4:5]
	ds_load_b128 v[4:7], v2 offset:832
	ds_load_b128 v[132:135], v2 offset:848
	scratch_load_b128 v[152:155], off, off offset:304
	v_fmac_f64_e32 v[158:159], v[142:143], v[8:9]
	v_fma_f64 v[140:141], v[140:141], v[8:9], -v[10:11]
	scratch_load_b128 v[8:11], off, off offset:320
	s_wait_loadcnt_dscnt 0xc01
	v_mul_f64_e32 v[162:163], v[4:5], v[14:15]
	v_mul_f64_e32 v[14:15], v[6:7], v[14:15]
	v_add_f64_e32 v[142:143], 0, v[160:161]
	v_add_f64_e32 v[156:157], 0, v[156:157]
	s_wait_loadcnt_dscnt 0xb00
	v_mul_f64_e32 v[160:161], v[132:133], v[18:19]
	v_mul_f64_e32 v[18:19], v[134:135], v[18:19]
	v_fmac_f64_e32 v[162:163], v[6:7], v[12:13]
	v_fma_f64 v[164:165], v[4:5], v[12:13], -v[14:15]
	ds_load_b128 v[4:7], v2 offset:864
	ds_load_b128 v[12:15], v2 offset:880
	v_add_f64_e32 v[166:167], v[142:143], v[140:141]
	v_add_f64_e32 v[156:157], v[156:157], v[158:159]
	scratch_load_b128 v[140:143], off, off offset:336
	v_fmac_f64_e32 v[160:161], v[134:135], v[16:17]
	v_fma_f64 v[132:133], v[132:133], v[16:17], -v[18:19]
	scratch_load_b128 v[16:19], off, off offset:352
	s_wait_loadcnt_dscnt 0xc01
	v_mul_f64_e32 v[158:159], v[4:5], v[22:23]
	v_mul_f64_e32 v[22:23], v[6:7], v[22:23]
	v_add_f64_e32 v[134:135], v[166:167], v[164:165]
	v_add_f64_e32 v[156:157], v[156:157], v[162:163]
	s_wait_loadcnt_dscnt 0xb00
	v_mul_f64_e32 v[162:163], v[12:13], v[114:115]
	v_mul_f64_e32 v[114:115], v[14:15], v[114:115]
	v_fmac_f64_e32 v[158:159], v[6:7], v[20:21]
	v_fma_f64 v[164:165], v[4:5], v[20:21], -v[22:23]
	ds_load_b128 v[4:7], v2 offset:896
	ds_load_b128 v[20:23], v2 offset:912
	v_add_f64_e32 v[166:167], v[134:135], v[132:133]
	v_add_f64_e32 v[156:157], v[156:157], v[160:161]
	scratch_load_b128 v[132:135], off, off offset:368
	s_wait_loadcnt_dscnt 0xb01
	v_mul_f64_e32 v[160:161], v[4:5], v[118:119]
	v_mul_f64_e32 v[118:119], v[6:7], v[118:119]
	v_fmac_f64_e32 v[162:163], v[14:15], v[112:113]
	v_fma_f64 v[112:113], v[12:13], v[112:113], -v[114:115]
	scratch_load_b128 v[12:15], off, off offset:384
	v_add_f64_e32 v[114:115], v[166:167], v[164:165]
	v_add_f64_e32 v[156:157], v[156:157], v[158:159]
	s_wait_loadcnt_dscnt 0xb00
	v_mul_f64_e32 v[158:159], v[20:21], v[122:123]
	v_mul_f64_e32 v[122:123], v[22:23], v[122:123]
	v_fmac_f64_e32 v[160:161], v[6:7], v[116:117]
	v_fma_f64 v[164:165], v[4:5], v[116:117], -v[118:119]
	v_add_f64_e32 v[166:167], v[114:115], v[112:113]
	v_add_f64_e32 v[156:157], v[156:157], v[162:163]
	ds_load_b128 v[4:7], v2 offset:928
	ds_load_b128 v[112:115], v2 offset:944
	scratch_load_b128 v[116:119], off, off offset:400
	v_fmac_f64_e32 v[158:159], v[22:23], v[120:121]
	v_fma_f64 v[120:121], v[20:21], v[120:121], -v[122:123]
	scratch_load_b128 v[20:23], off, off offset:416
	s_wait_loadcnt_dscnt 0xc01
	v_mul_f64_e32 v[162:163], v[4:5], v[126:127]
	v_mul_f64_e32 v[126:127], v[6:7], v[126:127]
	v_add_f64_e32 v[122:123], v[166:167], v[164:165]
	v_add_f64_e32 v[156:157], v[156:157], v[160:161]
	s_wait_loadcnt_dscnt 0xb00
	v_mul_f64_e32 v[160:161], v[112:113], v[130:131]
	v_mul_f64_e32 v[130:131], v[114:115], v[130:131]
	v_fmac_f64_e32 v[162:163], v[6:7], v[124:125]
	v_fma_f64 v[164:165], v[4:5], v[124:125], -v[126:127]
	v_add_f64_e32 v[166:167], v[122:123], v[120:121]
	v_add_f64_e32 v[156:157], v[156:157], v[158:159]
	ds_load_b128 v[4:7], v2 offset:960
	ds_load_b128 v[120:123], v2 offset:976
	scratch_load_b128 v[124:127], off, off offset:432
	v_fmac_f64_e32 v[160:161], v[114:115], v[128:129]
	v_fma_f64 v[128:129], v[112:113], v[128:129], -v[130:131]
	scratch_load_b128 v[112:115], off, off offset:448
	s_wait_loadcnt_dscnt 0xc01
	v_mul_f64_e32 v[158:159], v[4:5], v[138:139]
	v_mul_f64_e32 v[138:139], v[6:7], v[138:139]
	;; [unrolled: 18-line block ×5, first 2 shown]
	v_add_f64_e32 v[150:151], v[166:167], v[164:165]
	v_add_f64_e32 v[156:157], v[156:157], v[162:163]
	s_wait_loadcnt_dscnt 0xa00
	v_mul_f64_e32 v[162:163], v[128:129], v[14:15]
	v_mul_f64_e32 v[14:15], v[130:131], v[14:15]
	v_fmac_f64_e32 v[158:159], v[6:7], v[132:133]
	v_fma_f64 v[164:165], v[4:5], v[132:133], -v[134:135]
	ds_load_b128 v[4:7], v2 offset:1088
	ds_load_b128 v[132:135], v2 offset:1104
	v_add_f64_e32 v[166:167], v[150:151], v[148:149]
	v_add_f64_e32 v[156:157], v[156:157], v[160:161]
	scratch_load_b128 v[148:151], off, off offset:560
	v_fmac_f64_e32 v[162:163], v[130:131], v[12:13]
	v_fma_f64 v[128:129], v[128:129], v[12:13], -v[14:15]
	scratch_load_b128 v[12:15], off, off offset:576
	s_wait_loadcnt_dscnt 0xb01
	v_mul_f64_e32 v[160:161], v[4:5], v[118:119]
	v_mul_f64_e32 v[118:119], v[6:7], v[118:119]
	v_add_f64_e32 v[130:131], v[166:167], v[164:165]
	v_add_f64_e32 v[156:157], v[156:157], v[158:159]
	s_wait_loadcnt_dscnt 0xa00
	v_mul_f64_e32 v[158:159], v[132:133], v[22:23]
	v_mul_f64_e32 v[22:23], v[134:135], v[22:23]
	v_fmac_f64_e32 v[160:161], v[6:7], v[116:117]
	v_fma_f64 v[164:165], v[4:5], v[116:117], -v[118:119]
	ds_load_b128 v[4:7], v2 offset:1120
	ds_load_b128 v[116:119], v2 offset:1136
	v_add_f64_e32 v[166:167], v[130:131], v[128:129]
	v_add_f64_e32 v[156:157], v[156:157], v[162:163]
	scratch_load_b128 v[128:131], off, off offset:592
	s_wait_loadcnt_dscnt 0xa01
	v_mul_f64_e32 v[162:163], v[4:5], v[126:127]
	v_mul_f64_e32 v[126:127], v[6:7], v[126:127]
	v_fmac_f64_e32 v[158:159], v[134:135], v[20:21]
	v_fma_f64 v[132:133], v[132:133], v[20:21], -v[22:23]
	scratch_load_b128 v[20:23], off, off offset:608
	v_add_f64_e32 v[134:135], v[166:167], v[164:165]
	v_add_f64_e32 v[156:157], v[156:157], v[160:161]
	s_wait_loadcnt_dscnt 0xa00
	v_mul_f64_e32 v[160:161], v[116:117], v[114:115]
	v_mul_f64_e32 v[114:115], v[118:119], v[114:115]
	v_fmac_f64_e32 v[162:163], v[6:7], v[124:125]
	v_fma_f64 v[164:165], v[4:5], v[124:125], -v[126:127]
	ds_load_b128 v[4:7], v2 offset:1152
	ds_load_b128 v[124:127], v2 offset:1168
	v_add_f64_e32 v[166:167], v[134:135], v[132:133]
	v_add_f64_e32 v[156:157], v[156:157], v[158:159]
	scratch_load_b128 v[132:135], off, off offset:624
	s_wait_loadcnt_dscnt 0xa01
	v_mul_f64_e32 v[158:159], v[4:5], v[138:139]
	v_mul_f64_e32 v[138:139], v[6:7], v[138:139]
	v_fmac_f64_e32 v[160:161], v[118:119], v[112:113]
	v_fma_f64 v[116:117], v[116:117], v[112:113], -v[114:115]
	scratch_load_b128 v[112:115], off, off offset:640
	v_add_f64_e32 v[118:119], v[166:167], v[164:165]
	v_add_f64_e32 v[156:157], v[156:157], v[162:163]
	s_wait_loadcnt_dscnt 0xa00
	v_mul_f64_e32 v[162:163], v[124:125], v[122:123]
	v_mul_f64_e32 v[122:123], v[126:127], v[122:123]
	v_fmac_f64_e32 v[158:159], v[6:7], v[136:137]
	v_fma_f64 v[164:165], v[4:5], v[136:137], -v[138:139]
	v_add_f64_e32 v[166:167], v[118:119], v[116:117]
	v_add_f64_e32 v[156:157], v[156:157], v[160:161]
	ds_load_b128 v[4:7], v2 offset:1184
	ds_load_b128 v[116:119], v2 offset:1200
	scratch_load_b128 v[136:139], off, off offset:656
	v_fmac_f64_e32 v[162:163], v[126:127], v[120:121]
	v_fma_f64 v[124:125], v[124:125], v[120:121], -v[122:123]
	scratch_load_b128 v[120:123], off, off offset:672
	s_wait_loadcnt_dscnt 0xb01
	v_mul_f64_e32 v[160:161], v[4:5], v[154:155]
	v_mul_f64_e32 v[154:155], v[6:7], v[154:155]
	v_add_f64_e32 v[126:127], v[166:167], v[164:165]
	v_add_f64_e32 v[156:157], v[156:157], v[158:159]
	s_wait_loadcnt_dscnt 0xa00
	v_mul_f64_e32 v[158:159], v[116:117], v[10:11]
	v_mul_f64_e32 v[10:11], v[118:119], v[10:11]
	v_fmac_f64_e32 v[160:161], v[6:7], v[152:153]
	v_fma_f64 v[152:153], v[4:5], v[152:153], -v[154:155]
	v_add_f64_e32 v[154:155], v[126:127], v[124:125]
	v_add_f64_e32 v[156:157], v[156:157], v[162:163]
	ds_load_b128 v[4:7], v2 offset:1216
	ds_load_b128 v[124:127], v2 offset:1232
	v_fmac_f64_e32 v[158:159], v[118:119], v[8:9]
	v_fma_f64 v[8:9], v[116:117], v[8:9], -v[10:11]
	s_wait_loadcnt_dscnt 0x901
	v_mul_f64_e32 v[162:163], v[4:5], v[142:143]
	v_mul_f64_e32 v[142:143], v[6:7], v[142:143]
	s_wait_loadcnt_dscnt 0x800
	v_mul_f64_e32 v[118:119], v[124:125], v[18:19]
	v_mul_f64_e32 v[18:19], v[126:127], v[18:19]
	v_add_f64_e32 v[10:11], v[154:155], v[152:153]
	v_add_f64_e32 v[116:117], v[156:157], v[160:161]
	v_fmac_f64_e32 v[162:163], v[6:7], v[140:141]
	v_fma_f64 v[140:141], v[4:5], v[140:141], -v[142:143]
	v_fmac_f64_e32 v[118:119], v[126:127], v[16:17]
	v_fma_f64 v[16:17], v[124:125], v[16:17], -v[18:19]
	v_add_f64_e32 v[142:143], v[10:11], v[8:9]
	v_add_f64_e32 v[116:117], v[116:117], v[158:159]
	ds_load_b128 v[4:7], v2 offset:1248
	ds_load_b128 v[8:11], v2 offset:1264
	s_wait_loadcnt_dscnt 0x701
	v_mul_f64_e32 v[152:153], v[4:5], v[150:151]
	v_mul_f64_e32 v[150:151], v[6:7], v[150:151]
	s_wait_loadcnt_dscnt 0x600
	v_mul_f64_e32 v[124:125], v[8:9], v[14:15]
	v_mul_f64_e32 v[126:127], v[10:11], v[14:15]
	v_add_f64_e32 v[18:19], v[142:143], v[140:141]
	v_add_f64_e32 v[116:117], v[116:117], v[162:163]
	v_fmac_f64_e32 v[152:153], v[6:7], v[148:149]
	v_fma_f64 v[140:141], v[4:5], v[148:149], -v[150:151]
	v_fmac_f64_e32 v[124:125], v[10:11], v[12:13]
	v_fma_f64 v[8:9], v[8:9], v[12:13], -v[126:127]
	v_add_f64_e32 v[18:19], v[18:19], v[16:17]
	v_add_f64_e32 v[116:117], v[116:117], v[118:119]
	ds_load_b128 v[4:7], v2 offset:1280
	ds_load_b128 v[14:17], v2 offset:1296
	s_wait_loadcnt_dscnt 0x501
	v_mul_f64_e32 v[118:119], v[4:5], v[130:131]
	v_mul_f64_e32 v[130:131], v[6:7], v[130:131]
	v_add_f64_e32 v[10:11], v[18:19], v[140:141]
	v_add_f64_e32 v[12:13], v[116:117], v[152:153]
	s_wait_loadcnt_dscnt 0x400
	v_mul_f64_e32 v[18:19], v[14:15], v[22:23]
	v_mul_f64_e32 v[22:23], v[16:17], v[22:23]
	v_fmac_f64_e32 v[118:119], v[6:7], v[128:129]
	v_fma_f64 v[116:117], v[4:5], v[128:129], -v[130:131]
	v_add_f64_e32 v[126:127], v[10:11], v[8:9]
	v_add_f64_e32 v[12:13], v[12:13], v[124:125]
	ds_load_b128 v[4:7], v2 offset:1312
	ds_load_b128 v[8:11], v2 offset:1328
	v_fmac_f64_e32 v[18:19], v[16:17], v[20:21]
	v_fma_f64 v[14:15], v[14:15], v[20:21], -v[22:23]
	s_wait_loadcnt_dscnt 0x301
	v_mul_f64_e32 v[124:125], v[4:5], v[134:135]
	v_mul_f64_e32 v[128:129], v[6:7], v[134:135]
	s_wait_loadcnt_dscnt 0x200
	v_mul_f64_e32 v[20:21], v[8:9], v[114:115]
	v_mul_f64_e32 v[22:23], v[10:11], v[114:115]
	v_add_f64_e32 v[16:17], v[126:127], v[116:117]
	v_add_f64_e32 v[12:13], v[12:13], v[118:119]
	v_fmac_f64_e32 v[124:125], v[6:7], v[132:133]
	v_fma_f64 v[114:115], v[4:5], v[132:133], -v[128:129]
	v_fmac_f64_e32 v[20:21], v[10:11], v[112:113]
	v_fma_f64 v[8:9], v[8:9], v[112:113], -v[22:23]
	v_add_f64_e32 v[16:17], v[16:17], v[14:15]
	v_add_f64_e32 v[18:19], v[12:13], v[18:19]
	ds_load_b128 v[4:7], v2 offset:1344
	ds_load_b128 v[12:15], v2 offset:1360
	s_wait_loadcnt_dscnt 0x101
	v_mul_f64_e32 v[2:3], v[4:5], v[138:139]
	v_mul_f64_e32 v[116:117], v[6:7], v[138:139]
	s_wait_loadcnt_dscnt 0x0
	v_mul_f64_e32 v[22:23], v[14:15], v[122:123]
	v_add_f64_e32 v[10:11], v[16:17], v[114:115]
	v_add_f64_e32 v[16:17], v[18:19], v[124:125]
	v_mul_f64_e32 v[18:19], v[12:13], v[122:123]
	v_fmac_f64_e32 v[2:3], v[6:7], v[136:137]
	v_fma_f64 v[4:5], v[4:5], v[136:137], -v[116:117]
	v_add_f64_e32 v[6:7], v[10:11], v[8:9]
	v_add_f64_e32 v[8:9], v[16:17], v[20:21]
	v_fmac_f64_e32 v[18:19], v[14:15], v[120:121]
	v_fma_f64 v[10:11], v[12:13], v[120:121], -v[22:23]
	s_delay_alu instid0(VALU_DEP_4) | instskip(NEXT) | instid1(VALU_DEP_4)
	v_add_f64_e32 v[4:5], v[6:7], v[4:5]
	v_add_f64_e32 v[2:3], v[8:9], v[2:3]
	s_delay_alu instid0(VALU_DEP_2) | instskip(NEXT) | instid1(VALU_DEP_2)
	v_add_f64_e32 v[4:5], v[4:5], v[10:11]
	v_add_f64_e32 v[6:7], v[2:3], v[18:19]
	s_delay_alu instid0(VALU_DEP_2) | instskip(NEXT) | instid1(VALU_DEP_2)
	v_add_f64_e64 v[2:3], v[144:145], -v[4:5]
	v_add_f64_e64 v[4:5], v[146:147], -v[6:7]
	scratch_store_b128 off, v[2:5], off offset:96
	s_wait_xcnt 0x0
	v_cmpx_lt_u32_e32 5, v1
	s_cbranch_execz .LBB42_261
; %bb.260:
	scratch_load_b128 v[2:5], off, s46
	v_mov_b32_e32 v6, 0
	s_delay_alu instid0(VALU_DEP_1)
	v_dual_mov_b32 v7, v6 :: v_dual_mov_b32 v8, v6
	v_mov_b32_e32 v9, v6
	scratch_store_b128 off, v[6:9], off offset:80
	s_wait_loadcnt 0x0
	ds_store_b128 v110, v[2:5]
.LBB42_261:
	s_wait_xcnt 0x0
	s_or_b32 exec_lo, exec_lo, s2
	s_wait_storecnt_dscnt 0x0
	s_barrier_signal -1
	s_barrier_wait -1
	s_clause 0x9
	scratch_load_b128 v[4:7], off, off offset:96
	scratch_load_b128 v[8:11], off, off offset:112
	;; [unrolled: 1-line block ×10, first 2 shown]
	v_mov_b32_e32 v2, 0
	s_mov_b32 s2, exec_lo
	ds_load_b128 v[132:135], v2 offset:784
	s_clause 0x2
	scratch_load_b128 v[136:139], off, off offset:256
	scratch_load_b128 v[140:143], off, off offset:80
	;; [unrolled: 1-line block ×3, first 2 shown]
	s_wait_loadcnt_dscnt 0xc00
	v_mul_f64_e32 v[152:153], v[134:135], v[6:7]
	v_mul_f64_e32 v[156:157], v[132:133], v[6:7]
	ds_load_b128 v[144:147], v2 offset:800
	v_fma_f64 v[160:161], v[132:133], v[4:5], -v[152:153]
	v_fmac_f64_e32 v[156:157], v[134:135], v[4:5]
	ds_load_b128 v[4:7], v2 offset:816
	s_wait_loadcnt_dscnt 0xb01
	v_mul_f64_e32 v[158:159], v[144:145], v[10:11]
	v_mul_f64_e32 v[10:11], v[146:147], v[10:11]
	scratch_load_b128 v[132:135], off, off offset:288
	ds_load_b128 v[152:155], v2 offset:832
	s_wait_loadcnt_dscnt 0xb01
	v_mul_f64_e32 v[162:163], v[4:5], v[14:15]
	v_mul_f64_e32 v[14:15], v[6:7], v[14:15]
	v_add_f64_e32 v[156:157], 0, v[156:157]
	v_fmac_f64_e32 v[158:159], v[146:147], v[8:9]
	v_fma_f64 v[144:145], v[144:145], v[8:9], -v[10:11]
	v_add_f64_e32 v[146:147], 0, v[160:161]
	scratch_load_b128 v[8:11], off, off offset:304
	v_fmac_f64_e32 v[162:163], v[6:7], v[12:13]
	v_fma_f64 v[164:165], v[4:5], v[12:13], -v[14:15]
	ds_load_b128 v[4:7], v2 offset:848
	s_wait_loadcnt_dscnt 0xb01
	v_mul_f64_e32 v[160:161], v[152:153], v[18:19]
	v_mul_f64_e32 v[18:19], v[154:155], v[18:19]
	scratch_load_b128 v[12:15], off, off offset:320
	v_add_f64_e32 v[156:157], v[156:157], v[158:159]
	v_add_f64_e32 v[166:167], v[146:147], v[144:145]
	ds_load_b128 v[144:147], v2 offset:864
	s_wait_loadcnt_dscnt 0xb01
	v_mul_f64_e32 v[158:159], v[4:5], v[22:23]
	v_mul_f64_e32 v[22:23], v[6:7], v[22:23]
	v_fmac_f64_e32 v[160:161], v[154:155], v[16:17]
	v_fma_f64 v[152:153], v[152:153], v[16:17], -v[18:19]
	scratch_load_b128 v[16:19], off, off offset:336
	v_add_f64_e32 v[156:157], v[156:157], v[162:163]
	v_add_f64_e32 v[154:155], v[166:167], v[164:165]
	v_fmac_f64_e32 v[158:159], v[6:7], v[20:21]
	v_fma_f64 v[164:165], v[4:5], v[20:21], -v[22:23]
	ds_load_b128 v[4:7], v2 offset:880
	s_wait_loadcnt_dscnt 0xb01
	v_mul_f64_e32 v[162:163], v[144:145], v[114:115]
	v_mul_f64_e32 v[114:115], v[146:147], v[114:115]
	scratch_load_b128 v[20:23], off, off offset:352
	v_add_f64_e32 v[156:157], v[156:157], v[160:161]
	s_wait_loadcnt_dscnt 0xb00
	v_mul_f64_e32 v[160:161], v[4:5], v[118:119]
	v_add_f64_e32 v[166:167], v[154:155], v[152:153]
	v_mul_f64_e32 v[118:119], v[6:7], v[118:119]
	ds_load_b128 v[152:155], v2 offset:896
	v_fmac_f64_e32 v[162:163], v[146:147], v[112:113]
	v_fma_f64 v[144:145], v[144:145], v[112:113], -v[114:115]
	scratch_load_b128 v[112:115], off, off offset:368
	v_add_f64_e32 v[156:157], v[156:157], v[158:159]
	v_fmac_f64_e32 v[160:161], v[6:7], v[116:117]
	v_add_f64_e32 v[146:147], v[166:167], v[164:165]
	v_fma_f64 v[164:165], v[4:5], v[116:117], -v[118:119]
	ds_load_b128 v[4:7], v2 offset:912
	s_wait_loadcnt_dscnt 0xb01
	v_mul_f64_e32 v[158:159], v[152:153], v[122:123]
	v_mul_f64_e32 v[122:123], v[154:155], v[122:123]
	scratch_load_b128 v[116:119], off, off offset:384
	v_add_f64_e32 v[156:157], v[156:157], v[162:163]
	s_wait_loadcnt_dscnt 0xb00
	v_mul_f64_e32 v[162:163], v[4:5], v[126:127]
	v_add_f64_e32 v[166:167], v[146:147], v[144:145]
	v_mul_f64_e32 v[126:127], v[6:7], v[126:127]
	ds_load_b128 v[144:147], v2 offset:928
	v_fmac_f64_e32 v[158:159], v[154:155], v[120:121]
	v_fma_f64 v[152:153], v[152:153], v[120:121], -v[122:123]
	scratch_load_b128 v[120:123], off, off offset:400
	v_add_f64_e32 v[156:157], v[156:157], v[160:161]
	v_fmac_f64_e32 v[162:163], v[6:7], v[124:125]
	v_add_f64_e32 v[154:155], v[166:167], v[164:165]
	;; [unrolled: 18-line block ×3, first 2 shown]
	v_fma_f64 v[164:165], v[4:5], v[136:137], -v[138:139]
	ds_load_b128 v[4:7], v2 offset:976
	s_wait_loadcnt_dscnt 0xa01
	v_mul_f64_e32 v[162:163], v[152:153], v[150:151]
	v_mul_f64_e32 v[150:151], v[154:155], v[150:151]
	scratch_load_b128 v[136:139], off, off offset:448
	v_add_f64_e32 v[156:157], v[156:157], v[160:161]
	v_add_f64_e32 v[166:167], v[146:147], v[144:145]
	s_wait_loadcnt_dscnt 0xa00
	v_mul_f64_e32 v[160:161], v[4:5], v[134:135]
	v_mul_f64_e32 v[134:135], v[6:7], v[134:135]
	v_fmac_f64_e32 v[162:163], v[154:155], v[148:149]
	v_fma_f64 v[152:153], v[152:153], v[148:149], -v[150:151]
	ds_load_b128 v[144:147], v2 offset:992
	scratch_load_b128 v[148:151], off, off offset:464
	v_add_f64_e32 v[156:157], v[156:157], v[158:159]
	v_add_f64_e32 v[154:155], v[166:167], v[164:165]
	v_fmac_f64_e32 v[160:161], v[6:7], v[132:133]
	v_fma_f64 v[164:165], v[4:5], v[132:133], -v[134:135]
	ds_load_b128 v[4:7], v2 offset:1008
	s_wait_loadcnt_dscnt 0xa01
	v_mul_f64_e32 v[158:159], v[144:145], v[10:11]
	v_mul_f64_e32 v[10:11], v[146:147], v[10:11]
	scratch_load_b128 v[132:135], off, off offset:480
	v_add_f64_e32 v[156:157], v[156:157], v[162:163]
	s_wait_loadcnt_dscnt 0xa00
	v_mul_f64_e32 v[162:163], v[4:5], v[14:15]
	v_add_f64_e32 v[166:167], v[154:155], v[152:153]
	v_mul_f64_e32 v[14:15], v[6:7], v[14:15]
	ds_load_b128 v[152:155], v2 offset:1024
	v_fmac_f64_e32 v[158:159], v[146:147], v[8:9]
	v_fma_f64 v[144:145], v[144:145], v[8:9], -v[10:11]
	scratch_load_b128 v[8:11], off, off offset:496
	v_add_f64_e32 v[156:157], v[156:157], v[160:161]
	v_fmac_f64_e32 v[162:163], v[6:7], v[12:13]
	v_add_f64_e32 v[146:147], v[166:167], v[164:165]
	v_fma_f64 v[164:165], v[4:5], v[12:13], -v[14:15]
	ds_load_b128 v[4:7], v2 offset:1040
	s_wait_loadcnt_dscnt 0xa01
	v_mul_f64_e32 v[160:161], v[152:153], v[18:19]
	v_mul_f64_e32 v[18:19], v[154:155], v[18:19]
	scratch_load_b128 v[12:15], off, off offset:512
	v_add_f64_e32 v[156:157], v[156:157], v[158:159]
	s_wait_loadcnt_dscnt 0xa00
	v_mul_f64_e32 v[158:159], v[4:5], v[22:23]
	v_add_f64_e32 v[166:167], v[146:147], v[144:145]
	v_mul_f64_e32 v[22:23], v[6:7], v[22:23]
	ds_load_b128 v[144:147], v2 offset:1056
	v_fmac_f64_e32 v[160:161], v[154:155], v[16:17]
	v_fma_f64 v[152:153], v[152:153], v[16:17], -v[18:19]
	scratch_load_b128 v[16:19], off, off offset:528
	v_add_f64_e32 v[156:157], v[156:157], v[162:163]
	v_fmac_f64_e32 v[158:159], v[6:7], v[20:21]
	v_add_f64_e32 v[154:155], v[166:167], v[164:165]
	v_fma_f64 v[164:165], v[4:5], v[20:21], -v[22:23]
	ds_load_b128 v[4:7], v2 offset:1072
	s_wait_loadcnt_dscnt 0xa01
	v_mul_f64_e32 v[162:163], v[144:145], v[114:115]
	v_mul_f64_e32 v[114:115], v[146:147], v[114:115]
	scratch_load_b128 v[20:23], off, off offset:544
	v_add_f64_e32 v[156:157], v[156:157], v[160:161]
	s_wait_loadcnt_dscnt 0xa00
	v_mul_f64_e32 v[160:161], v[4:5], v[118:119]
	v_add_f64_e32 v[166:167], v[154:155], v[152:153]
	v_mul_f64_e32 v[118:119], v[6:7], v[118:119]
	ds_load_b128 v[152:155], v2 offset:1088
	v_fmac_f64_e32 v[162:163], v[146:147], v[112:113]
	v_fma_f64 v[144:145], v[144:145], v[112:113], -v[114:115]
	scratch_load_b128 v[112:115], off, off offset:560
	v_add_f64_e32 v[156:157], v[156:157], v[158:159]
	v_fmac_f64_e32 v[160:161], v[6:7], v[116:117]
	v_add_f64_e32 v[146:147], v[166:167], v[164:165]
	v_fma_f64 v[164:165], v[4:5], v[116:117], -v[118:119]
	ds_load_b128 v[4:7], v2 offset:1104
	s_wait_loadcnt_dscnt 0xa01
	v_mul_f64_e32 v[158:159], v[152:153], v[122:123]
	v_mul_f64_e32 v[122:123], v[154:155], v[122:123]
	scratch_load_b128 v[116:119], off, off offset:576
	v_add_f64_e32 v[156:157], v[156:157], v[162:163]
	s_wait_loadcnt_dscnt 0xa00
	v_mul_f64_e32 v[162:163], v[4:5], v[126:127]
	v_add_f64_e32 v[166:167], v[146:147], v[144:145]
	v_mul_f64_e32 v[126:127], v[6:7], v[126:127]
	ds_load_b128 v[144:147], v2 offset:1120
	v_fmac_f64_e32 v[158:159], v[154:155], v[120:121]
	v_fma_f64 v[152:153], v[152:153], v[120:121], -v[122:123]
	scratch_load_b128 v[120:123], off, off offset:592
	v_add_f64_e32 v[156:157], v[156:157], v[160:161]
	v_fmac_f64_e32 v[162:163], v[6:7], v[124:125]
	v_add_f64_e32 v[154:155], v[166:167], v[164:165]
	v_fma_f64 v[164:165], v[4:5], v[124:125], -v[126:127]
	ds_load_b128 v[4:7], v2 offset:1136
	s_wait_loadcnt_dscnt 0xa01
	v_mul_f64_e32 v[160:161], v[144:145], v[130:131]
	v_mul_f64_e32 v[130:131], v[146:147], v[130:131]
	scratch_load_b128 v[124:127], off, off offset:608
	v_add_f64_e32 v[156:157], v[156:157], v[158:159]
	s_wait_loadcnt_dscnt 0xa00
	v_mul_f64_e32 v[158:159], v[4:5], v[138:139]
	v_add_f64_e32 v[166:167], v[154:155], v[152:153]
	v_mul_f64_e32 v[138:139], v[6:7], v[138:139]
	ds_load_b128 v[152:155], v2 offset:1152
	v_fmac_f64_e32 v[160:161], v[146:147], v[128:129]
	v_fma_f64 v[144:145], v[144:145], v[128:129], -v[130:131]
	scratch_load_b128 v[128:131], off, off offset:624
	v_add_f64_e32 v[156:157], v[156:157], v[162:163]
	v_fmac_f64_e32 v[158:159], v[6:7], v[136:137]
	v_add_f64_e32 v[146:147], v[166:167], v[164:165]
	v_fma_f64 v[164:165], v[4:5], v[136:137], -v[138:139]
	ds_load_b128 v[4:7], v2 offset:1168
	s_wait_loadcnt_dscnt 0xa01
	v_mul_f64_e32 v[162:163], v[152:153], v[150:151]
	v_mul_f64_e32 v[150:151], v[154:155], v[150:151]
	scratch_load_b128 v[136:139], off, off offset:640
	v_add_f64_e32 v[156:157], v[156:157], v[160:161]
	s_wait_loadcnt_dscnt 0xa00
	v_mul_f64_e32 v[160:161], v[4:5], v[134:135]
	v_add_f64_e32 v[166:167], v[146:147], v[144:145]
	v_mul_f64_e32 v[134:135], v[6:7], v[134:135]
	ds_load_b128 v[144:147], v2 offset:1184
	v_fmac_f64_e32 v[162:163], v[154:155], v[148:149]
	v_fma_f64 v[152:153], v[152:153], v[148:149], -v[150:151]
	scratch_load_b128 v[148:151], off, off offset:656
	v_add_f64_e32 v[156:157], v[156:157], v[158:159]
	v_fmac_f64_e32 v[160:161], v[6:7], v[132:133]
	v_add_f64_e32 v[154:155], v[166:167], v[164:165]
	v_fma_f64 v[164:165], v[4:5], v[132:133], -v[134:135]
	ds_load_b128 v[4:7], v2 offset:1200
	s_wait_loadcnt_dscnt 0xa01
	v_mul_f64_e32 v[158:159], v[144:145], v[10:11]
	v_mul_f64_e32 v[10:11], v[146:147], v[10:11]
	scratch_load_b128 v[132:135], off, off offset:672
	v_add_f64_e32 v[156:157], v[156:157], v[162:163]
	s_wait_loadcnt_dscnt 0xa00
	v_mul_f64_e32 v[162:163], v[4:5], v[14:15]
	v_add_f64_e32 v[166:167], v[154:155], v[152:153]
	v_mul_f64_e32 v[14:15], v[6:7], v[14:15]
	ds_load_b128 v[152:155], v2 offset:1216
	v_fmac_f64_e32 v[158:159], v[146:147], v[8:9]
	v_fma_f64 v[8:9], v[144:145], v[8:9], -v[10:11]
	s_wait_loadcnt_dscnt 0x900
	v_mul_f64_e32 v[146:147], v[152:153], v[18:19]
	v_mul_f64_e32 v[18:19], v[154:155], v[18:19]
	v_add_f64_e32 v[144:145], v[156:157], v[160:161]
	v_fmac_f64_e32 v[162:163], v[6:7], v[12:13]
	v_add_f64_e32 v[10:11], v[166:167], v[164:165]
	v_fma_f64 v[12:13], v[4:5], v[12:13], -v[14:15]
	v_fmac_f64_e32 v[146:147], v[154:155], v[16:17]
	v_fma_f64 v[16:17], v[152:153], v[16:17], -v[18:19]
	v_add_f64_e32 v[144:145], v[144:145], v[158:159]
	v_add_f64_e32 v[14:15], v[10:11], v[8:9]
	ds_load_b128 v[4:7], v2 offset:1232
	ds_load_b128 v[8:11], v2 offset:1248
	s_wait_loadcnt_dscnt 0x801
	v_mul_f64_e32 v[156:157], v[4:5], v[22:23]
	v_mul_f64_e32 v[22:23], v[6:7], v[22:23]
	s_wait_loadcnt_dscnt 0x700
	v_mul_f64_e32 v[18:19], v[8:9], v[114:115]
	v_mul_f64_e32 v[114:115], v[10:11], v[114:115]
	v_add_f64_e32 v[12:13], v[14:15], v[12:13]
	v_add_f64_e32 v[14:15], v[144:145], v[162:163]
	v_fmac_f64_e32 v[156:157], v[6:7], v[20:21]
	v_fma_f64 v[20:21], v[4:5], v[20:21], -v[22:23]
	v_fmac_f64_e32 v[18:19], v[10:11], v[112:113]
	v_fma_f64 v[8:9], v[8:9], v[112:113], -v[114:115]
	v_add_f64_e32 v[16:17], v[12:13], v[16:17]
	v_add_f64_e32 v[22:23], v[14:15], v[146:147]
	ds_load_b128 v[4:7], v2 offset:1264
	ds_load_b128 v[12:15], v2 offset:1280
	s_wait_loadcnt_dscnt 0x601
	v_mul_f64_e32 v[144:145], v[4:5], v[118:119]
	v_mul_f64_e32 v[118:119], v[6:7], v[118:119]
	v_add_f64_e32 v[10:11], v[16:17], v[20:21]
	v_add_f64_e32 v[16:17], v[22:23], v[156:157]
	s_wait_loadcnt_dscnt 0x500
	v_mul_f64_e32 v[20:21], v[12:13], v[122:123]
	v_mul_f64_e32 v[22:23], v[14:15], v[122:123]
	v_fmac_f64_e32 v[144:145], v[6:7], v[116:117]
	v_fma_f64 v[112:113], v[4:5], v[116:117], -v[118:119]
	v_add_f64_e32 v[114:115], v[10:11], v[8:9]
	v_add_f64_e32 v[16:17], v[16:17], v[18:19]
	ds_load_b128 v[4:7], v2 offset:1296
	ds_load_b128 v[8:11], v2 offset:1312
	v_fmac_f64_e32 v[20:21], v[14:15], v[120:121]
	v_fma_f64 v[12:13], v[12:13], v[120:121], -v[22:23]
	s_wait_loadcnt_dscnt 0x401
	v_mul_f64_e32 v[18:19], v[4:5], v[126:127]
	v_mul_f64_e32 v[116:117], v[6:7], v[126:127]
	s_wait_loadcnt_dscnt 0x300
	v_mul_f64_e32 v[22:23], v[8:9], v[130:131]
	v_add_f64_e32 v[14:15], v[114:115], v[112:113]
	v_add_f64_e32 v[16:17], v[16:17], v[144:145]
	v_mul_f64_e32 v[112:113], v[10:11], v[130:131]
	v_fmac_f64_e32 v[18:19], v[6:7], v[124:125]
	v_fma_f64 v[114:115], v[4:5], v[124:125], -v[116:117]
	v_fmac_f64_e32 v[22:23], v[10:11], v[128:129]
	v_add_f64_e32 v[116:117], v[14:15], v[12:13]
	v_add_f64_e32 v[16:17], v[16:17], v[20:21]
	ds_load_b128 v[4:7], v2 offset:1328
	ds_load_b128 v[12:15], v2 offset:1344
	v_fma_f64 v[8:9], v[8:9], v[128:129], -v[112:113]
	s_wait_loadcnt_dscnt 0x201
	v_mul_f64_e32 v[20:21], v[4:5], v[138:139]
	v_mul_f64_e32 v[118:119], v[6:7], v[138:139]
	s_wait_loadcnt_dscnt 0x100
	v_mul_f64_e32 v[112:113], v[14:15], v[150:151]
	v_add_f64_e32 v[10:11], v[116:117], v[114:115]
	v_add_f64_e32 v[16:17], v[16:17], v[18:19]
	v_mul_f64_e32 v[18:19], v[12:13], v[150:151]
	v_fmac_f64_e32 v[20:21], v[6:7], v[136:137]
	v_fma_f64 v[114:115], v[4:5], v[136:137], -v[118:119]
	ds_load_b128 v[4:7], v2 offset:1360
	v_fma_f64 v[12:13], v[12:13], v[148:149], -v[112:113]
	v_add_f64_e32 v[8:9], v[10:11], v[8:9]
	v_add_f64_e32 v[10:11], v[16:17], v[22:23]
	v_fmac_f64_e32 v[18:19], v[14:15], v[148:149]
	s_wait_loadcnt_dscnt 0x0
	v_mul_f64_e32 v[16:17], v[4:5], v[134:135]
	v_mul_f64_e32 v[22:23], v[6:7], v[134:135]
	v_add_f64_e32 v[8:9], v[8:9], v[114:115]
	v_add_f64_e32 v[10:11], v[10:11], v[20:21]
	s_delay_alu instid0(VALU_DEP_4) | instskip(NEXT) | instid1(VALU_DEP_4)
	v_fmac_f64_e32 v[16:17], v[6:7], v[132:133]
	v_fma_f64 v[4:5], v[4:5], v[132:133], -v[22:23]
	s_delay_alu instid0(VALU_DEP_4) | instskip(NEXT) | instid1(VALU_DEP_4)
	v_add_f64_e32 v[6:7], v[8:9], v[12:13]
	v_add_f64_e32 v[8:9], v[10:11], v[18:19]
	s_delay_alu instid0(VALU_DEP_2) | instskip(NEXT) | instid1(VALU_DEP_2)
	v_add_f64_e32 v[4:5], v[6:7], v[4:5]
	v_add_f64_e32 v[6:7], v[8:9], v[16:17]
	s_delay_alu instid0(VALU_DEP_2) | instskip(NEXT) | instid1(VALU_DEP_2)
	v_add_f64_e64 v[4:5], v[140:141], -v[4:5]
	v_add_f64_e64 v[6:7], v[142:143], -v[6:7]
	scratch_store_b128 off, v[4:7], off offset:80
	s_wait_xcnt 0x0
	v_cmpx_lt_u32_e32 4, v1
	s_cbranch_execz .LBB42_263
; %bb.262:
	scratch_load_b128 v[6:9], off, s42
	v_dual_mov_b32 v3, v2 :: v_dual_mov_b32 v4, v2
	v_mov_b32_e32 v5, v2
	scratch_store_b128 off, v[2:5], off offset:64
	s_wait_loadcnt 0x0
	ds_store_b128 v110, v[6:9]
.LBB42_263:
	s_wait_xcnt 0x0
	s_or_b32 exec_lo, exec_lo, s2
	s_wait_storecnt_dscnt 0x0
	s_barrier_signal -1
	s_barrier_wait -1
	s_clause 0x9
	scratch_load_b128 v[4:7], off, off offset:80
	scratch_load_b128 v[8:11], off, off offset:96
	;; [unrolled: 1-line block ×10, first 2 shown]
	ds_load_b128 v[132:135], v2 offset:768
	ds_load_b128 v[140:143], v2 offset:784
	s_clause 0x2
	scratch_load_b128 v[136:139], off, off offset:240
	scratch_load_b128 v[144:147], off, off offset:64
	;; [unrolled: 1-line block ×3, first 2 shown]
	s_mov_b32 s2, exec_lo
	s_wait_loadcnt_dscnt 0xc01
	v_mul_f64_e32 v[152:153], v[134:135], v[6:7]
	v_mul_f64_e32 v[156:157], v[132:133], v[6:7]
	s_wait_loadcnt_dscnt 0xb00
	v_mul_f64_e32 v[158:159], v[140:141], v[10:11]
	v_mul_f64_e32 v[10:11], v[142:143], v[10:11]
	s_delay_alu instid0(VALU_DEP_4) | instskip(NEXT) | instid1(VALU_DEP_4)
	v_fma_f64 v[160:161], v[132:133], v[4:5], -v[152:153]
	v_fmac_f64_e32 v[156:157], v[134:135], v[4:5]
	ds_load_b128 v[4:7], v2 offset:800
	ds_load_b128 v[132:135], v2 offset:816
	scratch_load_b128 v[152:155], off, off offset:272
	v_fmac_f64_e32 v[158:159], v[142:143], v[8:9]
	v_fma_f64 v[140:141], v[140:141], v[8:9], -v[10:11]
	scratch_load_b128 v[8:11], off, off offset:288
	s_wait_loadcnt_dscnt 0xc01
	v_mul_f64_e32 v[162:163], v[4:5], v[14:15]
	v_mul_f64_e32 v[14:15], v[6:7], v[14:15]
	v_add_f64_e32 v[142:143], 0, v[160:161]
	v_add_f64_e32 v[156:157], 0, v[156:157]
	s_wait_loadcnt_dscnt 0xb00
	v_mul_f64_e32 v[160:161], v[132:133], v[18:19]
	v_mul_f64_e32 v[18:19], v[134:135], v[18:19]
	v_fmac_f64_e32 v[162:163], v[6:7], v[12:13]
	v_fma_f64 v[164:165], v[4:5], v[12:13], -v[14:15]
	ds_load_b128 v[4:7], v2 offset:832
	ds_load_b128 v[12:15], v2 offset:848
	v_add_f64_e32 v[166:167], v[142:143], v[140:141]
	v_add_f64_e32 v[156:157], v[156:157], v[158:159]
	scratch_load_b128 v[140:143], off, off offset:304
	v_fmac_f64_e32 v[160:161], v[134:135], v[16:17]
	v_fma_f64 v[132:133], v[132:133], v[16:17], -v[18:19]
	scratch_load_b128 v[16:19], off, off offset:320
	s_wait_loadcnt_dscnt 0xc01
	v_mul_f64_e32 v[158:159], v[4:5], v[22:23]
	v_mul_f64_e32 v[22:23], v[6:7], v[22:23]
	v_add_f64_e32 v[134:135], v[166:167], v[164:165]
	v_add_f64_e32 v[156:157], v[156:157], v[162:163]
	s_wait_loadcnt_dscnt 0xb00
	v_mul_f64_e32 v[162:163], v[12:13], v[114:115]
	v_mul_f64_e32 v[114:115], v[14:15], v[114:115]
	v_fmac_f64_e32 v[158:159], v[6:7], v[20:21]
	v_fma_f64 v[164:165], v[4:5], v[20:21], -v[22:23]
	ds_load_b128 v[4:7], v2 offset:864
	ds_load_b128 v[20:23], v2 offset:880
	v_add_f64_e32 v[166:167], v[134:135], v[132:133]
	v_add_f64_e32 v[156:157], v[156:157], v[160:161]
	scratch_load_b128 v[132:135], off, off offset:336
	s_wait_loadcnt_dscnt 0xb01
	v_mul_f64_e32 v[160:161], v[4:5], v[118:119]
	v_mul_f64_e32 v[118:119], v[6:7], v[118:119]
	v_fmac_f64_e32 v[162:163], v[14:15], v[112:113]
	v_fma_f64 v[112:113], v[12:13], v[112:113], -v[114:115]
	scratch_load_b128 v[12:15], off, off offset:352
	v_add_f64_e32 v[114:115], v[166:167], v[164:165]
	v_add_f64_e32 v[156:157], v[156:157], v[158:159]
	s_wait_loadcnt_dscnt 0xb00
	v_mul_f64_e32 v[158:159], v[20:21], v[122:123]
	v_mul_f64_e32 v[122:123], v[22:23], v[122:123]
	v_fmac_f64_e32 v[160:161], v[6:7], v[116:117]
	v_fma_f64 v[164:165], v[4:5], v[116:117], -v[118:119]
	v_add_f64_e32 v[166:167], v[114:115], v[112:113]
	v_add_f64_e32 v[156:157], v[156:157], v[162:163]
	ds_load_b128 v[4:7], v2 offset:896
	ds_load_b128 v[112:115], v2 offset:912
	scratch_load_b128 v[116:119], off, off offset:368
	v_fmac_f64_e32 v[158:159], v[22:23], v[120:121]
	v_fma_f64 v[120:121], v[20:21], v[120:121], -v[122:123]
	scratch_load_b128 v[20:23], off, off offset:384
	s_wait_loadcnt_dscnt 0xc01
	v_mul_f64_e32 v[162:163], v[4:5], v[126:127]
	v_mul_f64_e32 v[126:127], v[6:7], v[126:127]
	v_add_f64_e32 v[122:123], v[166:167], v[164:165]
	v_add_f64_e32 v[156:157], v[156:157], v[160:161]
	s_wait_loadcnt_dscnt 0xb00
	v_mul_f64_e32 v[160:161], v[112:113], v[130:131]
	v_mul_f64_e32 v[130:131], v[114:115], v[130:131]
	v_fmac_f64_e32 v[162:163], v[6:7], v[124:125]
	v_fma_f64 v[164:165], v[4:5], v[124:125], -v[126:127]
	v_add_f64_e32 v[166:167], v[122:123], v[120:121]
	v_add_f64_e32 v[156:157], v[156:157], v[158:159]
	ds_load_b128 v[4:7], v2 offset:928
	ds_load_b128 v[120:123], v2 offset:944
	scratch_load_b128 v[124:127], off, off offset:400
	v_fmac_f64_e32 v[160:161], v[114:115], v[128:129]
	v_fma_f64 v[128:129], v[112:113], v[128:129], -v[130:131]
	scratch_load_b128 v[112:115], off, off offset:416
	s_wait_loadcnt_dscnt 0xc01
	v_mul_f64_e32 v[158:159], v[4:5], v[138:139]
	v_mul_f64_e32 v[138:139], v[6:7], v[138:139]
	;; [unrolled: 18-line block ×5, first 2 shown]
	v_add_f64_e32 v[150:151], v[166:167], v[164:165]
	v_add_f64_e32 v[156:157], v[156:157], v[162:163]
	s_wait_loadcnt_dscnt 0xa00
	v_mul_f64_e32 v[162:163], v[128:129], v[14:15]
	v_mul_f64_e32 v[14:15], v[130:131], v[14:15]
	v_fmac_f64_e32 v[158:159], v[6:7], v[132:133]
	v_fma_f64 v[164:165], v[4:5], v[132:133], -v[134:135]
	ds_load_b128 v[4:7], v2 offset:1056
	ds_load_b128 v[132:135], v2 offset:1072
	v_add_f64_e32 v[166:167], v[150:151], v[148:149]
	v_add_f64_e32 v[156:157], v[156:157], v[160:161]
	scratch_load_b128 v[148:151], off, off offset:528
	v_fmac_f64_e32 v[162:163], v[130:131], v[12:13]
	v_fma_f64 v[128:129], v[128:129], v[12:13], -v[14:15]
	scratch_load_b128 v[12:15], off, off offset:544
	s_wait_loadcnt_dscnt 0xb01
	v_mul_f64_e32 v[160:161], v[4:5], v[118:119]
	v_mul_f64_e32 v[118:119], v[6:7], v[118:119]
	v_add_f64_e32 v[130:131], v[166:167], v[164:165]
	v_add_f64_e32 v[156:157], v[156:157], v[158:159]
	s_wait_loadcnt_dscnt 0xa00
	v_mul_f64_e32 v[158:159], v[132:133], v[22:23]
	v_mul_f64_e32 v[22:23], v[134:135], v[22:23]
	v_fmac_f64_e32 v[160:161], v[6:7], v[116:117]
	v_fma_f64 v[164:165], v[4:5], v[116:117], -v[118:119]
	ds_load_b128 v[4:7], v2 offset:1088
	ds_load_b128 v[116:119], v2 offset:1104
	v_add_f64_e32 v[166:167], v[130:131], v[128:129]
	v_add_f64_e32 v[156:157], v[156:157], v[162:163]
	scratch_load_b128 v[128:131], off, off offset:560
	s_wait_loadcnt_dscnt 0xa01
	v_mul_f64_e32 v[162:163], v[4:5], v[126:127]
	v_mul_f64_e32 v[126:127], v[6:7], v[126:127]
	v_fmac_f64_e32 v[158:159], v[134:135], v[20:21]
	v_fma_f64 v[132:133], v[132:133], v[20:21], -v[22:23]
	scratch_load_b128 v[20:23], off, off offset:576
	v_add_f64_e32 v[134:135], v[166:167], v[164:165]
	v_add_f64_e32 v[156:157], v[156:157], v[160:161]
	s_wait_loadcnt_dscnt 0xa00
	v_mul_f64_e32 v[160:161], v[116:117], v[114:115]
	v_mul_f64_e32 v[114:115], v[118:119], v[114:115]
	v_fmac_f64_e32 v[162:163], v[6:7], v[124:125]
	v_fma_f64 v[164:165], v[4:5], v[124:125], -v[126:127]
	ds_load_b128 v[4:7], v2 offset:1120
	ds_load_b128 v[124:127], v2 offset:1136
	v_add_f64_e32 v[166:167], v[134:135], v[132:133]
	v_add_f64_e32 v[156:157], v[156:157], v[158:159]
	scratch_load_b128 v[132:135], off, off offset:592
	s_wait_loadcnt_dscnt 0xa01
	v_mul_f64_e32 v[158:159], v[4:5], v[138:139]
	v_mul_f64_e32 v[138:139], v[6:7], v[138:139]
	v_fmac_f64_e32 v[160:161], v[118:119], v[112:113]
	v_fma_f64 v[116:117], v[116:117], v[112:113], -v[114:115]
	scratch_load_b128 v[112:115], off, off offset:608
	v_add_f64_e32 v[118:119], v[166:167], v[164:165]
	v_add_f64_e32 v[156:157], v[156:157], v[162:163]
	s_wait_loadcnt_dscnt 0xa00
	v_mul_f64_e32 v[162:163], v[124:125], v[122:123]
	v_mul_f64_e32 v[122:123], v[126:127], v[122:123]
	v_fmac_f64_e32 v[158:159], v[6:7], v[136:137]
	v_fma_f64 v[164:165], v[4:5], v[136:137], -v[138:139]
	v_add_f64_e32 v[166:167], v[118:119], v[116:117]
	v_add_f64_e32 v[156:157], v[156:157], v[160:161]
	ds_load_b128 v[4:7], v2 offset:1152
	ds_load_b128 v[116:119], v2 offset:1168
	scratch_load_b128 v[136:139], off, off offset:624
	v_fmac_f64_e32 v[162:163], v[126:127], v[120:121]
	v_fma_f64 v[124:125], v[124:125], v[120:121], -v[122:123]
	scratch_load_b128 v[120:123], off, off offset:640
	s_wait_loadcnt_dscnt 0xb01
	v_mul_f64_e32 v[160:161], v[4:5], v[154:155]
	v_mul_f64_e32 v[154:155], v[6:7], v[154:155]
	v_add_f64_e32 v[126:127], v[166:167], v[164:165]
	v_add_f64_e32 v[156:157], v[156:157], v[158:159]
	s_wait_loadcnt_dscnt 0xa00
	v_mul_f64_e32 v[158:159], v[116:117], v[10:11]
	v_mul_f64_e32 v[10:11], v[118:119], v[10:11]
	v_fmac_f64_e32 v[160:161], v[6:7], v[152:153]
	v_fma_f64 v[164:165], v[4:5], v[152:153], -v[154:155]
	v_add_f64_e32 v[166:167], v[126:127], v[124:125]
	v_add_f64_e32 v[156:157], v[156:157], v[162:163]
	ds_load_b128 v[4:7], v2 offset:1184
	ds_load_b128 v[124:127], v2 offset:1200
	scratch_load_b128 v[152:155], off, off offset:656
	v_fmac_f64_e32 v[158:159], v[118:119], v[8:9]
	v_fma_f64 v[116:117], v[116:117], v[8:9], -v[10:11]
	scratch_load_b128 v[8:11], off, off offset:672
	s_wait_loadcnt_dscnt 0xb01
	v_mul_f64_e32 v[162:163], v[4:5], v[142:143]
	v_mul_f64_e32 v[142:143], v[6:7], v[142:143]
	v_add_f64_e32 v[118:119], v[166:167], v[164:165]
	v_add_f64_e32 v[156:157], v[156:157], v[160:161]
	s_wait_loadcnt_dscnt 0xa00
	v_mul_f64_e32 v[160:161], v[124:125], v[18:19]
	v_mul_f64_e32 v[18:19], v[126:127], v[18:19]
	v_fmac_f64_e32 v[162:163], v[6:7], v[140:141]
	v_fma_f64 v[140:141], v[4:5], v[140:141], -v[142:143]
	v_add_f64_e32 v[142:143], v[118:119], v[116:117]
	v_add_f64_e32 v[156:157], v[156:157], v[158:159]
	ds_load_b128 v[4:7], v2 offset:1216
	ds_load_b128 v[116:119], v2 offset:1232
	v_fmac_f64_e32 v[160:161], v[126:127], v[16:17]
	v_fma_f64 v[16:17], v[124:125], v[16:17], -v[18:19]
	s_wait_loadcnt_dscnt 0x901
	v_mul_f64_e32 v[158:159], v[4:5], v[150:151]
	v_mul_f64_e32 v[150:151], v[6:7], v[150:151]
	s_wait_loadcnt_dscnt 0x800
	v_mul_f64_e32 v[126:127], v[116:117], v[14:15]
	v_add_f64_e32 v[18:19], v[142:143], v[140:141]
	v_add_f64_e32 v[124:125], v[156:157], v[162:163]
	v_mul_f64_e32 v[140:141], v[118:119], v[14:15]
	v_fmac_f64_e32 v[158:159], v[6:7], v[148:149]
	v_fma_f64 v[142:143], v[4:5], v[148:149], -v[150:151]
	v_fmac_f64_e32 v[126:127], v[118:119], v[12:13]
	v_add_f64_e32 v[18:19], v[18:19], v[16:17]
	v_add_f64_e32 v[124:125], v[124:125], v[160:161]
	ds_load_b128 v[4:7], v2 offset:1248
	ds_load_b128 v[14:17], v2 offset:1264
	v_fma_f64 v[12:13], v[116:117], v[12:13], -v[140:141]
	s_wait_loadcnt_dscnt 0x701
	v_mul_f64_e32 v[148:149], v[4:5], v[130:131]
	v_mul_f64_e32 v[130:131], v[6:7], v[130:131]
	v_add_f64_e32 v[18:19], v[18:19], v[142:143]
	v_add_f64_e32 v[116:117], v[124:125], v[158:159]
	s_wait_loadcnt_dscnt 0x600
	v_mul_f64_e32 v[124:125], v[14:15], v[22:23]
	v_mul_f64_e32 v[22:23], v[16:17], v[22:23]
	v_fmac_f64_e32 v[148:149], v[6:7], v[128:129]
	v_fma_f64 v[128:129], v[4:5], v[128:129], -v[130:131]
	v_add_f64_e32 v[12:13], v[18:19], v[12:13]
	v_add_f64_e32 v[18:19], v[116:117], v[126:127]
	ds_load_b128 v[4:7], v2 offset:1280
	ds_load_b128 v[116:119], v2 offset:1296
	v_fmac_f64_e32 v[124:125], v[16:17], v[20:21]
	v_fma_f64 v[14:15], v[14:15], v[20:21], -v[22:23]
	s_wait_loadcnt_dscnt 0x501
	v_mul_f64_e32 v[126:127], v[4:5], v[134:135]
	v_mul_f64_e32 v[130:131], v[6:7], v[134:135]
	s_wait_loadcnt_dscnt 0x400
	v_mul_f64_e32 v[20:21], v[118:119], v[114:115]
	v_add_f64_e32 v[12:13], v[12:13], v[128:129]
	v_add_f64_e32 v[16:17], v[18:19], v[148:149]
	v_mul_f64_e32 v[18:19], v[116:117], v[114:115]
	v_fmac_f64_e32 v[126:127], v[6:7], v[132:133]
	v_fma_f64 v[22:23], v[4:5], v[132:133], -v[130:131]
	v_fma_f64 v[20:21], v[116:117], v[112:113], -v[20:21]
	v_add_f64_e32 v[114:115], v[12:13], v[14:15]
	v_add_f64_e32 v[16:17], v[16:17], v[124:125]
	ds_load_b128 v[4:7], v2 offset:1312
	ds_load_b128 v[12:15], v2 offset:1328
	v_fmac_f64_e32 v[18:19], v[118:119], v[112:113]
	s_wait_loadcnt_dscnt 0x301
	v_mul_f64_e32 v[124:125], v[4:5], v[138:139]
	v_mul_f64_e32 v[128:129], v[6:7], v[138:139]
	s_wait_loadcnt_dscnt 0x200
	v_mul_f64_e32 v[112:113], v[12:13], v[122:123]
	v_add_f64_e32 v[22:23], v[114:115], v[22:23]
	v_add_f64_e32 v[16:17], v[16:17], v[126:127]
	v_mul_f64_e32 v[114:115], v[14:15], v[122:123]
	v_fmac_f64_e32 v[124:125], v[6:7], v[136:137]
	v_fma_f64 v[116:117], v[4:5], v[136:137], -v[128:129]
	v_fmac_f64_e32 v[112:113], v[14:15], v[120:121]
	v_add_f64_e32 v[20:21], v[22:23], v[20:21]
	v_add_f64_e32 v[22:23], v[16:17], v[18:19]
	ds_load_b128 v[4:7], v2 offset:1344
	ds_load_b128 v[16:19], v2 offset:1360
	v_fma_f64 v[12:13], v[12:13], v[120:121], -v[114:115]
	s_wait_loadcnt_dscnt 0x101
	v_mul_f64_e32 v[2:3], v[4:5], v[154:155]
	v_mul_f64_e32 v[118:119], v[6:7], v[154:155]
	v_add_f64_e32 v[14:15], v[20:21], v[116:117]
	v_add_f64_e32 v[20:21], v[22:23], v[124:125]
	s_wait_loadcnt_dscnt 0x0
	v_mul_f64_e32 v[22:23], v[16:17], v[10:11]
	v_mul_f64_e32 v[10:11], v[18:19], v[10:11]
	v_fmac_f64_e32 v[2:3], v[6:7], v[152:153]
	v_fma_f64 v[4:5], v[4:5], v[152:153], -v[118:119]
	v_add_f64_e32 v[6:7], v[14:15], v[12:13]
	v_add_f64_e32 v[12:13], v[20:21], v[112:113]
	v_fmac_f64_e32 v[22:23], v[18:19], v[8:9]
	v_fma_f64 v[8:9], v[16:17], v[8:9], -v[10:11]
	s_delay_alu instid0(VALU_DEP_4) | instskip(NEXT) | instid1(VALU_DEP_4)
	v_add_f64_e32 v[4:5], v[6:7], v[4:5]
	v_add_f64_e32 v[2:3], v[12:13], v[2:3]
	s_delay_alu instid0(VALU_DEP_2) | instskip(NEXT) | instid1(VALU_DEP_2)
	v_add_f64_e32 v[4:5], v[4:5], v[8:9]
	v_add_f64_e32 v[6:7], v[2:3], v[22:23]
	s_delay_alu instid0(VALU_DEP_2) | instskip(NEXT) | instid1(VALU_DEP_2)
	v_add_f64_e64 v[2:3], v[144:145], -v[4:5]
	v_add_f64_e64 v[4:5], v[146:147], -v[6:7]
	scratch_store_b128 off, v[2:5], off offset:64
	s_wait_xcnt 0x0
	v_cmpx_lt_u32_e32 3, v1
	s_cbranch_execz .LBB42_265
; %bb.264:
	scratch_load_b128 v[2:5], off, s41
	v_mov_b32_e32 v6, 0
	s_delay_alu instid0(VALU_DEP_1)
	v_dual_mov_b32 v7, v6 :: v_dual_mov_b32 v8, v6
	v_mov_b32_e32 v9, v6
	scratch_store_b128 off, v[6:9], off offset:48
	s_wait_loadcnt 0x0
	ds_store_b128 v110, v[2:5]
.LBB42_265:
	s_wait_xcnt 0x0
	s_or_b32 exec_lo, exec_lo, s2
	s_wait_storecnt_dscnt 0x0
	s_barrier_signal -1
	s_barrier_wait -1
	s_clause 0x9
	scratch_load_b128 v[4:7], off, off offset:64
	scratch_load_b128 v[8:11], off, off offset:80
	;; [unrolled: 1-line block ×10, first 2 shown]
	v_mov_b32_e32 v2, 0
	s_mov_b32 s2, exec_lo
	ds_load_b128 v[132:135], v2 offset:752
	s_clause 0x2
	scratch_load_b128 v[136:139], off, off offset:224
	scratch_load_b128 v[140:143], off, off offset:48
	;; [unrolled: 1-line block ×3, first 2 shown]
	s_wait_loadcnt_dscnt 0xc00
	v_mul_f64_e32 v[152:153], v[134:135], v[6:7]
	v_mul_f64_e32 v[156:157], v[132:133], v[6:7]
	ds_load_b128 v[144:147], v2 offset:768
	v_fma_f64 v[160:161], v[132:133], v[4:5], -v[152:153]
	v_fmac_f64_e32 v[156:157], v[134:135], v[4:5]
	ds_load_b128 v[4:7], v2 offset:784
	s_wait_loadcnt_dscnt 0xb01
	v_mul_f64_e32 v[158:159], v[144:145], v[10:11]
	v_mul_f64_e32 v[10:11], v[146:147], v[10:11]
	scratch_load_b128 v[132:135], off, off offset:256
	ds_load_b128 v[152:155], v2 offset:800
	s_wait_loadcnt_dscnt 0xb01
	v_mul_f64_e32 v[162:163], v[4:5], v[14:15]
	v_mul_f64_e32 v[14:15], v[6:7], v[14:15]
	v_add_f64_e32 v[156:157], 0, v[156:157]
	v_fmac_f64_e32 v[158:159], v[146:147], v[8:9]
	v_fma_f64 v[144:145], v[144:145], v[8:9], -v[10:11]
	v_add_f64_e32 v[146:147], 0, v[160:161]
	scratch_load_b128 v[8:11], off, off offset:272
	v_fmac_f64_e32 v[162:163], v[6:7], v[12:13]
	v_fma_f64 v[164:165], v[4:5], v[12:13], -v[14:15]
	ds_load_b128 v[4:7], v2 offset:816
	s_wait_loadcnt_dscnt 0xb01
	v_mul_f64_e32 v[160:161], v[152:153], v[18:19]
	v_mul_f64_e32 v[18:19], v[154:155], v[18:19]
	scratch_load_b128 v[12:15], off, off offset:288
	v_add_f64_e32 v[156:157], v[156:157], v[158:159]
	v_add_f64_e32 v[166:167], v[146:147], v[144:145]
	ds_load_b128 v[144:147], v2 offset:832
	s_wait_loadcnt_dscnt 0xb01
	v_mul_f64_e32 v[158:159], v[4:5], v[22:23]
	v_mul_f64_e32 v[22:23], v[6:7], v[22:23]
	v_fmac_f64_e32 v[160:161], v[154:155], v[16:17]
	v_fma_f64 v[152:153], v[152:153], v[16:17], -v[18:19]
	scratch_load_b128 v[16:19], off, off offset:304
	v_add_f64_e32 v[156:157], v[156:157], v[162:163]
	v_add_f64_e32 v[154:155], v[166:167], v[164:165]
	v_fmac_f64_e32 v[158:159], v[6:7], v[20:21]
	v_fma_f64 v[164:165], v[4:5], v[20:21], -v[22:23]
	ds_load_b128 v[4:7], v2 offset:848
	s_wait_loadcnt_dscnt 0xb01
	v_mul_f64_e32 v[162:163], v[144:145], v[114:115]
	v_mul_f64_e32 v[114:115], v[146:147], v[114:115]
	scratch_load_b128 v[20:23], off, off offset:320
	v_add_f64_e32 v[156:157], v[156:157], v[160:161]
	s_wait_loadcnt_dscnt 0xb00
	v_mul_f64_e32 v[160:161], v[4:5], v[118:119]
	v_add_f64_e32 v[166:167], v[154:155], v[152:153]
	v_mul_f64_e32 v[118:119], v[6:7], v[118:119]
	ds_load_b128 v[152:155], v2 offset:864
	v_fmac_f64_e32 v[162:163], v[146:147], v[112:113]
	v_fma_f64 v[144:145], v[144:145], v[112:113], -v[114:115]
	scratch_load_b128 v[112:115], off, off offset:336
	v_add_f64_e32 v[156:157], v[156:157], v[158:159]
	v_fmac_f64_e32 v[160:161], v[6:7], v[116:117]
	v_add_f64_e32 v[146:147], v[166:167], v[164:165]
	v_fma_f64 v[164:165], v[4:5], v[116:117], -v[118:119]
	ds_load_b128 v[4:7], v2 offset:880
	s_wait_loadcnt_dscnt 0xb01
	v_mul_f64_e32 v[158:159], v[152:153], v[122:123]
	v_mul_f64_e32 v[122:123], v[154:155], v[122:123]
	scratch_load_b128 v[116:119], off, off offset:352
	v_add_f64_e32 v[156:157], v[156:157], v[162:163]
	s_wait_loadcnt_dscnt 0xb00
	v_mul_f64_e32 v[162:163], v[4:5], v[126:127]
	v_add_f64_e32 v[166:167], v[146:147], v[144:145]
	v_mul_f64_e32 v[126:127], v[6:7], v[126:127]
	ds_load_b128 v[144:147], v2 offset:896
	v_fmac_f64_e32 v[158:159], v[154:155], v[120:121]
	v_fma_f64 v[152:153], v[152:153], v[120:121], -v[122:123]
	scratch_load_b128 v[120:123], off, off offset:368
	v_add_f64_e32 v[156:157], v[156:157], v[160:161]
	v_fmac_f64_e32 v[162:163], v[6:7], v[124:125]
	v_add_f64_e32 v[154:155], v[166:167], v[164:165]
	;; [unrolled: 18-line block ×3, first 2 shown]
	v_fma_f64 v[164:165], v[4:5], v[136:137], -v[138:139]
	ds_load_b128 v[4:7], v2 offset:944
	s_wait_loadcnt_dscnt 0xa01
	v_mul_f64_e32 v[162:163], v[152:153], v[150:151]
	v_mul_f64_e32 v[150:151], v[154:155], v[150:151]
	scratch_load_b128 v[136:139], off, off offset:416
	v_add_f64_e32 v[156:157], v[156:157], v[160:161]
	v_add_f64_e32 v[166:167], v[146:147], v[144:145]
	s_wait_loadcnt_dscnt 0xa00
	v_mul_f64_e32 v[160:161], v[4:5], v[134:135]
	v_mul_f64_e32 v[134:135], v[6:7], v[134:135]
	v_fmac_f64_e32 v[162:163], v[154:155], v[148:149]
	v_fma_f64 v[152:153], v[152:153], v[148:149], -v[150:151]
	ds_load_b128 v[144:147], v2 offset:960
	scratch_load_b128 v[148:151], off, off offset:432
	v_add_f64_e32 v[156:157], v[156:157], v[158:159]
	v_add_f64_e32 v[154:155], v[166:167], v[164:165]
	v_fmac_f64_e32 v[160:161], v[6:7], v[132:133]
	v_fma_f64 v[164:165], v[4:5], v[132:133], -v[134:135]
	ds_load_b128 v[4:7], v2 offset:976
	s_wait_loadcnt_dscnt 0xa01
	v_mul_f64_e32 v[158:159], v[144:145], v[10:11]
	v_mul_f64_e32 v[10:11], v[146:147], v[10:11]
	scratch_load_b128 v[132:135], off, off offset:448
	v_add_f64_e32 v[156:157], v[156:157], v[162:163]
	s_wait_loadcnt_dscnt 0xa00
	v_mul_f64_e32 v[162:163], v[4:5], v[14:15]
	v_add_f64_e32 v[166:167], v[154:155], v[152:153]
	v_mul_f64_e32 v[14:15], v[6:7], v[14:15]
	ds_load_b128 v[152:155], v2 offset:992
	v_fmac_f64_e32 v[158:159], v[146:147], v[8:9]
	v_fma_f64 v[144:145], v[144:145], v[8:9], -v[10:11]
	scratch_load_b128 v[8:11], off, off offset:464
	v_add_f64_e32 v[156:157], v[156:157], v[160:161]
	v_fmac_f64_e32 v[162:163], v[6:7], v[12:13]
	v_add_f64_e32 v[146:147], v[166:167], v[164:165]
	v_fma_f64 v[164:165], v[4:5], v[12:13], -v[14:15]
	ds_load_b128 v[4:7], v2 offset:1008
	s_wait_loadcnt_dscnt 0xa01
	v_mul_f64_e32 v[160:161], v[152:153], v[18:19]
	v_mul_f64_e32 v[18:19], v[154:155], v[18:19]
	scratch_load_b128 v[12:15], off, off offset:480
	v_add_f64_e32 v[156:157], v[156:157], v[158:159]
	s_wait_loadcnt_dscnt 0xa00
	v_mul_f64_e32 v[158:159], v[4:5], v[22:23]
	v_add_f64_e32 v[166:167], v[146:147], v[144:145]
	v_mul_f64_e32 v[22:23], v[6:7], v[22:23]
	ds_load_b128 v[144:147], v2 offset:1024
	v_fmac_f64_e32 v[160:161], v[154:155], v[16:17]
	v_fma_f64 v[152:153], v[152:153], v[16:17], -v[18:19]
	scratch_load_b128 v[16:19], off, off offset:496
	v_add_f64_e32 v[156:157], v[156:157], v[162:163]
	v_fmac_f64_e32 v[158:159], v[6:7], v[20:21]
	v_add_f64_e32 v[154:155], v[166:167], v[164:165]
	;; [unrolled: 18-line block ×7, first 2 shown]
	v_fma_f64 v[164:165], v[4:5], v[12:13], -v[14:15]
	ds_load_b128 v[4:7], v2 offset:1200
	s_wait_loadcnt_dscnt 0xa01
	v_mul_f64_e32 v[160:161], v[152:153], v[18:19]
	v_mul_f64_e32 v[18:19], v[154:155], v[18:19]
	scratch_load_b128 v[12:15], off, off offset:672
	v_add_f64_e32 v[156:157], v[156:157], v[158:159]
	s_wait_loadcnt_dscnt 0xa00
	v_mul_f64_e32 v[158:159], v[4:5], v[22:23]
	v_add_f64_e32 v[166:167], v[146:147], v[144:145]
	v_mul_f64_e32 v[22:23], v[6:7], v[22:23]
	ds_load_b128 v[144:147], v2 offset:1216
	v_fmac_f64_e32 v[160:161], v[154:155], v[16:17]
	v_fma_f64 v[16:17], v[152:153], v[16:17], -v[18:19]
	s_wait_loadcnt_dscnt 0x900
	v_mul_f64_e32 v[154:155], v[144:145], v[114:115]
	v_mul_f64_e32 v[114:115], v[146:147], v[114:115]
	v_add_f64_e32 v[152:153], v[156:157], v[162:163]
	v_fmac_f64_e32 v[158:159], v[6:7], v[20:21]
	v_add_f64_e32 v[18:19], v[166:167], v[164:165]
	v_fma_f64 v[20:21], v[4:5], v[20:21], -v[22:23]
	v_fmac_f64_e32 v[154:155], v[146:147], v[112:113]
	v_fma_f64 v[112:113], v[144:145], v[112:113], -v[114:115]
	v_add_f64_e32 v[152:153], v[152:153], v[160:161]
	v_add_f64_e32 v[22:23], v[18:19], v[16:17]
	ds_load_b128 v[4:7], v2 offset:1232
	ds_load_b128 v[16:19], v2 offset:1248
	s_wait_loadcnt_dscnt 0x801
	v_mul_f64_e32 v[156:157], v[4:5], v[118:119]
	v_mul_f64_e32 v[118:119], v[6:7], v[118:119]
	s_wait_loadcnt_dscnt 0x700
	v_mul_f64_e32 v[114:115], v[16:17], v[122:123]
	v_mul_f64_e32 v[122:123], v[18:19], v[122:123]
	v_add_f64_e32 v[20:21], v[22:23], v[20:21]
	v_add_f64_e32 v[22:23], v[152:153], v[158:159]
	v_fmac_f64_e32 v[156:157], v[6:7], v[116:117]
	v_fma_f64 v[116:117], v[4:5], v[116:117], -v[118:119]
	v_fmac_f64_e32 v[114:115], v[18:19], v[120:121]
	v_fma_f64 v[16:17], v[16:17], v[120:121], -v[122:123]
	v_add_f64_e32 v[112:113], v[20:21], v[112:113]
	v_add_f64_e32 v[118:119], v[22:23], v[154:155]
	ds_load_b128 v[4:7], v2 offset:1264
	ds_load_b128 v[20:23], v2 offset:1280
	s_wait_loadcnt_dscnt 0x601
	v_mul_f64_e32 v[144:145], v[4:5], v[126:127]
	v_mul_f64_e32 v[126:127], v[6:7], v[126:127]
	v_add_f64_e32 v[18:19], v[112:113], v[116:117]
	v_add_f64_e32 v[112:113], v[118:119], v[156:157]
	s_wait_loadcnt_dscnt 0x500
	v_mul_f64_e32 v[116:117], v[20:21], v[130:131]
	v_mul_f64_e32 v[118:119], v[22:23], v[130:131]
	v_fmac_f64_e32 v[144:145], v[6:7], v[124:125]
	v_fma_f64 v[120:121], v[4:5], v[124:125], -v[126:127]
	v_add_f64_e32 v[122:123], v[18:19], v[16:17]
	v_add_f64_e32 v[112:113], v[112:113], v[114:115]
	ds_load_b128 v[4:7], v2 offset:1296
	ds_load_b128 v[16:19], v2 offset:1312
	v_fmac_f64_e32 v[116:117], v[22:23], v[128:129]
	v_fma_f64 v[20:21], v[20:21], v[128:129], -v[118:119]
	s_wait_loadcnt_dscnt 0x401
	v_mul_f64_e32 v[114:115], v[4:5], v[138:139]
	v_mul_f64_e32 v[124:125], v[6:7], v[138:139]
	s_wait_loadcnt_dscnt 0x300
	v_mul_f64_e32 v[118:119], v[16:17], v[150:151]
	v_add_f64_e32 v[22:23], v[122:123], v[120:121]
	v_add_f64_e32 v[112:113], v[112:113], v[144:145]
	v_mul_f64_e32 v[120:121], v[18:19], v[150:151]
	v_fmac_f64_e32 v[114:115], v[6:7], v[136:137]
	v_fma_f64 v[122:123], v[4:5], v[136:137], -v[124:125]
	v_fmac_f64_e32 v[118:119], v[18:19], v[148:149]
	v_add_f64_e32 v[124:125], v[22:23], v[20:21]
	v_add_f64_e32 v[112:113], v[112:113], v[116:117]
	ds_load_b128 v[4:7], v2 offset:1328
	ds_load_b128 v[20:23], v2 offset:1344
	v_fma_f64 v[16:17], v[16:17], v[148:149], -v[120:121]
	s_wait_loadcnt_dscnt 0x201
	v_mul_f64_e32 v[116:117], v[4:5], v[134:135]
	v_mul_f64_e32 v[126:127], v[6:7], v[134:135]
	v_add_f64_e32 v[18:19], v[124:125], v[122:123]
	v_add_f64_e32 v[112:113], v[112:113], v[114:115]
	s_wait_loadcnt_dscnt 0x100
	v_mul_f64_e32 v[114:115], v[20:21], v[10:11]
	v_mul_f64_e32 v[10:11], v[22:23], v[10:11]
	v_fmac_f64_e32 v[116:117], v[6:7], v[132:133]
	v_fma_f64 v[120:121], v[4:5], v[132:133], -v[126:127]
	ds_load_b128 v[4:7], v2 offset:1360
	v_add_f64_e32 v[16:17], v[18:19], v[16:17]
	v_add_f64_e32 v[18:19], v[112:113], v[118:119]
	v_fmac_f64_e32 v[114:115], v[22:23], v[8:9]
	v_fma_f64 v[8:9], v[20:21], v[8:9], -v[10:11]
	s_wait_loadcnt_dscnt 0x0
	v_mul_f64_e32 v[112:113], v[4:5], v[14:15]
	v_mul_f64_e32 v[14:15], v[6:7], v[14:15]
	v_add_f64_e32 v[10:11], v[16:17], v[120:121]
	v_add_f64_e32 v[16:17], v[18:19], v[116:117]
	s_delay_alu instid0(VALU_DEP_4) | instskip(NEXT) | instid1(VALU_DEP_4)
	v_fmac_f64_e32 v[112:113], v[6:7], v[12:13]
	v_fma_f64 v[4:5], v[4:5], v[12:13], -v[14:15]
	s_delay_alu instid0(VALU_DEP_4) | instskip(NEXT) | instid1(VALU_DEP_4)
	v_add_f64_e32 v[6:7], v[10:11], v[8:9]
	v_add_f64_e32 v[8:9], v[16:17], v[114:115]
	s_delay_alu instid0(VALU_DEP_2) | instskip(NEXT) | instid1(VALU_DEP_2)
	v_add_f64_e32 v[4:5], v[6:7], v[4:5]
	v_add_f64_e32 v[6:7], v[8:9], v[112:113]
	s_delay_alu instid0(VALU_DEP_2) | instskip(NEXT) | instid1(VALU_DEP_2)
	v_add_f64_e64 v[4:5], v[140:141], -v[4:5]
	v_add_f64_e64 v[6:7], v[142:143], -v[6:7]
	scratch_store_b128 off, v[4:7], off offset:48
	s_wait_xcnt 0x0
	v_cmpx_lt_u32_e32 2, v1
	s_cbranch_execz .LBB42_267
; %bb.266:
	scratch_load_b128 v[6:9], off, s38
	v_dual_mov_b32 v3, v2 :: v_dual_mov_b32 v4, v2
	v_mov_b32_e32 v5, v2
	scratch_store_b128 off, v[2:5], off offset:32
	s_wait_loadcnt 0x0
	ds_store_b128 v110, v[6:9]
.LBB42_267:
	s_wait_xcnt 0x0
	s_or_b32 exec_lo, exec_lo, s2
	s_wait_storecnt_dscnt 0x0
	s_barrier_signal -1
	s_barrier_wait -1
	s_clause 0x9
	scratch_load_b128 v[4:7], off, off offset:48
	scratch_load_b128 v[8:11], off, off offset:64
	scratch_load_b128 v[12:15], off, off offset:80
	scratch_load_b128 v[16:19], off, off offset:96
	scratch_load_b128 v[20:23], off, off offset:112
	scratch_load_b128 v[112:115], off, off offset:128
	scratch_load_b128 v[116:119], off, off offset:144
	scratch_load_b128 v[120:123], off, off offset:160
	scratch_load_b128 v[124:127], off, off offset:176
	scratch_load_b128 v[128:131], off, off offset:192
	ds_load_b128 v[132:135], v2 offset:736
	ds_load_b128 v[140:143], v2 offset:752
	s_clause 0x2
	scratch_load_b128 v[136:139], off, off offset:208
	scratch_load_b128 v[144:147], off, off offset:32
	;; [unrolled: 1-line block ×3, first 2 shown]
	s_mov_b32 s2, exec_lo
	v_ashrrev_i32_e32 v29, 31, v28
	v_ashrrev_i32_e32 v33, 31, v32
	;; [unrolled: 1-line block ×3, first 2 shown]
	v_dual_ashrrev_i32 v41, 31, v40 :: v_dual_ashrrev_i32 v31, 31, v30
	v_dual_ashrrev_i32 v35, 31, v34 :: v_dual_ashrrev_i32 v45, 31, v44
	;; [unrolled: 1-line block ×8, first 2 shown]
	v_ashrrev_i32_e32 v73, 31, v72
	v_ashrrev_i32_e32 v77, 31, v76
	v_dual_ashrrev_i32 v81, 31, v80 :: v_dual_ashrrev_i32 v63, 31, v62
	v_ashrrev_i32_e32 v67, 31, v66
	v_ashrrev_i32_e32 v71, 31, v70
	v_dual_ashrrev_i32 v75, 31, v74 :: v_dual_ashrrev_i32 v85, 31, v84
	v_dual_ashrrev_i32 v89, 31, v88 :: v_dual_ashrrev_i32 v79, 31, v78
	;; [unrolled: 1-line block ×3, first 2 shown]
	v_ashrrev_i32_e32 v97, 31, v96
	v_dual_ashrrev_i32 v101, 31, v100 :: v_dual_ashrrev_i32 v87, 31, v86
	v_dual_ashrrev_i32 v105, 31, v104 :: v_dual_ashrrev_i32 v91, 31, v90
	;; [unrolled: 1-line block ×3, first 2 shown]
	v_ashrrev_i32_e32 v99, 31, v98
	v_ashrrev_i32_e32 v103, 31, v102
	v_ashrrev_i32_e32 v107, 31, v106
	s_wait_loadcnt_dscnt 0xc01
	v_mul_f64_e32 v[152:153], v[134:135], v[6:7]
	v_mul_f64_e32 v[156:157], v[132:133], v[6:7]
	s_wait_loadcnt_dscnt 0xb00
	v_mul_f64_e32 v[158:159], v[140:141], v[10:11]
	v_mul_f64_e32 v[10:11], v[142:143], v[10:11]
	s_delay_alu instid0(VALU_DEP_4) | instskip(NEXT) | instid1(VALU_DEP_4)
	v_fma_f64 v[160:161], v[132:133], v[4:5], -v[152:153]
	v_fmac_f64_e32 v[156:157], v[134:135], v[4:5]
	ds_load_b128 v[4:7], v2 offset:768
	ds_load_b128 v[152:155], v2 offset:784
	scratch_load_b128 v[132:135], off, off offset:240
	v_fmac_f64_e32 v[158:159], v[142:143], v[8:9]
	v_fma_f64 v[140:141], v[140:141], v[8:9], -v[10:11]
	scratch_load_b128 v[8:11], off, off offset:256
	s_wait_loadcnt_dscnt 0xc01
	v_mul_f64_e32 v[162:163], v[4:5], v[14:15]
	v_mul_f64_e32 v[14:15], v[6:7], v[14:15]
	v_add_f64_e32 v[142:143], 0, v[160:161]
	v_add_f64_e32 v[156:157], 0, v[156:157]
	s_wait_loadcnt_dscnt 0xb00
	v_mul_f64_e32 v[160:161], v[152:153], v[18:19]
	v_mul_f64_e32 v[18:19], v[154:155], v[18:19]
	v_fmac_f64_e32 v[162:163], v[6:7], v[12:13]
	v_fma_f64 v[164:165], v[4:5], v[12:13], -v[14:15]
	ds_load_b128 v[4:7], v2 offset:800
	scratch_load_b128 v[12:15], off, off offset:272
	v_add_f64_e32 v[166:167], v[142:143], v[140:141]
	v_add_f64_e32 v[156:157], v[156:157], v[158:159]
	ds_load_b128 v[140:143], v2 offset:816
	v_fmac_f64_e32 v[160:161], v[154:155], v[16:17]
	v_fma_f64 v[152:153], v[152:153], v[16:17], -v[18:19]
	scratch_load_b128 v[16:19], off, off offset:288
	s_wait_loadcnt_dscnt 0xc01
	v_mul_f64_e32 v[158:159], v[4:5], v[22:23]
	v_mul_f64_e32 v[22:23], v[6:7], v[22:23]
	v_add_f64_e32 v[154:155], v[166:167], v[164:165]
	v_add_f64_e32 v[156:157], v[156:157], v[162:163]
	s_wait_loadcnt_dscnt 0xb00
	v_mul_f64_e32 v[162:163], v[140:141], v[114:115]
	v_mul_f64_e32 v[114:115], v[142:143], v[114:115]
	v_fmac_f64_e32 v[158:159], v[6:7], v[20:21]
	v_fma_f64 v[164:165], v[4:5], v[20:21], -v[22:23]
	ds_load_b128 v[4:7], v2 offset:832
	scratch_load_b128 v[20:23], off, off offset:304
	v_add_f64_e32 v[166:167], v[154:155], v[152:153]
	v_add_f64_e32 v[156:157], v[156:157], v[160:161]
	ds_load_b128 v[152:155], v2 offset:848
	s_wait_loadcnt_dscnt 0xb01
	v_mul_f64_e32 v[160:161], v[4:5], v[118:119]
	v_mul_f64_e32 v[118:119], v[6:7], v[118:119]
	v_fmac_f64_e32 v[162:163], v[142:143], v[112:113]
	v_fma_f64 v[140:141], v[140:141], v[112:113], -v[114:115]
	scratch_load_b128 v[112:115], off, off offset:320
	v_add_f64_e32 v[142:143], v[166:167], v[164:165]
	v_add_f64_e32 v[156:157], v[156:157], v[158:159]
	s_wait_loadcnt_dscnt 0xb00
	v_mul_f64_e32 v[158:159], v[152:153], v[122:123]
	v_mul_f64_e32 v[122:123], v[154:155], v[122:123]
	v_fmac_f64_e32 v[160:161], v[6:7], v[116:117]
	v_fma_f64 v[164:165], v[4:5], v[116:117], -v[118:119]
	ds_load_b128 v[4:7], v2 offset:864
	scratch_load_b128 v[116:119], off, off offset:336
	v_add_f64_e32 v[166:167], v[142:143], v[140:141]
	v_add_f64_e32 v[156:157], v[156:157], v[162:163]
	ds_load_b128 v[140:143], v2 offset:880
	s_wait_loadcnt_dscnt 0xb01
	v_mul_f64_e32 v[162:163], v[4:5], v[126:127]
	v_mul_f64_e32 v[126:127], v[6:7], v[126:127]
	v_fmac_f64_e32 v[158:159], v[154:155], v[120:121]
	v_fma_f64 v[152:153], v[152:153], v[120:121], -v[122:123]
	scratch_load_b128 v[120:123], off, off offset:352
	;; [unrolled: 18-line block ×3, first 2 shown]
	v_add_f64_e32 v[142:143], v[166:167], v[164:165]
	v_add_f64_e32 v[156:157], v[156:157], v[162:163]
	s_wait_loadcnt_dscnt 0xa00
	v_mul_f64_e32 v[162:163], v[152:153], v[150:151]
	v_mul_f64_e32 v[150:151], v[154:155], v[150:151]
	v_fmac_f64_e32 v[158:159], v[6:7], v[136:137]
	v_fma_f64 v[164:165], v[4:5], v[136:137], -v[138:139]
	ds_load_b128 v[4:7], v2 offset:928
	scratch_load_b128 v[136:139], off, off offset:400
	v_add_f64_e32 v[166:167], v[142:143], v[140:141]
	v_add_f64_e32 v[156:157], v[156:157], v[160:161]
	ds_load_b128 v[140:143], v2 offset:944
	v_fmac_f64_e32 v[162:163], v[154:155], v[148:149]
	s_wait_loadcnt_dscnt 0xa01
	v_mul_f64_e32 v[160:161], v[4:5], v[134:135]
	v_mul_f64_e32 v[134:135], v[6:7], v[134:135]
	v_fma_f64 v[152:153], v[152:153], v[148:149], -v[150:151]
	scratch_load_b128 v[148:151], off, off offset:416
	v_add_f64_e32 v[154:155], v[166:167], v[164:165]
	v_add_f64_e32 v[156:157], v[156:157], v[158:159]
	s_wait_loadcnt_dscnt 0xa00
	v_mul_f64_e32 v[158:159], v[140:141], v[10:11]
	v_mul_f64_e32 v[10:11], v[142:143], v[10:11]
	v_fmac_f64_e32 v[160:161], v[6:7], v[132:133]
	v_fma_f64 v[164:165], v[4:5], v[132:133], -v[134:135]
	ds_load_b128 v[4:7], v2 offset:960
	scratch_load_b128 v[132:135], off, off offset:432
	v_add_f64_e32 v[166:167], v[154:155], v[152:153]
	v_add_f64_e32 v[156:157], v[156:157], v[162:163]
	ds_load_b128 v[152:155], v2 offset:976
	s_wait_loadcnt_dscnt 0xa01
	v_mul_f64_e32 v[162:163], v[4:5], v[14:15]
	v_mul_f64_e32 v[14:15], v[6:7], v[14:15]
	v_fmac_f64_e32 v[158:159], v[142:143], v[8:9]
	v_fma_f64 v[140:141], v[140:141], v[8:9], -v[10:11]
	scratch_load_b128 v[8:11], off, off offset:448
	v_add_f64_e32 v[142:143], v[166:167], v[164:165]
	v_add_f64_e32 v[156:157], v[156:157], v[160:161]
	s_wait_loadcnt_dscnt 0xa00
	v_mul_f64_e32 v[160:161], v[152:153], v[18:19]
	v_mul_f64_e32 v[18:19], v[154:155], v[18:19]
	v_fmac_f64_e32 v[162:163], v[6:7], v[12:13]
	v_fma_f64 v[164:165], v[4:5], v[12:13], -v[14:15]
	ds_load_b128 v[4:7], v2 offset:992
	scratch_load_b128 v[12:15], off, off offset:464
	v_add_f64_e32 v[166:167], v[142:143], v[140:141]
	v_add_f64_e32 v[156:157], v[156:157], v[158:159]
	ds_load_b128 v[140:143], v2 offset:1008
	s_wait_loadcnt_dscnt 0xa01
	v_mul_f64_e32 v[158:159], v[4:5], v[22:23]
	v_mul_f64_e32 v[22:23], v[6:7], v[22:23]
	v_fmac_f64_e32 v[160:161], v[154:155], v[16:17]
	;; [unrolled: 18-line block ×8, first 2 shown]
	v_fma_f64 v[152:153], v[152:153], v[16:17], -v[18:19]
	scratch_load_b128 v[16:19], off, off offset:672
	v_add_f64_e32 v[154:155], v[166:167], v[164:165]
	v_add_f64_e32 v[156:157], v[156:157], v[162:163]
	s_wait_loadcnt_dscnt 0xa00
	v_mul_f64_e32 v[162:163], v[140:141], v[114:115]
	v_mul_f64_e32 v[114:115], v[142:143], v[114:115]
	v_fmac_f64_e32 v[158:159], v[6:7], v[20:21]
	v_fma_f64 v[164:165], v[4:5], v[20:21], -v[22:23]
	ds_load_b128 v[4:7], v2 offset:1216
	ds_load_b128 v[20:23], v2 offset:1232
	v_add_f64_e32 v[152:153], v[154:155], v[152:153]
	v_add_f64_e32 v[154:155], v[156:157], v[160:161]
	s_wait_loadcnt_dscnt 0x901
	v_mul_f64_e32 v[156:157], v[4:5], v[118:119]
	v_mul_f64_e32 v[118:119], v[6:7], v[118:119]
	v_fmac_f64_e32 v[162:163], v[142:143], v[112:113]
	v_fma_f64 v[112:113], v[140:141], v[112:113], -v[114:115]
	s_wait_loadcnt_dscnt 0x800
	v_mul_f64_e32 v[142:143], v[20:21], v[122:123]
	v_mul_f64_e32 v[122:123], v[22:23], v[122:123]
	v_add_f64_e32 v[114:115], v[152:153], v[164:165]
	v_add_f64_e32 v[140:141], v[154:155], v[158:159]
	v_fmac_f64_e32 v[156:157], v[6:7], v[116:117]
	v_fma_f64 v[116:117], v[4:5], v[116:117], -v[118:119]
	v_fmac_f64_e32 v[142:143], v[22:23], v[120:121]
	v_fma_f64 v[20:21], v[20:21], v[120:121], -v[122:123]
	v_add_f64_e32 v[118:119], v[114:115], v[112:113]
	v_add_f64_e32 v[140:141], v[140:141], v[162:163]
	ds_load_b128 v[4:7], v2 offset:1248
	ds_load_b128 v[112:115], v2 offset:1264
	s_wait_loadcnt_dscnt 0x701
	v_mul_f64_e32 v[152:153], v[4:5], v[126:127]
	v_mul_f64_e32 v[126:127], v[6:7], v[126:127]
	s_wait_loadcnt_dscnt 0x600
	v_mul_f64_e32 v[120:121], v[114:115], v[130:131]
	v_add_f64_e32 v[22:23], v[118:119], v[116:117]
	v_add_f64_e32 v[116:117], v[140:141], v[156:157]
	v_mul_f64_e32 v[118:119], v[112:113], v[130:131]
	v_fmac_f64_e32 v[152:153], v[6:7], v[124:125]
	v_fma_f64 v[122:123], v[4:5], v[124:125], -v[126:127]
	v_fma_f64 v[112:113], v[112:113], v[128:129], -v[120:121]
	v_add_f64_e32 v[124:125], v[22:23], v[20:21]
	v_add_f64_e32 v[116:117], v[116:117], v[142:143]
	ds_load_b128 v[4:7], v2 offset:1280
	ds_load_b128 v[20:23], v2 offset:1296
	v_fmac_f64_e32 v[118:119], v[114:115], v[128:129]
	s_wait_loadcnt_dscnt 0x501
	v_mul_f64_e32 v[126:127], v[4:5], v[138:139]
	v_mul_f64_e32 v[130:131], v[6:7], v[138:139]
	s_wait_loadcnt_dscnt 0x400
	v_mul_f64_e32 v[120:121], v[20:21], v[150:151]
	v_add_f64_e32 v[114:115], v[124:125], v[122:123]
	v_add_f64_e32 v[116:117], v[116:117], v[152:153]
	v_mul_f64_e32 v[122:123], v[22:23], v[150:151]
	v_fmac_f64_e32 v[126:127], v[6:7], v[136:137]
	v_fma_f64 v[124:125], v[4:5], v[136:137], -v[130:131]
	v_fmac_f64_e32 v[120:121], v[22:23], v[148:149]
	v_add_f64_e32 v[128:129], v[114:115], v[112:113]
	v_add_f64_e32 v[116:117], v[116:117], v[118:119]
	ds_load_b128 v[4:7], v2 offset:1312
	ds_load_b128 v[112:115], v2 offset:1328
	v_fma_f64 v[20:21], v[20:21], v[148:149], -v[122:123]
	s_wait_loadcnt_dscnt 0x301
	v_mul_f64_e32 v[118:119], v[4:5], v[134:135]
	v_mul_f64_e32 v[130:131], v[6:7], v[134:135]
	s_wait_loadcnt_dscnt 0x200
	v_mul_f64_e32 v[122:123], v[112:113], v[10:11]
	v_mul_f64_e32 v[10:11], v[114:115], v[10:11]
	v_add_f64_e32 v[22:23], v[128:129], v[124:125]
	v_add_f64_e32 v[116:117], v[116:117], v[126:127]
	v_fmac_f64_e32 v[118:119], v[6:7], v[132:133]
	v_fma_f64 v[124:125], v[4:5], v[132:133], -v[130:131]
	v_fmac_f64_e32 v[122:123], v[114:115], v[8:9]
	v_fma_f64 v[8:9], v[112:113], v[8:9], -v[10:11]
	v_add_f64_e32 v[126:127], v[22:23], v[20:21]
	v_add_f64_e32 v[116:117], v[116:117], v[120:121]
	ds_load_b128 v[4:7], v2 offset:1344
	ds_load_b128 v[20:23], v2 offset:1360
	s_wait_loadcnt_dscnt 0x101
	v_mul_f64_e32 v[2:3], v[4:5], v[14:15]
	v_mul_f64_e32 v[14:15], v[6:7], v[14:15]
	s_wait_loadcnt_dscnt 0x0
	v_mul_f64_e32 v[114:115], v[20:21], v[18:19]
	v_mul_f64_e32 v[18:19], v[22:23], v[18:19]
	v_add_f64_e32 v[10:11], v[126:127], v[124:125]
	v_add_f64_e32 v[112:113], v[116:117], v[118:119]
	v_fmac_f64_e32 v[2:3], v[6:7], v[12:13]
	v_fma_f64 v[4:5], v[4:5], v[12:13], -v[14:15]
	v_fmac_f64_e32 v[114:115], v[22:23], v[16:17]
	v_add_f64_e32 v[6:7], v[10:11], v[8:9]
	v_add_f64_e32 v[8:9], v[112:113], v[122:123]
	v_fma_f64 v[10:11], v[20:21], v[16:17], -v[18:19]
	s_delay_alu instid0(VALU_DEP_3) | instskip(NEXT) | instid1(VALU_DEP_3)
	v_add_f64_e32 v[4:5], v[6:7], v[4:5]
	v_add_f64_e32 v[2:3], v[8:9], v[2:3]
	s_delay_alu instid0(VALU_DEP_2) | instskip(NEXT) | instid1(VALU_DEP_2)
	v_add_f64_e32 v[4:5], v[4:5], v[10:11]
	v_add_f64_e32 v[6:7], v[2:3], v[114:115]
	s_delay_alu instid0(VALU_DEP_2) | instskip(NEXT) | instid1(VALU_DEP_2)
	v_add_f64_e64 v[2:3], v[144:145], -v[4:5]
	v_add_f64_e64 v[4:5], v[146:147], -v[6:7]
	scratch_store_b128 off, v[2:5], off offset:32
	s_wait_xcnt 0x0
	v_cmpx_lt_u32_e32 1, v1
	s_cbranch_execz .LBB42_269
; %bb.268:
	scratch_load_b128 v[2:5], off, s43
	v_mov_b32_e32 v6, 0
	s_delay_alu instid0(VALU_DEP_1)
	v_dual_mov_b32 v7, v6 :: v_dual_mov_b32 v8, v6
	v_mov_b32_e32 v9, v6
	scratch_store_b128 off, v[6:9], off offset:16
	s_wait_loadcnt 0x0
	ds_store_b128 v110, v[2:5]
.LBB42_269:
	s_wait_xcnt 0x0
	s_or_b32 exec_lo, exec_lo, s2
	s_wait_storecnt_dscnt 0x0
	s_barrier_signal -1
	s_barrier_wait -1
	s_clause 0x9
	scratch_load_b128 v[4:7], off, off offset:32
	scratch_load_b128 v[8:11], off, off offset:48
	;; [unrolled: 1-line block ×10, first 2 shown]
	v_mov_b32_e32 v2, 0
	s_mov_b32 s2, exec_lo
	ds_load_b128 v[132:135], v2 offset:720
	s_clause 0x2
	scratch_load_b128 v[136:139], off, off offset:192
	scratch_load_b128 v[140:143], off, off offset:16
	;; [unrolled: 1-line block ×3, first 2 shown]
	s_wait_loadcnt_dscnt 0xc00
	v_mul_f64_e32 v[152:153], v[134:135], v[6:7]
	v_mul_f64_e32 v[156:157], v[132:133], v[6:7]
	ds_load_b128 v[144:147], v2 offset:736
	v_fma_f64 v[160:161], v[132:133], v[4:5], -v[152:153]
	v_fmac_f64_e32 v[156:157], v[134:135], v[4:5]
	ds_load_b128 v[4:7], v2 offset:752
	s_wait_loadcnt_dscnt 0xb01
	v_mul_f64_e32 v[158:159], v[144:145], v[10:11]
	v_mul_f64_e32 v[10:11], v[146:147], v[10:11]
	scratch_load_b128 v[132:135], off, off offset:224
	ds_load_b128 v[152:155], v2 offset:768
	s_wait_loadcnt_dscnt 0xb01
	v_mul_f64_e32 v[162:163], v[4:5], v[14:15]
	v_mul_f64_e32 v[14:15], v[6:7], v[14:15]
	v_add_f64_e32 v[156:157], 0, v[156:157]
	v_fmac_f64_e32 v[158:159], v[146:147], v[8:9]
	v_fma_f64 v[144:145], v[144:145], v[8:9], -v[10:11]
	v_add_f64_e32 v[146:147], 0, v[160:161]
	scratch_load_b128 v[8:11], off, off offset:240
	v_fmac_f64_e32 v[162:163], v[6:7], v[12:13]
	v_fma_f64 v[164:165], v[4:5], v[12:13], -v[14:15]
	ds_load_b128 v[4:7], v2 offset:784
	s_wait_loadcnt_dscnt 0xb01
	v_mul_f64_e32 v[160:161], v[152:153], v[18:19]
	v_mul_f64_e32 v[18:19], v[154:155], v[18:19]
	scratch_load_b128 v[12:15], off, off offset:256
	v_add_f64_e32 v[156:157], v[156:157], v[158:159]
	v_add_f64_e32 v[166:167], v[146:147], v[144:145]
	ds_load_b128 v[144:147], v2 offset:800
	s_wait_loadcnt_dscnt 0xb01
	v_mul_f64_e32 v[158:159], v[4:5], v[22:23]
	v_mul_f64_e32 v[22:23], v[6:7], v[22:23]
	v_fmac_f64_e32 v[160:161], v[154:155], v[16:17]
	v_fma_f64 v[152:153], v[152:153], v[16:17], -v[18:19]
	scratch_load_b128 v[16:19], off, off offset:272
	v_add_f64_e32 v[156:157], v[156:157], v[162:163]
	v_add_f64_e32 v[154:155], v[166:167], v[164:165]
	v_fmac_f64_e32 v[158:159], v[6:7], v[20:21]
	v_fma_f64 v[164:165], v[4:5], v[20:21], -v[22:23]
	ds_load_b128 v[4:7], v2 offset:816
	s_wait_loadcnt_dscnt 0xb01
	v_mul_f64_e32 v[162:163], v[144:145], v[114:115]
	v_mul_f64_e32 v[114:115], v[146:147], v[114:115]
	scratch_load_b128 v[20:23], off, off offset:288
	v_add_f64_e32 v[156:157], v[156:157], v[160:161]
	s_wait_loadcnt_dscnt 0xb00
	v_mul_f64_e32 v[160:161], v[4:5], v[118:119]
	v_add_f64_e32 v[166:167], v[154:155], v[152:153]
	v_mul_f64_e32 v[118:119], v[6:7], v[118:119]
	ds_load_b128 v[152:155], v2 offset:832
	v_fmac_f64_e32 v[162:163], v[146:147], v[112:113]
	v_fma_f64 v[144:145], v[144:145], v[112:113], -v[114:115]
	scratch_load_b128 v[112:115], off, off offset:304
	v_add_f64_e32 v[156:157], v[156:157], v[158:159]
	v_fmac_f64_e32 v[160:161], v[6:7], v[116:117]
	v_add_f64_e32 v[146:147], v[166:167], v[164:165]
	v_fma_f64 v[164:165], v[4:5], v[116:117], -v[118:119]
	ds_load_b128 v[4:7], v2 offset:848
	s_wait_loadcnt_dscnt 0xb01
	v_mul_f64_e32 v[158:159], v[152:153], v[122:123]
	v_mul_f64_e32 v[122:123], v[154:155], v[122:123]
	scratch_load_b128 v[116:119], off, off offset:320
	v_add_f64_e32 v[156:157], v[156:157], v[162:163]
	s_wait_loadcnt_dscnt 0xb00
	v_mul_f64_e32 v[162:163], v[4:5], v[126:127]
	v_add_f64_e32 v[166:167], v[146:147], v[144:145]
	v_mul_f64_e32 v[126:127], v[6:7], v[126:127]
	ds_load_b128 v[144:147], v2 offset:864
	v_fmac_f64_e32 v[158:159], v[154:155], v[120:121]
	v_fma_f64 v[152:153], v[152:153], v[120:121], -v[122:123]
	scratch_load_b128 v[120:123], off, off offset:336
	v_add_f64_e32 v[156:157], v[156:157], v[160:161]
	v_fmac_f64_e32 v[162:163], v[6:7], v[124:125]
	v_add_f64_e32 v[154:155], v[166:167], v[164:165]
	;; [unrolled: 18-line block ×3, first 2 shown]
	v_fma_f64 v[164:165], v[4:5], v[136:137], -v[138:139]
	ds_load_b128 v[4:7], v2 offset:912
	s_wait_loadcnt_dscnt 0xa01
	v_mul_f64_e32 v[162:163], v[152:153], v[150:151]
	v_mul_f64_e32 v[150:151], v[154:155], v[150:151]
	scratch_load_b128 v[136:139], off, off offset:384
	v_add_f64_e32 v[156:157], v[156:157], v[160:161]
	v_add_f64_e32 v[166:167], v[146:147], v[144:145]
	s_wait_loadcnt_dscnt 0xa00
	v_mul_f64_e32 v[160:161], v[4:5], v[134:135]
	v_mul_f64_e32 v[134:135], v[6:7], v[134:135]
	v_fmac_f64_e32 v[162:163], v[154:155], v[148:149]
	v_fma_f64 v[152:153], v[152:153], v[148:149], -v[150:151]
	ds_load_b128 v[144:147], v2 offset:928
	scratch_load_b128 v[148:151], off, off offset:400
	v_add_f64_e32 v[156:157], v[156:157], v[158:159]
	v_add_f64_e32 v[154:155], v[166:167], v[164:165]
	v_fmac_f64_e32 v[160:161], v[6:7], v[132:133]
	v_fma_f64 v[164:165], v[4:5], v[132:133], -v[134:135]
	ds_load_b128 v[4:7], v2 offset:944
	s_wait_loadcnt_dscnt 0xa01
	v_mul_f64_e32 v[158:159], v[144:145], v[10:11]
	v_mul_f64_e32 v[10:11], v[146:147], v[10:11]
	scratch_load_b128 v[132:135], off, off offset:416
	v_add_f64_e32 v[156:157], v[156:157], v[162:163]
	s_wait_loadcnt_dscnt 0xa00
	v_mul_f64_e32 v[162:163], v[4:5], v[14:15]
	v_add_f64_e32 v[166:167], v[154:155], v[152:153]
	v_mul_f64_e32 v[14:15], v[6:7], v[14:15]
	ds_load_b128 v[152:155], v2 offset:960
	v_fmac_f64_e32 v[158:159], v[146:147], v[8:9]
	v_fma_f64 v[144:145], v[144:145], v[8:9], -v[10:11]
	scratch_load_b128 v[8:11], off, off offset:432
	v_add_f64_e32 v[156:157], v[156:157], v[160:161]
	v_fmac_f64_e32 v[162:163], v[6:7], v[12:13]
	v_add_f64_e32 v[146:147], v[166:167], v[164:165]
	v_fma_f64 v[164:165], v[4:5], v[12:13], -v[14:15]
	ds_load_b128 v[4:7], v2 offset:976
	s_wait_loadcnt_dscnt 0xa01
	v_mul_f64_e32 v[160:161], v[152:153], v[18:19]
	v_mul_f64_e32 v[18:19], v[154:155], v[18:19]
	scratch_load_b128 v[12:15], off, off offset:448
	v_add_f64_e32 v[156:157], v[156:157], v[158:159]
	s_wait_loadcnt_dscnt 0xa00
	v_mul_f64_e32 v[158:159], v[4:5], v[22:23]
	v_add_f64_e32 v[166:167], v[146:147], v[144:145]
	v_mul_f64_e32 v[22:23], v[6:7], v[22:23]
	ds_load_b128 v[144:147], v2 offset:992
	v_fmac_f64_e32 v[160:161], v[154:155], v[16:17]
	v_fma_f64 v[152:153], v[152:153], v[16:17], -v[18:19]
	scratch_load_b128 v[16:19], off, off offset:464
	v_add_f64_e32 v[156:157], v[156:157], v[162:163]
	v_fmac_f64_e32 v[158:159], v[6:7], v[20:21]
	v_add_f64_e32 v[154:155], v[166:167], v[164:165]
	;; [unrolled: 18-line block ×8, first 2 shown]
	v_fma_f64 v[164:165], v[4:5], v[20:21], -v[22:23]
	ds_load_b128 v[4:7], v2 offset:1200
	s_wait_loadcnt_dscnt 0xa01
	v_mul_f64_e32 v[162:163], v[144:145], v[114:115]
	v_mul_f64_e32 v[114:115], v[146:147], v[114:115]
	scratch_load_b128 v[20:23], off, off offset:672
	v_add_f64_e32 v[156:157], v[156:157], v[160:161]
	s_wait_loadcnt_dscnt 0xa00
	v_mul_f64_e32 v[160:161], v[4:5], v[118:119]
	v_add_f64_e32 v[166:167], v[154:155], v[152:153]
	v_mul_f64_e32 v[118:119], v[6:7], v[118:119]
	ds_load_b128 v[152:155], v2 offset:1216
	v_fmac_f64_e32 v[162:163], v[146:147], v[112:113]
	v_fma_f64 v[112:113], v[144:145], v[112:113], -v[114:115]
	s_wait_loadcnt_dscnt 0x900
	v_mul_f64_e32 v[146:147], v[152:153], v[122:123]
	v_mul_f64_e32 v[122:123], v[154:155], v[122:123]
	v_add_f64_e32 v[144:145], v[156:157], v[158:159]
	v_fmac_f64_e32 v[160:161], v[6:7], v[116:117]
	v_add_f64_e32 v[114:115], v[166:167], v[164:165]
	v_fma_f64 v[116:117], v[4:5], v[116:117], -v[118:119]
	v_fmac_f64_e32 v[146:147], v[154:155], v[120:121]
	v_fma_f64 v[120:121], v[152:153], v[120:121], -v[122:123]
	v_add_f64_e32 v[144:145], v[144:145], v[162:163]
	v_add_f64_e32 v[118:119], v[114:115], v[112:113]
	ds_load_b128 v[4:7], v2 offset:1232
	ds_load_b128 v[112:115], v2 offset:1248
	s_wait_loadcnt_dscnt 0x801
	v_mul_f64_e32 v[156:157], v[4:5], v[126:127]
	v_mul_f64_e32 v[126:127], v[6:7], v[126:127]
	s_wait_loadcnt_dscnt 0x700
	v_mul_f64_e32 v[122:123], v[112:113], v[130:131]
	v_mul_f64_e32 v[130:131], v[114:115], v[130:131]
	v_add_f64_e32 v[116:117], v[118:119], v[116:117]
	v_add_f64_e32 v[118:119], v[144:145], v[160:161]
	v_fmac_f64_e32 v[156:157], v[6:7], v[124:125]
	v_fma_f64 v[124:125], v[4:5], v[124:125], -v[126:127]
	v_fmac_f64_e32 v[122:123], v[114:115], v[128:129]
	v_fma_f64 v[112:113], v[112:113], v[128:129], -v[130:131]
	v_add_f64_e32 v[120:121], v[116:117], v[120:121]
	v_add_f64_e32 v[126:127], v[118:119], v[146:147]
	ds_load_b128 v[4:7], v2 offset:1264
	ds_load_b128 v[116:119], v2 offset:1280
	s_wait_loadcnt_dscnt 0x601
	v_mul_f64_e32 v[144:145], v[4:5], v[138:139]
	v_mul_f64_e32 v[138:139], v[6:7], v[138:139]
	v_add_f64_e32 v[114:115], v[120:121], v[124:125]
	v_add_f64_e32 v[120:121], v[126:127], v[156:157]
	s_wait_loadcnt_dscnt 0x500
	v_mul_f64_e32 v[124:125], v[116:117], v[150:151]
	v_mul_f64_e32 v[126:127], v[118:119], v[150:151]
	v_fmac_f64_e32 v[144:145], v[6:7], v[136:137]
	v_fma_f64 v[128:129], v[4:5], v[136:137], -v[138:139]
	v_add_f64_e32 v[130:131], v[114:115], v[112:113]
	v_add_f64_e32 v[120:121], v[120:121], v[122:123]
	ds_load_b128 v[4:7], v2 offset:1296
	ds_load_b128 v[112:115], v2 offset:1312
	v_fmac_f64_e32 v[124:125], v[118:119], v[148:149]
	v_fma_f64 v[116:117], v[116:117], v[148:149], -v[126:127]
	s_wait_loadcnt_dscnt 0x401
	v_mul_f64_e32 v[122:123], v[4:5], v[134:135]
	v_mul_f64_e32 v[134:135], v[6:7], v[134:135]
	s_wait_loadcnt_dscnt 0x300
	v_mul_f64_e32 v[126:127], v[112:113], v[10:11]
	v_mul_f64_e32 v[10:11], v[114:115], v[10:11]
	v_add_f64_e32 v[118:119], v[130:131], v[128:129]
	v_add_f64_e32 v[120:121], v[120:121], v[144:145]
	v_fmac_f64_e32 v[122:123], v[6:7], v[132:133]
	v_fma_f64 v[128:129], v[4:5], v[132:133], -v[134:135]
	v_fmac_f64_e32 v[126:127], v[114:115], v[8:9]
	v_fma_f64 v[8:9], v[112:113], v[8:9], -v[10:11]
	v_add_f64_e32 v[130:131], v[118:119], v[116:117]
	v_add_f64_e32 v[120:121], v[120:121], v[124:125]
	ds_load_b128 v[4:7], v2 offset:1328
	ds_load_b128 v[116:119], v2 offset:1344
	s_wait_loadcnt_dscnt 0x201
	v_mul_f64_e32 v[124:125], v[4:5], v[14:15]
	v_mul_f64_e32 v[14:15], v[6:7], v[14:15]
	s_wait_loadcnt_dscnt 0x100
	v_mul_f64_e32 v[114:115], v[116:117], v[18:19]
	v_mul_f64_e32 v[18:19], v[118:119], v[18:19]
	v_add_f64_e32 v[10:11], v[130:131], v[128:129]
	v_add_f64_e32 v[112:113], v[120:121], v[122:123]
	v_fmac_f64_e32 v[124:125], v[6:7], v[12:13]
	v_fma_f64 v[12:13], v[4:5], v[12:13], -v[14:15]
	ds_load_b128 v[4:7], v2 offset:1360
	v_fmac_f64_e32 v[114:115], v[118:119], v[16:17]
	v_fma_f64 v[16:17], v[116:117], v[16:17], -v[18:19]
	v_add_f64_e32 v[8:9], v[10:11], v[8:9]
	v_add_f64_e32 v[10:11], v[112:113], v[126:127]
	s_wait_loadcnt_dscnt 0x0
	v_mul_f64_e32 v[14:15], v[4:5], v[22:23]
	v_mul_f64_e32 v[22:23], v[6:7], v[22:23]
	s_delay_alu instid0(VALU_DEP_4) | instskip(NEXT) | instid1(VALU_DEP_4)
	v_add_f64_e32 v[8:9], v[8:9], v[12:13]
	v_add_f64_e32 v[10:11], v[10:11], v[124:125]
	s_delay_alu instid0(VALU_DEP_4) | instskip(NEXT) | instid1(VALU_DEP_4)
	v_fmac_f64_e32 v[14:15], v[6:7], v[20:21]
	v_fma_f64 v[4:5], v[4:5], v[20:21], -v[22:23]
	s_delay_alu instid0(VALU_DEP_4) | instskip(NEXT) | instid1(VALU_DEP_4)
	v_add_f64_e32 v[6:7], v[8:9], v[16:17]
	v_add_f64_e32 v[8:9], v[10:11], v[114:115]
	s_delay_alu instid0(VALU_DEP_2) | instskip(NEXT) | instid1(VALU_DEP_2)
	v_add_f64_e32 v[4:5], v[6:7], v[4:5]
	v_add_f64_e32 v[6:7], v[8:9], v[14:15]
	s_delay_alu instid0(VALU_DEP_2) | instskip(NEXT) | instid1(VALU_DEP_2)
	v_add_f64_e64 v[4:5], v[140:141], -v[4:5]
	v_add_f64_e64 v[6:7], v[142:143], -v[6:7]
	scratch_store_b128 off, v[4:7], off offset:16
	s_wait_xcnt 0x0
	v_cmpx_ne_u32_e32 0, v1
	s_cbranch_execz .LBB42_271
; %bb.270:
	scratch_load_b128 v[6:9], off, off
	v_dual_mov_b32 v3, v2 :: v_dual_mov_b32 v4, v2
	v_mov_b32_e32 v5, v2
	scratch_store_b128 off, v[2:5], off
	s_wait_loadcnt 0x0
	ds_store_b128 v110, v[6:9]
.LBB42_271:
	s_wait_xcnt 0x0
	s_or_b32 exec_lo, exec_lo, s2
	s_wait_storecnt_dscnt 0x0
	s_barrier_signal -1
	s_barrier_wait -1
	s_clause 0x9
	scratch_load_b128 v[4:7], off, off offset:16
	scratch_load_b128 v[8:11], off, off offset:32
	;; [unrolled: 1-line block ×10, first 2 shown]
	ds_load_b128 v[130:133], v2 offset:704
	ds_load_b128 v[138:141], v2 offset:720
	s_clause 0x2
	scratch_load_b128 v[134:137], off, off offset:176
	scratch_load_b128 v[142:145], off, off
	scratch_load_b128 v[146:149], off, off offset:192
	s_and_b32 vcc_lo, exec_lo, s55
	s_wait_loadcnt_dscnt 0xc01
	v_mul_f64_e32 v[150:151], v[132:133], v[6:7]
	v_mul_f64_e32 v[154:155], v[130:131], v[6:7]
	s_wait_loadcnt_dscnt 0xb00
	v_mul_f64_e32 v[156:157], v[138:139], v[10:11]
	v_mul_f64_e32 v[10:11], v[140:141], v[10:11]
	s_delay_alu instid0(VALU_DEP_4) | instskip(NEXT) | instid1(VALU_DEP_4)
	v_fma_f64 v[158:159], v[130:131], v[4:5], -v[150:151]
	v_fmac_f64_e32 v[154:155], v[132:133], v[4:5]
	ds_load_b128 v[4:7], v2 offset:736
	ds_load_b128 v[130:133], v2 offset:752
	scratch_load_b128 v[150:153], off, off offset:208
	v_fmac_f64_e32 v[156:157], v[140:141], v[8:9]
	v_fma_f64 v[138:139], v[138:139], v[8:9], -v[10:11]
	scratch_load_b128 v[8:11], off, off offset:224
	s_wait_loadcnt_dscnt 0xc01
	v_mul_f64_e32 v[160:161], v[4:5], v[14:15]
	v_mul_f64_e32 v[14:15], v[6:7], v[14:15]
	v_add_f64_e32 v[140:141], 0, v[158:159]
	v_add_f64_e32 v[154:155], 0, v[154:155]
	s_wait_loadcnt_dscnt 0xb00
	v_mul_f64_e32 v[158:159], v[130:131], v[18:19]
	v_mul_f64_e32 v[18:19], v[132:133], v[18:19]
	v_fmac_f64_e32 v[160:161], v[6:7], v[12:13]
	v_fma_f64 v[162:163], v[4:5], v[12:13], -v[14:15]
	ds_load_b128 v[4:7], v2 offset:768
	ds_load_b128 v[12:15], v2 offset:784
	v_add_f64_e32 v[164:165], v[140:141], v[138:139]
	v_add_f64_e32 v[154:155], v[154:155], v[156:157]
	scratch_load_b128 v[138:141], off, off offset:240
	v_fmac_f64_e32 v[158:159], v[132:133], v[16:17]
	v_fma_f64 v[130:131], v[130:131], v[16:17], -v[18:19]
	scratch_load_b128 v[16:19], off, off offset:256
	s_wait_loadcnt_dscnt 0xc01
	v_mul_f64_e32 v[156:157], v[4:5], v[22:23]
	v_mul_f64_e32 v[22:23], v[6:7], v[22:23]
	v_add_f64_e32 v[132:133], v[164:165], v[162:163]
	v_add_f64_e32 v[154:155], v[154:155], v[160:161]
	s_wait_loadcnt_dscnt 0xb00
	v_mul_f64_e32 v[160:161], v[12:13], v[112:113]
	v_mul_f64_e32 v[112:113], v[14:15], v[112:113]
	v_fmac_f64_e32 v[156:157], v[6:7], v[20:21]
	v_fma_f64 v[162:163], v[4:5], v[20:21], -v[22:23]
	ds_load_b128 v[4:7], v2 offset:800
	ds_load_b128 v[20:23], v2 offset:816
	v_add_f64_e32 v[164:165], v[132:133], v[130:131]
	v_add_f64_e32 v[154:155], v[154:155], v[158:159]
	scratch_load_b128 v[130:133], off, off offset:272
	s_wait_loadcnt_dscnt 0xb01
	v_mul_f64_e32 v[158:159], v[4:5], v[116:117]
	v_mul_f64_e32 v[116:117], v[6:7], v[116:117]
	v_fmac_f64_e32 v[160:161], v[14:15], v[110:111]
	v_fma_f64 v[110:111], v[12:13], v[110:111], -v[112:113]
	scratch_load_b128 v[12:15], off, off offset:288
	v_add_f64_e32 v[112:113], v[164:165], v[162:163]
	v_add_f64_e32 v[154:155], v[154:155], v[156:157]
	s_wait_loadcnt_dscnt 0xb00
	v_mul_f64_e32 v[156:157], v[20:21], v[120:121]
	v_mul_f64_e32 v[120:121], v[22:23], v[120:121]
	v_fmac_f64_e32 v[158:159], v[6:7], v[114:115]
	v_fma_f64 v[162:163], v[4:5], v[114:115], -v[116:117]
	v_add_f64_e32 v[164:165], v[112:113], v[110:111]
	v_add_f64_e32 v[154:155], v[154:155], v[160:161]
	ds_load_b128 v[4:7], v2 offset:832
	ds_load_b128 v[110:113], v2 offset:848
	scratch_load_b128 v[114:117], off, off offset:304
	v_fmac_f64_e32 v[156:157], v[22:23], v[118:119]
	v_fma_f64 v[118:119], v[20:21], v[118:119], -v[120:121]
	scratch_load_b128 v[20:23], off, off offset:320
	s_wait_loadcnt_dscnt 0xc01
	v_mul_f64_e32 v[160:161], v[4:5], v[124:125]
	v_mul_f64_e32 v[124:125], v[6:7], v[124:125]
	v_add_f64_e32 v[120:121], v[164:165], v[162:163]
	v_add_f64_e32 v[154:155], v[154:155], v[158:159]
	s_wait_loadcnt_dscnt 0xb00
	v_mul_f64_e32 v[158:159], v[110:111], v[128:129]
	v_mul_f64_e32 v[128:129], v[112:113], v[128:129]
	v_fmac_f64_e32 v[160:161], v[6:7], v[122:123]
	v_fma_f64 v[162:163], v[4:5], v[122:123], -v[124:125]
	v_add_f64_e32 v[164:165], v[120:121], v[118:119]
	v_add_f64_e32 v[154:155], v[154:155], v[156:157]
	ds_load_b128 v[4:7], v2 offset:864
	ds_load_b128 v[118:121], v2 offset:880
	scratch_load_b128 v[122:125], off, off offset:336
	v_fmac_f64_e32 v[158:159], v[112:113], v[126:127]
	v_fma_f64 v[126:127], v[110:111], v[126:127], -v[128:129]
	scratch_load_b128 v[110:113], off, off offset:352
	s_wait_loadcnt_dscnt 0xc01
	v_mul_f64_e32 v[156:157], v[4:5], v[136:137]
	v_mul_f64_e32 v[136:137], v[6:7], v[136:137]
	v_add_f64_e32 v[128:129], v[164:165], v[162:163]
	v_add_f64_e32 v[154:155], v[154:155], v[160:161]
	s_wait_loadcnt_dscnt 0xa00
	v_mul_f64_e32 v[160:161], v[118:119], v[148:149]
	v_mul_f64_e32 v[148:149], v[120:121], v[148:149]
	v_fmac_f64_e32 v[156:157], v[6:7], v[134:135]
	v_fma_f64 v[162:163], v[4:5], v[134:135], -v[136:137]
	v_add_f64_e32 v[164:165], v[128:129], v[126:127]
	v_add_f64_e32 v[154:155], v[154:155], v[158:159]
	ds_load_b128 v[4:7], v2 offset:896
	ds_load_b128 v[126:129], v2 offset:912
	scratch_load_b128 v[134:137], off, off offset:368
	v_fmac_f64_e32 v[160:161], v[120:121], v[146:147]
	v_fma_f64 v[146:147], v[118:119], v[146:147], -v[148:149]
	scratch_load_b128 v[118:121], off, off offset:384
	s_wait_loadcnt_dscnt 0xb01
	v_mul_f64_e32 v[158:159], v[4:5], v[152:153]
	v_mul_f64_e32 v[152:153], v[6:7], v[152:153]
	v_add_f64_e32 v[148:149], v[164:165], v[162:163]
	v_add_f64_e32 v[154:155], v[154:155], v[156:157]
	s_wait_loadcnt_dscnt 0xa00
	v_mul_f64_e32 v[156:157], v[126:127], v[10:11]
	v_mul_f64_e32 v[10:11], v[128:129], v[10:11]
	v_fmac_f64_e32 v[158:159], v[6:7], v[150:151]
	v_fma_f64 v[162:163], v[4:5], v[150:151], -v[152:153]
	v_add_f64_e32 v[164:165], v[148:149], v[146:147]
	v_add_f64_e32 v[154:155], v[154:155], v[160:161]
	ds_load_b128 v[4:7], v2 offset:928
	ds_load_b128 v[146:149], v2 offset:944
	scratch_load_b128 v[150:153], off, off offset:400
	v_fmac_f64_e32 v[156:157], v[128:129], v[8:9]
	v_fma_f64 v[126:127], v[126:127], v[8:9], -v[10:11]
	scratch_load_b128 v[8:11], off, off offset:416
	s_wait_loadcnt_dscnt 0xb01
	v_mul_f64_e32 v[160:161], v[4:5], v[140:141]
	v_mul_f64_e32 v[140:141], v[6:7], v[140:141]
	v_add_f64_e32 v[128:129], v[164:165], v[162:163]
	v_add_f64_e32 v[154:155], v[154:155], v[158:159]
	s_wait_loadcnt_dscnt 0xa00
	v_mul_f64_e32 v[158:159], v[146:147], v[18:19]
	v_mul_f64_e32 v[18:19], v[148:149], v[18:19]
	v_fmac_f64_e32 v[160:161], v[6:7], v[138:139]
	v_fma_f64 v[162:163], v[4:5], v[138:139], -v[140:141]
	v_add_f64_e32 v[164:165], v[128:129], v[126:127]
	v_add_f64_e32 v[154:155], v[154:155], v[156:157]
	ds_load_b128 v[4:7], v2 offset:960
	ds_load_b128 v[126:129], v2 offset:976
	scratch_load_b128 v[138:141], off, off offset:432
	v_fmac_f64_e32 v[158:159], v[148:149], v[16:17]
	v_fma_f64 v[146:147], v[146:147], v[16:17], -v[18:19]
	scratch_load_b128 v[16:19], off, off offset:448
	s_wait_loadcnt_dscnt 0xb01
	v_mul_f64_e32 v[156:157], v[4:5], v[132:133]
	v_mul_f64_e32 v[132:133], v[6:7], v[132:133]
	v_add_f64_e32 v[148:149], v[164:165], v[162:163]
	v_add_f64_e32 v[154:155], v[154:155], v[160:161]
	s_wait_loadcnt_dscnt 0xa00
	v_mul_f64_e32 v[160:161], v[126:127], v[14:15]
	v_mul_f64_e32 v[14:15], v[128:129], v[14:15]
	v_fmac_f64_e32 v[156:157], v[6:7], v[130:131]
	v_fma_f64 v[162:163], v[4:5], v[130:131], -v[132:133]
	ds_load_b128 v[4:7], v2 offset:992
	ds_load_b128 v[130:133], v2 offset:1008
	v_add_f64_e32 v[164:165], v[148:149], v[146:147]
	v_add_f64_e32 v[154:155], v[154:155], v[158:159]
	scratch_load_b128 v[146:149], off, off offset:464
	v_fmac_f64_e32 v[160:161], v[128:129], v[12:13]
	v_fma_f64 v[126:127], v[126:127], v[12:13], -v[14:15]
	scratch_load_b128 v[12:15], off, off offset:480
	s_wait_loadcnt_dscnt 0xb01
	v_mul_f64_e32 v[158:159], v[4:5], v[116:117]
	v_mul_f64_e32 v[116:117], v[6:7], v[116:117]
	v_add_f64_e32 v[128:129], v[164:165], v[162:163]
	v_add_f64_e32 v[154:155], v[154:155], v[156:157]
	s_wait_loadcnt_dscnt 0xa00
	v_mul_f64_e32 v[156:157], v[130:131], v[22:23]
	v_mul_f64_e32 v[22:23], v[132:133], v[22:23]
	v_fmac_f64_e32 v[158:159], v[6:7], v[114:115]
	v_fma_f64 v[162:163], v[4:5], v[114:115], -v[116:117]
	ds_load_b128 v[4:7], v2 offset:1024
	ds_load_b128 v[114:117], v2 offset:1040
	v_add_f64_e32 v[164:165], v[128:129], v[126:127]
	v_add_f64_e32 v[154:155], v[154:155], v[160:161]
	scratch_load_b128 v[126:129], off, off offset:496
	s_wait_loadcnt_dscnt 0xa01
	v_mul_f64_e32 v[160:161], v[4:5], v[124:125]
	v_mul_f64_e32 v[124:125], v[6:7], v[124:125]
	v_fmac_f64_e32 v[156:157], v[132:133], v[20:21]
	v_fma_f64 v[130:131], v[130:131], v[20:21], -v[22:23]
	scratch_load_b128 v[20:23], off, off offset:512
	v_add_f64_e32 v[132:133], v[164:165], v[162:163]
	v_add_f64_e32 v[154:155], v[154:155], v[158:159]
	s_wait_loadcnt_dscnt 0xa00
	v_mul_f64_e32 v[158:159], v[114:115], v[112:113]
	v_mul_f64_e32 v[112:113], v[116:117], v[112:113]
	v_fmac_f64_e32 v[160:161], v[6:7], v[122:123]
	v_fma_f64 v[162:163], v[4:5], v[122:123], -v[124:125]
	ds_load_b128 v[4:7], v2 offset:1056
	ds_load_b128 v[122:125], v2 offset:1072
	v_add_f64_e32 v[164:165], v[132:133], v[130:131]
	v_add_f64_e32 v[154:155], v[154:155], v[156:157]
	scratch_load_b128 v[130:133], off, off offset:528
	s_wait_loadcnt_dscnt 0xa01
	v_mul_f64_e32 v[156:157], v[4:5], v[136:137]
	v_mul_f64_e32 v[136:137], v[6:7], v[136:137]
	v_fmac_f64_e32 v[158:159], v[116:117], v[110:111]
	v_fma_f64 v[114:115], v[114:115], v[110:111], -v[112:113]
	scratch_load_b128 v[110:113], off, off offset:544
	v_add_f64_e32 v[116:117], v[164:165], v[162:163]
	v_add_f64_e32 v[154:155], v[154:155], v[160:161]
	s_wait_loadcnt_dscnt 0xa00
	v_mul_f64_e32 v[160:161], v[122:123], v[120:121]
	v_mul_f64_e32 v[120:121], v[124:125], v[120:121]
	v_fmac_f64_e32 v[156:157], v[6:7], v[134:135]
	v_fma_f64 v[162:163], v[4:5], v[134:135], -v[136:137]
	v_add_f64_e32 v[164:165], v[116:117], v[114:115]
	v_add_f64_e32 v[154:155], v[154:155], v[158:159]
	ds_load_b128 v[4:7], v2 offset:1088
	ds_load_b128 v[114:117], v2 offset:1104
	scratch_load_b128 v[134:137], off, off offset:560
	v_fmac_f64_e32 v[160:161], v[124:125], v[118:119]
	v_fma_f64 v[122:123], v[122:123], v[118:119], -v[120:121]
	scratch_load_b128 v[118:121], off, off offset:576
	s_wait_loadcnt_dscnt 0xb01
	v_mul_f64_e32 v[158:159], v[4:5], v[152:153]
	v_mul_f64_e32 v[152:153], v[6:7], v[152:153]
	v_add_f64_e32 v[124:125], v[164:165], v[162:163]
	v_add_f64_e32 v[154:155], v[154:155], v[156:157]
	s_wait_loadcnt_dscnt 0xa00
	v_mul_f64_e32 v[156:157], v[114:115], v[10:11]
	v_mul_f64_e32 v[10:11], v[116:117], v[10:11]
	v_fmac_f64_e32 v[158:159], v[6:7], v[150:151]
	v_fma_f64 v[162:163], v[4:5], v[150:151], -v[152:153]
	v_add_f64_e32 v[164:165], v[124:125], v[122:123]
	v_add_f64_e32 v[154:155], v[154:155], v[160:161]
	ds_load_b128 v[4:7], v2 offset:1120
	ds_load_b128 v[122:125], v2 offset:1136
	scratch_load_b128 v[150:153], off, off offset:592
	v_fmac_f64_e32 v[156:157], v[116:117], v[8:9]
	v_fma_f64 v[114:115], v[114:115], v[8:9], -v[10:11]
	scratch_load_b128 v[8:11], off, off offset:608
	s_wait_loadcnt_dscnt 0xb01
	v_mul_f64_e32 v[160:161], v[4:5], v[140:141]
	v_mul_f64_e32 v[140:141], v[6:7], v[140:141]
	;; [unrolled: 18-line block ×4, first 2 shown]
	v_add_f64_e32 v[116:117], v[164:165], v[162:163]
	v_add_f64_e32 v[154:155], v[154:155], v[156:157]
	s_wait_loadcnt_dscnt 0xa00
	v_mul_f64_e32 v[156:157], v[122:123], v[22:23]
	v_mul_f64_e32 v[22:23], v[124:125], v[22:23]
	v_fmac_f64_e32 v[158:159], v[6:7], v[126:127]
	v_fma_f64 v[126:127], v[4:5], v[126:127], -v[128:129]
	v_add_f64_e32 v[128:129], v[116:117], v[114:115]
	v_add_f64_e32 v[154:155], v[154:155], v[160:161]
	ds_load_b128 v[4:7], v2 offset:1216
	ds_load_b128 v[114:117], v2 offset:1232
	v_fmac_f64_e32 v[156:157], v[124:125], v[20:21]
	v_fma_f64 v[20:21], v[122:123], v[20:21], -v[22:23]
	s_wait_loadcnt_dscnt 0x901
	v_mul_f64_e32 v[160:161], v[4:5], v[132:133]
	v_mul_f64_e32 v[132:133], v[6:7], v[132:133]
	s_wait_loadcnt_dscnt 0x800
	v_mul_f64_e32 v[124:125], v[114:115], v[112:113]
	v_mul_f64_e32 v[112:113], v[116:117], v[112:113]
	v_add_f64_e32 v[22:23], v[128:129], v[126:127]
	v_add_f64_e32 v[122:123], v[154:155], v[158:159]
	v_fmac_f64_e32 v[160:161], v[6:7], v[130:131]
	v_fma_f64 v[126:127], v[4:5], v[130:131], -v[132:133]
	v_fmac_f64_e32 v[124:125], v[116:117], v[110:111]
	v_fma_f64 v[110:111], v[114:115], v[110:111], -v[112:113]
	v_add_f64_e32 v[128:129], v[22:23], v[20:21]
	v_add_f64_e32 v[122:123], v[122:123], v[156:157]
	ds_load_b128 v[4:7], v2 offset:1248
	ds_load_b128 v[20:23], v2 offset:1264
	s_wait_loadcnt_dscnt 0x701
	v_mul_f64_e32 v[130:131], v[4:5], v[136:137]
	v_mul_f64_e32 v[132:133], v[6:7], v[136:137]
	s_wait_loadcnt_dscnt 0x600
	v_mul_f64_e32 v[116:117], v[20:21], v[120:121]
	v_mul_f64_e32 v[120:121], v[22:23], v[120:121]
	v_add_f64_e32 v[112:113], v[128:129], v[126:127]
	v_add_f64_e32 v[114:115], v[122:123], v[160:161]
	v_fmac_f64_e32 v[130:131], v[6:7], v[134:135]
	v_fma_f64 v[122:123], v[4:5], v[134:135], -v[132:133]
	v_fmac_f64_e32 v[116:117], v[22:23], v[118:119]
	v_fma_f64 v[20:21], v[20:21], v[118:119], -v[120:121]
	v_add_f64_e32 v[126:127], v[112:113], v[110:111]
	v_add_f64_e32 v[114:115], v[114:115], v[124:125]
	ds_load_b128 v[4:7], v2 offset:1280
	ds_load_b128 v[110:113], v2 offset:1296
	;; [unrolled: 16-line block ×3, first 2 shown]
	s_wait_loadcnt_dscnt 0x301
	v_mul_f64_e32 v[116:117], v[4:5], v[140:141]
	v_mul_f64_e32 v[126:127], v[6:7], v[140:141]
	s_wait_loadcnt_dscnt 0x200
	v_mul_f64_e32 v[112:113], v[20:21], v[18:19]
	v_mul_f64_e32 v[18:19], v[22:23], v[18:19]
	v_add_f64_e32 v[10:11], v[122:123], v[120:121]
	v_add_f64_e32 v[110:111], v[114:115], v[124:125]
	v_lshl_add_u64 v[124:125], v[30:31], 4, s[4:5]
	v_lshl_add_u64 v[122:123], v[32:33], 4, s[4:5]
	;; [unrolled: 1-line block ×4, first 2 shown]
	v_fmac_f64_e32 v[116:117], v[6:7], v[138:139]
	v_fma_f64 v[114:115], v[4:5], v[138:139], -v[126:127]
	v_fmac_f64_e32 v[112:113], v[22:23], v[16:17]
	v_fma_f64 v[16:17], v[20:21], v[16:17], -v[18:19]
	v_lshl_add_u64 v[126:127], v[28:29], 4, s[4:5]
	v_lshl_add_u64 v[28:29], v[68:69], 4, s[4:5]
	;; [unrolled: 1-line block ×3, first 2 shown]
	v_add_f64_e32 v[120:121], v[10:11], v[8:9]
	v_add_f64_e32 v[110:111], v[110:111], v[118:119]
	ds_load_b128 v[4:7], v2 offset:1344
	ds_load_b128 v[8:11], v2 offset:1360
	s_wait_loadcnt_dscnt 0x101
	v_mul_f64_e32 v[2:3], v[4:5], v[148:149]
	v_mul_f64_e32 v[118:119], v[6:7], v[148:149]
	s_wait_loadcnt_dscnt 0x0
	v_mul_f64_e32 v[22:23], v[8:9], v[14:15]
	v_mul_f64_e32 v[14:15], v[10:11], v[14:15]
	v_add_f64_e32 v[18:19], v[120:121], v[114:115]
	v_add_f64_e32 v[20:21], v[110:111], v[116:117]
	v_lshl_add_u64 v[120:121], v[36:37], 4, s[4:5]
	v_lshl_add_u64 v[116:117], v[38:39], 4, s[4:5]
	;; [unrolled: 1-line block ×8, first 2 shown]
	v_fmac_f64_e32 v[2:3], v[6:7], v[146:147]
	v_fma_f64 v[4:5], v[4:5], v[146:147], -v[118:119]
	v_fmac_f64_e32 v[22:23], v[10:11], v[12:13]
	v_fma_f64 v[8:9], v[8:9], v[12:13], -v[14:15]
	v_lshl_add_u64 v[118:119], v[34:35], 4, s[4:5]
	v_lshl_add_u64 v[10:11], v[54:55], 4, s[4:5]
	;; [unrolled: 1-line block ×7, first 2 shown]
	v_add_f64_e32 v[6:7], v[18:19], v[16:17]
	v_add_f64_e32 v[16:17], v[20:21], v[112:113]
	v_lshl_add_u64 v[112:113], v[44:45], 4, s[4:5]
	v_lshl_add_u64 v[18:19], v[62:63], 4, s[4:5]
	;; [unrolled: 1-line block ×7, first 2 shown]
	v_add_f64_e32 v[4:5], v[6:7], v[4:5]
	v_add_f64_e32 v[2:3], v[16:17], v[2:3]
	v_lshl_add_u64 v[16:17], v[60:61], 4, s[4:5]
	v_lshl_add_u64 v[60:61], v[100:101], 4, s[4:5]
	s_delay_alu instid0(VALU_DEP_4) | instskip(NEXT) | instid1(VALU_DEP_4)
	v_add_f64_e32 v[6:7], v[4:5], v[8:9]
	v_add_f64_e32 v[8:9], v[2:3], v[22:23]
	v_lshl_add_u64 v[4:5], v[46:47], 4, s[4:5]
	v_lshl_add_u64 v[2:3], v[48:49], 4, s[4:5]
	;; [unrolled: 1-line block ×6, first 2 shown]
	v_add_f64_e64 v[128:129], v[142:143], -v[6:7]
	v_add_f64_e64 v[130:131], v[144:145], -v[8:9]
	v_lshl_add_u64 v[6:7], v[50:51], 4, s[4:5]
	v_lshl_add_u64 v[8:9], v[52:53], 4, s[4:5]
	v_lshl_add_u64 v[50:51], v[90:91], 4, s[4:5]
	v_lshl_add_u64 v[52:53], v[92:93], 4, s[4:5]
	scratch_store_b128 off, v[128:131], off
	s_cbranch_vccz .LBB42_356
; %bb.272:
	v_mov_b32_e32 v70, 0
	s_load_b64 s[2:3], s[0:1], 0x4
	v_bfe_u32 v72, v0, 10, 10
	v_bfe_u32 v0, v0, 20, 10
	global_load_b32 v71, v70, s[16:17] offset:164
	s_wait_kmcnt 0x0
	s_lshr_b32 s0, s2, 16
	v_mul_u32_u24_e32 v72, s3, v72
	s_mul_i32 s0, s0, s3
	s_delay_alu instid0(SALU_CYCLE_1) | instskip(NEXT) | instid1(VALU_DEP_1)
	v_mul_u32_u24_e32 v1, s0, v1
	v_add3_u32 v0, v1, v72, v0
	s_delay_alu instid0(VALU_DEP_1)
	v_lshl_add_u32 v0, v0, 4, 0x568
	s_wait_loadcnt 0x0
	v_cmp_ne_u32_e32 vcc_lo, 42, v71
	s_cbranch_vccz .LBB42_274
; %bb.273:
	v_lshlrev_b32_e32 v1, 4, v71
	s_clause 0x1
	scratch_load_b128 v[72:75], off, s20
	scratch_load_b128 v[76:79], v1, off offset:-16
	s_wait_loadcnt 0x1
	ds_store_2addr_b64 v0, v[72:73], v[74:75] offset1:1
	s_wait_loadcnt 0x0
	s_clause 0x1
	scratch_store_b128 off, v[76:79], s20
	scratch_store_b128 v1, v[72:75], off offset:-16
.LBB42_274:
	global_load_b32 v1, v70, s[16:17] offset:160
	s_wait_loadcnt 0x0
	v_cmp_eq_u32_e32 vcc_lo, 41, v1
	s_cbranch_vccnz .LBB42_276
; %bb.275:
	v_lshlrev_b32_e32 v1, 4, v1
	s_clause 0x1
	scratch_load_b128 v[70:73], off, s24
	scratch_load_b128 v[74:77], v1, off offset:-16
	s_wait_loadcnt 0x1
	ds_store_2addr_b64 v0, v[70:71], v[72:73] offset1:1
	s_wait_loadcnt 0x0
	s_clause 0x1
	scratch_store_b128 off, v[74:77], s24
	scratch_store_b128 v1, v[70:73], off offset:-16
.LBB42_276:
	s_wait_xcnt 0x0
	v_mov_b32_e32 v1, 0
	global_load_b32 v70, v1, s[16:17] offset:156
	s_wait_loadcnt 0x0
	v_cmp_eq_u32_e32 vcc_lo, 40, v70
	s_cbranch_vccnz .LBB42_278
; %bb.277:
	v_lshlrev_b32_e32 v70, 4, v70
	s_delay_alu instid0(VALU_DEP_1)
	v_mov_b32_e32 v78, v70
	s_clause 0x1
	scratch_load_b128 v[70:73], off, s8
	scratch_load_b128 v[74:77], v78, off offset:-16
	s_wait_loadcnt 0x1
	ds_store_2addr_b64 v0, v[70:71], v[72:73] offset1:1
	s_wait_loadcnt 0x0
	s_clause 0x1
	scratch_store_b128 off, v[74:77], s8
	scratch_store_b128 v78, v[70:73], off offset:-16
.LBB42_278:
	global_load_b32 v1, v1, s[16:17] offset:152
	s_wait_loadcnt 0x0
	v_cmp_eq_u32_e32 vcc_lo, 39, v1
	s_cbranch_vccnz .LBB42_280
; %bb.279:
	s_wait_xcnt 0x0
	v_lshlrev_b32_e32 v1, 4, v1
	s_clause 0x1
	scratch_load_b128 v[70:73], off, s10
	scratch_load_b128 v[74:77], v1, off offset:-16
	s_wait_loadcnt 0x1
	ds_store_2addr_b64 v0, v[70:71], v[72:73] offset1:1
	s_wait_loadcnt 0x0
	s_clause 0x1
	scratch_store_b128 off, v[74:77], s10
	scratch_store_b128 v1, v[70:73], off offset:-16
.LBB42_280:
	s_wait_xcnt 0x0
	v_mov_b32_e32 v1, 0
	global_load_b32 v70, v1, s[16:17] offset:148
	s_wait_loadcnt 0x0
	v_cmp_eq_u32_e32 vcc_lo, 38, v70
	s_cbranch_vccnz .LBB42_282
; %bb.281:
	v_lshlrev_b32_e32 v70, 4, v70
	s_delay_alu instid0(VALU_DEP_1)
	v_mov_b32_e32 v78, v70
	s_clause 0x1
	scratch_load_b128 v[70:73], off, s9
	scratch_load_b128 v[74:77], v78, off offset:-16
	s_wait_loadcnt 0x1
	ds_store_2addr_b64 v0, v[70:71], v[72:73] offset1:1
	s_wait_loadcnt 0x0
	s_clause 0x1
	scratch_store_b128 off, v[74:77], s9
	scratch_store_b128 v78, v[70:73], off offset:-16
.LBB42_282:
	global_load_b32 v1, v1, s[16:17] offset:144
	s_wait_loadcnt 0x0
	v_cmp_eq_u32_e32 vcc_lo, 37, v1
	s_cbranch_vccnz .LBB42_284
; %bb.283:
	s_wait_xcnt 0x0
	v_lshlrev_b32_e32 v1, 4, v1
	s_clause 0x1
	scratch_load_b128 v[70:73], off, s12
	scratch_load_b128 v[74:77], v1, off offset:-16
	s_wait_loadcnt 0x1
	ds_store_2addr_b64 v0, v[70:71], v[72:73] offset1:1
	s_wait_loadcnt 0x0
	s_clause 0x1
	scratch_store_b128 off, v[74:77], s12
	scratch_store_b128 v1, v[70:73], off offset:-16
.LBB42_284:
	;; [unrolled: 37-line block ×19, first 2 shown]
	s_wait_xcnt 0x0
	v_mov_b32_e32 v1, 0
	global_load_b32 v70, v1, s[16:17] offset:4
	s_wait_loadcnt 0x0
	v_cmp_eq_u32_e32 vcc_lo, 2, v70
	s_cbranch_vccnz .LBB42_354
; %bb.353:
	v_lshlrev_b32_e32 v70, 4, v70
	s_delay_alu instid0(VALU_DEP_1)
	v_mov_b32_e32 v78, v70
	s_clause 0x1
	scratch_load_b128 v[70:73], off, s43
	scratch_load_b128 v[74:77], v78, off offset:-16
	s_wait_loadcnt 0x1
	ds_store_2addr_b64 v0, v[70:71], v[72:73] offset1:1
	s_wait_loadcnt 0x0
	s_clause 0x1
	scratch_store_b128 off, v[74:77], s43
	scratch_store_b128 v78, v[70:73], off offset:-16
.LBB42_354:
	global_load_b32 v1, v1, s[16:17]
	s_wait_loadcnt 0x0
	v_cmp_eq_u32_e32 vcc_lo, 1, v1
	s_cbranch_vccnz .LBB42_356
; %bb.355:
	s_wait_xcnt 0x0
	v_lshlrev_b32_e32 v1, 4, v1
	scratch_load_b128 v[70:73], off, off
	scratch_load_b128 v[74:77], v1, off offset:-16
	s_wait_loadcnt 0x1
	ds_store_2addr_b64 v0, v[70:71], v[72:73] offset1:1
	s_wait_loadcnt 0x0
	scratch_store_b128 off, v[74:77], off
	scratch_store_b128 v1, v[70:73], off offset:-16
.LBB42_356:
	scratch_load_b128 v[70:73], off, off
	s_clause 0x17
	scratch_load_b128 v[74:77], off, s43
	scratch_load_b128 v[78:81], off, s38
	;; [unrolled: 1-line block ×15, first 2 shown]
	; meta instruction
	; meta instruction
	;; [unrolled: 1-line block ×15, first 2 shown]
	scratch_load_b128 v[152:155], off, s30
	scratch_load_b128 v[156:159], off, s31
	;; [unrolled: 1-line block ×9, first 2 shown]
	s_wait_loadcnt 0x18
	global_store_b128 v[24:25], v[70:73], off
	s_clause 0x1
	scratch_load_b128 v[70:73], off, s28
	scratch_load_b128 v[188:191], off, s29
	s_wait_loadcnt 0x19
	global_store_b128 v[26:27], v[74:77], off
	s_wait_loadcnt 0x18
	global_store_b128 v[126:127], v[78:81], off
	s_clause 0x1
	scratch_load_b128 v[24:27], off, s26
	scratch_load_b128 v[74:77], off, s27
	s_wait_loadcnt 0x19
	global_store_b128 v[124:125], v[82:85], off
	s_clause 0x1
	scratch_load_b128 v[78:81], off, s23
	scratch_load_b128 v[82:85], off, s25
	s_wait_loadcnt 0x1a
	global_store_b128 v[122:123], v[86:89], off
	s_clause 0x1
	scratch_load_b128 v[86:89], off, s15
	scratch_load_b128 v[122:125], off, s21
	s_wait_loadcnt 0x1b
	global_store_b128 v[118:119], v[90:93], off
	s_wait_loadcnt 0x1a
	global_store_b128 v[120:121], v[94:97], off
	s_clause 0x1
	scratch_load_b128 v[90:93], off, s13
	scratch_load_b128 v[94:97], off, s14
	s_wait_loadcnt 0x1b
	global_store_b128 v[116:117], v[98:101], off
	s_clause 0x1
	scratch_load_b128 v[98:101], off, s11
	scratch_load_b128 v[116:119], off, s12
	;; [unrolled: 17-line block ×3, first 2 shown]
	s_wait_loadcnt 0x1e
	global_store_b128 v[2:3], v[136:139], off
	s_wait_loadcnt 0x1d
	global_store_b128 v[6:7], v[140:143], off
	;; [unrolled: 2-line block ×31, first 2 shown]
	s_sendmsg sendmsg(MSG_DEALLOC_VGPRS)
	s_endpgm
	.section	.rodata,"a",@progbits
	.p2align	6, 0x0
	.amdhsa_kernel _ZN9rocsolver6v33100L18getri_kernel_smallILi43E19rocblas_complex_numIdEPS3_EEvT1_iilPiilS6_bb
		.amdhsa_group_segment_fixed_size 2408
		.amdhsa_private_segment_fixed_size 704
		.amdhsa_kernarg_size 60
		.amdhsa_user_sgpr_count 4
		.amdhsa_user_sgpr_dispatch_ptr 1
		.amdhsa_user_sgpr_queue_ptr 0
		.amdhsa_user_sgpr_kernarg_segment_ptr 1
		.amdhsa_user_sgpr_dispatch_id 0
		.amdhsa_user_sgpr_kernarg_preload_length 0
		.amdhsa_user_sgpr_kernarg_preload_offset 0
		.amdhsa_user_sgpr_private_segment_size 0
		.amdhsa_wavefront_size32 1
		.amdhsa_uses_dynamic_stack 0
		.amdhsa_enable_private_segment 1
		.amdhsa_system_sgpr_workgroup_id_x 1
		.amdhsa_system_sgpr_workgroup_id_y 0
		.amdhsa_system_sgpr_workgroup_id_z 0
		.amdhsa_system_sgpr_workgroup_info 0
		.amdhsa_system_vgpr_workitem_id 2
		.amdhsa_next_free_vgpr 196
		.amdhsa_next_free_sgpr 75
		.amdhsa_named_barrier_count 0
		.amdhsa_reserve_vcc 1
		.amdhsa_float_round_mode_32 0
		.amdhsa_float_round_mode_16_64 0
		.amdhsa_float_denorm_mode_32 3
		.amdhsa_float_denorm_mode_16_64 3
		.amdhsa_fp16_overflow 0
		.amdhsa_memory_ordered 1
		.amdhsa_forward_progress 1
		.amdhsa_inst_pref_size 255
		.amdhsa_round_robin_scheduling 0
		.amdhsa_exception_fp_ieee_invalid_op 0
		.amdhsa_exception_fp_denorm_src 0
		.amdhsa_exception_fp_ieee_div_zero 0
		.amdhsa_exception_fp_ieee_overflow 0
		.amdhsa_exception_fp_ieee_underflow 0
		.amdhsa_exception_fp_ieee_inexact 0
		.amdhsa_exception_int_div_zero 0
	.end_amdhsa_kernel
	.section	.text._ZN9rocsolver6v33100L18getri_kernel_smallILi43E19rocblas_complex_numIdEPS3_EEvT1_iilPiilS6_bb,"axG",@progbits,_ZN9rocsolver6v33100L18getri_kernel_smallILi43E19rocblas_complex_numIdEPS3_EEvT1_iilPiilS6_bb,comdat
.Lfunc_end42:
	.size	_ZN9rocsolver6v33100L18getri_kernel_smallILi43E19rocblas_complex_numIdEPS3_EEvT1_iilPiilS6_bb, .Lfunc_end42-_ZN9rocsolver6v33100L18getri_kernel_smallILi43E19rocblas_complex_numIdEPS3_EEvT1_iilPiilS6_bb
                                        ; -- End function
	.set _ZN9rocsolver6v33100L18getri_kernel_smallILi43E19rocblas_complex_numIdEPS3_EEvT1_iilPiilS6_bb.num_vgpr, 196
	.set _ZN9rocsolver6v33100L18getri_kernel_smallILi43E19rocblas_complex_numIdEPS3_EEvT1_iilPiilS6_bb.num_agpr, 0
	.set _ZN9rocsolver6v33100L18getri_kernel_smallILi43E19rocblas_complex_numIdEPS3_EEvT1_iilPiilS6_bb.numbered_sgpr, 75
	.set _ZN9rocsolver6v33100L18getri_kernel_smallILi43E19rocblas_complex_numIdEPS3_EEvT1_iilPiilS6_bb.num_named_barrier, 0
	.set _ZN9rocsolver6v33100L18getri_kernel_smallILi43E19rocblas_complex_numIdEPS3_EEvT1_iilPiilS6_bb.private_seg_size, 704
	.set _ZN9rocsolver6v33100L18getri_kernel_smallILi43E19rocblas_complex_numIdEPS3_EEvT1_iilPiilS6_bb.uses_vcc, 1
	.set _ZN9rocsolver6v33100L18getri_kernel_smallILi43E19rocblas_complex_numIdEPS3_EEvT1_iilPiilS6_bb.uses_flat_scratch, 1
	.set _ZN9rocsolver6v33100L18getri_kernel_smallILi43E19rocblas_complex_numIdEPS3_EEvT1_iilPiilS6_bb.has_dyn_sized_stack, 0
	.set _ZN9rocsolver6v33100L18getri_kernel_smallILi43E19rocblas_complex_numIdEPS3_EEvT1_iilPiilS6_bb.has_recursion, 0
	.set _ZN9rocsolver6v33100L18getri_kernel_smallILi43E19rocblas_complex_numIdEPS3_EEvT1_iilPiilS6_bb.has_indirect_call, 0
	.section	.AMDGPU.csdata,"",@progbits
; Kernel info:
; codeLenInByte = 73844
; TotalNumSgprs: 77
; NumVgprs: 196
; ScratchSize: 704
; MemoryBound: 0
; FloatMode: 240
; IeeeMode: 1
; LDSByteSize: 2408 bytes/workgroup (compile time only)
; SGPRBlocks: 0
; VGPRBlocks: 12
; NumSGPRsForWavesPerEU: 77
; NumVGPRsForWavesPerEU: 196
; NamedBarCnt: 0
; Occupancy: 4
; WaveLimiterHint : 1
; COMPUTE_PGM_RSRC2:SCRATCH_EN: 1
; COMPUTE_PGM_RSRC2:USER_SGPR: 4
; COMPUTE_PGM_RSRC2:TRAP_HANDLER: 0
; COMPUTE_PGM_RSRC2:TGID_X_EN: 1
; COMPUTE_PGM_RSRC2:TGID_Y_EN: 0
; COMPUTE_PGM_RSRC2:TGID_Z_EN: 0
; COMPUTE_PGM_RSRC2:TIDIG_COMP_CNT: 2
	.section	.text._ZN9rocsolver6v33100L18getri_kernel_smallILi44E19rocblas_complex_numIdEPS3_EEvT1_iilPiilS6_bb,"axG",@progbits,_ZN9rocsolver6v33100L18getri_kernel_smallILi44E19rocblas_complex_numIdEPS3_EEvT1_iilPiilS6_bb,comdat
	.globl	_ZN9rocsolver6v33100L18getri_kernel_smallILi44E19rocblas_complex_numIdEPS3_EEvT1_iilPiilS6_bb ; -- Begin function _ZN9rocsolver6v33100L18getri_kernel_smallILi44E19rocblas_complex_numIdEPS3_EEvT1_iilPiilS6_bb
	.p2align	8
	.type	_ZN9rocsolver6v33100L18getri_kernel_smallILi44E19rocblas_complex_numIdEPS3_EEvT1_iilPiilS6_bb,@function
_ZN9rocsolver6v33100L18getri_kernel_smallILi44E19rocblas_complex_numIdEPS3_EEvT1_iilPiilS6_bb: ; @_ZN9rocsolver6v33100L18getri_kernel_smallILi44E19rocblas_complex_numIdEPS3_EEvT1_iilPiilS6_bb
; %bb.0:
	v_and_b32_e32 v1, 0x3ff, v0
	s_mov_b32 s4, exec_lo
	s_delay_alu instid0(VALU_DEP_1)
	v_cmpx_gt_u32_e32 44, v1
	s_cbranch_execz .LBB43_190
; %bb.1:
	s_clause 0x2
	s_load_b32 s8, s[2:3], 0x38
	s_load_b128 s[12:15], s[2:3], 0x10
	s_load_b128 s[4:7], s[2:3], 0x28
	s_getreg_b32 s11, hwreg(HW_REG_IB_STS2, 6, 4)
                                        ; implicit-def: $sgpr16_sgpr17
	s_wait_kmcnt 0x0
	s_bitcmp1_b32 s8, 8
	s_cselect_b32 s56, -1, 0
	s_bfe_u32 s9, ttmp6, 0x4000c
	s_and_b32 s10, ttmp6, 15
	s_add_co_i32 s9, s9, 1
	s_delay_alu instid0(SALU_CYCLE_1) | instskip(NEXT) | instid1(SALU_CYCLE_1)
	s_mul_i32 s9, ttmp9, s9
	s_add_co_i32 s10, s10, s9
	s_cmp_eq_u32 s11, 0
	s_cselect_b32 s18, ttmp9, s10
	s_bfe_u32 s8, s8, 0x10008
	s_ashr_i32 s19, s18, 31
	s_cmp_eq_u32 s8, 0
	s_cbranch_scc1 .LBB43_3
; %bb.2:
	s_load_b32 s8, s[2:3], 0x20
	s_mul_u64 s[4:5], s[4:5], s[18:19]
	s_delay_alu instid0(SALU_CYCLE_1) | instskip(NEXT) | instid1(SALU_CYCLE_1)
	s_lshl_b64 s[4:5], s[4:5], 2
	s_add_nc_u64 s[4:5], s[14:15], s[4:5]
	s_wait_kmcnt 0x0
	s_ashr_i32 s9, s8, 31
	s_delay_alu instid0(SALU_CYCLE_1) | instskip(NEXT) | instid1(SALU_CYCLE_1)
	s_lshl_b64 s[8:9], s[8:9], 2
	s_add_nc_u64 s[16:17], s[4:5], s[8:9]
.LBB43_3:
	s_clause 0x1
	s_load_b128 s[8:11], s[2:3], 0x0
	s_load_b32 s57, s[2:3], 0x38
	s_wait_xcnt 0x0
	s_mul_u64 s[2:3], s[12:13], s[18:19]
	s_movk_i32 s41, 0x190
	s_lshl_b64 s[2:3], s[2:3], 4
	s_movk_i32 s58, 0x1a0
	s_movk_i32 s59, 0x1b0
	;; [unrolled: 1-line block ×15, first 2 shown]
	s_wait_kmcnt 0x0
	v_add3_u32 v20, s11, s11, v1
	s_ashr_i32 s5, s10, 31
	s_mov_b32 s4, s10
	s_add_nc_u64 s[2:3], s[8:9], s[2:3]
	s_lshl_b64 s[4:5], s[4:5], 4
	v_add_nc_u32_e32 v22, s11, v20
	s_add_nc_u64 s[4:5], s[2:3], s[4:5]
	s_ashr_i32 s3, s11, 31
	s_mov_b32 s2, s11
	s_movk_i32 s73, 0x290
	v_add_nc_u32_e32 v24, s11, v22
	s_movk_i32 s74, 0x2a0
	s_movk_i32 s75, 0x2b0
	s_mov_b32 s44, 16
	s_mov_b32 s40, 32
	v_dual_add_nc_u32 v26, s11, v24 :: v_dual_lshlrev_b32 v14, 4, v1
	s_mov_b32 s42, 48
	s_mov_b32 s43, 64
	s_movk_i32 s47, 0x50
	s_delay_alu instid0(VALU_DEP_1)
	v_add_nc_u32_e32 v28, s11, v26
	s_clause 0x1
	global_load_b128 v[2:5], v20, s[4:5] scale_offset
	global_load_b128 v[6:9], v22, s[4:5] scale_offset
	s_movk_i32 s49, 0x60
	s_movk_i32 s52, 0x70
	;; [unrolled: 1-line block ×3, first 2 shown]
	v_dual_mov_b32 v15, 0 :: v_dual_add_nc_u32 v30, s11, v28
	global_load_b128 v[10:13], v24, s[4:5] scale_offset
	s_movk_i32 s46, 0x90
	s_movk_i32 s48, 0xa0
	v_add_nc_u32_e32 v32, s11, v30
	v_add_nc_u64_e32 v[16:17], s[4:5], v[14:15]
	s_movk_i32 s51, 0xb0
	s_movk_i32 s53, 0xc0
	;; [unrolled: 1-line block ×3, first 2 shown]
	v_add_nc_u32_e32 v34, s11, v32
	s_movk_i32 s55, 0xe0
	s_movk_i32 s50, 0xf0
	v_lshl_add_u64 v[18:19], s[2:3], 4, v[16:17]
	s_movk_i32 s29, 0x100
	v_add_nc_u32_e32 v36, s11, v34
	s_clause 0x4
	global_load_b128 v[92:95], v1, s[4:5] scale_offset
	global_load_b128 v[96:99], v[18:19], off
	global_load_b128 v[100:103], v26, s[4:5] scale_offset
	global_load_b128 v[104:107], v28, s[4:5] scale_offset
	;; [unrolled: 1-line block ×3, first 2 shown]
	s_movk_i32 s33, 0x110
	v_add_nc_u32_e32 v38, s11, v36
	s_movk_i32 s36, 0x120
	s_movk_i32 s38, 0x130
	;; [unrolled: 1-line block ×4, first 2 shown]
	v_add_nc_u32_e32 v40, s11, v38
	s_clause 0x1
	global_load_b128 v[112:115], v32, s[4:5] scale_offset
	global_load_b128 v[116:119], v34, s[4:5] scale_offset
	s_movk_i32 s37, 0x160
	s_movk_i32 s30, 0x170
	;; [unrolled: 1-line block ×3, first 2 shown]
	v_add_nc_u32_e32 v42, s11, v40
	s_mov_b32 s26, s41
	s_mov_b32 s27, s58
	;; [unrolled: 1-line block ×4, first 2 shown]
	v_add_nc_u32_e32 v44, s11, v42
	s_clause 0x2
	global_load_b128 v[120:123], v36, s[4:5] scale_offset
	global_load_b128 v[124:127], v38, s[4:5] scale_offset
	;; [unrolled: 1-line block ×3, first 2 shown]
	s_mov_b32 s14, s61
	s_mov_b32 s15, s62
	s_clause 0x1
	global_load_b128 v[132:135], v42, s[4:5] scale_offset
	global_load_b128 v[136:139], v44, s[4:5] scale_offset
	v_add_nc_u32_e32 v46, s11, v44
	s_mov_b32 s12, s63
	s_mov_b32 s13, s64
	s_mov_b32 s10, s65
	s_mov_b32 s8, s67
	v_add_nc_u32_e32 v48, s11, v46
	s_mov_b32 s9, s68
	s_mov_b32 s28, s69
	s_mov_b32 s31, s70
	s_mov_b32 s24, s71
	;; [unrolled: 5-line block ×3, first 2 shown]
	v_add_nc_u32_e32 v52, s11, v50
	s_bitcmp0_b32 s57, 0
	s_mov_b32 s3, -1
	s_delay_alu instid0(VALU_DEP_1)
	v_add_nc_u32_e32 v54, s11, v52
	s_clause 0x1
	global_load_b128 v[140:143], v46, s[4:5] scale_offset
	global_load_b128 v[144:147], v48, s[4:5] scale_offset
	v_add_nc_u32_e32 v56, s11, v54
	s_clause 0x2
	global_load_b128 v[148:151], v50, s[4:5] scale_offset
	global_load_b128 v[152:155], v52, s[4:5] scale_offset
	;; [unrolled: 1-line block ×3, first 2 shown]
	v_add_nc_u32_e32 v58, s11, v56
	s_delay_alu instid0(VALU_DEP_1) | instskip(NEXT) | instid1(VALU_DEP_1)
	v_add_nc_u32_e32 v60, s11, v58
	v_add_nc_u32_e32 v62, s11, v60
	s_delay_alu instid0(VALU_DEP_1) | instskip(NEXT) | instid1(VALU_DEP_1)
	v_add_nc_u32_e32 v64, s11, v62
	v_add_nc_u32_e32 v66, s11, v64
	s_delay_alu instid0(VALU_DEP_1)
	v_add_nc_u32_e32 v68, s11, v66
	s_clause 0x3
	global_load_b128 v[160:163], v56, s[4:5] scale_offset
	global_load_b128 v[164:167], v58, s[4:5] scale_offset
	global_load_b128 v[168:171], v60, s[4:5] scale_offset
	global_load_b128 v[172:175], v62, s[4:5] scale_offset
	v_add_nc_u32_e32 v70, s11, v68
	s_delay_alu instid0(VALU_DEP_1) | instskip(NEXT) | instid1(VALU_DEP_1)
	v_add_nc_u32_e32 v72, s11, v70
	v_add_nc_u32_e32 v74, s11, v72
	s_delay_alu instid0(VALU_DEP_1)
	v_add_nc_u32_e32 v76, s11, v74
	s_clause 0x3
	global_load_b128 v[176:179], v64, s[4:5] scale_offset
	global_load_b128 v[180:183], v66, s[4:5] scale_offset
	;; [unrolled: 1-line block ×4, first 2 shown]
	v_add_nc_u32_e32 v78, s11, v76
	s_delay_alu instid0(VALU_DEP_1) | instskip(NEXT) | instid1(VALU_DEP_1)
	v_add_nc_u32_e32 v80, s11, v78
	v_add_nc_u32_e32 v82, s11, v80
	s_delay_alu instid0(VALU_DEP_1) | instskip(NEXT) | instid1(VALU_DEP_1)
	v_add_nc_u32_e32 v84, s11, v82
	;; [unrolled: 3-line block ×3, first 2 shown]
	v_add_nc_u32_e32 v90, s11, v88
	s_wait_loadcnt 0x1b
	scratch_store_b128 off, v[2:5], off offset:32
	s_wait_loadcnt 0x1a
	scratch_store_b128 off, v[6:9], off offset:48
	;; [unrolled: 2-line block ×3, first 2 shown]
	s_clause 0x1
	global_load_b128 v[2:5], v72, s[4:5] scale_offset
	global_load_b128 v[6:9], v74, s[4:5] scale_offset
	s_wait_loadcnt 0x1a
	scratch_store_b128 off, v[92:95], off
	s_wait_loadcnt 0x19
	scratch_store_b128 off, v[96:99], off offset:16
	s_wait_xcnt 0x1
	v_add_nc_u32_e32 v92, s11, v90
	s_clause 0x1
	global_load_b128 v[10:13], v76, s[4:5] scale_offset
	global_load_b128 v[192:195], v78, s[4:5] scale_offset
	s_wait_loadcnt 0x1a
	scratch_store_b128 off, v[100:103], off offset:80
	s_wait_loadcnt 0x19
	scratch_store_b128 off, v[104:107], off offset:96
	;; [unrolled: 2-line block ×3, first 2 shown]
	s_clause 0x1
	global_load_b128 v[104:107], v80, s[4:5] scale_offset
	global_load_b128 v[108:111], v82, s[4:5] scale_offset
	v_add_nc_u32_e32 v94, s11, v92
	s_wait_loadcnt 0x19
	scratch_store_b128 off, v[112:115], off offset:128
	s_wait_loadcnt 0x18
	scratch_store_b128 off, v[116:119], off offset:144
	v_add_nc_u32_e32 v96, s11, v94
	s_clause 0x1
	global_load_b128 v[112:115], v84, s[4:5] scale_offset
	global_load_b128 v[116:119], v86, s[4:5] scale_offset
	v_add_nc_u32_e32 v98, s11, v96
	s_wait_loadcnt 0x19
	scratch_store_b128 off, v[120:123], off offset:160
	s_wait_loadcnt 0x18
	scratch_store_b128 off, v[124:127], off offset:176
	;; [unrolled: 2-line block ×3, first 2 shown]
	v_add_nc_u32_e32 v100, s11, v98
	s_clause 0x1
	global_load_b128 v[120:123], v88, s[4:5] scale_offset
	global_load_b128 v[124:127], v90, s[4:5] scale_offset
	s_wait_loadcnt 0x18
	scratch_store_b128 off, v[132:135], off offset:208
	s_wait_loadcnt 0x17
	scratch_store_b128 off, v[136:139], off offset:224
	s_clause 0x1
	global_load_b128 v[128:131], v92, s[4:5] scale_offset
	global_load_b128 v[132:135], v94, s[4:5] scale_offset
	s_wait_loadcnt 0x18
	scratch_store_b128 off, v[140:143], off offset:240
	s_wait_loadcnt 0x17
	scratch_store_b128 off, v[144:147], off offset:256
	v_add_nc_u32_e32 v102, s11, v100
	s_clause 0x1
	global_load_b128 v[136:139], v96, s[4:5] scale_offset
	global_load_b128 v[140:143], v98, s[4:5] scale_offset
	s_mov_b32 s11, s66
	s_wait_loadcnt 0x18
	scratch_store_b128 off, v[148:151], off offset:272
	s_wait_loadcnt 0x17
	scratch_store_b128 off, v[152:155], off offset:288
	;; [unrolled: 2-line block ×3, first 2 shown]
	s_clause 0x1
	global_load_b128 v[144:147], v100, s[4:5] scale_offset
	global_load_b128 v[148:151], v102, s[4:5] scale_offset
	s_wait_loadcnt 0x17
	scratch_store_b128 off, v[160:163], off offset:320
	s_wait_loadcnt 0x16
	scratch_store_b128 off, v[164:167], off offset:336
	;; [unrolled: 2-line block ×24, first 2 shown]
	s_cbranch_scc1 .LBB43_188
; %bb.4:
	v_cmp_eq_u32_e64 s2, 0, v1
	s_wait_xcnt 0x0
	s_and_saveexec_b32 s3, s2
; %bb.5:
	v_mov_b32_e32 v2, 0
	ds_store_b32 v2, v2 offset:1408
; %bb.6:
	s_or_b32 exec_lo, exec_lo, s3
	s_wait_storecnt_dscnt 0x0
	s_barrier_signal -1
	s_barrier_wait -1
	scratch_load_b128 v[2:5], v1, off scale_offset
	s_wait_loadcnt 0x0
	v_cmp_eq_f64_e32 vcc_lo, 0, v[2:3]
	v_cmp_eq_f64_e64 s3, 0, v[4:5]
	s_and_b32 s3, vcc_lo, s3
	s_delay_alu instid0(SALU_CYCLE_1)
	s_and_saveexec_b32 s57, s3
	s_cbranch_execz .LBB43_10
; %bb.7:
	v_mov_b32_e32 v2, 0
	s_mov_b32 s58, 0
	ds_load_b32 v3, v2 offset:1408
	s_wait_dscnt 0x0
	v_readfirstlane_b32 s3, v3
	v_add_nc_u32_e32 v3, 1, v1
	s_cmp_eq_u32 s3, 0
	s_delay_alu instid0(VALU_DEP_1) | instskip(SKIP_1) | instid1(SALU_CYCLE_1)
	v_cmp_gt_i32_e32 vcc_lo, s3, v3
	s_cselect_b32 s59, -1, 0
	s_or_b32 s59, s59, vcc_lo
	s_delay_alu instid0(SALU_CYCLE_1)
	s_and_b32 exec_lo, exec_lo, s59
	s_cbranch_execz .LBB43_10
; %bb.8:
	v_mov_b32_e32 v4, s3
.LBB43_9:                               ; =>This Inner Loop Header: Depth=1
	ds_cmpstore_rtn_b32 v4, v2, v3, v4 offset:1408
	s_wait_dscnt 0x0
	v_cmp_ne_u32_e32 vcc_lo, 0, v4
	v_cmp_le_i32_e64 s3, v4, v3
	s_and_b32 s3, vcc_lo, s3
	s_delay_alu instid0(SALU_CYCLE_1) | instskip(NEXT) | instid1(SALU_CYCLE_1)
	s_and_b32 s3, exec_lo, s3
	s_or_b32 s58, s3, s58
	s_delay_alu instid0(SALU_CYCLE_1)
	s_and_not1_b32 exec_lo, exec_lo, s58
	s_cbranch_execnz .LBB43_9
.LBB43_10:
	s_or_b32 exec_lo, exec_lo, s57
	v_mov_b32_e32 v2, 0
	s_barrier_signal -1
	s_barrier_wait -1
	ds_load_b32 v3, v2 offset:1408
	s_and_saveexec_b32 s3, s2
	s_cbranch_execz .LBB43_12
; %bb.11:
	s_lshl_b64 s[58:59], s[18:19], 2
	s_delay_alu instid0(SALU_CYCLE_1)
	s_add_nc_u64 s[58:59], s[6:7], s[58:59]
	s_wait_dscnt 0x0
	global_store_b32 v2, v3, s[58:59]
.LBB43_12:
	s_wait_xcnt 0x0
	s_or_b32 exec_lo, exec_lo, s3
	s_wait_dscnt 0x0
	v_cmp_ne_u32_e32 vcc_lo, 0, v3
	s_mov_b32 s3, 0
	s_cbranch_vccnz .LBB43_188
; %bb.13:
	v_lshl_add_u32 v15, v1, 4, 0
                                        ; implicit-def: $vgpr6_vgpr7
                                        ; implicit-def: $vgpr10_vgpr11
	scratch_load_b128 v[2:5], v15, off
	s_wait_loadcnt 0x0
	v_cmp_ngt_f64_e64 s3, |v[2:3]|, |v[4:5]|
	s_wait_xcnt 0x0
	s_and_saveexec_b32 s57, s3
	s_delay_alu instid0(SALU_CYCLE_1)
	s_xor_b32 s3, exec_lo, s57
	s_cbranch_execz .LBB43_15
; %bb.14:
	v_div_scale_f64 v[6:7], null, v[4:5], v[4:5], v[2:3]
	v_div_scale_f64 v[12:13], vcc_lo, v[2:3], v[4:5], v[2:3]
	s_delay_alu instid0(VALU_DEP_2) | instskip(SKIP_1) | instid1(TRANS32_DEP_1)
	v_rcp_f64_e32 v[8:9], v[6:7]
	v_nop
	v_fma_f64 v[10:11], -v[6:7], v[8:9], 1.0
	s_delay_alu instid0(VALU_DEP_1) | instskip(NEXT) | instid1(VALU_DEP_1)
	v_fmac_f64_e32 v[8:9], v[8:9], v[10:11]
	v_fma_f64 v[10:11], -v[6:7], v[8:9], 1.0
	s_delay_alu instid0(VALU_DEP_1) | instskip(NEXT) | instid1(VALU_DEP_1)
	v_fmac_f64_e32 v[8:9], v[8:9], v[10:11]
	v_mul_f64_e32 v[10:11], v[12:13], v[8:9]
	s_delay_alu instid0(VALU_DEP_1) | instskip(NEXT) | instid1(VALU_DEP_1)
	v_fma_f64 v[6:7], -v[6:7], v[10:11], v[12:13]
	v_div_fmas_f64 v[6:7], v[6:7], v[8:9], v[10:11]
	s_delay_alu instid0(VALU_DEP_1) | instskip(NEXT) | instid1(VALU_DEP_1)
	v_div_fixup_f64 v[6:7], v[6:7], v[4:5], v[2:3]
	v_fmac_f64_e32 v[4:5], v[2:3], v[6:7]
	s_delay_alu instid0(VALU_DEP_1) | instskip(SKIP_1) | instid1(VALU_DEP_2)
	v_div_scale_f64 v[2:3], null, v[4:5], v[4:5], 1.0
	v_div_scale_f64 v[12:13], vcc_lo, 1.0, v[4:5], 1.0
	v_rcp_f64_e32 v[8:9], v[2:3]
	v_nop
	s_delay_alu instid0(TRANS32_DEP_1) | instskip(NEXT) | instid1(VALU_DEP_1)
	v_fma_f64 v[10:11], -v[2:3], v[8:9], 1.0
	v_fmac_f64_e32 v[8:9], v[8:9], v[10:11]
	s_delay_alu instid0(VALU_DEP_1) | instskip(NEXT) | instid1(VALU_DEP_1)
	v_fma_f64 v[10:11], -v[2:3], v[8:9], 1.0
	v_fmac_f64_e32 v[8:9], v[8:9], v[10:11]
	s_delay_alu instid0(VALU_DEP_1) | instskip(NEXT) | instid1(VALU_DEP_1)
	v_mul_f64_e32 v[10:11], v[12:13], v[8:9]
	v_fma_f64 v[2:3], -v[2:3], v[10:11], v[12:13]
	s_delay_alu instid0(VALU_DEP_1) | instskip(NEXT) | instid1(VALU_DEP_1)
	v_div_fmas_f64 v[2:3], v[2:3], v[8:9], v[10:11]
	v_div_fixup_f64 v[8:9], v[2:3], v[4:5], 1.0
                                        ; implicit-def: $vgpr2_vgpr3
	s_delay_alu instid0(VALU_DEP_1) | instskip(SKIP_1) | instid1(VALU_DEP_2)
	v_mul_f64_e32 v[6:7], v[6:7], v[8:9]
	v_xor_b32_e32 v9, 0x80000000, v9
	v_xor_b32_e32 v11, 0x80000000, v7
	s_delay_alu instid0(VALU_DEP_3)
	v_mov_b32_e32 v10, v6
.LBB43_15:
	s_and_not1_saveexec_b32 s3, s3
	s_cbranch_execz .LBB43_17
; %bb.16:
	v_div_scale_f64 v[6:7], null, v[2:3], v[2:3], v[4:5]
	v_div_scale_f64 v[12:13], vcc_lo, v[4:5], v[2:3], v[4:5]
	s_delay_alu instid0(VALU_DEP_2) | instskip(SKIP_1) | instid1(TRANS32_DEP_1)
	v_rcp_f64_e32 v[8:9], v[6:7]
	v_nop
	v_fma_f64 v[10:11], -v[6:7], v[8:9], 1.0
	s_delay_alu instid0(VALU_DEP_1) | instskip(NEXT) | instid1(VALU_DEP_1)
	v_fmac_f64_e32 v[8:9], v[8:9], v[10:11]
	v_fma_f64 v[10:11], -v[6:7], v[8:9], 1.0
	s_delay_alu instid0(VALU_DEP_1) | instskip(NEXT) | instid1(VALU_DEP_1)
	v_fmac_f64_e32 v[8:9], v[8:9], v[10:11]
	v_mul_f64_e32 v[10:11], v[12:13], v[8:9]
	s_delay_alu instid0(VALU_DEP_1) | instskip(NEXT) | instid1(VALU_DEP_1)
	v_fma_f64 v[6:7], -v[6:7], v[10:11], v[12:13]
	v_div_fmas_f64 v[6:7], v[6:7], v[8:9], v[10:11]
	s_delay_alu instid0(VALU_DEP_1) | instskip(NEXT) | instid1(VALU_DEP_1)
	v_div_fixup_f64 v[8:9], v[6:7], v[2:3], v[4:5]
	v_fmac_f64_e32 v[2:3], v[4:5], v[8:9]
	s_delay_alu instid0(VALU_DEP_1) | instskip(NEXT) | instid1(VALU_DEP_1)
	v_div_scale_f64 v[4:5], null, v[2:3], v[2:3], 1.0
	v_rcp_f64_e32 v[6:7], v[4:5]
	v_nop
	s_delay_alu instid0(TRANS32_DEP_1) | instskip(NEXT) | instid1(VALU_DEP_1)
	v_fma_f64 v[10:11], -v[4:5], v[6:7], 1.0
	v_fmac_f64_e32 v[6:7], v[6:7], v[10:11]
	s_delay_alu instid0(VALU_DEP_1) | instskip(NEXT) | instid1(VALU_DEP_1)
	v_fma_f64 v[10:11], -v[4:5], v[6:7], 1.0
	v_fmac_f64_e32 v[6:7], v[6:7], v[10:11]
	v_div_scale_f64 v[10:11], vcc_lo, 1.0, v[2:3], 1.0
	s_delay_alu instid0(VALU_DEP_1) | instskip(NEXT) | instid1(VALU_DEP_1)
	v_mul_f64_e32 v[12:13], v[10:11], v[6:7]
	v_fma_f64 v[4:5], -v[4:5], v[12:13], v[10:11]
	s_delay_alu instid0(VALU_DEP_1) | instskip(NEXT) | instid1(VALU_DEP_1)
	v_div_fmas_f64 v[4:5], v[4:5], v[6:7], v[12:13]
	v_div_fixup_f64 v[6:7], v[4:5], v[2:3], 1.0
	s_delay_alu instid0(VALU_DEP_1)
	v_mul_f64_e64 v[8:9], v[8:9], -v[6:7]
	v_xor_b32_e32 v11, 0x80000000, v7
	v_mov_b32_e32 v10, v6
.LBB43_17:
	s_or_b32 exec_lo, exec_lo, s3
	s_clause 0x1
	scratch_store_b128 v15, v[6:9], off
	scratch_load_b128 v[2:5], off, s44
	v_xor_b32_e32 v13, 0x80000000, v9
	v_mov_b32_e32 v12, v8
	s_wait_xcnt 0x1
	v_add_nc_u32_e32 v6, 0x2c0, v14
	ds_store_b128 v14, v[10:13]
	s_wait_loadcnt 0x0
	ds_store_b128 v14, v[2:5] offset:704
	s_wait_storecnt_dscnt 0x0
	s_barrier_signal -1
	s_barrier_wait -1
	s_wait_xcnt 0x0
	s_and_saveexec_b32 s3, s2
	s_cbranch_execz .LBB43_19
; %bb.18:
	scratch_load_b128 v[2:5], v15, off
	ds_load_b128 v[8:11], v6
	v_mov_b32_e32 v7, 0
	ds_load_b128 v[104:107], v7 offset:16
	s_wait_loadcnt_dscnt 0x1
	v_mul_f64_e32 v[12:13], v[8:9], v[4:5]
	v_mul_f64_e32 v[4:5], v[10:11], v[4:5]
	s_delay_alu instid0(VALU_DEP_2) | instskip(NEXT) | instid1(VALU_DEP_2)
	v_fmac_f64_e32 v[12:13], v[10:11], v[2:3]
	v_fma_f64 v[2:3], v[8:9], v[2:3], -v[4:5]
	s_delay_alu instid0(VALU_DEP_2) | instskip(NEXT) | instid1(VALU_DEP_2)
	v_add_f64_e32 v[8:9], 0, v[12:13]
	v_add_f64_e32 v[2:3], 0, v[2:3]
	s_wait_dscnt 0x0
	s_delay_alu instid0(VALU_DEP_2) | instskip(NEXT) | instid1(VALU_DEP_2)
	v_mul_f64_e32 v[10:11], v[8:9], v[106:107]
	v_mul_f64_e32 v[4:5], v[2:3], v[106:107]
	s_delay_alu instid0(VALU_DEP_2) | instskip(NEXT) | instid1(VALU_DEP_2)
	v_fma_f64 v[2:3], v[2:3], v[104:105], -v[10:11]
	v_fmac_f64_e32 v[4:5], v[8:9], v[104:105]
	scratch_store_b128 off, v[2:5], off offset:16
.LBB43_19:
	s_wait_xcnt 0x0
	s_or_b32 exec_lo, exec_lo, s3
	s_wait_storecnt 0x0
	s_barrier_signal -1
	s_barrier_wait -1
	scratch_load_b128 v[2:5], off, s40
	s_mov_b32 s3, exec_lo
	s_wait_loadcnt 0x0
	ds_store_b128 v6, v[2:5]
	s_wait_dscnt 0x0
	s_barrier_signal -1
	s_barrier_wait -1
	v_cmpx_gt_u32_e32 2, v1
	s_cbranch_execz .LBB43_23
; %bb.20:
	scratch_load_b128 v[2:5], v15, off
	ds_load_b128 v[8:11], v6
	s_wait_loadcnt_dscnt 0x0
	v_mul_f64_e32 v[12:13], v[10:11], v[4:5]
	v_mul_f64_e32 v[104:105], v[8:9], v[4:5]
	s_delay_alu instid0(VALU_DEP_2) | instskip(NEXT) | instid1(VALU_DEP_2)
	v_fma_f64 v[4:5], v[8:9], v[2:3], -v[12:13]
	v_fmac_f64_e32 v[104:105], v[10:11], v[2:3]
	s_delay_alu instid0(VALU_DEP_2) | instskip(NEXT) | instid1(VALU_DEP_2)
	v_add_f64_e32 v[4:5], 0, v[4:5]
	v_add_f64_e32 v[2:3], 0, v[104:105]
	s_and_saveexec_b32 s57, s2
	s_cbranch_execz .LBB43_22
; %bb.21:
	scratch_load_b128 v[8:11], off, off offset:16
	v_mov_b32_e32 v7, 0
	ds_load_b128 v[104:107], v7 offset:720
	s_wait_loadcnt_dscnt 0x0
	v_mul_f64_e32 v[12:13], v[104:105], v[10:11]
	v_mul_f64_e32 v[10:11], v[106:107], v[10:11]
	s_delay_alu instid0(VALU_DEP_2) | instskip(NEXT) | instid1(VALU_DEP_2)
	v_fmac_f64_e32 v[12:13], v[106:107], v[8:9]
	v_fma_f64 v[8:9], v[104:105], v[8:9], -v[10:11]
	s_delay_alu instid0(VALU_DEP_2) | instskip(NEXT) | instid1(VALU_DEP_2)
	v_add_f64_e32 v[2:3], v[2:3], v[12:13]
	v_add_f64_e32 v[4:5], v[4:5], v[8:9]
.LBB43_22:
	s_or_b32 exec_lo, exec_lo, s57
	v_mov_b32_e32 v7, 0
	ds_load_b128 v[8:11], v7 offset:32
	s_wait_dscnt 0x0
	v_mul_f64_e32 v[104:105], v[2:3], v[10:11]
	v_mul_f64_e32 v[12:13], v[4:5], v[10:11]
	s_delay_alu instid0(VALU_DEP_2) | instskip(NEXT) | instid1(VALU_DEP_2)
	v_fma_f64 v[10:11], v[4:5], v[8:9], -v[104:105]
	v_fmac_f64_e32 v[12:13], v[2:3], v[8:9]
	scratch_store_b128 off, v[10:13], off offset:32
.LBB43_23:
	s_wait_xcnt 0x0
	s_or_b32 exec_lo, exec_lo, s3
	s_wait_storecnt 0x0
	s_barrier_signal -1
	s_barrier_wait -1
	scratch_load_b128 v[2:5], off, s42
	v_add_nc_u32_e32 v7, -1, v1
	s_mov_b32 s2, exec_lo
	s_wait_loadcnt 0x0
	ds_store_b128 v6, v[2:5]
	s_wait_dscnt 0x0
	s_barrier_signal -1
	s_barrier_wait -1
	v_cmpx_gt_u32_e32 3, v1
	s_cbranch_execz .LBB43_27
; %bb.24:
	v_dual_mov_b32 v10, v14 :: v_dual_add_nc_u32 v8, -1, v1
	v_mov_b64_e32 v[2:3], 0
	v_mov_b64_e32 v[4:5], 0
	v_add_nc_u32_e32 v9, 0x2c0, v14
	s_delay_alu instid0(VALU_DEP_4)
	v_or_b32_e32 v10, 8, v10
	s_mov_b32 s3, 0
.LBB43_25:                              ; =>This Inner Loop Header: Depth=1
	scratch_load_b128 v[104:107], v10, off offset:-8
	ds_load_b128 v[108:111], v9
	v_dual_add_nc_u32 v8, 1, v8 :: v_dual_add_nc_u32 v9, 16, v9
	s_wait_xcnt 0x0
	v_add_nc_u32_e32 v10, 16, v10
	s_delay_alu instid0(VALU_DEP_2) | instskip(SKIP_4) | instid1(VALU_DEP_2)
	v_cmp_lt_u32_e32 vcc_lo, 1, v8
	s_or_b32 s3, vcc_lo, s3
	s_wait_loadcnt_dscnt 0x0
	v_mul_f64_e32 v[12:13], v[110:111], v[106:107]
	v_mul_f64_e32 v[106:107], v[108:109], v[106:107]
	v_fma_f64 v[12:13], v[108:109], v[104:105], -v[12:13]
	s_delay_alu instid0(VALU_DEP_2) | instskip(NEXT) | instid1(VALU_DEP_2)
	v_fmac_f64_e32 v[106:107], v[110:111], v[104:105]
	v_add_f64_e32 v[4:5], v[4:5], v[12:13]
	s_delay_alu instid0(VALU_DEP_2)
	v_add_f64_e32 v[2:3], v[2:3], v[106:107]
	s_and_not1_b32 exec_lo, exec_lo, s3
	s_cbranch_execnz .LBB43_25
; %bb.26:
	s_or_b32 exec_lo, exec_lo, s3
	v_mov_b32_e32 v8, 0
	ds_load_b128 v[8:11], v8 offset:48
	s_wait_dscnt 0x0
	v_mul_f64_e32 v[104:105], v[2:3], v[10:11]
	v_mul_f64_e32 v[12:13], v[4:5], v[10:11]
	s_delay_alu instid0(VALU_DEP_2) | instskip(NEXT) | instid1(VALU_DEP_2)
	v_fma_f64 v[10:11], v[4:5], v[8:9], -v[104:105]
	v_fmac_f64_e32 v[12:13], v[2:3], v[8:9]
	scratch_store_b128 off, v[10:13], off offset:48
.LBB43_27:
	s_wait_xcnt 0x0
	s_or_b32 exec_lo, exec_lo, s2
	s_wait_storecnt 0x0
	s_barrier_signal -1
	s_barrier_wait -1
	scratch_load_b128 v[2:5], off, s43
	s_mov_b32 s2, exec_lo
	s_wait_loadcnt 0x0
	ds_store_b128 v6, v[2:5]
	s_wait_dscnt 0x0
	s_barrier_signal -1
	s_barrier_wait -1
	v_cmpx_gt_u32_e32 4, v1
	s_cbranch_execz .LBB43_31
; %bb.28:
	v_dual_mov_b32 v10, v14 :: v_dual_add_nc_u32 v8, -1, v1
	v_mov_b64_e32 v[2:3], 0
	v_mov_b64_e32 v[4:5], 0
	v_add_nc_u32_e32 v9, 0x2c0, v14
	s_delay_alu instid0(VALU_DEP_4)
	v_or_b32_e32 v10, 8, v10
	s_mov_b32 s3, 0
.LBB43_29:                              ; =>This Inner Loop Header: Depth=1
	scratch_load_b128 v[104:107], v10, off offset:-8
	ds_load_b128 v[108:111], v9
	v_dual_add_nc_u32 v8, 1, v8 :: v_dual_add_nc_u32 v9, 16, v9
	s_wait_xcnt 0x0
	v_add_nc_u32_e32 v10, 16, v10
	s_delay_alu instid0(VALU_DEP_2) | instskip(SKIP_4) | instid1(VALU_DEP_2)
	v_cmp_lt_u32_e32 vcc_lo, 2, v8
	s_or_b32 s3, vcc_lo, s3
	s_wait_loadcnt_dscnt 0x0
	v_mul_f64_e32 v[12:13], v[110:111], v[106:107]
	v_mul_f64_e32 v[106:107], v[108:109], v[106:107]
	v_fma_f64 v[12:13], v[108:109], v[104:105], -v[12:13]
	s_delay_alu instid0(VALU_DEP_2) | instskip(NEXT) | instid1(VALU_DEP_2)
	v_fmac_f64_e32 v[106:107], v[110:111], v[104:105]
	v_add_f64_e32 v[4:5], v[4:5], v[12:13]
	s_delay_alu instid0(VALU_DEP_2)
	v_add_f64_e32 v[2:3], v[2:3], v[106:107]
	s_and_not1_b32 exec_lo, exec_lo, s3
	s_cbranch_execnz .LBB43_29
; %bb.30:
	s_or_b32 exec_lo, exec_lo, s3
	v_mov_b32_e32 v8, 0
	ds_load_b128 v[8:11], v8 offset:64
	s_wait_dscnt 0x0
	v_mul_f64_e32 v[104:105], v[2:3], v[10:11]
	v_mul_f64_e32 v[12:13], v[4:5], v[10:11]
	s_delay_alu instid0(VALU_DEP_2) | instskip(NEXT) | instid1(VALU_DEP_2)
	v_fma_f64 v[10:11], v[4:5], v[8:9], -v[104:105]
	v_fmac_f64_e32 v[12:13], v[2:3], v[8:9]
	scratch_store_b128 off, v[10:13], off offset:64
.LBB43_31:
	s_wait_xcnt 0x0
	s_or_b32 exec_lo, exec_lo, s2
	s_wait_storecnt 0x0
	s_barrier_signal -1
	s_barrier_wait -1
	scratch_load_b128 v[2:5], off, s47
	;; [unrolled: 54-line block ×19, first 2 shown]
	s_mov_b32 s2, exec_lo
	s_wait_loadcnt 0x0
	ds_store_b128 v6, v[2:5]
	s_wait_dscnt 0x0
	s_barrier_signal -1
	s_barrier_wait -1
	v_cmpx_gt_u32_e32 22, v1
	s_cbranch_execz .LBB43_103
; %bb.100:
	v_dual_mov_b32 v10, v14 :: v_dual_add_nc_u32 v8, -1, v1
	v_mov_b64_e32 v[2:3], 0
	v_mov_b64_e32 v[4:5], 0
	v_add_nc_u32_e32 v9, 0x2c0, v14
	s_delay_alu instid0(VALU_DEP_4)
	v_or_b32_e32 v10, 8, v10
	s_mov_b32 s3, 0
.LBB43_101:                             ; =>This Inner Loop Header: Depth=1
	scratch_load_b128 v[104:107], v10, off offset:-8
	ds_load_b128 v[108:111], v9
	v_dual_add_nc_u32 v8, 1, v8 :: v_dual_add_nc_u32 v9, 16, v9
	s_wait_xcnt 0x0
	v_add_nc_u32_e32 v10, 16, v10
	s_delay_alu instid0(VALU_DEP_2) | instskip(SKIP_4) | instid1(VALU_DEP_2)
	v_cmp_lt_u32_e32 vcc_lo, 20, v8
	s_or_b32 s3, vcc_lo, s3
	s_wait_loadcnt_dscnt 0x0
	v_mul_f64_e32 v[12:13], v[110:111], v[106:107]
	v_mul_f64_e32 v[106:107], v[108:109], v[106:107]
	v_fma_f64 v[12:13], v[108:109], v[104:105], -v[12:13]
	s_delay_alu instid0(VALU_DEP_2) | instskip(NEXT) | instid1(VALU_DEP_2)
	v_fmac_f64_e32 v[106:107], v[110:111], v[104:105]
	v_add_f64_e32 v[4:5], v[4:5], v[12:13]
	s_delay_alu instid0(VALU_DEP_2)
	v_add_f64_e32 v[2:3], v[2:3], v[106:107]
	s_and_not1_b32 exec_lo, exec_lo, s3
	s_cbranch_execnz .LBB43_101
; %bb.102:
	s_or_b32 exec_lo, exec_lo, s3
	v_mov_b32_e32 v8, 0
	ds_load_b128 v[8:11], v8 offset:352
	s_wait_dscnt 0x0
	v_mul_f64_e32 v[104:105], v[2:3], v[10:11]
	v_mul_f64_e32 v[12:13], v[4:5], v[10:11]
	s_delay_alu instid0(VALU_DEP_2) | instskip(NEXT) | instid1(VALU_DEP_2)
	v_fma_f64 v[10:11], v[4:5], v[8:9], -v[104:105]
	v_fmac_f64_e32 v[12:13], v[2:3], v[8:9]
	scratch_store_b128 off, v[10:13], off offset:352
.LBB43_103:
	s_wait_xcnt 0x0
	s_or_b32 exec_lo, exec_lo, s2
	s_wait_storecnt 0x0
	s_barrier_signal -1
	s_barrier_wait -1
	scratch_load_b128 v[2:5], off, s30
	s_mov_b32 s2, exec_lo
	s_wait_loadcnt 0x0
	ds_store_b128 v6, v[2:5]
	s_wait_dscnt 0x0
	s_barrier_signal -1
	s_barrier_wait -1
	v_cmpx_gt_u32_e32 23, v1
	s_cbranch_execz .LBB43_107
; %bb.104:
	v_dual_mov_b32 v10, v14 :: v_dual_add_nc_u32 v8, -1, v1
	v_mov_b64_e32 v[2:3], 0
	v_mov_b64_e32 v[4:5], 0
	v_add_nc_u32_e32 v9, 0x2c0, v14
	s_delay_alu instid0(VALU_DEP_4)
	v_or_b32_e32 v10, 8, v10
	s_mov_b32 s3, 0
.LBB43_105:                             ; =>This Inner Loop Header: Depth=1
	scratch_load_b128 v[104:107], v10, off offset:-8
	ds_load_b128 v[108:111], v9
	v_dual_add_nc_u32 v8, 1, v8 :: v_dual_add_nc_u32 v9, 16, v9
	s_wait_xcnt 0x0
	v_add_nc_u32_e32 v10, 16, v10
	s_delay_alu instid0(VALU_DEP_2) | instskip(SKIP_4) | instid1(VALU_DEP_2)
	v_cmp_lt_u32_e32 vcc_lo, 21, v8
	s_or_b32 s3, vcc_lo, s3
	s_wait_loadcnt_dscnt 0x0
	v_mul_f64_e32 v[12:13], v[110:111], v[106:107]
	v_mul_f64_e32 v[106:107], v[108:109], v[106:107]
	v_fma_f64 v[12:13], v[108:109], v[104:105], -v[12:13]
	s_delay_alu instid0(VALU_DEP_2) | instskip(NEXT) | instid1(VALU_DEP_2)
	v_fmac_f64_e32 v[106:107], v[110:111], v[104:105]
	v_add_f64_e32 v[4:5], v[4:5], v[12:13]
	s_delay_alu instid0(VALU_DEP_2)
	v_add_f64_e32 v[2:3], v[2:3], v[106:107]
	s_and_not1_b32 exec_lo, exec_lo, s3
	s_cbranch_execnz .LBB43_105
; %bb.106:
	s_or_b32 exec_lo, exec_lo, s3
	v_mov_b32_e32 v8, 0
	ds_load_b128 v[8:11], v8 offset:368
	s_wait_dscnt 0x0
	v_mul_f64_e32 v[104:105], v[2:3], v[10:11]
	v_mul_f64_e32 v[12:13], v[4:5], v[10:11]
	s_delay_alu instid0(VALU_DEP_2) | instskip(NEXT) | instid1(VALU_DEP_2)
	v_fma_f64 v[10:11], v[4:5], v[8:9], -v[104:105]
	v_fmac_f64_e32 v[12:13], v[2:3], v[8:9]
	scratch_store_b128 off, v[10:13], off offset:368
.LBB43_107:
	s_wait_xcnt 0x0
	s_or_b32 exec_lo, exec_lo, s2
	s_wait_storecnt 0x0
	s_barrier_signal -1
	s_barrier_wait -1
	scratch_load_b128 v[2:5], off, s34
	;; [unrolled: 54-line block ×21, first 2 shown]
	s_mov_b32 s2, exec_lo
	s_wait_loadcnt 0x0
	ds_store_b128 v6, v[2:5]
	s_wait_dscnt 0x0
	s_barrier_signal -1
	s_barrier_wait -1
	v_cmpx_ne_u32_e32 43, v1
	s_cbranch_execz .LBB43_187
; %bb.184:
	v_mov_b32_e32 v8, v14
	v_mov_b64_e32 v[2:3], 0
	v_mov_b64_e32 v[4:5], 0
	s_mov_b32 s3, 0
	s_delay_alu instid0(VALU_DEP_3)
	v_or_b32_e32 v8, 8, v8
.LBB43_185:                             ; =>This Inner Loop Header: Depth=1
	scratch_load_b128 v[10:13], v8, off offset:-8
	ds_load_b128 v[104:107], v6
	v_dual_add_nc_u32 v7, 1, v7 :: v_dual_add_nc_u32 v6, 16, v6
	s_wait_xcnt 0x0
	v_add_nc_u32_e32 v8, 16, v8
	s_delay_alu instid0(VALU_DEP_2) | instskip(SKIP_4) | instid1(VALU_DEP_2)
	v_cmp_lt_u32_e32 vcc_lo, 41, v7
	s_or_b32 s3, vcc_lo, s3
	s_wait_loadcnt_dscnt 0x0
	v_mul_f64_e32 v[14:15], v[106:107], v[12:13]
	v_mul_f64_e32 v[12:13], v[104:105], v[12:13]
	v_fma_f64 v[14:15], v[104:105], v[10:11], -v[14:15]
	s_delay_alu instid0(VALU_DEP_2) | instskip(NEXT) | instid1(VALU_DEP_2)
	v_fmac_f64_e32 v[12:13], v[106:107], v[10:11]
	v_add_f64_e32 v[4:5], v[4:5], v[14:15]
	s_delay_alu instid0(VALU_DEP_2)
	v_add_f64_e32 v[2:3], v[2:3], v[12:13]
	s_and_not1_b32 exec_lo, exec_lo, s3
	s_cbranch_execnz .LBB43_185
; %bb.186:
	s_or_b32 exec_lo, exec_lo, s3
	v_mov_b32_e32 v6, 0
	ds_load_b128 v[6:9], v6 offset:688
	s_wait_dscnt 0x0
	v_mul_f64_e32 v[12:13], v[2:3], v[8:9]
	v_mul_f64_e32 v[10:11], v[4:5], v[8:9]
	s_delay_alu instid0(VALU_DEP_2) | instskip(NEXT) | instid1(VALU_DEP_2)
	v_fma_f64 v[8:9], v[4:5], v[6:7], -v[12:13]
	v_fmac_f64_e32 v[10:11], v[2:3], v[6:7]
	scratch_store_b128 off, v[8:11], off offset:688
.LBB43_187:
	s_wait_xcnt 0x0
	s_or_b32 exec_lo, exec_lo, s2
	s_mov_b32 s3, -1
	s_wait_storecnt 0x0
	s_barrier_signal -1
	s_barrier_wait -1
.LBB43_188:
	s_and_b32 vcc_lo, exec_lo, s3
	s_cbranch_vccz .LBB43_190
; %bb.189:
	s_wait_xcnt 0xf
	v_mov_b32_e32 v2, 0
	s_lshl_b64 s[2:3], s[18:19], 2
	s_delay_alu instid0(SALU_CYCLE_1)
	s_add_nc_u64 s[2:3], s[6:7], s[2:3]
	global_load_b32 v2, v2, s[2:3]
	s_wait_loadcnt 0x0
	v_cmp_ne_u32_e32 vcc_lo, 0, v2
	s_cbranch_vccz .LBB43_191
.LBB43_190:
	s_sendmsg sendmsg(MSG_DEALLOC_VGPRS)
	s_endpgm
.LBB43_191:
	s_wait_xcnt 0xc
	v_lshl_add_u32 v104, v1, 4, 0x2c0
	s_wait_xcnt 0x0
	s_mov_b32 s2, exec_lo
	v_cmpx_eq_u32_e32 43, v1
	s_cbranch_execz .LBB43_193
; %bb.192:
	scratch_load_b128 v[2:5], off, s22
	v_mov_b32_e32 v6, 0
	s_delay_alu instid0(VALU_DEP_1)
	v_dual_mov_b32 v7, v6 :: v_dual_mov_b32 v8, v6
	v_mov_b32_e32 v9, v6
	scratch_store_b128 off, v[6:9], off offset:672
	s_wait_loadcnt 0x0
	ds_store_b128 v104, v[2:5]
.LBB43_193:
	s_wait_xcnt 0x0
	s_or_b32 exec_lo, exec_lo, s2
	s_wait_storecnt_dscnt 0x0
	s_barrier_signal -1
	s_barrier_wait -1
	s_clause 0x1
	scratch_load_b128 v[4:7], off, off offset:688
	scratch_load_b128 v[8:11], off, off offset:672
	v_mov_b32_e32 v2, 0
	s_mov_b32 s2, exec_lo
	ds_load_b128 v[12:15], v2 offset:1392
	s_wait_loadcnt_dscnt 0x100
	v_mul_f64_e32 v[106:107], v[14:15], v[6:7]
	v_mul_f64_e32 v[6:7], v[12:13], v[6:7]
	s_delay_alu instid0(VALU_DEP_2) | instskip(NEXT) | instid1(VALU_DEP_2)
	v_fma_f64 v[12:13], v[12:13], v[4:5], -v[106:107]
	v_fmac_f64_e32 v[6:7], v[14:15], v[4:5]
	s_delay_alu instid0(VALU_DEP_2) | instskip(NEXT) | instid1(VALU_DEP_2)
	v_add_f64_e32 v[4:5], 0, v[12:13]
	v_add_f64_e32 v[6:7], 0, v[6:7]
	s_wait_loadcnt 0x0
	s_delay_alu instid0(VALU_DEP_2) | instskip(NEXT) | instid1(VALU_DEP_2)
	v_add_f64_e64 v[4:5], v[8:9], -v[4:5]
	v_add_f64_e64 v[6:7], v[10:11], -v[6:7]
	scratch_store_b128 off, v[4:7], off offset:672
	s_wait_xcnt 0x0
	v_cmpx_lt_u32_e32 41, v1
	s_cbranch_execz .LBB43_195
; %bb.194:
	scratch_load_b128 v[6:9], off, s20
	v_dual_mov_b32 v3, v2 :: v_dual_mov_b32 v4, v2
	v_mov_b32_e32 v5, v2
	scratch_store_b128 off, v[2:5], off offset:656
	s_wait_loadcnt 0x0
	ds_store_b128 v104, v[6:9]
.LBB43_195:
	s_wait_xcnt 0x0
	s_or_b32 exec_lo, exec_lo, s2
	s_wait_storecnt_dscnt 0x0
	s_barrier_signal -1
	s_barrier_wait -1
	s_clause 0x2
	scratch_load_b128 v[4:7], off, off offset:672
	scratch_load_b128 v[8:11], off, off offset:688
	;; [unrolled: 1-line block ×3, first 2 shown]
	ds_load_b128 v[106:109], v2 offset:1376
	ds_load_b128 v[110:113], v2 offset:1392
	s_mov_b32 s2, exec_lo
	s_wait_loadcnt_dscnt 0x201
	v_mul_f64_e32 v[2:3], v[108:109], v[6:7]
	v_mul_f64_e32 v[6:7], v[106:107], v[6:7]
	s_wait_loadcnt_dscnt 0x100
	v_mul_f64_e32 v[114:115], v[110:111], v[10:11]
	v_mul_f64_e32 v[10:11], v[112:113], v[10:11]
	s_delay_alu instid0(VALU_DEP_4) | instskip(NEXT) | instid1(VALU_DEP_4)
	v_fma_f64 v[2:3], v[106:107], v[4:5], -v[2:3]
	v_fmac_f64_e32 v[6:7], v[108:109], v[4:5]
	s_delay_alu instid0(VALU_DEP_4) | instskip(NEXT) | instid1(VALU_DEP_4)
	v_fmac_f64_e32 v[114:115], v[112:113], v[8:9]
	v_fma_f64 v[4:5], v[110:111], v[8:9], -v[10:11]
	s_delay_alu instid0(VALU_DEP_4) | instskip(NEXT) | instid1(VALU_DEP_4)
	v_add_f64_e32 v[2:3], 0, v[2:3]
	v_add_f64_e32 v[6:7], 0, v[6:7]
	s_delay_alu instid0(VALU_DEP_2) | instskip(NEXT) | instid1(VALU_DEP_2)
	v_add_f64_e32 v[2:3], v[2:3], v[4:5]
	v_add_f64_e32 v[4:5], v[6:7], v[114:115]
	s_wait_loadcnt 0x0
	s_delay_alu instid0(VALU_DEP_2) | instskip(NEXT) | instid1(VALU_DEP_2)
	v_add_f64_e64 v[2:3], v[12:13], -v[2:3]
	v_add_f64_e64 v[4:5], v[14:15], -v[4:5]
	scratch_store_b128 off, v[2:5], off offset:656
	s_wait_xcnt 0x0
	v_cmpx_lt_u32_e32 40, v1
	s_cbranch_execz .LBB43_197
; %bb.196:
	scratch_load_b128 v[2:5], off, s25
	v_mov_b32_e32 v6, 0
	s_delay_alu instid0(VALU_DEP_1)
	v_dual_mov_b32 v7, v6 :: v_dual_mov_b32 v8, v6
	v_mov_b32_e32 v9, v6
	scratch_store_b128 off, v[6:9], off offset:640
	s_wait_loadcnt 0x0
	ds_store_b128 v104, v[2:5]
.LBB43_197:
	s_wait_xcnt 0x0
	s_or_b32 exec_lo, exec_lo, s2
	s_wait_storecnt_dscnt 0x0
	s_barrier_signal -1
	s_barrier_wait -1
	s_clause 0x3
	scratch_load_b128 v[4:7], off, off offset:656
	scratch_load_b128 v[8:11], off, off offset:672
	;; [unrolled: 1-line block ×4, first 2 shown]
	v_mov_b32_e32 v2, 0
	ds_load_b128 v[110:113], v2 offset:1360
	ds_load_b128 v[114:117], v2 offset:1376
	s_mov_b32 s2, exec_lo
	s_wait_loadcnt_dscnt 0x301
	v_mul_f64_e32 v[118:119], v[112:113], v[6:7]
	v_mul_f64_e32 v[120:121], v[110:111], v[6:7]
	s_wait_loadcnt_dscnt 0x200
	v_mul_f64_e32 v[122:123], v[114:115], v[10:11]
	v_mul_f64_e32 v[10:11], v[116:117], v[10:11]
	s_delay_alu instid0(VALU_DEP_4) | instskip(NEXT) | instid1(VALU_DEP_4)
	v_fma_f64 v[110:111], v[110:111], v[4:5], -v[118:119]
	v_fmac_f64_e32 v[120:121], v[112:113], v[4:5]
	ds_load_b128 v[4:7], v2 offset:1392
	v_fmac_f64_e32 v[122:123], v[116:117], v[8:9]
	v_fma_f64 v[8:9], v[114:115], v[8:9], -v[10:11]
	s_wait_loadcnt_dscnt 0x100
	v_mul_f64_e32 v[112:113], v[4:5], v[14:15]
	v_mul_f64_e32 v[14:15], v[6:7], v[14:15]
	v_add_f64_e32 v[10:11], 0, v[110:111]
	v_add_f64_e32 v[110:111], 0, v[120:121]
	s_delay_alu instid0(VALU_DEP_4) | instskip(NEXT) | instid1(VALU_DEP_4)
	v_fmac_f64_e32 v[112:113], v[6:7], v[12:13]
	v_fma_f64 v[4:5], v[4:5], v[12:13], -v[14:15]
	s_delay_alu instid0(VALU_DEP_4) | instskip(NEXT) | instid1(VALU_DEP_4)
	v_add_f64_e32 v[6:7], v[10:11], v[8:9]
	v_add_f64_e32 v[8:9], v[110:111], v[122:123]
	s_delay_alu instid0(VALU_DEP_2) | instskip(NEXT) | instid1(VALU_DEP_2)
	v_add_f64_e32 v[4:5], v[6:7], v[4:5]
	v_add_f64_e32 v[6:7], v[8:9], v[112:113]
	s_wait_loadcnt 0x0
	s_delay_alu instid0(VALU_DEP_2) | instskip(NEXT) | instid1(VALU_DEP_2)
	v_add_f64_e64 v[4:5], v[106:107], -v[4:5]
	v_add_f64_e64 v[6:7], v[108:109], -v[6:7]
	scratch_store_b128 off, v[4:7], off offset:640
	s_wait_xcnt 0x0
	v_cmpx_lt_u32_e32 39, v1
	s_cbranch_execz .LBB43_199
; %bb.198:
	scratch_load_b128 v[6:9], off, s24
	v_dual_mov_b32 v3, v2 :: v_dual_mov_b32 v4, v2
	v_mov_b32_e32 v5, v2
	scratch_store_b128 off, v[2:5], off offset:624
	s_wait_loadcnt 0x0
	ds_store_b128 v104, v[6:9]
.LBB43_199:
	s_wait_xcnt 0x0
	s_or_b32 exec_lo, exec_lo, s2
	s_wait_storecnt_dscnt 0x0
	s_barrier_signal -1
	s_barrier_wait -1
	s_clause 0x4
	scratch_load_b128 v[4:7], off, off offset:640
	scratch_load_b128 v[8:11], off, off offset:656
	;; [unrolled: 1-line block ×5, first 2 shown]
	ds_load_b128 v[114:117], v2 offset:1344
	ds_load_b128 v[118:121], v2 offset:1360
	s_mov_b32 s2, exec_lo
	s_wait_loadcnt_dscnt 0x401
	v_mul_f64_e32 v[122:123], v[116:117], v[6:7]
	v_mul_f64_e32 v[124:125], v[114:115], v[6:7]
	s_wait_loadcnt_dscnt 0x300
	v_mul_f64_e32 v[126:127], v[118:119], v[10:11]
	v_mul_f64_e32 v[10:11], v[120:121], v[10:11]
	s_delay_alu instid0(VALU_DEP_4) | instskip(NEXT) | instid1(VALU_DEP_4)
	v_fma_f64 v[122:123], v[114:115], v[4:5], -v[122:123]
	v_fmac_f64_e32 v[124:125], v[116:117], v[4:5]
	ds_load_b128 v[4:7], v2 offset:1376
	ds_load_b128 v[114:117], v2 offset:1392
	v_fmac_f64_e32 v[126:127], v[120:121], v[8:9]
	v_fma_f64 v[8:9], v[118:119], v[8:9], -v[10:11]
	s_wait_loadcnt_dscnt 0x201
	v_mul_f64_e32 v[2:3], v[4:5], v[14:15]
	v_mul_f64_e32 v[14:15], v[6:7], v[14:15]
	s_wait_loadcnt_dscnt 0x100
	v_mul_f64_e32 v[120:121], v[114:115], v[108:109]
	v_mul_f64_e32 v[108:109], v[116:117], v[108:109]
	v_add_f64_e32 v[10:11], 0, v[122:123]
	v_add_f64_e32 v[118:119], 0, v[124:125]
	v_fmac_f64_e32 v[2:3], v[6:7], v[12:13]
	v_fma_f64 v[4:5], v[4:5], v[12:13], -v[14:15]
	v_fmac_f64_e32 v[120:121], v[116:117], v[106:107]
	v_add_f64_e32 v[6:7], v[10:11], v[8:9]
	v_add_f64_e32 v[8:9], v[118:119], v[126:127]
	v_fma_f64 v[10:11], v[114:115], v[106:107], -v[108:109]
	s_delay_alu instid0(VALU_DEP_3) | instskip(NEXT) | instid1(VALU_DEP_3)
	v_add_f64_e32 v[4:5], v[6:7], v[4:5]
	v_add_f64_e32 v[2:3], v[8:9], v[2:3]
	s_delay_alu instid0(VALU_DEP_2) | instskip(NEXT) | instid1(VALU_DEP_2)
	v_add_f64_e32 v[4:5], v[4:5], v[10:11]
	v_add_f64_e32 v[6:7], v[2:3], v[120:121]
	s_wait_loadcnt 0x0
	s_delay_alu instid0(VALU_DEP_2) | instskip(NEXT) | instid1(VALU_DEP_2)
	v_add_f64_e64 v[2:3], v[110:111], -v[4:5]
	v_add_f64_e64 v[4:5], v[112:113], -v[6:7]
	scratch_store_b128 off, v[2:5], off offset:624
	s_wait_xcnt 0x0
	v_cmpx_lt_u32_e32 38, v1
	s_cbranch_execz .LBB43_201
; %bb.200:
	scratch_load_b128 v[2:5], off, s31
	v_mov_b32_e32 v6, 0
	s_delay_alu instid0(VALU_DEP_1)
	v_dual_mov_b32 v7, v6 :: v_dual_mov_b32 v8, v6
	v_mov_b32_e32 v9, v6
	scratch_store_b128 off, v[6:9], off offset:608
	s_wait_loadcnt 0x0
	ds_store_b128 v104, v[2:5]
.LBB43_201:
	s_wait_xcnt 0x0
	s_or_b32 exec_lo, exec_lo, s2
	s_wait_storecnt_dscnt 0x0
	s_barrier_signal -1
	s_barrier_wait -1
	s_clause 0x5
	scratch_load_b128 v[4:7], off, off offset:624
	scratch_load_b128 v[8:11], off, off offset:640
	;; [unrolled: 1-line block ×6, first 2 shown]
	v_mov_b32_e32 v2, 0
	ds_load_b128 v[118:121], v2 offset:1328
	ds_load_b128 v[122:125], v2 offset:1344
	s_mov_b32 s2, exec_lo
	s_wait_loadcnt_dscnt 0x501
	v_mul_f64_e32 v[126:127], v[120:121], v[6:7]
	v_mul_f64_e32 v[128:129], v[118:119], v[6:7]
	s_wait_loadcnt_dscnt 0x400
	v_mul_f64_e32 v[130:131], v[122:123], v[10:11]
	v_mul_f64_e32 v[10:11], v[124:125], v[10:11]
	s_delay_alu instid0(VALU_DEP_4) | instskip(NEXT) | instid1(VALU_DEP_4)
	v_fma_f64 v[126:127], v[118:119], v[4:5], -v[126:127]
	v_fmac_f64_e32 v[128:129], v[120:121], v[4:5]
	ds_load_b128 v[4:7], v2 offset:1360
	ds_load_b128 v[118:121], v2 offset:1376
	v_fmac_f64_e32 v[130:131], v[124:125], v[8:9]
	v_fma_f64 v[8:9], v[122:123], v[8:9], -v[10:11]
	s_wait_loadcnt_dscnt 0x301
	v_mul_f64_e32 v[132:133], v[4:5], v[14:15]
	v_mul_f64_e32 v[14:15], v[6:7], v[14:15]
	s_wait_loadcnt_dscnt 0x200
	v_mul_f64_e32 v[124:125], v[118:119], v[108:109]
	v_mul_f64_e32 v[108:109], v[120:121], v[108:109]
	v_add_f64_e32 v[10:11], 0, v[126:127]
	v_add_f64_e32 v[122:123], 0, v[128:129]
	v_fmac_f64_e32 v[132:133], v[6:7], v[12:13]
	v_fma_f64 v[12:13], v[4:5], v[12:13], -v[14:15]
	ds_load_b128 v[4:7], v2 offset:1392
	v_fmac_f64_e32 v[124:125], v[120:121], v[106:107]
	v_fma_f64 v[106:107], v[118:119], v[106:107], -v[108:109]
	v_add_f64_e32 v[8:9], v[10:11], v[8:9]
	v_add_f64_e32 v[10:11], v[122:123], v[130:131]
	s_wait_loadcnt_dscnt 0x100
	v_mul_f64_e32 v[14:15], v[4:5], v[112:113]
	v_mul_f64_e32 v[112:113], v[6:7], v[112:113]
	s_delay_alu instid0(VALU_DEP_4) | instskip(NEXT) | instid1(VALU_DEP_4)
	v_add_f64_e32 v[8:9], v[8:9], v[12:13]
	v_add_f64_e32 v[10:11], v[10:11], v[132:133]
	s_delay_alu instid0(VALU_DEP_4) | instskip(NEXT) | instid1(VALU_DEP_4)
	v_fmac_f64_e32 v[14:15], v[6:7], v[110:111]
	v_fma_f64 v[4:5], v[4:5], v[110:111], -v[112:113]
	s_delay_alu instid0(VALU_DEP_4) | instskip(NEXT) | instid1(VALU_DEP_4)
	v_add_f64_e32 v[6:7], v[8:9], v[106:107]
	v_add_f64_e32 v[8:9], v[10:11], v[124:125]
	s_delay_alu instid0(VALU_DEP_2) | instskip(NEXT) | instid1(VALU_DEP_2)
	v_add_f64_e32 v[4:5], v[6:7], v[4:5]
	v_add_f64_e32 v[6:7], v[8:9], v[14:15]
	s_wait_loadcnt 0x0
	s_delay_alu instid0(VALU_DEP_2) | instskip(NEXT) | instid1(VALU_DEP_2)
	v_add_f64_e64 v[4:5], v[114:115], -v[4:5]
	v_add_f64_e64 v[6:7], v[116:117], -v[6:7]
	scratch_store_b128 off, v[4:7], off offset:608
	s_wait_xcnt 0x0
	v_cmpx_lt_u32_e32 37, v1
	s_cbranch_execz .LBB43_203
; %bb.202:
	scratch_load_b128 v[6:9], off, s28
	v_dual_mov_b32 v3, v2 :: v_dual_mov_b32 v4, v2
	v_mov_b32_e32 v5, v2
	scratch_store_b128 off, v[2:5], off offset:592
	s_wait_loadcnt 0x0
	ds_store_b128 v104, v[6:9]
.LBB43_203:
	s_wait_xcnt 0x0
	s_or_b32 exec_lo, exec_lo, s2
	s_wait_storecnt_dscnt 0x0
	s_barrier_signal -1
	s_barrier_wait -1
	s_clause 0x6
	scratch_load_b128 v[4:7], off, off offset:608
	scratch_load_b128 v[8:11], off, off offset:624
	;; [unrolled: 1-line block ×7, first 2 shown]
	ds_load_b128 v[122:125], v2 offset:1312
	ds_load_b128 v[126:129], v2 offset:1328
	s_mov_b32 s2, exec_lo
	s_wait_loadcnt_dscnt 0x601
	v_mul_f64_e32 v[130:131], v[124:125], v[6:7]
	v_mul_f64_e32 v[132:133], v[122:123], v[6:7]
	s_wait_loadcnt_dscnt 0x500
	v_mul_f64_e32 v[134:135], v[126:127], v[10:11]
	v_mul_f64_e32 v[10:11], v[128:129], v[10:11]
	s_delay_alu instid0(VALU_DEP_4) | instskip(NEXT) | instid1(VALU_DEP_4)
	v_fma_f64 v[130:131], v[122:123], v[4:5], -v[130:131]
	v_fmac_f64_e32 v[132:133], v[124:125], v[4:5]
	ds_load_b128 v[4:7], v2 offset:1344
	ds_load_b128 v[122:125], v2 offset:1360
	v_fmac_f64_e32 v[134:135], v[128:129], v[8:9]
	v_fma_f64 v[8:9], v[126:127], v[8:9], -v[10:11]
	s_wait_loadcnt_dscnt 0x401
	v_mul_f64_e32 v[136:137], v[4:5], v[14:15]
	v_mul_f64_e32 v[14:15], v[6:7], v[14:15]
	s_wait_loadcnt_dscnt 0x300
	v_mul_f64_e32 v[128:129], v[122:123], v[108:109]
	v_mul_f64_e32 v[108:109], v[124:125], v[108:109]
	v_add_f64_e32 v[10:11], 0, v[130:131]
	v_add_f64_e32 v[126:127], 0, v[132:133]
	v_fmac_f64_e32 v[136:137], v[6:7], v[12:13]
	v_fma_f64 v[12:13], v[4:5], v[12:13], -v[14:15]
	v_fmac_f64_e32 v[128:129], v[124:125], v[106:107]
	v_fma_f64 v[106:107], v[122:123], v[106:107], -v[108:109]
	v_add_f64_e32 v[14:15], v[10:11], v[8:9]
	v_add_f64_e32 v[126:127], v[126:127], v[134:135]
	ds_load_b128 v[4:7], v2 offset:1376
	ds_load_b128 v[8:11], v2 offset:1392
	s_wait_loadcnt_dscnt 0x201
	v_mul_f64_e32 v[2:3], v[4:5], v[112:113]
	v_mul_f64_e32 v[112:113], v[6:7], v[112:113]
	s_wait_loadcnt_dscnt 0x100
	v_mul_f64_e32 v[108:109], v[8:9], v[116:117]
	v_mul_f64_e32 v[116:117], v[10:11], v[116:117]
	v_add_f64_e32 v[12:13], v[14:15], v[12:13]
	v_add_f64_e32 v[14:15], v[126:127], v[136:137]
	v_fmac_f64_e32 v[2:3], v[6:7], v[110:111]
	v_fma_f64 v[4:5], v[4:5], v[110:111], -v[112:113]
	v_fmac_f64_e32 v[108:109], v[10:11], v[114:115]
	v_fma_f64 v[8:9], v[8:9], v[114:115], -v[116:117]
	v_add_f64_e32 v[6:7], v[12:13], v[106:107]
	v_add_f64_e32 v[12:13], v[14:15], v[128:129]
	s_delay_alu instid0(VALU_DEP_2) | instskip(NEXT) | instid1(VALU_DEP_2)
	v_add_f64_e32 v[4:5], v[6:7], v[4:5]
	v_add_f64_e32 v[2:3], v[12:13], v[2:3]
	s_delay_alu instid0(VALU_DEP_2) | instskip(NEXT) | instid1(VALU_DEP_2)
	v_add_f64_e32 v[4:5], v[4:5], v[8:9]
	v_add_f64_e32 v[6:7], v[2:3], v[108:109]
	s_wait_loadcnt 0x0
	s_delay_alu instid0(VALU_DEP_2) | instskip(NEXT) | instid1(VALU_DEP_2)
	v_add_f64_e64 v[2:3], v[118:119], -v[4:5]
	v_add_f64_e64 v[4:5], v[120:121], -v[6:7]
	scratch_store_b128 off, v[2:5], off offset:592
	s_wait_xcnt 0x0
	v_cmpx_lt_u32_e32 36, v1
	s_cbranch_execz .LBB43_205
; %bb.204:
	scratch_load_b128 v[2:5], off, s9
	v_mov_b32_e32 v6, 0
	s_delay_alu instid0(VALU_DEP_1)
	v_dual_mov_b32 v7, v6 :: v_dual_mov_b32 v8, v6
	v_mov_b32_e32 v9, v6
	scratch_store_b128 off, v[6:9], off offset:576
	s_wait_loadcnt 0x0
	ds_store_b128 v104, v[2:5]
.LBB43_205:
	s_wait_xcnt 0x0
	s_or_b32 exec_lo, exec_lo, s2
	s_wait_storecnt_dscnt 0x0
	s_barrier_signal -1
	s_barrier_wait -1
	s_clause 0x7
	scratch_load_b128 v[4:7], off, off offset:592
	scratch_load_b128 v[8:11], off, off offset:608
	;; [unrolled: 1-line block ×8, first 2 shown]
	v_mov_b32_e32 v2, 0
	ds_load_b128 v[126:129], v2 offset:1296
	ds_load_b128 v[130:133], v2 offset:1312
	s_mov_b32 s2, exec_lo
	s_wait_loadcnt_dscnt 0x701
	v_mul_f64_e32 v[134:135], v[128:129], v[6:7]
	v_mul_f64_e32 v[136:137], v[126:127], v[6:7]
	s_wait_loadcnt_dscnt 0x600
	v_mul_f64_e32 v[138:139], v[130:131], v[10:11]
	v_mul_f64_e32 v[10:11], v[132:133], v[10:11]
	s_delay_alu instid0(VALU_DEP_4) | instskip(NEXT) | instid1(VALU_DEP_4)
	v_fma_f64 v[134:135], v[126:127], v[4:5], -v[134:135]
	v_fmac_f64_e32 v[136:137], v[128:129], v[4:5]
	ds_load_b128 v[4:7], v2 offset:1328
	ds_load_b128 v[126:129], v2 offset:1344
	v_fmac_f64_e32 v[138:139], v[132:133], v[8:9]
	v_fma_f64 v[8:9], v[130:131], v[8:9], -v[10:11]
	s_wait_loadcnt_dscnt 0x501
	v_mul_f64_e32 v[140:141], v[4:5], v[14:15]
	v_mul_f64_e32 v[14:15], v[6:7], v[14:15]
	s_wait_loadcnt_dscnt 0x400
	v_mul_f64_e32 v[132:133], v[126:127], v[108:109]
	v_mul_f64_e32 v[108:109], v[128:129], v[108:109]
	v_add_f64_e32 v[10:11], 0, v[134:135]
	v_add_f64_e32 v[130:131], 0, v[136:137]
	v_fmac_f64_e32 v[140:141], v[6:7], v[12:13]
	v_fma_f64 v[12:13], v[4:5], v[12:13], -v[14:15]
	v_fmac_f64_e32 v[132:133], v[128:129], v[106:107]
	v_fma_f64 v[106:107], v[126:127], v[106:107], -v[108:109]
	v_add_f64_e32 v[14:15], v[10:11], v[8:9]
	v_add_f64_e32 v[130:131], v[130:131], v[138:139]
	ds_load_b128 v[4:7], v2 offset:1360
	ds_load_b128 v[8:11], v2 offset:1376
	s_wait_loadcnt_dscnt 0x301
	v_mul_f64_e32 v[134:135], v[4:5], v[112:113]
	v_mul_f64_e32 v[112:113], v[6:7], v[112:113]
	s_wait_loadcnt_dscnt 0x200
	v_mul_f64_e32 v[108:109], v[8:9], v[116:117]
	v_mul_f64_e32 v[116:117], v[10:11], v[116:117]
	v_add_f64_e32 v[12:13], v[14:15], v[12:13]
	v_add_f64_e32 v[14:15], v[130:131], v[140:141]
	v_fmac_f64_e32 v[134:135], v[6:7], v[110:111]
	v_fma_f64 v[110:111], v[4:5], v[110:111], -v[112:113]
	ds_load_b128 v[4:7], v2 offset:1392
	v_fmac_f64_e32 v[108:109], v[10:11], v[114:115]
	v_fma_f64 v[8:9], v[8:9], v[114:115], -v[116:117]
	v_add_f64_e32 v[12:13], v[12:13], v[106:107]
	v_add_f64_e32 v[14:15], v[14:15], v[132:133]
	s_wait_loadcnt_dscnt 0x100
	v_mul_f64_e32 v[106:107], v[4:5], v[120:121]
	v_mul_f64_e32 v[112:113], v[6:7], v[120:121]
	s_delay_alu instid0(VALU_DEP_4) | instskip(NEXT) | instid1(VALU_DEP_4)
	v_add_f64_e32 v[10:11], v[12:13], v[110:111]
	v_add_f64_e32 v[12:13], v[14:15], v[134:135]
	s_delay_alu instid0(VALU_DEP_4) | instskip(NEXT) | instid1(VALU_DEP_4)
	v_fmac_f64_e32 v[106:107], v[6:7], v[118:119]
	v_fma_f64 v[4:5], v[4:5], v[118:119], -v[112:113]
	s_delay_alu instid0(VALU_DEP_4) | instskip(NEXT) | instid1(VALU_DEP_4)
	v_add_f64_e32 v[6:7], v[10:11], v[8:9]
	v_add_f64_e32 v[8:9], v[12:13], v[108:109]
	s_delay_alu instid0(VALU_DEP_2) | instskip(NEXT) | instid1(VALU_DEP_2)
	v_add_f64_e32 v[4:5], v[6:7], v[4:5]
	v_add_f64_e32 v[6:7], v[8:9], v[106:107]
	s_wait_loadcnt 0x0
	s_delay_alu instid0(VALU_DEP_2) | instskip(NEXT) | instid1(VALU_DEP_2)
	v_add_f64_e64 v[4:5], v[122:123], -v[4:5]
	v_add_f64_e64 v[6:7], v[124:125], -v[6:7]
	scratch_store_b128 off, v[4:7], off offset:576
	s_wait_xcnt 0x0
	v_cmpx_lt_u32_e32 35, v1
	s_cbranch_execz .LBB43_207
; %bb.206:
	scratch_load_b128 v[6:9], off, s8
	v_dual_mov_b32 v3, v2 :: v_dual_mov_b32 v4, v2
	v_mov_b32_e32 v5, v2
	scratch_store_b128 off, v[2:5], off offset:560
	s_wait_loadcnt 0x0
	ds_store_b128 v104, v[6:9]
.LBB43_207:
	s_wait_xcnt 0x0
	s_or_b32 exec_lo, exec_lo, s2
	s_wait_storecnt_dscnt 0x0
	s_barrier_signal -1
	s_barrier_wait -1
	s_clause 0x7
	scratch_load_b128 v[4:7], off, off offset:576
	scratch_load_b128 v[8:11], off, off offset:592
	;; [unrolled: 1-line block ×8, first 2 shown]
	ds_load_b128 v[126:129], v2 offset:1280
	ds_load_b128 v[130:133], v2 offset:1296
	scratch_load_b128 v[134:137], off, off offset:560
	s_mov_b32 s2, exec_lo
	s_wait_loadcnt_dscnt 0x801
	v_mul_f64_e32 v[138:139], v[128:129], v[6:7]
	v_mul_f64_e32 v[140:141], v[126:127], v[6:7]
	s_wait_loadcnt_dscnt 0x700
	v_mul_f64_e32 v[142:143], v[130:131], v[10:11]
	v_mul_f64_e32 v[10:11], v[132:133], v[10:11]
	s_delay_alu instid0(VALU_DEP_4) | instskip(NEXT) | instid1(VALU_DEP_4)
	v_fma_f64 v[138:139], v[126:127], v[4:5], -v[138:139]
	v_fmac_f64_e32 v[140:141], v[128:129], v[4:5]
	ds_load_b128 v[4:7], v2 offset:1312
	ds_load_b128 v[126:129], v2 offset:1328
	v_fmac_f64_e32 v[142:143], v[132:133], v[8:9]
	v_fma_f64 v[8:9], v[130:131], v[8:9], -v[10:11]
	s_wait_loadcnt_dscnt 0x601
	v_mul_f64_e32 v[144:145], v[4:5], v[14:15]
	v_mul_f64_e32 v[14:15], v[6:7], v[14:15]
	s_wait_loadcnt_dscnt 0x500
	v_mul_f64_e32 v[132:133], v[126:127], v[108:109]
	v_mul_f64_e32 v[108:109], v[128:129], v[108:109]
	v_add_f64_e32 v[10:11], 0, v[138:139]
	v_add_f64_e32 v[130:131], 0, v[140:141]
	v_fmac_f64_e32 v[144:145], v[6:7], v[12:13]
	v_fma_f64 v[12:13], v[4:5], v[12:13], -v[14:15]
	v_fmac_f64_e32 v[132:133], v[128:129], v[106:107]
	v_fma_f64 v[106:107], v[126:127], v[106:107], -v[108:109]
	v_add_f64_e32 v[14:15], v[10:11], v[8:9]
	v_add_f64_e32 v[130:131], v[130:131], v[142:143]
	ds_load_b128 v[4:7], v2 offset:1344
	ds_load_b128 v[8:11], v2 offset:1360
	s_wait_loadcnt_dscnt 0x401
	v_mul_f64_e32 v[138:139], v[4:5], v[112:113]
	v_mul_f64_e32 v[112:113], v[6:7], v[112:113]
	s_wait_loadcnt_dscnt 0x300
	v_mul_f64_e32 v[108:109], v[8:9], v[116:117]
	v_mul_f64_e32 v[116:117], v[10:11], v[116:117]
	v_add_f64_e32 v[12:13], v[14:15], v[12:13]
	v_add_f64_e32 v[14:15], v[130:131], v[144:145]
	v_fmac_f64_e32 v[138:139], v[6:7], v[110:111]
	v_fma_f64 v[110:111], v[4:5], v[110:111], -v[112:113]
	v_fmac_f64_e32 v[108:109], v[10:11], v[114:115]
	v_fma_f64 v[8:9], v[8:9], v[114:115], -v[116:117]
	v_add_f64_e32 v[106:107], v[12:13], v[106:107]
	v_add_f64_e32 v[112:113], v[14:15], v[132:133]
	ds_load_b128 v[4:7], v2 offset:1376
	ds_load_b128 v[12:15], v2 offset:1392
	s_wait_loadcnt_dscnt 0x201
	v_mul_f64_e32 v[2:3], v[4:5], v[120:121]
	v_mul_f64_e32 v[120:121], v[6:7], v[120:121]
	v_add_f64_e32 v[10:11], v[106:107], v[110:111]
	v_add_f64_e32 v[106:107], v[112:113], v[138:139]
	s_wait_loadcnt_dscnt 0x100
	v_mul_f64_e32 v[110:111], v[12:13], v[124:125]
	v_mul_f64_e32 v[112:113], v[14:15], v[124:125]
	v_fmac_f64_e32 v[2:3], v[6:7], v[118:119]
	v_fma_f64 v[4:5], v[4:5], v[118:119], -v[120:121]
	v_add_f64_e32 v[6:7], v[10:11], v[8:9]
	v_add_f64_e32 v[8:9], v[106:107], v[108:109]
	v_fmac_f64_e32 v[110:111], v[14:15], v[122:123]
	v_fma_f64 v[10:11], v[12:13], v[122:123], -v[112:113]
	s_delay_alu instid0(VALU_DEP_4) | instskip(NEXT) | instid1(VALU_DEP_4)
	v_add_f64_e32 v[4:5], v[6:7], v[4:5]
	v_add_f64_e32 v[2:3], v[8:9], v[2:3]
	s_delay_alu instid0(VALU_DEP_2) | instskip(NEXT) | instid1(VALU_DEP_2)
	v_add_f64_e32 v[4:5], v[4:5], v[10:11]
	v_add_f64_e32 v[6:7], v[2:3], v[110:111]
	s_wait_loadcnt 0x0
	s_delay_alu instid0(VALU_DEP_2) | instskip(NEXT) | instid1(VALU_DEP_2)
	v_add_f64_e64 v[2:3], v[134:135], -v[4:5]
	v_add_f64_e64 v[4:5], v[136:137], -v[6:7]
	scratch_store_b128 off, v[2:5], off offset:560
	s_wait_xcnt 0x0
	v_cmpx_lt_u32_e32 34, v1
	s_cbranch_execz .LBB43_209
; %bb.208:
	scratch_load_b128 v[2:5], off, s11
	v_mov_b32_e32 v6, 0
	s_delay_alu instid0(VALU_DEP_1)
	v_dual_mov_b32 v7, v6 :: v_dual_mov_b32 v8, v6
	v_mov_b32_e32 v9, v6
	scratch_store_b128 off, v[6:9], off offset:544
	s_wait_loadcnt 0x0
	ds_store_b128 v104, v[2:5]
.LBB43_209:
	s_wait_xcnt 0x0
	s_or_b32 exec_lo, exec_lo, s2
	s_wait_storecnt_dscnt 0x0
	s_barrier_signal -1
	s_barrier_wait -1
	s_clause 0x8
	scratch_load_b128 v[4:7], off, off offset:560
	scratch_load_b128 v[8:11], off, off offset:576
	;; [unrolled: 1-line block ×9, first 2 shown]
	v_mov_b32_e32 v2, 0
	scratch_load_b128 v[134:137], off, off offset:544
	s_mov_b32 s2, exec_lo
	ds_load_b128 v[130:133], v2 offset:1264
	ds_load_b128 v[138:141], v2 offset:1280
	s_wait_loadcnt_dscnt 0x901
	v_mul_f64_e32 v[142:143], v[132:133], v[6:7]
	v_mul_f64_e32 v[144:145], v[130:131], v[6:7]
	s_wait_loadcnt_dscnt 0x800
	v_mul_f64_e32 v[146:147], v[138:139], v[10:11]
	v_mul_f64_e32 v[10:11], v[140:141], v[10:11]
	s_delay_alu instid0(VALU_DEP_4) | instskip(NEXT) | instid1(VALU_DEP_4)
	v_fma_f64 v[142:143], v[130:131], v[4:5], -v[142:143]
	v_fmac_f64_e32 v[144:145], v[132:133], v[4:5]
	ds_load_b128 v[4:7], v2 offset:1296
	ds_load_b128 v[130:133], v2 offset:1312
	v_fmac_f64_e32 v[146:147], v[140:141], v[8:9]
	v_fma_f64 v[8:9], v[138:139], v[8:9], -v[10:11]
	s_wait_loadcnt_dscnt 0x701
	v_mul_f64_e32 v[148:149], v[4:5], v[14:15]
	v_mul_f64_e32 v[14:15], v[6:7], v[14:15]
	s_wait_loadcnt_dscnt 0x600
	v_mul_f64_e32 v[140:141], v[130:131], v[108:109]
	v_mul_f64_e32 v[108:109], v[132:133], v[108:109]
	v_add_f64_e32 v[10:11], 0, v[142:143]
	v_add_f64_e32 v[138:139], 0, v[144:145]
	v_fmac_f64_e32 v[148:149], v[6:7], v[12:13]
	v_fma_f64 v[12:13], v[4:5], v[12:13], -v[14:15]
	v_fmac_f64_e32 v[140:141], v[132:133], v[106:107]
	v_fma_f64 v[106:107], v[130:131], v[106:107], -v[108:109]
	v_add_f64_e32 v[14:15], v[10:11], v[8:9]
	v_add_f64_e32 v[138:139], v[138:139], v[146:147]
	ds_load_b128 v[4:7], v2 offset:1328
	ds_load_b128 v[8:11], v2 offset:1344
	s_wait_loadcnt_dscnt 0x501
	v_mul_f64_e32 v[142:143], v[4:5], v[112:113]
	v_mul_f64_e32 v[112:113], v[6:7], v[112:113]
	s_wait_loadcnt_dscnt 0x400
	v_mul_f64_e32 v[108:109], v[8:9], v[116:117]
	v_mul_f64_e32 v[116:117], v[10:11], v[116:117]
	v_add_f64_e32 v[12:13], v[14:15], v[12:13]
	v_add_f64_e32 v[14:15], v[138:139], v[148:149]
	v_fmac_f64_e32 v[142:143], v[6:7], v[110:111]
	v_fma_f64 v[110:111], v[4:5], v[110:111], -v[112:113]
	v_fmac_f64_e32 v[108:109], v[10:11], v[114:115]
	v_fma_f64 v[8:9], v[8:9], v[114:115], -v[116:117]
	v_add_f64_e32 v[106:107], v[12:13], v[106:107]
	v_add_f64_e32 v[112:113], v[14:15], v[140:141]
	ds_load_b128 v[4:7], v2 offset:1360
	ds_load_b128 v[12:15], v2 offset:1376
	s_wait_loadcnt_dscnt 0x301
	v_mul_f64_e32 v[130:131], v[4:5], v[120:121]
	v_mul_f64_e32 v[120:121], v[6:7], v[120:121]
	v_add_f64_e32 v[10:11], v[106:107], v[110:111]
	v_add_f64_e32 v[106:107], v[112:113], v[142:143]
	s_wait_loadcnt_dscnt 0x200
	v_mul_f64_e32 v[110:111], v[12:13], v[124:125]
	v_mul_f64_e32 v[112:113], v[14:15], v[124:125]
	v_fmac_f64_e32 v[130:131], v[6:7], v[118:119]
	v_fma_f64 v[114:115], v[4:5], v[118:119], -v[120:121]
	ds_load_b128 v[4:7], v2 offset:1392
	v_add_f64_e32 v[8:9], v[10:11], v[8:9]
	v_add_f64_e32 v[10:11], v[106:107], v[108:109]
	v_fmac_f64_e32 v[110:111], v[14:15], v[122:123]
	v_fma_f64 v[12:13], v[12:13], v[122:123], -v[112:113]
	s_wait_loadcnt_dscnt 0x100
	v_mul_f64_e32 v[106:107], v[4:5], v[128:129]
	v_mul_f64_e32 v[108:109], v[6:7], v[128:129]
	v_add_f64_e32 v[8:9], v[8:9], v[114:115]
	v_add_f64_e32 v[10:11], v[10:11], v[130:131]
	s_delay_alu instid0(VALU_DEP_4) | instskip(NEXT) | instid1(VALU_DEP_4)
	v_fmac_f64_e32 v[106:107], v[6:7], v[126:127]
	v_fma_f64 v[4:5], v[4:5], v[126:127], -v[108:109]
	s_delay_alu instid0(VALU_DEP_4) | instskip(NEXT) | instid1(VALU_DEP_4)
	v_add_f64_e32 v[6:7], v[8:9], v[12:13]
	v_add_f64_e32 v[8:9], v[10:11], v[110:111]
	s_delay_alu instid0(VALU_DEP_2) | instskip(NEXT) | instid1(VALU_DEP_2)
	v_add_f64_e32 v[4:5], v[6:7], v[4:5]
	v_add_f64_e32 v[6:7], v[8:9], v[106:107]
	s_wait_loadcnt 0x0
	s_delay_alu instid0(VALU_DEP_2) | instskip(NEXT) | instid1(VALU_DEP_2)
	v_add_f64_e64 v[4:5], v[134:135], -v[4:5]
	v_add_f64_e64 v[6:7], v[136:137], -v[6:7]
	scratch_store_b128 off, v[4:7], off offset:544
	s_wait_xcnt 0x0
	v_cmpx_lt_u32_e32 33, v1
	s_cbranch_execz .LBB43_211
; %bb.210:
	scratch_load_b128 v[6:9], off, s10
	v_dual_mov_b32 v3, v2 :: v_dual_mov_b32 v4, v2
	v_mov_b32_e32 v5, v2
	scratch_store_b128 off, v[2:5], off offset:528
	s_wait_loadcnt 0x0
	ds_store_b128 v104, v[6:9]
.LBB43_211:
	s_wait_xcnt 0x0
	s_or_b32 exec_lo, exec_lo, s2
	s_wait_storecnt_dscnt 0x0
	s_barrier_signal -1
	s_barrier_wait -1
	s_clause 0x9
	scratch_load_b128 v[4:7], off, off offset:544
	scratch_load_b128 v[8:11], off, off offset:560
	;; [unrolled: 1-line block ×10, first 2 shown]
	ds_load_b128 v[134:137], v2 offset:1248
	ds_load_b128 v[138:141], v2 offset:1264
	scratch_load_b128 v[142:145], off, off offset:528
	s_mov_b32 s2, exec_lo
	s_wait_loadcnt_dscnt 0xa01
	v_mul_f64_e32 v[146:147], v[136:137], v[6:7]
	v_mul_f64_e32 v[148:149], v[134:135], v[6:7]
	s_wait_loadcnt_dscnt 0x900
	v_mul_f64_e32 v[150:151], v[138:139], v[10:11]
	v_mul_f64_e32 v[10:11], v[140:141], v[10:11]
	s_delay_alu instid0(VALU_DEP_4) | instskip(NEXT) | instid1(VALU_DEP_4)
	v_fma_f64 v[146:147], v[134:135], v[4:5], -v[146:147]
	v_fmac_f64_e32 v[148:149], v[136:137], v[4:5]
	ds_load_b128 v[4:7], v2 offset:1280
	ds_load_b128 v[134:137], v2 offset:1296
	v_fmac_f64_e32 v[150:151], v[140:141], v[8:9]
	v_fma_f64 v[8:9], v[138:139], v[8:9], -v[10:11]
	s_wait_loadcnt_dscnt 0x801
	v_mul_f64_e32 v[152:153], v[4:5], v[14:15]
	v_mul_f64_e32 v[14:15], v[6:7], v[14:15]
	s_wait_loadcnt_dscnt 0x700
	v_mul_f64_e32 v[140:141], v[134:135], v[108:109]
	v_mul_f64_e32 v[108:109], v[136:137], v[108:109]
	v_add_f64_e32 v[10:11], 0, v[146:147]
	v_add_f64_e32 v[138:139], 0, v[148:149]
	v_fmac_f64_e32 v[152:153], v[6:7], v[12:13]
	v_fma_f64 v[12:13], v[4:5], v[12:13], -v[14:15]
	v_fmac_f64_e32 v[140:141], v[136:137], v[106:107]
	v_fma_f64 v[106:107], v[134:135], v[106:107], -v[108:109]
	v_add_f64_e32 v[14:15], v[10:11], v[8:9]
	v_add_f64_e32 v[138:139], v[138:139], v[150:151]
	ds_load_b128 v[4:7], v2 offset:1312
	ds_load_b128 v[8:11], v2 offset:1328
	s_wait_loadcnt_dscnt 0x601
	v_mul_f64_e32 v[146:147], v[4:5], v[112:113]
	v_mul_f64_e32 v[112:113], v[6:7], v[112:113]
	s_wait_loadcnt_dscnt 0x500
	v_mul_f64_e32 v[108:109], v[8:9], v[116:117]
	v_mul_f64_e32 v[116:117], v[10:11], v[116:117]
	v_add_f64_e32 v[12:13], v[14:15], v[12:13]
	v_add_f64_e32 v[14:15], v[138:139], v[152:153]
	v_fmac_f64_e32 v[146:147], v[6:7], v[110:111]
	v_fma_f64 v[110:111], v[4:5], v[110:111], -v[112:113]
	v_fmac_f64_e32 v[108:109], v[10:11], v[114:115]
	v_fma_f64 v[8:9], v[8:9], v[114:115], -v[116:117]
	v_add_f64_e32 v[106:107], v[12:13], v[106:107]
	v_add_f64_e32 v[112:113], v[14:15], v[140:141]
	ds_load_b128 v[4:7], v2 offset:1344
	ds_load_b128 v[12:15], v2 offset:1360
	s_wait_loadcnt_dscnt 0x401
	v_mul_f64_e32 v[134:135], v[4:5], v[120:121]
	v_mul_f64_e32 v[120:121], v[6:7], v[120:121]
	v_add_f64_e32 v[10:11], v[106:107], v[110:111]
	v_add_f64_e32 v[106:107], v[112:113], v[146:147]
	s_wait_loadcnt_dscnt 0x300
	v_mul_f64_e32 v[110:111], v[12:13], v[124:125]
	v_mul_f64_e32 v[112:113], v[14:15], v[124:125]
	v_fmac_f64_e32 v[134:135], v[6:7], v[118:119]
	v_fma_f64 v[114:115], v[4:5], v[118:119], -v[120:121]
	v_add_f64_e32 v[116:117], v[10:11], v[8:9]
	v_add_f64_e32 v[106:107], v[106:107], v[108:109]
	ds_load_b128 v[4:7], v2 offset:1376
	ds_load_b128 v[8:11], v2 offset:1392
	v_fmac_f64_e32 v[110:111], v[14:15], v[122:123]
	v_fma_f64 v[12:13], v[12:13], v[122:123], -v[112:113]
	s_wait_loadcnt_dscnt 0x201
	v_mul_f64_e32 v[2:3], v[4:5], v[128:129]
	v_mul_f64_e32 v[108:109], v[6:7], v[128:129]
	s_wait_loadcnt_dscnt 0x100
	v_mul_f64_e32 v[112:113], v[8:9], v[132:133]
	v_add_f64_e32 v[14:15], v[116:117], v[114:115]
	v_add_f64_e32 v[106:107], v[106:107], v[134:135]
	v_mul_f64_e32 v[114:115], v[10:11], v[132:133]
	v_fmac_f64_e32 v[2:3], v[6:7], v[126:127]
	v_fma_f64 v[4:5], v[4:5], v[126:127], -v[108:109]
	v_fmac_f64_e32 v[112:113], v[10:11], v[130:131]
	v_add_f64_e32 v[6:7], v[14:15], v[12:13]
	v_add_f64_e32 v[12:13], v[106:107], v[110:111]
	v_fma_f64 v[8:9], v[8:9], v[130:131], -v[114:115]
	s_delay_alu instid0(VALU_DEP_3) | instskip(NEXT) | instid1(VALU_DEP_3)
	v_add_f64_e32 v[4:5], v[6:7], v[4:5]
	v_add_f64_e32 v[2:3], v[12:13], v[2:3]
	s_delay_alu instid0(VALU_DEP_2) | instskip(NEXT) | instid1(VALU_DEP_2)
	v_add_f64_e32 v[4:5], v[4:5], v[8:9]
	v_add_f64_e32 v[6:7], v[2:3], v[112:113]
	s_wait_loadcnt 0x0
	s_delay_alu instid0(VALU_DEP_2) | instskip(NEXT) | instid1(VALU_DEP_2)
	v_add_f64_e64 v[2:3], v[142:143], -v[4:5]
	v_add_f64_e64 v[4:5], v[144:145], -v[6:7]
	scratch_store_b128 off, v[2:5], off offset:528
	s_wait_xcnt 0x0
	v_cmpx_lt_u32_e32 32, v1
	s_cbranch_execz .LBB43_213
; %bb.212:
	scratch_load_b128 v[2:5], off, s13
	v_mov_b32_e32 v6, 0
	s_delay_alu instid0(VALU_DEP_1)
	v_dual_mov_b32 v7, v6 :: v_dual_mov_b32 v8, v6
	v_mov_b32_e32 v9, v6
	scratch_store_b128 off, v[6:9], off offset:512
	s_wait_loadcnt 0x0
	ds_store_b128 v104, v[2:5]
.LBB43_213:
	s_wait_xcnt 0x0
	s_or_b32 exec_lo, exec_lo, s2
	s_wait_storecnt_dscnt 0x0
	s_barrier_signal -1
	s_barrier_wait -1
	s_clause 0x9
	scratch_load_b128 v[4:7], off, off offset:528
	scratch_load_b128 v[8:11], off, off offset:544
	;; [unrolled: 1-line block ×10, first 2 shown]
	v_mov_b32_e32 v2, 0
	s_mov_b32 s2, exec_lo
	ds_load_b128 v[134:137], v2 offset:1232
	s_clause 0x1
	scratch_load_b128 v[138:141], off, off offset:688
	scratch_load_b128 v[142:145], off, off offset:512
	s_wait_loadcnt_dscnt 0xb00
	v_mul_f64_e32 v[150:151], v[136:137], v[6:7]
	v_mul_f64_e32 v[152:153], v[134:135], v[6:7]
	ds_load_b128 v[146:149], v2 offset:1248
	s_wait_loadcnt_dscnt 0xa00
	v_mul_f64_e32 v[154:155], v[146:147], v[10:11]
	v_mul_f64_e32 v[10:11], v[148:149], v[10:11]
	v_fma_f64 v[150:151], v[134:135], v[4:5], -v[150:151]
	v_fmac_f64_e32 v[152:153], v[136:137], v[4:5]
	ds_load_b128 v[4:7], v2 offset:1264
	ds_load_b128 v[134:137], v2 offset:1280
	s_wait_loadcnt_dscnt 0x901
	v_mul_f64_e32 v[156:157], v[4:5], v[14:15]
	v_mul_f64_e32 v[14:15], v[6:7], v[14:15]
	v_fmac_f64_e32 v[154:155], v[148:149], v[8:9]
	v_fma_f64 v[8:9], v[146:147], v[8:9], -v[10:11]
	s_wait_loadcnt_dscnt 0x800
	v_mul_f64_e32 v[148:149], v[134:135], v[108:109]
	v_mul_f64_e32 v[108:109], v[136:137], v[108:109]
	v_add_f64_e32 v[10:11], 0, v[150:151]
	v_add_f64_e32 v[146:147], 0, v[152:153]
	v_fmac_f64_e32 v[156:157], v[6:7], v[12:13]
	v_fma_f64 v[12:13], v[4:5], v[12:13], -v[14:15]
	v_fmac_f64_e32 v[148:149], v[136:137], v[106:107]
	v_fma_f64 v[106:107], v[134:135], v[106:107], -v[108:109]
	v_add_f64_e32 v[14:15], v[10:11], v[8:9]
	v_add_f64_e32 v[146:147], v[146:147], v[154:155]
	ds_load_b128 v[4:7], v2 offset:1296
	ds_load_b128 v[8:11], v2 offset:1312
	s_wait_loadcnt_dscnt 0x701
	v_mul_f64_e32 v[150:151], v[4:5], v[112:113]
	v_mul_f64_e32 v[112:113], v[6:7], v[112:113]
	s_wait_loadcnt_dscnt 0x600
	v_mul_f64_e32 v[108:109], v[8:9], v[116:117]
	v_mul_f64_e32 v[116:117], v[10:11], v[116:117]
	v_add_f64_e32 v[12:13], v[14:15], v[12:13]
	v_add_f64_e32 v[14:15], v[146:147], v[156:157]
	v_fmac_f64_e32 v[150:151], v[6:7], v[110:111]
	v_fma_f64 v[110:111], v[4:5], v[110:111], -v[112:113]
	v_fmac_f64_e32 v[108:109], v[10:11], v[114:115]
	v_fma_f64 v[8:9], v[8:9], v[114:115], -v[116:117]
	v_add_f64_e32 v[106:107], v[12:13], v[106:107]
	v_add_f64_e32 v[112:113], v[14:15], v[148:149]
	ds_load_b128 v[4:7], v2 offset:1328
	ds_load_b128 v[12:15], v2 offset:1344
	s_wait_loadcnt_dscnt 0x501
	v_mul_f64_e32 v[134:135], v[4:5], v[120:121]
	v_mul_f64_e32 v[120:121], v[6:7], v[120:121]
	v_add_f64_e32 v[10:11], v[106:107], v[110:111]
	v_add_f64_e32 v[106:107], v[112:113], v[150:151]
	s_wait_loadcnt_dscnt 0x400
	v_mul_f64_e32 v[110:111], v[12:13], v[124:125]
	v_mul_f64_e32 v[112:113], v[14:15], v[124:125]
	v_fmac_f64_e32 v[134:135], v[6:7], v[118:119]
	v_fma_f64 v[114:115], v[4:5], v[118:119], -v[120:121]
	v_add_f64_e32 v[116:117], v[10:11], v[8:9]
	v_add_f64_e32 v[106:107], v[106:107], v[108:109]
	ds_load_b128 v[4:7], v2 offset:1360
	ds_load_b128 v[8:11], v2 offset:1376
	v_fmac_f64_e32 v[110:111], v[14:15], v[122:123]
	v_fma_f64 v[12:13], v[12:13], v[122:123], -v[112:113]
	s_wait_loadcnt_dscnt 0x301
	v_mul_f64_e32 v[108:109], v[4:5], v[128:129]
	v_mul_f64_e32 v[118:119], v[6:7], v[128:129]
	s_wait_loadcnt_dscnt 0x200
	v_mul_f64_e32 v[112:113], v[8:9], v[132:133]
	v_add_f64_e32 v[14:15], v[116:117], v[114:115]
	v_add_f64_e32 v[106:107], v[106:107], v[134:135]
	v_mul_f64_e32 v[114:115], v[10:11], v[132:133]
	v_fmac_f64_e32 v[108:109], v[6:7], v[126:127]
	v_fma_f64 v[116:117], v[4:5], v[126:127], -v[118:119]
	ds_load_b128 v[4:7], v2 offset:1392
	v_fmac_f64_e32 v[112:113], v[10:11], v[130:131]
	v_add_f64_e32 v[12:13], v[14:15], v[12:13]
	v_add_f64_e32 v[14:15], v[106:107], v[110:111]
	v_fma_f64 v[8:9], v[8:9], v[130:131], -v[114:115]
	s_wait_loadcnt_dscnt 0x100
	v_mul_f64_e32 v[106:107], v[4:5], v[140:141]
	v_mul_f64_e32 v[110:111], v[6:7], v[140:141]
	v_add_f64_e32 v[10:11], v[12:13], v[116:117]
	v_add_f64_e32 v[12:13], v[14:15], v[108:109]
	s_delay_alu instid0(VALU_DEP_4) | instskip(NEXT) | instid1(VALU_DEP_4)
	v_fmac_f64_e32 v[106:107], v[6:7], v[138:139]
	v_fma_f64 v[4:5], v[4:5], v[138:139], -v[110:111]
	s_delay_alu instid0(VALU_DEP_4) | instskip(NEXT) | instid1(VALU_DEP_4)
	v_add_f64_e32 v[6:7], v[10:11], v[8:9]
	v_add_f64_e32 v[8:9], v[12:13], v[112:113]
	s_delay_alu instid0(VALU_DEP_2) | instskip(NEXT) | instid1(VALU_DEP_2)
	v_add_f64_e32 v[4:5], v[6:7], v[4:5]
	v_add_f64_e32 v[6:7], v[8:9], v[106:107]
	s_wait_loadcnt 0x0
	s_delay_alu instid0(VALU_DEP_2) | instskip(NEXT) | instid1(VALU_DEP_2)
	v_add_f64_e64 v[4:5], v[142:143], -v[4:5]
	v_add_f64_e64 v[6:7], v[144:145], -v[6:7]
	scratch_store_b128 off, v[4:7], off offset:512
	s_wait_xcnt 0x0
	v_cmpx_lt_u32_e32 31, v1
	s_cbranch_execz .LBB43_215
; %bb.214:
	scratch_load_b128 v[6:9], off, s12
	v_dual_mov_b32 v3, v2 :: v_dual_mov_b32 v4, v2
	v_mov_b32_e32 v5, v2
	scratch_store_b128 off, v[2:5], off offset:496
	s_wait_loadcnt 0x0
	ds_store_b128 v104, v[6:9]
.LBB43_215:
	s_wait_xcnt 0x0
	s_or_b32 exec_lo, exec_lo, s2
	s_wait_storecnt_dscnt 0x0
	s_barrier_signal -1
	s_barrier_wait -1
	s_clause 0x9
	scratch_load_b128 v[4:7], off, off offset:512
	scratch_load_b128 v[8:11], off, off offset:528
	;; [unrolled: 1-line block ×10, first 2 shown]
	ds_load_b128 v[134:137], v2 offset:1216
	ds_load_b128 v[142:145], v2 offset:1232
	s_clause 0x2
	scratch_load_b128 v[138:141], off, off offset:672
	scratch_load_b128 v[146:149], off, off offset:496
	;; [unrolled: 1-line block ×3, first 2 shown]
	s_mov_b32 s2, exec_lo
	s_wait_loadcnt_dscnt 0xc01
	v_mul_f64_e32 v[154:155], v[136:137], v[6:7]
	v_mul_f64_e32 v[156:157], v[134:135], v[6:7]
	s_wait_loadcnt_dscnt 0xb00
	v_mul_f64_e32 v[158:159], v[142:143], v[10:11]
	v_mul_f64_e32 v[10:11], v[144:145], v[10:11]
	s_delay_alu instid0(VALU_DEP_4) | instskip(NEXT) | instid1(VALU_DEP_4)
	v_fma_f64 v[154:155], v[134:135], v[4:5], -v[154:155]
	v_fmac_f64_e32 v[156:157], v[136:137], v[4:5]
	ds_load_b128 v[4:7], v2 offset:1248
	ds_load_b128 v[134:137], v2 offset:1264
	v_fmac_f64_e32 v[158:159], v[144:145], v[8:9]
	v_fma_f64 v[8:9], v[142:143], v[8:9], -v[10:11]
	s_wait_loadcnt_dscnt 0xa01
	v_mul_f64_e32 v[160:161], v[4:5], v[14:15]
	v_mul_f64_e32 v[14:15], v[6:7], v[14:15]
	s_wait_loadcnt_dscnt 0x900
	v_mul_f64_e32 v[144:145], v[134:135], v[108:109]
	v_mul_f64_e32 v[108:109], v[136:137], v[108:109]
	v_add_f64_e32 v[10:11], 0, v[154:155]
	v_add_f64_e32 v[142:143], 0, v[156:157]
	v_fmac_f64_e32 v[160:161], v[6:7], v[12:13]
	v_fma_f64 v[12:13], v[4:5], v[12:13], -v[14:15]
	v_fmac_f64_e32 v[144:145], v[136:137], v[106:107]
	v_fma_f64 v[106:107], v[134:135], v[106:107], -v[108:109]
	v_add_f64_e32 v[14:15], v[10:11], v[8:9]
	v_add_f64_e32 v[142:143], v[142:143], v[158:159]
	ds_load_b128 v[4:7], v2 offset:1280
	ds_load_b128 v[8:11], v2 offset:1296
	s_wait_loadcnt_dscnt 0x801
	v_mul_f64_e32 v[154:155], v[4:5], v[112:113]
	v_mul_f64_e32 v[112:113], v[6:7], v[112:113]
	s_wait_loadcnt_dscnt 0x700
	v_mul_f64_e32 v[108:109], v[8:9], v[116:117]
	v_mul_f64_e32 v[116:117], v[10:11], v[116:117]
	v_add_f64_e32 v[12:13], v[14:15], v[12:13]
	v_add_f64_e32 v[14:15], v[142:143], v[160:161]
	v_fmac_f64_e32 v[154:155], v[6:7], v[110:111]
	v_fma_f64 v[110:111], v[4:5], v[110:111], -v[112:113]
	v_fmac_f64_e32 v[108:109], v[10:11], v[114:115]
	v_fma_f64 v[8:9], v[8:9], v[114:115], -v[116:117]
	v_add_f64_e32 v[106:107], v[12:13], v[106:107]
	v_add_f64_e32 v[112:113], v[14:15], v[144:145]
	ds_load_b128 v[4:7], v2 offset:1312
	ds_load_b128 v[12:15], v2 offset:1328
	s_wait_loadcnt_dscnt 0x601
	v_mul_f64_e32 v[134:135], v[4:5], v[120:121]
	v_mul_f64_e32 v[120:121], v[6:7], v[120:121]
	v_add_f64_e32 v[10:11], v[106:107], v[110:111]
	v_add_f64_e32 v[106:107], v[112:113], v[154:155]
	s_wait_loadcnt_dscnt 0x500
	v_mul_f64_e32 v[110:111], v[12:13], v[124:125]
	v_mul_f64_e32 v[112:113], v[14:15], v[124:125]
	v_fmac_f64_e32 v[134:135], v[6:7], v[118:119]
	v_fma_f64 v[114:115], v[4:5], v[118:119], -v[120:121]
	v_add_f64_e32 v[116:117], v[10:11], v[8:9]
	v_add_f64_e32 v[106:107], v[106:107], v[108:109]
	ds_load_b128 v[4:7], v2 offset:1344
	ds_load_b128 v[8:11], v2 offset:1360
	v_fmac_f64_e32 v[110:111], v[14:15], v[122:123]
	v_fma_f64 v[12:13], v[12:13], v[122:123], -v[112:113]
	s_wait_loadcnt_dscnt 0x401
	v_mul_f64_e32 v[108:109], v[4:5], v[128:129]
	v_mul_f64_e32 v[118:119], v[6:7], v[128:129]
	s_wait_loadcnt_dscnt 0x300
	v_mul_f64_e32 v[112:113], v[8:9], v[132:133]
	v_add_f64_e32 v[14:15], v[116:117], v[114:115]
	v_add_f64_e32 v[106:107], v[106:107], v[134:135]
	v_mul_f64_e32 v[114:115], v[10:11], v[132:133]
	v_fmac_f64_e32 v[108:109], v[6:7], v[126:127]
	v_fma_f64 v[116:117], v[4:5], v[126:127], -v[118:119]
	v_fmac_f64_e32 v[112:113], v[10:11], v[130:131]
	v_add_f64_e32 v[118:119], v[14:15], v[12:13]
	v_add_f64_e32 v[106:107], v[106:107], v[110:111]
	ds_load_b128 v[4:7], v2 offset:1376
	ds_load_b128 v[12:15], v2 offset:1392
	v_fma_f64 v[8:9], v[8:9], v[130:131], -v[114:115]
	s_wait_loadcnt_dscnt 0x201
	v_mul_f64_e32 v[2:3], v[4:5], v[140:141]
	v_mul_f64_e32 v[110:111], v[6:7], v[140:141]
	s_wait_loadcnt_dscnt 0x0
	v_mul_f64_e32 v[114:115], v[14:15], v[152:153]
	v_add_f64_e32 v[10:11], v[118:119], v[116:117]
	v_add_f64_e32 v[106:107], v[106:107], v[108:109]
	v_mul_f64_e32 v[108:109], v[12:13], v[152:153]
	v_fmac_f64_e32 v[2:3], v[6:7], v[138:139]
	v_fma_f64 v[4:5], v[4:5], v[138:139], -v[110:111]
	v_add_f64_e32 v[6:7], v[10:11], v[8:9]
	v_add_f64_e32 v[8:9], v[106:107], v[112:113]
	v_fmac_f64_e32 v[108:109], v[14:15], v[150:151]
	v_fma_f64 v[10:11], v[12:13], v[150:151], -v[114:115]
	s_delay_alu instid0(VALU_DEP_4) | instskip(NEXT) | instid1(VALU_DEP_4)
	v_add_f64_e32 v[4:5], v[6:7], v[4:5]
	v_add_f64_e32 v[2:3], v[8:9], v[2:3]
	s_delay_alu instid0(VALU_DEP_2) | instskip(NEXT) | instid1(VALU_DEP_2)
	v_add_f64_e32 v[4:5], v[4:5], v[10:11]
	v_add_f64_e32 v[6:7], v[2:3], v[108:109]
	s_delay_alu instid0(VALU_DEP_2) | instskip(NEXT) | instid1(VALU_DEP_2)
	v_add_f64_e64 v[2:3], v[146:147], -v[4:5]
	v_add_f64_e64 v[4:5], v[148:149], -v[6:7]
	scratch_store_b128 off, v[2:5], off offset:496
	s_wait_xcnt 0x0
	v_cmpx_lt_u32_e32 30, v1
	s_cbranch_execz .LBB43_217
; %bb.216:
	scratch_load_b128 v[2:5], off, s15
	v_mov_b32_e32 v6, 0
	s_delay_alu instid0(VALU_DEP_1)
	v_dual_mov_b32 v7, v6 :: v_dual_mov_b32 v8, v6
	v_mov_b32_e32 v9, v6
	scratch_store_b128 off, v[6:9], off offset:480
	s_wait_loadcnt 0x0
	ds_store_b128 v104, v[2:5]
.LBB43_217:
	s_wait_xcnt 0x0
	s_or_b32 exec_lo, exec_lo, s2
	s_wait_storecnt_dscnt 0x0
	s_barrier_signal -1
	s_barrier_wait -1
	s_clause 0x9
	scratch_load_b128 v[4:7], off, off offset:496
	scratch_load_b128 v[8:11], off, off offset:512
	;; [unrolled: 1-line block ×10, first 2 shown]
	v_mov_b32_e32 v2, 0
	s_mov_b32 s2, exec_lo
	ds_load_b128 v[134:137], v2 offset:1200
	s_clause 0x2
	scratch_load_b128 v[138:141], off, off offset:656
	scratch_load_b128 v[142:145], off, off offset:480
	;; [unrolled: 1-line block ×3, first 2 shown]
	s_wait_loadcnt_dscnt 0xc00
	v_mul_f64_e32 v[154:155], v[136:137], v[6:7]
	v_mul_f64_e32 v[158:159], v[134:135], v[6:7]
	ds_load_b128 v[146:149], v2 offset:1216
	v_fma_f64 v[162:163], v[134:135], v[4:5], -v[154:155]
	v_fmac_f64_e32 v[158:159], v[136:137], v[4:5]
	ds_load_b128 v[4:7], v2 offset:1232
	s_wait_loadcnt_dscnt 0xb01
	v_mul_f64_e32 v[160:161], v[146:147], v[10:11]
	v_mul_f64_e32 v[10:11], v[148:149], v[10:11]
	scratch_load_b128 v[134:137], off, off offset:688
	ds_load_b128 v[154:157], v2 offset:1248
	s_wait_loadcnt_dscnt 0xb01
	v_mul_f64_e32 v[164:165], v[4:5], v[14:15]
	v_mul_f64_e32 v[14:15], v[6:7], v[14:15]
	v_fmac_f64_e32 v[160:161], v[148:149], v[8:9]
	v_fma_f64 v[8:9], v[146:147], v[8:9], -v[10:11]
	v_add_f64_e32 v[10:11], 0, v[162:163]
	v_add_f64_e32 v[146:147], 0, v[158:159]
	s_wait_loadcnt_dscnt 0xa00
	v_mul_f64_e32 v[148:149], v[154:155], v[108:109]
	v_mul_f64_e32 v[108:109], v[156:157], v[108:109]
	v_fmac_f64_e32 v[164:165], v[6:7], v[12:13]
	v_fma_f64 v[12:13], v[4:5], v[12:13], -v[14:15]
	v_add_f64_e32 v[14:15], v[10:11], v[8:9]
	v_add_f64_e32 v[146:147], v[146:147], v[160:161]
	ds_load_b128 v[4:7], v2 offset:1264
	ds_load_b128 v[8:11], v2 offset:1280
	v_fmac_f64_e32 v[148:149], v[156:157], v[106:107]
	v_fma_f64 v[106:107], v[154:155], v[106:107], -v[108:109]
	s_wait_loadcnt_dscnt 0x901
	v_mul_f64_e32 v[158:159], v[4:5], v[112:113]
	v_mul_f64_e32 v[112:113], v[6:7], v[112:113]
	s_wait_loadcnt_dscnt 0x800
	v_mul_f64_e32 v[108:109], v[8:9], v[116:117]
	v_mul_f64_e32 v[116:117], v[10:11], v[116:117]
	v_add_f64_e32 v[12:13], v[14:15], v[12:13]
	v_add_f64_e32 v[14:15], v[146:147], v[164:165]
	v_fmac_f64_e32 v[158:159], v[6:7], v[110:111]
	v_fma_f64 v[110:111], v[4:5], v[110:111], -v[112:113]
	v_fmac_f64_e32 v[108:109], v[10:11], v[114:115]
	v_fma_f64 v[8:9], v[8:9], v[114:115], -v[116:117]
	v_add_f64_e32 v[106:107], v[12:13], v[106:107]
	v_add_f64_e32 v[112:113], v[14:15], v[148:149]
	ds_load_b128 v[4:7], v2 offset:1296
	ds_load_b128 v[12:15], v2 offset:1312
	s_wait_loadcnt_dscnt 0x701
	v_mul_f64_e32 v[146:147], v[4:5], v[120:121]
	v_mul_f64_e32 v[120:121], v[6:7], v[120:121]
	v_add_f64_e32 v[10:11], v[106:107], v[110:111]
	v_add_f64_e32 v[106:107], v[112:113], v[158:159]
	s_wait_loadcnt_dscnt 0x600
	v_mul_f64_e32 v[110:111], v[12:13], v[124:125]
	v_mul_f64_e32 v[112:113], v[14:15], v[124:125]
	v_fmac_f64_e32 v[146:147], v[6:7], v[118:119]
	v_fma_f64 v[114:115], v[4:5], v[118:119], -v[120:121]
	v_add_f64_e32 v[116:117], v[10:11], v[8:9]
	v_add_f64_e32 v[106:107], v[106:107], v[108:109]
	ds_load_b128 v[4:7], v2 offset:1328
	ds_load_b128 v[8:11], v2 offset:1344
	v_fmac_f64_e32 v[110:111], v[14:15], v[122:123]
	v_fma_f64 v[12:13], v[12:13], v[122:123], -v[112:113]
	s_wait_loadcnt_dscnt 0x501
	v_mul_f64_e32 v[108:109], v[4:5], v[128:129]
	v_mul_f64_e32 v[118:119], v[6:7], v[128:129]
	s_wait_loadcnt_dscnt 0x400
	v_mul_f64_e32 v[112:113], v[8:9], v[132:133]
	v_add_f64_e32 v[14:15], v[116:117], v[114:115]
	v_add_f64_e32 v[106:107], v[106:107], v[146:147]
	v_mul_f64_e32 v[114:115], v[10:11], v[132:133]
	v_fmac_f64_e32 v[108:109], v[6:7], v[126:127]
	v_fma_f64 v[116:117], v[4:5], v[126:127], -v[118:119]
	v_fmac_f64_e32 v[112:113], v[10:11], v[130:131]
	v_add_f64_e32 v[118:119], v[14:15], v[12:13]
	v_add_f64_e32 v[106:107], v[106:107], v[110:111]
	ds_load_b128 v[4:7], v2 offset:1360
	ds_load_b128 v[12:15], v2 offset:1376
	v_fma_f64 v[8:9], v[8:9], v[130:131], -v[114:115]
	s_wait_loadcnt_dscnt 0x301
	v_mul_f64_e32 v[110:111], v[4:5], v[140:141]
	v_mul_f64_e32 v[120:121], v[6:7], v[140:141]
	s_wait_loadcnt_dscnt 0x100
	v_mul_f64_e32 v[114:115], v[14:15], v[152:153]
	v_add_f64_e32 v[10:11], v[118:119], v[116:117]
	v_add_f64_e32 v[106:107], v[106:107], v[108:109]
	v_mul_f64_e32 v[108:109], v[12:13], v[152:153]
	v_fmac_f64_e32 v[110:111], v[6:7], v[138:139]
	v_fma_f64 v[116:117], v[4:5], v[138:139], -v[120:121]
	ds_load_b128 v[4:7], v2 offset:1392
	v_fma_f64 v[12:13], v[12:13], v[150:151], -v[114:115]
	v_add_f64_e32 v[8:9], v[10:11], v[8:9]
	v_add_f64_e32 v[10:11], v[106:107], v[112:113]
	v_fmac_f64_e32 v[108:109], v[14:15], v[150:151]
	s_wait_loadcnt_dscnt 0x0
	v_mul_f64_e32 v[106:107], v[4:5], v[136:137]
	v_mul_f64_e32 v[112:113], v[6:7], v[136:137]
	v_add_f64_e32 v[8:9], v[8:9], v[116:117]
	v_add_f64_e32 v[10:11], v[10:11], v[110:111]
	s_delay_alu instid0(VALU_DEP_4) | instskip(NEXT) | instid1(VALU_DEP_4)
	v_fmac_f64_e32 v[106:107], v[6:7], v[134:135]
	v_fma_f64 v[4:5], v[4:5], v[134:135], -v[112:113]
	s_delay_alu instid0(VALU_DEP_4) | instskip(NEXT) | instid1(VALU_DEP_4)
	v_add_f64_e32 v[6:7], v[8:9], v[12:13]
	v_add_f64_e32 v[8:9], v[10:11], v[108:109]
	s_delay_alu instid0(VALU_DEP_2) | instskip(NEXT) | instid1(VALU_DEP_2)
	v_add_f64_e32 v[4:5], v[6:7], v[4:5]
	v_add_f64_e32 v[6:7], v[8:9], v[106:107]
	s_delay_alu instid0(VALU_DEP_2) | instskip(NEXT) | instid1(VALU_DEP_2)
	v_add_f64_e64 v[4:5], v[142:143], -v[4:5]
	v_add_f64_e64 v[6:7], v[144:145], -v[6:7]
	scratch_store_b128 off, v[4:7], off offset:480
	s_wait_xcnt 0x0
	v_cmpx_lt_u32_e32 29, v1
	s_cbranch_execz .LBB43_219
; %bb.218:
	scratch_load_b128 v[6:9], off, s14
	v_dual_mov_b32 v3, v2 :: v_dual_mov_b32 v4, v2
	v_mov_b32_e32 v5, v2
	scratch_store_b128 off, v[2:5], off offset:464
	s_wait_loadcnt 0x0
	ds_store_b128 v104, v[6:9]
.LBB43_219:
	s_wait_xcnt 0x0
	s_or_b32 exec_lo, exec_lo, s2
	s_wait_storecnt_dscnt 0x0
	s_barrier_signal -1
	s_barrier_wait -1
	s_clause 0x9
	scratch_load_b128 v[4:7], off, off offset:480
	scratch_load_b128 v[8:11], off, off offset:496
	;; [unrolled: 1-line block ×10, first 2 shown]
	ds_load_b128 v[134:137], v2 offset:1184
	ds_load_b128 v[142:145], v2 offset:1200
	s_clause 0x2
	scratch_load_b128 v[138:141], off, off offset:640
	scratch_load_b128 v[146:149], off, off offset:464
	;; [unrolled: 1-line block ×3, first 2 shown]
	s_mov_b32 s2, exec_lo
	s_wait_loadcnt_dscnt 0xc01
	v_mul_f64_e32 v[154:155], v[136:137], v[6:7]
	v_mul_f64_e32 v[158:159], v[134:135], v[6:7]
	s_wait_loadcnt_dscnt 0xb00
	v_mul_f64_e32 v[160:161], v[142:143], v[10:11]
	v_mul_f64_e32 v[10:11], v[144:145], v[10:11]
	s_delay_alu instid0(VALU_DEP_4) | instskip(NEXT) | instid1(VALU_DEP_4)
	v_fma_f64 v[162:163], v[134:135], v[4:5], -v[154:155]
	v_fmac_f64_e32 v[158:159], v[136:137], v[4:5]
	ds_load_b128 v[4:7], v2 offset:1216
	ds_load_b128 v[134:137], v2 offset:1232
	scratch_load_b128 v[154:157], off, off offset:672
	v_fmac_f64_e32 v[160:161], v[144:145], v[8:9]
	v_fma_f64 v[142:143], v[142:143], v[8:9], -v[10:11]
	scratch_load_b128 v[8:11], off, off offset:688
	s_wait_loadcnt_dscnt 0xc01
	v_mul_f64_e32 v[164:165], v[4:5], v[14:15]
	v_mul_f64_e32 v[14:15], v[6:7], v[14:15]
	v_add_f64_e32 v[144:145], 0, v[162:163]
	v_add_f64_e32 v[158:159], 0, v[158:159]
	s_wait_loadcnt_dscnt 0xb00
	v_mul_f64_e32 v[162:163], v[134:135], v[108:109]
	v_mul_f64_e32 v[108:109], v[136:137], v[108:109]
	v_fmac_f64_e32 v[164:165], v[6:7], v[12:13]
	v_fma_f64 v[166:167], v[4:5], v[12:13], -v[14:15]
	ds_load_b128 v[4:7], v2 offset:1248
	ds_load_b128 v[12:15], v2 offset:1264
	v_add_f64_e32 v[142:143], v[144:145], v[142:143]
	v_add_f64_e32 v[144:145], v[158:159], v[160:161]
	v_fmac_f64_e32 v[162:163], v[136:137], v[106:107]
	v_fma_f64 v[106:107], v[134:135], v[106:107], -v[108:109]
	s_wait_loadcnt_dscnt 0xa01
	v_mul_f64_e32 v[158:159], v[4:5], v[112:113]
	v_mul_f64_e32 v[112:113], v[6:7], v[112:113]
	s_wait_loadcnt_dscnt 0x900
	v_mul_f64_e32 v[136:137], v[12:13], v[116:117]
	v_mul_f64_e32 v[116:117], v[14:15], v[116:117]
	v_add_f64_e32 v[108:109], v[142:143], v[166:167]
	v_add_f64_e32 v[134:135], v[144:145], v[164:165]
	v_fmac_f64_e32 v[158:159], v[6:7], v[110:111]
	v_fma_f64 v[110:111], v[4:5], v[110:111], -v[112:113]
	v_fmac_f64_e32 v[136:137], v[14:15], v[114:115]
	v_fma_f64 v[12:13], v[12:13], v[114:115], -v[116:117]
	v_add_f64_e32 v[112:113], v[108:109], v[106:107]
	v_add_f64_e32 v[134:135], v[134:135], v[162:163]
	ds_load_b128 v[4:7], v2 offset:1280
	ds_load_b128 v[106:109], v2 offset:1296
	s_wait_loadcnt_dscnt 0x801
	v_mul_f64_e32 v[142:143], v[4:5], v[120:121]
	v_mul_f64_e32 v[120:121], v[6:7], v[120:121]
	s_wait_loadcnt_dscnt 0x700
	v_mul_f64_e32 v[114:115], v[108:109], v[124:125]
	v_add_f64_e32 v[14:15], v[112:113], v[110:111]
	v_add_f64_e32 v[110:111], v[134:135], v[158:159]
	v_mul_f64_e32 v[112:113], v[106:107], v[124:125]
	v_fmac_f64_e32 v[142:143], v[6:7], v[118:119]
	v_fma_f64 v[116:117], v[4:5], v[118:119], -v[120:121]
	v_fma_f64 v[106:107], v[106:107], v[122:123], -v[114:115]
	v_add_f64_e32 v[118:119], v[14:15], v[12:13]
	v_add_f64_e32 v[110:111], v[110:111], v[136:137]
	ds_load_b128 v[4:7], v2 offset:1312
	ds_load_b128 v[12:15], v2 offset:1328
	v_fmac_f64_e32 v[112:113], v[108:109], v[122:123]
	s_wait_loadcnt_dscnt 0x601
	v_mul_f64_e32 v[120:121], v[4:5], v[128:129]
	v_mul_f64_e32 v[124:125], v[6:7], v[128:129]
	s_wait_loadcnt_dscnt 0x500
	v_mul_f64_e32 v[114:115], v[12:13], v[132:133]
	v_add_f64_e32 v[108:109], v[118:119], v[116:117]
	v_add_f64_e32 v[110:111], v[110:111], v[142:143]
	v_mul_f64_e32 v[116:117], v[14:15], v[132:133]
	v_fmac_f64_e32 v[120:121], v[6:7], v[126:127]
	v_fma_f64 v[118:119], v[4:5], v[126:127], -v[124:125]
	v_fmac_f64_e32 v[114:115], v[14:15], v[130:131]
	v_add_f64_e32 v[122:123], v[108:109], v[106:107]
	v_add_f64_e32 v[110:111], v[110:111], v[112:113]
	ds_load_b128 v[4:7], v2 offset:1344
	ds_load_b128 v[106:109], v2 offset:1360
	v_fma_f64 v[12:13], v[12:13], v[130:131], -v[116:117]
	s_wait_loadcnt_dscnt 0x401
	v_mul_f64_e32 v[112:113], v[4:5], v[140:141]
	v_mul_f64_e32 v[124:125], v[6:7], v[140:141]
	s_wait_loadcnt_dscnt 0x200
	v_mul_f64_e32 v[116:117], v[106:107], v[152:153]
	v_add_f64_e32 v[14:15], v[122:123], v[118:119]
	v_add_f64_e32 v[110:111], v[110:111], v[120:121]
	v_mul_f64_e32 v[118:119], v[108:109], v[152:153]
	v_fmac_f64_e32 v[112:113], v[6:7], v[138:139]
	v_fma_f64 v[120:121], v[4:5], v[138:139], -v[124:125]
	v_fmac_f64_e32 v[116:117], v[108:109], v[150:151]
	v_add_f64_e32 v[122:123], v[14:15], v[12:13]
	v_add_f64_e32 v[110:111], v[110:111], v[114:115]
	ds_load_b128 v[4:7], v2 offset:1376
	ds_load_b128 v[12:15], v2 offset:1392
	v_fma_f64 v[106:107], v[106:107], v[150:151], -v[118:119]
	s_wait_loadcnt_dscnt 0x101
	v_mul_f64_e32 v[2:3], v[4:5], v[156:157]
	v_mul_f64_e32 v[114:115], v[6:7], v[156:157]
	v_add_f64_e32 v[108:109], v[122:123], v[120:121]
	v_add_f64_e32 v[110:111], v[110:111], v[112:113]
	s_wait_loadcnt_dscnt 0x0
	v_mul_f64_e32 v[112:113], v[12:13], v[10:11]
	v_mul_f64_e32 v[10:11], v[14:15], v[10:11]
	v_fmac_f64_e32 v[2:3], v[6:7], v[154:155]
	v_fma_f64 v[4:5], v[4:5], v[154:155], -v[114:115]
	v_add_f64_e32 v[6:7], v[108:109], v[106:107]
	v_add_f64_e32 v[106:107], v[110:111], v[116:117]
	v_fmac_f64_e32 v[112:113], v[14:15], v[8:9]
	v_fma_f64 v[8:9], v[12:13], v[8:9], -v[10:11]
	s_delay_alu instid0(VALU_DEP_4) | instskip(NEXT) | instid1(VALU_DEP_4)
	v_add_f64_e32 v[4:5], v[6:7], v[4:5]
	v_add_f64_e32 v[2:3], v[106:107], v[2:3]
	s_delay_alu instid0(VALU_DEP_2) | instskip(NEXT) | instid1(VALU_DEP_2)
	v_add_f64_e32 v[4:5], v[4:5], v[8:9]
	v_add_f64_e32 v[6:7], v[2:3], v[112:113]
	s_delay_alu instid0(VALU_DEP_2) | instskip(NEXT) | instid1(VALU_DEP_2)
	v_add_f64_e64 v[2:3], v[146:147], -v[4:5]
	v_add_f64_e64 v[4:5], v[148:149], -v[6:7]
	scratch_store_b128 off, v[2:5], off offset:464
	s_wait_xcnt 0x0
	v_cmpx_lt_u32_e32 28, v1
	s_cbranch_execz .LBB43_221
; %bb.220:
	scratch_load_b128 v[2:5], off, s23
	v_mov_b32_e32 v6, 0
	s_delay_alu instid0(VALU_DEP_1)
	v_dual_mov_b32 v7, v6 :: v_dual_mov_b32 v8, v6
	v_mov_b32_e32 v9, v6
	scratch_store_b128 off, v[6:9], off offset:448
	s_wait_loadcnt 0x0
	ds_store_b128 v104, v[2:5]
.LBB43_221:
	s_wait_xcnt 0x0
	s_or_b32 exec_lo, exec_lo, s2
	s_wait_storecnt_dscnt 0x0
	s_barrier_signal -1
	s_barrier_wait -1
	s_clause 0x9
	scratch_load_b128 v[4:7], off, off offset:464
	scratch_load_b128 v[8:11], off, off offset:480
	;; [unrolled: 1-line block ×10, first 2 shown]
	v_mov_b32_e32 v2, 0
	s_mov_b32 s2, exec_lo
	ds_load_b128 v[134:137], v2 offset:1168
	s_clause 0x2
	scratch_load_b128 v[138:141], off, off offset:624
	scratch_load_b128 v[142:145], off, off offset:448
	;; [unrolled: 1-line block ×3, first 2 shown]
	s_wait_loadcnt_dscnt 0xc00
	v_mul_f64_e32 v[154:155], v[136:137], v[6:7]
	v_mul_f64_e32 v[158:159], v[134:135], v[6:7]
	ds_load_b128 v[146:149], v2 offset:1184
	v_fma_f64 v[162:163], v[134:135], v[4:5], -v[154:155]
	v_fmac_f64_e32 v[158:159], v[136:137], v[4:5]
	ds_load_b128 v[4:7], v2 offset:1200
	s_wait_loadcnt_dscnt 0xb01
	v_mul_f64_e32 v[160:161], v[146:147], v[10:11]
	v_mul_f64_e32 v[10:11], v[148:149], v[10:11]
	scratch_load_b128 v[134:137], off, off offset:656
	ds_load_b128 v[154:157], v2 offset:1216
	s_wait_loadcnt_dscnt 0xb01
	v_mul_f64_e32 v[164:165], v[4:5], v[14:15]
	v_mul_f64_e32 v[14:15], v[6:7], v[14:15]
	v_add_f64_e32 v[158:159], 0, v[158:159]
	v_fmac_f64_e32 v[160:161], v[148:149], v[8:9]
	v_fma_f64 v[146:147], v[146:147], v[8:9], -v[10:11]
	v_add_f64_e32 v[148:149], 0, v[162:163]
	scratch_load_b128 v[8:11], off, off offset:672
	v_fmac_f64_e32 v[164:165], v[6:7], v[12:13]
	v_fma_f64 v[166:167], v[4:5], v[12:13], -v[14:15]
	ds_load_b128 v[4:7], v2 offset:1232
	s_wait_loadcnt_dscnt 0xb01
	v_mul_f64_e32 v[162:163], v[154:155], v[108:109]
	v_mul_f64_e32 v[108:109], v[156:157], v[108:109]
	scratch_load_b128 v[12:15], off, off offset:688
	v_add_f64_e32 v[158:159], v[158:159], v[160:161]
	v_add_f64_e32 v[168:169], v[148:149], v[146:147]
	ds_load_b128 v[146:149], v2 offset:1248
	s_wait_loadcnt_dscnt 0xb01
	v_mul_f64_e32 v[160:161], v[4:5], v[112:113]
	v_mul_f64_e32 v[112:113], v[6:7], v[112:113]
	v_fmac_f64_e32 v[162:163], v[156:157], v[106:107]
	v_fma_f64 v[106:107], v[154:155], v[106:107], -v[108:109]
	s_wait_loadcnt_dscnt 0xa00
	v_mul_f64_e32 v[156:157], v[146:147], v[116:117]
	v_mul_f64_e32 v[116:117], v[148:149], v[116:117]
	v_add_f64_e32 v[154:155], v[158:159], v[164:165]
	v_add_f64_e32 v[108:109], v[168:169], v[166:167]
	v_fmac_f64_e32 v[160:161], v[6:7], v[110:111]
	v_fma_f64 v[110:111], v[4:5], v[110:111], -v[112:113]
	v_fmac_f64_e32 v[156:157], v[148:149], v[114:115]
	v_fma_f64 v[114:115], v[146:147], v[114:115], -v[116:117]
	v_add_f64_e32 v[154:155], v[154:155], v[162:163]
	v_add_f64_e32 v[112:113], v[108:109], v[106:107]
	ds_load_b128 v[4:7], v2 offset:1264
	ds_load_b128 v[106:109], v2 offset:1280
	s_wait_loadcnt_dscnt 0x901
	v_mul_f64_e32 v[158:159], v[4:5], v[120:121]
	v_mul_f64_e32 v[120:121], v[6:7], v[120:121]
	s_wait_loadcnt_dscnt 0x800
	v_mul_f64_e32 v[116:117], v[106:107], v[124:125]
	v_mul_f64_e32 v[124:125], v[108:109], v[124:125]
	v_add_f64_e32 v[110:111], v[112:113], v[110:111]
	v_add_f64_e32 v[112:113], v[154:155], v[160:161]
	v_fmac_f64_e32 v[158:159], v[6:7], v[118:119]
	v_fma_f64 v[118:119], v[4:5], v[118:119], -v[120:121]
	v_fmac_f64_e32 v[116:117], v[108:109], v[122:123]
	v_fma_f64 v[106:107], v[106:107], v[122:123], -v[124:125]
	v_add_f64_e32 v[114:115], v[110:111], v[114:115]
	v_add_f64_e32 v[120:121], v[112:113], v[156:157]
	ds_load_b128 v[4:7], v2 offset:1296
	ds_load_b128 v[110:113], v2 offset:1312
	s_wait_loadcnt_dscnt 0x701
	v_mul_f64_e32 v[146:147], v[4:5], v[128:129]
	v_mul_f64_e32 v[128:129], v[6:7], v[128:129]
	v_add_f64_e32 v[108:109], v[114:115], v[118:119]
	v_add_f64_e32 v[114:115], v[120:121], v[158:159]
	s_wait_loadcnt_dscnt 0x600
	v_mul_f64_e32 v[118:119], v[110:111], v[132:133]
	v_mul_f64_e32 v[120:121], v[112:113], v[132:133]
	v_fmac_f64_e32 v[146:147], v[6:7], v[126:127]
	v_fma_f64 v[122:123], v[4:5], v[126:127], -v[128:129]
	v_add_f64_e32 v[124:125], v[108:109], v[106:107]
	v_add_f64_e32 v[114:115], v[114:115], v[116:117]
	ds_load_b128 v[4:7], v2 offset:1328
	ds_load_b128 v[106:109], v2 offset:1344
	v_fmac_f64_e32 v[118:119], v[112:113], v[130:131]
	v_fma_f64 v[110:111], v[110:111], v[130:131], -v[120:121]
	s_wait_loadcnt_dscnt 0x501
	v_mul_f64_e32 v[116:117], v[4:5], v[140:141]
	v_mul_f64_e32 v[126:127], v[6:7], v[140:141]
	s_wait_loadcnt_dscnt 0x300
	v_mul_f64_e32 v[120:121], v[106:107], v[152:153]
	v_add_f64_e32 v[112:113], v[124:125], v[122:123]
	v_add_f64_e32 v[114:115], v[114:115], v[146:147]
	v_mul_f64_e32 v[122:123], v[108:109], v[152:153]
	v_fmac_f64_e32 v[116:117], v[6:7], v[138:139]
	v_fma_f64 v[124:125], v[4:5], v[138:139], -v[126:127]
	v_fmac_f64_e32 v[120:121], v[108:109], v[150:151]
	v_add_f64_e32 v[126:127], v[112:113], v[110:111]
	v_add_f64_e32 v[114:115], v[114:115], v[118:119]
	ds_load_b128 v[4:7], v2 offset:1360
	ds_load_b128 v[110:113], v2 offset:1376
	v_fma_f64 v[106:107], v[106:107], v[150:151], -v[122:123]
	s_wait_loadcnt_dscnt 0x201
	v_mul_f64_e32 v[118:119], v[4:5], v[136:137]
	v_mul_f64_e32 v[128:129], v[6:7], v[136:137]
	v_add_f64_e32 v[108:109], v[126:127], v[124:125]
	v_add_f64_e32 v[114:115], v[114:115], v[116:117]
	s_wait_loadcnt_dscnt 0x100
	v_mul_f64_e32 v[116:117], v[110:111], v[10:11]
	v_mul_f64_e32 v[10:11], v[112:113], v[10:11]
	v_fmac_f64_e32 v[118:119], v[6:7], v[134:135]
	v_fma_f64 v[122:123], v[4:5], v[134:135], -v[128:129]
	ds_load_b128 v[4:7], v2 offset:1392
	v_add_f64_e32 v[106:107], v[108:109], v[106:107]
	v_add_f64_e32 v[108:109], v[114:115], v[120:121]
	v_fmac_f64_e32 v[116:117], v[112:113], v[8:9]
	v_fma_f64 v[8:9], v[110:111], v[8:9], -v[10:11]
	s_wait_loadcnt_dscnt 0x0
	v_mul_f64_e32 v[114:115], v[4:5], v[14:15]
	v_mul_f64_e32 v[14:15], v[6:7], v[14:15]
	v_add_f64_e32 v[10:11], v[106:107], v[122:123]
	v_add_f64_e32 v[106:107], v[108:109], v[118:119]
	s_delay_alu instid0(VALU_DEP_4) | instskip(NEXT) | instid1(VALU_DEP_4)
	v_fmac_f64_e32 v[114:115], v[6:7], v[12:13]
	v_fma_f64 v[4:5], v[4:5], v[12:13], -v[14:15]
	s_delay_alu instid0(VALU_DEP_4) | instskip(NEXT) | instid1(VALU_DEP_4)
	v_add_f64_e32 v[6:7], v[10:11], v[8:9]
	v_add_f64_e32 v[8:9], v[106:107], v[116:117]
	s_delay_alu instid0(VALU_DEP_2) | instskip(NEXT) | instid1(VALU_DEP_2)
	v_add_f64_e32 v[4:5], v[6:7], v[4:5]
	v_add_f64_e32 v[6:7], v[8:9], v[114:115]
	s_delay_alu instid0(VALU_DEP_2) | instskip(NEXT) | instid1(VALU_DEP_2)
	v_add_f64_e64 v[4:5], v[142:143], -v[4:5]
	v_add_f64_e64 v[6:7], v[144:145], -v[6:7]
	scratch_store_b128 off, v[4:7], off offset:448
	s_wait_xcnt 0x0
	v_cmpx_lt_u32_e32 27, v1
	s_cbranch_execz .LBB43_223
; %bb.222:
	scratch_load_b128 v[6:9], off, s21
	v_dual_mov_b32 v3, v2 :: v_dual_mov_b32 v4, v2
	v_mov_b32_e32 v5, v2
	scratch_store_b128 off, v[2:5], off offset:432
	s_wait_loadcnt 0x0
	ds_store_b128 v104, v[6:9]
.LBB43_223:
	s_wait_xcnt 0x0
	s_or_b32 exec_lo, exec_lo, s2
	s_wait_storecnt_dscnt 0x0
	s_barrier_signal -1
	s_barrier_wait -1
	s_clause 0x9
	scratch_load_b128 v[4:7], off, off offset:448
	scratch_load_b128 v[8:11], off, off offset:464
	;; [unrolled: 1-line block ×10, first 2 shown]
	ds_load_b128 v[134:137], v2 offset:1152
	ds_load_b128 v[142:145], v2 offset:1168
	s_clause 0x2
	scratch_load_b128 v[138:141], off, off offset:608
	scratch_load_b128 v[146:149], off, off offset:432
	;; [unrolled: 1-line block ×3, first 2 shown]
	s_mov_b32 s2, exec_lo
	s_wait_loadcnt_dscnt 0xc01
	v_mul_f64_e32 v[154:155], v[136:137], v[6:7]
	v_mul_f64_e32 v[158:159], v[134:135], v[6:7]
	s_wait_loadcnt_dscnt 0xb00
	v_mul_f64_e32 v[160:161], v[142:143], v[10:11]
	v_mul_f64_e32 v[10:11], v[144:145], v[10:11]
	s_delay_alu instid0(VALU_DEP_4) | instskip(NEXT) | instid1(VALU_DEP_4)
	v_fma_f64 v[162:163], v[134:135], v[4:5], -v[154:155]
	v_fmac_f64_e32 v[158:159], v[136:137], v[4:5]
	ds_load_b128 v[4:7], v2 offset:1184
	ds_load_b128 v[134:137], v2 offset:1200
	scratch_load_b128 v[154:157], off, off offset:640
	v_fmac_f64_e32 v[160:161], v[144:145], v[8:9]
	v_fma_f64 v[142:143], v[142:143], v[8:9], -v[10:11]
	scratch_load_b128 v[8:11], off, off offset:656
	s_wait_loadcnt_dscnt 0xc01
	v_mul_f64_e32 v[164:165], v[4:5], v[14:15]
	v_mul_f64_e32 v[14:15], v[6:7], v[14:15]
	v_add_f64_e32 v[144:145], 0, v[162:163]
	v_add_f64_e32 v[158:159], 0, v[158:159]
	s_wait_loadcnt_dscnt 0xb00
	v_mul_f64_e32 v[162:163], v[134:135], v[108:109]
	v_mul_f64_e32 v[108:109], v[136:137], v[108:109]
	v_fmac_f64_e32 v[164:165], v[6:7], v[12:13]
	v_fma_f64 v[166:167], v[4:5], v[12:13], -v[14:15]
	ds_load_b128 v[4:7], v2 offset:1216
	ds_load_b128 v[12:15], v2 offset:1232
	v_add_f64_e32 v[168:169], v[144:145], v[142:143]
	v_add_f64_e32 v[158:159], v[158:159], v[160:161]
	scratch_load_b128 v[142:145], off, off offset:672
	v_fmac_f64_e32 v[162:163], v[136:137], v[106:107]
	v_fma_f64 v[134:135], v[134:135], v[106:107], -v[108:109]
	scratch_load_b128 v[106:109], off, off offset:688
	s_wait_loadcnt_dscnt 0xc01
	v_mul_f64_e32 v[160:161], v[4:5], v[112:113]
	v_mul_f64_e32 v[112:113], v[6:7], v[112:113]
	v_add_f64_e32 v[136:137], v[168:169], v[166:167]
	v_add_f64_e32 v[158:159], v[158:159], v[164:165]
	s_wait_loadcnt_dscnt 0xb00
	v_mul_f64_e32 v[164:165], v[12:13], v[116:117]
	v_mul_f64_e32 v[116:117], v[14:15], v[116:117]
	v_fmac_f64_e32 v[160:161], v[6:7], v[110:111]
	v_fma_f64 v[166:167], v[4:5], v[110:111], -v[112:113]
	ds_load_b128 v[4:7], v2 offset:1248
	ds_load_b128 v[110:113], v2 offset:1264
	v_add_f64_e32 v[134:135], v[136:137], v[134:135]
	v_add_f64_e32 v[136:137], v[158:159], v[162:163]
	s_wait_loadcnt_dscnt 0xa01
	v_mul_f64_e32 v[158:159], v[4:5], v[120:121]
	v_mul_f64_e32 v[120:121], v[6:7], v[120:121]
	v_fmac_f64_e32 v[164:165], v[14:15], v[114:115]
	v_fma_f64 v[12:13], v[12:13], v[114:115], -v[116:117]
	s_wait_loadcnt_dscnt 0x900
	v_mul_f64_e32 v[116:117], v[110:111], v[124:125]
	v_mul_f64_e32 v[124:125], v[112:113], v[124:125]
	v_add_f64_e32 v[14:15], v[134:135], v[166:167]
	v_add_f64_e32 v[114:115], v[136:137], v[160:161]
	v_fmac_f64_e32 v[158:159], v[6:7], v[118:119]
	v_fma_f64 v[118:119], v[4:5], v[118:119], -v[120:121]
	v_fmac_f64_e32 v[116:117], v[112:113], v[122:123]
	v_fma_f64 v[110:111], v[110:111], v[122:123], -v[124:125]
	v_add_f64_e32 v[120:121], v[14:15], v[12:13]
	v_add_f64_e32 v[114:115], v[114:115], v[164:165]
	ds_load_b128 v[4:7], v2 offset:1280
	ds_load_b128 v[12:15], v2 offset:1296
	s_wait_loadcnt_dscnt 0x801
	v_mul_f64_e32 v[134:135], v[4:5], v[128:129]
	v_mul_f64_e32 v[128:129], v[6:7], v[128:129]
	v_add_f64_e32 v[112:113], v[120:121], v[118:119]
	v_add_f64_e32 v[114:115], v[114:115], v[158:159]
	s_wait_loadcnt_dscnt 0x700
	v_mul_f64_e32 v[118:119], v[12:13], v[132:133]
	v_mul_f64_e32 v[120:121], v[14:15], v[132:133]
	v_fmac_f64_e32 v[134:135], v[6:7], v[126:127]
	v_fma_f64 v[122:123], v[4:5], v[126:127], -v[128:129]
	v_add_f64_e32 v[124:125], v[112:113], v[110:111]
	v_add_f64_e32 v[114:115], v[114:115], v[116:117]
	ds_load_b128 v[4:7], v2 offset:1312
	ds_load_b128 v[110:113], v2 offset:1328
	v_fmac_f64_e32 v[118:119], v[14:15], v[130:131]
	v_fma_f64 v[12:13], v[12:13], v[130:131], -v[120:121]
	s_wait_loadcnt_dscnt 0x601
	v_mul_f64_e32 v[116:117], v[4:5], v[140:141]
	v_mul_f64_e32 v[126:127], v[6:7], v[140:141]
	s_wait_loadcnt_dscnt 0x400
	v_mul_f64_e32 v[120:121], v[110:111], v[152:153]
	v_add_f64_e32 v[14:15], v[124:125], v[122:123]
	v_add_f64_e32 v[114:115], v[114:115], v[134:135]
	v_mul_f64_e32 v[122:123], v[112:113], v[152:153]
	v_fmac_f64_e32 v[116:117], v[6:7], v[138:139]
	v_fma_f64 v[124:125], v[4:5], v[138:139], -v[126:127]
	v_fmac_f64_e32 v[120:121], v[112:113], v[150:151]
	v_add_f64_e32 v[126:127], v[14:15], v[12:13]
	v_add_f64_e32 v[114:115], v[114:115], v[118:119]
	ds_load_b128 v[4:7], v2 offset:1344
	ds_load_b128 v[12:15], v2 offset:1360
	v_fma_f64 v[110:111], v[110:111], v[150:151], -v[122:123]
	s_wait_loadcnt_dscnt 0x301
	v_mul_f64_e32 v[118:119], v[4:5], v[156:157]
	v_mul_f64_e32 v[128:129], v[6:7], v[156:157]
	v_add_f64_e32 v[112:113], v[126:127], v[124:125]
	v_add_f64_e32 v[114:115], v[114:115], v[116:117]
	s_wait_loadcnt_dscnt 0x200
	v_mul_f64_e32 v[116:117], v[12:13], v[10:11]
	v_mul_f64_e32 v[10:11], v[14:15], v[10:11]
	v_fmac_f64_e32 v[118:119], v[6:7], v[154:155]
	v_fma_f64 v[122:123], v[4:5], v[154:155], -v[128:129]
	v_add_f64_e32 v[124:125], v[112:113], v[110:111]
	v_add_f64_e32 v[114:115], v[114:115], v[120:121]
	ds_load_b128 v[4:7], v2 offset:1376
	ds_load_b128 v[110:113], v2 offset:1392
	v_fmac_f64_e32 v[116:117], v[14:15], v[8:9]
	v_fma_f64 v[8:9], v[12:13], v[8:9], -v[10:11]
	s_wait_loadcnt_dscnt 0x101
	v_mul_f64_e32 v[2:3], v[4:5], v[144:145]
	v_mul_f64_e32 v[120:121], v[6:7], v[144:145]
	s_wait_loadcnt_dscnt 0x0
	v_mul_f64_e32 v[14:15], v[110:111], v[108:109]
	v_mul_f64_e32 v[108:109], v[112:113], v[108:109]
	v_add_f64_e32 v[10:11], v[124:125], v[122:123]
	v_add_f64_e32 v[12:13], v[114:115], v[118:119]
	v_fmac_f64_e32 v[2:3], v[6:7], v[142:143]
	v_fma_f64 v[4:5], v[4:5], v[142:143], -v[120:121]
	v_fmac_f64_e32 v[14:15], v[112:113], v[106:107]
	v_add_f64_e32 v[6:7], v[10:11], v[8:9]
	v_add_f64_e32 v[8:9], v[12:13], v[116:117]
	v_fma_f64 v[10:11], v[110:111], v[106:107], -v[108:109]
	s_delay_alu instid0(VALU_DEP_3) | instskip(NEXT) | instid1(VALU_DEP_3)
	v_add_f64_e32 v[4:5], v[6:7], v[4:5]
	v_add_f64_e32 v[2:3], v[8:9], v[2:3]
	s_delay_alu instid0(VALU_DEP_2) | instskip(NEXT) | instid1(VALU_DEP_2)
	v_add_f64_e32 v[4:5], v[4:5], v[10:11]
	v_add_f64_e32 v[6:7], v[2:3], v[14:15]
	s_delay_alu instid0(VALU_DEP_2) | instskip(NEXT) | instid1(VALU_DEP_2)
	v_add_f64_e64 v[2:3], v[146:147], -v[4:5]
	v_add_f64_e64 v[4:5], v[148:149], -v[6:7]
	scratch_store_b128 off, v[2:5], off offset:432
	s_wait_xcnt 0x0
	v_cmpx_lt_u32_e32 26, v1
	s_cbranch_execz .LBB43_225
; %bb.224:
	scratch_load_b128 v[2:5], off, s27
	v_mov_b32_e32 v6, 0
	s_delay_alu instid0(VALU_DEP_1)
	v_dual_mov_b32 v7, v6 :: v_dual_mov_b32 v8, v6
	v_mov_b32_e32 v9, v6
	scratch_store_b128 off, v[6:9], off offset:416
	s_wait_loadcnt 0x0
	ds_store_b128 v104, v[2:5]
.LBB43_225:
	s_wait_xcnt 0x0
	s_or_b32 exec_lo, exec_lo, s2
	s_wait_storecnt_dscnt 0x0
	s_barrier_signal -1
	s_barrier_wait -1
	s_clause 0x9
	scratch_load_b128 v[4:7], off, off offset:432
	scratch_load_b128 v[8:11], off, off offset:448
	;; [unrolled: 1-line block ×10, first 2 shown]
	v_mov_b32_e32 v2, 0
	s_mov_b32 s2, exec_lo
	ds_load_b128 v[134:137], v2 offset:1136
	s_clause 0x2
	scratch_load_b128 v[138:141], off, off offset:592
	scratch_load_b128 v[142:145], off, off offset:416
	;; [unrolled: 1-line block ×3, first 2 shown]
	s_wait_loadcnt_dscnt 0xc00
	v_mul_f64_e32 v[154:155], v[136:137], v[6:7]
	v_mul_f64_e32 v[158:159], v[134:135], v[6:7]
	ds_load_b128 v[146:149], v2 offset:1152
	v_fma_f64 v[162:163], v[134:135], v[4:5], -v[154:155]
	v_fmac_f64_e32 v[158:159], v[136:137], v[4:5]
	ds_load_b128 v[4:7], v2 offset:1168
	s_wait_loadcnt_dscnt 0xb01
	v_mul_f64_e32 v[160:161], v[146:147], v[10:11]
	v_mul_f64_e32 v[10:11], v[148:149], v[10:11]
	scratch_load_b128 v[134:137], off, off offset:624
	ds_load_b128 v[154:157], v2 offset:1184
	s_wait_loadcnt_dscnt 0xb01
	v_mul_f64_e32 v[164:165], v[4:5], v[14:15]
	v_mul_f64_e32 v[14:15], v[6:7], v[14:15]
	v_add_f64_e32 v[158:159], 0, v[158:159]
	v_fmac_f64_e32 v[160:161], v[148:149], v[8:9]
	v_fma_f64 v[146:147], v[146:147], v[8:9], -v[10:11]
	v_add_f64_e32 v[148:149], 0, v[162:163]
	scratch_load_b128 v[8:11], off, off offset:640
	v_fmac_f64_e32 v[164:165], v[6:7], v[12:13]
	v_fma_f64 v[166:167], v[4:5], v[12:13], -v[14:15]
	ds_load_b128 v[4:7], v2 offset:1200
	s_wait_loadcnt_dscnt 0xb01
	v_mul_f64_e32 v[162:163], v[154:155], v[108:109]
	v_mul_f64_e32 v[108:109], v[156:157], v[108:109]
	scratch_load_b128 v[12:15], off, off offset:656
	v_add_f64_e32 v[158:159], v[158:159], v[160:161]
	v_add_f64_e32 v[168:169], v[148:149], v[146:147]
	ds_load_b128 v[146:149], v2 offset:1216
	s_wait_loadcnt_dscnt 0xb01
	v_mul_f64_e32 v[160:161], v[4:5], v[112:113]
	v_mul_f64_e32 v[112:113], v[6:7], v[112:113]
	v_fmac_f64_e32 v[162:163], v[156:157], v[106:107]
	v_fma_f64 v[154:155], v[154:155], v[106:107], -v[108:109]
	scratch_load_b128 v[106:109], off, off offset:672
	v_add_f64_e32 v[158:159], v[158:159], v[164:165]
	v_add_f64_e32 v[156:157], v[168:169], v[166:167]
	v_fmac_f64_e32 v[160:161], v[6:7], v[110:111]
	v_fma_f64 v[166:167], v[4:5], v[110:111], -v[112:113]
	ds_load_b128 v[4:7], v2 offset:1232
	s_wait_loadcnt_dscnt 0xb01
	v_mul_f64_e32 v[164:165], v[146:147], v[116:117]
	v_mul_f64_e32 v[116:117], v[148:149], v[116:117]
	scratch_load_b128 v[110:113], off, off offset:688
	v_add_f64_e32 v[158:159], v[158:159], v[162:163]
	s_wait_loadcnt_dscnt 0xb00
	v_mul_f64_e32 v[162:163], v[4:5], v[120:121]
	v_add_f64_e32 v[168:169], v[156:157], v[154:155]
	v_mul_f64_e32 v[120:121], v[6:7], v[120:121]
	ds_load_b128 v[154:157], v2 offset:1248
	v_fmac_f64_e32 v[164:165], v[148:149], v[114:115]
	v_fma_f64 v[114:115], v[146:147], v[114:115], -v[116:117]
	s_wait_loadcnt_dscnt 0xa00
	v_mul_f64_e32 v[148:149], v[154:155], v[124:125]
	v_mul_f64_e32 v[124:125], v[156:157], v[124:125]
	v_add_f64_e32 v[146:147], v[158:159], v[160:161]
	v_fmac_f64_e32 v[162:163], v[6:7], v[118:119]
	v_add_f64_e32 v[116:117], v[168:169], v[166:167]
	v_fma_f64 v[118:119], v[4:5], v[118:119], -v[120:121]
	v_fmac_f64_e32 v[148:149], v[156:157], v[122:123]
	v_fma_f64 v[122:123], v[154:155], v[122:123], -v[124:125]
	v_add_f64_e32 v[146:147], v[146:147], v[164:165]
	v_add_f64_e32 v[120:121], v[116:117], v[114:115]
	ds_load_b128 v[4:7], v2 offset:1264
	ds_load_b128 v[114:117], v2 offset:1280
	s_wait_loadcnt_dscnt 0x901
	v_mul_f64_e32 v[158:159], v[4:5], v[128:129]
	v_mul_f64_e32 v[128:129], v[6:7], v[128:129]
	s_wait_loadcnt_dscnt 0x800
	v_mul_f64_e32 v[124:125], v[114:115], v[132:133]
	v_mul_f64_e32 v[132:133], v[116:117], v[132:133]
	v_add_f64_e32 v[118:119], v[120:121], v[118:119]
	v_add_f64_e32 v[120:121], v[146:147], v[162:163]
	v_fmac_f64_e32 v[158:159], v[6:7], v[126:127]
	v_fma_f64 v[126:127], v[4:5], v[126:127], -v[128:129]
	v_fmac_f64_e32 v[124:125], v[116:117], v[130:131]
	v_fma_f64 v[114:115], v[114:115], v[130:131], -v[132:133]
	v_add_f64_e32 v[122:123], v[118:119], v[122:123]
	v_add_f64_e32 v[128:129], v[120:121], v[148:149]
	ds_load_b128 v[4:7], v2 offset:1296
	ds_load_b128 v[118:121], v2 offset:1312
	s_wait_loadcnt_dscnt 0x701
	v_mul_f64_e32 v[146:147], v[4:5], v[140:141]
	v_mul_f64_e32 v[140:141], v[6:7], v[140:141]
	v_add_f64_e32 v[116:117], v[122:123], v[126:127]
	v_add_f64_e32 v[122:123], v[128:129], v[158:159]
	s_wait_loadcnt_dscnt 0x500
	v_mul_f64_e32 v[126:127], v[118:119], v[152:153]
	v_mul_f64_e32 v[128:129], v[120:121], v[152:153]
	v_fmac_f64_e32 v[146:147], v[6:7], v[138:139]
	v_fma_f64 v[130:131], v[4:5], v[138:139], -v[140:141]
	v_add_f64_e32 v[132:133], v[116:117], v[114:115]
	v_add_f64_e32 v[122:123], v[122:123], v[124:125]
	ds_load_b128 v[4:7], v2 offset:1328
	ds_load_b128 v[114:117], v2 offset:1344
	v_fmac_f64_e32 v[126:127], v[120:121], v[150:151]
	v_fma_f64 v[118:119], v[118:119], v[150:151], -v[128:129]
	s_wait_loadcnt_dscnt 0x401
	v_mul_f64_e32 v[124:125], v[4:5], v[136:137]
	v_mul_f64_e32 v[136:137], v[6:7], v[136:137]
	v_add_f64_e32 v[120:121], v[132:133], v[130:131]
	v_add_f64_e32 v[122:123], v[122:123], v[146:147]
	s_wait_loadcnt_dscnt 0x300
	v_mul_f64_e32 v[128:129], v[114:115], v[10:11]
	v_mul_f64_e32 v[10:11], v[116:117], v[10:11]
	v_fmac_f64_e32 v[124:125], v[6:7], v[134:135]
	v_fma_f64 v[130:131], v[4:5], v[134:135], -v[136:137]
	v_add_f64_e32 v[132:133], v[120:121], v[118:119]
	v_add_f64_e32 v[122:123], v[122:123], v[126:127]
	ds_load_b128 v[4:7], v2 offset:1360
	ds_load_b128 v[118:121], v2 offset:1376
	v_fmac_f64_e32 v[128:129], v[116:117], v[8:9]
	v_fma_f64 v[8:9], v[114:115], v[8:9], -v[10:11]
	s_wait_loadcnt_dscnt 0x201
	v_mul_f64_e32 v[126:127], v[4:5], v[14:15]
	v_mul_f64_e32 v[14:15], v[6:7], v[14:15]
	s_wait_loadcnt_dscnt 0x100
	v_mul_f64_e32 v[116:117], v[118:119], v[108:109]
	v_mul_f64_e32 v[108:109], v[120:121], v[108:109]
	v_add_f64_e32 v[10:11], v[132:133], v[130:131]
	v_add_f64_e32 v[114:115], v[122:123], v[124:125]
	v_fmac_f64_e32 v[126:127], v[6:7], v[12:13]
	v_fma_f64 v[12:13], v[4:5], v[12:13], -v[14:15]
	ds_load_b128 v[4:7], v2 offset:1392
	v_fmac_f64_e32 v[116:117], v[120:121], v[106:107]
	v_fma_f64 v[106:107], v[118:119], v[106:107], -v[108:109]
	v_add_f64_e32 v[8:9], v[10:11], v[8:9]
	v_add_f64_e32 v[10:11], v[114:115], v[128:129]
	s_wait_loadcnt_dscnt 0x0
	v_mul_f64_e32 v[14:15], v[4:5], v[112:113]
	v_mul_f64_e32 v[112:113], v[6:7], v[112:113]
	s_delay_alu instid0(VALU_DEP_4) | instskip(NEXT) | instid1(VALU_DEP_4)
	v_add_f64_e32 v[8:9], v[8:9], v[12:13]
	v_add_f64_e32 v[10:11], v[10:11], v[126:127]
	s_delay_alu instid0(VALU_DEP_4) | instskip(NEXT) | instid1(VALU_DEP_4)
	v_fmac_f64_e32 v[14:15], v[6:7], v[110:111]
	v_fma_f64 v[4:5], v[4:5], v[110:111], -v[112:113]
	s_delay_alu instid0(VALU_DEP_4) | instskip(NEXT) | instid1(VALU_DEP_4)
	v_add_f64_e32 v[6:7], v[8:9], v[106:107]
	v_add_f64_e32 v[8:9], v[10:11], v[116:117]
	s_delay_alu instid0(VALU_DEP_2) | instskip(NEXT) | instid1(VALU_DEP_2)
	v_add_f64_e32 v[4:5], v[6:7], v[4:5]
	v_add_f64_e32 v[6:7], v[8:9], v[14:15]
	s_delay_alu instid0(VALU_DEP_2) | instskip(NEXT) | instid1(VALU_DEP_2)
	v_add_f64_e64 v[4:5], v[142:143], -v[4:5]
	v_add_f64_e64 v[6:7], v[144:145], -v[6:7]
	scratch_store_b128 off, v[4:7], off offset:416
	s_wait_xcnt 0x0
	v_cmpx_lt_u32_e32 25, v1
	s_cbranch_execz .LBB43_227
; %bb.226:
	scratch_load_b128 v[6:9], off, s26
	v_dual_mov_b32 v3, v2 :: v_dual_mov_b32 v4, v2
	v_mov_b32_e32 v5, v2
	scratch_store_b128 off, v[2:5], off offset:400
	s_wait_loadcnt 0x0
	ds_store_b128 v104, v[6:9]
.LBB43_227:
	s_wait_xcnt 0x0
	s_or_b32 exec_lo, exec_lo, s2
	s_wait_storecnt_dscnt 0x0
	s_barrier_signal -1
	s_barrier_wait -1
	s_clause 0x9
	scratch_load_b128 v[4:7], off, off offset:416
	scratch_load_b128 v[8:11], off, off offset:432
	;; [unrolled: 1-line block ×10, first 2 shown]
	ds_load_b128 v[134:137], v2 offset:1120
	ds_load_b128 v[142:145], v2 offset:1136
	s_clause 0x2
	scratch_load_b128 v[138:141], off, off offset:576
	scratch_load_b128 v[146:149], off, off offset:400
	;; [unrolled: 1-line block ×3, first 2 shown]
	s_mov_b32 s2, exec_lo
	s_wait_loadcnt_dscnt 0xc01
	v_mul_f64_e32 v[154:155], v[136:137], v[6:7]
	v_mul_f64_e32 v[158:159], v[134:135], v[6:7]
	s_wait_loadcnt_dscnt 0xb00
	v_mul_f64_e32 v[160:161], v[142:143], v[10:11]
	v_mul_f64_e32 v[10:11], v[144:145], v[10:11]
	s_delay_alu instid0(VALU_DEP_4) | instskip(NEXT) | instid1(VALU_DEP_4)
	v_fma_f64 v[162:163], v[134:135], v[4:5], -v[154:155]
	v_fmac_f64_e32 v[158:159], v[136:137], v[4:5]
	ds_load_b128 v[4:7], v2 offset:1152
	ds_load_b128 v[134:137], v2 offset:1168
	scratch_load_b128 v[154:157], off, off offset:608
	v_fmac_f64_e32 v[160:161], v[144:145], v[8:9]
	v_fma_f64 v[142:143], v[142:143], v[8:9], -v[10:11]
	scratch_load_b128 v[8:11], off, off offset:624
	s_wait_loadcnt_dscnt 0xc01
	v_mul_f64_e32 v[164:165], v[4:5], v[14:15]
	v_mul_f64_e32 v[14:15], v[6:7], v[14:15]
	v_add_f64_e32 v[144:145], 0, v[162:163]
	v_add_f64_e32 v[158:159], 0, v[158:159]
	s_wait_loadcnt_dscnt 0xb00
	v_mul_f64_e32 v[162:163], v[134:135], v[108:109]
	v_mul_f64_e32 v[108:109], v[136:137], v[108:109]
	v_fmac_f64_e32 v[164:165], v[6:7], v[12:13]
	v_fma_f64 v[166:167], v[4:5], v[12:13], -v[14:15]
	ds_load_b128 v[4:7], v2 offset:1184
	ds_load_b128 v[12:15], v2 offset:1200
	v_add_f64_e32 v[168:169], v[144:145], v[142:143]
	v_add_f64_e32 v[158:159], v[158:159], v[160:161]
	scratch_load_b128 v[142:145], off, off offset:640
	v_fmac_f64_e32 v[162:163], v[136:137], v[106:107]
	v_fma_f64 v[134:135], v[134:135], v[106:107], -v[108:109]
	scratch_load_b128 v[106:109], off, off offset:656
	s_wait_loadcnt_dscnt 0xc01
	v_mul_f64_e32 v[160:161], v[4:5], v[112:113]
	v_mul_f64_e32 v[112:113], v[6:7], v[112:113]
	v_add_f64_e32 v[136:137], v[168:169], v[166:167]
	v_add_f64_e32 v[158:159], v[158:159], v[164:165]
	s_wait_loadcnt_dscnt 0xb00
	v_mul_f64_e32 v[164:165], v[12:13], v[116:117]
	v_mul_f64_e32 v[116:117], v[14:15], v[116:117]
	v_fmac_f64_e32 v[160:161], v[6:7], v[110:111]
	v_fma_f64 v[166:167], v[4:5], v[110:111], -v[112:113]
	ds_load_b128 v[4:7], v2 offset:1216
	ds_load_b128 v[110:113], v2 offset:1232
	v_add_f64_e32 v[168:169], v[136:137], v[134:135]
	v_add_f64_e32 v[158:159], v[158:159], v[162:163]
	scratch_load_b128 v[134:137], off, off offset:672
	s_wait_loadcnt_dscnt 0xb01
	v_mul_f64_e32 v[162:163], v[4:5], v[120:121]
	v_mul_f64_e32 v[120:121], v[6:7], v[120:121]
	v_fmac_f64_e32 v[164:165], v[14:15], v[114:115]
	v_fma_f64 v[114:115], v[12:13], v[114:115], -v[116:117]
	scratch_load_b128 v[12:15], off, off offset:688
	v_add_f64_e32 v[116:117], v[168:169], v[166:167]
	v_add_f64_e32 v[158:159], v[158:159], v[160:161]
	s_wait_loadcnt_dscnt 0xb00
	v_mul_f64_e32 v[160:161], v[110:111], v[124:125]
	v_mul_f64_e32 v[124:125], v[112:113], v[124:125]
	v_fmac_f64_e32 v[162:163], v[6:7], v[118:119]
	v_fma_f64 v[118:119], v[4:5], v[118:119], -v[120:121]
	v_add_f64_e32 v[120:121], v[116:117], v[114:115]
	v_add_f64_e32 v[158:159], v[158:159], v[164:165]
	ds_load_b128 v[4:7], v2 offset:1248
	ds_load_b128 v[114:117], v2 offset:1264
	v_fmac_f64_e32 v[160:161], v[112:113], v[122:123]
	v_fma_f64 v[110:111], v[110:111], v[122:123], -v[124:125]
	s_wait_loadcnt_dscnt 0xa01
	v_mul_f64_e32 v[164:165], v[4:5], v[128:129]
	v_mul_f64_e32 v[128:129], v[6:7], v[128:129]
	s_wait_loadcnt_dscnt 0x900
	v_mul_f64_e32 v[122:123], v[116:117], v[132:133]
	v_add_f64_e32 v[112:113], v[120:121], v[118:119]
	v_add_f64_e32 v[118:119], v[158:159], v[162:163]
	v_mul_f64_e32 v[120:121], v[114:115], v[132:133]
	v_fmac_f64_e32 v[164:165], v[6:7], v[126:127]
	v_fma_f64 v[124:125], v[4:5], v[126:127], -v[128:129]
	v_fma_f64 v[114:115], v[114:115], v[130:131], -v[122:123]
	v_add_f64_e32 v[126:127], v[112:113], v[110:111]
	v_add_f64_e32 v[118:119], v[118:119], v[160:161]
	ds_load_b128 v[4:7], v2 offset:1280
	ds_load_b128 v[110:113], v2 offset:1296
	v_fmac_f64_e32 v[120:121], v[116:117], v[130:131]
	s_wait_loadcnt_dscnt 0x801
	v_mul_f64_e32 v[128:129], v[4:5], v[140:141]
	v_mul_f64_e32 v[132:133], v[6:7], v[140:141]
	s_wait_loadcnt_dscnt 0x600
	v_mul_f64_e32 v[122:123], v[110:111], v[152:153]
	v_add_f64_e32 v[116:117], v[126:127], v[124:125]
	v_add_f64_e32 v[118:119], v[118:119], v[164:165]
	v_mul_f64_e32 v[124:125], v[112:113], v[152:153]
	v_fmac_f64_e32 v[128:129], v[6:7], v[138:139]
	v_fma_f64 v[126:127], v[4:5], v[138:139], -v[132:133]
	v_fmac_f64_e32 v[122:123], v[112:113], v[150:151]
	v_add_f64_e32 v[130:131], v[116:117], v[114:115]
	v_add_f64_e32 v[118:119], v[118:119], v[120:121]
	ds_load_b128 v[4:7], v2 offset:1312
	ds_load_b128 v[114:117], v2 offset:1328
	v_fma_f64 v[110:111], v[110:111], v[150:151], -v[124:125]
	s_wait_loadcnt_dscnt 0x501
	v_mul_f64_e32 v[120:121], v[4:5], v[156:157]
	v_mul_f64_e32 v[132:133], v[6:7], v[156:157]
	s_wait_loadcnt_dscnt 0x400
	v_mul_f64_e32 v[124:125], v[114:115], v[10:11]
	v_mul_f64_e32 v[10:11], v[116:117], v[10:11]
	v_add_f64_e32 v[112:113], v[130:131], v[126:127]
	v_add_f64_e32 v[118:119], v[118:119], v[128:129]
	v_fmac_f64_e32 v[120:121], v[6:7], v[154:155]
	v_fma_f64 v[126:127], v[4:5], v[154:155], -v[132:133]
	v_fmac_f64_e32 v[124:125], v[116:117], v[8:9]
	v_fma_f64 v[8:9], v[114:115], v[8:9], -v[10:11]
	v_add_f64_e32 v[128:129], v[112:113], v[110:111]
	v_add_f64_e32 v[118:119], v[118:119], v[122:123]
	ds_load_b128 v[4:7], v2 offset:1344
	ds_load_b128 v[110:113], v2 offset:1360
	s_wait_loadcnt_dscnt 0x301
	v_mul_f64_e32 v[122:123], v[4:5], v[144:145]
	v_mul_f64_e32 v[130:131], v[6:7], v[144:145]
	s_wait_loadcnt_dscnt 0x200
	v_mul_f64_e32 v[116:117], v[110:111], v[108:109]
	v_mul_f64_e32 v[108:109], v[112:113], v[108:109]
	v_add_f64_e32 v[10:11], v[128:129], v[126:127]
	v_add_f64_e32 v[114:115], v[118:119], v[120:121]
	v_fmac_f64_e32 v[122:123], v[6:7], v[142:143]
	v_fma_f64 v[118:119], v[4:5], v[142:143], -v[130:131]
	v_fmac_f64_e32 v[116:117], v[112:113], v[106:107]
	v_fma_f64 v[106:107], v[110:111], v[106:107], -v[108:109]
	v_add_f64_e32 v[120:121], v[10:11], v[8:9]
	v_add_f64_e32 v[114:115], v[114:115], v[124:125]
	ds_load_b128 v[4:7], v2 offset:1376
	ds_load_b128 v[8:11], v2 offset:1392
	s_wait_loadcnt_dscnt 0x101
	v_mul_f64_e32 v[2:3], v[4:5], v[136:137]
	v_mul_f64_e32 v[124:125], v[6:7], v[136:137]
	s_wait_loadcnt_dscnt 0x0
	v_mul_f64_e32 v[112:113], v[8:9], v[14:15]
	v_mul_f64_e32 v[14:15], v[10:11], v[14:15]
	v_add_f64_e32 v[108:109], v[120:121], v[118:119]
	v_add_f64_e32 v[110:111], v[114:115], v[122:123]
	v_fmac_f64_e32 v[2:3], v[6:7], v[134:135]
	v_fma_f64 v[4:5], v[4:5], v[134:135], -v[124:125]
	v_fmac_f64_e32 v[112:113], v[10:11], v[12:13]
	v_fma_f64 v[8:9], v[8:9], v[12:13], -v[14:15]
	v_add_f64_e32 v[6:7], v[108:109], v[106:107]
	v_add_f64_e32 v[106:107], v[110:111], v[116:117]
	s_delay_alu instid0(VALU_DEP_2) | instskip(NEXT) | instid1(VALU_DEP_2)
	v_add_f64_e32 v[4:5], v[6:7], v[4:5]
	v_add_f64_e32 v[2:3], v[106:107], v[2:3]
	s_delay_alu instid0(VALU_DEP_2) | instskip(NEXT) | instid1(VALU_DEP_2)
	;; [unrolled: 3-line block ×3, first 2 shown]
	v_add_f64_e64 v[2:3], v[146:147], -v[4:5]
	v_add_f64_e64 v[4:5], v[148:149], -v[6:7]
	scratch_store_b128 off, v[2:5], off offset:400
	s_wait_xcnt 0x0
	v_cmpx_lt_u32_e32 24, v1
	s_cbranch_execz .LBB43_229
; %bb.228:
	scratch_load_b128 v[2:5], off, s34
	v_mov_b32_e32 v6, 0
	s_delay_alu instid0(VALU_DEP_1)
	v_dual_mov_b32 v7, v6 :: v_dual_mov_b32 v8, v6
	v_mov_b32_e32 v9, v6
	scratch_store_b128 off, v[6:9], off offset:384
	s_wait_loadcnt 0x0
	ds_store_b128 v104, v[2:5]
.LBB43_229:
	s_wait_xcnt 0x0
	s_or_b32 exec_lo, exec_lo, s2
	s_wait_storecnt_dscnt 0x0
	s_barrier_signal -1
	s_barrier_wait -1
	s_clause 0x9
	scratch_load_b128 v[4:7], off, off offset:400
	scratch_load_b128 v[8:11], off, off offset:416
	scratch_load_b128 v[12:15], off, off offset:432
	scratch_load_b128 v[106:109], off, off offset:448
	scratch_load_b128 v[110:113], off, off offset:464
	scratch_load_b128 v[114:117], off, off offset:480
	scratch_load_b128 v[118:121], off, off offset:496
	scratch_load_b128 v[122:125], off, off offset:512
	scratch_load_b128 v[126:129], off, off offset:528
	scratch_load_b128 v[130:133], off, off offset:544
	v_mov_b32_e32 v2, 0
	s_mov_b32 s2, exec_lo
	ds_load_b128 v[134:137], v2 offset:1104
	s_clause 0x2
	scratch_load_b128 v[138:141], off, off offset:560
	scratch_load_b128 v[142:145], off, off offset:384
	;; [unrolled: 1-line block ×3, first 2 shown]
	s_wait_loadcnt_dscnt 0xc00
	v_mul_f64_e32 v[154:155], v[136:137], v[6:7]
	v_mul_f64_e32 v[158:159], v[134:135], v[6:7]
	ds_load_b128 v[146:149], v2 offset:1120
	v_fma_f64 v[162:163], v[134:135], v[4:5], -v[154:155]
	v_fmac_f64_e32 v[158:159], v[136:137], v[4:5]
	ds_load_b128 v[4:7], v2 offset:1136
	s_wait_loadcnt_dscnt 0xb01
	v_mul_f64_e32 v[160:161], v[146:147], v[10:11]
	v_mul_f64_e32 v[10:11], v[148:149], v[10:11]
	scratch_load_b128 v[134:137], off, off offset:592
	ds_load_b128 v[154:157], v2 offset:1152
	s_wait_loadcnt_dscnt 0xb01
	v_mul_f64_e32 v[164:165], v[4:5], v[14:15]
	v_mul_f64_e32 v[14:15], v[6:7], v[14:15]
	v_add_f64_e32 v[158:159], 0, v[158:159]
	v_fmac_f64_e32 v[160:161], v[148:149], v[8:9]
	v_fma_f64 v[146:147], v[146:147], v[8:9], -v[10:11]
	v_add_f64_e32 v[148:149], 0, v[162:163]
	scratch_load_b128 v[8:11], off, off offset:608
	v_fmac_f64_e32 v[164:165], v[6:7], v[12:13]
	v_fma_f64 v[166:167], v[4:5], v[12:13], -v[14:15]
	ds_load_b128 v[4:7], v2 offset:1168
	s_wait_loadcnt_dscnt 0xb01
	v_mul_f64_e32 v[162:163], v[154:155], v[108:109]
	v_mul_f64_e32 v[108:109], v[156:157], v[108:109]
	scratch_load_b128 v[12:15], off, off offset:624
	v_add_f64_e32 v[158:159], v[158:159], v[160:161]
	v_add_f64_e32 v[168:169], v[148:149], v[146:147]
	ds_load_b128 v[146:149], v2 offset:1184
	s_wait_loadcnt_dscnt 0xb01
	v_mul_f64_e32 v[160:161], v[4:5], v[112:113]
	v_mul_f64_e32 v[112:113], v[6:7], v[112:113]
	v_fmac_f64_e32 v[162:163], v[156:157], v[106:107]
	v_fma_f64 v[154:155], v[154:155], v[106:107], -v[108:109]
	scratch_load_b128 v[106:109], off, off offset:640
	v_add_f64_e32 v[158:159], v[158:159], v[164:165]
	v_add_f64_e32 v[156:157], v[168:169], v[166:167]
	v_fmac_f64_e32 v[160:161], v[6:7], v[110:111]
	v_fma_f64 v[166:167], v[4:5], v[110:111], -v[112:113]
	ds_load_b128 v[4:7], v2 offset:1200
	s_wait_loadcnt_dscnt 0xb01
	v_mul_f64_e32 v[164:165], v[146:147], v[116:117]
	v_mul_f64_e32 v[116:117], v[148:149], v[116:117]
	scratch_load_b128 v[110:113], off, off offset:656
	v_add_f64_e32 v[158:159], v[158:159], v[162:163]
	s_wait_loadcnt_dscnt 0xb00
	v_mul_f64_e32 v[162:163], v[4:5], v[120:121]
	v_add_f64_e32 v[168:169], v[156:157], v[154:155]
	v_mul_f64_e32 v[120:121], v[6:7], v[120:121]
	ds_load_b128 v[154:157], v2 offset:1216
	v_fmac_f64_e32 v[164:165], v[148:149], v[114:115]
	v_fma_f64 v[146:147], v[146:147], v[114:115], -v[116:117]
	scratch_load_b128 v[114:117], off, off offset:672
	v_add_f64_e32 v[158:159], v[158:159], v[160:161]
	v_fmac_f64_e32 v[162:163], v[6:7], v[118:119]
	v_add_f64_e32 v[148:149], v[168:169], v[166:167]
	v_fma_f64 v[166:167], v[4:5], v[118:119], -v[120:121]
	ds_load_b128 v[4:7], v2 offset:1232
	s_wait_loadcnt_dscnt 0xb01
	v_mul_f64_e32 v[160:161], v[154:155], v[124:125]
	v_mul_f64_e32 v[124:125], v[156:157], v[124:125]
	scratch_load_b128 v[118:121], off, off offset:688
	v_add_f64_e32 v[158:159], v[158:159], v[164:165]
	s_wait_loadcnt_dscnt 0xb00
	v_mul_f64_e32 v[164:165], v[4:5], v[128:129]
	v_add_f64_e32 v[168:169], v[148:149], v[146:147]
	v_mul_f64_e32 v[128:129], v[6:7], v[128:129]
	ds_load_b128 v[146:149], v2 offset:1248
	v_fmac_f64_e32 v[160:161], v[156:157], v[122:123]
	v_fma_f64 v[122:123], v[154:155], v[122:123], -v[124:125]
	s_wait_loadcnt_dscnt 0xa00
	v_mul_f64_e32 v[156:157], v[146:147], v[132:133]
	v_mul_f64_e32 v[132:133], v[148:149], v[132:133]
	v_add_f64_e32 v[154:155], v[158:159], v[162:163]
	v_fmac_f64_e32 v[164:165], v[6:7], v[126:127]
	v_add_f64_e32 v[124:125], v[168:169], v[166:167]
	v_fma_f64 v[126:127], v[4:5], v[126:127], -v[128:129]
	v_fmac_f64_e32 v[156:157], v[148:149], v[130:131]
	v_fma_f64 v[130:131], v[146:147], v[130:131], -v[132:133]
	v_add_f64_e32 v[154:155], v[154:155], v[160:161]
	v_add_f64_e32 v[128:129], v[124:125], v[122:123]
	ds_load_b128 v[4:7], v2 offset:1264
	ds_load_b128 v[122:125], v2 offset:1280
	s_wait_loadcnt_dscnt 0x901
	v_mul_f64_e32 v[158:159], v[4:5], v[140:141]
	v_mul_f64_e32 v[140:141], v[6:7], v[140:141]
	s_wait_loadcnt_dscnt 0x700
	v_mul_f64_e32 v[132:133], v[122:123], v[152:153]
	v_mul_f64_e32 v[146:147], v[124:125], v[152:153]
	v_add_f64_e32 v[126:127], v[128:129], v[126:127]
	v_add_f64_e32 v[128:129], v[154:155], v[164:165]
	v_fmac_f64_e32 v[158:159], v[6:7], v[138:139]
	v_fma_f64 v[138:139], v[4:5], v[138:139], -v[140:141]
	v_fmac_f64_e32 v[132:133], v[124:125], v[150:151]
	v_fma_f64 v[122:123], v[122:123], v[150:151], -v[146:147]
	v_add_f64_e32 v[130:131], v[126:127], v[130:131]
	v_add_f64_e32 v[140:141], v[128:129], v[156:157]
	ds_load_b128 v[4:7], v2 offset:1296
	ds_load_b128 v[126:129], v2 offset:1312
	s_wait_loadcnt_dscnt 0x601
	v_mul_f64_e32 v[148:149], v[4:5], v[136:137]
	v_mul_f64_e32 v[136:137], v[6:7], v[136:137]
	v_add_f64_e32 v[124:125], v[130:131], v[138:139]
	v_add_f64_e32 v[130:131], v[140:141], v[158:159]
	s_wait_loadcnt_dscnt 0x500
	v_mul_f64_e32 v[138:139], v[126:127], v[10:11]
	v_mul_f64_e32 v[10:11], v[128:129], v[10:11]
	v_fmac_f64_e32 v[148:149], v[6:7], v[134:135]
	v_fma_f64 v[134:135], v[4:5], v[134:135], -v[136:137]
	v_add_f64_e32 v[136:137], v[124:125], v[122:123]
	v_add_f64_e32 v[130:131], v[130:131], v[132:133]
	ds_load_b128 v[4:7], v2 offset:1328
	ds_load_b128 v[122:125], v2 offset:1344
	v_fmac_f64_e32 v[138:139], v[128:129], v[8:9]
	v_fma_f64 v[8:9], v[126:127], v[8:9], -v[10:11]
	s_wait_loadcnt_dscnt 0x401
	v_mul_f64_e32 v[132:133], v[4:5], v[14:15]
	v_mul_f64_e32 v[14:15], v[6:7], v[14:15]
	s_wait_loadcnt_dscnt 0x300
	v_mul_f64_e32 v[128:129], v[122:123], v[108:109]
	v_mul_f64_e32 v[108:109], v[124:125], v[108:109]
	v_add_f64_e32 v[10:11], v[136:137], v[134:135]
	v_add_f64_e32 v[126:127], v[130:131], v[148:149]
	v_fmac_f64_e32 v[132:133], v[6:7], v[12:13]
	v_fma_f64 v[12:13], v[4:5], v[12:13], -v[14:15]
	v_fmac_f64_e32 v[128:129], v[124:125], v[106:107]
	v_fma_f64 v[106:107], v[122:123], v[106:107], -v[108:109]
	v_add_f64_e32 v[14:15], v[10:11], v[8:9]
	v_add_f64_e32 v[126:127], v[126:127], v[138:139]
	ds_load_b128 v[4:7], v2 offset:1360
	ds_load_b128 v[8:11], v2 offset:1376
	s_wait_loadcnt_dscnt 0x201
	v_mul_f64_e32 v[130:131], v[4:5], v[112:113]
	v_mul_f64_e32 v[112:113], v[6:7], v[112:113]
	s_wait_loadcnt_dscnt 0x100
	v_mul_f64_e32 v[108:109], v[8:9], v[116:117]
	v_mul_f64_e32 v[116:117], v[10:11], v[116:117]
	v_add_f64_e32 v[12:13], v[14:15], v[12:13]
	v_add_f64_e32 v[14:15], v[126:127], v[132:133]
	v_fmac_f64_e32 v[130:131], v[6:7], v[110:111]
	v_fma_f64 v[110:111], v[4:5], v[110:111], -v[112:113]
	ds_load_b128 v[4:7], v2 offset:1392
	v_fmac_f64_e32 v[108:109], v[10:11], v[114:115]
	v_fma_f64 v[8:9], v[8:9], v[114:115], -v[116:117]
	v_add_f64_e32 v[12:13], v[12:13], v[106:107]
	v_add_f64_e32 v[14:15], v[14:15], v[128:129]
	s_wait_loadcnt_dscnt 0x0
	v_mul_f64_e32 v[106:107], v[4:5], v[120:121]
	v_mul_f64_e32 v[112:113], v[6:7], v[120:121]
	s_delay_alu instid0(VALU_DEP_4) | instskip(NEXT) | instid1(VALU_DEP_4)
	v_add_f64_e32 v[10:11], v[12:13], v[110:111]
	v_add_f64_e32 v[12:13], v[14:15], v[130:131]
	s_delay_alu instid0(VALU_DEP_4) | instskip(NEXT) | instid1(VALU_DEP_4)
	v_fmac_f64_e32 v[106:107], v[6:7], v[118:119]
	v_fma_f64 v[4:5], v[4:5], v[118:119], -v[112:113]
	s_delay_alu instid0(VALU_DEP_4) | instskip(NEXT) | instid1(VALU_DEP_4)
	v_add_f64_e32 v[6:7], v[10:11], v[8:9]
	v_add_f64_e32 v[8:9], v[12:13], v[108:109]
	s_delay_alu instid0(VALU_DEP_2) | instskip(NEXT) | instid1(VALU_DEP_2)
	v_add_f64_e32 v[4:5], v[6:7], v[4:5]
	v_add_f64_e32 v[6:7], v[8:9], v[106:107]
	s_delay_alu instid0(VALU_DEP_2) | instskip(NEXT) | instid1(VALU_DEP_2)
	v_add_f64_e64 v[4:5], v[142:143], -v[4:5]
	v_add_f64_e64 v[6:7], v[144:145], -v[6:7]
	scratch_store_b128 off, v[4:7], off offset:384
	s_wait_xcnt 0x0
	v_cmpx_lt_u32_e32 23, v1
	s_cbranch_execz .LBB43_231
; %bb.230:
	scratch_load_b128 v[6:9], off, s30
	v_dual_mov_b32 v3, v2 :: v_dual_mov_b32 v4, v2
	v_mov_b32_e32 v5, v2
	scratch_store_b128 off, v[2:5], off offset:368
	s_wait_loadcnt 0x0
	ds_store_b128 v104, v[6:9]
.LBB43_231:
	s_wait_xcnt 0x0
	s_or_b32 exec_lo, exec_lo, s2
	s_wait_storecnt_dscnt 0x0
	s_barrier_signal -1
	s_barrier_wait -1
	s_clause 0x9
	scratch_load_b128 v[4:7], off, off offset:384
	scratch_load_b128 v[8:11], off, off offset:400
	;; [unrolled: 1-line block ×10, first 2 shown]
	ds_load_b128 v[134:137], v2 offset:1088
	ds_load_b128 v[142:145], v2 offset:1104
	s_clause 0x2
	scratch_load_b128 v[138:141], off, off offset:544
	scratch_load_b128 v[146:149], off, off offset:368
	;; [unrolled: 1-line block ×3, first 2 shown]
	s_mov_b32 s2, exec_lo
	s_wait_loadcnt_dscnt 0xc01
	v_mul_f64_e32 v[154:155], v[136:137], v[6:7]
	v_mul_f64_e32 v[158:159], v[134:135], v[6:7]
	s_wait_loadcnt_dscnt 0xb00
	v_mul_f64_e32 v[160:161], v[142:143], v[10:11]
	v_mul_f64_e32 v[10:11], v[144:145], v[10:11]
	s_delay_alu instid0(VALU_DEP_4) | instskip(NEXT) | instid1(VALU_DEP_4)
	v_fma_f64 v[162:163], v[134:135], v[4:5], -v[154:155]
	v_fmac_f64_e32 v[158:159], v[136:137], v[4:5]
	ds_load_b128 v[4:7], v2 offset:1120
	ds_load_b128 v[134:137], v2 offset:1136
	scratch_load_b128 v[154:157], off, off offset:576
	v_fmac_f64_e32 v[160:161], v[144:145], v[8:9]
	v_fma_f64 v[142:143], v[142:143], v[8:9], -v[10:11]
	scratch_load_b128 v[8:11], off, off offset:592
	s_wait_loadcnt_dscnt 0xc01
	v_mul_f64_e32 v[164:165], v[4:5], v[14:15]
	v_mul_f64_e32 v[14:15], v[6:7], v[14:15]
	v_add_f64_e32 v[144:145], 0, v[162:163]
	v_add_f64_e32 v[158:159], 0, v[158:159]
	s_wait_loadcnt_dscnt 0xb00
	v_mul_f64_e32 v[162:163], v[134:135], v[108:109]
	v_mul_f64_e32 v[108:109], v[136:137], v[108:109]
	v_fmac_f64_e32 v[164:165], v[6:7], v[12:13]
	v_fma_f64 v[166:167], v[4:5], v[12:13], -v[14:15]
	ds_load_b128 v[4:7], v2 offset:1152
	ds_load_b128 v[12:15], v2 offset:1168
	v_add_f64_e32 v[168:169], v[144:145], v[142:143]
	v_add_f64_e32 v[158:159], v[158:159], v[160:161]
	scratch_load_b128 v[142:145], off, off offset:608
	v_fmac_f64_e32 v[162:163], v[136:137], v[106:107]
	v_fma_f64 v[134:135], v[134:135], v[106:107], -v[108:109]
	scratch_load_b128 v[106:109], off, off offset:624
	s_wait_loadcnt_dscnt 0xc01
	v_mul_f64_e32 v[160:161], v[4:5], v[112:113]
	v_mul_f64_e32 v[112:113], v[6:7], v[112:113]
	v_add_f64_e32 v[136:137], v[168:169], v[166:167]
	v_add_f64_e32 v[158:159], v[158:159], v[164:165]
	s_wait_loadcnt_dscnt 0xb00
	v_mul_f64_e32 v[164:165], v[12:13], v[116:117]
	v_mul_f64_e32 v[116:117], v[14:15], v[116:117]
	v_fmac_f64_e32 v[160:161], v[6:7], v[110:111]
	v_fma_f64 v[166:167], v[4:5], v[110:111], -v[112:113]
	ds_load_b128 v[4:7], v2 offset:1184
	ds_load_b128 v[110:113], v2 offset:1200
	v_add_f64_e32 v[168:169], v[136:137], v[134:135]
	v_add_f64_e32 v[158:159], v[158:159], v[162:163]
	scratch_load_b128 v[134:137], off, off offset:640
	s_wait_loadcnt_dscnt 0xb01
	v_mul_f64_e32 v[162:163], v[4:5], v[120:121]
	v_mul_f64_e32 v[120:121], v[6:7], v[120:121]
	v_fmac_f64_e32 v[164:165], v[14:15], v[114:115]
	v_fma_f64 v[114:115], v[12:13], v[114:115], -v[116:117]
	scratch_load_b128 v[12:15], off, off offset:656
	v_add_f64_e32 v[116:117], v[168:169], v[166:167]
	v_add_f64_e32 v[158:159], v[158:159], v[160:161]
	s_wait_loadcnt_dscnt 0xb00
	v_mul_f64_e32 v[160:161], v[110:111], v[124:125]
	v_mul_f64_e32 v[124:125], v[112:113], v[124:125]
	v_fmac_f64_e32 v[162:163], v[6:7], v[118:119]
	v_fma_f64 v[166:167], v[4:5], v[118:119], -v[120:121]
	v_add_f64_e32 v[168:169], v[116:117], v[114:115]
	v_add_f64_e32 v[158:159], v[158:159], v[164:165]
	ds_load_b128 v[4:7], v2 offset:1216
	ds_load_b128 v[114:117], v2 offset:1232
	scratch_load_b128 v[118:121], off, off offset:672
	v_fmac_f64_e32 v[160:161], v[112:113], v[122:123]
	v_fma_f64 v[122:123], v[110:111], v[122:123], -v[124:125]
	scratch_load_b128 v[110:113], off, off offset:688
	s_wait_loadcnt_dscnt 0xc01
	v_mul_f64_e32 v[164:165], v[4:5], v[128:129]
	v_mul_f64_e32 v[128:129], v[6:7], v[128:129]
	v_add_f64_e32 v[124:125], v[168:169], v[166:167]
	v_add_f64_e32 v[158:159], v[158:159], v[162:163]
	s_wait_loadcnt_dscnt 0xb00
	v_mul_f64_e32 v[162:163], v[114:115], v[132:133]
	v_mul_f64_e32 v[132:133], v[116:117], v[132:133]
	v_fmac_f64_e32 v[164:165], v[6:7], v[126:127]
	v_fma_f64 v[126:127], v[4:5], v[126:127], -v[128:129]
	v_add_f64_e32 v[128:129], v[124:125], v[122:123]
	v_add_f64_e32 v[158:159], v[158:159], v[160:161]
	ds_load_b128 v[4:7], v2 offset:1248
	ds_load_b128 v[122:125], v2 offset:1264
	v_fmac_f64_e32 v[162:163], v[116:117], v[130:131]
	v_fma_f64 v[114:115], v[114:115], v[130:131], -v[132:133]
	s_wait_loadcnt_dscnt 0xa01
	v_mul_f64_e32 v[160:161], v[4:5], v[140:141]
	v_mul_f64_e32 v[140:141], v[6:7], v[140:141]
	s_wait_loadcnt_dscnt 0x800
	v_mul_f64_e32 v[130:131], v[124:125], v[152:153]
	v_add_f64_e32 v[116:117], v[128:129], v[126:127]
	v_add_f64_e32 v[126:127], v[158:159], v[164:165]
	v_mul_f64_e32 v[128:129], v[122:123], v[152:153]
	v_fmac_f64_e32 v[160:161], v[6:7], v[138:139]
	v_fma_f64 v[132:133], v[4:5], v[138:139], -v[140:141]
	v_fma_f64 v[122:123], v[122:123], v[150:151], -v[130:131]
	v_add_f64_e32 v[138:139], v[116:117], v[114:115]
	v_add_f64_e32 v[126:127], v[126:127], v[162:163]
	ds_load_b128 v[4:7], v2 offset:1280
	ds_load_b128 v[114:117], v2 offset:1296
	v_fmac_f64_e32 v[128:129], v[124:125], v[150:151]
	s_wait_loadcnt_dscnt 0x701
	v_mul_f64_e32 v[140:141], v[4:5], v[156:157]
	v_mul_f64_e32 v[152:153], v[6:7], v[156:157]
	s_wait_loadcnt_dscnt 0x600
	v_mul_f64_e32 v[130:131], v[114:115], v[10:11]
	v_mul_f64_e32 v[10:11], v[116:117], v[10:11]
	v_add_f64_e32 v[124:125], v[138:139], v[132:133]
	v_add_f64_e32 v[126:127], v[126:127], v[160:161]
	v_fmac_f64_e32 v[140:141], v[6:7], v[154:155]
	v_fma_f64 v[132:133], v[4:5], v[154:155], -v[152:153]
	v_fmac_f64_e32 v[130:131], v[116:117], v[8:9]
	v_fma_f64 v[8:9], v[114:115], v[8:9], -v[10:11]
	v_add_f64_e32 v[138:139], v[124:125], v[122:123]
	v_add_f64_e32 v[126:127], v[126:127], v[128:129]
	ds_load_b128 v[4:7], v2 offset:1312
	ds_load_b128 v[122:125], v2 offset:1328
	s_wait_loadcnt_dscnt 0x501
	v_mul_f64_e32 v[128:129], v[4:5], v[144:145]
	v_mul_f64_e32 v[144:145], v[6:7], v[144:145]
	s_wait_loadcnt_dscnt 0x400
	v_mul_f64_e32 v[116:117], v[122:123], v[108:109]
	v_mul_f64_e32 v[108:109], v[124:125], v[108:109]
	v_add_f64_e32 v[10:11], v[138:139], v[132:133]
	v_add_f64_e32 v[114:115], v[126:127], v[140:141]
	v_fmac_f64_e32 v[128:129], v[6:7], v[142:143]
	v_fma_f64 v[126:127], v[4:5], v[142:143], -v[144:145]
	v_fmac_f64_e32 v[116:117], v[124:125], v[106:107]
	v_fma_f64 v[106:107], v[122:123], v[106:107], -v[108:109]
	v_add_f64_e32 v[132:133], v[10:11], v[8:9]
	v_add_f64_e32 v[114:115], v[114:115], v[130:131]
	ds_load_b128 v[4:7], v2 offset:1344
	ds_load_b128 v[8:11], v2 offset:1360
	;; [unrolled: 16-line block ×3, first 2 shown]
	s_wait_loadcnt_dscnt 0x101
	v_mul_f64_e32 v[2:3], v[4:5], v[120:121]
	v_mul_f64_e32 v[116:117], v[6:7], v[120:121]
	s_wait_loadcnt_dscnt 0x0
	v_mul_f64_e32 v[14:15], v[106:107], v[112:113]
	v_mul_f64_e32 v[112:113], v[108:109], v[112:113]
	v_add_f64_e32 v[10:11], v[126:127], v[124:125]
	v_add_f64_e32 v[12:13], v[114:115], v[130:131]
	v_fmac_f64_e32 v[2:3], v[6:7], v[118:119]
	v_fma_f64 v[4:5], v[4:5], v[118:119], -v[116:117]
	v_fmac_f64_e32 v[14:15], v[108:109], v[110:111]
	v_add_f64_e32 v[6:7], v[10:11], v[8:9]
	v_add_f64_e32 v[8:9], v[12:13], v[122:123]
	v_fma_f64 v[10:11], v[106:107], v[110:111], -v[112:113]
	s_delay_alu instid0(VALU_DEP_3) | instskip(NEXT) | instid1(VALU_DEP_3)
	v_add_f64_e32 v[4:5], v[6:7], v[4:5]
	v_add_f64_e32 v[2:3], v[8:9], v[2:3]
	s_delay_alu instid0(VALU_DEP_2) | instskip(NEXT) | instid1(VALU_DEP_2)
	v_add_f64_e32 v[4:5], v[4:5], v[10:11]
	v_add_f64_e32 v[6:7], v[2:3], v[14:15]
	s_delay_alu instid0(VALU_DEP_2) | instskip(NEXT) | instid1(VALU_DEP_2)
	v_add_f64_e64 v[2:3], v[146:147], -v[4:5]
	v_add_f64_e64 v[4:5], v[148:149], -v[6:7]
	scratch_store_b128 off, v[2:5], off offset:368
	s_wait_xcnt 0x0
	v_cmpx_lt_u32_e32 22, v1
	s_cbranch_execz .LBB43_233
; %bb.232:
	scratch_load_b128 v[2:5], off, s37
	v_mov_b32_e32 v6, 0
	s_delay_alu instid0(VALU_DEP_1)
	v_dual_mov_b32 v7, v6 :: v_dual_mov_b32 v8, v6
	v_mov_b32_e32 v9, v6
	scratch_store_b128 off, v[6:9], off offset:352
	s_wait_loadcnt 0x0
	ds_store_b128 v104, v[2:5]
.LBB43_233:
	s_wait_xcnt 0x0
	s_or_b32 exec_lo, exec_lo, s2
	s_wait_storecnt_dscnt 0x0
	s_barrier_signal -1
	s_barrier_wait -1
	s_clause 0x9
	scratch_load_b128 v[4:7], off, off offset:368
	scratch_load_b128 v[8:11], off, off offset:384
	;; [unrolled: 1-line block ×10, first 2 shown]
	v_mov_b32_e32 v2, 0
	s_mov_b32 s2, exec_lo
	ds_load_b128 v[134:137], v2 offset:1072
	s_clause 0x2
	scratch_load_b128 v[138:141], off, off offset:528
	scratch_load_b128 v[142:145], off, off offset:352
	;; [unrolled: 1-line block ×3, first 2 shown]
	s_wait_loadcnt_dscnt 0xc00
	v_mul_f64_e32 v[154:155], v[136:137], v[6:7]
	v_mul_f64_e32 v[158:159], v[134:135], v[6:7]
	ds_load_b128 v[146:149], v2 offset:1088
	v_fma_f64 v[162:163], v[134:135], v[4:5], -v[154:155]
	v_fmac_f64_e32 v[158:159], v[136:137], v[4:5]
	ds_load_b128 v[4:7], v2 offset:1104
	s_wait_loadcnt_dscnt 0xb01
	v_mul_f64_e32 v[160:161], v[146:147], v[10:11]
	v_mul_f64_e32 v[10:11], v[148:149], v[10:11]
	scratch_load_b128 v[134:137], off, off offset:560
	ds_load_b128 v[154:157], v2 offset:1120
	s_wait_loadcnt_dscnt 0xb01
	v_mul_f64_e32 v[164:165], v[4:5], v[14:15]
	v_mul_f64_e32 v[14:15], v[6:7], v[14:15]
	v_add_f64_e32 v[158:159], 0, v[158:159]
	v_fmac_f64_e32 v[160:161], v[148:149], v[8:9]
	v_fma_f64 v[146:147], v[146:147], v[8:9], -v[10:11]
	v_add_f64_e32 v[148:149], 0, v[162:163]
	scratch_load_b128 v[8:11], off, off offset:576
	v_fmac_f64_e32 v[164:165], v[6:7], v[12:13]
	v_fma_f64 v[166:167], v[4:5], v[12:13], -v[14:15]
	ds_load_b128 v[4:7], v2 offset:1136
	s_wait_loadcnt_dscnt 0xb01
	v_mul_f64_e32 v[162:163], v[154:155], v[108:109]
	v_mul_f64_e32 v[108:109], v[156:157], v[108:109]
	scratch_load_b128 v[12:15], off, off offset:592
	v_add_f64_e32 v[158:159], v[158:159], v[160:161]
	v_add_f64_e32 v[168:169], v[148:149], v[146:147]
	ds_load_b128 v[146:149], v2 offset:1152
	s_wait_loadcnt_dscnt 0xb01
	v_mul_f64_e32 v[160:161], v[4:5], v[112:113]
	v_mul_f64_e32 v[112:113], v[6:7], v[112:113]
	v_fmac_f64_e32 v[162:163], v[156:157], v[106:107]
	v_fma_f64 v[154:155], v[154:155], v[106:107], -v[108:109]
	scratch_load_b128 v[106:109], off, off offset:608
	v_add_f64_e32 v[158:159], v[158:159], v[164:165]
	v_add_f64_e32 v[156:157], v[168:169], v[166:167]
	v_fmac_f64_e32 v[160:161], v[6:7], v[110:111]
	v_fma_f64 v[166:167], v[4:5], v[110:111], -v[112:113]
	ds_load_b128 v[4:7], v2 offset:1168
	s_wait_loadcnt_dscnt 0xb01
	v_mul_f64_e32 v[164:165], v[146:147], v[116:117]
	v_mul_f64_e32 v[116:117], v[148:149], v[116:117]
	scratch_load_b128 v[110:113], off, off offset:624
	v_add_f64_e32 v[158:159], v[158:159], v[162:163]
	s_wait_loadcnt_dscnt 0xb00
	v_mul_f64_e32 v[162:163], v[4:5], v[120:121]
	v_add_f64_e32 v[168:169], v[156:157], v[154:155]
	v_mul_f64_e32 v[120:121], v[6:7], v[120:121]
	ds_load_b128 v[154:157], v2 offset:1184
	v_fmac_f64_e32 v[164:165], v[148:149], v[114:115]
	v_fma_f64 v[146:147], v[146:147], v[114:115], -v[116:117]
	scratch_load_b128 v[114:117], off, off offset:640
	v_add_f64_e32 v[158:159], v[158:159], v[160:161]
	v_fmac_f64_e32 v[162:163], v[6:7], v[118:119]
	v_add_f64_e32 v[148:149], v[168:169], v[166:167]
	v_fma_f64 v[166:167], v[4:5], v[118:119], -v[120:121]
	ds_load_b128 v[4:7], v2 offset:1200
	s_wait_loadcnt_dscnt 0xb01
	v_mul_f64_e32 v[160:161], v[154:155], v[124:125]
	v_mul_f64_e32 v[124:125], v[156:157], v[124:125]
	scratch_load_b128 v[118:121], off, off offset:656
	v_add_f64_e32 v[158:159], v[158:159], v[164:165]
	s_wait_loadcnt_dscnt 0xb00
	v_mul_f64_e32 v[164:165], v[4:5], v[128:129]
	v_add_f64_e32 v[168:169], v[148:149], v[146:147]
	v_mul_f64_e32 v[128:129], v[6:7], v[128:129]
	ds_load_b128 v[146:149], v2 offset:1216
	v_fmac_f64_e32 v[160:161], v[156:157], v[122:123]
	v_fma_f64 v[154:155], v[154:155], v[122:123], -v[124:125]
	scratch_load_b128 v[122:125], off, off offset:672
	v_add_f64_e32 v[158:159], v[158:159], v[162:163]
	v_fmac_f64_e32 v[164:165], v[6:7], v[126:127]
	v_add_f64_e32 v[156:157], v[168:169], v[166:167]
	v_fma_f64 v[166:167], v[4:5], v[126:127], -v[128:129]
	ds_load_b128 v[4:7], v2 offset:1232
	s_wait_loadcnt_dscnt 0xb01
	v_mul_f64_e32 v[162:163], v[146:147], v[132:133]
	v_mul_f64_e32 v[132:133], v[148:149], v[132:133]
	scratch_load_b128 v[126:129], off, off offset:688
	v_add_f64_e32 v[158:159], v[158:159], v[160:161]
	s_wait_loadcnt_dscnt 0xb00
	v_mul_f64_e32 v[160:161], v[4:5], v[140:141]
	v_add_f64_e32 v[168:169], v[156:157], v[154:155]
	v_mul_f64_e32 v[140:141], v[6:7], v[140:141]
	ds_load_b128 v[154:157], v2 offset:1248
	v_fmac_f64_e32 v[162:163], v[148:149], v[130:131]
	v_fma_f64 v[130:131], v[146:147], v[130:131], -v[132:133]
	s_wait_loadcnt_dscnt 0x900
	v_mul_f64_e32 v[148:149], v[154:155], v[152:153]
	v_mul_f64_e32 v[152:153], v[156:157], v[152:153]
	v_add_f64_e32 v[146:147], v[158:159], v[164:165]
	v_fmac_f64_e32 v[160:161], v[6:7], v[138:139]
	v_add_f64_e32 v[132:133], v[168:169], v[166:167]
	v_fma_f64 v[138:139], v[4:5], v[138:139], -v[140:141]
	v_fmac_f64_e32 v[148:149], v[156:157], v[150:151]
	v_fma_f64 v[150:151], v[154:155], v[150:151], -v[152:153]
	v_add_f64_e32 v[146:147], v[146:147], v[162:163]
	v_add_f64_e32 v[140:141], v[132:133], v[130:131]
	ds_load_b128 v[4:7], v2 offset:1264
	ds_load_b128 v[130:133], v2 offset:1280
	s_wait_loadcnt_dscnt 0x801
	v_mul_f64_e32 v[158:159], v[4:5], v[136:137]
	v_mul_f64_e32 v[136:137], v[6:7], v[136:137]
	v_add_f64_e32 v[138:139], v[140:141], v[138:139]
	v_add_f64_e32 v[140:141], v[146:147], v[160:161]
	s_wait_loadcnt_dscnt 0x700
	v_mul_f64_e32 v[146:147], v[130:131], v[10:11]
	v_mul_f64_e32 v[10:11], v[132:133], v[10:11]
	v_fmac_f64_e32 v[158:159], v[6:7], v[134:135]
	v_fma_f64 v[152:153], v[4:5], v[134:135], -v[136:137]
	ds_load_b128 v[4:7], v2 offset:1296
	ds_load_b128 v[134:137], v2 offset:1312
	v_add_f64_e32 v[138:139], v[138:139], v[150:151]
	v_add_f64_e32 v[140:141], v[140:141], v[148:149]
	v_fmac_f64_e32 v[146:147], v[132:133], v[8:9]
	v_fma_f64 v[8:9], v[130:131], v[8:9], -v[10:11]
	s_wait_loadcnt_dscnt 0x601
	v_mul_f64_e32 v[148:149], v[4:5], v[14:15]
	v_mul_f64_e32 v[14:15], v[6:7], v[14:15]
	s_wait_loadcnt_dscnt 0x500
	v_mul_f64_e32 v[132:133], v[134:135], v[108:109]
	v_mul_f64_e32 v[108:109], v[136:137], v[108:109]
	v_add_f64_e32 v[10:11], v[138:139], v[152:153]
	v_add_f64_e32 v[130:131], v[140:141], v[158:159]
	v_fmac_f64_e32 v[148:149], v[6:7], v[12:13]
	v_fma_f64 v[12:13], v[4:5], v[12:13], -v[14:15]
	v_fmac_f64_e32 v[132:133], v[136:137], v[106:107]
	v_fma_f64 v[106:107], v[134:135], v[106:107], -v[108:109]
	v_add_f64_e32 v[14:15], v[10:11], v[8:9]
	v_add_f64_e32 v[130:131], v[130:131], v[146:147]
	ds_load_b128 v[4:7], v2 offset:1328
	ds_load_b128 v[8:11], v2 offset:1344
	s_wait_loadcnt_dscnt 0x401
	v_mul_f64_e32 v[138:139], v[4:5], v[112:113]
	v_mul_f64_e32 v[112:113], v[6:7], v[112:113]
	s_wait_loadcnt_dscnt 0x300
	v_mul_f64_e32 v[108:109], v[8:9], v[116:117]
	v_mul_f64_e32 v[116:117], v[10:11], v[116:117]
	v_add_f64_e32 v[12:13], v[14:15], v[12:13]
	v_add_f64_e32 v[14:15], v[130:131], v[148:149]
	v_fmac_f64_e32 v[138:139], v[6:7], v[110:111]
	v_fma_f64 v[110:111], v[4:5], v[110:111], -v[112:113]
	v_fmac_f64_e32 v[108:109], v[10:11], v[114:115]
	v_fma_f64 v[8:9], v[8:9], v[114:115], -v[116:117]
	v_add_f64_e32 v[106:107], v[12:13], v[106:107]
	v_add_f64_e32 v[112:113], v[14:15], v[132:133]
	ds_load_b128 v[4:7], v2 offset:1360
	ds_load_b128 v[12:15], v2 offset:1376
	s_wait_loadcnt_dscnt 0x201
	v_mul_f64_e32 v[130:131], v[4:5], v[120:121]
	v_mul_f64_e32 v[120:121], v[6:7], v[120:121]
	v_add_f64_e32 v[10:11], v[106:107], v[110:111]
	v_add_f64_e32 v[106:107], v[112:113], v[138:139]
	s_wait_loadcnt_dscnt 0x100
	v_mul_f64_e32 v[110:111], v[12:13], v[124:125]
	v_mul_f64_e32 v[112:113], v[14:15], v[124:125]
	v_fmac_f64_e32 v[130:131], v[6:7], v[118:119]
	v_fma_f64 v[114:115], v[4:5], v[118:119], -v[120:121]
	ds_load_b128 v[4:7], v2 offset:1392
	v_add_f64_e32 v[8:9], v[10:11], v[8:9]
	v_add_f64_e32 v[10:11], v[106:107], v[108:109]
	v_fmac_f64_e32 v[110:111], v[14:15], v[122:123]
	v_fma_f64 v[12:13], v[12:13], v[122:123], -v[112:113]
	s_wait_loadcnt_dscnt 0x0
	v_mul_f64_e32 v[106:107], v[4:5], v[128:129]
	v_mul_f64_e32 v[108:109], v[6:7], v[128:129]
	v_add_f64_e32 v[8:9], v[8:9], v[114:115]
	v_add_f64_e32 v[10:11], v[10:11], v[130:131]
	s_delay_alu instid0(VALU_DEP_4) | instskip(NEXT) | instid1(VALU_DEP_4)
	v_fmac_f64_e32 v[106:107], v[6:7], v[126:127]
	v_fma_f64 v[4:5], v[4:5], v[126:127], -v[108:109]
	s_delay_alu instid0(VALU_DEP_4) | instskip(NEXT) | instid1(VALU_DEP_4)
	v_add_f64_e32 v[6:7], v[8:9], v[12:13]
	v_add_f64_e32 v[8:9], v[10:11], v[110:111]
	s_delay_alu instid0(VALU_DEP_2) | instskip(NEXT) | instid1(VALU_DEP_2)
	v_add_f64_e32 v[4:5], v[6:7], v[4:5]
	v_add_f64_e32 v[6:7], v[8:9], v[106:107]
	s_delay_alu instid0(VALU_DEP_2) | instskip(NEXT) | instid1(VALU_DEP_2)
	v_add_f64_e64 v[4:5], v[142:143], -v[4:5]
	v_add_f64_e64 v[6:7], v[144:145], -v[6:7]
	scratch_store_b128 off, v[4:7], off offset:352
	s_wait_xcnt 0x0
	v_cmpx_lt_u32_e32 21, v1
	s_cbranch_execz .LBB43_235
; %bb.234:
	scratch_load_b128 v[6:9], off, s35
	v_dual_mov_b32 v3, v2 :: v_dual_mov_b32 v4, v2
	v_mov_b32_e32 v5, v2
	scratch_store_b128 off, v[2:5], off offset:336
	s_wait_loadcnt 0x0
	ds_store_b128 v104, v[6:9]
.LBB43_235:
	s_wait_xcnt 0x0
	s_or_b32 exec_lo, exec_lo, s2
	s_wait_storecnt_dscnt 0x0
	s_barrier_signal -1
	s_barrier_wait -1
	s_clause 0x9
	scratch_load_b128 v[4:7], off, off offset:352
	scratch_load_b128 v[8:11], off, off offset:368
	;; [unrolled: 1-line block ×10, first 2 shown]
	ds_load_b128 v[134:137], v2 offset:1056
	ds_load_b128 v[142:145], v2 offset:1072
	s_clause 0x2
	scratch_load_b128 v[138:141], off, off offset:512
	scratch_load_b128 v[146:149], off, off offset:336
	;; [unrolled: 1-line block ×3, first 2 shown]
	s_mov_b32 s2, exec_lo
	s_wait_loadcnt_dscnt 0xc01
	v_mul_f64_e32 v[154:155], v[136:137], v[6:7]
	v_mul_f64_e32 v[158:159], v[134:135], v[6:7]
	s_wait_loadcnt_dscnt 0xb00
	v_mul_f64_e32 v[160:161], v[142:143], v[10:11]
	v_mul_f64_e32 v[10:11], v[144:145], v[10:11]
	s_delay_alu instid0(VALU_DEP_4) | instskip(NEXT) | instid1(VALU_DEP_4)
	v_fma_f64 v[162:163], v[134:135], v[4:5], -v[154:155]
	v_fmac_f64_e32 v[158:159], v[136:137], v[4:5]
	ds_load_b128 v[4:7], v2 offset:1088
	ds_load_b128 v[134:137], v2 offset:1104
	scratch_load_b128 v[154:157], off, off offset:544
	v_fmac_f64_e32 v[160:161], v[144:145], v[8:9]
	v_fma_f64 v[142:143], v[142:143], v[8:9], -v[10:11]
	scratch_load_b128 v[8:11], off, off offset:560
	s_wait_loadcnt_dscnt 0xc01
	v_mul_f64_e32 v[164:165], v[4:5], v[14:15]
	v_mul_f64_e32 v[14:15], v[6:7], v[14:15]
	v_add_f64_e32 v[144:145], 0, v[162:163]
	v_add_f64_e32 v[158:159], 0, v[158:159]
	s_wait_loadcnt_dscnt 0xb00
	v_mul_f64_e32 v[162:163], v[134:135], v[108:109]
	v_mul_f64_e32 v[108:109], v[136:137], v[108:109]
	v_fmac_f64_e32 v[164:165], v[6:7], v[12:13]
	v_fma_f64 v[166:167], v[4:5], v[12:13], -v[14:15]
	ds_load_b128 v[4:7], v2 offset:1120
	ds_load_b128 v[12:15], v2 offset:1136
	v_add_f64_e32 v[168:169], v[144:145], v[142:143]
	v_add_f64_e32 v[158:159], v[158:159], v[160:161]
	scratch_load_b128 v[142:145], off, off offset:576
	v_fmac_f64_e32 v[162:163], v[136:137], v[106:107]
	v_fma_f64 v[134:135], v[134:135], v[106:107], -v[108:109]
	scratch_load_b128 v[106:109], off, off offset:592
	s_wait_loadcnt_dscnt 0xc01
	v_mul_f64_e32 v[160:161], v[4:5], v[112:113]
	v_mul_f64_e32 v[112:113], v[6:7], v[112:113]
	v_add_f64_e32 v[136:137], v[168:169], v[166:167]
	v_add_f64_e32 v[158:159], v[158:159], v[164:165]
	s_wait_loadcnt_dscnt 0xb00
	v_mul_f64_e32 v[164:165], v[12:13], v[116:117]
	v_mul_f64_e32 v[116:117], v[14:15], v[116:117]
	v_fmac_f64_e32 v[160:161], v[6:7], v[110:111]
	v_fma_f64 v[166:167], v[4:5], v[110:111], -v[112:113]
	ds_load_b128 v[4:7], v2 offset:1152
	ds_load_b128 v[110:113], v2 offset:1168
	v_add_f64_e32 v[168:169], v[136:137], v[134:135]
	v_add_f64_e32 v[158:159], v[158:159], v[162:163]
	scratch_load_b128 v[134:137], off, off offset:608
	s_wait_loadcnt_dscnt 0xb01
	v_mul_f64_e32 v[162:163], v[4:5], v[120:121]
	v_mul_f64_e32 v[120:121], v[6:7], v[120:121]
	v_fmac_f64_e32 v[164:165], v[14:15], v[114:115]
	v_fma_f64 v[114:115], v[12:13], v[114:115], -v[116:117]
	scratch_load_b128 v[12:15], off, off offset:624
	v_add_f64_e32 v[116:117], v[168:169], v[166:167]
	v_add_f64_e32 v[158:159], v[158:159], v[160:161]
	s_wait_loadcnt_dscnt 0xb00
	v_mul_f64_e32 v[160:161], v[110:111], v[124:125]
	v_mul_f64_e32 v[124:125], v[112:113], v[124:125]
	v_fmac_f64_e32 v[162:163], v[6:7], v[118:119]
	v_fma_f64 v[166:167], v[4:5], v[118:119], -v[120:121]
	v_add_f64_e32 v[168:169], v[116:117], v[114:115]
	v_add_f64_e32 v[158:159], v[158:159], v[164:165]
	ds_load_b128 v[4:7], v2 offset:1184
	ds_load_b128 v[114:117], v2 offset:1200
	scratch_load_b128 v[118:121], off, off offset:640
	v_fmac_f64_e32 v[160:161], v[112:113], v[122:123]
	v_fma_f64 v[122:123], v[110:111], v[122:123], -v[124:125]
	scratch_load_b128 v[110:113], off, off offset:656
	s_wait_loadcnt_dscnt 0xc01
	v_mul_f64_e32 v[164:165], v[4:5], v[128:129]
	v_mul_f64_e32 v[128:129], v[6:7], v[128:129]
	v_add_f64_e32 v[124:125], v[168:169], v[166:167]
	v_add_f64_e32 v[158:159], v[158:159], v[162:163]
	s_wait_loadcnt_dscnt 0xb00
	v_mul_f64_e32 v[162:163], v[114:115], v[132:133]
	v_mul_f64_e32 v[132:133], v[116:117], v[132:133]
	v_fmac_f64_e32 v[164:165], v[6:7], v[126:127]
	v_fma_f64 v[166:167], v[4:5], v[126:127], -v[128:129]
	v_add_f64_e32 v[168:169], v[124:125], v[122:123]
	v_add_f64_e32 v[158:159], v[158:159], v[160:161]
	ds_load_b128 v[4:7], v2 offset:1216
	ds_load_b128 v[122:125], v2 offset:1232
	scratch_load_b128 v[126:129], off, off offset:672
	v_fmac_f64_e32 v[162:163], v[116:117], v[130:131]
	v_fma_f64 v[130:131], v[114:115], v[130:131], -v[132:133]
	scratch_load_b128 v[114:117], off, off offset:688
	s_wait_loadcnt_dscnt 0xc01
	v_mul_f64_e32 v[160:161], v[4:5], v[140:141]
	v_mul_f64_e32 v[140:141], v[6:7], v[140:141]
	v_add_f64_e32 v[132:133], v[168:169], v[166:167]
	v_add_f64_e32 v[158:159], v[158:159], v[164:165]
	s_wait_loadcnt_dscnt 0xa00
	v_mul_f64_e32 v[164:165], v[122:123], v[152:153]
	v_mul_f64_e32 v[152:153], v[124:125], v[152:153]
	v_fmac_f64_e32 v[160:161], v[6:7], v[138:139]
	v_fma_f64 v[138:139], v[4:5], v[138:139], -v[140:141]
	v_add_f64_e32 v[140:141], v[132:133], v[130:131]
	v_add_f64_e32 v[158:159], v[158:159], v[162:163]
	ds_load_b128 v[4:7], v2 offset:1248
	ds_load_b128 v[130:133], v2 offset:1264
	v_fmac_f64_e32 v[164:165], v[124:125], v[150:151]
	v_fma_f64 v[122:123], v[122:123], v[150:151], -v[152:153]
	s_wait_loadcnt_dscnt 0x901
	v_mul_f64_e32 v[162:163], v[4:5], v[156:157]
	v_mul_f64_e32 v[156:157], v[6:7], v[156:157]
	v_add_f64_e32 v[124:125], v[140:141], v[138:139]
	v_add_f64_e32 v[138:139], v[158:159], v[160:161]
	s_wait_loadcnt_dscnt 0x800
	v_mul_f64_e32 v[140:141], v[130:131], v[10:11]
	v_mul_f64_e32 v[10:11], v[132:133], v[10:11]
	v_fmac_f64_e32 v[162:163], v[6:7], v[154:155]
	v_fma_f64 v[150:151], v[4:5], v[154:155], -v[156:157]
	v_add_f64_e32 v[152:153], v[124:125], v[122:123]
	v_add_f64_e32 v[138:139], v[138:139], v[164:165]
	ds_load_b128 v[4:7], v2 offset:1280
	ds_load_b128 v[122:125], v2 offset:1296
	v_fmac_f64_e32 v[140:141], v[132:133], v[8:9]
	v_fma_f64 v[8:9], v[130:131], v[8:9], -v[10:11]
	s_wait_loadcnt_dscnt 0x701
	v_mul_f64_e32 v[154:155], v[4:5], v[144:145]
	v_mul_f64_e32 v[144:145], v[6:7], v[144:145]
	s_wait_loadcnt_dscnt 0x600
	v_mul_f64_e32 v[132:133], v[122:123], v[108:109]
	v_mul_f64_e32 v[108:109], v[124:125], v[108:109]
	v_add_f64_e32 v[10:11], v[152:153], v[150:151]
	v_add_f64_e32 v[130:131], v[138:139], v[162:163]
	v_fmac_f64_e32 v[154:155], v[6:7], v[142:143]
	v_fma_f64 v[138:139], v[4:5], v[142:143], -v[144:145]
	v_fmac_f64_e32 v[132:133], v[124:125], v[106:107]
	v_fma_f64 v[106:107], v[122:123], v[106:107], -v[108:109]
	v_add_f64_e32 v[142:143], v[10:11], v[8:9]
	v_add_f64_e32 v[130:131], v[130:131], v[140:141]
	ds_load_b128 v[4:7], v2 offset:1312
	ds_load_b128 v[8:11], v2 offset:1328
	s_wait_loadcnt_dscnt 0x501
	v_mul_f64_e32 v[140:141], v[4:5], v[136:137]
	v_mul_f64_e32 v[136:137], v[6:7], v[136:137]
	s_wait_loadcnt_dscnt 0x400
	v_mul_f64_e32 v[124:125], v[8:9], v[14:15]
	v_mul_f64_e32 v[14:15], v[10:11], v[14:15]
	v_add_f64_e32 v[108:109], v[142:143], v[138:139]
	v_add_f64_e32 v[122:123], v[130:131], v[154:155]
	v_fmac_f64_e32 v[140:141], v[6:7], v[134:135]
	v_fma_f64 v[130:131], v[4:5], v[134:135], -v[136:137]
	v_fmac_f64_e32 v[124:125], v[10:11], v[12:13]
	v_fma_f64 v[8:9], v[8:9], v[12:13], -v[14:15]
	v_add_f64_e32 v[134:135], v[108:109], v[106:107]
	v_add_f64_e32 v[122:123], v[122:123], v[132:133]
	ds_load_b128 v[4:7], v2 offset:1344
	ds_load_b128 v[106:109], v2 offset:1360
	;; [unrolled: 16-line block ×3, first 2 shown]
	s_wait_loadcnt_dscnt 0x101
	v_mul_f64_e32 v[2:3], v[4:5], v[128:129]
	v_mul_f64_e32 v[122:123], v[6:7], v[128:129]
	s_wait_loadcnt_dscnt 0x0
	v_mul_f64_e32 v[110:111], v[8:9], v[116:117]
	v_mul_f64_e32 v[112:113], v[10:11], v[116:117]
	v_add_f64_e32 v[108:109], v[120:121], v[118:119]
	v_add_f64_e32 v[12:13], v[12:13], v[132:133]
	v_fmac_f64_e32 v[2:3], v[6:7], v[126:127]
	v_fma_f64 v[4:5], v[4:5], v[126:127], -v[122:123]
	v_fmac_f64_e32 v[110:111], v[10:11], v[114:115]
	v_fma_f64 v[8:9], v[8:9], v[114:115], -v[112:113]
	v_add_f64_e32 v[6:7], v[108:109], v[106:107]
	v_add_f64_e32 v[12:13], v[12:13], v[14:15]
	s_delay_alu instid0(VALU_DEP_2) | instskip(NEXT) | instid1(VALU_DEP_2)
	v_add_f64_e32 v[4:5], v[6:7], v[4:5]
	v_add_f64_e32 v[2:3], v[12:13], v[2:3]
	s_delay_alu instid0(VALU_DEP_2) | instskip(NEXT) | instid1(VALU_DEP_2)
	;; [unrolled: 3-line block ×3, first 2 shown]
	v_add_f64_e64 v[2:3], v[146:147], -v[4:5]
	v_add_f64_e64 v[4:5], v[148:149], -v[6:7]
	scratch_store_b128 off, v[2:5], off offset:336
	s_wait_xcnt 0x0
	v_cmpx_lt_u32_e32 20, v1
	s_cbranch_execz .LBB43_237
; %bb.236:
	scratch_load_b128 v[2:5], off, s39
	v_mov_b32_e32 v6, 0
	s_delay_alu instid0(VALU_DEP_1)
	v_dual_mov_b32 v7, v6 :: v_dual_mov_b32 v8, v6
	v_mov_b32_e32 v9, v6
	scratch_store_b128 off, v[6:9], off offset:320
	s_wait_loadcnt 0x0
	ds_store_b128 v104, v[2:5]
.LBB43_237:
	s_wait_xcnt 0x0
	s_or_b32 exec_lo, exec_lo, s2
	s_wait_storecnt_dscnt 0x0
	s_barrier_signal -1
	s_barrier_wait -1
	s_clause 0x9
	scratch_load_b128 v[4:7], off, off offset:336
	scratch_load_b128 v[8:11], off, off offset:352
	;; [unrolled: 1-line block ×10, first 2 shown]
	v_mov_b32_e32 v2, 0
	s_mov_b32 s2, exec_lo
	ds_load_b128 v[134:137], v2 offset:1040
	s_clause 0x2
	scratch_load_b128 v[138:141], off, off offset:496
	scratch_load_b128 v[142:145], off, off offset:320
	;; [unrolled: 1-line block ×3, first 2 shown]
	s_wait_loadcnt_dscnt 0xc00
	v_mul_f64_e32 v[154:155], v[136:137], v[6:7]
	v_mul_f64_e32 v[158:159], v[134:135], v[6:7]
	ds_load_b128 v[146:149], v2 offset:1056
	v_fma_f64 v[162:163], v[134:135], v[4:5], -v[154:155]
	v_fmac_f64_e32 v[158:159], v[136:137], v[4:5]
	ds_load_b128 v[4:7], v2 offset:1072
	s_wait_loadcnt_dscnt 0xb01
	v_mul_f64_e32 v[160:161], v[146:147], v[10:11]
	v_mul_f64_e32 v[10:11], v[148:149], v[10:11]
	scratch_load_b128 v[134:137], off, off offset:528
	ds_load_b128 v[154:157], v2 offset:1088
	s_wait_loadcnt_dscnt 0xb01
	v_mul_f64_e32 v[164:165], v[4:5], v[14:15]
	v_mul_f64_e32 v[14:15], v[6:7], v[14:15]
	v_add_f64_e32 v[158:159], 0, v[158:159]
	v_fmac_f64_e32 v[160:161], v[148:149], v[8:9]
	v_fma_f64 v[146:147], v[146:147], v[8:9], -v[10:11]
	v_add_f64_e32 v[148:149], 0, v[162:163]
	scratch_load_b128 v[8:11], off, off offset:544
	v_fmac_f64_e32 v[164:165], v[6:7], v[12:13]
	v_fma_f64 v[166:167], v[4:5], v[12:13], -v[14:15]
	ds_load_b128 v[4:7], v2 offset:1104
	s_wait_loadcnt_dscnt 0xb01
	v_mul_f64_e32 v[162:163], v[154:155], v[108:109]
	v_mul_f64_e32 v[108:109], v[156:157], v[108:109]
	scratch_load_b128 v[12:15], off, off offset:560
	v_add_f64_e32 v[158:159], v[158:159], v[160:161]
	v_add_f64_e32 v[168:169], v[148:149], v[146:147]
	ds_load_b128 v[146:149], v2 offset:1120
	s_wait_loadcnt_dscnt 0xb01
	v_mul_f64_e32 v[160:161], v[4:5], v[112:113]
	v_mul_f64_e32 v[112:113], v[6:7], v[112:113]
	v_fmac_f64_e32 v[162:163], v[156:157], v[106:107]
	v_fma_f64 v[154:155], v[154:155], v[106:107], -v[108:109]
	scratch_load_b128 v[106:109], off, off offset:576
	v_add_f64_e32 v[158:159], v[158:159], v[164:165]
	v_add_f64_e32 v[156:157], v[168:169], v[166:167]
	v_fmac_f64_e32 v[160:161], v[6:7], v[110:111]
	v_fma_f64 v[166:167], v[4:5], v[110:111], -v[112:113]
	ds_load_b128 v[4:7], v2 offset:1136
	s_wait_loadcnt_dscnt 0xb01
	v_mul_f64_e32 v[164:165], v[146:147], v[116:117]
	v_mul_f64_e32 v[116:117], v[148:149], v[116:117]
	scratch_load_b128 v[110:113], off, off offset:592
	v_add_f64_e32 v[158:159], v[158:159], v[162:163]
	s_wait_loadcnt_dscnt 0xb00
	v_mul_f64_e32 v[162:163], v[4:5], v[120:121]
	v_add_f64_e32 v[168:169], v[156:157], v[154:155]
	v_mul_f64_e32 v[120:121], v[6:7], v[120:121]
	ds_load_b128 v[154:157], v2 offset:1152
	v_fmac_f64_e32 v[164:165], v[148:149], v[114:115]
	v_fma_f64 v[146:147], v[146:147], v[114:115], -v[116:117]
	scratch_load_b128 v[114:117], off, off offset:608
	v_add_f64_e32 v[158:159], v[158:159], v[160:161]
	v_fmac_f64_e32 v[162:163], v[6:7], v[118:119]
	v_add_f64_e32 v[148:149], v[168:169], v[166:167]
	v_fma_f64 v[166:167], v[4:5], v[118:119], -v[120:121]
	ds_load_b128 v[4:7], v2 offset:1168
	s_wait_loadcnt_dscnt 0xb01
	v_mul_f64_e32 v[160:161], v[154:155], v[124:125]
	v_mul_f64_e32 v[124:125], v[156:157], v[124:125]
	scratch_load_b128 v[118:121], off, off offset:624
	v_add_f64_e32 v[158:159], v[158:159], v[164:165]
	s_wait_loadcnt_dscnt 0xb00
	v_mul_f64_e32 v[164:165], v[4:5], v[128:129]
	v_add_f64_e32 v[168:169], v[148:149], v[146:147]
	v_mul_f64_e32 v[128:129], v[6:7], v[128:129]
	ds_load_b128 v[146:149], v2 offset:1184
	v_fmac_f64_e32 v[160:161], v[156:157], v[122:123]
	v_fma_f64 v[154:155], v[154:155], v[122:123], -v[124:125]
	scratch_load_b128 v[122:125], off, off offset:640
	v_add_f64_e32 v[158:159], v[158:159], v[162:163]
	v_fmac_f64_e32 v[164:165], v[6:7], v[126:127]
	v_add_f64_e32 v[156:157], v[168:169], v[166:167]
	;; [unrolled: 18-line block ×3, first 2 shown]
	v_fma_f64 v[166:167], v[4:5], v[138:139], -v[140:141]
	ds_load_b128 v[4:7], v2 offset:1232
	s_wait_loadcnt_dscnt 0xa01
	v_mul_f64_e32 v[164:165], v[154:155], v[152:153]
	v_mul_f64_e32 v[152:153], v[156:157], v[152:153]
	scratch_load_b128 v[138:141], off, off offset:688
	v_add_f64_e32 v[158:159], v[158:159], v[162:163]
	v_add_f64_e32 v[168:169], v[148:149], v[146:147]
	s_wait_loadcnt_dscnt 0xa00
	v_mul_f64_e32 v[162:163], v[4:5], v[136:137]
	v_mul_f64_e32 v[136:137], v[6:7], v[136:137]
	v_fmac_f64_e32 v[164:165], v[156:157], v[150:151]
	v_fma_f64 v[150:151], v[154:155], v[150:151], -v[152:153]
	ds_load_b128 v[146:149], v2 offset:1248
	v_add_f64_e32 v[154:155], v[158:159], v[160:161]
	v_add_f64_e32 v[152:153], v[168:169], v[166:167]
	s_wait_loadcnt_dscnt 0x900
	v_mul_f64_e32 v[156:157], v[146:147], v[10:11]
	v_mul_f64_e32 v[10:11], v[148:149], v[10:11]
	v_fmac_f64_e32 v[162:163], v[6:7], v[134:135]
	v_fma_f64 v[158:159], v[4:5], v[134:135], -v[136:137]
	ds_load_b128 v[4:7], v2 offset:1264
	ds_load_b128 v[134:137], v2 offset:1280
	v_add_f64_e32 v[150:151], v[152:153], v[150:151]
	v_add_f64_e32 v[152:153], v[154:155], v[164:165]
	s_wait_loadcnt_dscnt 0x801
	v_mul_f64_e32 v[154:155], v[4:5], v[14:15]
	v_mul_f64_e32 v[14:15], v[6:7], v[14:15]
	v_fmac_f64_e32 v[156:157], v[148:149], v[8:9]
	v_fma_f64 v[8:9], v[146:147], v[8:9], -v[10:11]
	s_wait_loadcnt_dscnt 0x700
	v_mul_f64_e32 v[148:149], v[134:135], v[108:109]
	v_mul_f64_e32 v[108:109], v[136:137], v[108:109]
	v_add_f64_e32 v[10:11], v[150:151], v[158:159]
	v_add_f64_e32 v[146:147], v[152:153], v[162:163]
	v_fmac_f64_e32 v[154:155], v[6:7], v[12:13]
	v_fma_f64 v[12:13], v[4:5], v[12:13], -v[14:15]
	v_fmac_f64_e32 v[148:149], v[136:137], v[106:107]
	v_fma_f64 v[106:107], v[134:135], v[106:107], -v[108:109]
	v_add_f64_e32 v[14:15], v[10:11], v[8:9]
	v_add_f64_e32 v[146:147], v[146:147], v[156:157]
	ds_load_b128 v[4:7], v2 offset:1296
	ds_load_b128 v[8:11], v2 offset:1312
	s_wait_loadcnt_dscnt 0x601
	v_mul_f64_e32 v[150:151], v[4:5], v[112:113]
	v_mul_f64_e32 v[112:113], v[6:7], v[112:113]
	s_wait_loadcnt_dscnt 0x500
	v_mul_f64_e32 v[108:109], v[8:9], v[116:117]
	v_mul_f64_e32 v[116:117], v[10:11], v[116:117]
	v_add_f64_e32 v[12:13], v[14:15], v[12:13]
	v_add_f64_e32 v[14:15], v[146:147], v[154:155]
	v_fmac_f64_e32 v[150:151], v[6:7], v[110:111]
	v_fma_f64 v[110:111], v[4:5], v[110:111], -v[112:113]
	v_fmac_f64_e32 v[108:109], v[10:11], v[114:115]
	v_fma_f64 v[8:9], v[8:9], v[114:115], -v[116:117]
	v_add_f64_e32 v[106:107], v[12:13], v[106:107]
	v_add_f64_e32 v[112:113], v[14:15], v[148:149]
	ds_load_b128 v[4:7], v2 offset:1328
	ds_load_b128 v[12:15], v2 offset:1344
	s_wait_loadcnt_dscnt 0x401
	v_mul_f64_e32 v[134:135], v[4:5], v[120:121]
	v_mul_f64_e32 v[120:121], v[6:7], v[120:121]
	v_add_f64_e32 v[10:11], v[106:107], v[110:111]
	v_add_f64_e32 v[106:107], v[112:113], v[150:151]
	s_wait_loadcnt_dscnt 0x300
	v_mul_f64_e32 v[110:111], v[12:13], v[124:125]
	v_mul_f64_e32 v[112:113], v[14:15], v[124:125]
	v_fmac_f64_e32 v[134:135], v[6:7], v[118:119]
	v_fma_f64 v[114:115], v[4:5], v[118:119], -v[120:121]
	v_add_f64_e32 v[116:117], v[10:11], v[8:9]
	v_add_f64_e32 v[106:107], v[106:107], v[108:109]
	ds_load_b128 v[4:7], v2 offset:1360
	ds_load_b128 v[8:11], v2 offset:1376
	v_fmac_f64_e32 v[110:111], v[14:15], v[122:123]
	v_fma_f64 v[12:13], v[12:13], v[122:123], -v[112:113]
	s_wait_loadcnt_dscnt 0x201
	v_mul_f64_e32 v[108:109], v[4:5], v[128:129]
	v_mul_f64_e32 v[118:119], v[6:7], v[128:129]
	s_wait_loadcnt_dscnt 0x100
	v_mul_f64_e32 v[112:113], v[8:9], v[132:133]
	v_add_f64_e32 v[14:15], v[116:117], v[114:115]
	v_add_f64_e32 v[106:107], v[106:107], v[134:135]
	v_mul_f64_e32 v[114:115], v[10:11], v[132:133]
	v_fmac_f64_e32 v[108:109], v[6:7], v[126:127]
	v_fma_f64 v[116:117], v[4:5], v[126:127], -v[118:119]
	ds_load_b128 v[4:7], v2 offset:1392
	v_fmac_f64_e32 v[112:113], v[10:11], v[130:131]
	v_add_f64_e32 v[12:13], v[14:15], v[12:13]
	v_add_f64_e32 v[14:15], v[106:107], v[110:111]
	v_fma_f64 v[8:9], v[8:9], v[130:131], -v[114:115]
	s_wait_loadcnt_dscnt 0x0
	v_mul_f64_e32 v[106:107], v[4:5], v[140:141]
	v_mul_f64_e32 v[110:111], v[6:7], v[140:141]
	v_add_f64_e32 v[10:11], v[12:13], v[116:117]
	v_add_f64_e32 v[12:13], v[14:15], v[108:109]
	s_delay_alu instid0(VALU_DEP_4) | instskip(NEXT) | instid1(VALU_DEP_4)
	v_fmac_f64_e32 v[106:107], v[6:7], v[138:139]
	v_fma_f64 v[4:5], v[4:5], v[138:139], -v[110:111]
	s_delay_alu instid0(VALU_DEP_4) | instskip(NEXT) | instid1(VALU_DEP_4)
	v_add_f64_e32 v[6:7], v[10:11], v[8:9]
	v_add_f64_e32 v[8:9], v[12:13], v[112:113]
	s_delay_alu instid0(VALU_DEP_2) | instskip(NEXT) | instid1(VALU_DEP_2)
	v_add_f64_e32 v[4:5], v[6:7], v[4:5]
	v_add_f64_e32 v[6:7], v[8:9], v[106:107]
	s_delay_alu instid0(VALU_DEP_2) | instskip(NEXT) | instid1(VALU_DEP_2)
	v_add_f64_e64 v[4:5], v[142:143], -v[4:5]
	v_add_f64_e64 v[6:7], v[144:145], -v[6:7]
	scratch_store_b128 off, v[4:7], off offset:320
	s_wait_xcnt 0x0
	v_cmpx_lt_u32_e32 19, v1
	s_cbranch_execz .LBB43_239
; %bb.238:
	scratch_load_b128 v[6:9], off, s38
	v_dual_mov_b32 v3, v2 :: v_dual_mov_b32 v4, v2
	v_mov_b32_e32 v5, v2
	scratch_store_b128 off, v[2:5], off offset:304
	s_wait_loadcnt 0x0
	ds_store_b128 v104, v[6:9]
.LBB43_239:
	s_wait_xcnt 0x0
	s_or_b32 exec_lo, exec_lo, s2
	s_wait_storecnt_dscnt 0x0
	s_barrier_signal -1
	s_barrier_wait -1
	s_clause 0x9
	scratch_load_b128 v[4:7], off, off offset:320
	scratch_load_b128 v[8:11], off, off offset:336
	;; [unrolled: 1-line block ×10, first 2 shown]
	ds_load_b128 v[134:137], v2 offset:1024
	ds_load_b128 v[142:145], v2 offset:1040
	s_clause 0x2
	scratch_load_b128 v[138:141], off, off offset:480
	scratch_load_b128 v[146:149], off, off offset:304
	;; [unrolled: 1-line block ×3, first 2 shown]
	s_mov_b32 s2, exec_lo
	s_wait_loadcnt_dscnt 0xc01
	v_mul_f64_e32 v[154:155], v[136:137], v[6:7]
	v_mul_f64_e32 v[158:159], v[134:135], v[6:7]
	s_wait_loadcnt_dscnt 0xb00
	v_mul_f64_e32 v[160:161], v[142:143], v[10:11]
	v_mul_f64_e32 v[10:11], v[144:145], v[10:11]
	s_delay_alu instid0(VALU_DEP_4) | instskip(NEXT) | instid1(VALU_DEP_4)
	v_fma_f64 v[162:163], v[134:135], v[4:5], -v[154:155]
	v_fmac_f64_e32 v[158:159], v[136:137], v[4:5]
	ds_load_b128 v[4:7], v2 offset:1056
	ds_load_b128 v[134:137], v2 offset:1072
	scratch_load_b128 v[154:157], off, off offset:512
	v_fmac_f64_e32 v[160:161], v[144:145], v[8:9]
	v_fma_f64 v[142:143], v[142:143], v[8:9], -v[10:11]
	scratch_load_b128 v[8:11], off, off offset:528
	s_wait_loadcnt_dscnt 0xc01
	v_mul_f64_e32 v[164:165], v[4:5], v[14:15]
	v_mul_f64_e32 v[14:15], v[6:7], v[14:15]
	v_add_f64_e32 v[144:145], 0, v[162:163]
	v_add_f64_e32 v[158:159], 0, v[158:159]
	s_wait_loadcnt_dscnt 0xb00
	v_mul_f64_e32 v[162:163], v[134:135], v[108:109]
	v_mul_f64_e32 v[108:109], v[136:137], v[108:109]
	v_fmac_f64_e32 v[164:165], v[6:7], v[12:13]
	v_fma_f64 v[166:167], v[4:5], v[12:13], -v[14:15]
	ds_load_b128 v[4:7], v2 offset:1088
	ds_load_b128 v[12:15], v2 offset:1104
	v_add_f64_e32 v[168:169], v[144:145], v[142:143]
	v_add_f64_e32 v[158:159], v[158:159], v[160:161]
	scratch_load_b128 v[142:145], off, off offset:544
	v_fmac_f64_e32 v[162:163], v[136:137], v[106:107]
	v_fma_f64 v[134:135], v[134:135], v[106:107], -v[108:109]
	scratch_load_b128 v[106:109], off, off offset:560
	s_wait_loadcnt_dscnt 0xc01
	v_mul_f64_e32 v[160:161], v[4:5], v[112:113]
	v_mul_f64_e32 v[112:113], v[6:7], v[112:113]
	v_add_f64_e32 v[136:137], v[168:169], v[166:167]
	v_add_f64_e32 v[158:159], v[158:159], v[164:165]
	s_wait_loadcnt_dscnt 0xb00
	v_mul_f64_e32 v[164:165], v[12:13], v[116:117]
	v_mul_f64_e32 v[116:117], v[14:15], v[116:117]
	v_fmac_f64_e32 v[160:161], v[6:7], v[110:111]
	v_fma_f64 v[166:167], v[4:5], v[110:111], -v[112:113]
	ds_load_b128 v[4:7], v2 offset:1120
	ds_load_b128 v[110:113], v2 offset:1136
	v_add_f64_e32 v[168:169], v[136:137], v[134:135]
	v_add_f64_e32 v[158:159], v[158:159], v[162:163]
	scratch_load_b128 v[134:137], off, off offset:576
	s_wait_loadcnt_dscnt 0xb01
	v_mul_f64_e32 v[162:163], v[4:5], v[120:121]
	v_mul_f64_e32 v[120:121], v[6:7], v[120:121]
	v_fmac_f64_e32 v[164:165], v[14:15], v[114:115]
	v_fma_f64 v[114:115], v[12:13], v[114:115], -v[116:117]
	scratch_load_b128 v[12:15], off, off offset:592
	v_add_f64_e32 v[116:117], v[168:169], v[166:167]
	v_add_f64_e32 v[158:159], v[158:159], v[160:161]
	s_wait_loadcnt_dscnt 0xb00
	v_mul_f64_e32 v[160:161], v[110:111], v[124:125]
	v_mul_f64_e32 v[124:125], v[112:113], v[124:125]
	v_fmac_f64_e32 v[162:163], v[6:7], v[118:119]
	v_fma_f64 v[166:167], v[4:5], v[118:119], -v[120:121]
	v_add_f64_e32 v[168:169], v[116:117], v[114:115]
	v_add_f64_e32 v[158:159], v[158:159], v[164:165]
	ds_load_b128 v[4:7], v2 offset:1152
	ds_load_b128 v[114:117], v2 offset:1168
	scratch_load_b128 v[118:121], off, off offset:608
	v_fmac_f64_e32 v[160:161], v[112:113], v[122:123]
	v_fma_f64 v[122:123], v[110:111], v[122:123], -v[124:125]
	scratch_load_b128 v[110:113], off, off offset:624
	s_wait_loadcnt_dscnt 0xc01
	v_mul_f64_e32 v[164:165], v[4:5], v[128:129]
	v_mul_f64_e32 v[128:129], v[6:7], v[128:129]
	v_add_f64_e32 v[124:125], v[168:169], v[166:167]
	v_add_f64_e32 v[158:159], v[158:159], v[162:163]
	s_wait_loadcnt_dscnt 0xb00
	v_mul_f64_e32 v[162:163], v[114:115], v[132:133]
	v_mul_f64_e32 v[132:133], v[116:117], v[132:133]
	v_fmac_f64_e32 v[164:165], v[6:7], v[126:127]
	v_fma_f64 v[166:167], v[4:5], v[126:127], -v[128:129]
	v_add_f64_e32 v[168:169], v[124:125], v[122:123]
	v_add_f64_e32 v[158:159], v[158:159], v[160:161]
	ds_load_b128 v[4:7], v2 offset:1184
	ds_load_b128 v[122:125], v2 offset:1200
	scratch_load_b128 v[126:129], off, off offset:640
	v_fmac_f64_e32 v[162:163], v[116:117], v[130:131]
	v_fma_f64 v[130:131], v[114:115], v[130:131], -v[132:133]
	scratch_load_b128 v[114:117], off, off offset:656
	s_wait_loadcnt_dscnt 0xc01
	v_mul_f64_e32 v[160:161], v[4:5], v[140:141]
	v_mul_f64_e32 v[140:141], v[6:7], v[140:141]
	;; [unrolled: 18-line block ×3, first 2 shown]
	v_add_f64_e32 v[152:153], v[168:169], v[166:167]
	v_add_f64_e32 v[158:159], v[158:159], v[160:161]
	s_wait_loadcnt_dscnt 0xa00
	v_mul_f64_e32 v[160:161], v[130:131], v[10:11]
	v_mul_f64_e32 v[10:11], v[132:133], v[10:11]
	v_fmac_f64_e32 v[162:163], v[6:7], v[154:155]
	v_fma_f64 v[154:155], v[4:5], v[154:155], -v[156:157]
	v_add_f64_e32 v[156:157], v[152:153], v[150:151]
	v_add_f64_e32 v[158:159], v[158:159], v[164:165]
	ds_load_b128 v[4:7], v2 offset:1248
	ds_load_b128 v[150:153], v2 offset:1264
	v_fmac_f64_e32 v[160:161], v[132:133], v[8:9]
	v_fma_f64 v[8:9], v[130:131], v[8:9], -v[10:11]
	s_wait_loadcnt_dscnt 0x901
	v_mul_f64_e32 v[164:165], v[4:5], v[144:145]
	v_mul_f64_e32 v[144:145], v[6:7], v[144:145]
	s_wait_loadcnt_dscnt 0x800
	v_mul_f64_e32 v[132:133], v[150:151], v[108:109]
	v_mul_f64_e32 v[108:109], v[152:153], v[108:109]
	v_add_f64_e32 v[10:11], v[156:157], v[154:155]
	v_add_f64_e32 v[130:131], v[158:159], v[162:163]
	v_fmac_f64_e32 v[164:165], v[6:7], v[142:143]
	v_fma_f64 v[142:143], v[4:5], v[142:143], -v[144:145]
	v_fmac_f64_e32 v[132:133], v[152:153], v[106:107]
	v_fma_f64 v[106:107], v[150:151], v[106:107], -v[108:109]
	v_add_f64_e32 v[144:145], v[10:11], v[8:9]
	v_add_f64_e32 v[130:131], v[130:131], v[160:161]
	ds_load_b128 v[4:7], v2 offset:1280
	ds_load_b128 v[8:11], v2 offset:1296
	s_wait_loadcnt_dscnt 0x701
	v_mul_f64_e32 v[154:155], v[4:5], v[136:137]
	v_mul_f64_e32 v[136:137], v[6:7], v[136:137]
	v_add_f64_e32 v[108:109], v[144:145], v[142:143]
	v_add_f64_e32 v[130:131], v[130:131], v[164:165]
	s_wait_loadcnt_dscnt 0x600
	v_mul_f64_e32 v[142:143], v[8:9], v[14:15]
	v_mul_f64_e32 v[14:15], v[10:11], v[14:15]
	v_fmac_f64_e32 v[154:155], v[6:7], v[134:135]
	v_fma_f64 v[134:135], v[4:5], v[134:135], -v[136:137]
	v_add_f64_e32 v[136:137], v[108:109], v[106:107]
	v_add_f64_e32 v[130:131], v[130:131], v[132:133]
	ds_load_b128 v[4:7], v2 offset:1312
	ds_load_b128 v[106:109], v2 offset:1328
	v_fmac_f64_e32 v[142:143], v[10:11], v[12:13]
	v_fma_f64 v[8:9], v[8:9], v[12:13], -v[14:15]
	s_wait_loadcnt_dscnt 0x501
	v_mul_f64_e32 v[132:133], v[4:5], v[120:121]
	v_mul_f64_e32 v[120:121], v[6:7], v[120:121]
	s_wait_loadcnt_dscnt 0x400
	v_mul_f64_e32 v[14:15], v[106:107], v[112:113]
	v_mul_f64_e32 v[112:113], v[108:109], v[112:113]
	v_add_f64_e32 v[10:11], v[136:137], v[134:135]
	v_add_f64_e32 v[12:13], v[130:131], v[154:155]
	v_fmac_f64_e32 v[132:133], v[6:7], v[118:119]
	v_fma_f64 v[118:119], v[4:5], v[118:119], -v[120:121]
	v_fmac_f64_e32 v[14:15], v[108:109], v[110:111]
	v_fma_f64 v[106:107], v[106:107], v[110:111], -v[112:113]
	v_add_f64_e32 v[120:121], v[10:11], v[8:9]
	v_add_f64_e32 v[12:13], v[12:13], v[142:143]
	ds_load_b128 v[4:7], v2 offset:1344
	ds_load_b128 v[8:11], v2 offset:1360
	s_wait_loadcnt_dscnt 0x301
	v_mul_f64_e32 v[130:131], v[4:5], v[128:129]
	v_mul_f64_e32 v[128:129], v[6:7], v[128:129]
	s_wait_loadcnt_dscnt 0x200
	v_mul_f64_e32 v[110:111], v[8:9], v[116:117]
	v_mul_f64_e32 v[112:113], v[10:11], v[116:117]
	v_add_f64_e32 v[108:109], v[120:121], v[118:119]
	v_add_f64_e32 v[12:13], v[12:13], v[132:133]
	v_fmac_f64_e32 v[130:131], v[6:7], v[126:127]
	v_fma_f64 v[116:117], v[4:5], v[126:127], -v[128:129]
	v_fmac_f64_e32 v[110:111], v[10:11], v[114:115]
	v_fma_f64 v[8:9], v[8:9], v[114:115], -v[112:113]
	v_add_f64_e32 v[106:107], v[108:109], v[106:107]
	v_add_f64_e32 v[108:109], v[12:13], v[14:15]
	ds_load_b128 v[4:7], v2 offset:1376
	ds_load_b128 v[12:15], v2 offset:1392
	s_wait_loadcnt_dscnt 0x101
	v_mul_f64_e32 v[2:3], v[4:5], v[140:141]
	v_mul_f64_e32 v[118:119], v[6:7], v[140:141]
	s_wait_loadcnt_dscnt 0x0
	v_mul_f64_e32 v[112:113], v[14:15], v[124:125]
	v_add_f64_e32 v[10:11], v[106:107], v[116:117]
	v_add_f64_e32 v[106:107], v[108:109], v[130:131]
	v_mul_f64_e32 v[108:109], v[12:13], v[124:125]
	v_fmac_f64_e32 v[2:3], v[6:7], v[138:139]
	v_fma_f64 v[4:5], v[4:5], v[138:139], -v[118:119]
	v_add_f64_e32 v[6:7], v[10:11], v[8:9]
	v_add_f64_e32 v[8:9], v[106:107], v[110:111]
	v_fmac_f64_e32 v[108:109], v[14:15], v[122:123]
	v_fma_f64 v[10:11], v[12:13], v[122:123], -v[112:113]
	s_delay_alu instid0(VALU_DEP_4) | instskip(NEXT) | instid1(VALU_DEP_4)
	v_add_f64_e32 v[4:5], v[6:7], v[4:5]
	v_add_f64_e32 v[2:3], v[8:9], v[2:3]
	s_delay_alu instid0(VALU_DEP_2) | instskip(NEXT) | instid1(VALU_DEP_2)
	v_add_f64_e32 v[4:5], v[4:5], v[10:11]
	v_add_f64_e32 v[6:7], v[2:3], v[108:109]
	s_delay_alu instid0(VALU_DEP_2) | instskip(NEXT) | instid1(VALU_DEP_2)
	v_add_f64_e64 v[2:3], v[146:147], -v[4:5]
	v_add_f64_e64 v[4:5], v[148:149], -v[6:7]
	scratch_store_b128 off, v[2:5], off offset:304
	s_wait_xcnt 0x0
	v_cmpx_lt_u32_e32 18, v1
	s_cbranch_execz .LBB43_241
; %bb.240:
	scratch_load_b128 v[2:5], off, s36
	v_mov_b32_e32 v6, 0
	s_delay_alu instid0(VALU_DEP_1)
	v_dual_mov_b32 v7, v6 :: v_dual_mov_b32 v8, v6
	v_mov_b32_e32 v9, v6
	scratch_store_b128 off, v[6:9], off offset:288
	s_wait_loadcnt 0x0
	ds_store_b128 v104, v[2:5]
.LBB43_241:
	s_wait_xcnt 0x0
	s_or_b32 exec_lo, exec_lo, s2
	s_wait_storecnt_dscnt 0x0
	s_barrier_signal -1
	s_barrier_wait -1
	s_clause 0x9
	scratch_load_b128 v[4:7], off, off offset:304
	scratch_load_b128 v[8:11], off, off offset:320
	;; [unrolled: 1-line block ×10, first 2 shown]
	v_mov_b32_e32 v2, 0
	s_mov_b32 s2, exec_lo
	ds_load_b128 v[134:137], v2 offset:1008
	s_clause 0x2
	scratch_load_b128 v[138:141], off, off offset:464
	scratch_load_b128 v[142:145], off, off offset:288
	;; [unrolled: 1-line block ×3, first 2 shown]
	s_wait_loadcnt_dscnt 0xc00
	v_mul_f64_e32 v[154:155], v[136:137], v[6:7]
	v_mul_f64_e32 v[158:159], v[134:135], v[6:7]
	ds_load_b128 v[146:149], v2 offset:1024
	v_fma_f64 v[162:163], v[134:135], v[4:5], -v[154:155]
	v_fmac_f64_e32 v[158:159], v[136:137], v[4:5]
	ds_load_b128 v[4:7], v2 offset:1040
	s_wait_loadcnt_dscnt 0xb01
	v_mul_f64_e32 v[160:161], v[146:147], v[10:11]
	v_mul_f64_e32 v[10:11], v[148:149], v[10:11]
	scratch_load_b128 v[134:137], off, off offset:496
	ds_load_b128 v[154:157], v2 offset:1056
	s_wait_loadcnt_dscnt 0xb01
	v_mul_f64_e32 v[164:165], v[4:5], v[14:15]
	v_mul_f64_e32 v[14:15], v[6:7], v[14:15]
	v_add_f64_e32 v[158:159], 0, v[158:159]
	v_fmac_f64_e32 v[160:161], v[148:149], v[8:9]
	v_fma_f64 v[146:147], v[146:147], v[8:9], -v[10:11]
	v_add_f64_e32 v[148:149], 0, v[162:163]
	scratch_load_b128 v[8:11], off, off offset:512
	v_fmac_f64_e32 v[164:165], v[6:7], v[12:13]
	v_fma_f64 v[166:167], v[4:5], v[12:13], -v[14:15]
	ds_load_b128 v[4:7], v2 offset:1072
	s_wait_loadcnt_dscnt 0xb01
	v_mul_f64_e32 v[162:163], v[154:155], v[108:109]
	v_mul_f64_e32 v[108:109], v[156:157], v[108:109]
	scratch_load_b128 v[12:15], off, off offset:528
	v_add_f64_e32 v[158:159], v[158:159], v[160:161]
	v_add_f64_e32 v[168:169], v[148:149], v[146:147]
	ds_load_b128 v[146:149], v2 offset:1088
	s_wait_loadcnt_dscnt 0xb01
	v_mul_f64_e32 v[160:161], v[4:5], v[112:113]
	v_mul_f64_e32 v[112:113], v[6:7], v[112:113]
	v_fmac_f64_e32 v[162:163], v[156:157], v[106:107]
	v_fma_f64 v[154:155], v[154:155], v[106:107], -v[108:109]
	scratch_load_b128 v[106:109], off, off offset:544
	v_add_f64_e32 v[158:159], v[158:159], v[164:165]
	v_add_f64_e32 v[156:157], v[168:169], v[166:167]
	v_fmac_f64_e32 v[160:161], v[6:7], v[110:111]
	v_fma_f64 v[166:167], v[4:5], v[110:111], -v[112:113]
	ds_load_b128 v[4:7], v2 offset:1104
	s_wait_loadcnt_dscnt 0xb01
	v_mul_f64_e32 v[164:165], v[146:147], v[116:117]
	v_mul_f64_e32 v[116:117], v[148:149], v[116:117]
	scratch_load_b128 v[110:113], off, off offset:560
	v_add_f64_e32 v[158:159], v[158:159], v[162:163]
	s_wait_loadcnt_dscnt 0xb00
	v_mul_f64_e32 v[162:163], v[4:5], v[120:121]
	v_add_f64_e32 v[168:169], v[156:157], v[154:155]
	v_mul_f64_e32 v[120:121], v[6:7], v[120:121]
	ds_load_b128 v[154:157], v2 offset:1120
	v_fmac_f64_e32 v[164:165], v[148:149], v[114:115]
	v_fma_f64 v[146:147], v[146:147], v[114:115], -v[116:117]
	scratch_load_b128 v[114:117], off, off offset:576
	v_add_f64_e32 v[158:159], v[158:159], v[160:161]
	v_fmac_f64_e32 v[162:163], v[6:7], v[118:119]
	v_add_f64_e32 v[148:149], v[168:169], v[166:167]
	v_fma_f64 v[166:167], v[4:5], v[118:119], -v[120:121]
	ds_load_b128 v[4:7], v2 offset:1136
	s_wait_loadcnt_dscnt 0xb01
	v_mul_f64_e32 v[160:161], v[154:155], v[124:125]
	v_mul_f64_e32 v[124:125], v[156:157], v[124:125]
	scratch_load_b128 v[118:121], off, off offset:592
	v_add_f64_e32 v[158:159], v[158:159], v[164:165]
	s_wait_loadcnt_dscnt 0xb00
	v_mul_f64_e32 v[164:165], v[4:5], v[128:129]
	v_add_f64_e32 v[168:169], v[148:149], v[146:147]
	v_mul_f64_e32 v[128:129], v[6:7], v[128:129]
	ds_load_b128 v[146:149], v2 offset:1152
	v_fmac_f64_e32 v[160:161], v[156:157], v[122:123]
	v_fma_f64 v[154:155], v[154:155], v[122:123], -v[124:125]
	scratch_load_b128 v[122:125], off, off offset:608
	v_add_f64_e32 v[158:159], v[158:159], v[162:163]
	v_fmac_f64_e32 v[164:165], v[6:7], v[126:127]
	v_add_f64_e32 v[156:157], v[168:169], v[166:167]
	;; [unrolled: 18-line block ×3, first 2 shown]
	v_fma_f64 v[166:167], v[4:5], v[138:139], -v[140:141]
	ds_load_b128 v[4:7], v2 offset:1200
	s_wait_loadcnt_dscnt 0xa01
	v_mul_f64_e32 v[164:165], v[154:155], v[152:153]
	v_mul_f64_e32 v[152:153], v[156:157], v[152:153]
	scratch_load_b128 v[138:141], off, off offset:656
	v_add_f64_e32 v[158:159], v[158:159], v[162:163]
	v_add_f64_e32 v[168:169], v[148:149], v[146:147]
	s_wait_loadcnt_dscnt 0xa00
	v_mul_f64_e32 v[162:163], v[4:5], v[136:137]
	v_mul_f64_e32 v[136:137], v[6:7], v[136:137]
	v_fmac_f64_e32 v[164:165], v[156:157], v[150:151]
	v_fma_f64 v[154:155], v[154:155], v[150:151], -v[152:153]
	ds_load_b128 v[146:149], v2 offset:1216
	scratch_load_b128 v[150:153], off, off offset:672
	v_add_f64_e32 v[158:159], v[158:159], v[160:161]
	v_add_f64_e32 v[156:157], v[168:169], v[166:167]
	v_fmac_f64_e32 v[162:163], v[6:7], v[134:135]
	v_fma_f64 v[166:167], v[4:5], v[134:135], -v[136:137]
	ds_load_b128 v[4:7], v2 offset:1232
	s_wait_loadcnt_dscnt 0xa01
	v_mul_f64_e32 v[160:161], v[146:147], v[10:11]
	v_mul_f64_e32 v[10:11], v[148:149], v[10:11]
	scratch_load_b128 v[134:137], off, off offset:688
	v_add_f64_e32 v[158:159], v[158:159], v[164:165]
	s_wait_loadcnt_dscnt 0xa00
	v_mul_f64_e32 v[164:165], v[4:5], v[14:15]
	v_add_f64_e32 v[168:169], v[156:157], v[154:155]
	v_mul_f64_e32 v[14:15], v[6:7], v[14:15]
	ds_load_b128 v[154:157], v2 offset:1248
	v_fmac_f64_e32 v[160:161], v[148:149], v[8:9]
	v_fma_f64 v[8:9], v[146:147], v[8:9], -v[10:11]
	s_wait_loadcnt_dscnt 0x900
	v_mul_f64_e32 v[148:149], v[154:155], v[108:109]
	v_mul_f64_e32 v[108:109], v[156:157], v[108:109]
	v_add_f64_e32 v[146:147], v[158:159], v[162:163]
	v_fmac_f64_e32 v[164:165], v[6:7], v[12:13]
	v_add_f64_e32 v[10:11], v[168:169], v[166:167]
	v_fma_f64 v[12:13], v[4:5], v[12:13], -v[14:15]
	v_fmac_f64_e32 v[148:149], v[156:157], v[106:107]
	v_fma_f64 v[106:107], v[154:155], v[106:107], -v[108:109]
	v_add_f64_e32 v[146:147], v[146:147], v[160:161]
	v_add_f64_e32 v[14:15], v[10:11], v[8:9]
	ds_load_b128 v[4:7], v2 offset:1264
	ds_load_b128 v[8:11], v2 offset:1280
	s_wait_loadcnt_dscnt 0x801
	v_mul_f64_e32 v[158:159], v[4:5], v[112:113]
	v_mul_f64_e32 v[112:113], v[6:7], v[112:113]
	s_wait_loadcnt_dscnt 0x700
	v_mul_f64_e32 v[108:109], v[8:9], v[116:117]
	v_mul_f64_e32 v[116:117], v[10:11], v[116:117]
	v_add_f64_e32 v[12:13], v[14:15], v[12:13]
	v_add_f64_e32 v[14:15], v[146:147], v[164:165]
	v_fmac_f64_e32 v[158:159], v[6:7], v[110:111]
	v_fma_f64 v[110:111], v[4:5], v[110:111], -v[112:113]
	v_fmac_f64_e32 v[108:109], v[10:11], v[114:115]
	v_fma_f64 v[8:9], v[8:9], v[114:115], -v[116:117]
	v_add_f64_e32 v[106:107], v[12:13], v[106:107]
	v_add_f64_e32 v[112:113], v[14:15], v[148:149]
	ds_load_b128 v[4:7], v2 offset:1296
	ds_load_b128 v[12:15], v2 offset:1312
	s_wait_loadcnt_dscnt 0x601
	v_mul_f64_e32 v[146:147], v[4:5], v[120:121]
	v_mul_f64_e32 v[120:121], v[6:7], v[120:121]
	v_add_f64_e32 v[10:11], v[106:107], v[110:111]
	v_add_f64_e32 v[106:107], v[112:113], v[158:159]
	s_wait_loadcnt_dscnt 0x500
	v_mul_f64_e32 v[110:111], v[12:13], v[124:125]
	v_mul_f64_e32 v[112:113], v[14:15], v[124:125]
	v_fmac_f64_e32 v[146:147], v[6:7], v[118:119]
	v_fma_f64 v[114:115], v[4:5], v[118:119], -v[120:121]
	v_add_f64_e32 v[116:117], v[10:11], v[8:9]
	v_add_f64_e32 v[106:107], v[106:107], v[108:109]
	ds_load_b128 v[4:7], v2 offset:1328
	ds_load_b128 v[8:11], v2 offset:1344
	v_fmac_f64_e32 v[110:111], v[14:15], v[122:123]
	v_fma_f64 v[12:13], v[12:13], v[122:123], -v[112:113]
	s_wait_loadcnt_dscnt 0x401
	v_mul_f64_e32 v[108:109], v[4:5], v[128:129]
	v_mul_f64_e32 v[118:119], v[6:7], v[128:129]
	s_wait_loadcnt_dscnt 0x300
	v_mul_f64_e32 v[112:113], v[8:9], v[132:133]
	v_add_f64_e32 v[14:15], v[116:117], v[114:115]
	v_add_f64_e32 v[106:107], v[106:107], v[146:147]
	v_mul_f64_e32 v[114:115], v[10:11], v[132:133]
	v_fmac_f64_e32 v[108:109], v[6:7], v[126:127]
	v_fma_f64 v[116:117], v[4:5], v[126:127], -v[118:119]
	v_fmac_f64_e32 v[112:113], v[10:11], v[130:131]
	v_add_f64_e32 v[118:119], v[14:15], v[12:13]
	v_add_f64_e32 v[106:107], v[106:107], v[110:111]
	ds_load_b128 v[4:7], v2 offset:1360
	ds_load_b128 v[12:15], v2 offset:1376
	v_fma_f64 v[8:9], v[8:9], v[130:131], -v[114:115]
	s_wait_loadcnt_dscnt 0x201
	v_mul_f64_e32 v[110:111], v[4:5], v[140:141]
	v_mul_f64_e32 v[120:121], v[6:7], v[140:141]
	s_wait_loadcnt_dscnt 0x100
	v_mul_f64_e32 v[114:115], v[14:15], v[152:153]
	v_add_f64_e32 v[10:11], v[118:119], v[116:117]
	v_add_f64_e32 v[106:107], v[106:107], v[108:109]
	v_mul_f64_e32 v[108:109], v[12:13], v[152:153]
	v_fmac_f64_e32 v[110:111], v[6:7], v[138:139]
	v_fma_f64 v[116:117], v[4:5], v[138:139], -v[120:121]
	ds_load_b128 v[4:7], v2 offset:1392
	v_fma_f64 v[12:13], v[12:13], v[150:151], -v[114:115]
	v_add_f64_e32 v[8:9], v[10:11], v[8:9]
	v_add_f64_e32 v[10:11], v[106:107], v[112:113]
	v_fmac_f64_e32 v[108:109], v[14:15], v[150:151]
	s_wait_loadcnt_dscnt 0x0
	v_mul_f64_e32 v[106:107], v[4:5], v[136:137]
	v_mul_f64_e32 v[112:113], v[6:7], v[136:137]
	v_add_f64_e32 v[8:9], v[8:9], v[116:117]
	v_add_f64_e32 v[10:11], v[10:11], v[110:111]
	s_delay_alu instid0(VALU_DEP_4) | instskip(NEXT) | instid1(VALU_DEP_4)
	v_fmac_f64_e32 v[106:107], v[6:7], v[134:135]
	v_fma_f64 v[4:5], v[4:5], v[134:135], -v[112:113]
	s_delay_alu instid0(VALU_DEP_4) | instskip(NEXT) | instid1(VALU_DEP_4)
	v_add_f64_e32 v[6:7], v[8:9], v[12:13]
	v_add_f64_e32 v[8:9], v[10:11], v[108:109]
	s_delay_alu instid0(VALU_DEP_2) | instskip(NEXT) | instid1(VALU_DEP_2)
	v_add_f64_e32 v[4:5], v[6:7], v[4:5]
	v_add_f64_e32 v[6:7], v[8:9], v[106:107]
	s_delay_alu instid0(VALU_DEP_2) | instskip(NEXT) | instid1(VALU_DEP_2)
	v_add_f64_e64 v[4:5], v[142:143], -v[4:5]
	v_add_f64_e64 v[6:7], v[144:145], -v[6:7]
	scratch_store_b128 off, v[4:7], off offset:288
	s_wait_xcnt 0x0
	v_cmpx_lt_u32_e32 17, v1
	s_cbranch_execz .LBB43_243
; %bb.242:
	scratch_load_b128 v[6:9], off, s33
	v_dual_mov_b32 v3, v2 :: v_dual_mov_b32 v4, v2
	v_mov_b32_e32 v5, v2
	scratch_store_b128 off, v[2:5], off offset:272
	s_wait_loadcnt 0x0
	ds_store_b128 v104, v[6:9]
.LBB43_243:
	s_wait_xcnt 0x0
	s_or_b32 exec_lo, exec_lo, s2
	s_wait_storecnt_dscnt 0x0
	s_barrier_signal -1
	s_barrier_wait -1
	s_clause 0x9
	scratch_load_b128 v[4:7], off, off offset:288
	scratch_load_b128 v[8:11], off, off offset:304
	;; [unrolled: 1-line block ×10, first 2 shown]
	ds_load_b128 v[134:137], v2 offset:992
	ds_load_b128 v[142:145], v2 offset:1008
	s_clause 0x2
	scratch_load_b128 v[138:141], off, off offset:448
	scratch_load_b128 v[146:149], off, off offset:272
	;; [unrolled: 1-line block ×3, first 2 shown]
	s_mov_b32 s2, exec_lo
	s_wait_loadcnt_dscnt 0xc01
	v_mul_f64_e32 v[154:155], v[136:137], v[6:7]
	v_mul_f64_e32 v[158:159], v[134:135], v[6:7]
	s_wait_loadcnt_dscnt 0xb00
	v_mul_f64_e32 v[160:161], v[142:143], v[10:11]
	v_mul_f64_e32 v[10:11], v[144:145], v[10:11]
	s_delay_alu instid0(VALU_DEP_4) | instskip(NEXT) | instid1(VALU_DEP_4)
	v_fma_f64 v[162:163], v[134:135], v[4:5], -v[154:155]
	v_fmac_f64_e32 v[158:159], v[136:137], v[4:5]
	ds_load_b128 v[4:7], v2 offset:1024
	ds_load_b128 v[134:137], v2 offset:1040
	scratch_load_b128 v[154:157], off, off offset:480
	v_fmac_f64_e32 v[160:161], v[144:145], v[8:9]
	v_fma_f64 v[142:143], v[142:143], v[8:9], -v[10:11]
	scratch_load_b128 v[8:11], off, off offset:496
	s_wait_loadcnt_dscnt 0xc01
	v_mul_f64_e32 v[164:165], v[4:5], v[14:15]
	v_mul_f64_e32 v[14:15], v[6:7], v[14:15]
	v_add_f64_e32 v[144:145], 0, v[162:163]
	v_add_f64_e32 v[158:159], 0, v[158:159]
	s_wait_loadcnt_dscnt 0xb00
	v_mul_f64_e32 v[162:163], v[134:135], v[108:109]
	v_mul_f64_e32 v[108:109], v[136:137], v[108:109]
	v_fmac_f64_e32 v[164:165], v[6:7], v[12:13]
	v_fma_f64 v[166:167], v[4:5], v[12:13], -v[14:15]
	ds_load_b128 v[4:7], v2 offset:1056
	ds_load_b128 v[12:15], v2 offset:1072
	v_add_f64_e32 v[168:169], v[144:145], v[142:143]
	v_add_f64_e32 v[158:159], v[158:159], v[160:161]
	scratch_load_b128 v[142:145], off, off offset:512
	v_fmac_f64_e32 v[162:163], v[136:137], v[106:107]
	v_fma_f64 v[134:135], v[134:135], v[106:107], -v[108:109]
	scratch_load_b128 v[106:109], off, off offset:528
	s_wait_loadcnt_dscnt 0xc01
	v_mul_f64_e32 v[160:161], v[4:5], v[112:113]
	v_mul_f64_e32 v[112:113], v[6:7], v[112:113]
	v_add_f64_e32 v[136:137], v[168:169], v[166:167]
	v_add_f64_e32 v[158:159], v[158:159], v[164:165]
	s_wait_loadcnt_dscnt 0xb00
	v_mul_f64_e32 v[164:165], v[12:13], v[116:117]
	v_mul_f64_e32 v[116:117], v[14:15], v[116:117]
	v_fmac_f64_e32 v[160:161], v[6:7], v[110:111]
	v_fma_f64 v[166:167], v[4:5], v[110:111], -v[112:113]
	ds_load_b128 v[4:7], v2 offset:1088
	ds_load_b128 v[110:113], v2 offset:1104
	v_add_f64_e32 v[168:169], v[136:137], v[134:135]
	v_add_f64_e32 v[158:159], v[158:159], v[162:163]
	scratch_load_b128 v[134:137], off, off offset:544
	s_wait_loadcnt_dscnt 0xb01
	v_mul_f64_e32 v[162:163], v[4:5], v[120:121]
	v_mul_f64_e32 v[120:121], v[6:7], v[120:121]
	v_fmac_f64_e32 v[164:165], v[14:15], v[114:115]
	v_fma_f64 v[114:115], v[12:13], v[114:115], -v[116:117]
	scratch_load_b128 v[12:15], off, off offset:560
	v_add_f64_e32 v[116:117], v[168:169], v[166:167]
	v_add_f64_e32 v[158:159], v[158:159], v[160:161]
	s_wait_loadcnt_dscnt 0xb00
	v_mul_f64_e32 v[160:161], v[110:111], v[124:125]
	v_mul_f64_e32 v[124:125], v[112:113], v[124:125]
	v_fmac_f64_e32 v[162:163], v[6:7], v[118:119]
	v_fma_f64 v[166:167], v[4:5], v[118:119], -v[120:121]
	v_add_f64_e32 v[168:169], v[116:117], v[114:115]
	v_add_f64_e32 v[158:159], v[158:159], v[164:165]
	ds_load_b128 v[4:7], v2 offset:1120
	ds_load_b128 v[114:117], v2 offset:1136
	scratch_load_b128 v[118:121], off, off offset:576
	v_fmac_f64_e32 v[160:161], v[112:113], v[122:123]
	v_fma_f64 v[122:123], v[110:111], v[122:123], -v[124:125]
	scratch_load_b128 v[110:113], off, off offset:592
	s_wait_loadcnt_dscnt 0xc01
	v_mul_f64_e32 v[164:165], v[4:5], v[128:129]
	v_mul_f64_e32 v[128:129], v[6:7], v[128:129]
	v_add_f64_e32 v[124:125], v[168:169], v[166:167]
	v_add_f64_e32 v[158:159], v[158:159], v[162:163]
	s_wait_loadcnt_dscnt 0xb00
	v_mul_f64_e32 v[162:163], v[114:115], v[132:133]
	v_mul_f64_e32 v[132:133], v[116:117], v[132:133]
	v_fmac_f64_e32 v[164:165], v[6:7], v[126:127]
	v_fma_f64 v[166:167], v[4:5], v[126:127], -v[128:129]
	v_add_f64_e32 v[168:169], v[124:125], v[122:123]
	v_add_f64_e32 v[158:159], v[158:159], v[160:161]
	ds_load_b128 v[4:7], v2 offset:1152
	ds_load_b128 v[122:125], v2 offset:1168
	scratch_load_b128 v[126:129], off, off offset:608
	v_fmac_f64_e32 v[162:163], v[116:117], v[130:131]
	v_fma_f64 v[130:131], v[114:115], v[130:131], -v[132:133]
	scratch_load_b128 v[114:117], off, off offset:624
	s_wait_loadcnt_dscnt 0xc01
	v_mul_f64_e32 v[160:161], v[4:5], v[140:141]
	v_mul_f64_e32 v[140:141], v[6:7], v[140:141]
	;; [unrolled: 18-line block ×4, first 2 shown]
	v_add_f64_e32 v[132:133], v[168:169], v[166:167]
	v_add_f64_e32 v[158:159], v[158:159], v[162:163]
	s_wait_loadcnt_dscnt 0xa00
	v_mul_f64_e32 v[162:163], v[150:151], v[108:109]
	v_mul_f64_e32 v[108:109], v[152:153], v[108:109]
	v_fmac_f64_e32 v[164:165], v[6:7], v[142:143]
	v_fma_f64 v[142:143], v[4:5], v[142:143], -v[144:145]
	v_add_f64_e32 v[144:145], v[132:133], v[130:131]
	v_add_f64_e32 v[158:159], v[158:159], v[160:161]
	ds_load_b128 v[4:7], v2 offset:1248
	ds_load_b128 v[130:133], v2 offset:1264
	v_fmac_f64_e32 v[162:163], v[152:153], v[106:107]
	v_fma_f64 v[106:107], v[150:151], v[106:107], -v[108:109]
	s_wait_loadcnt_dscnt 0x901
	v_mul_f64_e32 v[160:161], v[4:5], v[136:137]
	v_mul_f64_e32 v[136:137], v[6:7], v[136:137]
	v_add_f64_e32 v[108:109], v[144:145], v[142:143]
	v_add_f64_e32 v[142:143], v[158:159], v[164:165]
	s_wait_loadcnt_dscnt 0x800
	v_mul_f64_e32 v[144:145], v[130:131], v[14:15]
	v_mul_f64_e32 v[14:15], v[132:133], v[14:15]
	v_fmac_f64_e32 v[160:161], v[6:7], v[134:135]
	v_fma_f64 v[134:135], v[4:5], v[134:135], -v[136:137]
	v_add_f64_e32 v[136:137], v[108:109], v[106:107]
	v_add_f64_e32 v[142:143], v[142:143], v[162:163]
	ds_load_b128 v[4:7], v2 offset:1280
	ds_load_b128 v[106:109], v2 offset:1296
	v_fmac_f64_e32 v[144:145], v[132:133], v[12:13]
	v_fma_f64 v[12:13], v[130:131], v[12:13], -v[14:15]
	s_wait_loadcnt_dscnt 0x701
	v_mul_f64_e32 v[150:151], v[4:5], v[120:121]
	v_mul_f64_e32 v[120:121], v[6:7], v[120:121]
	s_wait_loadcnt_dscnt 0x600
	v_mul_f64_e32 v[132:133], v[106:107], v[112:113]
	v_mul_f64_e32 v[112:113], v[108:109], v[112:113]
	v_add_f64_e32 v[14:15], v[136:137], v[134:135]
	v_add_f64_e32 v[130:131], v[142:143], v[160:161]
	v_fmac_f64_e32 v[150:151], v[6:7], v[118:119]
	v_fma_f64 v[118:119], v[4:5], v[118:119], -v[120:121]
	v_fmac_f64_e32 v[132:133], v[108:109], v[110:111]
	v_fma_f64 v[106:107], v[106:107], v[110:111], -v[112:113]
	v_add_f64_e32 v[120:121], v[14:15], v[12:13]
	v_add_f64_e32 v[130:131], v[130:131], v[144:145]
	ds_load_b128 v[4:7], v2 offset:1312
	ds_load_b128 v[12:15], v2 offset:1328
	s_wait_loadcnt_dscnt 0x501
	v_mul_f64_e32 v[134:135], v[4:5], v[128:129]
	v_mul_f64_e32 v[128:129], v[6:7], v[128:129]
	s_wait_loadcnt_dscnt 0x400
	v_mul_f64_e32 v[112:113], v[12:13], v[116:117]
	v_mul_f64_e32 v[116:117], v[14:15], v[116:117]
	v_add_f64_e32 v[108:109], v[120:121], v[118:119]
	v_add_f64_e32 v[110:111], v[130:131], v[150:151]
	v_fmac_f64_e32 v[134:135], v[6:7], v[126:127]
	v_fma_f64 v[118:119], v[4:5], v[126:127], -v[128:129]
	v_fmac_f64_e32 v[112:113], v[14:15], v[114:115]
	v_fma_f64 v[12:13], v[12:13], v[114:115], -v[116:117]
	v_add_f64_e32 v[120:121], v[108:109], v[106:107]
	v_add_f64_e32 v[110:111], v[110:111], v[132:133]
	ds_load_b128 v[4:7], v2 offset:1344
	ds_load_b128 v[106:109], v2 offset:1360
	;; [unrolled: 16-line block ×3, first 2 shown]
	s_wait_loadcnt_dscnt 0x101
	v_mul_f64_e32 v[2:3], v[4:5], v[156:157]
	v_mul_f64_e32 v[112:113], v[6:7], v[156:157]
	s_wait_loadcnt_dscnt 0x0
	v_mul_f64_e32 v[116:117], v[12:13], v[10:11]
	v_mul_f64_e32 v[10:11], v[14:15], v[10:11]
	v_add_f64_e32 v[108:109], v[120:121], v[118:119]
	v_add_f64_e32 v[110:111], v[110:111], v[126:127]
	v_fmac_f64_e32 v[2:3], v[6:7], v[154:155]
	v_fma_f64 v[4:5], v[4:5], v[154:155], -v[112:113]
	v_fmac_f64_e32 v[116:117], v[14:15], v[8:9]
	v_fma_f64 v[8:9], v[12:13], v[8:9], -v[10:11]
	v_add_f64_e32 v[6:7], v[108:109], v[106:107]
	v_add_f64_e32 v[106:107], v[110:111], v[114:115]
	s_delay_alu instid0(VALU_DEP_2) | instskip(NEXT) | instid1(VALU_DEP_2)
	v_add_f64_e32 v[4:5], v[6:7], v[4:5]
	v_add_f64_e32 v[2:3], v[106:107], v[2:3]
	s_delay_alu instid0(VALU_DEP_2) | instskip(NEXT) | instid1(VALU_DEP_2)
	;; [unrolled: 3-line block ×3, first 2 shown]
	v_add_f64_e64 v[2:3], v[146:147], -v[4:5]
	v_add_f64_e64 v[4:5], v[148:149], -v[6:7]
	scratch_store_b128 off, v[2:5], off offset:272
	s_wait_xcnt 0x0
	v_cmpx_lt_u32_e32 16, v1
	s_cbranch_execz .LBB43_245
; %bb.244:
	scratch_load_b128 v[2:5], off, s29
	v_mov_b32_e32 v6, 0
	s_delay_alu instid0(VALU_DEP_1)
	v_dual_mov_b32 v7, v6 :: v_dual_mov_b32 v8, v6
	v_mov_b32_e32 v9, v6
	scratch_store_b128 off, v[6:9], off offset:256
	s_wait_loadcnt 0x0
	ds_store_b128 v104, v[2:5]
.LBB43_245:
	s_wait_xcnt 0x0
	s_or_b32 exec_lo, exec_lo, s2
	s_wait_storecnt_dscnt 0x0
	s_barrier_signal -1
	s_barrier_wait -1
	s_clause 0x9
	scratch_load_b128 v[4:7], off, off offset:272
	scratch_load_b128 v[8:11], off, off offset:288
	;; [unrolled: 1-line block ×10, first 2 shown]
	v_mov_b32_e32 v2, 0
	s_mov_b32 s2, exec_lo
	ds_load_b128 v[134:137], v2 offset:976
	s_clause 0x2
	scratch_load_b128 v[138:141], off, off offset:432
	scratch_load_b128 v[142:145], off, off offset:256
	;; [unrolled: 1-line block ×3, first 2 shown]
	s_wait_loadcnt_dscnt 0xc00
	v_mul_f64_e32 v[154:155], v[136:137], v[6:7]
	v_mul_f64_e32 v[158:159], v[134:135], v[6:7]
	ds_load_b128 v[146:149], v2 offset:992
	v_fma_f64 v[162:163], v[134:135], v[4:5], -v[154:155]
	v_fmac_f64_e32 v[158:159], v[136:137], v[4:5]
	ds_load_b128 v[4:7], v2 offset:1008
	s_wait_loadcnt_dscnt 0xb01
	v_mul_f64_e32 v[160:161], v[146:147], v[10:11]
	v_mul_f64_e32 v[10:11], v[148:149], v[10:11]
	scratch_load_b128 v[134:137], off, off offset:464
	ds_load_b128 v[154:157], v2 offset:1024
	s_wait_loadcnt_dscnt 0xb01
	v_mul_f64_e32 v[164:165], v[4:5], v[14:15]
	v_mul_f64_e32 v[14:15], v[6:7], v[14:15]
	v_add_f64_e32 v[158:159], 0, v[158:159]
	v_fmac_f64_e32 v[160:161], v[148:149], v[8:9]
	v_fma_f64 v[146:147], v[146:147], v[8:9], -v[10:11]
	v_add_f64_e32 v[148:149], 0, v[162:163]
	scratch_load_b128 v[8:11], off, off offset:480
	v_fmac_f64_e32 v[164:165], v[6:7], v[12:13]
	v_fma_f64 v[166:167], v[4:5], v[12:13], -v[14:15]
	ds_load_b128 v[4:7], v2 offset:1040
	s_wait_loadcnt_dscnt 0xb01
	v_mul_f64_e32 v[162:163], v[154:155], v[108:109]
	v_mul_f64_e32 v[108:109], v[156:157], v[108:109]
	scratch_load_b128 v[12:15], off, off offset:496
	v_add_f64_e32 v[158:159], v[158:159], v[160:161]
	v_add_f64_e32 v[168:169], v[148:149], v[146:147]
	ds_load_b128 v[146:149], v2 offset:1056
	s_wait_loadcnt_dscnt 0xb01
	v_mul_f64_e32 v[160:161], v[4:5], v[112:113]
	v_mul_f64_e32 v[112:113], v[6:7], v[112:113]
	v_fmac_f64_e32 v[162:163], v[156:157], v[106:107]
	v_fma_f64 v[154:155], v[154:155], v[106:107], -v[108:109]
	scratch_load_b128 v[106:109], off, off offset:512
	v_add_f64_e32 v[158:159], v[158:159], v[164:165]
	v_add_f64_e32 v[156:157], v[168:169], v[166:167]
	v_fmac_f64_e32 v[160:161], v[6:7], v[110:111]
	v_fma_f64 v[166:167], v[4:5], v[110:111], -v[112:113]
	ds_load_b128 v[4:7], v2 offset:1072
	s_wait_loadcnt_dscnt 0xb01
	v_mul_f64_e32 v[164:165], v[146:147], v[116:117]
	v_mul_f64_e32 v[116:117], v[148:149], v[116:117]
	scratch_load_b128 v[110:113], off, off offset:528
	v_add_f64_e32 v[158:159], v[158:159], v[162:163]
	s_wait_loadcnt_dscnt 0xb00
	v_mul_f64_e32 v[162:163], v[4:5], v[120:121]
	v_add_f64_e32 v[168:169], v[156:157], v[154:155]
	v_mul_f64_e32 v[120:121], v[6:7], v[120:121]
	ds_load_b128 v[154:157], v2 offset:1088
	v_fmac_f64_e32 v[164:165], v[148:149], v[114:115]
	v_fma_f64 v[146:147], v[146:147], v[114:115], -v[116:117]
	scratch_load_b128 v[114:117], off, off offset:544
	v_add_f64_e32 v[158:159], v[158:159], v[160:161]
	v_fmac_f64_e32 v[162:163], v[6:7], v[118:119]
	v_add_f64_e32 v[148:149], v[168:169], v[166:167]
	v_fma_f64 v[166:167], v[4:5], v[118:119], -v[120:121]
	ds_load_b128 v[4:7], v2 offset:1104
	s_wait_loadcnt_dscnt 0xb01
	v_mul_f64_e32 v[160:161], v[154:155], v[124:125]
	v_mul_f64_e32 v[124:125], v[156:157], v[124:125]
	scratch_load_b128 v[118:121], off, off offset:560
	v_add_f64_e32 v[158:159], v[158:159], v[164:165]
	s_wait_loadcnt_dscnt 0xb00
	v_mul_f64_e32 v[164:165], v[4:5], v[128:129]
	v_add_f64_e32 v[168:169], v[148:149], v[146:147]
	v_mul_f64_e32 v[128:129], v[6:7], v[128:129]
	ds_load_b128 v[146:149], v2 offset:1120
	v_fmac_f64_e32 v[160:161], v[156:157], v[122:123]
	v_fma_f64 v[154:155], v[154:155], v[122:123], -v[124:125]
	scratch_load_b128 v[122:125], off, off offset:576
	v_add_f64_e32 v[158:159], v[158:159], v[162:163]
	v_fmac_f64_e32 v[164:165], v[6:7], v[126:127]
	v_add_f64_e32 v[156:157], v[168:169], v[166:167]
	;; [unrolled: 18-line block ×3, first 2 shown]
	v_fma_f64 v[166:167], v[4:5], v[138:139], -v[140:141]
	ds_load_b128 v[4:7], v2 offset:1168
	s_wait_loadcnt_dscnt 0xa01
	v_mul_f64_e32 v[164:165], v[154:155], v[152:153]
	v_mul_f64_e32 v[152:153], v[156:157], v[152:153]
	scratch_load_b128 v[138:141], off, off offset:624
	v_add_f64_e32 v[158:159], v[158:159], v[162:163]
	v_add_f64_e32 v[168:169], v[148:149], v[146:147]
	s_wait_loadcnt_dscnt 0xa00
	v_mul_f64_e32 v[162:163], v[4:5], v[136:137]
	v_mul_f64_e32 v[136:137], v[6:7], v[136:137]
	v_fmac_f64_e32 v[164:165], v[156:157], v[150:151]
	v_fma_f64 v[154:155], v[154:155], v[150:151], -v[152:153]
	ds_load_b128 v[146:149], v2 offset:1184
	scratch_load_b128 v[150:153], off, off offset:640
	v_add_f64_e32 v[158:159], v[158:159], v[160:161]
	v_add_f64_e32 v[156:157], v[168:169], v[166:167]
	v_fmac_f64_e32 v[162:163], v[6:7], v[134:135]
	v_fma_f64 v[166:167], v[4:5], v[134:135], -v[136:137]
	ds_load_b128 v[4:7], v2 offset:1200
	s_wait_loadcnt_dscnt 0xa01
	v_mul_f64_e32 v[160:161], v[146:147], v[10:11]
	v_mul_f64_e32 v[10:11], v[148:149], v[10:11]
	scratch_load_b128 v[134:137], off, off offset:656
	v_add_f64_e32 v[158:159], v[158:159], v[164:165]
	s_wait_loadcnt_dscnt 0xa00
	v_mul_f64_e32 v[164:165], v[4:5], v[14:15]
	v_add_f64_e32 v[168:169], v[156:157], v[154:155]
	v_mul_f64_e32 v[14:15], v[6:7], v[14:15]
	ds_load_b128 v[154:157], v2 offset:1216
	v_fmac_f64_e32 v[160:161], v[148:149], v[8:9]
	v_fma_f64 v[146:147], v[146:147], v[8:9], -v[10:11]
	scratch_load_b128 v[8:11], off, off offset:672
	v_add_f64_e32 v[158:159], v[158:159], v[162:163]
	v_fmac_f64_e32 v[164:165], v[6:7], v[12:13]
	v_add_f64_e32 v[148:149], v[168:169], v[166:167]
	v_fma_f64 v[166:167], v[4:5], v[12:13], -v[14:15]
	ds_load_b128 v[4:7], v2 offset:1232
	s_wait_loadcnt_dscnt 0xa01
	v_mul_f64_e32 v[162:163], v[154:155], v[108:109]
	v_mul_f64_e32 v[108:109], v[156:157], v[108:109]
	scratch_load_b128 v[12:15], off, off offset:688
	v_add_f64_e32 v[158:159], v[158:159], v[160:161]
	s_wait_loadcnt_dscnt 0xa00
	v_mul_f64_e32 v[160:161], v[4:5], v[112:113]
	v_add_f64_e32 v[168:169], v[148:149], v[146:147]
	v_mul_f64_e32 v[112:113], v[6:7], v[112:113]
	ds_load_b128 v[146:149], v2 offset:1248
	v_fmac_f64_e32 v[162:163], v[156:157], v[106:107]
	v_fma_f64 v[106:107], v[154:155], v[106:107], -v[108:109]
	s_wait_loadcnt_dscnt 0x900
	v_mul_f64_e32 v[156:157], v[146:147], v[116:117]
	v_mul_f64_e32 v[116:117], v[148:149], v[116:117]
	v_add_f64_e32 v[154:155], v[158:159], v[164:165]
	v_fmac_f64_e32 v[160:161], v[6:7], v[110:111]
	v_add_f64_e32 v[108:109], v[168:169], v[166:167]
	v_fma_f64 v[110:111], v[4:5], v[110:111], -v[112:113]
	v_fmac_f64_e32 v[156:157], v[148:149], v[114:115]
	v_fma_f64 v[114:115], v[146:147], v[114:115], -v[116:117]
	v_add_f64_e32 v[154:155], v[154:155], v[162:163]
	v_add_f64_e32 v[112:113], v[108:109], v[106:107]
	ds_load_b128 v[4:7], v2 offset:1264
	ds_load_b128 v[106:109], v2 offset:1280
	s_wait_loadcnt_dscnt 0x801
	v_mul_f64_e32 v[158:159], v[4:5], v[120:121]
	v_mul_f64_e32 v[120:121], v[6:7], v[120:121]
	s_wait_loadcnt_dscnt 0x700
	v_mul_f64_e32 v[116:117], v[106:107], v[124:125]
	v_mul_f64_e32 v[124:125], v[108:109], v[124:125]
	v_add_f64_e32 v[110:111], v[112:113], v[110:111]
	v_add_f64_e32 v[112:113], v[154:155], v[160:161]
	v_fmac_f64_e32 v[158:159], v[6:7], v[118:119]
	v_fma_f64 v[118:119], v[4:5], v[118:119], -v[120:121]
	v_fmac_f64_e32 v[116:117], v[108:109], v[122:123]
	v_fma_f64 v[106:107], v[106:107], v[122:123], -v[124:125]
	v_add_f64_e32 v[114:115], v[110:111], v[114:115]
	v_add_f64_e32 v[120:121], v[112:113], v[156:157]
	ds_load_b128 v[4:7], v2 offset:1296
	ds_load_b128 v[110:113], v2 offset:1312
	s_wait_loadcnt_dscnt 0x601
	v_mul_f64_e32 v[146:147], v[4:5], v[128:129]
	v_mul_f64_e32 v[128:129], v[6:7], v[128:129]
	v_add_f64_e32 v[108:109], v[114:115], v[118:119]
	v_add_f64_e32 v[114:115], v[120:121], v[158:159]
	s_wait_loadcnt_dscnt 0x500
	v_mul_f64_e32 v[118:119], v[110:111], v[132:133]
	v_mul_f64_e32 v[120:121], v[112:113], v[132:133]
	v_fmac_f64_e32 v[146:147], v[6:7], v[126:127]
	v_fma_f64 v[122:123], v[4:5], v[126:127], -v[128:129]
	v_add_f64_e32 v[124:125], v[108:109], v[106:107]
	v_add_f64_e32 v[114:115], v[114:115], v[116:117]
	ds_load_b128 v[4:7], v2 offset:1328
	ds_load_b128 v[106:109], v2 offset:1344
	v_fmac_f64_e32 v[118:119], v[112:113], v[130:131]
	v_fma_f64 v[110:111], v[110:111], v[130:131], -v[120:121]
	s_wait_loadcnt_dscnt 0x401
	v_mul_f64_e32 v[116:117], v[4:5], v[140:141]
	v_mul_f64_e32 v[126:127], v[6:7], v[140:141]
	s_wait_loadcnt_dscnt 0x300
	v_mul_f64_e32 v[120:121], v[106:107], v[152:153]
	v_add_f64_e32 v[112:113], v[124:125], v[122:123]
	v_add_f64_e32 v[114:115], v[114:115], v[146:147]
	v_mul_f64_e32 v[122:123], v[108:109], v[152:153]
	v_fmac_f64_e32 v[116:117], v[6:7], v[138:139]
	v_fma_f64 v[124:125], v[4:5], v[138:139], -v[126:127]
	v_fmac_f64_e32 v[120:121], v[108:109], v[150:151]
	v_add_f64_e32 v[126:127], v[112:113], v[110:111]
	v_add_f64_e32 v[114:115], v[114:115], v[118:119]
	ds_load_b128 v[4:7], v2 offset:1360
	ds_load_b128 v[110:113], v2 offset:1376
	v_fma_f64 v[106:107], v[106:107], v[150:151], -v[122:123]
	s_wait_loadcnt_dscnt 0x201
	v_mul_f64_e32 v[118:119], v[4:5], v[136:137]
	v_mul_f64_e32 v[128:129], v[6:7], v[136:137]
	v_add_f64_e32 v[108:109], v[126:127], v[124:125]
	v_add_f64_e32 v[114:115], v[114:115], v[116:117]
	s_wait_loadcnt_dscnt 0x100
	v_mul_f64_e32 v[116:117], v[110:111], v[10:11]
	v_mul_f64_e32 v[10:11], v[112:113], v[10:11]
	v_fmac_f64_e32 v[118:119], v[6:7], v[134:135]
	v_fma_f64 v[122:123], v[4:5], v[134:135], -v[128:129]
	ds_load_b128 v[4:7], v2 offset:1392
	v_add_f64_e32 v[106:107], v[108:109], v[106:107]
	v_add_f64_e32 v[108:109], v[114:115], v[120:121]
	v_fmac_f64_e32 v[116:117], v[112:113], v[8:9]
	v_fma_f64 v[8:9], v[110:111], v[8:9], -v[10:11]
	s_wait_loadcnt_dscnt 0x0
	v_mul_f64_e32 v[114:115], v[4:5], v[14:15]
	v_mul_f64_e32 v[14:15], v[6:7], v[14:15]
	v_add_f64_e32 v[10:11], v[106:107], v[122:123]
	v_add_f64_e32 v[106:107], v[108:109], v[118:119]
	s_delay_alu instid0(VALU_DEP_4) | instskip(NEXT) | instid1(VALU_DEP_4)
	v_fmac_f64_e32 v[114:115], v[6:7], v[12:13]
	v_fma_f64 v[4:5], v[4:5], v[12:13], -v[14:15]
	s_delay_alu instid0(VALU_DEP_4) | instskip(NEXT) | instid1(VALU_DEP_4)
	v_add_f64_e32 v[6:7], v[10:11], v[8:9]
	v_add_f64_e32 v[8:9], v[106:107], v[116:117]
	s_delay_alu instid0(VALU_DEP_2) | instskip(NEXT) | instid1(VALU_DEP_2)
	v_add_f64_e32 v[4:5], v[6:7], v[4:5]
	v_add_f64_e32 v[6:7], v[8:9], v[114:115]
	s_delay_alu instid0(VALU_DEP_2) | instskip(NEXT) | instid1(VALU_DEP_2)
	v_add_f64_e64 v[4:5], v[142:143], -v[4:5]
	v_add_f64_e64 v[6:7], v[144:145], -v[6:7]
	scratch_store_b128 off, v[4:7], off offset:256
	s_wait_xcnt 0x0
	v_cmpx_lt_u32_e32 15, v1
	s_cbranch_execz .LBB43_247
; %bb.246:
	scratch_load_b128 v[6:9], off, s50
	v_dual_mov_b32 v3, v2 :: v_dual_mov_b32 v4, v2
	v_mov_b32_e32 v5, v2
	scratch_store_b128 off, v[2:5], off offset:240
	s_wait_loadcnt 0x0
	ds_store_b128 v104, v[6:9]
.LBB43_247:
	s_wait_xcnt 0x0
	s_or_b32 exec_lo, exec_lo, s2
	s_wait_storecnt_dscnt 0x0
	s_barrier_signal -1
	s_barrier_wait -1
	s_clause 0x9
	scratch_load_b128 v[4:7], off, off offset:256
	scratch_load_b128 v[8:11], off, off offset:272
	;; [unrolled: 1-line block ×10, first 2 shown]
	ds_load_b128 v[134:137], v2 offset:960
	ds_load_b128 v[142:145], v2 offset:976
	s_clause 0x2
	scratch_load_b128 v[138:141], off, off offset:416
	scratch_load_b128 v[146:149], off, off offset:240
	;; [unrolled: 1-line block ×3, first 2 shown]
	s_mov_b32 s2, exec_lo
	s_wait_loadcnt_dscnt 0xc01
	v_mul_f64_e32 v[154:155], v[136:137], v[6:7]
	v_mul_f64_e32 v[158:159], v[134:135], v[6:7]
	s_wait_loadcnt_dscnt 0xb00
	v_mul_f64_e32 v[160:161], v[142:143], v[10:11]
	v_mul_f64_e32 v[10:11], v[144:145], v[10:11]
	s_delay_alu instid0(VALU_DEP_4) | instskip(NEXT) | instid1(VALU_DEP_4)
	v_fma_f64 v[162:163], v[134:135], v[4:5], -v[154:155]
	v_fmac_f64_e32 v[158:159], v[136:137], v[4:5]
	ds_load_b128 v[4:7], v2 offset:992
	ds_load_b128 v[134:137], v2 offset:1008
	scratch_load_b128 v[154:157], off, off offset:448
	v_fmac_f64_e32 v[160:161], v[144:145], v[8:9]
	v_fma_f64 v[142:143], v[142:143], v[8:9], -v[10:11]
	scratch_load_b128 v[8:11], off, off offset:464
	s_wait_loadcnt_dscnt 0xc01
	v_mul_f64_e32 v[164:165], v[4:5], v[14:15]
	v_mul_f64_e32 v[14:15], v[6:7], v[14:15]
	v_add_f64_e32 v[144:145], 0, v[162:163]
	v_add_f64_e32 v[158:159], 0, v[158:159]
	s_wait_loadcnt_dscnt 0xb00
	v_mul_f64_e32 v[162:163], v[134:135], v[108:109]
	v_mul_f64_e32 v[108:109], v[136:137], v[108:109]
	v_fmac_f64_e32 v[164:165], v[6:7], v[12:13]
	v_fma_f64 v[166:167], v[4:5], v[12:13], -v[14:15]
	ds_load_b128 v[4:7], v2 offset:1024
	ds_load_b128 v[12:15], v2 offset:1040
	v_add_f64_e32 v[168:169], v[144:145], v[142:143]
	v_add_f64_e32 v[158:159], v[158:159], v[160:161]
	scratch_load_b128 v[142:145], off, off offset:480
	v_fmac_f64_e32 v[162:163], v[136:137], v[106:107]
	v_fma_f64 v[134:135], v[134:135], v[106:107], -v[108:109]
	scratch_load_b128 v[106:109], off, off offset:496
	s_wait_loadcnt_dscnt 0xc01
	v_mul_f64_e32 v[160:161], v[4:5], v[112:113]
	v_mul_f64_e32 v[112:113], v[6:7], v[112:113]
	v_add_f64_e32 v[136:137], v[168:169], v[166:167]
	v_add_f64_e32 v[158:159], v[158:159], v[164:165]
	s_wait_loadcnt_dscnt 0xb00
	v_mul_f64_e32 v[164:165], v[12:13], v[116:117]
	v_mul_f64_e32 v[116:117], v[14:15], v[116:117]
	v_fmac_f64_e32 v[160:161], v[6:7], v[110:111]
	v_fma_f64 v[166:167], v[4:5], v[110:111], -v[112:113]
	ds_load_b128 v[4:7], v2 offset:1056
	ds_load_b128 v[110:113], v2 offset:1072
	v_add_f64_e32 v[168:169], v[136:137], v[134:135]
	v_add_f64_e32 v[158:159], v[158:159], v[162:163]
	scratch_load_b128 v[134:137], off, off offset:512
	s_wait_loadcnt_dscnt 0xb01
	v_mul_f64_e32 v[162:163], v[4:5], v[120:121]
	v_mul_f64_e32 v[120:121], v[6:7], v[120:121]
	v_fmac_f64_e32 v[164:165], v[14:15], v[114:115]
	v_fma_f64 v[114:115], v[12:13], v[114:115], -v[116:117]
	scratch_load_b128 v[12:15], off, off offset:528
	v_add_f64_e32 v[116:117], v[168:169], v[166:167]
	v_add_f64_e32 v[158:159], v[158:159], v[160:161]
	s_wait_loadcnt_dscnt 0xb00
	v_mul_f64_e32 v[160:161], v[110:111], v[124:125]
	v_mul_f64_e32 v[124:125], v[112:113], v[124:125]
	v_fmac_f64_e32 v[162:163], v[6:7], v[118:119]
	v_fma_f64 v[166:167], v[4:5], v[118:119], -v[120:121]
	v_add_f64_e32 v[168:169], v[116:117], v[114:115]
	v_add_f64_e32 v[158:159], v[158:159], v[164:165]
	ds_load_b128 v[4:7], v2 offset:1088
	ds_load_b128 v[114:117], v2 offset:1104
	scratch_load_b128 v[118:121], off, off offset:544
	v_fmac_f64_e32 v[160:161], v[112:113], v[122:123]
	v_fma_f64 v[122:123], v[110:111], v[122:123], -v[124:125]
	scratch_load_b128 v[110:113], off, off offset:560
	s_wait_loadcnt_dscnt 0xc01
	v_mul_f64_e32 v[164:165], v[4:5], v[128:129]
	v_mul_f64_e32 v[128:129], v[6:7], v[128:129]
	v_add_f64_e32 v[124:125], v[168:169], v[166:167]
	v_add_f64_e32 v[158:159], v[158:159], v[162:163]
	s_wait_loadcnt_dscnt 0xb00
	v_mul_f64_e32 v[162:163], v[114:115], v[132:133]
	v_mul_f64_e32 v[132:133], v[116:117], v[132:133]
	v_fmac_f64_e32 v[164:165], v[6:7], v[126:127]
	v_fma_f64 v[166:167], v[4:5], v[126:127], -v[128:129]
	v_add_f64_e32 v[168:169], v[124:125], v[122:123]
	v_add_f64_e32 v[158:159], v[158:159], v[160:161]
	ds_load_b128 v[4:7], v2 offset:1120
	ds_load_b128 v[122:125], v2 offset:1136
	scratch_load_b128 v[126:129], off, off offset:576
	v_fmac_f64_e32 v[162:163], v[116:117], v[130:131]
	v_fma_f64 v[130:131], v[114:115], v[130:131], -v[132:133]
	scratch_load_b128 v[114:117], off, off offset:592
	s_wait_loadcnt_dscnt 0xc01
	v_mul_f64_e32 v[160:161], v[4:5], v[140:141]
	v_mul_f64_e32 v[140:141], v[6:7], v[140:141]
	;; [unrolled: 18-line block ×5, first 2 shown]
	v_add_f64_e32 v[152:153], v[168:169], v[166:167]
	v_add_f64_e32 v[158:159], v[158:159], v[164:165]
	s_wait_loadcnt_dscnt 0xa00
	v_mul_f64_e32 v[164:165], v[130:131], v[14:15]
	v_mul_f64_e32 v[14:15], v[132:133], v[14:15]
	v_fmac_f64_e32 v[160:161], v[6:7], v[134:135]
	v_fma_f64 v[166:167], v[4:5], v[134:135], -v[136:137]
	ds_load_b128 v[4:7], v2 offset:1248
	ds_load_b128 v[134:137], v2 offset:1264
	v_add_f64_e32 v[150:151], v[152:153], v[150:151]
	v_add_f64_e32 v[152:153], v[158:159], v[162:163]
	v_fmac_f64_e32 v[164:165], v[132:133], v[12:13]
	v_fma_f64 v[12:13], v[130:131], v[12:13], -v[14:15]
	s_wait_loadcnt_dscnt 0x901
	v_mul_f64_e32 v[158:159], v[4:5], v[120:121]
	v_mul_f64_e32 v[120:121], v[6:7], v[120:121]
	s_wait_loadcnt_dscnt 0x800
	v_mul_f64_e32 v[132:133], v[134:135], v[112:113]
	v_mul_f64_e32 v[112:113], v[136:137], v[112:113]
	v_add_f64_e32 v[14:15], v[150:151], v[166:167]
	v_add_f64_e32 v[130:131], v[152:153], v[160:161]
	v_fmac_f64_e32 v[158:159], v[6:7], v[118:119]
	v_fma_f64 v[118:119], v[4:5], v[118:119], -v[120:121]
	v_fmac_f64_e32 v[132:133], v[136:137], v[110:111]
	v_fma_f64 v[110:111], v[134:135], v[110:111], -v[112:113]
	v_add_f64_e32 v[120:121], v[14:15], v[12:13]
	v_add_f64_e32 v[130:131], v[130:131], v[164:165]
	ds_load_b128 v[4:7], v2 offset:1280
	ds_load_b128 v[12:15], v2 offset:1296
	s_wait_loadcnt_dscnt 0x701
	v_mul_f64_e32 v[150:151], v[4:5], v[128:129]
	v_mul_f64_e32 v[128:129], v[6:7], v[128:129]
	v_add_f64_e32 v[112:113], v[120:121], v[118:119]
	v_add_f64_e32 v[118:119], v[130:131], v[158:159]
	s_wait_loadcnt_dscnt 0x600
	v_mul_f64_e32 v[120:121], v[12:13], v[116:117]
	v_mul_f64_e32 v[116:117], v[14:15], v[116:117]
	v_fmac_f64_e32 v[150:151], v[6:7], v[126:127]
	v_fma_f64 v[126:127], v[4:5], v[126:127], -v[128:129]
	v_add_f64_e32 v[128:129], v[112:113], v[110:111]
	v_add_f64_e32 v[118:119], v[118:119], v[132:133]
	ds_load_b128 v[4:7], v2 offset:1312
	ds_load_b128 v[110:113], v2 offset:1328
	v_fmac_f64_e32 v[120:121], v[14:15], v[114:115]
	v_fma_f64 v[12:13], v[12:13], v[114:115], -v[116:117]
	s_wait_loadcnt_dscnt 0x501
	v_mul_f64_e32 v[130:131], v[4:5], v[140:141]
	v_mul_f64_e32 v[132:133], v[6:7], v[140:141]
	s_wait_loadcnt_dscnt 0x400
	v_mul_f64_e32 v[116:117], v[110:111], v[124:125]
	v_add_f64_e32 v[14:15], v[128:129], v[126:127]
	v_add_f64_e32 v[114:115], v[118:119], v[150:151]
	v_mul_f64_e32 v[118:119], v[112:113], v[124:125]
	v_fmac_f64_e32 v[130:131], v[6:7], v[138:139]
	v_fma_f64 v[124:125], v[4:5], v[138:139], -v[132:133]
	v_fmac_f64_e32 v[116:117], v[112:113], v[122:123]
	v_add_f64_e32 v[126:127], v[14:15], v[12:13]
	v_add_f64_e32 v[114:115], v[114:115], v[120:121]
	ds_load_b128 v[4:7], v2 offset:1344
	ds_load_b128 v[12:15], v2 offset:1360
	v_fma_f64 v[110:111], v[110:111], v[122:123], -v[118:119]
	s_wait_loadcnt_dscnt 0x301
	v_mul_f64_e32 v[120:121], v[4:5], v[156:157]
	v_mul_f64_e32 v[128:129], v[6:7], v[156:157]
	s_wait_loadcnt_dscnt 0x200
	v_mul_f64_e32 v[118:119], v[12:13], v[10:11]
	v_mul_f64_e32 v[10:11], v[14:15], v[10:11]
	v_add_f64_e32 v[112:113], v[126:127], v[124:125]
	v_add_f64_e32 v[114:115], v[114:115], v[130:131]
	v_fmac_f64_e32 v[120:121], v[6:7], v[154:155]
	v_fma_f64 v[122:123], v[4:5], v[154:155], -v[128:129]
	v_fmac_f64_e32 v[118:119], v[14:15], v[8:9]
	v_fma_f64 v[8:9], v[12:13], v[8:9], -v[10:11]
	v_add_f64_e32 v[124:125], v[112:113], v[110:111]
	v_add_f64_e32 v[114:115], v[114:115], v[116:117]
	ds_load_b128 v[4:7], v2 offset:1376
	ds_load_b128 v[110:113], v2 offset:1392
	s_wait_loadcnt_dscnt 0x101
	v_mul_f64_e32 v[2:3], v[4:5], v[144:145]
	v_mul_f64_e32 v[116:117], v[6:7], v[144:145]
	s_wait_loadcnt_dscnt 0x0
	v_mul_f64_e32 v[14:15], v[110:111], v[108:109]
	v_mul_f64_e32 v[108:109], v[112:113], v[108:109]
	v_add_f64_e32 v[10:11], v[124:125], v[122:123]
	v_add_f64_e32 v[12:13], v[114:115], v[120:121]
	v_fmac_f64_e32 v[2:3], v[6:7], v[142:143]
	v_fma_f64 v[4:5], v[4:5], v[142:143], -v[116:117]
	v_fmac_f64_e32 v[14:15], v[112:113], v[106:107]
	v_add_f64_e32 v[6:7], v[10:11], v[8:9]
	v_add_f64_e32 v[8:9], v[12:13], v[118:119]
	v_fma_f64 v[10:11], v[110:111], v[106:107], -v[108:109]
	s_delay_alu instid0(VALU_DEP_3) | instskip(NEXT) | instid1(VALU_DEP_3)
	v_add_f64_e32 v[4:5], v[6:7], v[4:5]
	v_add_f64_e32 v[2:3], v[8:9], v[2:3]
	s_delay_alu instid0(VALU_DEP_2) | instskip(NEXT) | instid1(VALU_DEP_2)
	v_add_f64_e32 v[4:5], v[4:5], v[10:11]
	v_add_f64_e32 v[6:7], v[2:3], v[14:15]
	s_delay_alu instid0(VALU_DEP_2) | instskip(NEXT) | instid1(VALU_DEP_2)
	v_add_f64_e64 v[2:3], v[146:147], -v[4:5]
	v_add_f64_e64 v[4:5], v[148:149], -v[6:7]
	scratch_store_b128 off, v[2:5], off offset:240
	s_wait_xcnt 0x0
	v_cmpx_lt_u32_e32 14, v1
	s_cbranch_execz .LBB43_249
; %bb.248:
	scratch_load_b128 v[2:5], off, s55
	v_mov_b32_e32 v6, 0
	s_delay_alu instid0(VALU_DEP_1)
	v_dual_mov_b32 v7, v6 :: v_dual_mov_b32 v8, v6
	v_mov_b32_e32 v9, v6
	scratch_store_b128 off, v[6:9], off offset:224
	s_wait_loadcnt 0x0
	ds_store_b128 v104, v[2:5]
.LBB43_249:
	s_wait_xcnt 0x0
	s_or_b32 exec_lo, exec_lo, s2
	s_wait_storecnt_dscnt 0x0
	s_barrier_signal -1
	s_barrier_wait -1
	s_clause 0x9
	scratch_load_b128 v[4:7], off, off offset:240
	scratch_load_b128 v[8:11], off, off offset:256
	;; [unrolled: 1-line block ×10, first 2 shown]
	v_mov_b32_e32 v2, 0
	s_mov_b32 s2, exec_lo
	ds_load_b128 v[134:137], v2 offset:944
	s_clause 0x2
	scratch_load_b128 v[138:141], off, off offset:400
	scratch_load_b128 v[142:145], off, off offset:224
	scratch_load_b128 v[150:153], off, off offset:416
	s_wait_loadcnt_dscnt 0xc00
	v_mul_f64_e32 v[154:155], v[136:137], v[6:7]
	v_mul_f64_e32 v[158:159], v[134:135], v[6:7]
	ds_load_b128 v[146:149], v2 offset:960
	v_fma_f64 v[162:163], v[134:135], v[4:5], -v[154:155]
	v_fmac_f64_e32 v[158:159], v[136:137], v[4:5]
	ds_load_b128 v[4:7], v2 offset:976
	s_wait_loadcnt_dscnt 0xb01
	v_mul_f64_e32 v[160:161], v[146:147], v[10:11]
	v_mul_f64_e32 v[10:11], v[148:149], v[10:11]
	scratch_load_b128 v[134:137], off, off offset:432
	ds_load_b128 v[154:157], v2 offset:992
	s_wait_loadcnt_dscnt 0xb01
	v_mul_f64_e32 v[164:165], v[4:5], v[14:15]
	v_mul_f64_e32 v[14:15], v[6:7], v[14:15]
	v_add_f64_e32 v[158:159], 0, v[158:159]
	v_fmac_f64_e32 v[160:161], v[148:149], v[8:9]
	v_fma_f64 v[146:147], v[146:147], v[8:9], -v[10:11]
	v_add_f64_e32 v[148:149], 0, v[162:163]
	scratch_load_b128 v[8:11], off, off offset:448
	v_fmac_f64_e32 v[164:165], v[6:7], v[12:13]
	v_fma_f64 v[166:167], v[4:5], v[12:13], -v[14:15]
	ds_load_b128 v[4:7], v2 offset:1008
	s_wait_loadcnt_dscnt 0xb01
	v_mul_f64_e32 v[162:163], v[154:155], v[108:109]
	v_mul_f64_e32 v[108:109], v[156:157], v[108:109]
	scratch_load_b128 v[12:15], off, off offset:464
	v_add_f64_e32 v[158:159], v[158:159], v[160:161]
	v_add_f64_e32 v[168:169], v[148:149], v[146:147]
	ds_load_b128 v[146:149], v2 offset:1024
	s_wait_loadcnt_dscnt 0xb01
	v_mul_f64_e32 v[160:161], v[4:5], v[112:113]
	v_mul_f64_e32 v[112:113], v[6:7], v[112:113]
	v_fmac_f64_e32 v[162:163], v[156:157], v[106:107]
	v_fma_f64 v[154:155], v[154:155], v[106:107], -v[108:109]
	scratch_load_b128 v[106:109], off, off offset:480
	v_add_f64_e32 v[158:159], v[158:159], v[164:165]
	v_add_f64_e32 v[156:157], v[168:169], v[166:167]
	v_fmac_f64_e32 v[160:161], v[6:7], v[110:111]
	v_fma_f64 v[166:167], v[4:5], v[110:111], -v[112:113]
	ds_load_b128 v[4:7], v2 offset:1040
	s_wait_loadcnt_dscnt 0xb01
	v_mul_f64_e32 v[164:165], v[146:147], v[116:117]
	v_mul_f64_e32 v[116:117], v[148:149], v[116:117]
	scratch_load_b128 v[110:113], off, off offset:496
	v_add_f64_e32 v[158:159], v[158:159], v[162:163]
	s_wait_loadcnt_dscnt 0xb00
	v_mul_f64_e32 v[162:163], v[4:5], v[120:121]
	v_add_f64_e32 v[168:169], v[156:157], v[154:155]
	v_mul_f64_e32 v[120:121], v[6:7], v[120:121]
	ds_load_b128 v[154:157], v2 offset:1056
	v_fmac_f64_e32 v[164:165], v[148:149], v[114:115]
	v_fma_f64 v[146:147], v[146:147], v[114:115], -v[116:117]
	scratch_load_b128 v[114:117], off, off offset:512
	v_add_f64_e32 v[158:159], v[158:159], v[160:161]
	v_fmac_f64_e32 v[162:163], v[6:7], v[118:119]
	v_add_f64_e32 v[148:149], v[168:169], v[166:167]
	v_fma_f64 v[166:167], v[4:5], v[118:119], -v[120:121]
	ds_load_b128 v[4:7], v2 offset:1072
	s_wait_loadcnt_dscnt 0xb01
	v_mul_f64_e32 v[160:161], v[154:155], v[124:125]
	v_mul_f64_e32 v[124:125], v[156:157], v[124:125]
	scratch_load_b128 v[118:121], off, off offset:528
	v_add_f64_e32 v[158:159], v[158:159], v[164:165]
	s_wait_loadcnt_dscnt 0xb00
	v_mul_f64_e32 v[164:165], v[4:5], v[128:129]
	v_add_f64_e32 v[168:169], v[148:149], v[146:147]
	v_mul_f64_e32 v[128:129], v[6:7], v[128:129]
	ds_load_b128 v[146:149], v2 offset:1088
	v_fmac_f64_e32 v[160:161], v[156:157], v[122:123]
	v_fma_f64 v[154:155], v[154:155], v[122:123], -v[124:125]
	scratch_load_b128 v[122:125], off, off offset:544
	v_add_f64_e32 v[158:159], v[158:159], v[162:163]
	v_fmac_f64_e32 v[164:165], v[6:7], v[126:127]
	v_add_f64_e32 v[156:157], v[168:169], v[166:167]
	;; [unrolled: 18-line block ×3, first 2 shown]
	v_fma_f64 v[166:167], v[4:5], v[138:139], -v[140:141]
	ds_load_b128 v[4:7], v2 offset:1136
	s_wait_loadcnt_dscnt 0xa01
	v_mul_f64_e32 v[164:165], v[154:155], v[152:153]
	v_mul_f64_e32 v[152:153], v[156:157], v[152:153]
	scratch_load_b128 v[138:141], off, off offset:592
	v_add_f64_e32 v[158:159], v[158:159], v[162:163]
	v_add_f64_e32 v[168:169], v[148:149], v[146:147]
	s_wait_loadcnt_dscnt 0xa00
	v_mul_f64_e32 v[162:163], v[4:5], v[136:137]
	v_mul_f64_e32 v[136:137], v[6:7], v[136:137]
	v_fmac_f64_e32 v[164:165], v[156:157], v[150:151]
	v_fma_f64 v[154:155], v[154:155], v[150:151], -v[152:153]
	ds_load_b128 v[146:149], v2 offset:1152
	scratch_load_b128 v[150:153], off, off offset:608
	v_add_f64_e32 v[158:159], v[158:159], v[160:161]
	v_add_f64_e32 v[156:157], v[168:169], v[166:167]
	v_fmac_f64_e32 v[162:163], v[6:7], v[134:135]
	v_fma_f64 v[166:167], v[4:5], v[134:135], -v[136:137]
	ds_load_b128 v[4:7], v2 offset:1168
	s_wait_loadcnt_dscnt 0xa01
	v_mul_f64_e32 v[160:161], v[146:147], v[10:11]
	v_mul_f64_e32 v[10:11], v[148:149], v[10:11]
	scratch_load_b128 v[134:137], off, off offset:624
	v_add_f64_e32 v[158:159], v[158:159], v[164:165]
	s_wait_loadcnt_dscnt 0xa00
	v_mul_f64_e32 v[164:165], v[4:5], v[14:15]
	v_add_f64_e32 v[168:169], v[156:157], v[154:155]
	v_mul_f64_e32 v[14:15], v[6:7], v[14:15]
	ds_load_b128 v[154:157], v2 offset:1184
	v_fmac_f64_e32 v[160:161], v[148:149], v[8:9]
	v_fma_f64 v[146:147], v[146:147], v[8:9], -v[10:11]
	scratch_load_b128 v[8:11], off, off offset:640
	v_add_f64_e32 v[158:159], v[158:159], v[162:163]
	v_fmac_f64_e32 v[164:165], v[6:7], v[12:13]
	v_add_f64_e32 v[148:149], v[168:169], v[166:167]
	v_fma_f64 v[166:167], v[4:5], v[12:13], -v[14:15]
	ds_load_b128 v[4:7], v2 offset:1200
	s_wait_loadcnt_dscnt 0xa01
	v_mul_f64_e32 v[162:163], v[154:155], v[108:109]
	v_mul_f64_e32 v[108:109], v[156:157], v[108:109]
	scratch_load_b128 v[12:15], off, off offset:656
	v_add_f64_e32 v[158:159], v[158:159], v[160:161]
	s_wait_loadcnt_dscnt 0xa00
	v_mul_f64_e32 v[160:161], v[4:5], v[112:113]
	v_add_f64_e32 v[168:169], v[148:149], v[146:147]
	v_mul_f64_e32 v[112:113], v[6:7], v[112:113]
	ds_load_b128 v[146:149], v2 offset:1216
	v_fmac_f64_e32 v[162:163], v[156:157], v[106:107]
	v_fma_f64 v[154:155], v[154:155], v[106:107], -v[108:109]
	scratch_load_b128 v[106:109], off, off offset:672
	v_add_f64_e32 v[158:159], v[158:159], v[164:165]
	v_fmac_f64_e32 v[160:161], v[6:7], v[110:111]
	v_add_f64_e32 v[156:157], v[168:169], v[166:167]
	v_fma_f64 v[166:167], v[4:5], v[110:111], -v[112:113]
	ds_load_b128 v[4:7], v2 offset:1232
	s_wait_loadcnt_dscnt 0xa01
	v_mul_f64_e32 v[164:165], v[146:147], v[116:117]
	v_mul_f64_e32 v[116:117], v[148:149], v[116:117]
	scratch_load_b128 v[110:113], off, off offset:688
	v_add_f64_e32 v[158:159], v[158:159], v[162:163]
	s_wait_loadcnt_dscnt 0xa00
	v_mul_f64_e32 v[162:163], v[4:5], v[120:121]
	v_add_f64_e32 v[168:169], v[156:157], v[154:155]
	v_mul_f64_e32 v[120:121], v[6:7], v[120:121]
	ds_load_b128 v[154:157], v2 offset:1248
	v_fmac_f64_e32 v[164:165], v[148:149], v[114:115]
	v_fma_f64 v[114:115], v[146:147], v[114:115], -v[116:117]
	s_wait_loadcnt_dscnt 0x900
	v_mul_f64_e32 v[148:149], v[154:155], v[124:125]
	v_mul_f64_e32 v[124:125], v[156:157], v[124:125]
	v_add_f64_e32 v[146:147], v[158:159], v[160:161]
	v_fmac_f64_e32 v[162:163], v[6:7], v[118:119]
	v_add_f64_e32 v[116:117], v[168:169], v[166:167]
	v_fma_f64 v[118:119], v[4:5], v[118:119], -v[120:121]
	v_fmac_f64_e32 v[148:149], v[156:157], v[122:123]
	v_fma_f64 v[122:123], v[154:155], v[122:123], -v[124:125]
	v_add_f64_e32 v[146:147], v[146:147], v[164:165]
	v_add_f64_e32 v[120:121], v[116:117], v[114:115]
	ds_load_b128 v[4:7], v2 offset:1264
	ds_load_b128 v[114:117], v2 offset:1280
	s_wait_loadcnt_dscnt 0x801
	v_mul_f64_e32 v[158:159], v[4:5], v[128:129]
	v_mul_f64_e32 v[128:129], v[6:7], v[128:129]
	s_wait_loadcnt_dscnt 0x700
	v_mul_f64_e32 v[124:125], v[114:115], v[132:133]
	v_mul_f64_e32 v[132:133], v[116:117], v[132:133]
	v_add_f64_e32 v[118:119], v[120:121], v[118:119]
	v_add_f64_e32 v[120:121], v[146:147], v[162:163]
	v_fmac_f64_e32 v[158:159], v[6:7], v[126:127]
	v_fma_f64 v[126:127], v[4:5], v[126:127], -v[128:129]
	v_fmac_f64_e32 v[124:125], v[116:117], v[130:131]
	v_fma_f64 v[114:115], v[114:115], v[130:131], -v[132:133]
	v_add_f64_e32 v[122:123], v[118:119], v[122:123]
	v_add_f64_e32 v[128:129], v[120:121], v[148:149]
	ds_load_b128 v[4:7], v2 offset:1296
	ds_load_b128 v[118:121], v2 offset:1312
	s_wait_loadcnt_dscnt 0x601
	v_mul_f64_e32 v[146:147], v[4:5], v[140:141]
	v_mul_f64_e32 v[140:141], v[6:7], v[140:141]
	v_add_f64_e32 v[116:117], v[122:123], v[126:127]
	v_add_f64_e32 v[122:123], v[128:129], v[158:159]
	s_wait_loadcnt_dscnt 0x500
	v_mul_f64_e32 v[126:127], v[118:119], v[152:153]
	v_mul_f64_e32 v[128:129], v[120:121], v[152:153]
	v_fmac_f64_e32 v[146:147], v[6:7], v[138:139]
	v_fma_f64 v[130:131], v[4:5], v[138:139], -v[140:141]
	v_add_f64_e32 v[132:133], v[116:117], v[114:115]
	v_add_f64_e32 v[122:123], v[122:123], v[124:125]
	ds_load_b128 v[4:7], v2 offset:1328
	ds_load_b128 v[114:117], v2 offset:1344
	v_fmac_f64_e32 v[126:127], v[120:121], v[150:151]
	v_fma_f64 v[118:119], v[118:119], v[150:151], -v[128:129]
	s_wait_loadcnt_dscnt 0x401
	v_mul_f64_e32 v[124:125], v[4:5], v[136:137]
	v_mul_f64_e32 v[136:137], v[6:7], v[136:137]
	s_wait_loadcnt_dscnt 0x300
	v_mul_f64_e32 v[128:129], v[114:115], v[10:11]
	v_mul_f64_e32 v[10:11], v[116:117], v[10:11]
	v_add_f64_e32 v[120:121], v[132:133], v[130:131]
	v_add_f64_e32 v[122:123], v[122:123], v[146:147]
	v_fmac_f64_e32 v[124:125], v[6:7], v[134:135]
	v_fma_f64 v[130:131], v[4:5], v[134:135], -v[136:137]
	v_fmac_f64_e32 v[128:129], v[116:117], v[8:9]
	v_fma_f64 v[8:9], v[114:115], v[8:9], -v[10:11]
	v_add_f64_e32 v[132:133], v[120:121], v[118:119]
	v_add_f64_e32 v[122:123], v[122:123], v[126:127]
	ds_load_b128 v[4:7], v2 offset:1360
	ds_load_b128 v[118:121], v2 offset:1376
	s_wait_loadcnt_dscnt 0x201
	v_mul_f64_e32 v[126:127], v[4:5], v[14:15]
	v_mul_f64_e32 v[14:15], v[6:7], v[14:15]
	s_wait_loadcnt_dscnt 0x100
	v_mul_f64_e32 v[116:117], v[118:119], v[108:109]
	v_mul_f64_e32 v[108:109], v[120:121], v[108:109]
	v_add_f64_e32 v[10:11], v[132:133], v[130:131]
	v_add_f64_e32 v[114:115], v[122:123], v[124:125]
	v_fmac_f64_e32 v[126:127], v[6:7], v[12:13]
	v_fma_f64 v[12:13], v[4:5], v[12:13], -v[14:15]
	ds_load_b128 v[4:7], v2 offset:1392
	v_fmac_f64_e32 v[116:117], v[120:121], v[106:107]
	v_fma_f64 v[106:107], v[118:119], v[106:107], -v[108:109]
	v_add_f64_e32 v[8:9], v[10:11], v[8:9]
	v_add_f64_e32 v[10:11], v[114:115], v[128:129]
	s_wait_loadcnt_dscnt 0x0
	v_mul_f64_e32 v[14:15], v[4:5], v[112:113]
	v_mul_f64_e32 v[112:113], v[6:7], v[112:113]
	s_delay_alu instid0(VALU_DEP_4) | instskip(NEXT) | instid1(VALU_DEP_4)
	v_add_f64_e32 v[8:9], v[8:9], v[12:13]
	v_add_f64_e32 v[10:11], v[10:11], v[126:127]
	s_delay_alu instid0(VALU_DEP_4) | instskip(NEXT) | instid1(VALU_DEP_4)
	v_fmac_f64_e32 v[14:15], v[6:7], v[110:111]
	v_fma_f64 v[4:5], v[4:5], v[110:111], -v[112:113]
	s_delay_alu instid0(VALU_DEP_4) | instskip(NEXT) | instid1(VALU_DEP_4)
	v_add_f64_e32 v[6:7], v[8:9], v[106:107]
	v_add_f64_e32 v[8:9], v[10:11], v[116:117]
	s_delay_alu instid0(VALU_DEP_2) | instskip(NEXT) | instid1(VALU_DEP_2)
	v_add_f64_e32 v[4:5], v[6:7], v[4:5]
	v_add_f64_e32 v[6:7], v[8:9], v[14:15]
	s_delay_alu instid0(VALU_DEP_2) | instskip(NEXT) | instid1(VALU_DEP_2)
	v_add_f64_e64 v[4:5], v[142:143], -v[4:5]
	v_add_f64_e64 v[6:7], v[144:145], -v[6:7]
	scratch_store_b128 off, v[4:7], off offset:224
	s_wait_xcnt 0x0
	v_cmpx_lt_u32_e32 13, v1
	s_cbranch_execz .LBB43_251
; %bb.250:
	scratch_load_b128 v[6:9], off, s54
	v_dual_mov_b32 v3, v2 :: v_dual_mov_b32 v4, v2
	v_mov_b32_e32 v5, v2
	scratch_store_b128 off, v[2:5], off offset:208
	s_wait_loadcnt 0x0
	ds_store_b128 v104, v[6:9]
.LBB43_251:
	s_wait_xcnt 0x0
	s_or_b32 exec_lo, exec_lo, s2
	s_wait_storecnt_dscnt 0x0
	s_barrier_signal -1
	s_barrier_wait -1
	s_clause 0x9
	scratch_load_b128 v[4:7], off, off offset:224
	scratch_load_b128 v[8:11], off, off offset:240
	;; [unrolled: 1-line block ×10, first 2 shown]
	ds_load_b128 v[134:137], v2 offset:928
	ds_load_b128 v[142:145], v2 offset:944
	s_clause 0x2
	scratch_load_b128 v[138:141], off, off offset:384
	scratch_load_b128 v[146:149], off, off offset:208
	;; [unrolled: 1-line block ×3, first 2 shown]
	s_mov_b32 s2, exec_lo
	s_wait_loadcnt_dscnt 0xc01
	v_mul_f64_e32 v[154:155], v[136:137], v[6:7]
	v_mul_f64_e32 v[158:159], v[134:135], v[6:7]
	s_wait_loadcnt_dscnt 0xb00
	v_mul_f64_e32 v[160:161], v[142:143], v[10:11]
	v_mul_f64_e32 v[10:11], v[144:145], v[10:11]
	s_delay_alu instid0(VALU_DEP_4) | instskip(NEXT) | instid1(VALU_DEP_4)
	v_fma_f64 v[162:163], v[134:135], v[4:5], -v[154:155]
	v_fmac_f64_e32 v[158:159], v[136:137], v[4:5]
	ds_load_b128 v[4:7], v2 offset:960
	ds_load_b128 v[134:137], v2 offset:976
	scratch_load_b128 v[154:157], off, off offset:416
	v_fmac_f64_e32 v[160:161], v[144:145], v[8:9]
	v_fma_f64 v[142:143], v[142:143], v[8:9], -v[10:11]
	scratch_load_b128 v[8:11], off, off offset:432
	s_wait_loadcnt_dscnt 0xc01
	v_mul_f64_e32 v[164:165], v[4:5], v[14:15]
	v_mul_f64_e32 v[14:15], v[6:7], v[14:15]
	v_add_f64_e32 v[144:145], 0, v[162:163]
	v_add_f64_e32 v[158:159], 0, v[158:159]
	s_wait_loadcnt_dscnt 0xb00
	v_mul_f64_e32 v[162:163], v[134:135], v[108:109]
	v_mul_f64_e32 v[108:109], v[136:137], v[108:109]
	v_fmac_f64_e32 v[164:165], v[6:7], v[12:13]
	v_fma_f64 v[166:167], v[4:5], v[12:13], -v[14:15]
	ds_load_b128 v[4:7], v2 offset:992
	ds_load_b128 v[12:15], v2 offset:1008
	v_add_f64_e32 v[168:169], v[144:145], v[142:143]
	v_add_f64_e32 v[158:159], v[158:159], v[160:161]
	scratch_load_b128 v[142:145], off, off offset:448
	v_fmac_f64_e32 v[162:163], v[136:137], v[106:107]
	v_fma_f64 v[134:135], v[134:135], v[106:107], -v[108:109]
	scratch_load_b128 v[106:109], off, off offset:464
	s_wait_loadcnt_dscnt 0xc01
	v_mul_f64_e32 v[160:161], v[4:5], v[112:113]
	v_mul_f64_e32 v[112:113], v[6:7], v[112:113]
	v_add_f64_e32 v[136:137], v[168:169], v[166:167]
	v_add_f64_e32 v[158:159], v[158:159], v[164:165]
	s_wait_loadcnt_dscnt 0xb00
	v_mul_f64_e32 v[164:165], v[12:13], v[116:117]
	v_mul_f64_e32 v[116:117], v[14:15], v[116:117]
	v_fmac_f64_e32 v[160:161], v[6:7], v[110:111]
	v_fma_f64 v[166:167], v[4:5], v[110:111], -v[112:113]
	ds_load_b128 v[4:7], v2 offset:1024
	ds_load_b128 v[110:113], v2 offset:1040
	v_add_f64_e32 v[168:169], v[136:137], v[134:135]
	v_add_f64_e32 v[158:159], v[158:159], v[162:163]
	scratch_load_b128 v[134:137], off, off offset:480
	s_wait_loadcnt_dscnt 0xb01
	v_mul_f64_e32 v[162:163], v[4:5], v[120:121]
	v_mul_f64_e32 v[120:121], v[6:7], v[120:121]
	v_fmac_f64_e32 v[164:165], v[14:15], v[114:115]
	v_fma_f64 v[114:115], v[12:13], v[114:115], -v[116:117]
	scratch_load_b128 v[12:15], off, off offset:496
	v_add_f64_e32 v[116:117], v[168:169], v[166:167]
	v_add_f64_e32 v[158:159], v[158:159], v[160:161]
	s_wait_loadcnt_dscnt 0xb00
	v_mul_f64_e32 v[160:161], v[110:111], v[124:125]
	v_mul_f64_e32 v[124:125], v[112:113], v[124:125]
	v_fmac_f64_e32 v[162:163], v[6:7], v[118:119]
	v_fma_f64 v[166:167], v[4:5], v[118:119], -v[120:121]
	v_add_f64_e32 v[168:169], v[116:117], v[114:115]
	v_add_f64_e32 v[158:159], v[158:159], v[164:165]
	ds_load_b128 v[4:7], v2 offset:1056
	ds_load_b128 v[114:117], v2 offset:1072
	scratch_load_b128 v[118:121], off, off offset:512
	v_fmac_f64_e32 v[160:161], v[112:113], v[122:123]
	v_fma_f64 v[122:123], v[110:111], v[122:123], -v[124:125]
	scratch_load_b128 v[110:113], off, off offset:528
	s_wait_loadcnt_dscnt 0xc01
	v_mul_f64_e32 v[164:165], v[4:5], v[128:129]
	v_mul_f64_e32 v[128:129], v[6:7], v[128:129]
	v_add_f64_e32 v[124:125], v[168:169], v[166:167]
	v_add_f64_e32 v[158:159], v[158:159], v[162:163]
	s_wait_loadcnt_dscnt 0xb00
	v_mul_f64_e32 v[162:163], v[114:115], v[132:133]
	v_mul_f64_e32 v[132:133], v[116:117], v[132:133]
	v_fmac_f64_e32 v[164:165], v[6:7], v[126:127]
	v_fma_f64 v[166:167], v[4:5], v[126:127], -v[128:129]
	v_add_f64_e32 v[168:169], v[124:125], v[122:123]
	v_add_f64_e32 v[158:159], v[158:159], v[160:161]
	ds_load_b128 v[4:7], v2 offset:1088
	ds_load_b128 v[122:125], v2 offset:1104
	scratch_load_b128 v[126:129], off, off offset:544
	v_fmac_f64_e32 v[162:163], v[116:117], v[130:131]
	v_fma_f64 v[130:131], v[114:115], v[130:131], -v[132:133]
	scratch_load_b128 v[114:117], off, off offset:560
	s_wait_loadcnt_dscnt 0xc01
	v_mul_f64_e32 v[160:161], v[4:5], v[140:141]
	v_mul_f64_e32 v[140:141], v[6:7], v[140:141]
	;; [unrolled: 18-line block ×5, first 2 shown]
	v_add_f64_e32 v[152:153], v[168:169], v[166:167]
	v_add_f64_e32 v[158:159], v[158:159], v[164:165]
	s_wait_loadcnt_dscnt 0xa00
	v_mul_f64_e32 v[164:165], v[130:131], v[14:15]
	v_mul_f64_e32 v[14:15], v[132:133], v[14:15]
	v_fmac_f64_e32 v[160:161], v[6:7], v[134:135]
	v_fma_f64 v[166:167], v[4:5], v[134:135], -v[136:137]
	ds_load_b128 v[4:7], v2 offset:1216
	ds_load_b128 v[134:137], v2 offset:1232
	v_add_f64_e32 v[168:169], v[152:153], v[150:151]
	v_add_f64_e32 v[158:159], v[158:159], v[162:163]
	scratch_load_b128 v[150:153], off, off offset:672
	v_fmac_f64_e32 v[164:165], v[132:133], v[12:13]
	v_fma_f64 v[130:131], v[130:131], v[12:13], -v[14:15]
	scratch_load_b128 v[12:15], off, off offset:688
	s_wait_loadcnt_dscnt 0xb01
	v_mul_f64_e32 v[162:163], v[4:5], v[120:121]
	v_mul_f64_e32 v[120:121], v[6:7], v[120:121]
	v_add_f64_e32 v[132:133], v[168:169], v[166:167]
	v_add_f64_e32 v[158:159], v[158:159], v[160:161]
	s_wait_loadcnt_dscnt 0xa00
	v_mul_f64_e32 v[160:161], v[134:135], v[112:113]
	v_mul_f64_e32 v[112:113], v[136:137], v[112:113]
	v_fmac_f64_e32 v[162:163], v[6:7], v[118:119]
	v_fma_f64 v[166:167], v[4:5], v[118:119], -v[120:121]
	ds_load_b128 v[4:7], v2 offset:1248
	ds_load_b128 v[118:121], v2 offset:1264
	v_add_f64_e32 v[130:131], v[132:133], v[130:131]
	v_add_f64_e32 v[132:133], v[158:159], v[164:165]
	v_fmac_f64_e32 v[160:161], v[136:137], v[110:111]
	s_wait_loadcnt_dscnt 0x901
	v_mul_f64_e32 v[158:159], v[4:5], v[128:129]
	v_mul_f64_e32 v[128:129], v[6:7], v[128:129]
	v_fma_f64 v[110:111], v[134:135], v[110:111], -v[112:113]
	v_add_f64_e32 v[112:113], v[130:131], v[166:167]
	v_add_f64_e32 v[130:131], v[132:133], v[162:163]
	s_wait_loadcnt_dscnt 0x800
	v_mul_f64_e32 v[132:133], v[118:119], v[116:117]
	v_mul_f64_e32 v[116:117], v[120:121], v[116:117]
	v_fmac_f64_e32 v[158:159], v[6:7], v[126:127]
	v_fma_f64 v[126:127], v[4:5], v[126:127], -v[128:129]
	v_add_f64_e32 v[128:129], v[112:113], v[110:111]
	v_add_f64_e32 v[130:131], v[130:131], v[160:161]
	ds_load_b128 v[4:7], v2 offset:1280
	ds_load_b128 v[110:113], v2 offset:1296
	v_fmac_f64_e32 v[132:133], v[120:121], v[114:115]
	v_fma_f64 v[114:115], v[118:119], v[114:115], -v[116:117]
	s_wait_loadcnt_dscnt 0x701
	v_mul_f64_e32 v[134:135], v[4:5], v[140:141]
	v_mul_f64_e32 v[136:137], v[6:7], v[140:141]
	s_wait_loadcnt_dscnt 0x600
	v_mul_f64_e32 v[120:121], v[110:111], v[124:125]
	v_mul_f64_e32 v[124:125], v[112:113], v[124:125]
	v_add_f64_e32 v[116:117], v[128:129], v[126:127]
	v_add_f64_e32 v[118:119], v[130:131], v[158:159]
	v_fmac_f64_e32 v[134:135], v[6:7], v[138:139]
	v_fma_f64 v[126:127], v[4:5], v[138:139], -v[136:137]
	v_fmac_f64_e32 v[120:121], v[112:113], v[122:123]
	v_fma_f64 v[110:111], v[110:111], v[122:123], -v[124:125]
	v_add_f64_e32 v[128:129], v[116:117], v[114:115]
	v_add_f64_e32 v[118:119], v[118:119], v[132:133]
	ds_load_b128 v[4:7], v2 offset:1312
	ds_load_b128 v[114:117], v2 offset:1328
	s_wait_loadcnt_dscnt 0x501
	v_mul_f64_e32 v[130:131], v[4:5], v[156:157]
	v_mul_f64_e32 v[132:133], v[6:7], v[156:157]
	s_wait_loadcnt_dscnt 0x400
	v_mul_f64_e32 v[122:123], v[114:115], v[10:11]
	v_mul_f64_e32 v[10:11], v[116:117], v[10:11]
	v_add_f64_e32 v[112:113], v[128:129], v[126:127]
	v_add_f64_e32 v[118:119], v[118:119], v[134:135]
	v_fmac_f64_e32 v[130:131], v[6:7], v[154:155]
	v_fma_f64 v[124:125], v[4:5], v[154:155], -v[132:133]
	v_fmac_f64_e32 v[122:123], v[116:117], v[8:9]
	v_fma_f64 v[8:9], v[114:115], v[8:9], -v[10:11]
	v_add_f64_e32 v[126:127], v[112:113], v[110:111]
	v_add_f64_e32 v[118:119], v[118:119], v[120:121]
	ds_load_b128 v[4:7], v2 offset:1344
	ds_load_b128 v[110:113], v2 offset:1360
	;; [unrolled: 16-line block ×3, first 2 shown]
	s_wait_loadcnt_dscnt 0x101
	v_mul_f64_e32 v[2:3], v[4:5], v[152:153]
	v_mul_f64_e32 v[122:123], v[6:7], v[152:153]
	s_wait_loadcnt_dscnt 0x0
	v_mul_f64_e32 v[112:113], v[8:9], v[14:15]
	v_mul_f64_e32 v[14:15], v[10:11], v[14:15]
	v_add_f64_e32 v[108:109], v[124:125], v[118:119]
	v_add_f64_e32 v[110:111], v[114:115], v[120:121]
	v_fmac_f64_e32 v[2:3], v[6:7], v[150:151]
	v_fma_f64 v[4:5], v[4:5], v[150:151], -v[122:123]
	v_fmac_f64_e32 v[112:113], v[10:11], v[12:13]
	v_fma_f64 v[8:9], v[8:9], v[12:13], -v[14:15]
	v_add_f64_e32 v[6:7], v[108:109], v[106:107]
	v_add_f64_e32 v[106:107], v[110:111], v[116:117]
	s_delay_alu instid0(VALU_DEP_2) | instskip(NEXT) | instid1(VALU_DEP_2)
	v_add_f64_e32 v[4:5], v[6:7], v[4:5]
	v_add_f64_e32 v[2:3], v[106:107], v[2:3]
	s_delay_alu instid0(VALU_DEP_2) | instskip(NEXT) | instid1(VALU_DEP_2)
	;; [unrolled: 3-line block ×3, first 2 shown]
	v_add_f64_e64 v[2:3], v[146:147], -v[4:5]
	v_add_f64_e64 v[4:5], v[148:149], -v[6:7]
	scratch_store_b128 off, v[2:5], off offset:208
	s_wait_xcnt 0x0
	v_cmpx_lt_u32_e32 12, v1
	s_cbranch_execz .LBB43_253
; %bb.252:
	scratch_load_b128 v[2:5], off, s53
	v_mov_b32_e32 v6, 0
	s_delay_alu instid0(VALU_DEP_1)
	v_dual_mov_b32 v7, v6 :: v_dual_mov_b32 v8, v6
	v_mov_b32_e32 v9, v6
	scratch_store_b128 off, v[6:9], off offset:192
	s_wait_loadcnt 0x0
	ds_store_b128 v104, v[2:5]
.LBB43_253:
	s_wait_xcnt 0x0
	s_or_b32 exec_lo, exec_lo, s2
	s_wait_storecnt_dscnt 0x0
	s_barrier_signal -1
	s_barrier_wait -1
	s_clause 0x9
	scratch_load_b128 v[4:7], off, off offset:208
	scratch_load_b128 v[8:11], off, off offset:224
	;; [unrolled: 1-line block ×10, first 2 shown]
	v_mov_b32_e32 v2, 0
	s_mov_b32 s2, exec_lo
	ds_load_b128 v[134:137], v2 offset:912
	s_clause 0x2
	scratch_load_b128 v[138:141], off, off offset:368
	scratch_load_b128 v[142:145], off, off offset:192
	;; [unrolled: 1-line block ×3, first 2 shown]
	s_wait_loadcnt_dscnt 0xc00
	v_mul_f64_e32 v[154:155], v[136:137], v[6:7]
	v_mul_f64_e32 v[158:159], v[134:135], v[6:7]
	ds_load_b128 v[146:149], v2 offset:928
	v_fma_f64 v[162:163], v[134:135], v[4:5], -v[154:155]
	v_fmac_f64_e32 v[158:159], v[136:137], v[4:5]
	ds_load_b128 v[4:7], v2 offset:944
	s_wait_loadcnt_dscnt 0xb01
	v_mul_f64_e32 v[160:161], v[146:147], v[10:11]
	v_mul_f64_e32 v[10:11], v[148:149], v[10:11]
	scratch_load_b128 v[134:137], off, off offset:400
	ds_load_b128 v[154:157], v2 offset:960
	s_wait_loadcnt_dscnt 0xb01
	v_mul_f64_e32 v[164:165], v[4:5], v[14:15]
	v_mul_f64_e32 v[14:15], v[6:7], v[14:15]
	v_add_f64_e32 v[158:159], 0, v[158:159]
	v_fmac_f64_e32 v[160:161], v[148:149], v[8:9]
	v_fma_f64 v[146:147], v[146:147], v[8:9], -v[10:11]
	v_add_f64_e32 v[148:149], 0, v[162:163]
	scratch_load_b128 v[8:11], off, off offset:416
	v_fmac_f64_e32 v[164:165], v[6:7], v[12:13]
	v_fma_f64 v[166:167], v[4:5], v[12:13], -v[14:15]
	ds_load_b128 v[4:7], v2 offset:976
	s_wait_loadcnt_dscnt 0xb01
	v_mul_f64_e32 v[162:163], v[154:155], v[108:109]
	v_mul_f64_e32 v[108:109], v[156:157], v[108:109]
	scratch_load_b128 v[12:15], off, off offset:432
	v_add_f64_e32 v[158:159], v[158:159], v[160:161]
	v_add_f64_e32 v[168:169], v[148:149], v[146:147]
	ds_load_b128 v[146:149], v2 offset:992
	s_wait_loadcnt_dscnt 0xb01
	v_mul_f64_e32 v[160:161], v[4:5], v[112:113]
	v_mul_f64_e32 v[112:113], v[6:7], v[112:113]
	v_fmac_f64_e32 v[162:163], v[156:157], v[106:107]
	v_fma_f64 v[154:155], v[154:155], v[106:107], -v[108:109]
	scratch_load_b128 v[106:109], off, off offset:448
	v_add_f64_e32 v[158:159], v[158:159], v[164:165]
	v_add_f64_e32 v[156:157], v[168:169], v[166:167]
	v_fmac_f64_e32 v[160:161], v[6:7], v[110:111]
	v_fma_f64 v[166:167], v[4:5], v[110:111], -v[112:113]
	ds_load_b128 v[4:7], v2 offset:1008
	s_wait_loadcnt_dscnt 0xb01
	v_mul_f64_e32 v[164:165], v[146:147], v[116:117]
	v_mul_f64_e32 v[116:117], v[148:149], v[116:117]
	scratch_load_b128 v[110:113], off, off offset:464
	v_add_f64_e32 v[158:159], v[158:159], v[162:163]
	s_wait_loadcnt_dscnt 0xb00
	v_mul_f64_e32 v[162:163], v[4:5], v[120:121]
	v_add_f64_e32 v[168:169], v[156:157], v[154:155]
	v_mul_f64_e32 v[120:121], v[6:7], v[120:121]
	ds_load_b128 v[154:157], v2 offset:1024
	v_fmac_f64_e32 v[164:165], v[148:149], v[114:115]
	v_fma_f64 v[146:147], v[146:147], v[114:115], -v[116:117]
	scratch_load_b128 v[114:117], off, off offset:480
	v_add_f64_e32 v[158:159], v[158:159], v[160:161]
	v_fmac_f64_e32 v[162:163], v[6:7], v[118:119]
	v_add_f64_e32 v[148:149], v[168:169], v[166:167]
	v_fma_f64 v[166:167], v[4:5], v[118:119], -v[120:121]
	ds_load_b128 v[4:7], v2 offset:1040
	s_wait_loadcnt_dscnt 0xb01
	v_mul_f64_e32 v[160:161], v[154:155], v[124:125]
	v_mul_f64_e32 v[124:125], v[156:157], v[124:125]
	scratch_load_b128 v[118:121], off, off offset:496
	v_add_f64_e32 v[158:159], v[158:159], v[164:165]
	s_wait_loadcnt_dscnt 0xb00
	v_mul_f64_e32 v[164:165], v[4:5], v[128:129]
	v_add_f64_e32 v[168:169], v[148:149], v[146:147]
	v_mul_f64_e32 v[128:129], v[6:7], v[128:129]
	ds_load_b128 v[146:149], v2 offset:1056
	v_fmac_f64_e32 v[160:161], v[156:157], v[122:123]
	v_fma_f64 v[154:155], v[154:155], v[122:123], -v[124:125]
	scratch_load_b128 v[122:125], off, off offset:512
	v_add_f64_e32 v[158:159], v[158:159], v[162:163]
	v_fmac_f64_e32 v[164:165], v[6:7], v[126:127]
	v_add_f64_e32 v[156:157], v[168:169], v[166:167]
	;; [unrolled: 18-line block ×3, first 2 shown]
	v_fma_f64 v[166:167], v[4:5], v[138:139], -v[140:141]
	ds_load_b128 v[4:7], v2 offset:1104
	s_wait_loadcnt_dscnt 0xa01
	v_mul_f64_e32 v[164:165], v[154:155], v[152:153]
	v_mul_f64_e32 v[152:153], v[156:157], v[152:153]
	scratch_load_b128 v[138:141], off, off offset:560
	v_add_f64_e32 v[158:159], v[158:159], v[162:163]
	v_add_f64_e32 v[168:169], v[148:149], v[146:147]
	s_wait_loadcnt_dscnt 0xa00
	v_mul_f64_e32 v[162:163], v[4:5], v[136:137]
	v_mul_f64_e32 v[136:137], v[6:7], v[136:137]
	v_fmac_f64_e32 v[164:165], v[156:157], v[150:151]
	v_fma_f64 v[154:155], v[154:155], v[150:151], -v[152:153]
	ds_load_b128 v[146:149], v2 offset:1120
	scratch_load_b128 v[150:153], off, off offset:576
	v_add_f64_e32 v[158:159], v[158:159], v[160:161]
	v_add_f64_e32 v[156:157], v[168:169], v[166:167]
	v_fmac_f64_e32 v[162:163], v[6:7], v[134:135]
	v_fma_f64 v[166:167], v[4:5], v[134:135], -v[136:137]
	ds_load_b128 v[4:7], v2 offset:1136
	s_wait_loadcnt_dscnt 0xa01
	v_mul_f64_e32 v[160:161], v[146:147], v[10:11]
	v_mul_f64_e32 v[10:11], v[148:149], v[10:11]
	scratch_load_b128 v[134:137], off, off offset:592
	v_add_f64_e32 v[158:159], v[158:159], v[164:165]
	s_wait_loadcnt_dscnt 0xa00
	v_mul_f64_e32 v[164:165], v[4:5], v[14:15]
	v_add_f64_e32 v[168:169], v[156:157], v[154:155]
	v_mul_f64_e32 v[14:15], v[6:7], v[14:15]
	ds_load_b128 v[154:157], v2 offset:1152
	v_fmac_f64_e32 v[160:161], v[148:149], v[8:9]
	v_fma_f64 v[146:147], v[146:147], v[8:9], -v[10:11]
	scratch_load_b128 v[8:11], off, off offset:608
	v_add_f64_e32 v[158:159], v[158:159], v[162:163]
	v_fmac_f64_e32 v[164:165], v[6:7], v[12:13]
	v_add_f64_e32 v[148:149], v[168:169], v[166:167]
	v_fma_f64 v[166:167], v[4:5], v[12:13], -v[14:15]
	ds_load_b128 v[4:7], v2 offset:1168
	s_wait_loadcnt_dscnt 0xa01
	v_mul_f64_e32 v[162:163], v[154:155], v[108:109]
	v_mul_f64_e32 v[108:109], v[156:157], v[108:109]
	scratch_load_b128 v[12:15], off, off offset:624
	v_add_f64_e32 v[158:159], v[158:159], v[160:161]
	s_wait_loadcnt_dscnt 0xa00
	v_mul_f64_e32 v[160:161], v[4:5], v[112:113]
	v_add_f64_e32 v[168:169], v[148:149], v[146:147]
	v_mul_f64_e32 v[112:113], v[6:7], v[112:113]
	ds_load_b128 v[146:149], v2 offset:1184
	v_fmac_f64_e32 v[162:163], v[156:157], v[106:107]
	v_fma_f64 v[154:155], v[154:155], v[106:107], -v[108:109]
	scratch_load_b128 v[106:109], off, off offset:640
	v_add_f64_e32 v[158:159], v[158:159], v[164:165]
	v_fmac_f64_e32 v[160:161], v[6:7], v[110:111]
	v_add_f64_e32 v[156:157], v[168:169], v[166:167]
	;; [unrolled: 18-line block ×3, first 2 shown]
	v_fma_f64 v[166:167], v[4:5], v[118:119], -v[120:121]
	ds_load_b128 v[4:7], v2 offset:1232
	s_wait_loadcnt_dscnt 0xa01
	v_mul_f64_e32 v[160:161], v[154:155], v[124:125]
	v_mul_f64_e32 v[124:125], v[156:157], v[124:125]
	scratch_load_b128 v[118:121], off, off offset:688
	v_add_f64_e32 v[158:159], v[158:159], v[164:165]
	s_wait_loadcnt_dscnt 0xa00
	v_mul_f64_e32 v[164:165], v[4:5], v[128:129]
	v_add_f64_e32 v[168:169], v[148:149], v[146:147]
	v_mul_f64_e32 v[128:129], v[6:7], v[128:129]
	ds_load_b128 v[146:149], v2 offset:1248
	v_fmac_f64_e32 v[160:161], v[156:157], v[122:123]
	v_fma_f64 v[122:123], v[154:155], v[122:123], -v[124:125]
	s_wait_loadcnt_dscnt 0x900
	v_mul_f64_e32 v[156:157], v[146:147], v[132:133]
	v_mul_f64_e32 v[132:133], v[148:149], v[132:133]
	v_add_f64_e32 v[154:155], v[158:159], v[162:163]
	v_fmac_f64_e32 v[164:165], v[6:7], v[126:127]
	v_add_f64_e32 v[124:125], v[168:169], v[166:167]
	v_fma_f64 v[126:127], v[4:5], v[126:127], -v[128:129]
	v_fmac_f64_e32 v[156:157], v[148:149], v[130:131]
	v_fma_f64 v[130:131], v[146:147], v[130:131], -v[132:133]
	v_add_f64_e32 v[154:155], v[154:155], v[160:161]
	v_add_f64_e32 v[128:129], v[124:125], v[122:123]
	ds_load_b128 v[4:7], v2 offset:1264
	ds_load_b128 v[122:125], v2 offset:1280
	s_wait_loadcnt_dscnt 0x801
	v_mul_f64_e32 v[158:159], v[4:5], v[140:141]
	v_mul_f64_e32 v[140:141], v[6:7], v[140:141]
	s_wait_loadcnt_dscnt 0x700
	v_mul_f64_e32 v[132:133], v[122:123], v[152:153]
	v_mul_f64_e32 v[146:147], v[124:125], v[152:153]
	v_add_f64_e32 v[126:127], v[128:129], v[126:127]
	v_add_f64_e32 v[128:129], v[154:155], v[164:165]
	v_fmac_f64_e32 v[158:159], v[6:7], v[138:139]
	v_fma_f64 v[138:139], v[4:5], v[138:139], -v[140:141]
	v_fmac_f64_e32 v[132:133], v[124:125], v[150:151]
	v_fma_f64 v[122:123], v[122:123], v[150:151], -v[146:147]
	v_add_f64_e32 v[130:131], v[126:127], v[130:131]
	v_add_f64_e32 v[140:141], v[128:129], v[156:157]
	ds_load_b128 v[4:7], v2 offset:1296
	ds_load_b128 v[126:129], v2 offset:1312
	s_wait_loadcnt_dscnt 0x601
	v_mul_f64_e32 v[148:149], v[4:5], v[136:137]
	v_mul_f64_e32 v[136:137], v[6:7], v[136:137]
	v_add_f64_e32 v[124:125], v[130:131], v[138:139]
	v_add_f64_e32 v[130:131], v[140:141], v[158:159]
	s_wait_loadcnt_dscnt 0x500
	v_mul_f64_e32 v[138:139], v[126:127], v[10:11]
	v_mul_f64_e32 v[10:11], v[128:129], v[10:11]
	v_fmac_f64_e32 v[148:149], v[6:7], v[134:135]
	v_fma_f64 v[134:135], v[4:5], v[134:135], -v[136:137]
	v_add_f64_e32 v[136:137], v[124:125], v[122:123]
	v_add_f64_e32 v[130:131], v[130:131], v[132:133]
	ds_load_b128 v[4:7], v2 offset:1328
	ds_load_b128 v[122:125], v2 offset:1344
	v_fmac_f64_e32 v[138:139], v[128:129], v[8:9]
	v_fma_f64 v[8:9], v[126:127], v[8:9], -v[10:11]
	s_wait_loadcnt_dscnt 0x401
	v_mul_f64_e32 v[132:133], v[4:5], v[14:15]
	v_mul_f64_e32 v[14:15], v[6:7], v[14:15]
	s_wait_loadcnt_dscnt 0x300
	v_mul_f64_e32 v[128:129], v[122:123], v[108:109]
	v_mul_f64_e32 v[108:109], v[124:125], v[108:109]
	v_add_f64_e32 v[10:11], v[136:137], v[134:135]
	v_add_f64_e32 v[126:127], v[130:131], v[148:149]
	v_fmac_f64_e32 v[132:133], v[6:7], v[12:13]
	v_fma_f64 v[12:13], v[4:5], v[12:13], -v[14:15]
	v_fmac_f64_e32 v[128:129], v[124:125], v[106:107]
	v_fma_f64 v[106:107], v[122:123], v[106:107], -v[108:109]
	v_add_f64_e32 v[14:15], v[10:11], v[8:9]
	v_add_f64_e32 v[126:127], v[126:127], v[138:139]
	ds_load_b128 v[4:7], v2 offset:1360
	ds_load_b128 v[8:11], v2 offset:1376
	s_wait_loadcnt_dscnt 0x201
	v_mul_f64_e32 v[130:131], v[4:5], v[112:113]
	v_mul_f64_e32 v[112:113], v[6:7], v[112:113]
	s_wait_loadcnt_dscnt 0x100
	v_mul_f64_e32 v[108:109], v[8:9], v[116:117]
	v_mul_f64_e32 v[116:117], v[10:11], v[116:117]
	v_add_f64_e32 v[12:13], v[14:15], v[12:13]
	v_add_f64_e32 v[14:15], v[126:127], v[132:133]
	v_fmac_f64_e32 v[130:131], v[6:7], v[110:111]
	v_fma_f64 v[110:111], v[4:5], v[110:111], -v[112:113]
	ds_load_b128 v[4:7], v2 offset:1392
	v_fmac_f64_e32 v[108:109], v[10:11], v[114:115]
	v_fma_f64 v[8:9], v[8:9], v[114:115], -v[116:117]
	v_add_f64_e32 v[12:13], v[12:13], v[106:107]
	v_add_f64_e32 v[14:15], v[14:15], v[128:129]
	s_wait_loadcnt_dscnt 0x0
	v_mul_f64_e32 v[106:107], v[4:5], v[120:121]
	v_mul_f64_e32 v[112:113], v[6:7], v[120:121]
	s_delay_alu instid0(VALU_DEP_4) | instskip(NEXT) | instid1(VALU_DEP_4)
	v_add_f64_e32 v[10:11], v[12:13], v[110:111]
	v_add_f64_e32 v[12:13], v[14:15], v[130:131]
	s_delay_alu instid0(VALU_DEP_4) | instskip(NEXT) | instid1(VALU_DEP_4)
	v_fmac_f64_e32 v[106:107], v[6:7], v[118:119]
	v_fma_f64 v[4:5], v[4:5], v[118:119], -v[112:113]
	s_delay_alu instid0(VALU_DEP_4) | instskip(NEXT) | instid1(VALU_DEP_4)
	v_add_f64_e32 v[6:7], v[10:11], v[8:9]
	v_add_f64_e32 v[8:9], v[12:13], v[108:109]
	s_delay_alu instid0(VALU_DEP_2) | instskip(NEXT) | instid1(VALU_DEP_2)
	v_add_f64_e32 v[4:5], v[6:7], v[4:5]
	v_add_f64_e32 v[6:7], v[8:9], v[106:107]
	s_delay_alu instid0(VALU_DEP_2) | instskip(NEXT) | instid1(VALU_DEP_2)
	v_add_f64_e64 v[4:5], v[142:143], -v[4:5]
	v_add_f64_e64 v[6:7], v[144:145], -v[6:7]
	scratch_store_b128 off, v[4:7], off offset:192
	s_wait_xcnt 0x0
	v_cmpx_lt_u32_e32 11, v1
	s_cbranch_execz .LBB43_255
; %bb.254:
	scratch_load_b128 v[6:9], off, s51
	v_dual_mov_b32 v3, v2 :: v_dual_mov_b32 v4, v2
	v_mov_b32_e32 v5, v2
	scratch_store_b128 off, v[2:5], off offset:176
	s_wait_loadcnt 0x0
	ds_store_b128 v104, v[6:9]
.LBB43_255:
	s_wait_xcnt 0x0
	s_or_b32 exec_lo, exec_lo, s2
	s_wait_storecnt_dscnt 0x0
	s_barrier_signal -1
	s_barrier_wait -1
	s_clause 0x9
	scratch_load_b128 v[4:7], off, off offset:192
	scratch_load_b128 v[8:11], off, off offset:208
	;; [unrolled: 1-line block ×10, first 2 shown]
	ds_load_b128 v[134:137], v2 offset:896
	ds_load_b128 v[142:145], v2 offset:912
	s_clause 0x2
	scratch_load_b128 v[138:141], off, off offset:352
	scratch_load_b128 v[146:149], off, off offset:176
	;; [unrolled: 1-line block ×3, first 2 shown]
	s_mov_b32 s2, exec_lo
	s_wait_loadcnt_dscnt 0xc01
	v_mul_f64_e32 v[154:155], v[136:137], v[6:7]
	v_mul_f64_e32 v[158:159], v[134:135], v[6:7]
	s_wait_loadcnt_dscnt 0xb00
	v_mul_f64_e32 v[160:161], v[142:143], v[10:11]
	v_mul_f64_e32 v[10:11], v[144:145], v[10:11]
	s_delay_alu instid0(VALU_DEP_4) | instskip(NEXT) | instid1(VALU_DEP_4)
	v_fma_f64 v[162:163], v[134:135], v[4:5], -v[154:155]
	v_fmac_f64_e32 v[158:159], v[136:137], v[4:5]
	ds_load_b128 v[4:7], v2 offset:928
	ds_load_b128 v[134:137], v2 offset:944
	scratch_load_b128 v[154:157], off, off offset:384
	v_fmac_f64_e32 v[160:161], v[144:145], v[8:9]
	v_fma_f64 v[142:143], v[142:143], v[8:9], -v[10:11]
	scratch_load_b128 v[8:11], off, off offset:400
	s_wait_loadcnt_dscnt 0xc01
	v_mul_f64_e32 v[164:165], v[4:5], v[14:15]
	v_mul_f64_e32 v[14:15], v[6:7], v[14:15]
	v_add_f64_e32 v[144:145], 0, v[162:163]
	v_add_f64_e32 v[158:159], 0, v[158:159]
	s_wait_loadcnt_dscnt 0xb00
	v_mul_f64_e32 v[162:163], v[134:135], v[108:109]
	v_mul_f64_e32 v[108:109], v[136:137], v[108:109]
	v_fmac_f64_e32 v[164:165], v[6:7], v[12:13]
	v_fma_f64 v[166:167], v[4:5], v[12:13], -v[14:15]
	ds_load_b128 v[4:7], v2 offset:960
	ds_load_b128 v[12:15], v2 offset:976
	v_add_f64_e32 v[168:169], v[144:145], v[142:143]
	v_add_f64_e32 v[158:159], v[158:159], v[160:161]
	scratch_load_b128 v[142:145], off, off offset:416
	v_fmac_f64_e32 v[162:163], v[136:137], v[106:107]
	v_fma_f64 v[134:135], v[134:135], v[106:107], -v[108:109]
	scratch_load_b128 v[106:109], off, off offset:432
	s_wait_loadcnt_dscnt 0xc01
	v_mul_f64_e32 v[160:161], v[4:5], v[112:113]
	v_mul_f64_e32 v[112:113], v[6:7], v[112:113]
	v_add_f64_e32 v[136:137], v[168:169], v[166:167]
	v_add_f64_e32 v[158:159], v[158:159], v[164:165]
	s_wait_loadcnt_dscnt 0xb00
	v_mul_f64_e32 v[164:165], v[12:13], v[116:117]
	v_mul_f64_e32 v[116:117], v[14:15], v[116:117]
	v_fmac_f64_e32 v[160:161], v[6:7], v[110:111]
	v_fma_f64 v[166:167], v[4:5], v[110:111], -v[112:113]
	ds_load_b128 v[4:7], v2 offset:992
	ds_load_b128 v[110:113], v2 offset:1008
	v_add_f64_e32 v[168:169], v[136:137], v[134:135]
	v_add_f64_e32 v[158:159], v[158:159], v[162:163]
	scratch_load_b128 v[134:137], off, off offset:448
	s_wait_loadcnt_dscnt 0xb01
	v_mul_f64_e32 v[162:163], v[4:5], v[120:121]
	v_mul_f64_e32 v[120:121], v[6:7], v[120:121]
	v_fmac_f64_e32 v[164:165], v[14:15], v[114:115]
	v_fma_f64 v[114:115], v[12:13], v[114:115], -v[116:117]
	scratch_load_b128 v[12:15], off, off offset:464
	v_add_f64_e32 v[116:117], v[168:169], v[166:167]
	v_add_f64_e32 v[158:159], v[158:159], v[160:161]
	s_wait_loadcnt_dscnt 0xb00
	v_mul_f64_e32 v[160:161], v[110:111], v[124:125]
	v_mul_f64_e32 v[124:125], v[112:113], v[124:125]
	v_fmac_f64_e32 v[162:163], v[6:7], v[118:119]
	v_fma_f64 v[166:167], v[4:5], v[118:119], -v[120:121]
	v_add_f64_e32 v[168:169], v[116:117], v[114:115]
	v_add_f64_e32 v[158:159], v[158:159], v[164:165]
	ds_load_b128 v[4:7], v2 offset:1024
	ds_load_b128 v[114:117], v2 offset:1040
	scratch_load_b128 v[118:121], off, off offset:480
	v_fmac_f64_e32 v[160:161], v[112:113], v[122:123]
	v_fma_f64 v[122:123], v[110:111], v[122:123], -v[124:125]
	scratch_load_b128 v[110:113], off, off offset:496
	s_wait_loadcnt_dscnt 0xc01
	v_mul_f64_e32 v[164:165], v[4:5], v[128:129]
	v_mul_f64_e32 v[128:129], v[6:7], v[128:129]
	v_add_f64_e32 v[124:125], v[168:169], v[166:167]
	v_add_f64_e32 v[158:159], v[158:159], v[162:163]
	s_wait_loadcnt_dscnt 0xb00
	v_mul_f64_e32 v[162:163], v[114:115], v[132:133]
	v_mul_f64_e32 v[132:133], v[116:117], v[132:133]
	v_fmac_f64_e32 v[164:165], v[6:7], v[126:127]
	v_fma_f64 v[166:167], v[4:5], v[126:127], -v[128:129]
	v_add_f64_e32 v[168:169], v[124:125], v[122:123]
	v_add_f64_e32 v[158:159], v[158:159], v[160:161]
	ds_load_b128 v[4:7], v2 offset:1056
	ds_load_b128 v[122:125], v2 offset:1072
	scratch_load_b128 v[126:129], off, off offset:512
	v_fmac_f64_e32 v[162:163], v[116:117], v[130:131]
	v_fma_f64 v[130:131], v[114:115], v[130:131], -v[132:133]
	scratch_load_b128 v[114:117], off, off offset:528
	s_wait_loadcnt_dscnt 0xc01
	v_mul_f64_e32 v[160:161], v[4:5], v[140:141]
	v_mul_f64_e32 v[140:141], v[6:7], v[140:141]
	;; [unrolled: 18-line block ×5, first 2 shown]
	v_add_f64_e32 v[152:153], v[168:169], v[166:167]
	v_add_f64_e32 v[158:159], v[158:159], v[164:165]
	s_wait_loadcnt_dscnt 0xa00
	v_mul_f64_e32 v[164:165], v[130:131], v[14:15]
	v_mul_f64_e32 v[14:15], v[132:133], v[14:15]
	v_fmac_f64_e32 v[160:161], v[6:7], v[134:135]
	v_fma_f64 v[166:167], v[4:5], v[134:135], -v[136:137]
	ds_load_b128 v[4:7], v2 offset:1184
	ds_load_b128 v[134:137], v2 offset:1200
	v_add_f64_e32 v[168:169], v[152:153], v[150:151]
	v_add_f64_e32 v[158:159], v[158:159], v[162:163]
	scratch_load_b128 v[150:153], off, off offset:640
	v_fmac_f64_e32 v[164:165], v[132:133], v[12:13]
	v_fma_f64 v[130:131], v[130:131], v[12:13], -v[14:15]
	scratch_load_b128 v[12:15], off, off offset:656
	s_wait_loadcnt_dscnt 0xb01
	v_mul_f64_e32 v[162:163], v[4:5], v[120:121]
	v_mul_f64_e32 v[120:121], v[6:7], v[120:121]
	v_add_f64_e32 v[132:133], v[168:169], v[166:167]
	v_add_f64_e32 v[158:159], v[158:159], v[160:161]
	s_wait_loadcnt_dscnt 0xa00
	v_mul_f64_e32 v[160:161], v[134:135], v[112:113]
	v_mul_f64_e32 v[112:113], v[136:137], v[112:113]
	v_fmac_f64_e32 v[162:163], v[6:7], v[118:119]
	v_fma_f64 v[166:167], v[4:5], v[118:119], -v[120:121]
	ds_load_b128 v[4:7], v2 offset:1216
	ds_load_b128 v[118:121], v2 offset:1232
	v_add_f64_e32 v[168:169], v[132:133], v[130:131]
	v_add_f64_e32 v[158:159], v[158:159], v[164:165]
	scratch_load_b128 v[130:133], off, off offset:672
	s_wait_loadcnt_dscnt 0xa01
	v_mul_f64_e32 v[164:165], v[4:5], v[128:129]
	v_mul_f64_e32 v[128:129], v[6:7], v[128:129]
	v_fmac_f64_e32 v[160:161], v[136:137], v[110:111]
	v_fma_f64 v[134:135], v[134:135], v[110:111], -v[112:113]
	scratch_load_b128 v[110:113], off, off offset:688
	v_add_f64_e32 v[136:137], v[168:169], v[166:167]
	v_add_f64_e32 v[158:159], v[158:159], v[162:163]
	s_wait_loadcnt_dscnt 0xa00
	v_mul_f64_e32 v[162:163], v[118:119], v[116:117]
	v_mul_f64_e32 v[116:117], v[120:121], v[116:117]
	v_fmac_f64_e32 v[164:165], v[6:7], v[126:127]
	v_fma_f64 v[166:167], v[4:5], v[126:127], -v[128:129]
	ds_load_b128 v[4:7], v2 offset:1248
	ds_load_b128 v[126:129], v2 offset:1264
	v_add_f64_e32 v[134:135], v[136:137], v[134:135]
	v_add_f64_e32 v[136:137], v[158:159], v[160:161]
	v_fmac_f64_e32 v[162:163], v[120:121], v[114:115]
	s_wait_loadcnt_dscnt 0x901
	v_mul_f64_e32 v[158:159], v[4:5], v[140:141]
	v_mul_f64_e32 v[140:141], v[6:7], v[140:141]
	v_fma_f64 v[114:115], v[118:119], v[114:115], -v[116:117]
	s_wait_loadcnt_dscnt 0x800
	v_mul_f64_e32 v[120:121], v[126:127], v[124:125]
	v_mul_f64_e32 v[124:125], v[128:129], v[124:125]
	v_add_f64_e32 v[116:117], v[134:135], v[166:167]
	v_add_f64_e32 v[118:119], v[136:137], v[164:165]
	v_fmac_f64_e32 v[158:159], v[6:7], v[138:139]
	v_fma_f64 v[134:135], v[4:5], v[138:139], -v[140:141]
	v_fmac_f64_e32 v[120:121], v[128:129], v[122:123]
	v_fma_f64 v[122:123], v[126:127], v[122:123], -v[124:125]
	v_add_f64_e32 v[136:137], v[116:117], v[114:115]
	v_add_f64_e32 v[118:119], v[118:119], v[162:163]
	ds_load_b128 v[4:7], v2 offset:1280
	ds_load_b128 v[114:117], v2 offset:1296
	s_wait_loadcnt_dscnt 0x701
	v_mul_f64_e32 v[138:139], v[4:5], v[156:157]
	v_mul_f64_e32 v[140:141], v[6:7], v[156:157]
	s_wait_loadcnt_dscnt 0x600
	v_mul_f64_e32 v[126:127], v[114:115], v[10:11]
	v_mul_f64_e32 v[10:11], v[116:117], v[10:11]
	v_add_f64_e32 v[124:125], v[136:137], v[134:135]
	v_add_f64_e32 v[118:119], v[118:119], v[158:159]
	v_fmac_f64_e32 v[138:139], v[6:7], v[154:155]
	v_fma_f64 v[128:129], v[4:5], v[154:155], -v[140:141]
	v_fmac_f64_e32 v[126:127], v[116:117], v[8:9]
	v_fma_f64 v[8:9], v[114:115], v[8:9], -v[10:11]
	v_add_f64_e32 v[122:123], v[124:125], v[122:123]
	v_add_f64_e32 v[124:125], v[118:119], v[120:121]
	ds_load_b128 v[4:7], v2 offset:1312
	ds_load_b128 v[118:121], v2 offset:1328
	s_wait_loadcnt_dscnt 0x501
	v_mul_f64_e32 v[134:135], v[4:5], v[144:145]
	v_mul_f64_e32 v[136:137], v[6:7], v[144:145]
	;; [unrolled: 16-line block ×4, first 2 shown]
	s_wait_loadcnt_dscnt 0x0
	v_mul_f64_e32 v[14:15], v[106:107], v[112:113]
	v_mul_f64_e32 v[112:113], v[108:109], v[112:113]
	v_add_f64_e32 v[10:11], v[122:123], v[120:121]
	v_add_f64_e32 v[12:13], v[114:115], v[126:127]
	v_fmac_f64_e32 v[2:3], v[6:7], v[130:131]
	v_fma_f64 v[4:5], v[4:5], v[130:131], -v[116:117]
	v_fmac_f64_e32 v[14:15], v[108:109], v[110:111]
	v_add_f64_e32 v[6:7], v[10:11], v[8:9]
	v_add_f64_e32 v[8:9], v[12:13], v[118:119]
	v_fma_f64 v[10:11], v[106:107], v[110:111], -v[112:113]
	s_delay_alu instid0(VALU_DEP_3) | instskip(NEXT) | instid1(VALU_DEP_3)
	v_add_f64_e32 v[4:5], v[6:7], v[4:5]
	v_add_f64_e32 v[2:3], v[8:9], v[2:3]
	s_delay_alu instid0(VALU_DEP_2) | instskip(NEXT) | instid1(VALU_DEP_2)
	v_add_f64_e32 v[4:5], v[4:5], v[10:11]
	v_add_f64_e32 v[6:7], v[2:3], v[14:15]
	s_delay_alu instid0(VALU_DEP_2) | instskip(NEXT) | instid1(VALU_DEP_2)
	v_add_f64_e64 v[2:3], v[146:147], -v[4:5]
	v_add_f64_e64 v[4:5], v[148:149], -v[6:7]
	scratch_store_b128 off, v[2:5], off offset:176
	s_wait_xcnt 0x0
	v_cmpx_lt_u32_e32 10, v1
	s_cbranch_execz .LBB43_257
; %bb.256:
	scratch_load_b128 v[2:5], off, s48
	v_mov_b32_e32 v6, 0
	s_delay_alu instid0(VALU_DEP_1)
	v_dual_mov_b32 v7, v6 :: v_dual_mov_b32 v8, v6
	v_mov_b32_e32 v9, v6
	scratch_store_b128 off, v[6:9], off offset:160
	s_wait_loadcnt 0x0
	ds_store_b128 v104, v[2:5]
.LBB43_257:
	s_wait_xcnt 0x0
	s_or_b32 exec_lo, exec_lo, s2
	s_wait_storecnt_dscnt 0x0
	s_barrier_signal -1
	s_barrier_wait -1
	s_clause 0x9
	scratch_load_b128 v[4:7], off, off offset:176
	scratch_load_b128 v[8:11], off, off offset:192
	;; [unrolled: 1-line block ×10, first 2 shown]
	v_mov_b32_e32 v2, 0
	s_mov_b32 s2, exec_lo
	ds_load_b128 v[134:137], v2 offset:880
	s_clause 0x2
	scratch_load_b128 v[138:141], off, off offset:336
	scratch_load_b128 v[142:145], off, off offset:160
	;; [unrolled: 1-line block ×3, first 2 shown]
	s_wait_loadcnt_dscnt 0xc00
	v_mul_f64_e32 v[154:155], v[136:137], v[6:7]
	v_mul_f64_e32 v[158:159], v[134:135], v[6:7]
	ds_load_b128 v[146:149], v2 offset:896
	v_fma_f64 v[162:163], v[134:135], v[4:5], -v[154:155]
	v_fmac_f64_e32 v[158:159], v[136:137], v[4:5]
	ds_load_b128 v[4:7], v2 offset:912
	s_wait_loadcnt_dscnt 0xb01
	v_mul_f64_e32 v[160:161], v[146:147], v[10:11]
	v_mul_f64_e32 v[10:11], v[148:149], v[10:11]
	scratch_load_b128 v[134:137], off, off offset:368
	ds_load_b128 v[154:157], v2 offset:928
	s_wait_loadcnt_dscnt 0xb01
	v_mul_f64_e32 v[164:165], v[4:5], v[14:15]
	v_mul_f64_e32 v[14:15], v[6:7], v[14:15]
	v_add_f64_e32 v[158:159], 0, v[158:159]
	v_fmac_f64_e32 v[160:161], v[148:149], v[8:9]
	v_fma_f64 v[146:147], v[146:147], v[8:9], -v[10:11]
	v_add_f64_e32 v[148:149], 0, v[162:163]
	scratch_load_b128 v[8:11], off, off offset:384
	v_fmac_f64_e32 v[164:165], v[6:7], v[12:13]
	v_fma_f64 v[166:167], v[4:5], v[12:13], -v[14:15]
	ds_load_b128 v[4:7], v2 offset:944
	s_wait_loadcnt_dscnt 0xb01
	v_mul_f64_e32 v[162:163], v[154:155], v[108:109]
	v_mul_f64_e32 v[108:109], v[156:157], v[108:109]
	scratch_load_b128 v[12:15], off, off offset:400
	v_add_f64_e32 v[158:159], v[158:159], v[160:161]
	v_add_f64_e32 v[168:169], v[148:149], v[146:147]
	ds_load_b128 v[146:149], v2 offset:960
	s_wait_loadcnt_dscnt 0xb01
	v_mul_f64_e32 v[160:161], v[4:5], v[112:113]
	v_mul_f64_e32 v[112:113], v[6:7], v[112:113]
	v_fmac_f64_e32 v[162:163], v[156:157], v[106:107]
	v_fma_f64 v[154:155], v[154:155], v[106:107], -v[108:109]
	scratch_load_b128 v[106:109], off, off offset:416
	v_add_f64_e32 v[158:159], v[158:159], v[164:165]
	v_add_f64_e32 v[156:157], v[168:169], v[166:167]
	v_fmac_f64_e32 v[160:161], v[6:7], v[110:111]
	v_fma_f64 v[166:167], v[4:5], v[110:111], -v[112:113]
	ds_load_b128 v[4:7], v2 offset:976
	s_wait_loadcnt_dscnt 0xb01
	v_mul_f64_e32 v[164:165], v[146:147], v[116:117]
	v_mul_f64_e32 v[116:117], v[148:149], v[116:117]
	scratch_load_b128 v[110:113], off, off offset:432
	v_add_f64_e32 v[158:159], v[158:159], v[162:163]
	s_wait_loadcnt_dscnt 0xb00
	v_mul_f64_e32 v[162:163], v[4:5], v[120:121]
	v_add_f64_e32 v[168:169], v[156:157], v[154:155]
	v_mul_f64_e32 v[120:121], v[6:7], v[120:121]
	ds_load_b128 v[154:157], v2 offset:992
	v_fmac_f64_e32 v[164:165], v[148:149], v[114:115]
	v_fma_f64 v[146:147], v[146:147], v[114:115], -v[116:117]
	scratch_load_b128 v[114:117], off, off offset:448
	v_add_f64_e32 v[158:159], v[158:159], v[160:161]
	v_fmac_f64_e32 v[162:163], v[6:7], v[118:119]
	v_add_f64_e32 v[148:149], v[168:169], v[166:167]
	v_fma_f64 v[166:167], v[4:5], v[118:119], -v[120:121]
	ds_load_b128 v[4:7], v2 offset:1008
	s_wait_loadcnt_dscnt 0xb01
	v_mul_f64_e32 v[160:161], v[154:155], v[124:125]
	v_mul_f64_e32 v[124:125], v[156:157], v[124:125]
	scratch_load_b128 v[118:121], off, off offset:464
	v_add_f64_e32 v[158:159], v[158:159], v[164:165]
	s_wait_loadcnt_dscnt 0xb00
	v_mul_f64_e32 v[164:165], v[4:5], v[128:129]
	v_add_f64_e32 v[168:169], v[148:149], v[146:147]
	v_mul_f64_e32 v[128:129], v[6:7], v[128:129]
	ds_load_b128 v[146:149], v2 offset:1024
	v_fmac_f64_e32 v[160:161], v[156:157], v[122:123]
	v_fma_f64 v[154:155], v[154:155], v[122:123], -v[124:125]
	scratch_load_b128 v[122:125], off, off offset:480
	v_add_f64_e32 v[158:159], v[158:159], v[162:163]
	v_fmac_f64_e32 v[164:165], v[6:7], v[126:127]
	v_add_f64_e32 v[156:157], v[168:169], v[166:167]
	;; [unrolled: 18-line block ×3, first 2 shown]
	v_fma_f64 v[166:167], v[4:5], v[138:139], -v[140:141]
	ds_load_b128 v[4:7], v2 offset:1072
	s_wait_loadcnt_dscnt 0xa01
	v_mul_f64_e32 v[164:165], v[154:155], v[152:153]
	v_mul_f64_e32 v[152:153], v[156:157], v[152:153]
	scratch_load_b128 v[138:141], off, off offset:528
	v_add_f64_e32 v[158:159], v[158:159], v[162:163]
	v_add_f64_e32 v[168:169], v[148:149], v[146:147]
	s_wait_loadcnt_dscnt 0xa00
	v_mul_f64_e32 v[162:163], v[4:5], v[136:137]
	v_mul_f64_e32 v[136:137], v[6:7], v[136:137]
	v_fmac_f64_e32 v[164:165], v[156:157], v[150:151]
	v_fma_f64 v[154:155], v[154:155], v[150:151], -v[152:153]
	ds_load_b128 v[146:149], v2 offset:1088
	scratch_load_b128 v[150:153], off, off offset:544
	v_add_f64_e32 v[158:159], v[158:159], v[160:161]
	v_add_f64_e32 v[156:157], v[168:169], v[166:167]
	v_fmac_f64_e32 v[162:163], v[6:7], v[134:135]
	v_fma_f64 v[166:167], v[4:5], v[134:135], -v[136:137]
	ds_load_b128 v[4:7], v2 offset:1104
	s_wait_loadcnt_dscnt 0xa01
	v_mul_f64_e32 v[160:161], v[146:147], v[10:11]
	v_mul_f64_e32 v[10:11], v[148:149], v[10:11]
	scratch_load_b128 v[134:137], off, off offset:560
	v_add_f64_e32 v[158:159], v[158:159], v[164:165]
	s_wait_loadcnt_dscnt 0xa00
	v_mul_f64_e32 v[164:165], v[4:5], v[14:15]
	v_add_f64_e32 v[168:169], v[156:157], v[154:155]
	v_mul_f64_e32 v[14:15], v[6:7], v[14:15]
	ds_load_b128 v[154:157], v2 offset:1120
	v_fmac_f64_e32 v[160:161], v[148:149], v[8:9]
	v_fma_f64 v[146:147], v[146:147], v[8:9], -v[10:11]
	scratch_load_b128 v[8:11], off, off offset:576
	v_add_f64_e32 v[158:159], v[158:159], v[162:163]
	v_fmac_f64_e32 v[164:165], v[6:7], v[12:13]
	v_add_f64_e32 v[148:149], v[168:169], v[166:167]
	v_fma_f64 v[166:167], v[4:5], v[12:13], -v[14:15]
	ds_load_b128 v[4:7], v2 offset:1136
	s_wait_loadcnt_dscnt 0xa01
	v_mul_f64_e32 v[162:163], v[154:155], v[108:109]
	v_mul_f64_e32 v[108:109], v[156:157], v[108:109]
	scratch_load_b128 v[12:15], off, off offset:592
	v_add_f64_e32 v[158:159], v[158:159], v[160:161]
	s_wait_loadcnt_dscnt 0xa00
	v_mul_f64_e32 v[160:161], v[4:5], v[112:113]
	v_add_f64_e32 v[168:169], v[148:149], v[146:147]
	v_mul_f64_e32 v[112:113], v[6:7], v[112:113]
	ds_load_b128 v[146:149], v2 offset:1152
	v_fmac_f64_e32 v[162:163], v[156:157], v[106:107]
	v_fma_f64 v[154:155], v[154:155], v[106:107], -v[108:109]
	scratch_load_b128 v[106:109], off, off offset:608
	v_add_f64_e32 v[158:159], v[158:159], v[164:165]
	v_fmac_f64_e32 v[160:161], v[6:7], v[110:111]
	v_add_f64_e32 v[156:157], v[168:169], v[166:167]
	;; [unrolled: 18-line block ×4, first 2 shown]
	v_fma_f64 v[166:167], v[4:5], v[126:127], -v[128:129]
	ds_load_b128 v[4:7], v2 offset:1232
	s_wait_loadcnt_dscnt 0xa01
	v_mul_f64_e32 v[162:163], v[146:147], v[132:133]
	v_mul_f64_e32 v[132:133], v[148:149], v[132:133]
	scratch_load_b128 v[126:129], off, off offset:688
	v_add_f64_e32 v[158:159], v[158:159], v[160:161]
	s_wait_loadcnt_dscnt 0xa00
	v_mul_f64_e32 v[160:161], v[4:5], v[140:141]
	v_add_f64_e32 v[168:169], v[156:157], v[154:155]
	v_mul_f64_e32 v[140:141], v[6:7], v[140:141]
	ds_load_b128 v[154:157], v2 offset:1248
	v_fmac_f64_e32 v[162:163], v[148:149], v[130:131]
	v_fma_f64 v[130:131], v[146:147], v[130:131], -v[132:133]
	s_wait_loadcnt_dscnt 0x900
	v_mul_f64_e32 v[148:149], v[154:155], v[152:153]
	v_mul_f64_e32 v[152:153], v[156:157], v[152:153]
	v_add_f64_e32 v[146:147], v[158:159], v[164:165]
	v_fmac_f64_e32 v[160:161], v[6:7], v[138:139]
	v_add_f64_e32 v[132:133], v[168:169], v[166:167]
	v_fma_f64 v[138:139], v[4:5], v[138:139], -v[140:141]
	v_fmac_f64_e32 v[148:149], v[156:157], v[150:151]
	v_fma_f64 v[150:151], v[154:155], v[150:151], -v[152:153]
	v_add_f64_e32 v[146:147], v[146:147], v[162:163]
	v_add_f64_e32 v[140:141], v[132:133], v[130:131]
	ds_load_b128 v[4:7], v2 offset:1264
	ds_load_b128 v[130:133], v2 offset:1280
	s_wait_loadcnt_dscnt 0x801
	v_mul_f64_e32 v[158:159], v[4:5], v[136:137]
	v_mul_f64_e32 v[136:137], v[6:7], v[136:137]
	v_add_f64_e32 v[138:139], v[140:141], v[138:139]
	v_add_f64_e32 v[140:141], v[146:147], v[160:161]
	s_wait_loadcnt_dscnt 0x700
	v_mul_f64_e32 v[146:147], v[130:131], v[10:11]
	v_mul_f64_e32 v[10:11], v[132:133], v[10:11]
	v_fmac_f64_e32 v[158:159], v[6:7], v[134:135]
	v_fma_f64 v[152:153], v[4:5], v[134:135], -v[136:137]
	ds_load_b128 v[4:7], v2 offset:1296
	ds_load_b128 v[134:137], v2 offset:1312
	v_add_f64_e32 v[138:139], v[138:139], v[150:151]
	v_add_f64_e32 v[140:141], v[140:141], v[148:149]
	v_fmac_f64_e32 v[146:147], v[132:133], v[8:9]
	v_fma_f64 v[8:9], v[130:131], v[8:9], -v[10:11]
	s_wait_loadcnt_dscnt 0x601
	v_mul_f64_e32 v[148:149], v[4:5], v[14:15]
	v_mul_f64_e32 v[14:15], v[6:7], v[14:15]
	s_wait_loadcnt_dscnt 0x500
	v_mul_f64_e32 v[132:133], v[134:135], v[108:109]
	v_mul_f64_e32 v[108:109], v[136:137], v[108:109]
	v_add_f64_e32 v[10:11], v[138:139], v[152:153]
	v_add_f64_e32 v[130:131], v[140:141], v[158:159]
	v_fmac_f64_e32 v[148:149], v[6:7], v[12:13]
	v_fma_f64 v[12:13], v[4:5], v[12:13], -v[14:15]
	v_fmac_f64_e32 v[132:133], v[136:137], v[106:107]
	v_fma_f64 v[106:107], v[134:135], v[106:107], -v[108:109]
	v_add_f64_e32 v[14:15], v[10:11], v[8:9]
	v_add_f64_e32 v[130:131], v[130:131], v[146:147]
	ds_load_b128 v[4:7], v2 offset:1328
	ds_load_b128 v[8:11], v2 offset:1344
	s_wait_loadcnt_dscnt 0x401
	v_mul_f64_e32 v[138:139], v[4:5], v[112:113]
	v_mul_f64_e32 v[112:113], v[6:7], v[112:113]
	s_wait_loadcnt_dscnt 0x300
	v_mul_f64_e32 v[108:109], v[8:9], v[116:117]
	v_mul_f64_e32 v[116:117], v[10:11], v[116:117]
	v_add_f64_e32 v[12:13], v[14:15], v[12:13]
	v_add_f64_e32 v[14:15], v[130:131], v[148:149]
	v_fmac_f64_e32 v[138:139], v[6:7], v[110:111]
	v_fma_f64 v[110:111], v[4:5], v[110:111], -v[112:113]
	v_fmac_f64_e32 v[108:109], v[10:11], v[114:115]
	v_fma_f64 v[8:9], v[8:9], v[114:115], -v[116:117]
	v_add_f64_e32 v[106:107], v[12:13], v[106:107]
	v_add_f64_e32 v[112:113], v[14:15], v[132:133]
	ds_load_b128 v[4:7], v2 offset:1360
	ds_load_b128 v[12:15], v2 offset:1376
	s_wait_loadcnt_dscnt 0x201
	v_mul_f64_e32 v[130:131], v[4:5], v[120:121]
	v_mul_f64_e32 v[120:121], v[6:7], v[120:121]
	v_add_f64_e32 v[10:11], v[106:107], v[110:111]
	v_add_f64_e32 v[106:107], v[112:113], v[138:139]
	s_wait_loadcnt_dscnt 0x100
	v_mul_f64_e32 v[110:111], v[12:13], v[124:125]
	v_mul_f64_e32 v[112:113], v[14:15], v[124:125]
	v_fmac_f64_e32 v[130:131], v[6:7], v[118:119]
	v_fma_f64 v[114:115], v[4:5], v[118:119], -v[120:121]
	ds_load_b128 v[4:7], v2 offset:1392
	v_add_f64_e32 v[8:9], v[10:11], v[8:9]
	v_add_f64_e32 v[10:11], v[106:107], v[108:109]
	v_fmac_f64_e32 v[110:111], v[14:15], v[122:123]
	v_fma_f64 v[12:13], v[12:13], v[122:123], -v[112:113]
	s_wait_loadcnt_dscnt 0x0
	v_mul_f64_e32 v[106:107], v[4:5], v[128:129]
	v_mul_f64_e32 v[108:109], v[6:7], v[128:129]
	v_add_f64_e32 v[8:9], v[8:9], v[114:115]
	v_add_f64_e32 v[10:11], v[10:11], v[130:131]
	s_delay_alu instid0(VALU_DEP_4) | instskip(NEXT) | instid1(VALU_DEP_4)
	v_fmac_f64_e32 v[106:107], v[6:7], v[126:127]
	v_fma_f64 v[4:5], v[4:5], v[126:127], -v[108:109]
	s_delay_alu instid0(VALU_DEP_4) | instskip(NEXT) | instid1(VALU_DEP_4)
	v_add_f64_e32 v[6:7], v[8:9], v[12:13]
	v_add_f64_e32 v[8:9], v[10:11], v[110:111]
	s_delay_alu instid0(VALU_DEP_2) | instskip(NEXT) | instid1(VALU_DEP_2)
	v_add_f64_e32 v[4:5], v[6:7], v[4:5]
	v_add_f64_e32 v[6:7], v[8:9], v[106:107]
	s_delay_alu instid0(VALU_DEP_2) | instskip(NEXT) | instid1(VALU_DEP_2)
	v_add_f64_e64 v[4:5], v[142:143], -v[4:5]
	v_add_f64_e64 v[6:7], v[144:145], -v[6:7]
	scratch_store_b128 off, v[4:7], off offset:160
	s_wait_xcnt 0x0
	v_cmpx_lt_u32_e32 9, v1
	s_cbranch_execz .LBB43_259
; %bb.258:
	scratch_load_b128 v[6:9], off, s46
	v_dual_mov_b32 v3, v2 :: v_dual_mov_b32 v4, v2
	v_mov_b32_e32 v5, v2
	scratch_store_b128 off, v[2:5], off offset:144
	s_wait_loadcnt 0x0
	ds_store_b128 v104, v[6:9]
.LBB43_259:
	s_wait_xcnt 0x0
	s_or_b32 exec_lo, exec_lo, s2
	s_wait_storecnt_dscnt 0x0
	s_barrier_signal -1
	s_barrier_wait -1
	s_clause 0x9
	scratch_load_b128 v[4:7], off, off offset:160
	scratch_load_b128 v[8:11], off, off offset:176
	;; [unrolled: 1-line block ×10, first 2 shown]
	ds_load_b128 v[134:137], v2 offset:864
	ds_load_b128 v[142:145], v2 offset:880
	s_clause 0x2
	scratch_load_b128 v[138:141], off, off offset:320
	scratch_load_b128 v[146:149], off, off offset:144
	;; [unrolled: 1-line block ×3, first 2 shown]
	s_mov_b32 s2, exec_lo
	s_wait_loadcnt_dscnt 0xc01
	v_mul_f64_e32 v[154:155], v[136:137], v[6:7]
	v_mul_f64_e32 v[158:159], v[134:135], v[6:7]
	s_wait_loadcnt_dscnt 0xb00
	v_mul_f64_e32 v[160:161], v[142:143], v[10:11]
	v_mul_f64_e32 v[10:11], v[144:145], v[10:11]
	s_delay_alu instid0(VALU_DEP_4) | instskip(NEXT) | instid1(VALU_DEP_4)
	v_fma_f64 v[162:163], v[134:135], v[4:5], -v[154:155]
	v_fmac_f64_e32 v[158:159], v[136:137], v[4:5]
	ds_load_b128 v[4:7], v2 offset:896
	ds_load_b128 v[134:137], v2 offset:912
	scratch_load_b128 v[154:157], off, off offset:352
	v_fmac_f64_e32 v[160:161], v[144:145], v[8:9]
	v_fma_f64 v[142:143], v[142:143], v[8:9], -v[10:11]
	scratch_load_b128 v[8:11], off, off offset:368
	s_wait_loadcnt_dscnt 0xc01
	v_mul_f64_e32 v[164:165], v[4:5], v[14:15]
	v_mul_f64_e32 v[14:15], v[6:7], v[14:15]
	v_add_f64_e32 v[144:145], 0, v[162:163]
	v_add_f64_e32 v[158:159], 0, v[158:159]
	s_wait_loadcnt_dscnt 0xb00
	v_mul_f64_e32 v[162:163], v[134:135], v[108:109]
	v_mul_f64_e32 v[108:109], v[136:137], v[108:109]
	v_fmac_f64_e32 v[164:165], v[6:7], v[12:13]
	v_fma_f64 v[166:167], v[4:5], v[12:13], -v[14:15]
	ds_load_b128 v[4:7], v2 offset:928
	ds_load_b128 v[12:15], v2 offset:944
	v_add_f64_e32 v[168:169], v[144:145], v[142:143]
	v_add_f64_e32 v[158:159], v[158:159], v[160:161]
	scratch_load_b128 v[142:145], off, off offset:384
	v_fmac_f64_e32 v[162:163], v[136:137], v[106:107]
	v_fma_f64 v[134:135], v[134:135], v[106:107], -v[108:109]
	scratch_load_b128 v[106:109], off, off offset:400
	s_wait_loadcnt_dscnt 0xc01
	v_mul_f64_e32 v[160:161], v[4:5], v[112:113]
	v_mul_f64_e32 v[112:113], v[6:7], v[112:113]
	v_add_f64_e32 v[136:137], v[168:169], v[166:167]
	v_add_f64_e32 v[158:159], v[158:159], v[164:165]
	s_wait_loadcnt_dscnt 0xb00
	v_mul_f64_e32 v[164:165], v[12:13], v[116:117]
	v_mul_f64_e32 v[116:117], v[14:15], v[116:117]
	v_fmac_f64_e32 v[160:161], v[6:7], v[110:111]
	v_fma_f64 v[166:167], v[4:5], v[110:111], -v[112:113]
	ds_load_b128 v[4:7], v2 offset:960
	ds_load_b128 v[110:113], v2 offset:976
	v_add_f64_e32 v[168:169], v[136:137], v[134:135]
	v_add_f64_e32 v[158:159], v[158:159], v[162:163]
	scratch_load_b128 v[134:137], off, off offset:416
	s_wait_loadcnt_dscnt 0xb01
	v_mul_f64_e32 v[162:163], v[4:5], v[120:121]
	v_mul_f64_e32 v[120:121], v[6:7], v[120:121]
	v_fmac_f64_e32 v[164:165], v[14:15], v[114:115]
	v_fma_f64 v[114:115], v[12:13], v[114:115], -v[116:117]
	scratch_load_b128 v[12:15], off, off offset:432
	v_add_f64_e32 v[116:117], v[168:169], v[166:167]
	v_add_f64_e32 v[158:159], v[158:159], v[160:161]
	s_wait_loadcnt_dscnt 0xb00
	v_mul_f64_e32 v[160:161], v[110:111], v[124:125]
	v_mul_f64_e32 v[124:125], v[112:113], v[124:125]
	v_fmac_f64_e32 v[162:163], v[6:7], v[118:119]
	v_fma_f64 v[166:167], v[4:5], v[118:119], -v[120:121]
	v_add_f64_e32 v[168:169], v[116:117], v[114:115]
	v_add_f64_e32 v[158:159], v[158:159], v[164:165]
	ds_load_b128 v[4:7], v2 offset:992
	ds_load_b128 v[114:117], v2 offset:1008
	scratch_load_b128 v[118:121], off, off offset:448
	v_fmac_f64_e32 v[160:161], v[112:113], v[122:123]
	v_fma_f64 v[122:123], v[110:111], v[122:123], -v[124:125]
	scratch_load_b128 v[110:113], off, off offset:464
	s_wait_loadcnt_dscnt 0xc01
	v_mul_f64_e32 v[164:165], v[4:5], v[128:129]
	v_mul_f64_e32 v[128:129], v[6:7], v[128:129]
	v_add_f64_e32 v[124:125], v[168:169], v[166:167]
	v_add_f64_e32 v[158:159], v[158:159], v[162:163]
	s_wait_loadcnt_dscnt 0xb00
	v_mul_f64_e32 v[162:163], v[114:115], v[132:133]
	v_mul_f64_e32 v[132:133], v[116:117], v[132:133]
	v_fmac_f64_e32 v[164:165], v[6:7], v[126:127]
	v_fma_f64 v[166:167], v[4:5], v[126:127], -v[128:129]
	v_add_f64_e32 v[168:169], v[124:125], v[122:123]
	v_add_f64_e32 v[158:159], v[158:159], v[160:161]
	ds_load_b128 v[4:7], v2 offset:1024
	ds_load_b128 v[122:125], v2 offset:1040
	scratch_load_b128 v[126:129], off, off offset:480
	v_fmac_f64_e32 v[162:163], v[116:117], v[130:131]
	v_fma_f64 v[130:131], v[114:115], v[130:131], -v[132:133]
	scratch_load_b128 v[114:117], off, off offset:496
	s_wait_loadcnt_dscnt 0xc01
	v_mul_f64_e32 v[160:161], v[4:5], v[140:141]
	v_mul_f64_e32 v[140:141], v[6:7], v[140:141]
	;; [unrolled: 18-line block ×5, first 2 shown]
	v_add_f64_e32 v[152:153], v[168:169], v[166:167]
	v_add_f64_e32 v[158:159], v[158:159], v[164:165]
	s_wait_loadcnt_dscnt 0xa00
	v_mul_f64_e32 v[164:165], v[130:131], v[14:15]
	v_mul_f64_e32 v[14:15], v[132:133], v[14:15]
	v_fmac_f64_e32 v[160:161], v[6:7], v[134:135]
	v_fma_f64 v[166:167], v[4:5], v[134:135], -v[136:137]
	ds_load_b128 v[4:7], v2 offset:1152
	ds_load_b128 v[134:137], v2 offset:1168
	v_add_f64_e32 v[168:169], v[152:153], v[150:151]
	v_add_f64_e32 v[158:159], v[158:159], v[162:163]
	scratch_load_b128 v[150:153], off, off offset:608
	v_fmac_f64_e32 v[164:165], v[132:133], v[12:13]
	v_fma_f64 v[130:131], v[130:131], v[12:13], -v[14:15]
	scratch_load_b128 v[12:15], off, off offset:624
	s_wait_loadcnt_dscnt 0xb01
	v_mul_f64_e32 v[162:163], v[4:5], v[120:121]
	v_mul_f64_e32 v[120:121], v[6:7], v[120:121]
	v_add_f64_e32 v[132:133], v[168:169], v[166:167]
	v_add_f64_e32 v[158:159], v[158:159], v[160:161]
	s_wait_loadcnt_dscnt 0xa00
	v_mul_f64_e32 v[160:161], v[134:135], v[112:113]
	v_mul_f64_e32 v[112:113], v[136:137], v[112:113]
	v_fmac_f64_e32 v[162:163], v[6:7], v[118:119]
	v_fma_f64 v[166:167], v[4:5], v[118:119], -v[120:121]
	ds_load_b128 v[4:7], v2 offset:1184
	ds_load_b128 v[118:121], v2 offset:1200
	v_add_f64_e32 v[168:169], v[132:133], v[130:131]
	v_add_f64_e32 v[158:159], v[158:159], v[164:165]
	scratch_load_b128 v[130:133], off, off offset:640
	s_wait_loadcnt_dscnt 0xa01
	v_mul_f64_e32 v[164:165], v[4:5], v[128:129]
	v_mul_f64_e32 v[128:129], v[6:7], v[128:129]
	v_fmac_f64_e32 v[160:161], v[136:137], v[110:111]
	v_fma_f64 v[134:135], v[134:135], v[110:111], -v[112:113]
	scratch_load_b128 v[110:113], off, off offset:656
	v_add_f64_e32 v[136:137], v[168:169], v[166:167]
	v_add_f64_e32 v[158:159], v[158:159], v[162:163]
	s_wait_loadcnt_dscnt 0xa00
	v_mul_f64_e32 v[162:163], v[118:119], v[116:117]
	v_mul_f64_e32 v[116:117], v[120:121], v[116:117]
	v_fmac_f64_e32 v[164:165], v[6:7], v[126:127]
	v_fma_f64 v[166:167], v[4:5], v[126:127], -v[128:129]
	ds_load_b128 v[4:7], v2 offset:1216
	ds_load_b128 v[126:129], v2 offset:1232
	v_add_f64_e32 v[168:169], v[136:137], v[134:135]
	v_add_f64_e32 v[158:159], v[158:159], v[160:161]
	scratch_load_b128 v[134:137], off, off offset:672
	s_wait_loadcnt_dscnt 0xa01
	v_mul_f64_e32 v[160:161], v[4:5], v[140:141]
	v_mul_f64_e32 v[140:141], v[6:7], v[140:141]
	v_fmac_f64_e32 v[162:163], v[120:121], v[114:115]
	v_fma_f64 v[118:119], v[118:119], v[114:115], -v[116:117]
	scratch_load_b128 v[114:117], off, off offset:688
	v_add_f64_e32 v[120:121], v[168:169], v[166:167]
	v_add_f64_e32 v[158:159], v[158:159], v[164:165]
	s_wait_loadcnt_dscnt 0xa00
	v_mul_f64_e32 v[164:165], v[126:127], v[124:125]
	v_mul_f64_e32 v[124:125], v[128:129], v[124:125]
	v_fmac_f64_e32 v[160:161], v[6:7], v[138:139]
	v_fma_f64 v[138:139], v[4:5], v[138:139], -v[140:141]
	v_add_f64_e32 v[140:141], v[120:121], v[118:119]
	v_add_f64_e32 v[158:159], v[158:159], v[162:163]
	ds_load_b128 v[4:7], v2 offset:1248
	ds_load_b128 v[118:121], v2 offset:1264
	v_fmac_f64_e32 v[164:165], v[128:129], v[122:123]
	v_fma_f64 v[122:123], v[126:127], v[122:123], -v[124:125]
	s_wait_loadcnt_dscnt 0x901
	v_mul_f64_e32 v[162:163], v[4:5], v[156:157]
	v_mul_f64_e32 v[156:157], v[6:7], v[156:157]
	s_wait_loadcnt_dscnt 0x800
	v_mul_f64_e32 v[128:129], v[118:119], v[10:11]
	v_mul_f64_e32 v[10:11], v[120:121], v[10:11]
	v_add_f64_e32 v[124:125], v[140:141], v[138:139]
	v_add_f64_e32 v[126:127], v[158:159], v[160:161]
	v_fmac_f64_e32 v[162:163], v[6:7], v[154:155]
	v_fma_f64 v[138:139], v[4:5], v[154:155], -v[156:157]
	v_fmac_f64_e32 v[128:129], v[120:121], v[8:9]
	v_fma_f64 v[8:9], v[118:119], v[8:9], -v[10:11]
	v_add_f64_e32 v[140:141], v[124:125], v[122:123]
	v_add_f64_e32 v[126:127], v[126:127], v[164:165]
	ds_load_b128 v[4:7], v2 offset:1280
	ds_load_b128 v[122:125], v2 offset:1296
	s_wait_loadcnt_dscnt 0x701
	v_mul_f64_e32 v[154:155], v[4:5], v[144:145]
	v_mul_f64_e32 v[144:145], v[6:7], v[144:145]
	s_wait_loadcnt_dscnt 0x600
	v_mul_f64_e32 v[120:121], v[122:123], v[108:109]
	v_mul_f64_e32 v[108:109], v[124:125], v[108:109]
	v_add_f64_e32 v[10:11], v[140:141], v[138:139]
	v_add_f64_e32 v[118:119], v[126:127], v[162:163]
	v_fmac_f64_e32 v[154:155], v[6:7], v[142:143]
	v_fma_f64 v[126:127], v[4:5], v[142:143], -v[144:145]
	v_fmac_f64_e32 v[120:121], v[124:125], v[106:107]
	v_fma_f64 v[106:107], v[122:123], v[106:107], -v[108:109]
	v_add_f64_e32 v[138:139], v[10:11], v[8:9]
	v_add_f64_e32 v[118:119], v[118:119], v[128:129]
	ds_load_b128 v[4:7], v2 offset:1312
	ds_load_b128 v[8:11], v2 offset:1328
	;; [unrolled: 16-line block ×4, first 2 shown]
	s_wait_loadcnt_dscnt 0x101
	v_mul_f64_e32 v[2:3], v[4:5], v[136:137]
	v_mul_f64_e32 v[122:123], v[6:7], v[136:137]
	s_wait_loadcnt_dscnt 0x0
	v_mul_f64_e32 v[110:111], v[8:9], v[116:117]
	v_mul_f64_e32 v[112:113], v[10:11], v[116:117]
	v_add_f64_e32 v[108:109], v[124:125], v[118:119]
	v_add_f64_e32 v[12:13], v[12:13], v[120:121]
	v_fmac_f64_e32 v[2:3], v[6:7], v[134:135]
	v_fma_f64 v[4:5], v[4:5], v[134:135], -v[122:123]
	v_fmac_f64_e32 v[110:111], v[10:11], v[114:115]
	v_fma_f64 v[8:9], v[8:9], v[114:115], -v[112:113]
	v_add_f64_e32 v[6:7], v[108:109], v[106:107]
	v_add_f64_e32 v[12:13], v[12:13], v[14:15]
	s_delay_alu instid0(VALU_DEP_2) | instskip(NEXT) | instid1(VALU_DEP_2)
	v_add_f64_e32 v[4:5], v[6:7], v[4:5]
	v_add_f64_e32 v[2:3], v[12:13], v[2:3]
	s_delay_alu instid0(VALU_DEP_2) | instskip(NEXT) | instid1(VALU_DEP_2)
	;; [unrolled: 3-line block ×3, first 2 shown]
	v_add_f64_e64 v[2:3], v[146:147], -v[4:5]
	v_add_f64_e64 v[4:5], v[148:149], -v[6:7]
	scratch_store_b128 off, v[2:5], off offset:144
	s_wait_xcnt 0x0
	v_cmpx_lt_u32_e32 8, v1
	s_cbranch_execz .LBB43_261
; %bb.260:
	scratch_load_b128 v[2:5], off, s45
	v_mov_b32_e32 v6, 0
	s_delay_alu instid0(VALU_DEP_1)
	v_dual_mov_b32 v7, v6 :: v_dual_mov_b32 v8, v6
	v_mov_b32_e32 v9, v6
	scratch_store_b128 off, v[6:9], off offset:128
	s_wait_loadcnt 0x0
	ds_store_b128 v104, v[2:5]
.LBB43_261:
	s_wait_xcnt 0x0
	s_or_b32 exec_lo, exec_lo, s2
	s_wait_storecnt_dscnt 0x0
	s_barrier_signal -1
	s_barrier_wait -1
	s_clause 0x9
	scratch_load_b128 v[4:7], off, off offset:144
	scratch_load_b128 v[8:11], off, off offset:160
	;; [unrolled: 1-line block ×10, first 2 shown]
	v_mov_b32_e32 v2, 0
	s_mov_b32 s2, exec_lo
	ds_load_b128 v[134:137], v2 offset:848
	s_clause 0x2
	scratch_load_b128 v[138:141], off, off offset:304
	scratch_load_b128 v[142:145], off, off offset:128
	;; [unrolled: 1-line block ×3, first 2 shown]
	s_wait_loadcnt_dscnt 0xc00
	v_mul_f64_e32 v[154:155], v[136:137], v[6:7]
	v_mul_f64_e32 v[158:159], v[134:135], v[6:7]
	ds_load_b128 v[146:149], v2 offset:864
	v_fma_f64 v[162:163], v[134:135], v[4:5], -v[154:155]
	v_fmac_f64_e32 v[158:159], v[136:137], v[4:5]
	ds_load_b128 v[4:7], v2 offset:880
	s_wait_loadcnt_dscnt 0xb01
	v_mul_f64_e32 v[160:161], v[146:147], v[10:11]
	v_mul_f64_e32 v[10:11], v[148:149], v[10:11]
	scratch_load_b128 v[134:137], off, off offset:336
	ds_load_b128 v[154:157], v2 offset:896
	s_wait_loadcnt_dscnt 0xb01
	v_mul_f64_e32 v[164:165], v[4:5], v[14:15]
	v_mul_f64_e32 v[14:15], v[6:7], v[14:15]
	v_add_f64_e32 v[158:159], 0, v[158:159]
	v_fmac_f64_e32 v[160:161], v[148:149], v[8:9]
	v_fma_f64 v[146:147], v[146:147], v[8:9], -v[10:11]
	v_add_f64_e32 v[148:149], 0, v[162:163]
	scratch_load_b128 v[8:11], off, off offset:352
	v_fmac_f64_e32 v[164:165], v[6:7], v[12:13]
	v_fma_f64 v[166:167], v[4:5], v[12:13], -v[14:15]
	ds_load_b128 v[4:7], v2 offset:912
	s_wait_loadcnt_dscnt 0xb01
	v_mul_f64_e32 v[162:163], v[154:155], v[108:109]
	v_mul_f64_e32 v[108:109], v[156:157], v[108:109]
	scratch_load_b128 v[12:15], off, off offset:368
	v_add_f64_e32 v[158:159], v[158:159], v[160:161]
	v_add_f64_e32 v[168:169], v[148:149], v[146:147]
	ds_load_b128 v[146:149], v2 offset:928
	s_wait_loadcnt_dscnt 0xb01
	v_mul_f64_e32 v[160:161], v[4:5], v[112:113]
	v_mul_f64_e32 v[112:113], v[6:7], v[112:113]
	v_fmac_f64_e32 v[162:163], v[156:157], v[106:107]
	v_fma_f64 v[154:155], v[154:155], v[106:107], -v[108:109]
	scratch_load_b128 v[106:109], off, off offset:384
	v_add_f64_e32 v[158:159], v[158:159], v[164:165]
	v_add_f64_e32 v[156:157], v[168:169], v[166:167]
	v_fmac_f64_e32 v[160:161], v[6:7], v[110:111]
	v_fma_f64 v[166:167], v[4:5], v[110:111], -v[112:113]
	ds_load_b128 v[4:7], v2 offset:944
	s_wait_loadcnt_dscnt 0xb01
	v_mul_f64_e32 v[164:165], v[146:147], v[116:117]
	v_mul_f64_e32 v[116:117], v[148:149], v[116:117]
	scratch_load_b128 v[110:113], off, off offset:400
	v_add_f64_e32 v[158:159], v[158:159], v[162:163]
	s_wait_loadcnt_dscnt 0xb00
	v_mul_f64_e32 v[162:163], v[4:5], v[120:121]
	v_add_f64_e32 v[168:169], v[156:157], v[154:155]
	v_mul_f64_e32 v[120:121], v[6:7], v[120:121]
	ds_load_b128 v[154:157], v2 offset:960
	v_fmac_f64_e32 v[164:165], v[148:149], v[114:115]
	v_fma_f64 v[146:147], v[146:147], v[114:115], -v[116:117]
	scratch_load_b128 v[114:117], off, off offset:416
	v_add_f64_e32 v[158:159], v[158:159], v[160:161]
	v_fmac_f64_e32 v[162:163], v[6:7], v[118:119]
	v_add_f64_e32 v[148:149], v[168:169], v[166:167]
	v_fma_f64 v[166:167], v[4:5], v[118:119], -v[120:121]
	ds_load_b128 v[4:7], v2 offset:976
	s_wait_loadcnt_dscnt 0xb01
	v_mul_f64_e32 v[160:161], v[154:155], v[124:125]
	v_mul_f64_e32 v[124:125], v[156:157], v[124:125]
	scratch_load_b128 v[118:121], off, off offset:432
	v_add_f64_e32 v[158:159], v[158:159], v[164:165]
	s_wait_loadcnt_dscnt 0xb00
	v_mul_f64_e32 v[164:165], v[4:5], v[128:129]
	v_add_f64_e32 v[168:169], v[148:149], v[146:147]
	v_mul_f64_e32 v[128:129], v[6:7], v[128:129]
	ds_load_b128 v[146:149], v2 offset:992
	v_fmac_f64_e32 v[160:161], v[156:157], v[122:123]
	v_fma_f64 v[154:155], v[154:155], v[122:123], -v[124:125]
	scratch_load_b128 v[122:125], off, off offset:448
	v_add_f64_e32 v[158:159], v[158:159], v[162:163]
	v_fmac_f64_e32 v[164:165], v[6:7], v[126:127]
	v_add_f64_e32 v[156:157], v[168:169], v[166:167]
	;; [unrolled: 18-line block ×3, first 2 shown]
	v_fma_f64 v[166:167], v[4:5], v[138:139], -v[140:141]
	ds_load_b128 v[4:7], v2 offset:1040
	s_wait_loadcnt_dscnt 0xa01
	v_mul_f64_e32 v[164:165], v[154:155], v[152:153]
	v_mul_f64_e32 v[152:153], v[156:157], v[152:153]
	scratch_load_b128 v[138:141], off, off offset:496
	v_add_f64_e32 v[158:159], v[158:159], v[162:163]
	v_add_f64_e32 v[168:169], v[148:149], v[146:147]
	s_wait_loadcnt_dscnt 0xa00
	v_mul_f64_e32 v[162:163], v[4:5], v[136:137]
	v_mul_f64_e32 v[136:137], v[6:7], v[136:137]
	v_fmac_f64_e32 v[164:165], v[156:157], v[150:151]
	v_fma_f64 v[154:155], v[154:155], v[150:151], -v[152:153]
	ds_load_b128 v[146:149], v2 offset:1056
	scratch_load_b128 v[150:153], off, off offset:512
	v_add_f64_e32 v[158:159], v[158:159], v[160:161]
	v_add_f64_e32 v[156:157], v[168:169], v[166:167]
	v_fmac_f64_e32 v[162:163], v[6:7], v[134:135]
	v_fma_f64 v[166:167], v[4:5], v[134:135], -v[136:137]
	ds_load_b128 v[4:7], v2 offset:1072
	s_wait_loadcnt_dscnt 0xa01
	v_mul_f64_e32 v[160:161], v[146:147], v[10:11]
	v_mul_f64_e32 v[10:11], v[148:149], v[10:11]
	scratch_load_b128 v[134:137], off, off offset:528
	v_add_f64_e32 v[158:159], v[158:159], v[164:165]
	s_wait_loadcnt_dscnt 0xa00
	v_mul_f64_e32 v[164:165], v[4:5], v[14:15]
	v_add_f64_e32 v[168:169], v[156:157], v[154:155]
	v_mul_f64_e32 v[14:15], v[6:7], v[14:15]
	ds_load_b128 v[154:157], v2 offset:1088
	v_fmac_f64_e32 v[160:161], v[148:149], v[8:9]
	v_fma_f64 v[146:147], v[146:147], v[8:9], -v[10:11]
	scratch_load_b128 v[8:11], off, off offset:544
	v_add_f64_e32 v[158:159], v[158:159], v[162:163]
	v_fmac_f64_e32 v[164:165], v[6:7], v[12:13]
	v_add_f64_e32 v[148:149], v[168:169], v[166:167]
	v_fma_f64 v[166:167], v[4:5], v[12:13], -v[14:15]
	ds_load_b128 v[4:7], v2 offset:1104
	s_wait_loadcnt_dscnt 0xa01
	v_mul_f64_e32 v[162:163], v[154:155], v[108:109]
	v_mul_f64_e32 v[108:109], v[156:157], v[108:109]
	scratch_load_b128 v[12:15], off, off offset:560
	v_add_f64_e32 v[158:159], v[158:159], v[160:161]
	s_wait_loadcnt_dscnt 0xa00
	v_mul_f64_e32 v[160:161], v[4:5], v[112:113]
	v_add_f64_e32 v[168:169], v[148:149], v[146:147]
	v_mul_f64_e32 v[112:113], v[6:7], v[112:113]
	ds_load_b128 v[146:149], v2 offset:1120
	v_fmac_f64_e32 v[162:163], v[156:157], v[106:107]
	v_fma_f64 v[154:155], v[154:155], v[106:107], -v[108:109]
	scratch_load_b128 v[106:109], off, off offset:576
	v_add_f64_e32 v[158:159], v[158:159], v[164:165]
	v_fmac_f64_e32 v[160:161], v[6:7], v[110:111]
	v_add_f64_e32 v[156:157], v[168:169], v[166:167]
	;; [unrolled: 18-line block ×5, first 2 shown]
	v_fma_f64 v[166:167], v[4:5], v[138:139], -v[140:141]
	ds_load_b128 v[4:7], v2 offset:1232
	s_wait_loadcnt_dscnt 0xa01
	v_mul_f64_e32 v[164:165], v[154:155], v[152:153]
	v_mul_f64_e32 v[152:153], v[156:157], v[152:153]
	scratch_load_b128 v[138:141], off, off offset:688
	v_add_f64_e32 v[158:159], v[158:159], v[162:163]
	s_wait_loadcnt_dscnt 0xa00
	v_mul_f64_e32 v[162:163], v[4:5], v[136:137]
	v_add_f64_e32 v[168:169], v[148:149], v[146:147]
	v_mul_f64_e32 v[136:137], v[6:7], v[136:137]
	ds_load_b128 v[146:149], v2 offset:1248
	v_fmac_f64_e32 v[164:165], v[156:157], v[150:151]
	v_fma_f64 v[150:151], v[154:155], v[150:151], -v[152:153]
	s_wait_loadcnt_dscnt 0x900
	v_mul_f64_e32 v[156:157], v[146:147], v[10:11]
	v_mul_f64_e32 v[10:11], v[148:149], v[10:11]
	v_add_f64_e32 v[154:155], v[158:159], v[160:161]
	v_fmac_f64_e32 v[162:163], v[6:7], v[134:135]
	v_add_f64_e32 v[152:153], v[168:169], v[166:167]
	v_fma_f64 v[158:159], v[4:5], v[134:135], -v[136:137]
	ds_load_b128 v[4:7], v2 offset:1264
	ds_load_b128 v[134:137], v2 offset:1280
	v_fmac_f64_e32 v[156:157], v[148:149], v[8:9]
	v_fma_f64 v[8:9], v[146:147], v[8:9], -v[10:11]
	v_add_f64_e32 v[150:151], v[152:153], v[150:151]
	v_add_f64_e32 v[152:153], v[154:155], v[164:165]
	s_wait_loadcnt_dscnt 0x801
	v_mul_f64_e32 v[154:155], v[4:5], v[14:15]
	v_mul_f64_e32 v[14:15], v[6:7], v[14:15]
	s_wait_loadcnt_dscnt 0x700
	v_mul_f64_e32 v[148:149], v[134:135], v[108:109]
	v_mul_f64_e32 v[108:109], v[136:137], v[108:109]
	v_add_f64_e32 v[10:11], v[150:151], v[158:159]
	v_add_f64_e32 v[146:147], v[152:153], v[162:163]
	v_fmac_f64_e32 v[154:155], v[6:7], v[12:13]
	v_fma_f64 v[12:13], v[4:5], v[12:13], -v[14:15]
	v_fmac_f64_e32 v[148:149], v[136:137], v[106:107]
	v_fma_f64 v[106:107], v[134:135], v[106:107], -v[108:109]
	v_add_f64_e32 v[14:15], v[10:11], v[8:9]
	v_add_f64_e32 v[146:147], v[146:147], v[156:157]
	ds_load_b128 v[4:7], v2 offset:1296
	ds_load_b128 v[8:11], v2 offset:1312
	s_wait_loadcnt_dscnt 0x601
	v_mul_f64_e32 v[150:151], v[4:5], v[112:113]
	v_mul_f64_e32 v[112:113], v[6:7], v[112:113]
	s_wait_loadcnt_dscnt 0x500
	v_mul_f64_e32 v[108:109], v[8:9], v[116:117]
	v_mul_f64_e32 v[116:117], v[10:11], v[116:117]
	v_add_f64_e32 v[12:13], v[14:15], v[12:13]
	v_add_f64_e32 v[14:15], v[146:147], v[154:155]
	v_fmac_f64_e32 v[150:151], v[6:7], v[110:111]
	v_fma_f64 v[110:111], v[4:5], v[110:111], -v[112:113]
	v_fmac_f64_e32 v[108:109], v[10:11], v[114:115]
	v_fma_f64 v[8:9], v[8:9], v[114:115], -v[116:117]
	v_add_f64_e32 v[106:107], v[12:13], v[106:107]
	v_add_f64_e32 v[112:113], v[14:15], v[148:149]
	ds_load_b128 v[4:7], v2 offset:1328
	ds_load_b128 v[12:15], v2 offset:1344
	s_wait_loadcnt_dscnt 0x401
	v_mul_f64_e32 v[134:135], v[4:5], v[120:121]
	v_mul_f64_e32 v[120:121], v[6:7], v[120:121]
	v_add_f64_e32 v[10:11], v[106:107], v[110:111]
	v_add_f64_e32 v[106:107], v[112:113], v[150:151]
	s_wait_loadcnt_dscnt 0x300
	v_mul_f64_e32 v[110:111], v[12:13], v[124:125]
	v_mul_f64_e32 v[112:113], v[14:15], v[124:125]
	v_fmac_f64_e32 v[134:135], v[6:7], v[118:119]
	v_fma_f64 v[114:115], v[4:5], v[118:119], -v[120:121]
	v_add_f64_e32 v[116:117], v[10:11], v[8:9]
	v_add_f64_e32 v[106:107], v[106:107], v[108:109]
	ds_load_b128 v[4:7], v2 offset:1360
	ds_load_b128 v[8:11], v2 offset:1376
	v_fmac_f64_e32 v[110:111], v[14:15], v[122:123]
	v_fma_f64 v[12:13], v[12:13], v[122:123], -v[112:113]
	s_wait_loadcnt_dscnt 0x201
	v_mul_f64_e32 v[108:109], v[4:5], v[128:129]
	v_mul_f64_e32 v[118:119], v[6:7], v[128:129]
	s_wait_loadcnt_dscnt 0x100
	v_mul_f64_e32 v[112:113], v[8:9], v[132:133]
	v_add_f64_e32 v[14:15], v[116:117], v[114:115]
	v_add_f64_e32 v[106:107], v[106:107], v[134:135]
	v_mul_f64_e32 v[114:115], v[10:11], v[132:133]
	v_fmac_f64_e32 v[108:109], v[6:7], v[126:127]
	v_fma_f64 v[116:117], v[4:5], v[126:127], -v[118:119]
	ds_load_b128 v[4:7], v2 offset:1392
	v_fmac_f64_e32 v[112:113], v[10:11], v[130:131]
	v_add_f64_e32 v[12:13], v[14:15], v[12:13]
	v_add_f64_e32 v[14:15], v[106:107], v[110:111]
	v_fma_f64 v[8:9], v[8:9], v[130:131], -v[114:115]
	s_wait_loadcnt_dscnt 0x0
	v_mul_f64_e32 v[106:107], v[4:5], v[140:141]
	v_mul_f64_e32 v[110:111], v[6:7], v[140:141]
	v_add_f64_e32 v[10:11], v[12:13], v[116:117]
	v_add_f64_e32 v[12:13], v[14:15], v[108:109]
	s_delay_alu instid0(VALU_DEP_4) | instskip(NEXT) | instid1(VALU_DEP_4)
	v_fmac_f64_e32 v[106:107], v[6:7], v[138:139]
	v_fma_f64 v[4:5], v[4:5], v[138:139], -v[110:111]
	s_delay_alu instid0(VALU_DEP_4) | instskip(NEXT) | instid1(VALU_DEP_4)
	v_add_f64_e32 v[6:7], v[10:11], v[8:9]
	v_add_f64_e32 v[8:9], v[12:13], v[112:113]
	s_delay_alu instid0(VALU_DEP_2) | instskip(NEXT) | instid1(VALU_DEP_2)
	v_add_f64_e32 v[4:5], v[6:7], v[4:5]
	v_add_f64_e32 v[6:7], v[8:9], v[106:107]
	s_delay_alu instid0(VALU_DEP_2) | instskip(NEXT) | instid1(VALU_DEP_2)
	v_add_f64_e64 v[4:5], v[142:143], -v[4:5]
	v_add_f64_e64 v[6:7], v[144:145], -v[6:7]
	scratch_store_b128 off, v[4:7], off offset:128
	s_wait_xcnt 0x0
	v_cmpx_lt_u32_e32 7, v1
	s_cbranch_execz .LBB43_263
; %bb.262:
	scratch_load_b128 v[6:9], off, s52
	v_dual_mov_b32 v3, v2 :: v_dual_mov_b32 v4, v2
	v_mov_b32_e32 v5, v2
	scratch_store_b128 off, v[2:5], off offset:112
	s_wait_loadcnt 0x0
	ds_store_b128 v104, v[6:9]
.LBB43_263:
	s_wait_xcnt 0x0
	s_or_b32 exec_lo, exec_lo, s2
	s_wait_storecnt_dscnt 0x0
	s_barrier_signal -1
	s_barrier_wait -1
	s_clause 0x9
	scratch_load_b128 v[4:7], off, off offset:128
	scratch_load_b128 v[8:11], off, off offset:144
	;; [unrolled: 1-line block ×10, first 2 shown]
	ds_load_b128 v[134:137], v2 offset:832
	ds_load_b128 v[142:145], v2 offset:848
	s_clause 0x2
	scratch_load_b128 v[138:141], off, off offset:288
	scratch_load_b128 v[146:149], off, off offset:112
	;; [unrolled: 1-line block ×3, first 2 shown]
	s_mov_b32 s2, exec_lo
	s_wait_loadcnt_dscnt 0xc01
	v_mul_f64_e32 v[154:155], v[136:137], v[6:7]
	v_mul_f64_e32 v[158:159], v[134:135], v[6:7]
	s_wait_loadcnt_dscnt 0xb00
	v_mul_f64_e32 v[160:161], v[142:143], v[10:11]
	v_mul_f64_e32 v[10:11], v[144:145], v[10:11]
	s_delay_alu instid0(VALU_DEP_4) | instskip(NEXT) | instid1(VALU_DEP_4)
	v_fma_f64 v[162:163], v[134:135], v[4:5], -v[154:155]
	v_fmac_f64_e32 v[158:159], v[136:137], v[4:5]
	ds_load_b128 v[4:7], v2 offset:864
	ds_load_b128 v[134:137], v2 offset:880
	scratch_load_b128 v[154:157], off, off offset:320
	v_fmac_f64_e32 v[160:161], v[144:145], v[8:9]
	v_fma_f64 v[142:143], v[142:143], v[8:9], -v[10:11]
	scratch_load_b128 v[8:11], off, off offset:336
	s_wait_loadcnt_dscnt 0xc01
	v_mul_f64_e32 v[164:165], v[4:5], v[14:15]
	v_mul_f64_e32 v[14:15], v[6:7], v[14:15]
	v_add_f64_e32 v[144:145], 0, v[162:163]
	v_add_f64_e32 v[158:159], 0, v[158:159]
	s_wait_loadcnt_dscnt 0xb00
	v_mul_f64_e32 v[162:163], v[134:135], v[108:109]
	v_mul_f64_e32 v[108:109], v[136:137], v[108:109]
	v_fmac_f64_e32 v[164:165], v[6:7], v[12:13]
	v_fma_f64 v[166:167], v[4:5], v[12:13], -v[14:15]
	ds_load_b128 v[4:7], v2 offset:896
	ds_load_b128 v[12:15], v2 offset:912
	v_add_f64_e32 v[168:169], v[144:145], v[142:143]
	v_add_f64_e32 v[158:159], v[158:159], v[160:161]
	scratch_load_b128 v[142:145], off, off offset:352
	v_fmac_f64_e32 v[162:163], v[136:137], v[106:107]
	v_fma_f64 v[134:135], v[134:135], v[106:107], -v[108:109]
	scratch_load_b128 v[106:109], off, off offset:368
	s_wait_loadcnt_dscnt 0xc01
	v_mul_f64_e32 v[160:161], v[4:5], v[112:113]
	v_mul_f64_e32 v[112:113], v[6:7], v[112:113]
	v_add_f64_e32 v[136:137], v[168:169], v[166:167]
	v_add_f64_e32 v[158:159], v[158:159], v[164:165]
	s_wait_loadcnt_dscnt 0xb00
	v_mul_f64_e32 v[164:165], v[12:13], v[116:117]
	v_mul_f64_e32 v[116:117], v[14:15], v[116:117]
	v_fmac_f64_e32 v[160:161], v[6:7], v[110:111]
	v_fma_f64 v[166:167], v[4:5], v[110:111], -v[112:113]
	ds_load_b128 v[4:7], v2 offset:928
	ds_load_b128 v[110:113], v2 offset:944
	v_add_f64_e32 v[168:169], v[136:137], v[134:135]
	v_add_f64_e32 v[158:159], v[158:159], v[162:163]
	scratch_load_b128 v[134:137], off, off offset:384
	s_wait_loadcnt_dscnt 0xb01
	v_mul_f64_e32 v[162:163], v[4:5], v[120:121]
	v_mul_f64_e32 v[120:121], v[6:7], v[120:121]
	v_fmac_f64_e32 v[164:165], v[14:15], v[114:115]
	v_fma_f64 v[114:115], v[12:13], v[114:115], -v[116:117]
	scratch_load_b128 v[12:15], off, off offset:400
	v_add_f64_e32 v[116:117], v[168:169], v[166:167]
	v_add_f64_e32 v[158:159], v[158:159], v[160:161]
	s_wait_loadcnt_dscnt 0xb00
	v_mul_f64_e32 v[160:161], v[110:111], v[124:125]
	v_mul_f64_e32 v[124:125], v[112:113], v[124:125]
	v_fmac_f64_e32 v[162:163], v[6:7], v[118:119]
	v_fma_f64 v[166:167], v[4:5], v[118:119], -v[120:121]
	v_add_f64_e32 v[168:169], v[116:117], v[114:115]
	v_add_f64_e32 v[158:159], v[158:159], v[164:165]
	ds_load_b128 v[4:7], v2 offset:960
	ds_load_b128 v[114:117], v2 offset:976
	scratch_load_b128 v[118:121], off, off offset:416
	v_fmac_f64_e32 v[160:161], v[112:113], v[122:123]
	v_fma_f64 v[122:123], v[110:111], v[122:123], -v[124:125]
	scratch_load_b128 v[110:113], off, off offset:432
	s_wait_loadcnt_dscnt 0xc01
	v_mul_f64_e32 v[164:165], v[4:5], v[128:129]
	v_mul_f64_e32 v[128:129], v[6:7], v[128:129]
	v_add_f64_e32 v[124:125], v[168:169], v[166:167]
	v_add_f64_e32 v[158:159], v[158:159], v[162:163]
	s_wait_loadcnt_dscnt 0xb00
	v_mul_f64_e32 v[162:163], v[114:115], v[132:133]
	v_mul_f64_e32 v[132:133], v[116:117], v[132:133]
	v_fmac_f64_e32 v[164:165], v[6:7], v[126:127]
	v_fma_f64 v[166:167], v[4:5], v[126:127], -v[128:129]
	v_add_f64_e32 v[168:169], v[124:125], v[122:123]
	v_add_f64_e32 v[158:159], v[158:159], v[160:161]
	ds_load_b128 v[4:7], v2 offset:992
	ds_load_b128 v[122:125], v2 offset:1008
	scratch_load_b128 v[126:129], off, off offset:448
	v_fmac_f64_e32 v[162:163], v[116:117], v[130:131]
	v_fma_f64 v[130:131], v[114:115], v[130:131], -v[132:133]
	scratch_load_b128 v[114:117], off, off offset:464
	s_wait_loadcnt_dscnt 0xc01
	v_mul_f64_e32 v[160:161], v[4:5], v[140:141]
	v_mul_f64_e32 v[140:141], v[6:7], v[140:141]
	;; [unrolled: 18-line block ×5, first 2 shown]
	v_add_f64_e32 v[152:153], v[168:169], v[166:167]
	v_add_f64_e32 v[158:159], v[158:159], v[164:165]
	s_wait_loadcnt_dscnt 0xa00
	v_mul_f64_e32 v[164:165], v[130:131], v[14:15]
	v_mul_f64_e32 v[14:15], v[132:133], v[14:15]
	v_fmac_f64_e32 v[160:161], v[6:7], v[134:135]
	v_fma_f64 v[166:167], v[4:5], v[134:135], -v[136:137]
	ds_load_b128 v[4:7], v2 offset:1120
	ds_load_b128 v[134:137], v2 offset:1136
	v_add_f64_e32 v[168:169], v[152:153], v[150:151]
	v_add_f64_e32 v[158:159], v[158:159], v[162:163]
	scratch_load_b128 v[150:153], off, off offset:576
	v_fmac_f64_e32 v[164:165], v[132:133], v[12:13]
	v_fma_f64 v[130:131], v[130:131], v[12:13], -v[14:15]
	scratch_load_b128 v[12:15], off, off offset:592
	s_wait_loadcnt_dscnt 0xb01
	v_mul_f64_e32 v[162:163], v[4:5], v[120:121]
	v_mul_f64_e32 v[120:121], v[6:7], v[120:121]
	v_add_f64_e32 v[132:133], v[168:169], v[166:167]
	v_add_f64_e32 v[158:159], v[158:159], v[160:161]
	s_wait_loadcnt_dscnt 0xa00
	v_mul_f64_e32 v[160:161], v[134:135], v[112:113]
	v_mul_f64_e32 v[112:113], v[136:137], v[112:113]
	v_fmac_f64_e32 v[162:163], v[6:7], v[118:119]
	v_fma_f64 v[166:167], v[4:5], v[118:119], -v[120:121]
	ds_load_b128 v[4:7], v2 offset:1152
	ds_load_b128 v[118:121], v2 offset:1168
	v_add_f64_e32 v[168:169], v[132:133], v[130:131]
	v_add_f64_e32 v[158:159], v[158:159], v[164:165]
	scratch_load_b128 v[130:133], off, off offset:608
	s_wait_loadcnt_dscnt 0xa01
	v_mul_f64_e32 v[164:165], v[4:5], v[128:129]
	v_mul_f64_e32 v[128:129], v[6:7], v[128:129]
	v_fmac_f64_e32 v[160:161], v[136:137], v[110:111]
	v_fma_f64 v[134:135], v[134:135], v[110:111], -v[112:113]
	scratch_load_b128 v[110:113], off, off offset:624
	v_add_f64_e32 v[136:137], v[168:169], v[166:167]
	v_add_f64_e32 v[158:159], v[158:159], v[162:163]
	s_wait_loadcnt_dscnt 0xa00
	v_mul_f64_e32 v[162:163], v[118:119], v[116:117]
	v_mul_f64_e32 v[116:117], v[120:121], v[116:117]
	v_fmac_f64_e32 v[164:165], v[6:7], v[126:127]
	v_fma_f64 v[166:167], v[4:5], v[126:127], -v[128:129]
	ds_load_b128 v[4:7], v2 offset:1184
	ds_load_b128 v[126:129], v2 offset:1200
	v_add_f64_e32 v[168:169], v[136:137], v[134:135]
	v_add_f64_e32 v[158:159], v[158:159], v[160:161]
	scratch_load_b128 v[134:137], off, off offset:640
	s_wait_loadcnt_dscnt 0xa01
	v_mul_f64_e32 v[160:161], v[4:5], v[140:141]
	v_mul_f64_e32 v[140:141], v[6:7], v[140:141]
	v_fmac_f64_e32 v[162:163], v[120:121], v[114:115]
	v_fma_f64 v[118:119], v[118:119], v[114:115], -v[116:117]
	scratch_load_b128 v[114:117], off, off offset:656
	v_add_f64_e32 v[120:121], v[168:169], v[166:167]
	v_add_f64_e32 v[158:159], v[158:159], v[164:165]
	s_wait_loadcnt_dscnt 0xa00
	v_mul_f64_e32 v[164:165], v[126:127], v[124:125]
	v_mul_f64_e32 v[124:125], v[128:129], v[124:125]
	v_fmac_f64_e32 v[160:161], v[6:7], v[138:139]
	v_fma_f64 v[166:167], v[4:5], v[138:139], -v[140:141]
	v_add_f64_e32 v[168:169], v[120:121], v[118:119]
	v_add_f64_e32 v[158:159], v[158:159], v[162:163]
	ds_load_b128 v[4:7], v2 offset:1216
	ds_load_b128 v[118:121], v2 offset:1232
	scratch_load_b128 v[138:141], off, off offset:672
	v_fmac_f64_e32 v[164:165], v[128:129], v[122:123]
	v_fma_f64 v[126:127], v[126:127], v[122:123], -v[124:125]
	scratch_load_b128 v[122:125], off, off offset:688
	s_wait_loadcnt_dscnt 0xb01
	v_mul_f64_e32 v[162:163], v[4:5], v[156:157]
	v_mul_f64_e32 v[156:157], v[6:7], v[156:157]
	v_add_f64_e32 v[128:129], v[168:169], v[166:167]
	v_add_f64_e32 v[158:159], v[158:159], v[160:161]
	s_wait_loadcnt_dscnt 0xa00
	v_mul_f64_e32 v[160:161], v[118:119], v[10:11]
	v_mul_f64_e32 v[10:11], v[120:121], v[10:11]
	v_fmac_f64_e32 v[162:163], v[6:7], v[154:155]
	v_fma_f64 v[154:155], v[4:5], v[154:155], -v[156:157]
	v_add_f64_e32 v[156:157], v[128:129], v[126:127]
	v_add_f64_e32 v[158:159], v[158:159], v[164:165]
	ds_load_b128 v[4:7], v2 offset:1248
	ds_load_b128 v[126:129], v2 offset:1264
	v_fmac_f64_e32 v[160:161], v[120:121], v[8:9]
	v_fma_f64 v[8:9], v[118:119], v[8:9], -v[10:11]
	s_wait_loadcnt_dscnt 0x901
	v_mul_f64_e32 v[164:165], v[4:5], v[144:145]
	v_mul_f64_e32 v[144:145], v[6:7], v[144:145]
	s_wait_loadcnt_dscnt 0x800
	v_mul_f64_e32 v[120:121], v[126:127], v[108:109]
	v_mul_f64_e32 v[108:109], v[128:129], v[108:109]
	v_add_f64_e32 v[10:11], v[156:157], v[154:155]
	v_add_f64_e32 v[118:119], v[158:159], v[162:163]
	v_fmac_f64_e32 v[164:165], v[6:7], v[142:143]
	v_fma_f64 v[142:143], v[4:5], v[142:143], -v[144:145]
	v_fmac_f64_e32 v[120:121], v[128:129], v[106:107]
	v_fma_f64 v[106:107], v[126:127], v[106:107], -v[108:109]
	v_add_f64_e32 v[144:145], v[10:11], v[8:9]
	v_add_f64_e32 v[118:119], v[118:119], v[160:161]
	ds_load_b128 v[4:7], v2 offset:1280
	ds_load_b128 v[8:11], v2 offset:1296
	s_wait_loadcnt_dscnt 0x701
	v_mul_f64_e32 v[154:155], v[4:5], v[152:153]
	v_mul_f64_e32 v[152:153], v[6:7], v[152:153]
	s_wait_loadcnt_dscnt 0x600
	v_mul_f64_e32 v[126:127], v[8:9], v[14:15]
	v_mul_f64_e32 v[14:15], v[10:11], v[14:15]
	v_add_f64_e32 v[108:109], v[144:145], v[142:143]
	v_add_f64_e32 v[118:119], v[118:119], v[164:165]
	v_fmac_f64_e32 v[154:155], v[6:7], v[150:151]
	v_fma_f64 v[128:129], v[4:5], v[150:151], -v[152:153]
	v_fmac_f64_e32 v[126:127], v[10:11], v[12:13]
	v_fma_f64 v[8:9], v[8:9], v[12:13], -v[14:15]
	v_add_f64_e32 v[142:143], v[108:109], v[106:107]
	v_add_f64_e32 v[118:119], v[118:119], v[120:121]
	ds_load_b128 v[4:7], v2 offset:1312
	ds_load_b128 v[106:109], v2 offset:1328
	s_wait_loadcnt_dscnt 0x501
	v_mul_f64_e32 v[120:121], v[4:5], v[132:133]
	v_mul_f64_e32 v[132:133], v[6:7], v[132:133]
	s_wait_loadcnt_dscnt 0x400
	v_mul_f64_e32 v[14:15], v[106:107], v[112:113]
	v_mul_f64_e32 v[112:113], v[108:109], v[112:113]
	v_add_f64_e32 v[10:11], v[142:143], v[128:129]
	v_add_f64_e32 v[12:13], v[118:119], v[154:155]
	v_fmac_f64_e32 v[120:121], v[6:7], v[130:131]
	v_fma_f64 v[118:119], v[4:5], v[130:131], -v[132:133]
	v_fmac_f64_e32 v[14:15], v[108:109], v[110:111]
	v_fma_f64 v[106:107], v[106:107], v[110:111], -v[112:113]
	v_add_f64_e32 v[128:129], v[10:11], v[8:9]
	v_add_f64_e32 v[12:13], v[12:13], v[126:127]
	ds_load_b128 v[4:7], v2 offset:1344
	ds_load_b128 v[8:11], v2 offset:1360
	s_wait_loadcnt_dscnt 0x301
	v_mul_f64_e32 v[126:127], v[4:5], v[136:137]
	v_mul_f64_e32 v[130:131], v[6:7], v[136:137]
	s_wait_loadcnt_dscnt 0x200
	v_mul_f64_e32 v[110:111], v[8:9], v[116:117]
	v_mul_f64_e32 v[112:113], v[10:11], v[116:117]
	v_add_f64_e32 v[108:109], v[128:129], v[118:119]
	v_add_f64_e32 v[12:13], v[12:13], v[120:121]
	v_fmac_f64_e32 v[126:127], v[6:7], v[134:135]
	v_fma_f64 v[116:117], v[4:5], v[134:135], -v[130:131]
	v_fmac_f64_e32 v[110:111], v[10:11], v[114:115]
	v_fma_f64 v[8:9], v[8:9], v[114:115], -v[112:113]
	v_add_f64_e32 v[106:107], v[108:109], v[106:107]
	v_add_f64_e32 v[108:109], v[12:13], v[14:15]
	ds_load_b128 v[4:7], v2 offset:1376
	ds_load_b128 v[12:15], v2 offset:1392
	s_wait_loadcnt_dscnt 0x101
	v_mul_f64_e32 v[2:3], v[4:5], v[140:141]
	v_mul_f64_e32 v[118:119], v[6:7], v[140:141]
	s_wait_loadcnt_dscnt 0x0
	v_mul_f64_e32 v[112:113], v[14:15], v[124:125]
	v_add_f64_e32 v[10:11], v[106:107], v[116:117]
	v_add_f64_e32 v[106:107], v[108:109], v[126:127]
	v_mul_f64_e32 v[108:109], v[12:13], v[124:125]
	v_fmac_f64_e32 v[2:3], v[6:7], v[138:139]
	v_fma_f64 v[4:5], v[4:5], v[138:139], -v[118:119]
	v_add_f64_e32 v[6:7], v[10:11], v[8:9]
	v_add_f64_e32 v[8:9], v[106:107], v[110:111]
	v_fmac_f64_e32 v[108:109], v[14:15], v[122:123]
	v_fma_f64 v[10:11], v[12:13], v[122:123], -v[112:113]
	s_delay_alu instid0(VALU_DEP_4) | instskip(NEXT) | instid1(VALU_DEP_4)
	v_add_f64_e32 v[4:5], v[6:7], v[4:5]
	v_add_f64_e32 v[2:3], v[8:9], v[2:3]
	s_delay_alu instid0(VALU_DEP_2) | instskip(NEXT) | instid1(VALU_DEP_2)
	v_add_f64_e32 v[4:5], v[4:5], v[10:11]
	v_add_f64_e32 v[6:7], v[2:3], v[108:109]
	s_delay_alu instid0(VALU_DEP_2) | instskip(NEXT) | instid1(VALU_DEP_2)
	v_add_f64_e64 v[2:3], v[146:147], -v[4:5]
	v_add_f64_e64 v[4:5], v[148:149], -v[6:7]
	scratch_store_b128 off, v[2:5], off offset:112
	s_wait_xcnt 0x0
	v_cmpx_lt_u32_e32 6, v1
	s_cbranch_execz .LBB43_265
; %bb.264:
	scratch_load_b128 v[2:5], off, s49
	v_mov_b32_e32 v6, 0
	s_delay_alu instid0(VALU_DEP_1)
	v_dual_mov_b32 v7, v6 :: v_dual_mov_b32 v8, v6
	v_mov_b32_e32 v9, v6
	scratch_store_b128 off, v[6:9], off offset:96
	s_wait_loadcnt 0x0
	ds_store_b128 v104, v[2:5]
.LBB43_265:
	s_wait_xcnt 0x0
	s_or_b32 exec_lo, exec_lo, s2
	s_wait_storecnt_dscnt 0x0
	s_barrier_signal -1
	s_barrier_wait -1
	s_clause 0x9
	scratch_load_b128 v[4:7], off, off offset:112
	scratch_load_b128 v[8:11], off, off offset:128
	;; [unrolled: 1-line block ×10, first 2 shown]
	v_mov_b32_e32 v2, 0
	s_mov_b32 s2, exec_lo
	ds_load_b128 v[134:137], v2 offset:816
	s_clause 0x2
	scratch_load_b128 v[138:141], off, off offset:272
	scratch_load_b128 v[142:145], off, off offset:96
	;; [unrolled: 1-line block ×3, first 2 shown]
	s_wait_loadcnt_dscnt 0xc00
	v_mul_f64_e32 v[154:155], v[136:137], v[6:7]
	v_mul_f64_e32 v[158:159], v[134:135], v[6:7]
	ds_load_b128 v[146:149], v2 offset:832
	v_fma_f64 v[162:163], v[134:135], v[4:5], -v[154:155]
	v_fmac_f64_e32 v[158:159], v[136:137], v[4:5]
	ds_load_b128 v[4:7], v2 offset:848
	s_wait_loadcnt_dscnt 0xb01
	v_mul_f64_e32 v[160:161], v[146:147], v[10:11]
	v_mul_f64_e32 v[10:11], v[148:149], v[10:11]
	scratch_load_b128 v[134:137], off, off offset:304
	ds_load_b128 v[154:157], v2 offset:864
	s_wait_loadcnt_dscnt 0xb01
	v_mul_f64_e32 v[164:165], v[4:5], v[14:15]
	v_mul_f64_e32 v[14:15], v[6:7], v[14:15]
	v_add_f64_e32 v[158:159], 0, v[158:159]
	v_fmac_f64_e32 v[160:161], v[148:149], v[8:9]
	v_fma_f64 v[146:147], v[146:147], v[8:9], -v[10:11]
	v_add_f64_e32 v[148:149], 0, v[162:163]
	scratch_load_b128 v[8:11], off, off offset:320
	v_fmac_f64_e32 v[164:165], v[6:7], v[12:13]
	v_fma_f64 v[166:167], v[4:5], v[12:13], -v[14:15]
	ds_load_b128 v[4:7], v2 offset:880
	s_wait_loadcnt_dscnt 0xb01
	v_mul_f64_e32 v[162:163], v[154:155], v[108:109]
	v_mul_f64_e32 v[108:109], v[156:157], v[108:109]
	scratch_load_b128 v[12:15], off, off offset:336
	v_add_f64_e32 v[158:159], v[158:159], v[160:161]
	v_add_f64_e32 v[168:169], v[148:149], v[146:147]
	ds_load_b128 v[146:149], v2 offset:896
	s_wait_loadcnt_dscnt 0xb01
	v_mul_f64_e32 v[160:161], v[4:5], v[112:113]
	v_mul_f64_e32 v[112:113], v[6:7], v[112:113]
	v_fmac_f64_e32 v[162:163], v[156:157], v[106:107]
	v_fma_f64 v[154:155], v[154:155], v[106:107], -v[108:109]
	scratch_load_b128 v[106:109], off, off offset:352
	v_add_f64_e32 v[158:159], v[158:159], v[164:165]
	v_add_f64_e32 v[156:157], v[168:169], v[166:167]
	v_fmac_f64_e32 v[160:161], v[6:7], v[110:111]
	v_fma_f64 v[166:167], v[4:5], v[110:111], -v[112:113]
	ds_load_b128 v[4:7], v2 offset:912
	s_wait_loadcnt_dscnt 0xb01
	v_mul_f64_e32 v[164:165], v[146:147], v[116:117]
	v_mul_f64_e32 v[116:117], v[148:149], v[116:117]
	scratch_load_b128 v[110:113], off, off offset:368
	v_add_f64_e32 v[158:159], v[158:159], v[162:163]
	s_wait_loadcnt_dscnt 0xb00
	v_mul_f64_e32 v[162:163], v[4:5], v[120:121]
	v_add_f64_e32 v[168:169], v[156:157], v[154:155]
	v_mul_f64_e32 v[120:121], v[6:7], v[120:121]
	ds_load_b128 v[154:157], v2 offset:928
	v_fmac_f64_e32 v[164:165], v[148:149], v[114:115]
	v_fma_f64 v[146:147], v[146:147], v[114:115], -v[116:117]
	scratch_load_b128 v[114:117], off, off offset:384
	v_add_f64_e32 v[158:159], v[158:159], v[160:161]
	v_fmac_f64_e32 v[162:163], v[6:7], v[118:119]
	v_add_f64_e32 v[148:149], v[168:169], v[166:167]
	v_fma_f64 v[166:167], v[4:5], v[118:119], -v[120:121]
	ds_load_b128 v[4:7], v2 offset:944
	s_wait_loadcnt_dscnt 0xb01
	v_mul_f64_e32 v[160:161], v[154:155], v[124:125]
	v_mul_f64_e32 v[124:125], v[156:157], v[124:125]
	scratch_load_b128 v[118:121], off, off offset:400
	v_add_f64_e32 v[158:159], v[158:159], v[164:165]
	s_wait_loadcnt_dscnt 0xb00
	v_mul_f64_e32 v[164:165], v[4:5], v[128:129]
	v_add_f64_e32 v[168:169], v[148:149], v[146:147]
	v_mul_f64_e32 v[128:129], v[6:7], v[128:129]
	ds_load_b128 v[146:149], v2 offset:960
	v_fmac_f64_e32 v[160:161], v[156:157], v[122:123]
	v_fma_f64 v[154:155], v[154:155], v[122:123], -v[124:125]
	scratch_load_b128 v[122:125], off, off offset:416
	v_add_f64_e32 v[158:159], v[158:159], v[162:163]
	v_fmac_f64_e32 v[164:165], v[6:7], v[126:127]
	v_add_f64_e32 v[156:157], v[168:169], v[166:167]
	;; [unrolled: 18-line block ×3, first 2 shown]
	v_fma_f64 v[166:167], v[4:5], v[138:139], -v[140:141]
	ds_load_b128 v[4:7], v2 offset:1008
	s_wait_loadcnt_dscnt 0xa01
	v_mul_f64_e32 v[164:165], v[154:155], v[152:153]
	v_mul_f64_e32 v[152:153], v[156:157], v[152:153]
	scratch_load_b128 v[138:141], off, off offset:464
	v_add_f64_e32 v[158:159], v[158:159], v[162:163]
	v_add_f64_e32 v[168:169], v[148:149], v[146:147]
	s_wait_loadcnt_dscnt 0xa00
	v_mul_f64_e32 v[162:163], v[4:5], v[136:137]
	v_mul_f64_e32 v[136:137], v[6:7], v[136:137]
	v_fmac_f64_e32 v[164:165], v[156:157], v[150:151]
	v_fma_f64 v[154:155], v[154:155], v[150:151], -v[152:153]
	ds_load_b128 v[146:149], v2 offset:1024
	scratch_load_b128 v[150:153], off, off offset:480
	v_add_f64_e32 v[158:159], v[158:159], v[160:161]
	v_add_f64_e32 v[156:157], v[168:169], v[166:167]
	v_fmac_f64_e32 v[162:163], v[6:7], v[134:135]
	v_fma_f64 v[166:167], v[4:5], v[134:135], -v[136:137]
	ds_load_b128 v[4:7], v2 offset:1040
	s_wait_loadcnt_dscnt 0xa01
	v_mul_f64_e32 v[160:161], v[146:147], v[10:11]
	v_mul_f64_e32 v[10:11], v[148:149], v[10:11]
	scratch_load_b128 v[134:137], off, off offset:496
	v_add_f64_e32 v[158:159], v[158:159], v[164:165]
	s_wait_loadcnt_dscnt 0xa00
	v_mul_f64_e32 v[164:165], v[4:5], v[14:15]
	v_add_f64_e32 v[168:169], v[156:157], v[154:155]
	v_mul_f64_e32 v[14:15], v[6:7], v[14:15]
	ds_load_b128 v[154:157], v2 offset:1056
	v_fmac_f64_e32 v[160:161], v[148:149], v[8:9]
	v_fma_f64 v[146:147], v[146:147], v[8:9], -v[10:11]
	scratch_load_b128 v[8:11], off, off offset:512
	v_add_f64_e32 v[158:159], v[158:159], v[162:163]
	v_fmac_f64_e32 v[164:165], v[6:7], v[12:13]
	v_add_f64_e32 v[148:149], v[168:169], v[166:167]
	v_fma_f64 v[166:167], v[4:5], v[12:13], -v[14:15]
	ds_load_b128 v[4:7], v2 offset:1072
	s_wait_loadcnt_dscnt 0xa01
	v_mul_f64_e32 v[162:163], v[154:155], v[108:109]
	v_mul_f64_e32 v[108:109], v[156:157], v[108:109]
	scratch_load_b128 v[12:15], off, off offset:528
	v_add_f64_e32 v[158:159], v[158:159], v[160:161]
	s_wait_loadcnt_dscnt 0xa00
	v_mul_f64_e32 v[160:161], v[4:5], v[112:113]
	v_add_f64_e32 v[168:169], v[148:149], v[146:147]
	v_mul_f64_e32 v[112:113], v[6:7], v[112:113]
	ds_load_b128 v[146:149], v2 offset:1088
	v_fmac_f64_e32 v[162:163], v[156:157], v[106:107]
	v_fma_f64 v[154:155], v[154:155], v[106:107], -v[108:109]
	scratch_load_b128 v[106:109], off, off offset:544
	v_add_f64_e32 v[158:159], v[158:159], v[164:165]
	v_fmac_f64_e32 v[160:161], v[6:7], v[110:111]
	v_add_f64_e32 v[156:157], v[168:169], v[166:167]
	;; [unrolled: 18-line block ×6, first 2 shown]
	v_fma_f64 v[166:167], v[4:5], v[134:135], -v[136:137]
	ds_load_b128 v[4:7], v2 offset:1232
	s_wait_loadcnt_dscnt 0xa01
	v_mul_f64_e32 v[160:161], v[146:147], v[10:11]
	v_mul_f64_e32 v[10:11], v[148:149], v[10:11]
	scratch_load_b128 v[134:137], off, off offset:688
	v_add_f64_e32 v[158:159], v[158:159], v[164:165]
	s_wait_loadcnt_dscnt 0xa00
	v_mul_f64_e32 v[164:165], v[4:5], v[14:15]
	v_add_f64_e32 v[168:169], v[156:157], v[154:155]
	v_mul_f64_e32 v[14:15], v[6:7], v[14:15]
	ds_load_b128 v[154:157], v2 offset:1248
	v_fmac_f64_e32 v[160:161], v[148:149], v[8:9]
	v_fma_f64 v[8:9], v[146:147], v[8:9], -v[10:11]
	s_wait_loadcnt_dscnt 0x900
	v_mul_f64_e32 v[148:149], v[154:155], v[108:109]
	v_mul_f64_e32 v[108:109], v[156:157], v[108:109]
	v_add_f64_e32 v[146:147], v[158:159], v[162:163]
	v_fmac_f64_e32 v[164:165], v[6:7], v[12:13]
	v_add_f64_e32 v[10:11], v[168:169], v[166:167]
	v_fma_f64 v[12:13], v[4:5], v[12:13], -v[14:15]
	v_fmac_f64_e32 v[148:149], v[156:157], v[106:107]
	v_fma_f64 v[106:107], v[154:155], v[106:107], -v[108:109]
	v_add_f64_e32 v[146:147], v[146:147], v[160:161]
	v_add_f64_e32 v[14:15], v[10:11], v[8:9]
	ds_load_b128 v[4:7], v2 offset:1264
	ds_load_b128 v[8:11], v2 offset:1280
	s_wait_loadcnt_dscnt 0x801
	v_mul_f64_e32 v[158:159], v[4:5], v[112:113]
	v_mul_f64_e32 v[112:113], v[6:7], v[112:113]
	s_wait_loadcnt_dscnt 0x700
	v_mul_f64_e32 v[108:109], v[8:9], v[116:117]
	v_mul_f64_e32 v[116:117], v[10:11], v[116:117]
	v_add_f64_e32 v[12:13], v[14:15], v[12:13]
	v_add_f64_e32 v[14:15], v[146:147], v[164:165]
	v_fmac_f64_e32 v[158:159], v[6:7], v[110:111]
	v_fma_f64 v[110:111], v[4:5], v[110:111], -v[112:113]
	v_fmac_f64_e32 v[108:109], v[10:11], v[114:115]
	v_fma_f64 v[8:9], v[8:9], v[114:115], -v[116:117]
	v_add_f64_e32 v[106:107], v[12:13], v[106:107]
	v_add_f64_e32 v[112:113], v[14:15], v[148:149]
	ds_load_b128 v[4:7], v2 offset:1296
	ds_load_b128 v[12:15], v2 offset:1312
	s_wait_loadcnt_dscnt 0x601
	v_mul_f64_e32 v[146:147], v[4:5], v[120:121]
	v_mul_f64_e32 v[120:121], v[6:7], v[120:121]
	v_add_f64_e32 v[10:11], v[106:107], v[110:111]
	v_add_f64_e32 v[106:107], v[112:113], v[158:159]
	s_wait_loadcnt_dscnt 0x500
	v_mul_f64_e32 v[110:111], v[12:13], v[124:125]
	v_mul_f64_e32 v[112:113], v[14:15], v[124:125]
	v_fmac_f64_e32 v[146:147], v[6:7], v[118:119]
	v_fma_f64 v[114:115], v[4:5], v[118:119], -v[120:121]
	v_add_f64_e32 v[116:117], v[10:11], v[8:9]
	v_add_f64_e32 v[106:107], v[106:107], v[108:109]
	ds_load_b128 v[4:7], v2 offset:1328
	ds_load_b128 v[8:11], v2 offset:1344
	v_fmac_f64_e32 v[110:111], v[14:15], v[122:123]
	v_fma_f64 v[12:13], v[12:13], v[122:123], -v[112:113]
	s_wait_loadcnt_dscnt 0x401
	v_mul_f64_e32 v[108:109], v[4:5], v[128:129]
	v_mul_f64_e32 v[118:119], v[6:7], v[128:129]
	s_wait_loadcnt_dscnt 0x300
	v_mul_f64_e32 v[112:113], v[8:9], v[132:133]
	v_add_f64_e32 v[14:15], v[116:117], v[114:115]
	v_add_f64_e32 v[106:107], v[106:107], v[146:147]
	v_mul_f64_e32 v[114:115], v[10:11], v[132:133]
	v_fmac_f64_e32 v[108:109], v[6:7], v[126:127]
	v_fma_f64 v[116:117], v[4:5], v[126:127], -v[118:119]
	v_fmac_f64_e32 v[112:113], v[10:11], v[130:131]
	v_add_f64_e32 v[118:119], v[14:15], v[12:13]
	v_add_f64_e32 v[106:107], v[106:107], v[110:111]
	ds_load_b128 v[4:7], v2 offset:1360
	ds_load_b128 v[12:15], v2 offset:1376
	v_fma_f64 v[8:9], v[8:9], v[130:131], -v[114:115]
	s_wait_loadcnt_dscnt 0x201
	v_mul_f64_e32 v[110:111], v[4:5], v[140:141]
	v_mul_f64_e32 v[120:121], v[6:7], v[140:141]
	s_wait_loadcnt_dscnt 0x100
	v_mul_f64_e32 v[114:115], v[14:15], v[152:153]
	v_add_f64_e32 v[10:11], v[118:119], v[116:117]
	v_add_f64_e32 v[106:107], v[106:107], v[108:109]
	v_mul_f64_e32 v[108:109], v[12:13], v[152:153]
	v_fmac_f64_e32 v[110:111], v[6:7], v[138:139]
	v_fma_f64 v[116:117], v[4:5], v[138:139], -v[120:121]
	ds_load_b128 v[4:7], v2 offset:1392
	v_fma_f64 v[12:13], v[12:13], v[150:151], -v[114:115]
	v_add_f64_e32 v[8:9], v[10:11], v[8:9]
	v_add_f64_e32 v[10:11], v[106:107], v[112:113]
	v_fmac_f64_e32 v[108:109], v[14:15], v[150:151]
	s_wait_loadcnt_dscnt 0x0
	v_mul_f64_e32 v[106:107], v[4:5], v[136:137]
	v_mul_f64_e32 v[112:113], v[6:7], v[136:137]
	v_add_f64_e32 v[8:9], v[8:9], v[116:117]
	v_add_f64_e32 v[10:11], v[10:11], v[110:111]
	s_delay_alu instid0(VALU_DEP_4) | instskip(NEXT) | instid1(VALU_DEP_4)
	v_fmac_f64_e32 v[106:107], v[6:7], v[134:135]
	v_fma_f64 v[4:5], v[4:5], v[134:135], -v[112:113]
	s_delay_alu instid0(VALU_DEP_4) | instskip(NEXT) | instid1(VALU_DEP_4)
	v_add_f64_e32 v[6:7], v[8:9], v[12:13]
	v_add_f64_e32 v[8:9], v[10:11], v[108:109]
	s_delay_alu instid0(VALU_DEP_2) | instskip(NEXT) | instid1(VALU_DEP_2)
	v_add_f64_e32 v[4:5], v[6:7], v[4:5]
	v_add_f64_e32 v[6:7], v[8:9], v[106:107]
	s_delay_alu instid0(VALU_DEP_2) | instskip(NEXT) | instid1(VALU_DEP_2)
	v_add_f64_e64 v[4:5], v[142:143], -v[4:5]
	v_add_f64_e64 v[6:7], v[144:145], -v[6:7]
	scratch_store_b128 off, v[4:7], off offset:96
	s_wait_xcnt 0x0
	v_cmpx_lt_u32_e32 5, v1
	s_cbranch_execz .LBB43_267
; %bb.266:
	scratch_load_b128 v[6:9], off, s47
	v_dual_mov_b32 v3, v2 :: v_dual_mov_b32 v4, v2
	v_mov_b32_e32 v5, v2
	scratch_store_b128 off, v[2:5], off offset:80
	s_wait_loadcnt 0x0
	ds_store_b128 v104, v[6:9]
.LBB43_267:
	s_wait_xcnt 0x0
	s_or_b32 exec_lo, exec_lo, s2
	s_wait_storecnt_dscnt 0x0
	s_barrier_signal -1
	s_barrier_wait -1
	s_clause 0x9
	scratch_load_b128 v[4:7], off, off offset:96
	scratch_load_b128 v[8:11], off, off offset:112
	;; [unrolled: 1-line block ×10, first 2 shown]
	ds_load_b128 v[134:137], v2 offset:800
	ds_load_b128 v[142:145], v2 offset:816
	s_clause 0x2
	scratch_load_b128 v[138:141], off, off offset:256
	scratch_load_b128 v[146:149], off, off offset:80
	;; [unrolled: 1-line block ×3, first 2 shown]
	s_mov_b32 s2, exec_lo
	s_wait_loadcnt_dscnt 0xc01
	v_mul_f64_e32 v[154:155], v[136:137], v[6:7]
	v_mul_f64_e32 v[158:159], v[134:135], v[6:7]
	s_wait_loadcnt_dscnt 0xb00
	v_mul_f64_e32 v[160:161], v[142:143], v[10:11]
	v_mul_f64_e32 v[10:11], v[144:145], v[10:11]
	s_delay_alu instid0(VALU_DEP_4) | instskip(NEXT) | instid1(VALU_DEP_4)
	v_fma_f64 v[162:163], v[134:135], v[4:5], -v[154:155]
	v_fmac_f64_e32 v[158:159], v[136:137], v[4:5]
	ds_load_b128 v[4:7], v2 offset:832
	ds_load_b128 v[134:137], v2 offset:848
	scratch_load_b128 v[154:157], off, off offset:288
	v_fmac_f64_e32 v[160:161], v[144:145], v[8:9]
	v_fma_f64 v[142:143], v[142:143], v[8:9], -v[10:11]
	scratch_load_b128 v[8:11], off, off offset:304
	s_wait_loadcnt_dscnt 0xc01
	v_mul_f64_e32 v[164:165], v[4:5], v[14:15]
	v_mul_f64_e32 v[14:15], v[6:7], v[14:15]
	v_add_f64_e32 v[144:145], 0, v[162:163]
	v_add_f64_e32 v[158:159], 0, v[158:159]
	s_wait_loadcnt_dscnt 0xb00
	v_mul_f64_e32 v[162:163], v[134:135], v[108:109]
	v_mul_f64_e32 v[108:109], v[136:137], v[108:109]
	v_fmac_f64_e32 v[164:165], v[6:7], v[12:13]
	v_fma_f64 v[166:167], v[4:5], v[12:13], -v[14:15]
	ds_load_b128 v[4:7], v2 offset:864
	ds_load_b128 v[12:15], v2 offset:880
	v_add_f64_e32 v[168:169], v[144:145], v[142:143]
	v_add_f64_e32 v[158:159], v[158:159], v[160:161]
	scratch_load_b128 v[142:145], off, off offset:320
	v_fmac_f64_e32 v[162:163], v[136:137], v[106:107]
	v_fma_f64 v[134:135], v[134:135], v[106:107], -v[108:109]
	scratch_load_b128 v[106:109], off, off offset:336
	s_wait_loadcnt_dscnt 0xc01
	v_mul_f64_e32 v[160:161], v[4:5], v[112:113]
	v_mul_f64_e32 v[112:113], v[6:7], v[112:113]
	v_add_f64_e32 v[136:137], v[168:169], v[166:167]
	v_add_f64_e32 v[158:159], v[158:159], v[164:165]
	s_wait_loadcnt_dscnt 0xb00
	v_mul_f64_e32 v[164:165], v[12:13], v[116:117]
	v_mul_f64_e32 v[116:117], v[14:15], v[116:117]
	v_fmac_f64_e32 v[160:161], v[6:7], v[110:111]
	v_fma_f64 v[166:167], v[4:5], v[110:111], -v[112:113]
	ds_load_b128 v[4:7], v2 offset:896
	ds_load_b128 v[110:113], v2 offset:912
	v_add_f64_e32 v[168:169], v[136:137], v[134:135]
	v_add_f64_e32 v[158:159], v[158:159], v[162:163]
	scratch_load_b128 v[134:137], off, off offset:352
	s_wait_loadcnt_dscnt 0xb01
	v_mul_f64_e32 v[162:163], v[4:5], v[120:121]
	v_mul_f64_e32 v[120:121], v[6:7], v[120:121]
	v_fmac_f64_e32 v[164:165], v[14:15], v[114:115]
	v_fma_f64 v[114:115], v[12:13], v[114:115], -v[116:117]
	scratch_load_b128 v[12:15], off, off offset:368
	v_add_f64_e32 v[116:117], v[168:169], v[166:167]
	v_add_f64_e32 v[158:159], v[158:159], v[160:161]
	s_wait_loadcnt_dscnt 0xb00
	v_mul_f64_e32 v[160:161], v[110:111], v[124:125]
	v_mul_f64_e32 v[124:125], v[112:113], v[124:125]
	v_fmac_f64_e32 v[162:163], v[6:7], v[118:119]
	v_fma_f64 v[166:167], v[4:5], v[118:119], -v[120:121]
	v_add_f64_e32 v[168:169], v[116:117], v[114:115]
	v_add_f64_e32 v[158:159], v[158:159], v[164:165]
	ds_load_b128 v[4:7], v2 offset:928
	ds_load_b128 v[114:117], v2 offset:944
	scratch_load_b128 v[118:121], off, off offset:384
	v_fmac_f64_e32 v[160:161], v[112:113], v[122:123]
	v_fma_f64 v[122:123], v[110:111], v[122:123], -v[124:125]
	scratch_load_b128 v[110:113], off, off offset:400
	s_wait_loadcnt_dscnt 0xc01
	v_mul_f64_e32 v[164:165], v[4:5], v[128:129]
	v_mul_f64_e32 v[128:129], v[6:7], v[128:129]
	v_add_f64_e32 v[124:125], v[168:169], v[166:167]
	v_add_f64_e32 v[158:159], v[158:159], v[162:163]
	s_wait_loadcnt_dscnt 0xb00
	v_mul_f64_e32 v[162:163], v[114:115], v[132:133]
	v_mul_f64_e32 v[132:133], v[116:117], v[132:133]
	v_fmac_f64_e32 v[164:165], v[6:7], v[126:127]
	v_fma_f64 v[166:167], v[4:5], v[126:127], -v[128:129]
	v_add_f64_e32 v[168:169], v[124:125], v[122:123]
	v_add_f64_e32 v[158:159], v[158:159], v[160:161]
	ds_load_b128 v[4:7], v2 offset:960
	ds_load_b128 v[122:125], v2 offset:976
	scratch_load_b128 v[126:129], off, off offset:416
	v_fmac_f64_e32 v[162:163], v[116:117], v[130:131]
	v_fma_f64 v[130:131], v[114:115], v[130:131], -v[132:133]
	scratch_load_b128 v[114:117], off, off offset:432
	s_wait_loadcnt_dscnt 0xc01
	v_mul_f64_e32 v[160:161], v[4:5], v[140:141]
	v_mul_f64_e32 v[140:141], v[6:7], v[140:141]
	;; [unrolled: 18-line block ×5, first 2 shown]
	v_add_f64_e32 v[152:153], v[168:169], v[166:167]
	v_add_f64_e32 v[158:159], v[158:159], v[164:165]
	s_wait_loadcnt_dscnt 0xa00
	v_mul_f64_e32 v[164:165], v[130:131], v[14:15]
	v_mul_f64_e32 v[14:15], v[132:133], v[14:15]
	v_fmac_f64_e32 v[160:161], v[6:7], v[134:135]
	v_fma_f64 v[166:167], v[4:5], v[134:135], -v[136:137]
	ds_load_b128 v[4:7], v2 offset:1088
	ds_load_b128 v[134:137], v2 offset:1104
	v_add_f64_e32 v[168:169], v[152:153], v[150:151]
	v_add_f64_e32 v[158:159], v[158:159], v[162:163]
	scratch_load_b128 v[150:153], off, off offset:544
	v_fmac_f64_e32 v[164:165], v[132:133], v[12:13]
	v_fma_f64 v[130:131], v[130:131], v[12:13], -v[14:15]
	scratch_load_b128 v[12:15], off, off offset:560
	s_wait_loadcnt_dscnt 0xb01
	v_mul_f64_e32 v[162:163], v[4:5], v[120:121]
	v_mul_f64_e32 v[120:121], v[6:7], v[120:121]
	v_add_f64_e32 v[132:133], v[168:169], v[166:167]
	v_add_f64_e32 v[158:159], v[158:159], v[160:161]
	s_wait_loadcnt_dscnt 0xa00
	v_mul_f64_e32 v[160:161], v[134:135], v[112:113]
	v_mul_f64_e32 v[112:113], v[136:137], v[112:113]
	v_fmac_f64_e32 v[162:163], v[6:7], v[118:119]
	v_fma_f64 v[166:167], v[4:5], v[118:119], -v[120:121]
	ds_load_b128 v[4:7], v2 offset:1120
	ds_load_b128 v[118:121], v2 offset:1136
	v_add_f64_e32 v[168:169], v[132:133], v[130:131]
	v_add_f64_e32 v[158:159], v[158:159], v[164:165]
	scratch_load_b128 v[130:133], off, off offset:576
	s_wait_loadcnt_dscnt 0xa01
	v_mul_f64_e32 v[164:165], v[4:5], v[128:129]
	v_mul_f64_e32 v[128:129], v[6:7], v[128:129]
	v_fmac_f64_e32 v[160:161], v[136:137], v[110:111]
	v_fma_f64 v[134:135], v[134:135], v[110:111], -v[112:113]
	scratch_load_b128 v[110:113], off, off offset:592
	v_add_f64_e32 v[136:137], v[168:169], v[166:167]
	v_add_f64_e32 v[158:159], v[158:159], v[162:163]
	s_wait_loadcnt_dscnt 0xa00
	v_mul_f64_e32 v[162:163], v[118:119], v[116:117]
	v_mul_f64_e32 v[116:117], v[120:121], v[116:117]
	v_fmac_f64_e32 v[164:165], v[6:7], v[126:127]
	v_fma_f64 v[166:167], v[4:5], v[126:127], -v[128:129]
	ds_load_b128 v[4:7], v2 offset:1152
	ds_load_b128 v[126:129], v2 offset:1168
	v_add_f64_e32 v[168:169], v[136:137], v[134:135]
	v_add_f64_e32 v[158:159], v[158:159], v[160:161]
	scratch_load_b128 v[134:137], off, off offset:608
	s_wait_loadcnt_dscnt 0xa01
	v_mul_f64_e32 v[160:161], v[4:5], v[140:141]
	v_mul_f64_e32 v[140:141], v[6:7], v[140:141]
	v_fmac_f64_e32 v[162:163], v[120:121], v[114:115]
	v_fma_f64 v[118:119], v[118:119], v[114:115], -v[116:117]
	scratch_load_b128 v[114:117], off, off offset:624
	v_add_f64_e32 v[120:121], v[168:169], v[166:167]
	v_add_f64_e32 v[158:159], v[158:159], v[164:165]
	s_wait_loadcnt_dscnt 0xa00
	v_mul_f64_e32 v[164:165], v[126:127], v[124:125]
	v_mul_f64_e32 v[124:125], v[128:129], v[124:125]
	v_fmac_f64_e32 v[160:161], v[6:7], v[138:139]
	v_fma_f64 v[166:167], v[4:5], v[138:139], -v[140:141]
	v_add_f64_e32 v[168:169], v[120:121], v[118:119]
	v_add_f64_e32 v[158:159], v[158:159], v[162:163]
	ds_load_b128 v[4:7], v2 offset:1184
	ds_load_b128 v[118:121], v2 offset:1200
	scratch_load_b128 v[138:141], off, off offset:640
	v_fmac_f64_e32 v[164:165], v[128:129], v[122:123]
	v_fma_f64 v[126:127], v[126:127], v[122:123], -v[124:125]
	scratch_load_b128 v[122:125], off, off offset:656
	s_wait_loadcnt_dscnt 0xb01
	v_mul_f64_e32 v[162:163], v[4:5], v[156:157]
	v_mul_f64_e32 v[156:157], v[6:7], v[156:157]
	v_add_f64_e32 v[128:129], v[168:169], v[166:167]
	v_add_f64_e32 v[158:159], v[158:159], v[160:161]
	s_wait_loadcnt_dscnt 0xa00
	v_mul_f64_e32 v[160:161], v[118:119], v[10:11]
	v_mul_f64_e32 v[10:11], v[120:121], v[10:11]
	v_fmac_f64_e32 v[162:163], v[6:7], v[154:155]
	v_fma_f64 v[166:167], v[4:5], v[154:155], -v[156:157]
	v_add_f64_e32 v[168:169], v[128:129], v[126:127]
	v_add_f64_e32 v[158:159], v[158:159], v[164:165]
	ds_load_b128 v[4:7], v2 offset:1216
	ds_load_b128 v[126:129], v2 offset:1232
	scratch_load_b128 v[154:157], off, off offset:672
	v_fmac_f64_e32 v[160:161], v[120:121], v[8:9]
	v_fma_f64 v[118:119], v[118:119], v[8:9], -v[10:11]
	scratch_load_b128 v[8:11], off, off offset:688
	s_wait_loadcnt_dscnt 0xb01
	v_mul_f64_e32 v[164:165], v[4:5], v[144:145]
	v_mul_f64_e32 v[144:145], v[6:7], v[144:145]
	v_add_f64_e32 v[120:121], v[168:169], v[166:167]
	v_add_f64_e32 v[158:159], v[158:159], v[162:163]
	s_wait_loadcnt_dscnt 0xa00
	v_mul_f64_e32 v[162:163], v[126:127], v[108:109]
	v_mul_f64_e32 v[108:109], v[128:129], v[108:109]
	v_fmac_f64_e32 v[164:165], v[6:7], v[142:143]
	v_fma_f64 v[142:143], v[4:5], v[142:143], -v[144:145]
	v_add_f64_e32 v[144:145], v[120:121], v[118:119]
	v_add_f64_e32 v[158:159], v[158:159], v[160:161]
	ds_load_b128 v[4:7], v2 offset:1248
	ds_load_b128 v[118:121], v2 offset:1264
	v_fmac_f64_e32 v[162:163], v[128:129], v[106:107]
	v_fma_f64 v[106:107], v[126:127], v[106:107], -v[108:109]
	s_wait_loadcnt_dscnt 0x901
	v_mul_f64_e32 v[160:161], v[4:5], v[152:153]
	v_mul_f64_e32 v[152:153], v[6:7], v[152:153]
	s_wait_loadcnt_dscnt 0x800
	v_mul_f64_e32 v[128:129], v[118:119], v[14:15]
	v_mul_f64_e32 v[14:15], v[120:121], v[14:15]
	v_add_f64_e32 v[108:109], v[144:145], v[142:143]
	v_add_f64_e32 v[126:127], v[158:159], v[164:165]
	v_fmac_f64_e32 v[160:161], v[6:7], v[150:151]
	v_fma_f64 v[142:143], v[4:5], v[150:151], -v[152:153]
	v_fmac_f64_e32 v[128:129], v[120:121], v[12:13]
	v_fma_f64 v[12:13], v[118:119], v[12:13], -v[14:15]
	v_add_f64_e32 v[144:145], v[108:109], v[106:107]
	v_add_f64_e32 v[126:127], v[126:127], v[162:163]
	ds_load_b128 v[4:7], v2 offset:1280
	ds_load_b128 v[106:109], v2 offset:1296
	s_wait_loadcnt_dscnt 0x701
	v_mul_f64_e32 v[150:151], v[4:5], v[132:133]
	v_mul_f64_e32 v[132:133], v[6:7], v[132:133]
	s_wait_loadcnt_dscnt 0x600
	v_mul_f64_e32 v[120:121], v[106:107], v[112:113]
	v_mul_f64_e32 v[112:113], v[108:109], v[112:113]
	v_add_f64_e32 v[14:15], v[144:145], v[142:143]
	v_add_f64_e32 v[118:119], v[126:127], v[160:161]
	v_fmac_f64_e32 v[150:151], v[6:7], v[130:131]
	v_fma_f64 v[126:127], v[4:5], v[130:131], -v[132:133]
	v_fmac_f64_e32 v[120:121], v[108:109], v[110:111]
	v_fma_f64 v[106:107], v[106:107], v[110:111], -v[112:113]
	v_add_f64_e32 v[130:131], v[14:15], v[12:13]
	v_add_f64_e32 v[118:119], v[118:119], v[128:129]
	ds_load_b128 v[4:7], v2 offset:1312
	ds_load_b128 v[12:15], v2 offset:1328
	s_wait_loadcnt_dscnt 0x501
	v_mul_f64_e32 v[128:129], v[4:5], v[136:137]
	v_mul_f64_e32 v[132:133], v[6:7], v[136:137]
	s_wait_loadcnt_dscnt 0x400
	v_mul_f64_e32 v[112:113], v[12:13], v[116:117]
	v_mul_f64_e32 v[116:117], v[14:15], v[116:117]
	v_add_f64_e32 v[108:109], v[130:131], v[126:127]
	v_add_f64_e32 v[110:111], v[118:119], v[150:151]
	v_fmac_f64_e32 v[128:129], v[6:7], v[134:135]
	v_fma_f64 v[118:119], v[4:5], v[134:135], -v[132:133]
	v_fmac_f64_e32 v[112:113], v[14:15], v[114:115]
	v_fma_f64 v[12:13], v[12:13], v[114:115], -v[116:117]
	v_add_f64_e32 v[126:127], v[108:109], v[106:107]
	v_add_f64_e32 v[110:111], v[110:111], v[120:121]
	ds_load_b128 v[4:7], v2 offset:1344
	ds_load_b128 v[106:109], v2 offset:1360
	s_wait_loadcnt_dscnt 0x301
	v_mul_f64_e32 v[120:121], v[4:5], v[140:141]
	v_mul_f64_e32 v[130:131], v[6:7], v[140:141]
	s_wait_loadcnt_dscnt 0x200
	v_mul_f64_e32 v[114:115], v[106:107], v[124:125]
	v_mul_f64_e32 v[116:117], v[108:109], v[124:125]
	v_add_f64_e32 v[14:15], v[126:127], v[118:119]
	v_add_f64_e32 v[110:111], v[110:111], v[128:129]
	v_fmac_f64_e32 v[120:121], v[6:7], v[138:139]
	v_fma_f64 v[118:119], v[4:5], v[138:139], -v[130:131]
	v_fmac_f64_e32 v[114:115], v[108:109], v[122:123]
	v_fma_f64 v[106:107], v[106:107], v[122:123], -v[116:117]
	v_add_f64_e32 v[124:125], v[14:15], v[12:13]
	v_add_f64_e32 v[110:111], v[110:111], v[112:113]
	ds_load_b128 v[4:7], v2 offset:1376
	ds_load_b128 v[12:15], v2 offset:1392
	s_wait_loadcnt_dscnt 0x101
	v_mul_f64_e32 v[2:3], v[4:5], v[156:157]
	v_mul_f64_e32 v[112:113], v[6:7], v[156:157]
	s_wait_loadcnt_dscnt 0x0
	v_mul_f64_e32 v[116:117], v[12:13], v[10:11]
	v_mul_f64_e32 v[10:11], v[14:15], v[10:11]
	v_add_f64_e32 v[108:109], v[124:125], v[118:119]
	v_add_f64_e32 v[110:111], v[110:111], v[120:121]
	v_fmac_f64_e32 v[2:3], v[6:7], v[154:155]
	v_fma_f64 v[4:5], v[4:5], v[154:155], -v[112:113]
	v_fmac_f64_e32 v[116:117], v[14:15], v[8:9]
	v_fma_f64 v[8:9], v[12:13], v[8:9], -v[10:11]
	v_add_f64_e32 v[6:7], v[108:109], v[106:107]
	v_add_f64_e32 v[106:107], v[110:111], v[114:115]
	s_delay_alu instid0(VALU_DEP_2) | instskip(NEXT) | instid1(VALU_DEP_2)
	v_add_f64_e32 v[4:5], v[6:7], v[4:5]
	v_add_f64_e32 v[2:3], v[106:107], v[2:3]
	s_delay_alu instid0(VALU_DEP_2) | instskip(NEXT) | instid1(VALU_DEP_2)
	;; [unrolled: 3-line block ×3, first 2 shown]
	v_add_f64_e64 v[2:3], v[146:147], -v[4:5]
	v_add_f64_e64 v[4:5], v[148:149], -v[6:7]
	scratch_store_b128 off, v[2:5], off offset:80
	s_wait_xcnt 0x0
	v_cmpx_lt_u32_e32 4, v1
	s_cbranch_execz .LBB43_269
; %bb.268:
	scratch_load_b128 v[2:5], off, s43
	v_mov_b32_e32 v6, 0
	s_delay_alu instid0(VALU_DEP_1)
	v_dual_mov_b32 v7, v6 :: v_dual_mov_b32 v8, v6
	v_mov_b32_e32 v9, v6
	scratch_store_b128 off, v[6:9], off offset:64
	s_wait_loadcnt 0x0
	ds_store_b128 v104, v[2:5]
.LBB43_269:
	s_wait_xcnt 0x0
	s_or_b32 exec_lo, exec_lo, s2
	s_wait_storecnt_dscnt 0x0
	s_barrier_signal -1
	s_barrier_wait -1
	s_clause 0x9
	scratch_load_b128 v[4:7], off, off offset:80
	scratch_load_b128 v[8:11], off, off offset:96
	;; [unrolled: 1-line block ×10, first 2 shown]
	v_mov_b32_e32 v2, 0
	s_mov_b32 s2, exec_lo
	ds_load_b128 v[134:137], v2 offset:784
	s_clause 0x2
	scratch_load_b128 v[138:141], off, off offset:240
	scratch_load_b128 v[142:145], off, off offset:64
	;; [unrolled: 1-line block ×3, first 2 shown]
	s_wait_loadcnt_dscnt 0xc00
	v_mul_f64_e32 v[154:155], v[136:137], v[6:7]
	v_mul_f64_e32 v[158:159], v[134:135], v[6:7]
	ds_load_b128 v[146:149], v2 offset:800
	v_fma_f64 v[162:163], v[134:135], v[4:5], -v[154:155]
	v_fmac_f64_e32 v[158:159], v[136:137], v[4:5]
	ds_load_b128 v[4:7], v2 offset:816
	s_wait_loadcnt_dscnt 0xb01
	v_mul_f64_e32 v[160:161], v[146:147], v[10:11]
	v_mul_f64_e32 v[10:11], v[148:149], v[10:11]
	scratch_load_b128 v[134:137], off, off offset:272
	ds_load_b128 v[154:157], v2 offset:832
	s_wait_loadcnt_dscnt 0xb01
	v_mul_f64_e32 v[164:165], v[4:5], v[14:15]
	v_mul_f64_e32 v[14:15], v[6:7], v[14:15]
	v_add_f64_e32 v[158:159], 0, v[158:159]
	v_fmac_f64_e32 v[160:161], v[148:149], v[8:9]
	v_fma_f64 v[146:147], v[146:147], v[8:9], -v[10:11]
	v_add_f64_e32 v[148:149], 0, v[162:163]
	scratch_load_b128 v[8:11], off, off offset:288
	v_fmac_f64_e32 v[164:165], v[6:7], v[12:13]
	v_fma_f64 v[166:167], v[4:5], v[12:13], -v[14:15]
	ds_load_b128 v[4:7], v2 offset:848
	s_wait_loadcnt_dscnt 0xb01
	v_mul_f64_e32 v[162:163], v[154:155], v[108:109]
	v_mul_f64_e32 v[108:109], v[156:157], v[108:109]
	scratch_load_b128 v[12:15], off, off offset:304
	v_add_f64_e32 v[158:159], v[158:159], v[160:161]
	v_add_f64_e32 v[168:169], v[148:149], v[146:147]
	ds_load_b128 v[146:149], v2 offset:864
	s_wait_loadcnt_dscnt 0xb01
	v_mul_f64_e32 v[160:161], v[4:5], v[112:113]
	v_mul_f64_e32 v[112:113], v[6:7], v[112:113]
	v_fmac_f64_e32 v[162:163], v[156:157], v[106:107]
	v_fma_f64 v[154:155], v[154:155], v[106:107], -v[108:109]
	scratch_load_b128 v[106:109], off, off offset:320
	v_add_f64_e32 v[158:159], v[158:159], v[164:165]
	v_add_f64_e32 v[156:157], v[168:169], v[166:167]
	v_fmac_f64_e32 v[160:161], v[6:7], v[110:111]
	v_fma_f64 v[166:167], v[4:5], v[110:111], -v[112:113]
	ds_load_b128 v[4:7], v2 offset:880
	s_wait_loadcnt_dscnt 0xb01
	v_mul_f64_e32 v[164:165], v[146:147], v[116:117]
	v_mul_f64_e32 v[116:117], v[148:149], v[116:117]
	scratch_load_b128 v[110:113], off, off offset:336
	v_add_f64_e32 v[158:159], v[158:159], v[162:163]
	s_wait_loadcnt_dscnt 0xb00
	v_mul_f64_e32 v[162:163], v[4:5], v[120:121]
	v_add_f64_e32 v[168:169], v[156:157], v[154:155]
	v_mul_f64_e32 v[120:121], v[6:7], v[120:121]
	ds_load_b128 v[154:157], v2 offset:896
	v_fmac_f64_e32 v[164:165], v[148:149], v[114:115]
	v_fma_f64 v[146:147], v[146:147], v[114:115], -v[116:117]
	scratch_load_b128 v[114:117], off, off offset:352
	v_add_f64_e32 v[158:159], v[158:159], v[160:161]
	v_fmac_f64_e32 v[162:163], v[6:7], v[118:119]
	v_add_f64_e32 v[148:149], v[168:169], v[166:167]
	v_fma_f64 v[166:167], v[4:5], v[118:119], -v[120:121]
	ds_load_b128 v[4:7], v2 offset:912
	s_wait_loadcnt_dscnt 0xb01
	v_mul_f64_e32 v[160:161], v[154:155], v[124:125]
	v_mul_f64_e32 v[124:125], v[156:157], v[124:125]
	scratch_load_b128 v[118:121], off, off offset:368
	v_add_f64_e32 v[158:159], v[158:159], v[164:165]
	s_wait_loadcnt_dscnt 0xb00
	v_mul_f64_e32 v[164:165], v[4:5], v[128:129]
	v_add_f64_e32 v[168:169], v[148:149], v[146:147]
	v_mul_f64_e32 v[128:129], v[6:7], v[128:129]
	ds_load_b128 v[146:149], v2 offset:928
	v_fmac_f64_e32 v[160:161], v[156:157], v[122:123]
	v_fma_f64 v[154:155], v[154:155], v[122:123], -v[124:125]
	scratch_load_b128 v[122:125], off, off offset:384
	v_add_f64_e32 v[158:159], v[158:159], v[162:163]
	v_fmac_f64_e32 v[164:165], v[6:7], v[126:127]
	v_add_f64_e32 v[156:157], v[168:169], v[166:167]
	;; [unrolled: 18-line block ×3, first 2 shown]
	v_fma_f64 v[166:167], v[4:5], v[138:139], -v[140:141]
	ds_load_b128 v[4:7], v2 offset:976
	s_wait_loadcnt_dscnt 0xa01
	v_mul_f64_e32 v[164:165], v[154:155], v[152:153]
	v_mul_f64_e32 v[152:153], v[156:157], v[152:153]
	scratch_load_b128 v[138:141], off, off offset:432
	v_add_f64_e32 v[158:159], v[158:159], v[162:163]
	v_add_f64_e32 v[168:169], v[148:149], v[146:147]
	s_wait_loadcnt_dscnt 0xa00
	v_mul_f64_e32 v[162:163], v[4:5], v[136:137]
	v_mul_f64_e32 v[136:137], v[6:7], v[136:137]
	v_fmac_f64_e32 v[164:165], v[156:157], v[150:151]
	v_fma_f64 v[154:155], v[154:155], v[150:151], -v[152:153]
	ds_load_b128 v[146:149], v2 offset:992
	scratch_load_b128 v[150:153], off, off offset:448
	v_add_f64_e32 v[158:159], v[158:159], v[160:161]
	v_add_f64_e32 v[156:157], v[168:169], v[166:167]
	v_fmac_f64_e32 v[162:163], v[6:7], v[134:135]
	v_fma_f64 v[166:167], v[4:5], v[134:135], -v[136:137]
	ds_load_b128 v[4:7], v2 offset:1008
	s_wait_loadcnt_dscnt 0xa01
	v_mul_f64_e32 v[160:161], v[146:147], v[10:11]
	v_mul_f64_e32 v[10:11], v[148:149], v[10:11]
	scratch_load_b128 v[134:137], off, off offset:464
	v_add_f64_e32 v[158:159], v[158:159], v[164:165]
	s_wait_loadcnt_dscnt 0xa00
	v_mul_f64_e32 v[164:165], v[4:5], v[14:15]
	v_add_f64_e32 v[168:169], v[156:157], v[154:155]
	v_mul_f64_e32 v[14:15], v[6:7], v[14:15]
	ds_load_b128 v[154:157], v2 offset:1024
	v_fmac_f64_e32 v[160:161], v[148:149], v[8:9]
	v_fma_f64 v[146:147], v[146:147], v[8:9], -v[10:11]
	scratch_load_b128 v[8:11], off, off offset:480
	v_add_f64_e32 v[158:159], v[158:159], v[162:163]
	v_fmac_f64_e32 v[164:165], v[6:7], v[12:13]
	v_add_f64_e32 v[148:149], v[168:169], v[166:167]
	v_fma_f64 v[166:167], v[4:5], v[12:13], -v[14:15]
	ds_load_b128 v[4:7], v2 offset:1040
	s_wait_loadcnt_dscnt 0xa01
	v_mul_f64_e32 v[162:163], v[154:155], v[108:109]
	v_mul_f64_e32 v[108:109], v[156:157], v[108:109]
	scratch_load_b128 v[12:15], off, off offset:496
	v_add_f64_e32 v[158:159], v[158:159], v[160:161]
	s_wait_loadcnt_dscnt 0xa00
	v_mul_f64_e32 v[160:161], v[4:5], v[112:113]
	v_add_f64_e32 v[168:169], v[148:149], v[146:147]
	v_mul_f64_e32 v[112:113], v[6:7], v[112:113]
	ds_load_b128 v[146:149], v2 offset:1056
	v_fmac_f64_e32 v[162:163], v[156:157], v[106:107]
	v_fma_f64 v[154:155], v[154:155], v[106:107], -v[108:109]
	scratch_load_b128 v[106:109], off, off offset:512
	v_add_f64_e32 v[158:159], v[158:159], v[164:165]
	v_fmac_f64_e32 v[160:161], v[6:7], v[110:111]
	v_add_f64_e32 v[156:157], v[168:169], v[166:167]
	;; [unrolled: 18-line block ×7, first 2 shown]
	v_fma_f64 v[166:167], v[4:5], v[12:13], -v[14:15]
	ds_load_b128 v[4:7], v2 offset:1232
	s_wait_loadcnt_dscnt 0xa01
	v_mul_f64_e32 v[162:163], v[154:155], v[108:109]
	v_mul_f64_e32 v[108:109], v[156:157], v[108:109]
	scratch_load_b128 v[12:15], off, off offset:688
	v_add_f64_e32 v[158:159], v[158:159], v[160:161]
	s_wait_loadcnt_dscnt 0xa00
	v_mul_f64_e32 v[160:161], v[4:5], v[112:113]
	v_add_f64_e32 v[168:169], v[148:149], v[146:147]
	v_mul_f64_e32 v[112:113], v[6:7], v[112:113]
	ds_load_b128 v[146:149], v2 offset:1248
	v_fmac_f64_e32 v[162:163], v[156:157], v[106:107]
	v_fma_f64 v[106:107], v[154:155], v[106:107], -v[108:109]
	s_wait_loadcnt_dscnt 0x900
	v_mul_f64_e32 v[156:157], v[146:147], v[116:117]
	v_mul_f64_e32 v[116:117], v[148:149], v[116:117]
	v_add_f64_e32 v[154:155], v[158:159], v[164:165]
	v_fmac_f64_e32 v[160:161], v[6:7], v[110:111]
	v_add_f64_e32 v[108:109], v[168:169], v[166:167]
	v_fma_f64 v[110:111], v[4:5], v[110:111], -v[112:113]
	v_fmac_f64_e32 v[156:157], v[148:149], v[114:115]
	v_fma_f64 v[114:115], v[146:147], v[114:115], -v[116:117]
	v_add_f64_e32 v[154:155], v[154:155], v[162:163]
	v_add_f64_e32 v[112:113], v[108:109], v[106:107]
	ds_load_b128 v[4:7], v2 offset:1264
	ds_load_b128 v[106:109], v2 offset:1280
	s_wait_loadcnt_dscnt 0x801
	v_mul_f64_e32 v[158:159], v[4:5], v[120:121]
	v_mul_f64_e32 v[120:121], v[6:7], v[120:121]
	s_wait_loadcnt_dscnt 0x700
	v_mul_f64_e32 v[116:117], v[106:107], v[124:125]
	v_mul_f64_e32 v[124:125], v[108:109], v[124:125]
	v_add_f64_e32 v[110:111], v[112:113], v[110:111]
	v_add_f64_e32 v[112:113], v[154:155], v[160:161]
	v_fmac_f64_e32 v[158:159], v[6:7], v[118:119]
	v_fma_f64 v[118:119], v[4:5], v[118:119], -v[120:121]
	v_fmac_f64_e32 v[116:117], v[108:109], v[122:123]
	v_fma_f64 v[106:107], v[106:107], v[122:123], -v[124:125]
	v_add_f64_e32 v[114:115], v[110:111], v[114:115]
	v_add_f64_e32 v[120:121], v[112:113], v[156:157]
	ds_load_b128 v[4:7], v2 offset:1296
	ds_load_b128 v[110:113], v2 offset:1312
	s_wait_loadcnt_dscnt 0x601
	v_mul_f64_e32 v[146:147], v[4:5], v[128:129]
	v_mul_f64_e32 v[128:129], v[6:7], v[128:129]
	v_add_f64_e32 v[108:109], v[114:115], v[118:119]
	v_add_f64_e32 v[114:115], v[120:121], v[158:159]
	s_wait_loadcnt_dscnt 0x500
	v_mul_f64_e32 v[118:119], v[110:111], v[132:133]
	v_mul_f64_e32 v[120:121], v[112:113], v[132:133]
	v_fmac_f64_e32 v[146:147], v[6:7], v[126:127]
	v_fma_f64 v[122:123], v[4:5], v[126:127], -v[128:129]
	v_add_f64_e32 v[124:125], v[108:109], v[106:107]
	v_add_f64_e32 v[114:115], v[114:115], v[116:117]
	ds_load_b128 v[4:7], v2 offset:1328
	ds_load_b128 v[106:109], v2 offset:1344
	v_fmac_f64_e32 v[118:119], v[112:113], v[130:131]
	v_fma_f64 v[110:111], v[110:111], v[130:131], -v[120:121]
	s_wait_loadcnt_dscnt 0x401
	v_mul_f64_e32 v[116:117], v[4:5], v[140:141]
	v_mul_f64_e32 v[126:127], v[6:7], v[140:141]
	s_wait_loadcnt_dscnt 0x300
	v_mul_f64_e32 v[120:121], v[106:107], v[152:153]
	v_add_f64_e32 v[112:113], v[124:125], v[122:123]
	v_add_f64_e32 v[114:115], v[114:115], v[146:147]
	v_mul_f64_e32 v[122:123], v[108:109], v[152:153]
	v_fmac_f64_e32 v[116:117], v[6:7], v[138:139]
	v_fma_f64 v[124:125], v[4:5], v[138:139], -v[126:127]
	v_fmac_f64_e32 v[120:121], v[108:109], v[150:151]
	v_add_f64_e32 v[126:127], v[112:113], v[110:111]
	v_add_f64_e32 v[114:115], v[114:115], v[118:119]
	ds_load_b128 v[4:7], v2 offset:1360
	ds_load_b128 v[110:113], v2 offset:1376
	v_fma_f64 v[106:107], v[106:107], v[150:151], -v[122:123]
	s_wait_loadcnt_dscnt 0x201
	v_mul_f64_e32 v[118:119], v[4:5], v[136:137]
	v_mul_f64_e32 v[128:129], v[6:7], v[136:137]
	v_add_f64_e32 v[108:109], v[126:127], v[124:125]
	v_add_f64_e32 v[114:115], v[114:115], v[116:117]
	s_wait_loadcnt_dscnt 0x100
	v_mul_f64_e32 v[116:117], v[110:111], v[10:11]
	v_mul_f64_e32 v[10:11], v[112:113], v[10:11]
	v_fmac_f64_e32 v[118:119], v[6:7], v[134:135]
	v_fma_f64 v[122:123], v[4:5], v[134:135], -v[128:129]
	ds_load_b128 v[4:7], v2 offset:1392
	v_add_f64_e32 v[106:107], v[108:109], v[106:107]
	v_add_f64_e32 v[108:109], v[114:115], v[120:121]
	v_fmac_f64_e32 v[116:117], v[112:113], v[8:9]
	v_fma_f64 v[8:9], v[110:111], v[8:9], -v[10:11]
	s_wait_loadcnt_dscnt 0x0
	v_mul_f64_e32 v[114:115], v[4:5], v[14:15]
	v_mul_f64_e32 v[14:15], v[6:7], v[14:15]
	v_add_f64_e32 v[10:11], v[106:107], v[122:123]
	v_add_f64_e32 v[106:107], v[108:109], v[118:119]
	s_delay_alu instid0(VALU_DEP_4) | instskip(NEXT) | instid1(VALU_DEP_4)
	v_fmac_f64_e32 v[114:115], v[6:7], v[12:13]
	v_fma_f64 v[4:5], v[4:5], v[12:13], -v[14:15]
	s_delay_alu instid0(VALU_DEP_4) | instskip(NEXT) | instid1(VALU_DEP_4)
	v_add_f64_e32 v[6:7], v[10:11], v[8:9]
	v_add_f64_e32 v[8:9], v[106:107], v[116:117]
	s_delay_alu instid0(VALU_DEP_2) | instskip(NEXT) | instid1(VALU_DEP_2)
	v_add_f64_e32 v[4:5], v[6:7], v[4:5]
	v_add_f64_e32 v[6:7], v[8:9], v[114:115]
	s_delay_alu instid0(VALU_DEP_2) | instskip(NEXT) | instid1(VALU_DEP_2)
	v_add_f64_e64 v[4:5], v[142:143], -v[4:5]
	v_add_f64_e64 v[6:7], v[144:145], -v[6:7]
	scratch_store_b128 off, v[4:7], off offset:64
	s_wait_xcnt 0x0
	v_cmpx_lt_u32_e32 3, v1
	s_cbranch_execz .LBB43_271
; %bb.270:
	scratch_load_b128 v[6:9], off, s42
	v_dual_mov_b32 v3, v2 :: v_dual_mov_b32 v4, v2
	v_mov_b32_e32 v5, v2
	scratch_store_b128 off, v[2:5], off offset:48
	s_wait_loadcnt 0x0
	ds_store_b128 v104, v[6:9]
.LBB43_271:
	s_wait_xcnt 0x0
	s_or_b32 exec_lo, exec_lo, s2
	s_wait_storecnt_dscnt 0x0
	s_barrier_signal -1
	s_barrier_wait -1
	s_clause 0x9
	scratch_load_b128 v[4:7], off, off offset:64
	scratch_load_b128 v[8:11], off, off offset:80
	;; [unrolled: 1-line block ×10, first 2 shown]
	ds_load_b128 v[134:137], v2 offset:768
	ds_load_b128 v[142:145], v2 offset:784
	s_clause 0x2
	scratch_load_b128 v[138:141], off, off offset:224
	scratch_load_b128 v[146:149], off, off offset:48
	;; [unrolled: 1-line block ×3, first 2 shown]
	s_mov_b32 s2, exec_lo
	s_wait_loadcnt_dscnt 0xc01
	v_mul_f64_e32 v[154:155], v[136:137], v[6:7]
	v_mul_f64_e32 v[158:159], v[134:135], v[6:7]
	s_wait_loadcnt_dscnt 0xb00
	v_mul_f64_e32 v[160:161], v[142:143], v[10:11]
	v_mul_f64_e32 v[10:11], v[144:145], v[10:11]
	s_delay_alu instid0(VALU_DEP_4) | instskip(NEXT) | instid1(VALU_DEP_4)
	v_fma_f64 v[162:163], v[134:135], v[4:5], -v[154:155]
	v_fmac_f64_e32 v[158:159], v[136:137], v[4:5]
	ds_load_b128 v[4:7], v2 offset:800
	ds_load_b128 v[134:137], v2 offset:816
	scratch_load_b128 v[154:157], off, off offset:256
	v_fmac_f64_e32 v[160:161], v[144:145], v[8:9]
	v_fma_f64 v[142:143], v[142:143], v[8:9], -v[10:11]
	scratch_load_b128 v[8:11], off, off offset:272
	s_wait_loadcnt_dscnt 0xc01
	v_mul_f64_e32 v[164:165], v[4:5], v[14:15]
	v_mul_f64_e32 v[14:15], v[6:7], v[14:15]
	v_add_f64_e32 v[144:145], 0, v[162:163]
	v_add_f64_e32 v[158:159], 0, v[158:159]
	s_wait_loadcnt_dscnt 0xb00
	v_mul_f64_e32 v[162:163], v[134:135], v[108:109]
	v_mul_f64_e32 v[108:109], v[136:137], v[108:109]
	v_fmac_f64_e32 v[164:165], v[6:7], v[12:13]
	v_fma_f64 v[166:167], v[4:5], v[12:13], -v[14:15]
	ds_load_b128 v[4:7], v2 offset:832
	ds_load_b128 v[12:15], v2 offset:848
	v_add_f64_e32 v[168:169], v[144:145], v[142:143]
	v_add_f64_e32 v[158:159], v[158:159], v[160:161]
	scratch_load_b128 v[142:145], off, off offset:288
	v_fmac_f64_e32 v[162:163], v[136:137], v[106:107]
	v_fma_f64 v[134:135], v[134:135], v[106:107], -v[108:109]
	scratch_load_b128 v[106:109], off, off offset:304
	s_wait_loadcnt_dscnt 0xc01
	v_mul_f64_e32 v[160:161], v[4:5], v[112:113]
	v_mul_f64_e32 v[112:113], v[6:7], v[112:113]
	v_add_f64_e32 v[136:137], v[168:169], v[166:167]
	v_add_f64_e32 v[158:159], v[158:159], v[164:165]
	s_wait_loadcnt_dscnt 0xb00
	v_mul_f64_e32 v[164:165], v[12:13], v[116:117]
	v_mul_f64_e32 v[116:117], v[14:15], v[116:117]
	v_fmac_f64_e32 v[160:161], v[6:7], v[110:111]
	v_fma_f64 v[166:167], v[4:5], v[110:111], -v[112:113]
	ds_load_b128 v[4:7], v2 offset:864
	ds_load_b128 v[110:113], v2 offset:880
	v_add_f64_e32 v[168:169], v[136:137], v[134:135]
	v_add_f64_e32 v[158:159], v[158:159], v[162:163]
	scratch_load_b128 v[134:137], off, off offset:320
	s_wait_loadcnt_dscnt 0xb01
	v_mul_f64_e32 v[162:163], v[4:5], v[120:121]
	v_mul_f64_e32 v[120:121], v[6:7], v[120:121]
	v_fmac_f64_e32 v[164:165], v[14:15], v[114:115]
	v_fma_f64 v[114:115], v[12:13], v[114:115], -v[116:117]
	scratch_load_b128 v[12:15], off, off offset:336
	v_add_f64_e32 v[116:117], v[168:169], v[166:167]
	v_add_f64_e32 v[158:159], v[158:159], v[160:161]
	s_wait_loadcnt_dscnt 0xb00
	v_mul_f64_e32 v[160:161], v[110:111], v[124:125]
	v_mul_f64_e32 v[124:125], v[112:113], v[124:125]
	v_fmac_f64_e32 v[162:163], v[6:7], v[118:119]
	v_fma_f64 v[166:167], v[4:5], v[118:119], -v[120:121]
	v_add_f64_e32 v[168:169], v[116:117], v[114:115]
	v_add_f64_e32 v[158:159], v[158:159], v[164:165]
	ds_load_b128 v[4:7], v2 offset:896
	ds_load_b128 v[114:117], v2 offset:912
	scratch_load_b128 v[118:121], off, off offset:352
	v_fmac_f64_e32 v[160:161], v[112:113], v[122:123]
	v_fma_f64 v[122:123], v[110:111], v[122:123], -v[124:125]
	scratch_load_b128 v[110:113], off, off offset:368
	s_wait_loadcnt_dscnt 0xc01
	v_mul_f64_e32 v[164:165], v[4:5], v[128:129]
	v_mul_f64_e32 v[128:129], v[6:7], v[128:129]
	v_add_f64_e32 v[124:125], v[168:169], v[166:167]
	v_add_f64_e32 v[158:159], v[158:159], v[162:163]
	s_wait_loadcnt_dscnt 0xb00
	v_mul_f64_e32 v[162:163], v[114:115], v[132:133]
	v_mul_f64_e32 v[132:133], v[116:117], v[132:133]
	v_fmac_f64_e32 v[164:165], v[6:7], v[126:127]
	v_fma_f64 v[166:167], v[4:5], v[126:127], -v[128:129]
	v_add_f64_e32 v[168:169], v[124:125], v[122:123]
	v_add_f64_e32 v[158:159], v[158:159], v[160:161]
	ds_load_b128 v[4:7], v2 offset:928
	ds_load_b128 v[122:125], v2 offset:944
	scratch_load_b128 v[126:129], off, off offset:384
	v_fmac_f64_e32 v[162:163], v[116:117], v[130:131]
	v_fma_f64 v[130:131], v[114:115], v[130:131], -v[132:133]
	scratch_load_b128 v[114:117], off, off offset:400
	s_wait_loadcnt_dscnt 0xc01
	v_mul_f64_e32 v[160:161], v[4:5], v[140:141]
	v_mul_f64_e32 v[140:141], v[6:7], v[140:141]
	;; [unrolled: 18-line block ×5, first 2 shown]
	v_add_f64_e32 v[152:153], v[168:169], v[166:167]
	v_add_f64_e32 v[158:159], v[158:159], v[164:165]
	s_wait_loadcnt_dscnt 0xa00
	v_mul_f64_e32 v[164:165], v[130:131], v[14:15]
	v_mul_f64_e32 v[14:15], v[132:133], v[14:15]
	v_fmac_f64_e32 v[160:161], v[6:7], v[134:135]
	v_fma_f64 v[166:167], v[4:5], v[134:135], -v[136:137]
	ds_load_b128 v[4:7], v2 offset:1056
	ds_load_b128 v[134:137], v2 offset:1072
	v_add_f64_e32 v[168:169], v[152:153], v[150:151]
	v_add_f64_e32 v[158:159], v[158:159], v[162:163]
	scratch_load_b128 v[150:153], off, off offset:512
	v_fmac_f64_e32 v[164:165], v[132:133], v[12:13]
	v_fma_f64 v[130:131], v[130:131], v[12:13], -v[14:15]
	scratch_load_b128 v[12:15], off, off offset:528
	s_wait_loadcnt_dscnt 0xb01
	v_mul_f64_e32 v[162:163], v[4:5], v[120:121]
	v_mul_f64_e32 v[120:121], v[6:7], v[120:121]
	v_add_f64_e32 v[132:133], v[168:169], v[166:167]
	v_add_f64_e32 v[158:159], v[158:159], v[160:161]
	s_wait_loadcnt_dscnt 0xa00
	v_mul_f64_e32 v[160:161], v[134:135], v[112:113]
	v_mul_f64_e32 v[112:113], v[136:137], v[112:113]
	v_fmac_f64_e32 v[162:163], v[6:7], v[118:119]
	v_fma_f64 v[166:167], v[4:5], v[118:119], -v[120:121]
	ds_load_b128 v[4:7], v2 offset:1088
	ds_load_b128 v[118:121], v2 offset:1104
	v_add_f64_e32 v[168:169], v[132:133], v[130:131]
	v_add_f64_e32 v[158:159], v[158:159], v[164:165]
	scratch_load_b128 v[130:133], off, off offset:544
	s_wait_loadcnt_dscnt 0xa01
	v_mul_f64_e32 v[164:165], v[4:5], v[128:129]
	v_mul_f64_e32 v[128:129], v[6:7], v[128:129]
	v_fmac_f64_e32 v[160:161], v[136:137], v[110:111]
	v_fma_f64 v[134:135], v[134:135], v[110:111], -v[112:113]
	scratch_load_b128 v[110:113], off, off offset:560
	v_add_f64_e32 v[136:137], v[168:169], v[166:167]
	v_add_f64_e32 v[158:159], v[158:159], v[162:163]
	s_wait_loadcnt_dscnt 0xa00
	v_mul_f64_e32 v[162:163], v[118:119], v[116:117]
	v_mul_f64_e32 v[116:117], v[120:121], v[116:117]
	v_fmac_f64_e32 v[164:165], v[6:7], v[126:127]
	v_fma_f64 v[166:167], v[4:5], v[126:127], -v[128:129]
	ds_load_b128 v[4:7], v2 offset:1120
	ds_load_b128 v[126:129], v2 offset:1136
	v_add_f64_e32 v[168:169], v[136:137], v[134:135]
	v_add_f64_e32 v[158:159], v[158:159], v[160:161]
	scratch_load_b128 v[134:137], off, off offset:576
	s_wait_loadcnt_dscnt 0xa01
	v_mul_f64_e32 v[160:161], v[4:5], v[140:141]
	v_mul_f64_e32 v[140:141], v[6:7], v[140:141]
	v_fmac_f64_e32 v[162:163], v[120:121], v[114:115]
	v_fma_f64 v[118:119], v[118:119], v[114:115], -v[116:117]
	scratch_load_b128 v[114:117], off, off offset:592
	v_add_f64_e32 v[120:121], v[168:169], v[166:167]
	v_add_f64_e32 v[158:159], v[158:159], v[164:165]
	s_wait_loadcnt_dscnt 0xa00
	v_mul_f64_e32 v[164:165], v[126:127], v[124:125]
	v_mul_f64_e32 v[124:125], v[128:129], v[124:125]
	v_fmac_f64_e32 v[160:161], v[6:7], v[138:139]
	v_fma_f64 v[166:167], v[4:5], v[138:139], -v[140:141]
	v_add_f64_e32 v[168:169], v[120:121], v[118:119]
	v_add_f64_e32 v[158:159], v[158:159], v[162:163]
	ds_load_b128 v[4:7], v2 offset:1152
	ds_load_b128 v[118:121], v2 offset:1168
	scratch_load_b128 v[138:141], off, off offset:608
	v_fmac_f64_e32 v[164:165], v[128:129], v[122:123]
	v_fma_f64 v[126:127], v[126:127], v[122:123], -v[124:125]
	scratch_load_b128 v[122:125], off, off offset:624
	s_wait_loadcnt_dscnt 0xb01
	v_mul_f64_e32 v[162:163], v[4:5], v[156:157]
	v_mul_f64_e32 v[156:157], v[6:7], v[156:157]
	v_add_f64_e32 v[128:129], v[168:169], v[166:167]
	v_add_f64_e32 v[158:159], v[158:159], v[160:161]
	s_wait_loadcnt_dscnt 0xa00
	v_mul_f64_e32 v[160:161], v[118:119], v[10:11]
	v_mul_f64_e32 v[10:11], v[120:121], v[10:11]
	v_fmac_f64_e32 v[162:163], v[6:7], v[154:155]
	v_fma_f64 v[166:167], v[4:5], v[154:155], -v[156:157]
	v_add_f64_e32 v[168:169], v[128:129], v[126:127]
	v_add_f64_e32 v[158:159], v[158:159], v[164:165]
	ds_load_b128 v[4:7], v2 offset:1184
	ds_load_b128 v[126:129], v2 offset:1200
	scratch_load_b128 v[154:157], off, off offset:640
	v_fmac_f64_e32 v[160:161], v[120:121], v[8:9]
	v_fma_f64 v[118:119], v[118:119], v[8:9], -v[10:11]
	scratch_load_b128 v[8:11], off, off offset:656
	s_wait_loadcnt_dscnt 0xb01
	v_mul_f64_e32 v[164:165], v[4:5], v[144:145]
	v_mul_f64_e32 v[144:145], v[6:7], v[144:145]
	;; [unrolled: 18-line block ×3, first 2 shown]
	v_add_f64_e32 v[128:129], v[168:169], v[166:167]
	v_add_f64_e32 v[158:159], v[158:159], v[164:165]
	s_wait_loadcnt_dscnt 0xa00
	v_mul_f64_e32 v[164:165], v[118:119], v[14:15]
	v_mul_f64_e32 v[14:15], v[120:121], v[14:15]
	v_fmac_f64_e32 v[160:161], v[6:7], v[150:151]
	v_fma_f64 v[150:151], v[4:5], v[150:151], -v[152:153]
	v_add_f64_e32 v[152:153], v[128:129], v[126:127]
	v_add_f64_e32 v[158:159], v[158:159], v[162:163]
	ds_load_b128 v[4:7], v2 offset:1248
	ds_load_b128 v[126:129], v2 offset:1264
	v_fmac_f64_e32 v[164:165], v[120:121], v[12:13]
	v_fma_f64 v[12:13], v[118:119], v[12:13], -v[14:15]
	s_wait_loadcnt_dscnt 0x901
	v_mul_f64_e32 v[162:163], v[4:5], v[132:133]
	v_mul_f64_e32 v[132:133], v[6:7], v[132:133]
	s_wait_loadcnt_dscnt 0x800
	v_mul_f64_e32 v[120:121], v[126:127], v[112:113]
	v_mul_f64_e32 v[112:113], v[128:129], v[112:113]
	v_add_f64_e32 v[14:15], v[152:153], v[150:151]
	v_add_f64_e32 v[118:119], v[158:159], v[160:161]
	v_fmac_f64_e32 v[162:163], v[6:7], v[130:131]
	v_fma_f64 v[130:131], v[4:5], v[130:131], -v[132:133]
	v_fmac_f64_e32 v[120:121], v[128:129], v[110:111]
	v_fma_f64 v[110:111], v[126:127], v[110:111], -v[112:113]
	v_add_f64_e32 v[132:133], v[14:15], v[12:13]
	v_add_f64_e32 v[118:119], v[118:119], v[164:165]
	ds_load_b128 v[4:7], v2 offset:1280
	ds_load_b128 v[12:15], v2 offset:1296
	s_wait_loadcnt_dscnt 0x701
	v_mul_f64_e32 v[150:151], v[4:5], v[136:137]
	v_mul_f64_e32 v[136:137], v[6:7], v[136:137]
	s_wait_loadcnt_dscnt 0x600
	v_mul_f64_e32 v[126:127], v[12:13], v[116:117]
	v_mul_f64_e32 v[116:117], v[14:15], v[116:117]
	v_add_f64_e32 v[112:113], v[132:133], v[130:131]
	v_add_f64_e32 v[118:119], v[118:119], v[162:163]
	v_fmac_f64_e32 v[150:151], v[6:7], v[134:135]
	v_fma_f64 v[128:129], v[4:5], v[134:135], -v[136:137]
	v_fmac_f64_e32 v[126:127], v[14:15], v[114:115]
	v_fma_f64 v[12:13], v[12:13], v[114:115], -v[116:117]
	v_add_f64_e32 v[130:131], v[112:113], v[110:111]
	v_add_f64_e32 v[118:119], v[118:119], v[120:121]
	ds_load_b128 v[4:7], v2 offset:1312
	ds_load_b128 v[110:113], v2 offset:1328
	s_wait_loadcnt_dscnt 0x501
	v_mul_f64_e32 v[120:121], v[4:5], v[140:141]
	v_mul_f64_e32 v[132:133], v[6:7], v[140:141]
	s_wait_loadcnt_dscnt 0x400
	v_mul_f64_e32 v[116:117], v[110:111], v[124:125]
	v_add_f64_e32 v[14:15], v[130:131], v[128:129]
	v_add_f64_e32 v[114:115], v[118:119], v[150:151]
	v_mul_f64_e32 v[118:119], v[112:113], v[124:125]
	v_fmac_f64_e32 v[120:121], v[6:7], v[138:139]
	v_fma_f64 v[124:125], v[4:5], v[138:139], -v[132:133]
	v_fmac_f64_e32 v[116:117], v[112:113], v[122:123]
	v_add_f64_e32 v[128:129], v[14:15], v[12:13]
	v_add_f64_e32 v[114:115], v[114:115], v[126:127]
	ds_load_b128 v[4:7], v2 offset:1344
	ds_load_b128 v[12:15], v2 offset:1360
	v_fma_f64 v[110:111], v[110:111], v[122:123], -v[118:119]
	s_wait_loadcnt_dscnt 0x301
	v_mul_f64_e32 v[126:127], v[4:5], v[156:157]
	v_mul_f64_e32 v[130:131], v[6:7], v[156:157]
	s_wait_loadcnt_dscnt 0x200
	v_mul_f64_e32 v[118:119], v[12:13], v[10:11]
	v_mul_f64_e32 v[10:11], v[14:15], v[10:11]
	v_add_f64_e32 v[112:113], v[128:129], v[124:125]
	v_add_f64_e32 v[114:115], v[114:115], v[120:121]
	v_fmac_f64_e32 v[126:127], v[6:7], v[154:155]
	v_fma_f64 v[120:121], v[4:5], v[154:155], -v[130:131]
	v_fmac_f64_e32 v[118:119], v[14:15], v[8:9]
	v_fma_f64 v[8:9], v[12:13], v[8:9], -v[10:11]
	v_add_f64_e32 v[122:123], v[112:113], v[110:111]
	v_add_f64_e32 v[114:115], v[114:115], v[116:117]
	ds_load_b128 v[4:7], v2 offset:1376
	ds_load_b128 v[110:113], v2 offset:1392
	s_wait_loadcnt_dscnt 0x101
	v_mul_f64_e32 v[2:3], v[4:5], v[144:145]
	v_mul_f64_e32 v[116:117], v[6:7], v[144:145]
	s_wait_loadcnt_dscnt 0x0
	v_mul_f64_e32 v[14:15], v[110:111], v[108:109]
	v_mul_f64_e32 v[108:109], v[112:113], v[108:109]
	v_add_f64_e32 v[10:11], v[122:123], v[120:121]
	v_add_f64_e32 v[12:13], v[114:115], v[126:127]
	v_fmac_f64_e32 v[2:3], v[6:7], v[142:143]
	v_fma_f64 v[4:5], v[4:5], v[142:143], -v[116:117]
	v_fmac_f64_e32 v[14:15], v[112:113], v[106:107]
	v_add_f64_e32 v[6:7], v[10:11], v[8:9]
	v_add_f64_e32 v[8:9], v[12:13], v[118:119]
	v_fma_f64 v[10:11], v[110:111], v[106:107], -v[108:109]
	s_delay_alu instid0(VALU_DEP_3) | instskip(NEXT) | instid1(VALU_DEP_3)
	v_add_f64_e32 v[4:5], v[6:7], v[4:5]
	v_add_f64_e32 v[2:3], v[8:9], v[2:3]
	s_delay_alu instid0(VALU_DEP_2) | instskip(NEXT) | instid1(VALU_DEP_2)
	v_add_f64_e32 v[4:5], v[4:5], v[10:11]
	v_add_f64_e32 v[6:7], v[2:3], v[14:15]
	s_delay_alu instid0(VALU_DEP_2) | instskip(NEXT) | instid1(VALU_DEP_2)
	v_add_f64_e64 v[2:3], v[146:147], -v[4:5]
	v_add_f64_e64 v[4:5], v[148:149], -v[6:7]
	scratch_store_b128 off, v[2:5], off offset:48
	s_wait_xcnt 0x0
	v_cmpx_lt_u32_e32 2, v1
	s_cbranch_execz .LBB43_273
; %bb.272:
	scratch_load_b128 v[2:5], off, s40
	v_mov_b32_e32 v6, 0
	s_delay_alu instid0(VALU_DEP_1)
	v_dual_mov_b32 v7, v6 :: v_dual_mov_b32 v8, v6
	v_mov_b32_e32 v9, v6
	scratch_store_b128 off, v[6:9], off offset:32
	s_wait_loadcnt 0x0
	ds_store_b128 v104, v[2:5]
.LBB43_273:
	s_wait_xcnt 0x0
	s_or_b32 exec_lo, exec_lo, s2
	s_wait_storecnt_dscnt 0x0
	s_barrier_signal -1
	s_barrier_wait -1
	s_clause 0x9
	scratch_load_b128 v[4:7], off, off offset:48
	scratch_load_b128 v[8:11], off, off offset:64
	;; [unrolled: 1-line block ×10, first 2 shown]
	v_mov_b32_e32 v2, 0
	s_mov_b32 s2, exec_lo
	v_dual_ashrrev_i32 v21, 31, v20 :: v_dual_ashrrev_i32 v23, 31, v22
	v_ashrrev_i32_e32 v25, 31, v24
	ds_load_b128 v[134:137], v2 offset:752
	s_clause 0x2
	scratch_load_b128 v[138:141], off, off offset:208
	scratch_load_b128 v[142:145], off, off offset:32
	;; [unrolled: 1-line block ×3, first 2 shown]
	v_ashrrev_i32_e32 v29, 31, v28
	v_ashrrev_i32_e32 v33, 31, v32
	v_dual_ashrrev_i32 v37, 31, v36 :: v_dual_ashrrev_i32 v27, 31, v26
	v_ashrrev_i32_e32 v41, 31, v40
	v_dual_ashrrev_i32 v45, 31, v44 :: v_dual_ashrrev_i32 v31, 31, v30
	v_ashrrev_i32_e32 v35, 31, v34
	v_ashrrev_i32_e32 v39, 31, v38
	v_dual_ashrrev_i32 v43, 31, v42 :: v_dual_ashrrev_i32 v49, 31, v48
	v_ashrrev_i32_e32 v47, 31, v46
	v_dual_ashrrev_i32 v51, 31, v50 :: v_dual_ashrrev_i32 v53, 31, v52
	v_dual_ashrrev_i32 v55, 31, v54 :: v_dual_ashrrev_i32 v57, 31, v56
	;; [unrolled: 1-line block ×10, first 2 shown]
	v_ashrrev_i32_e32 v91, 31, v90
	v_dual_ashrrev_i32 v95, 31, v94 :: v_dual_ashrrev_i32 v93, 31, v92
	v_dual_ashrrev_i32 v97, 31, v96 :: v_dual_ashrrev_i32 v99, 31, v98
	;; [unrolled: 1-line block ×3, first 2 shown]
	s_wait_loadcnt_dscnt 0xc00
	v_mul_f64_e32 v[154:155], v[136:137], v[6:7]
	v_mul_f64_e32 v[158:159], v[134:135], v[6:7]
	ds_load_b128 v[146:149], v2 offset:768
	v_fma_f64 v[162:163], v[134:135], v[4:5], -v[154:155]
	v_fmac_f64_e32 v[158:159], v[136:137], v[4:5]
	ds_load_b128 v[4:7], v2 offset:784
	s_wait_loadcnt_dscnt 0xb01
	v_mul_f64_e32 v[160:161], v[146:147], v[10:11]
	v_mul_f64_e32 v[10:11], v[148:149], v[10:11]
	scratch_load_b128 v[134:137], off, off offset:240
	ds_load_b128 v[154:157], v2 offset:800
	s_wait_loadcnt_dscnt 0xb01
	v_mul_f64_e32 v[164:165], v[4:5], v[14:15]
	v_mul_f64_e32 v[14:15], v[6:7], v[14:15]
	v_add_f64_e32 v[158:159], 0, v[158:159]
	v_fmac_f64_e32 v[160:161], v[148:149], v[8:9]
	v_fma_f64 v[146:147], v[146:147], v[8:9], -v[10:11]
	v_add_f64_e32 v[148:149], 0, v[162:163]
	scratch_load_b128 v[8:11], off, off offset:256
	v_fmac_f64_e32 v[164:165], v[6:7], v[12:13]
	v_fma_f64 v[166:167], v[4:5], v[12:13], -v[14:15]
	ds_load_b128 v[4:7], v2 offset:816
	s_wait_loadcnt_dscnt 0xb01
	v_mul_f64_e32 v[162:163], v[154:155], v[108:109]
	v_mul_f64_e32 v[108:109], v[156:157], v[108:109]
	scratch_load_b128 v[12:15], off, off offset:272
	v_add_f64_e32 v[158:159], v[158:159], v[160:161]
	v_add_f64_e32 v[168:169], v[148:149], v[146:147]
	ds_load_b128 v[146:149], v2 offset:832
	s_wait_loadcnt_dscnt 0xb01
	v_mul_f64_e32 v[160:161], v[4:5], v[112:113]
	v_mul_f64_e32 v[112:113], v[6:7], v[112:113]
	v_fmac_f64_e32 v[162:163], v[156:157], v[106:107]
	v_fma_f64 v[154:155], v[154:155], v[106:107], -v[108:109]
	scratch_load_b128 v[106:109], off, off offset:288
	v_add_f64_e32 v[158:159], v[158:159], v[164:165]
	v_add_f64_e32 v[156:157], v[168:169], v[166:167]
	v_fmac_f64_e32 v[160:161], v[6:7], v[110:111]
	v_fma_f64 v[166:167], v[4:5], v[110:111], -v[112:113]
	ds_load_b128 v[4:7], v2 offset:848
	s_wait_loadcnt_dscnt 0xb01
	v_mul_f64_e32 v[164:165], v[146:147], v[116:117]
	v_mul_f64_e32 v[116:117], v[148:149], v[116:117]
	scratch_load_b128 v[110:113], off, off offset:304
	v_add_f64_e32 v[158:159], v[158:159], v[162:163]
	s_wait_loadcnt_dscnt 0xb00
	v_mul_f64_e32 v[162:163], v[4:5], v[120:121]
	v_add_f64_e32 v[168:169], v[156:157], v[154:155]
	v_mul_f64_e32 v[120:121], v[6:7], v[120:121]
	ds_load_b128 v[154:157], v2 offset:864
	v_fmac_f64_e32 v[164:165], v[148:149], v[114:115]
	v_fma_f64 v[146:147], v[146:147], v[114:115], -v[116:117]
	scratch_load_b128 v[114:117], off, off offset:320
	v_add_f64_e32 v[158:159], v[158:159], v[160:161]
	v_fmac_f64_e32 v[162:163], v[6:7], v[118:119]
	v_add_f64_e32 v[148:149], v[168:169], v[166:167]
	v_fma_f64 v[166:167], v[4:5], v[118:119], -v[120:121]
	ds_load_b128 v[4:7], v2 offset:880
	s_wait_loadcnt_dscnt 0xb01
	v_mul_f64_e32 v[160:161], v[154:155], v[124:125]
	v_mul_f64_e32 v[124:125], v[156:157], v[124:125]
	scratch_load_b128 v[118:121], off, off offset:336
	v_add_f64_e32 v[158:159], v[158:159], v[164:165]
	s_wait_loadcnt_dscnt 0xb00
	v_mul_f64_e32 v[164:165], v[4:5], v[128:129]
	v_add_f64_e32 v[168:169], v[148:149], v[146:147]
	v_mul_f64_e32 v[128:129], v[6:7], v[128:129]
	ds_load_b128 v[146:149], v2 offset:896
	v_fmac_f64_e32 v[160:161], v[156:157], v[122:123]
	v_fma_f64 v[154:155], v[154:155], v[122:123], -v[124:125]
	scratch_load_b128 v[122:125], off, off offset:352
	v_add_f64_e32 v[158:159], v[158:159], v[162:163]
	v_fmac_f64_e32 v[164:165], v[6:7], v[126:127]
	v_add_f64_e32 v[156:157], v[168:169], v[166:167]
	;; [unrolled: 18-line block ×3, first 2 shown]
	v_fma_f64 v[166:167], v[4:5], v[138:139], -v[140:141]
	ds_load_b128 v[4:7], v2 offset:944
	s_wait_loadcnt_dscnt 0xa01
	v_mul_f64_e32 v[164:165], v[154:155], v[152:153]
	v_mul_f64_e32 v[152:153], v[156:157], v[152:153]
	scratch_load_b128 v[138:141], off, off offset:400
	v_add_f64_e32 v[158:159], v[158:159], v[162:163]
	v_add_f64_e32 v[168:169], v[148:149], v[146:147]
	s_wait_loadcnt_dscnt 0xa00
	v_mul_f64_e32 v[162:163], v[4:5], v[136:137]
	v_mul_f64_e32 v[136:137], v[6:7], v[136:137]
	v_fmac_f64_e32 v[164:165], v[156:157], v[150:151]
	v_fma_f64 v[154:155], v[154:155], v[150:151], -v[152:153]
	ds_load_b128 v[146:149], v2 offset:960
	scratch_load_b128 v[150:153], off, off offset:416
	v_add_f64_e32 v[158:159], v[158:159], v[160:161]
	v_add_f64_e32 v[156:157], v[168:169], v[166:167]
	v_fmac_f64_e32 v[162:163], v[6:7], v[134:135]
	v_fma_f64 v[166:167], v[4:5], v[134:135], -v[136:137]
	ds_load_b128 v[4:7], v2 offset:976
	s_wait_loadcnt_dscnt 0xa01
	v_mul_f64_e32 v[160:161], v[146:147], v[10:11]
	v_mul_f64_e32 v[10:11], v[148:149], v[10:11]
	scratch_load_b128 v[134:137], off, off offset:432
	v_add_f64_e32 v[158:159], v[158:159], v[164:165]
	s_wait_loadcnt_dscnt 0xa00
	v_mul_f64_e32 v[164:165], v[4:5], v[14:15]
	v_add_f64_e32 v[168:169], v[156:157], v[154:155]
	v_mul_f64_e32 v[14:15], v[6:7], v[14:15]
	ds_load_b128 v[154:157], v2 offset:992
	v_fmac_f64_e32 v[160:161], v[148:149], v[8:9]
	v_fma_f64 v[146:147], v[146:147], v[8:9], -v[10:11]
	scratch_load_b128 v[8:11], off, off offset:448
	v_add_f64_e32 v[158:159], v[158:159], v[162:163]
	v_fmac_f64_e32 v[164:165], v[6:7], v[12:13]
	v_add_f64_e32 v[148:149], v[168:169], v[166:167]
	v_fma_f64 v[166:167], v[4:5], v[12:13], -v[14:15]
	ds_load_b128 v[4:7], v2 offset:1008
	s_wait_loadcnt_dscnt 0xa01
	v_mul_f64_e32 v[162:163], v[154:155], v[108:109]
	v_mul_f64_e32 v[108:109], v[156:157], v[108:109]
	scratch_load_b128 v[12:15], off, off offset:464
	v_add_f64_e32 v[158:159], v[158:159], v[160:161]
	s_wait_loadcnt_dscnt 0xa00
	v_mul_f64_e32 v[160:161], v[4:5], v[112:113]
	v_add_f64_e32 v[168:169], v[148:149], v[146:147]
	v_mul_f64_e32 v[112:113], v[6:7], v[112:113]
	ds_load_b128 v[146:149], v2 offset:1024
	v_fmac_f64_e32 v[162:163], v[156:157], v[106:107]
	v_fma_f64 v[154:155], v[154:155], v[106:107], -v[108:109]
	scratch_load_b128 v[106:109], off, off offset:480
	v_add_f64_e32 v[158:159], v[158:159], v[164:165]
	v_fmac_f64_e32 v[160:161], v[6:7], v[110:111]
	v_add_f64_e32 v[156:157], v[168:169], v[166:167]
	;; [unrolled: 18-line block ×8, first 2 shown]
	v_fma_f64 v[166:167], v[4:5], v[110:111], -v[112:113]
	ds_load_b128 v[4:7], v2 offset:1232
	s_wait_loadcnt_dscnt 0xa01
	v_mul_f64_e32 v[164:165], v[146:147], v[116:117]
	v_mul_f64_e32 v[116:117], v[148:149], v[116:117]
	scratch_load_b128 v[110:113], off, off offset:688
	v_add_f64_e32 v[158:159], v[158:159], v[162:163]
	s_wait_loadcnt_dscnt 0xa00
	v_mul_f64_e32 v[162:163], v[4:5], v[120:121]
	v_add_f64_e32 v[168:169], v[156:157], v[154:155]
	v_mul_f64_e32 v[120:121], v[6:7], v[120:121]
	ds_load_b128 v[154:157], v2 offset:1248
	v_fmac_f64_e32 v[164:165], v[148:149], v[114:115]
	v_fma_f64 v[114:115], v[146:147], v[114:115], -v[116:117]
	s_wait_loadcnt_dscnt 0x900
	v_mul_f64_e32 v[148:149], v[154:155], v[124:125]
	v_mul_f64_e32 v[124:125], v[156:157], v[124:125]
	v_add_f64_e32 v[146:147], v[158:159], v[160:161]
	v_fmac_f64_e32 v[162:163], v[6:7], v[118:119]
	v_add_f64_e32 v[116:117], v[168:169], v[166:167]
	v_fma_f64 v[118:119], v[4:5], v[118:119], -v[120:121]
	v_fmac_f64_e32 v[148:149], v[156:157], v[122:123]
	v_fma_f64 v[122:123], v[154:155], v[122:123], -v[124:125]
	v_add_f64_e32 v[146:147], v[146:147], v[164:165]
	v_add_f64_e32 v[120:121], v[116:117], v[114:115]
	ds_load_b128 v[4:7], v2 offset:1264
	ds_load_b128 v[114:117], v2 offset:1280
	s_wait_loadcnt_dscnt 0x801
	v_mul_f64_e32 v[158:159], v[4:5], v[128:129]
	v_mul_f64_e32 v[128:129], v[6:7], v[128:129]
	s_wait_loadcnt_dscnt 0x700
	v_mul_f64_e32 v[124:125], v[114:115], v[132:133]
	v_mul_f64_e32 v[132:133], v[116:117], v[132:133]
	v_add_f64_e32 v[118:119], v[120:121], v[118:119]
	v_add_f64_e32 v[120:121], v[146:147], v[162:163]
	v_fmac_f64_e32 v[158:159], v[6:7], v[126:127]
	v_fma_f64 v[126:127], v[4:5], v[126:127], -v[128:129]
	v_fmac_f64_e32 v[124:125], v[116:117], v[130:131]
	v_fma_f64 v[114:115], v[114:115], v[130:131], -v[132:133]
	v_add_f64_e32 v[122:123], v[118:119], v[122:123]
	v_add_f64_e32 v[128:129], v[120:121], v[148:149]
	ds_load_b128 v[4:7], v2 offset:1296
	ds_load_b128 v[118:121], v2 offset:1312
	s_wait_loadcnt_dscnt 0x601
	v_mul_f64_e32 v[146:147], v[4:5], v[140:141]
	v_mul_f64_e32 v[140:141], v[6:7], v[140:141]
	v_add_f64_e32 v[116:117], v[122:123], v[126:127]
	v_add_f64_e32 v[122:123], v[128:129], v[158:159]
	s_wait_loadcnt_dscnt 0x500
	v_mul_f64_e32 v[126:127], v[118:119], v[152:153]
	v_mul_f64_e32 v[128:129], v[120:121], v[152:153]
	v_fmac_f64_e32 v[146:147], v[6:7], v[138:139]
	v_fma_f64 v[130:131], v[4:5], v[138:139], -v[140:141]
	v_add_f64_e32 v[132:133], v[116:117], v[114:115]
	v_add_f64_e32 v[122:123], v[122:123], v[124:125]
	ds_load_b128 v[4:7], v2 offset:1328
	ds_load_b128 v[114:117], v2 offset:1344
	v_fmac_f64_e32 v[126:127], v[120:121], v[150:151]
	v_fma_f64 v[118:119], v[118:119], v[150:151], -v[128:129]
	s_wait_loadcnt_dscnt 0x401
	v_mul_f64_e32 v[124:125], v[4:5], v[136:137]
	v_mul_f64_e32 v[136:137], v[6:7], v[136:137]
	s_wait_loadcnt_dscnt 0x300
	v_mul_f64_e32 v[128:129], v[114:115], v[10:11]
	v_mul_f64_e32 v[10:11], v[116:117], v[10:11]
	v_add_f64_e32 v[120:121], v[132:133], v[130:131]
	v_add_f64_e32 v[122:123], v[122:123], v[146:147]
	v_fmac_f64_e32 v[124:125], v[6:7], v[134:135]
	v_fma_f64 v[130:131], v[4:5], v[134:135], -v[136:137]
	v_fmac_f64_e32 v[128:129], v[116:117], v[8:9]
	v_fma_f64 v[8:9], v[114:115], v[8:9], -v[10:11]
	v_add_f64_e32 v[132:133], v[120:121], v[118:119]
	v_add_f64_e32 v[122:123], v[122:123], v[126:127]
	ds_load_b128 v[4:7], v2 offset:1360
	ds_load_b128 v[118:121], v2 offset:1376
	s_wait_loadcnt_dscnt 0x201
	v_mul_f64_e32 v[126:127], v[4:5], v[14:15]
	v_mul_f64_e32 v[14:15], v[6:7], v[14:15]
	s_wait_loadcnt_dscnt 0x100
	v_mul_f64_e32 v[116:117], v[118:119], v[108:109]
	v_mul_f64_e32 v[108:109], v[120:121], v[108:109]
	v_add_f64_e32 v[10:11], v[132:133], v[130:131]
	v_add_f64_e32 v[114:115], v[122:123], v[124:125]
	v_fmac_f64_e32 v[126:127], v[6:7], v[12:13]
	v_fma_f64 v[12:13], v[4:5], v[12:13], -v[14:15]
	ds_load_b128 v[4:7], v2 offset:1392
	v_fmac_f64_e32 v[116:117], v[120:121], v[106:107]
	v_fma_f64 v[106:107], v[118:119], v[106:107], -v[108:109]
	v_add_f64_e32 v[8:9], v[10:11], v[8:9]
	v_add_f64_e32 v[10:11], v[114:115], v[128:129]
	s_wait_loadcnt_dscnt 0x0
	v_mul_f64_e32 v[14:15], v[4:5], v[112:113]
	v_mul_f64_e32 v[112:113], v[6:7], v[112:113]
	s_delay_alu instid0(VALU_DEP_4) | instskip(NEXT) | instid1(VALU_DEP_4)
	v_add_f64_e32 v[8:9], v[8:9], v[12:13]
	v_add_f64_e32 v[10:11], v[10:11], v[126:127]
	s_delay_alu instid0(VALU_DEP_4) | instskip(NEXT) | instid1(VALU_DEP_4)
	v_fmac_f64_e32 v[14:15], v[6:7], v[110:111]
	v_fma_f64 v[4:5], v[4:5], v[110:111], -v[112:113]
	s_delay_alu instid0(VALU_DEP_4) | instskip(NEXT) | instid1(VALU_DEP_4)
	v_add_f64_e32 v[6:7], v[8:9], v[106:107]
	v_add_f64_e32 v[8:9], v[10:11], v[116:117]
	s_delay_alu instid0(VALU_DEP_2) | instskip(NEXT) | instid1(VALU_DEP_2)
	v_add_f64_e32 v[4:5], v[6:7], v[4:5]
	v_add_f64_e32 v[6:7], v[8:9], v[14:15]
	s_delay_alu instid0(VALU_DEP_2) | instskip(NEXT) | instid1(VALU_DEP_2)
	v_add_f64_e64 v[4:5], v[142:143], -v[4:5]
	v_add_f64_e64 v[6:7], v[144:145], -v[6:7]
	scratch_store_b128 off, v[4:7], off offset:32
	s_wait_xcnt 0x0
	v_cmpx_lt_u32_e32 1, v1
	s_cbranch_execz .LBB43_275
; %bb.274:
	scratch_load_b128 v[6:9], off, s44
	v_dual_mov_b32 v3, v2 :: v_dual_mov_b32 v4, v2
	v_mov_b32_e32 v5, v2
	scratch_store_b128 off, v[2:5], off offset:16
	s_wait_loadcnt 0x0
	ds_store_b128 v104, v[6:9]
.LBB43_275:
	s_wait_xcnt 0x0
	s_or_b32 exec_lo, exec_lo, s2
	s_wait_storecnt_dscnt 0x0
	s_barrier_signal -1
	s_barrier_wait -1
	s_clause 0x9
	scratch_load_b128 v[4:7], off, off offset:32
	scratch_load_b128 v[8:11], off, off offset:48
	scratch_load_b128 v[12:15], off, off offset:64
	scratch_load_b128 v[106:109], off, off offset:80
	scratch_load_b128 v[110:113], off, off offset:96
	scratch_load_b128 v[114:117], off, off offset:112
	scratch_load_b128 v[118:121], off, off offset:128
	scratch_load_b128 v[122:125], off, off offset:144
	scratch_load_b128 v[126:129], off, off offset:160
	scratch_load_b128 v[130:133], off, off offset:176
	ds_load_b128 v[134:137], v2 offset:736
	ds_load_b128 v[142:145], v2 offset:752
	s_clause 0x2
	scratch_load_b128 v[138:141], off, off offset:192
	scratch_load_b128 v[146:149], off, off offset:16
	;; [unrolled: 1-line block ×3, first 2 shown]
	s_mov_b32 s2, exec_lo
	s_wait_loadcnt_dscnt 0xc01
	v_mul_f64_e32 v[154:155], v[136:137], v[6:7]
	v_mul_f64_e32 v[158:159], v[134:135], v[6:7]
	s_wait_loadcnt_dscnt 0xb00
	v_mul_f64_e32 v[160:161], v[142:143], v[10:11]
	v_mul_f64_e32 v[10:11], v[144:145], v[10:11]
	s_delay_alu instid0(VALU_DEP_4) | instskip(NEXT) | instid1(VALU_DEP_4)
	v_fma_f64 v[162:163], v[134:135], v[4:5], -v[154:155]
	v_fmac_f64_e32 v[158:159], v[136:137], v[4:5]
	ds_load_b128 v[4:7], v2 offset:768
	ds_load_b128 v[134:137], v2 offset:784
	scratch_load_b128 v[154:157], off, off offset:224
	v_fmac_f64_e32 v[160:161], v[144:145], v[8:9]
	v_fma_f64 v[142:143], v[142:143], v[8:9], -v[10:11]
	scratch_load_b128 v[8:11], off, off offset:240
	s_wait_loadcnt_dscnt 0xc01
	v_mul_f64_e32 v[164:165], v[4:5], v[14:15]
	v_mul_f64_e32 v[14:15], v[6:7], v[14:15]
	v_add_f64_e32 v[144:145], 0, v[162:163]
	v_add_f64_e32 v[158:159], 0, v[158:159]
	s_wait_loadcnt_dscnt 0xb00
	v_mul_f64_e32 v[162:163], v[134:135], v[108:109]
	v_mul_f64_e32 v[108:109], v[136:137], v[108:109]
	v_fmac_f64_e32 v[164:165], v[6:7], v[12:13]
	v_fma_f64 v[166:167], v[4:5], v[12:13], -v[14:15]
	ds_load_b128 v[4:7], v2 offset:800
	ds_load_b128 v[12:15], v2 offset:816
	v_add_f64_e32 v[168:169], v[144:145], v[142:143]
	v_add_f64_e32 v[158:159], v[158:159], v[160:161]
	scratch_load_b128 v[142:145], off, off offset:256
	v_fmac_f64_e32 v[162:163], v[136:137], v[106:107]
	v_fma_f64 v[134:135], v[134:135], v[106:107], -v[108:109]
	scratch_load_b128 v[106:109], off, off offset:272
	s_wait_loadcnt_dscnt 0xc01
	v_mul_f64_e32 v[160:161], v[4:5], v[112:113]
	v_mul_f64_e32 v[112:113], v[6:7], v[112:113]
	v_add_f64_e32 v[136:137], v[168:169], v[166:167]
	v_add_f64_e32 v[158:159], v[158:159], v[164:165]
	s_wait_loadcnt_dscnt 0xb00
	v_mul_f64_e32 v[164:165], v[12:13], v[116:117]
	v_mul_f64_e32 v[116:117], v[14:15], v[116:117]
	v_fmac_f64_e32 v[160:161], v[6:7], v[110:111]
	v_fma_f64 v[166:167], v[4:5], v[110:111], -v[112:113]
	ds_load_b128 v[4:7], v2 offset:832
	ds_load_b128 v[110:113], v2 offset:848
	v_add_f64_e32 v[168:169], v[136:137], v[134:135]
	v_add_f64_e32 v[158:159], v[158:159], v[162:163]
	scratch_load_b128 v[134:137], off, off offset:288
	s_wait_loadcnt_dscnt 0xb01
	v_mul_f64_e32 v[162:163], v[4:5], v[120:121]
	v_mul_f64_e32 v[120:121], v[6:7], v[120:121]
	v_fmac_f64_e32 v[164:165], v[14:15], v[114:115]
	v_fma_f64 v[114:115], v[12:13], v[114:115], -v[116:117]
	scratch_load_b128 v[12:15], off, off offset:304
	v_add_f64_e32 v[116:117], v[168:169], v[166:167]
	v_add_f64_e32 v[158:159], v[158:159], v[160:161]
	s_wait_loadcnt_dscnt 0xb00
	v_mul_f64_e32 v[160:161], v[110:111], v[124:125]
	v_mul_f64_e32 v[124:125], v[112:113], v[124:125]
	v_fmac_f64_e32 v[162:163], v[6:7], v[118:119]
	v_fma_f64 v[166:167], v[4:5], v[118:119], -v[120:121]
	v_add_f64_e32 v[168:169], v[116:117], v[114:115]
	v_add_f64_e32 v[158:159], v[158:159], v[164:165]
	ds_load_b128 v[4:7], v2 offset:864
	ds_load_b128 v[114:117], v2 offset:880
	scratch_load_b128 v[118:121], off, off offset:320
	v_fmac_f64_e32 v[160:161], v[112:113], v[122:123]
	v_fma_f64 v[122:123], v[110:111], v[122:123], -v[124:125]
	scratch_load_b128 v[110:113], off, off offset:336
	s_wait_loadcnt_dscnt 0xc01
	v_mul_f64_e32 v[164:165], v[4:5], v[128:129]
	v_mul_f64_e32 v[128:129], v[6:7], v[128:129]
	v_add_f64_e32 v[124:125], v[168:169], v[166:167]
	v_add_f64_e32 v[158:159], v[158:159], v[162:163]
	s_wait_loadcnt_dscnt 0xb00
	v_mul_f64_e32 v[162:163], v[114:115], v[132:133]
	v_mul_f64_e32 v[132:133], v[116:117], v[132:133]
	v_fmac_f64_e32 v[164:165], v[6:7], v[126:127]
	v_fma_f64 v[166:167], v[4:5], v[126:127], -v[128:129]
	v_add_f64_e32 v[168:169], v[124:125], v[122:123]
	v_add_f64_e32 v[158:159], v[158:159], v[160:161]
	ds_load_b128 v[4:7], v2 offset:896
	ds_load_b128 v[122:125], v2 offset:912
	scratch_load_b128 v[126:129], off, off offset:352
	v_fmac_f64_e32 v[162:163], v[116:117], v[130:131]
	v_fma_f64 v[130:131], v[114:115], v[130:131], -v[132:133]
	scratch_load_b128 v[114:117], off, off offset:368
	s_wait_loadcnt_dscnt 0xc01
	v_mul_f64_e32 v[160:161], v[4:5], v[140:141]
	v_mul_f64_e32 v[140:141], v[6:7], v[140:141]
	;; [unrolled: 18-line block ×5, first 2 shown]
	v_add_f64_e32 v[152:153], v[168:169], v[166:167]
	v_add_f64_e32 v[158:159], v[158:159], v[164:165]
	s_wait_loadcnt_dscnt 0xa00
	v_mul_f64_e32 v[164:165], v[130:131], v[14:15]
	v_mul_f64_e32 v[14:15], v[132:133], v[14:15]
	v_fmac_f64_e32 v[160:161], v[6:7], v[134:135]
	v_fma_f64 v[166:167], v[4:5], v[134:135], -v[136:137]
	ds_load_b128 v[4:7], v2 offset:1024
	ds_load_b128 v[134:137], v2 offset:1040
	v_add_f64_e32 v[168:169], v[152:153], v[150:151]
	v_add_f64_e32 v[158:159], v[158:159], v[162:163]
	scratch_load_b128 v[150:153], off, off offset:480
	v_fmac_f64_e32 v[164:165], v[132:133], v[12:13]
	v_fma_f64 v[130:131], v[130:131], v[12:13], -v[14:15]
	scratch_load_b128 v[12:15], off, off offset:496
	s_wait_loadcnt_dscnt 0xb01
	v_mul_f64_e32 v[162:163], v[4:5], v[120:121]
	v_mul_f64_e32 v[120:121], v[6:7], v[120:121]
	v_add_f64_e32 v[132:133], v[168:169], v[166:167]
	v_add_f64_e32 v[158:159], v[158:159], v[160:161]
	s_wait_loadcnt_dscnt 0xa00
	v_mul_f64_e32 v[160:161], v[134:135], v[112:113]
	v_mul_f64_e32 v[112:113], v[136:137], v[112:113]
	v_fmac_f64_e32 v[162:163], v[6:7], v[118:119]
	v_fma_f64 v[166:167], v[4:5], v[118:119], -v[120:121]
	ds_load_b128 v[4:7], v2 offset:1056
	ds_load_b128 v[118:121], v2 offset:1072
	v_add_f64_e32 v[168:169], v[132:133], v[130:131]
	v_add_f64_e32 v[158:159], v[158:159], v[164:165]
	scratch_load_b128 v[130:133], off, off offset:512
	s_wait_loadcnt_dscnt 0xa01
	v_mul_f64_e32 v[164:165], v[4:5], v[128:129]
	v_mul_f64_e32 v[128:129], v[6:7], v[128:129]
	v_fmac_f64_e32 v[160:161], v[136:137], v[110:111]
	v_fma_f64 v[134:135], v[134:135], v[110:111], -v[112:113]
	scratch_load_b128 v[110:113], off, off offset:528
	v_add_f64_e32 v[136:137], v[168:169], v[166:167]
	v_add_f64_e32 v[158:159], v[158:159], v[162:163]
	s_wait_loadcnt_dscnt 0xa00
	v_mul_f64_e32 v[162:163], v[118:119], v[116:117]
	v_mul_f64_e32 v[116:117], v[120:121], v[116:117]
	v_fmac_f64_e32 v[164:165], v[6:7], v[126:127]
	v_fma_f64 v[166:167], v[4:5], v[126:127], -v[128:129]
	ds_load_b128 v[4:7], v2 offset:1088
	ds_load_b128 v[126:129], v2 offset:1104
	v_add_f64_e32 v[168:169], v[136:137], v[134:135]
	v_add_f64_e32 v[158:159], v[158:159], v[160:161]
	scratch_load_b128 v[134:137], off, off offset:544
	s_wait_loadcnt_dscnt 0xa01
	v_mul_f64_e32 v[160:161], v[4:5], v[140:141]
	v_mul_f64_e32 v[140:141], v[6:7], v[140:141]
	v_fmac_f64_e32 v[162:163], v[120:121], v[114:115]
	v_fma_f64 v[118:119], v[118:119], v[114:115], -v[116:117]
	scratch_load_b128 v[114:117], off, off offset:560
	v_add_f64_e32 v[120:121], v[168:169], v[166:167]
	v_add_f64_e32 v[158:159], v[158:159], v[164:165]
	s_wait_loadcnt_dscnt 0xa00
	v_mul_f64_e32 v[164:165], v[126:127], v[124:125]
	v_mul_f64_e32 v[124:125], v[128:129], v[124:125]
	v_fmac_f64_e32 v[160:161], v[6:7], v[138:139]
	v_fma_f64 v[166:167], v[4:5], v[138:139], -v[140:141]
	v_add_f64_e32 v[168:169], v[120:121], v[118:119]
	v_add_f64_e32 v[158:159], v[158:159], v[162:163]
	ds_load_b128 v[4:7], v2 offset:1120
	ds_load_b128 v[118:121], v2 offset:1136
	scratch_load_b128 v[138:141], off, off offset:576
	v_fmac_f64_e32 v[164:165], v[128:129], v[122:123]
	v_fma_f64 v[126:127], v[126:127], v[122:123], -v[124:125]
	scratch_load_b128 v[122:125], off, off offset:592
	s_wait_loadcnt_dscnt 0xb01
	v_mul_f64_e32 v[162:163], v[4:5], v[156:157]
	v_mul_f64_e32 v[156:157], v[6:7], v[156:157]
	v_add_f64_e32 v[128:129], v[168:169], v[166:167]
	v_add_f64_e32 v[158:159], v[158:159], v[160:161]
	s_wait_loadcnt_dscnt 0xa00
	v_mul_f64_e32 v[160:161], v[118:119], v[10:11]
	v_mul_f64_e32 v[10:11], v[120:121], v[10:11]
	v_fmac_f64_e32 v[162:163], v[6:7], v[154:155]
	v_fma_f64 v[166:167], v[4:5], v[154:155], -v[156:157]
	v_add_f64_e32 v[168:169], v[128:129], v[126:127]
	v_add_f64_e32 v[158:159], v[158:159], v[164:165]
	ds_load_b128 v[4:7], v2 offset:1152
	ds_load_b128 v[126:129], v2 offset:1168
	scratch_load_b128 v[154:157], off, off offset:608
	v_fmac_f64_e32 v[160:161], v[120:121], v[8:9]
	v_fma_f64 v[118:119], v[118:119], v[8:9], -v[10:11]
	scratch_load_b128 v[8:11], off, off offset:624
	s_wait_loadcnt_dscnt 0xb01
	v_mul_f64_e32 v[164:165], v[4:5], v[144:145]
	v_mul_f64_e32 v[144:145], v[6:7], v[144:145]
	v_add_f64_e32 v[120:121], v[168:169], v[166:167]
	v_add_f64_e32 v[158:159], v[158:159], v[162:163]
	s_wait_loadcnt_dscnt 0xa00
	v_mul_f64_e32 v[162:163], v[126:127], v[108:109]
	v_mul_f64_e32 v[108:109], v[128:129], v[108:109]
	v_fmac_f64_e32 v[164:165], v[6:7], v[142:143]
	v_fma_f64 v[166:167], v[4:5], v[142:143], -v[144:145]
	v_add_f64_e32 v[168:169], v[120:121], v[118:119]
	v_add_f64_e32 v[158:159], v[158:159], v[160:161]
	ds_load_b128 v[4:7], v2 offset:1184
	ds_load_b128 v[118:121], v2 offset:1200
	scratch_load_b128 v[142:145], off, off offset:640
	v_fmac_f64_e32 v[162:163], v[128:129], v[106:107]
	v_fma_f64 v[126:127], v[126:127], v[106:107], -v[108:109]
	scratch_load_b128 v[106:109], off, off offset:656
	s_wait_loadcnt_dscnt 0xb01
	v_mul_f64_e32 v[160:161], v[4:5], v[152:153]
	v_mul_f64_e32 v[152:153], v[6:7], v[152:153]
	v_add_f64_e32 v[128:129], v[168:169], v[166:167]
	v_add_f64_e32 v[158:159], v[158:159], v[164:165]
	s_wait_loadcnt_dscnt 0xa00
	v_mul_f64_e32 v[164:165], v[118:119], v[14:15]
	v_mul_f64_e32 v[14:15], v[120:121], v[14:15]
	v_fmac_f64_e32 v[160:161], v[6:7], v[150:151]
	v_fma_f64 v[166:167], v[4:5], v[150:151], -v[152:153]
	v_add_f64_e32 v[168:169], v[128:129], v[126:127]
	v_add_f64_e32 v[158:159], v[158:159], v[162:163]
	ds_load_b128 v[4:7], v2 offset:1216
	ds_load_b128 v[126:129], v2 offset:1232
	scratch_load_b128 v[150:153], off, off offset:672
	v_fmac_f64_e32 v[164:165], v[120:121], v[12:13]
	v_fma_f64 v[118:119], v[118:119], v[12:13], -v[14:15]
	scratch_load_b128 v[12:15], off, off offset:688
	s_wait_loadcnt_dscnt 0xb01
	v_mul_f64_e32 v[162:163], v[4:5], v[132:133]
	v_mul_f64_e32 v[132:133], v[6:7], v[132:133]
	v_add_f64_e32 v[120:121], v[168:169], v[166:167]
	v_add_f64_e32 v[158:159], v[158:159], v[160:161]
	s_wait_loadcnt_dscnt 0xa00
	v_mul_f64_e32 v[160:161], v[126:127], v[112:113]
	v_mul_f64_e32 v[112:113], v[128:129], v[112:113]
	v_fmac_f64_e32 v[162:163], v[6:7], v[130:131]
	v_fma_f64 v[130:131], v[4:5], v[130:131], -v[132:133]
	v_add_f64_e32 v[132:133], v[120:121], v[118:119]
	v_add_f64_e32 v[158:159], v[158:159], v[164:165]
	ds_load_b128 v[4:7], v2 offset:1248
	ds_load_b128 v[118:121], v2 offset:1264
	v_fmac_f64_e32 v[160:161], v[128:129], v[110:111]
	v_fma_f64 v[110:111], v[126:127], v[110:111], -v[112:113]
	s_wait_loadcnt_dscnt 0x901
	v_mul_f64_e32 v[164:165], v[4:5], v[136:137]
	v_mul_f64_e32 v[136:137], v[6:7], v[136:137]
	s_wait_loadcnt_dscnt 0x800
	v_mul_f64_e32 v[128:129], v[118:119], v[116:117]
	v_mul_f64_e32 v[116:117], v[120:121], v[116:117]
	v_add_f64_e32 v[112:113], v[132:133], v[130:131]
	v_add_f64_e32 v[126:127], v[158:159], v[162:163]
	v_fmac_f64_e32 v[164:165], v[6:7], v[134:135]
	v_fma_f64 v[130:131], v[4:5], v[134:135], -v[136:137]
	v_fmac_f64_e32 v[128:129], v[120:121], v[114:115]
	v_fma_f64 v[114:115], v[118:119], v[114:115], -v[116:117]
	v_add_f64_e32 v[132:133], v[112:113], v[110:111]
	v_add_f64_e32 v[126:127], v[126:127], v[160:161]
	ds_load_b128 v[4:7], v2 offset:1280
	ds_load_b128 v[110:113], v2 offset:1296
	s_wait_loadcnt_dscnt 0x701
	v_mul_f64_e32 v[134:135], v[4:5], v[140:141]
	v_mul_f64_e32 v[136:137], v[6:7], v[140:141]
	s_wait_loadcnt_dscnt 0x600
	v_mul_f64_e32 v[120:121], v[110:111], v[124:125]
	v_mul_f64_e32 v[124:125], v[112:113], v[124:125]
	v_add_f64_e32 v[116:117], v[132:133], v[130:131]
	v_add_f64_e32 v[118:119], v[126:127], v[164:165]
	v_fmac_f64_e32 v[134:135], v[6:7], v[138:139]
	v_fma_f64 v[126:127], v[4:5], v[138:139], -v[136:137]
	v_fmac_f64_e32 v[120:121], v[112:113], v[122:123]
	v_fma_f64 v[110:111], v[110:111], v[122:123], -v[124:125]
	v_add_f64_e32 v[130:131], v[116:117], v[114:115]
	v_add_f64_e32 v[118:119], v[118:119], v[128:129]
	ds_load_b128 v[4:7], v2 offset:1312
	ds_load_b128 v[114:117], v2 offset:1328
	s_wait_loadcnt_dscnt 0x501
	v_mul_f64_e32 v[128:129], v[4:5], v[156:157]
	v_mul_f64_e32 v[132:133], v[6:7], v[156:157]
	s_wait_loadcnt_dscnt 0x400
	v_mul_f64_e32 v[122:123], v[114:115], v[10:11]
	v_mul_f64_e32 v[10:11], v[116:117], v[10:11]
	v_add_f64_e32 v[112:113], v[130:131], v[126:127]
	v_add_f64_e32 v[118:119], v[118:119], v[134:135]
	v_fmac_f64_e32 v[128:129], v[6:7], v[154:155]
	v_fma_f64 v[124:125], v[4:5], v[154:155], -v[132:133]
	v_fmac_f64_e32 v[122:123], v[116:117], v[8:9]
	v_fma_f64 v[8:9], v[114:115], v[8:9], -v[10:11]
	v_add_f64_e32 v[126:127], v[112:113], v[110:111]
	v_add_f64_e32 v[118:119], v[118:119], v[120:121]
	ds_load_b128 v[4:7], v2 offset:1344
	ds_load_b128 v[110:113], v2 offset:1360
	s_wait_loadcnt_dscnt 0x301
	v_mul_f64_e32 v[120:121], v[4:5], v[144:145]
	v_mul_f64_e32 v[130:131], v[6:7], v[144:145]
	s_wait_loadcnt_dscnt 0x200
	v_mul_f64_e32 v[116:117], v[110:111], v[108:109]
	v_mul_f64_e32 v[108:109], v[112:113], v[108:109]
	v_add_f64_e32 v[10:11], v[126:127], v[124:125]
	v_add_f64_e32 v[114:115], v[118:119], v[128:129]
	v_fmac_f64_e32 v[120:121], v[6:7], v[142:143]
	v_fma_f64 v[118:119], v[4:5], v[142:143], -v[130:131]
	v_fmac_f64_e32 v[116:117], v[112:113], v[106:107]
	v_fma_f64 v[106:107], v[110:111], v[106:107], -v[108:109]
	v_add_f64_e32 v[124:125], v[10:11], v[8:9]
	v_add_f64_e32 v[114:115], v[114:115], v[122:123]
	ds_load_b128 v[4:7], v2 offset:1376
	ds_load_b128 v[8:11], v2 offset:1392
	s_wait_loadcnt_dscnt 0x101
	v_mul_f64_e32 v[2:3], v[4:5], v[152:153]
	v_mul_f64_e32 v[122:123], v[6:7], v[152:153]
	s_wait_loadcnt_dscnt 0x0
	v_mul_f64_e32 v[112:113], v[8:9], v[14:15]
	v_mul_f64_e32 v[14:15], v[10:11], v[14:15]
	v_add_f64_e32 v[108:109], v[124:125], v[118:119]
	v_add_f64_e32 v[110:111], v[114:115], v[120:121]
	v_fmac_f64_e32 v[2:3], v[6:7], v[150:151]
	v_fma_f64 v[4:5], v[4:5], v[150:151], -v[122:123]
	v_fmac_f64_e32 v[112:113], v[10:11], v[12:13]
	v_fma_f64 v[8:9], v[8:9], v[12:13], -v[14:15]
	v_add_f64_e32 v[6:7], v[108:109], v[106:107]
	v_add_f64_e32 v[106:107], v[110:111], v[116:117]
	s_delay_alu instid0(VALU_DEP_2) | instskip(NEXT) | instid1(VALU_DEP_2)
	v_add_f64_e32 v[4:5], v[6:7], v[4:5]
	v_add_f64_e32 v[2:3], v[106:107], v[2:3]
	s_delay_alu instid0(VALU_DEP_2) | instskip(NEXT) | instid1(VALU_DEP_2)
	v_add_f64_e32 v[4:5], v[4:5], v[8:9]
	v_add_f64_e32 v[6:7], v[2:3], v[112:113]
	s_delay_alu instid0(VALU_DEP_2) | instskip(NEXT) | instid1(VALU_DEP_2)
	v_add_f64_e64 v[2:3], v[146:147], -v[4:5]
	v_add_f64_e64 v[4:5], v[148:149], -v[6:7]
	scratch_store_b128 off, v[2:5], off offset:16
	s_wait_xcnt 0x0
	v_cmpx_ne_u32_e32 0, v1
	s_cbranch_execz .LBB43_277
; %bb.276:
	scratch_load_b128 v[2:5], off, off
	v_mov_b32_e32 v6, 0
	s_delay_alu instid0(VALU_DEP_1)
	v_dual_mov_b32 v7, v6 :: v_dual_mov_b32 v8, v6
	v_mov_b32_e32 v9, v6
	scratch_store_b128 off, v[6:9], off
	s_wait_loadcnt 0x0
	ds_store_b128 v104, v[2:5]
.LBB43_277:
	s_wait_xcnt 0x0
	s_or_b32 exec_lo, exec_lo, s2
	s_wait_storecnt_dscnt 0x0
	s_barrier_signal -1
	s_barrier_wait -1
	s_clause 0x9
	scratch_load_b128 v[2:5], off, off offset:16
	scratch_load_b128 v[6:9], off, off offset:32
	;; [unrolled: 1-line block ×10, first 2 shown]
	v_mov_b32_e32 v124, 0
	s_and_b32 vcc_lo, exec_lo, s56
	ds_load_b128 v[134:137], v124 offset:720
	s_clause 0x2
	scratch_load_b128 v[138:141], off, off offset:176
	scratch_load_b128 v[142:145], off, off
	scratch_load_b128 v[150:153], off, off offset:192
	s_wait_loadcnt_dscnt 0xc00
	v_mul_f64_e32 v[14:15], v[136:137], v[4:5]
	v_mul_f64_e32 v[158:159], v[134:135], v[4:5]
	ds_load_b128 v[146:149], v124 offset:736
	ds_load_b128 v[154:157], v124 offset:768
	v_fma_f64 v[14:15], v[134:135], v[2:3], -v[14:15]
	v_fmac_f64_e32 v[158:159], v[136:137], v[2:3]
	ds_load_b128 v[2:5], v124 offset:752
	s_wait_loadcnt_dscnt 0xb02
	v_mul_f64_e32 v[160:161], v[146:147], v[8:9]
	v_mul_f64_e32 v[8:9], v[148:149], v[8:9]
	scratch_load_b128 v[134:137], off, off offset:208
	s_wait_loadcnt_dscnt 0xb00
	v_mul_f64_e32 v[162:163], v[2:3], v[12:13]
	v_mul_f64_e32 v[12:13], v[4:5], v[12:13]
	v_add_f64_e32 v[14:15], 0, v[14:15]
	v_fmac_f64_e32 v[160:161], v[148:149], v[6:7]
	v_fma_f64 v[146:147], v[146:147], v[6:7], -v[8:9]
	v_add_f64_e32 v[148:149], 0, v[158:159]
	scratch_load_b128 v[6:9], off, off offset:224
	v_fmac_f64_e32 v[162:163], v[4:5], v[10:11]
	v_fma_f64 v[164:165], v[2:3], v[10:11], -v[12:13]
	ds_load_b128 v[2:5], v124 offset:784
	s_wait_loadcnt 0xb
	v_mul_f64_e32 v[158:159], v[154:155], v[106:107]
	v_mul_f64_e32 v[106:107], v[156:157], v[106:107]
	scratch_load_b128 v[10:13], off, off offset:240
	v_add_f64_e32 v[14:15], v[14:15], v[146:147]
	v_add_f64_e32 v[160:161], v[148:149], v[160:161]
	ds_load_b128 v[146:149], v124 offset:800
	s_wait_loadcnt_dscnt 0xb01
	v_mul_f64_e32 v[166:167], v[2:3], v[110:111]
	v_mul_f64_e32 v[110:111], v[4:5], v[110:111]
	v_fmac_f64_e32 v[158:159], v[156:157], v[104:105]
	v_fma_f64 v[154:155], v[154:155], v[104:105], -v[106:107]
	scratch_load_b128 v[104:107], off, off offset:256
	v_add_f64_e32 v[14:15], v[14:15], v[164:165]
	v_add_f64_e32 v[156:157], v[160:161], v[162:163]
	v_fmac_f64_e32 v[166:167], v[4:5], v[108:109]
	v_fma_f64 v[162:163], v[2:3], v[108:109], -v[110:111]
	ds_load_b128 v[2:5], v124 offset:816
	s_wait_loadcnt_dscnt 0xb01
	v_mul_f64_e32 v[160:161], v[146:147], v[114:115]
	v_mul_f64_e32 v[114:115], v[148:149], v[114:115]
	scratch_load_b128 v[108:111], off, off offset:272
	s_wait_loadcnt_dscnt 0xb00
	v_mul_f64_e32 v[164:165], v[2:3], v[118:119]
	v_mul_f64_e32 v[118:119], v[4:5], v[118:119]
	v_add_f64_e32 v[14:15], v[14:15], v[154:155]
	v_add_f64_e32 v[158:159], v[156:157], v[158:159]
	ds_load_b128 v[154:157], v124 offset:832
	v_fmac_f64_e32 v[160:161], v[148:149], v[112:113]
	v_fma_f64 v[146:147], v[146:147], v[112:113], -v[114:115]
	scratch_load_b128 v[112:115], off, off offset:288
	v_fmac_f64_e32 v[164:165], v[4:5], v[116:117]
	v_add_f64_e32 v[14:15], v[14:15], v[162:163]
	v_add_f64_e32 v[148:149], v[158:159], v[166:167]
	v_fma_f64 v[162:163], v[2:3], v[116:117], -v[118:119]
	ds_load_b128 v[2:5], v124 offset:848
	s_wait_loadcnt_dscnt 0xb01
	v_mul_f64_e32 v[158:159], v[154:155], v[122:123]
	v_mul_f64_e32 v[122:123], v[156:157], v[122:123]
	scratch_load_b128 v[116:119], off, off offset:304
	s_wait_loadcnt_dscnt 0xb00
	v_mul_f64_e32 v[166:167], v[2:3], v[128:129]
	v_mul_f64_e32 v[128:129], v[4:5], v[128:129]
	v_add_f64_e32 v[14:15], v[14:15], v[146:147]
	v_add_f64_e32 v[160:161], v[148:149], v[160:161]
	ds_load_b128 v[146:149], v124 offset:864
	v_fmac_f64_e32 v[158:159], v[156:157], v[120:121]
	v_fma_f64 v[154:155], v[154:155], v[120:121], -v[122:123]
	scratch_load_b128 v[120:123], off, off offset:320
	v_fmac_f64_e32 v[166:167], v[4:5], v[126:127]
	v_add_f64_e32 v[14:15], v[14:15], v[162:163]
	v_add_f64_e32 v[156:157], v[160:161], v[164:165]
	;; [unrolled: 18-line block ×3, first 2 shown]
	v_fma_f64 v[162:163], v[2:3], v[138:139], -v[140:141]
	ds_load_b128 v[2:5], v124 offset:912
	s_wait_loadcnt_dscnt 0xa01
	v_mul_f64_e32 v[158:159], v[154:155], v[152:153]
	v_mul_f64_e32 v[152:153], v[156:157], v[152:153]
	scratch_load_b128 v[138:141], off, off offset:368
	v_add_f64_e32 v[14:15], v[14:15], v[146:147]
	v_add_f64_e32 v[160:161], v[148:149], v[160:161]
	s_wait_loadcnt_dscnt 0xa00
	v_mul_f64_e32 v[166:167], v[2:3], v[136:137]
	v_mul_f64_e32 v[136:137], v[4:5], v[136:137]
	v_fmac_f64_e32 v[158:159], v[156:157], v[150:151]
	v_fma_f64 v[154:155], v[154:155], v[150:151], -v[152:153]
	ds_load_b128 v[146:149], v124 offset:928
	scratch_load_b128 v[150:153], off, off offset:384
	v_add_f64_e32 v[14:15], v[14:15], v[162:163]
	v_add_f64_e32 v[156:157], v[160:161], v[164:165]
	v_fmac_f64_e32 v[166:167], v[4:5], v[134:135]
	v_fma_f64 v[162:163], v[2:3], v[134:135], -v[136:137]
	ds_load_b128 v[2:5], v124 offset:944
	s_wait_loadcnt_dscnt 0xa01
	v_mul_f64_e32 v[160:161], v[146:147], v[8:9]
	v_mul_f64_e32 v[8:9], v[148:149], v[8:9]
	scratch_load_b128 v[134:137], off, off offset:400
	s_wait_loadcnt_dscnt 0xa00
	v_mul_f64_e32 v[164:165], v[2:3], v[12:13]
	v_mul_f64_e32 v[12:13], v[4:5], v[12:13]
	v_add_f64_e32 v[14:15], v[14:15], v[154:155]
	v_add_f64_e32 v[158:159], v[156:157], v[158:159]
	ds_load_b128 v[154:157], v124 offset:960
	v_fmac_f64_e32 v[160:161], v[148:149], v[6:7]
	v_fma_f64 v[146:147], v[146:147], v[6:7], -v[8:9]
	scratch_load_b128 v[6:9], off, off offset:416
	v_fmac_f64_e32 v[164:165], v[4:5], v[10:11]
	v_add_f64_e32 v[14:15], v[14:15], v[162:163]
	v_add_f64_e32 v[148:149], v[158:159], v[166:167]
	v_fma_f64 v[162:163], v[2:3], v[10:11], -v[12:13]
	ds_load_b128 v[2:5], v124 offset:976
	s_wait_loadcnt_dscnt 0xa01
	v_mul_f64_e32 v[158:159], v[154:155], v[106:107]
	v_mul_f64_e32 v[106:107], v[156:157], v[106:107]
	scratch_load_b128 v[10:13], off, off offset:432
	s_wait_loadcnt_dscnt 0xa00
	v_mul_f64_e32 v[166:167], v[2:3], v[110:111]
	v_mul_f64_e32 v[110:111], v[4:5], v[110:111]
	v_add_f64_e32 v[14:15], v[14:15], v[146:147]
	v_add_f64_e32 v[160:161], v[148:149], v[160:161]
	ds_load_b128 v[146:149], v124 offset:992
	v_fmac_f64_e32 v[158:159], v[156:157], v[104:105]
	v_fma_f64 v[154:155], v[154:155], v[104:105], -v[106:107]
	scratch_load_b128 v[104:107], off, off offset:448
	v_fmac_f64_e32 v[166:167], v[4:5], v[108:109]
	v_add_f64_e32 v[14:15], v[14:15], v[162:163]
	v_add_f64_e32 v[156:157], v[160:161], v[164:165]
	;; [unrolled: 18-line block ×9, first 2 shown]
	v_fma_f64 v[162:163], v[2:3], v[116:117], -v[118:119]
	ds_load_b128 v[2:5], v124 offset:1232
	s_wait_loadcnt_dscnt 0xa01
	v_mul_f64_e32 v[158:159], v[154:155], v[122:123]
	v_mul_f64_e32 v[122:123], v[156:157], v[122:123]
	scratch_load_b128 v[116:119], off, off offset:688
	s_wait_loadcnt_dscnt 0xa00
	v_mul_f64_e32 v[166:167], v[2:3], v[128:129]
	v_mul_f64_e32 v[128:129], v[4:5], v[128:129]
	v_add_f64_e32 v[14:15], v[14:15], v[146:147]
	v_add_f64_e32 v[160:161], v[148:149], v[160:161]
	ds_load_b128 v[146:149], v124 offset:1248
	v_fmac_f64_e32 v[158:159], v[156:157], v[120:121]
	v_fma_f64 v[120:121], v[154:155], v[120:121], -v[122:123]
	s_wait_loadcnt_dscnt 0x900
	v_mul_f64_e32 v[154:155], v[146:147], v[132:133]
	v_mul_f64_e32 v[132:133], v[148:149], v[132:133]
	v_fmac_f64_e32 v[166:167], v[4:5], v[126:127]
	v_fma_f64 v[126:127], v[2:3], v[126:127], -v[128:129]
	v_add_f64_e32 v[14:15], v[14:15], v[162:163]
	v_add_f64_e32 v[122:123], v[160:161], v[164:165]
	v_fmac_f64_e32 v[154:155], v[148:149], v[130:131]
	v_fma_f64 v[130:131], v[146:147], v[130:131], -v[132:133]
	s_delay_alu instid0(VALU_DEP_4) | instskip(NEXT) | instid1(VALU_DEP_4)
	v_add_f64_e32 v[14:15], v[14:15], v[120:121]
	v_add_f64_e32 v[128:129], v[122:123], v[158:159]
	ds_load_b128 v[2:5], v124 offset:1264
	ds_load_b128 v[120:123], v124 offset:1280
	s_wait_loadcnt_dscnt 0x801
	v_mul_f64_e32 v[156:157], v[2:3], v[140:141]
	v_mul_f64_e32 v[140:141], v[4:5], v[140:141]
	s_wait_loadcnt_dscnt 0x700
	v_mul_f64_e32 v[132:133], v[120:121], v[152:153]
	v_mul_f64_e32 v[146:147], v[122:123], v[152:153]
	v_add_f64_e32 v[14:15], v[14:15], v[126:127]
	v_add_f64_e32 v[126:127], v[128:129], v[166:167]
	v_fmac_f64_e32 v[156:157], v[4:5], v[138:139]
	v_fma_f64 v[138:139], v[2:3], v[138:139], -v[140:141]
	v_fmac_f64_e32 v[132:133], v[122:123], v[150:151]
	v_fma_f64 v[120:121], v[120:121], v[150:151], -v[146:147]
	v_add_f64_e32 v[14:15], v[14:15], v[130:131]
	v_add_f64_e32 v[130:131], v[126:127], v[154:155]
	ds_load_b128 v[2:5], v124 offset:1296
	ds_load_b128 v[126:129], v124 offset:1312
	s_wait_loadcnt_dscnt 0x601
	v_mul_f64_e32 v[140:141], v[2:3], v[136:137]
	v_mul_f64_e32 v[136:137], v[4:5], v[136:137]
	v_add_f64_e32 v[14:15], v[14:15], v[138:139]
	v_add_f64_e32 v[122:123], v[130:131], v[156:157]
	s_wait_loadcnt_dscnt 0x500
	v_mul_f64_e32 v[130:131], v[126:127], v[8:9]
	v_mul_f64_e32 v[8:9], v[128:129], v[8:9]
	v_fmac_f64_e32 v[140:141], v[4:5], v[134:135]
	v_fma_f64 v[134:135], v[2:3], v[134:135], -v[136:137]
	v_add_f64_e32 v[14:15], v[14:15], v[120:121]
	v_add_f64_e32 v[132:133], v[122:123], v[132:133]
	ds_load_b128 v[2:5], v124 offset:1328
	ds_load_b128 v[120:123], v124 offset:1344
	v_fmac_f64_e32 v[130:131], v[128:129], v[6:7]
	v_fma_f64 v[6:7], v[126:127], v[6:7], -v[8:9]
	s_wait_loadcnt_dscnt 0x401
	v_mul_f64_e32 v[136:137], v[2:3], v[12:13]
	v_mul_f64_e32 v[12:13], v[4:5], v[12:13]
	s_wait_loadcnt_dscnt 0x300
	v_mul_f64_e32 v[126:127], v[120:121], v[106:107]
	v_mul_f64_e32 v[106:107], v[122:123], v[106:107]
	v_add_f64_e32 v[8:9], v[14:15], v[134:135]
	v_add_f64_e32 v[14:15], v[132:133], v[140:141]
	v_fmac_f64_e32 v[136:137], v[4:5], v[10:11]
	v_fma_f64 v[10:11], v[2:3], v[10:11], -v[12:13]
	v_fmac_f64_e32 v[126:127], v[122:123], v[104:105]
	v_fma_f64 v[104:105], v[120:121], v[104:105], -v[106:107]
	v_lshl_add_u64 v[120:121], v[20:21], 4, s[4:5]
	v_lshl_add_u64 v[122:123], v[22:23], 4, s[4:5]
	;; [unrolled: 1-line block ×6, first 2 shown]
	v_add_f64_e32 v[12:13], v[8:9], v[6:7]
	v_add_f64_e32 v[14:15], v[14:15], v[130:131]
	ds_load_b128 v[2:5], v124 offset:1360
	ds_load_b128 v[6:9], v124 offset:1376
	s_wait_loadcnt_dscnt 0x201
	v_mul_f64_e32 v[128:129], v[2:3], v[110:111]
	v_mul_f64_e32 v[110:111], v[4:5], v[110:111]
	s_wait_loadcnt_dscnt 0x100
	v_mul_f64_e32 v[106:107], v[8:9], v[114:115]
	v_add_f64_e32 v[10:11], v[12:13], v[10:11]
	v_add_f64_e32 v[12:13], v[14:15], v[136:137]
	v_mul_f64_e32 v[14:15], v[6:7], v[114:115]
	v_lshl_add_u64 v[114:115], v[30:31], 4, s[4:5]
	v_lshl_add_u64 v[30:31], v[64:65], 4, s[4:5]
	;; [unrolled: 1-line block ×3, first 2 shown]
	v_fmac_f64_e32 v[128:129], v[4:5], v[108:109]
	v_fma_f64 v[108:109], v[2:3], v[108:109], -v[110:111]
	ds_load_b128 v[2:5], v124 offset:1392
	v_fma_f64 v[6:7], v[6:7], v[112:113], -v[106:107]
	v_lshl_add_u64 v[106:107], v[38:39], 4, s[4:5]
	v_lshl_add_u64 v[38:39], v[72:73], 4, s[4:5]
	v_add_f64_e32 v[10:11], v[10:11], v[104:105]
	v_add_f64_e32 v[12:13], v[12:13], v[126:127]
	v_fmac_f64_e32 v[14:15], v[8:9], v[112:113]
	v_lshl_add_u64 v[112:113], v[28:29], 4, s[4:5]
	v_lshl_add_u64 v[28:29], v[62:63], 4, s[4:5]
	;; [unrolled: 1-line block ×3, first 2 shown]
	s_wait_loadcnt_dscnt 0x0
	v_mul_f64_e32 v[104:105], v[2:3], v[118:119]
	v_mul_f64_e32 v[110:111], v[4:5], v[118:119]
	v_lshl_add_u64 v[118:119], v[24:25], 4, s[4:5]
	v_lshl_add_u64 v[24:25], v[58:59], 4, s[4:5]
	;; [unrolled: 1-line block ×3, first 2 shown]
	v_add_f64_e32 v[8:9], v[10:11], v[108:109]
	v_add_f64_e32 v[10:11], v[12:13], v[128:129]
	v_lshl_add_u64 v[108:109], v[34:35], 4, s[4:5]
	v_lshl_add_u64 v[12:13], v[50:51], 4, s[4:5]
	;; [unrolled: 1-line block ×5, first 2 shown]
	v_fmac_f64_e32 v[104:105], v[4:5], v[116:117]
	v_fma_f64 v[2:3], v[2:3], v[116:117], -v[110:111]
	v_lshl_add_u64 v[116:117], v[26:27], 4, s[4:5]
	v_lshl_add_u64 v[110:111], v[32:33], 4, s[4:5]
	;; [unrolled: 1-line block ×6, first 2 shown]
	v_add_f64_e32 v[4:5], v[8:9], v[6:7]
	v_add_f64_e32 v[6:7], v[10:11], v[14:15]
	v_lshl_add_u64 v[10:11], v[48:49], 4, s[4:5]
	v_lshl_add_u64 v[14:15], v[52:53], 4, s[4:5]
	;; [unrolled: 1-line block ×4, first 2 shown]
	v_add_f64_e32 v[8:9], v[4:5], v[2:3]
	v_add_f64_e32 v[6:7], v[6:7], v[104:105]
	v_lshl_add_u64 v[104:105], v[36:37], 4, s[4:5]
	v_lshl_add_u64 v[4:5], v[40:41], 4, s[4:5]
	;; [unrolled: 1-line block ×6, first 2 shown]
	v_add_f64_e64 v[126:127], v[142:143], -v[8:9]
	v_add_f64_e64 v[128:129], v[144:145], -v[6:7]
	v_lshl_add_u64 v[6:7], v[44:45], 4, s[4:5]
	v_lshl_add_u64 v[8:9], v[46:47], 4, s[4:5]
	;; [unrolled: 1-line block ×4, first 2 shown]
	scratch_store_b128 off, v[126:129], off
	s_cbranch_vccz .LBB43_364
; %bb.278:
	global_load_b32 v70, v124, s[16:17] offset:168
	s_load_b64 s[2:3], s[0:1], 0x4
	v_bfe_u32 v71, v0, 10, 10
	v_bfe_u32 v0, v0, 20, 10
	s_wait_kmcnt 0x0
	s_lshr_b32 s0, s2, 16
	s_delay_alu instid0(VALU_DEP_2) | instskip(SKIP_1) | instid1(SALU_CYCLE_1)
	v_mul_u32_u24_e32 v71, s3, v71
	s_mul_i32 s0, s0, s3
	v_mul_u32_u24_e32 v1, s0, v1
	s_delay_alu instid0(VALU_DEP_1) | instskip(NEXT) | instid1(VALU_DEP_1)
	v_add3_u32 v0, v1, v71, v0
	v_lshl_add_u32 v0, v0, 4, 0x588
	s_wait_loadcnt 0x0
	v_cmp_ne_u32_e32 vcc_lo, 43, v70
	s_cbranch_vccz .LBB43_280
; %bb.279:
	v_lshlrev_b32_e32 v1, 4, v70
	s_clause 0x1
	scratch_load_b128 v[70:73], off, s22
	scratch_load_b128 v[74:77], v1, off offset:-16
	s_wait_loadcnt 0x1
	ds_store_2addr_b64 v0, v[70:71], v[72:73] offset1:1
	s_wait_loadcnt 0x0
	s_clause 0x1
	scratch_store_b128 off, v[74:77], s22
	scratch_store_b128 v1, v[70:73], off offset:-16
.LBB43_280:
	s_wait_xcnt 0x0
	v_mov_b32_e32 v1, 0
	global_load_b32 v70, v1, s[16:17] offset:164
	s_wait_loadcnt 0x0
	v_cmp_eq_u32_e32 vcc_lo, 42, v70
	s_cbranch_vccnz .LBB43_282
; %bb.281:
	v_lshlrev_b32_e32 v70, 4, v70
	s_delay_alu instid0(VALU_DEP_1)
	v_mov_b32_e32 v78, v70
	s_clause 0x1
	scratch_load_b128 v[70:73], off, s20
	scratch_load_b128 v[74:77], v78, off offset:-16
	s_wait_loadcnt 0x1
	ds_store_2addr_b64 v0, v[70:71], v[72:73] offset1:1
	s_wait_loadcnt 0x0
	s_clause 0x1
	scratch_store_b128 off, v[74:77], s20
	scratch_store_b128 v78, v[70:73], off offset:-16
.LBB43_282:
	global_load_b32 v1, v1, s[16:17] offset:160
	s_wait_loadcnt 0x0
	v_cmp_eq_u32_e32 vcc_lo, 41, v1
	s_cbranch_vccnz .LBB43_284
; %bb.283:
	s_wait_xcnt 0x0
	v_lshlrev_b32_e32 v1, 4, v1
	s_clause 0x1
	scratch_load_b128 v[70:73], off, s25
	scratch_load_b128 v[74:77], v1, off offset:-16
	s_wait_loadcnt 0x1
	ds_store_2addr_b64 v0, v[70:71], v[72:73] offset1:1
	s_wait_loadcnt 0x0
	s_clause 0x1
	scratch_store_b128 off, v[74:77], s25
	scratch_store_b128 v1, v[70:73], off offset:-16
.LBB43_284:
	s_wait_xcnt 0x0
	v_mov_b32_e32 v1, 0
	global_load_b32 v70, v1, s[16:17] offset:156
	s_wait_loadcnt 0x0
	v_cmp_eq_u32_e32 vcc_lo, 40, v70
	s_cbranch_vccnz .LBB43_286
; %bb.285:
	v_lshlrev_b32_e32 v70, 4, v70
	s_delay_alu instid0(VALU_DEP_1)
	v_mov_b32_e32 v78, v70
	s_clause 0x1
	scratch_load_b128 v[70:73], off, s24
	scratch_load_b128 v[74:77], v78, off offset:-16
	s_wait_loadcnt 0x1
	ds_store_2addr_b64 v0, v[70:71], v[72:73] offset1:1
	s_wait_loadcnt 0x0
	s_clause 0x1
	scratch_store_b128 off, v[74:77], s24
	scratch_store_b128 v78, v[70:73], off offset:-16
.LBB43_286:
	global_load_b32 v1, v1, s[16:17] offset:152
	s_wait_loadcnt 0x0
	v_cmp_eq_u32_e32 vcc_lo, 39, v1
	s_cbranch_vccnz .LBB43_288
; %bb.287:
	s_wait_xcnt 0x0
	v_lshlrev_b32_e32 v1, 4, v1
	s_clause 0x1
	scratch_load_b128 v[70:73], off, s31
	scratch_load_b128 v[74:77], v1, off offset:-16
	s_wait_loadcnt 0x1
	ds_store_2addr_b64 v0, v[70:71], v[72:73] offset1:1
	s_wait_loadcnt 0x0
	s_clause 0x1
	scratch_store_b128 off, v[74:77], s31
	scratch_store_b128 v1, v[70:73], off offset:-16
.LBB43_288:
	;; [unrolled: 37-line block ×20, first 2 shown]
	s_wait_xcnt 0x0
	v_mov_b32_e32 v1, 0
	global_load_b32 v70, v1, s[16:17] offset:4
	s_wait_loadcnt 0x0
	v_cmp_eq_u32_e32 vcc_lo, 2, v70
	s_cbranch_vccnz .LBB43_362
; %bb.361:
	v_lshlrev_b32_e32 v70, 4, v70
	s_delay_alu instid0(VALU_DEP_1)
	v_mov_b32_e32 v78, v70
	s_clause 0x1
	scratch_load_b128 v[70:73], off, s44
	scratch_load_b128 v[74:77], v78, off offset:-16
	s_wait_loadcnt 0x1
	ds_store_2addr_b64 v0, v[70:71], v[72:73] offset1:1
	s_wait_loadcnt 0x0
	s_clause 0x1
	scratch_store_b128 off, v[74:77], s44
	scratch_store_b128 v78, v[70:73], off offset:-16
.LBB43_362:
	global_load_b32 v1, v1, s[16:17]
	s_wait_loadcnt 0x0
	v_cmp_eq_u32_e32 vcc_lo, 1, v1
	s_cbranch_vccnz .LBB43_364
; %bb.363:
	s_wait_xcnt 0x0
	v_lshlrev_b32_e32 v1, 4, v1
	scratch_load_b128 v[70:73], off, off
	scratch_load_b128 v[74:77], v1, off offset:-16
	s_wait_loadcnt 0x1
	ds_store_2addr_b64 v0, v[70:71], v[72:73] offset1:1
	s_wait_loadcnt 0x0
	scratch_store_b128 off, v[74:77], off
	scratch_store_b128 v1, v[70:73], off offset:-16
.LBB43_364:
	scratch_load_b128 v[70:73], off, off
	s_clause 0x16
	scratch_load_b128 v[74:77], off, s44
	scratch_load_b128 v[78:81], off, s40
	;; [unrolled: 1-line block ×15, first 2 shown]
	; meta instruction
	; meta instruction
	;; [unrolled: 1-line block ×15, first 2 shown]
	scratch_load_b128 v[156:159], off, s29
	scratch_load_b128 v[160:163], off, s33
	;; [unrolled: 1-line block ×8, first 2 shown]
	s_wait_loadcnt 0x17
	global_store_b128 v[16:17], v[70:73], off
	s_clause 0x1
	scratch_load_b128 v[70:73], off, s30
	scratch_load_b128 v[188:191], off, s34
	s_wait_loadcnt 0x18
	global_store_b128 v[18:19], v[74:77], off
	s_clause 0x1
	scratch_load_b128 v[16:19], off, s26
	scratch_load_b128 v[74:77], off, s27
	s_wait_loadcnt 0x19
	global_store_b128 v[120:121], v[78:81], off
	s_wait_loadcnt 0x18
	global_store_b128 v[122:123], v[82:85], off
	s_clause 0x1
	scratch_load_b128 v[78:81], off, s21
	scratch_load_b128 v[82:85], off, s23
	s_wait_loadcnt 0x19
	global_store_b128 v[118:119], v[86:89], off
	s_clause 0x1
	scratch_load_b128 v[86:89], off, s14
	scratch_load_b128 v[118:121], off, s15
	s_wait_loadcnt 0x1a
	global_store_b128 v[116:117], v[90:93], off
	s_clause 0x1
	scratch_load_b128 v[90:93], off, s12
	scratch_load_b128 v[192:195], off, s13
	s_wait_loadcnt 0x1b
	global_store_b128 v[112:113], v[94:97], off
	s_wait_loadcnt 0x1a
	global_store_b128 v[114:115], v[98:101], off
	s_clause 0x1
	scratch_load_b128 v[94:97], off, s10
	scratch_load_b128 v[98:101], off, s11
	;; [unrolled: 17-line block ×3, first 2 shown]
	s_wait_loadcnt 0x1d
	global_store_b128 v[4:5], v[140:143], off
	s_clause 0x1
	scratch_load_b128 v[130:133], off, s20
	scratch_load_b128 v[134:137], off, s22
	s_wait_loadcnt 0x1e
	global_store_b128 v[2:3], v[144:147], off
	s_wait_loadcnt 0x1d
	global_store_b128 v[6:7], v[148:151], off
	;; [unrolled: 2-line block ×29, first 2 shown]
	s_wait_loadcnt 0x0
	s_clause 0x1
	global_store_b128 v[66:67], v[134:137], off
	global_store_b128 v[68:69], v[184:187], off
	s_sendmsg sendmsg(MSG_DEALLOC_VGPRS)
	s_endpgm
	.section	.rodata,"a",@progbits
	.p2align	6, 0x0
	.amdhsa_kernel _ZN9rocsolver6v33100L18getri_kernel_smallILi44E19rocblas_complex_numIdEPS3_EEvT1_iilPiilS6_bb
		.amdhsa_group_segment_fixed_size 2440
		.amdhsa_private_segment_fixed_size 720
		.amdhsa_kernarg_size 60
		.amdhsa_user_sgpr_count 4
		.amdhsa_user_sgpr_dispatch_ptr 1
		.amdhsa_user_sgpr_queue_ptr 0
		.amdhsa_user_sgpr_kernarg_segment_ptr 1
		.amdhsa_user_sgpr_dispatch_id 0
		.amdhsa_user_sgpr_kernarg_preload_length 0
		.amdhsa_user_sgpr_kernarg_preload_offset 0
		.amdhsa_user_sgpr_private_segment_size 0
		.amdhsa_wavefront_size32 1
		.amdhsa_uses_dynamic_stack 0
		.amdhsa_enable_private_segment 1
		.amdhsa_system_sgpr_workgroup_id_x 1
		.amdhsa_system_sgpr_workgroup_id_y 0
		.amdhsa_system_sgpr_workgroup_id_z 0
		.amdhsa_system_sgpr_workgroup_info 0
		.amdhsa_system_vgpr_workitem_id 2
		.amdhsa_next_free_vgpr 196
		.amdhsa_next_free_sgpr 76
		.amdhsa_named_barrier_count 0
		.amdhsa_reserve_vcc 1
		.amdhsa_float_round_mode_32 0
		.amdhsa_float_round_mode_16_64 0
		.amdhsa_float_denorm_mode_32 3
		.amdhsa_float_denorm_mode_16_64 3
		.amdhsa_fp16_overflow 0
		.amdhsa_memory_ordered 1
		.amdhsa_forward_progress 1
		.amdhsa_inst_pref_size 255
		.amdhsa_round_robin_scheduling 0
		.amdhsa_exception_fp_ieee_invalid_op 0
		.amdhsa_exception_fp_denorm_src 0
		.amdhsa_exception_fp_ieee_div_zero 0
		.amdhsa_exception_fp_ieee_overflow 0
		.amdhsa_exception_fp_ieee_underflow 0
		.amdhsa_exception_fp_ieee_inexact 0
		.amdhsa_exception_int_div_zero 0
	.end_amdhsa_kernel
	.section	.text._ZN9rocsolver6v33100L18getri_kernel_smallILi44E19rocblas_complex_numIdEPS3_EEvT1_iilPiilS6_bb,"axG",@progbits,_ZN9rocsolver6v33100L18getri_kernel_smallILi44E19rocblas_complex_numIdEPS3_EEvT1_iilPiilS6_bb,comdat
.Lfunc_end43:
	.size	_ZN9rocsolver6v33100L18getri_kernel_smallILi44E19rocblas_complex_numIdEPS3_EEvT1_iilPiilS6_bb, .Lfunc_end43-_ZN9rocsolver6v33100L18getri_kernel_smallILi44E19rocblas_complex_numIdEPS3_EEvT1_iilPiilS6_bb
                                        ; -- End function
	.set _ZN9rocsolver6v33100L18getri_kernel_smallILi44E19rocblas_complex_numIdEPS3_EEvT1_iilPiilS6_bb.num_vgpr, 196
	.set _ZN9rocsolver6v33100L18getri_kernel_smallILi44E19rocblas_complex_numIdEPS3_EEvT1_iilPiilS6_bb.num_agpr, 0
	.set _ZN9rocsolver6v33100L18getri_kernel_smallILi44E19rocblas_complex_numIdEPS3_EEvT1_iilPiilS6_bb.numbered_sgpr, 76
	.set _ZN9rocsolver6v33100L18getri_kernel_smallILi44E19rocblas_complex_numIdEPS3_EEvT1_iilPiilS6_bb.num_named_barrier, 0
	.set _ZN9rocsolver6v33100L18getri_kernel_smallILi44E19rocblas_complex_numIdEPS3_EEvT1_iilPiilS6_bb.private_seg_size, 720
	.set _ZN9rocsolver6v33100L18getri_kernel_smallILi44E19rocblas_complex_numIdEPS3_EEvT1_iilPiilS6_bb.uses_vcc, 1
	.set _ZN9rocsolver6v33100L18getri_kernel_smallILi44E19rocblas_complex_numIdEPS3_EEvT1_iilPiilS6_bb.uses_flat_scratch, 1
	.set _ZN9rocsolver6v33100L18getri_kernel_smallILi44E19rocblas_complex_numIdEPS3_EEvT1_iilPiilS6_bb.has_dyn_sized_stack, 0
	.set _ZN9rocsolver6v33100L18getri_kernel_smallILi44E19rocblas_complex_numIdEPS3_EEvT1_iilPiilS6_bb.has_recursion, 0
	.set _ZN9rocsolver6v33100L18getri_kernel_smallILi44E19rocblas_complex_numIdEPS3_EEvT1_iilPiilS6_bb.has_indirect_call, 0
	.section	.AMDGPU.csdata,"",@progbits
; Kernel info:
; codeLenInByte = 76716
; TotalNumSgprs: 78
; NumVgprs: 196
; ScratchSize: 720
; MemoryBound: 0
; FloatMode: 240
; IeeeMode: 1
; LDSByteSize: 2440 bytes/workgroup (compile time only)
; SGPRBlocks: 0
; VGPRBlocks: 12
; NumSGPRsForWavesPerEU: 78
; NumVGPRsForWavesPerEU: 196
; NamedBarCnt: 0
; Occupancy: 4
; WaveLimiterHint : 1
; COMPUTE_PGM_RSRC2:SCRATCH_EN: 1
; COMPUTE_PGM_RSRC2:USER_SGPR: 4
; COMPUTE_PGM_RSRC2:TRAP_HANDLER: 0
; COMPUTE_PGM_RSRC2:TGID_X_EN: 1
; COMPUTE_PGM_RSRC2:TGID_Y_EN: 0
; COMPUTE_PGM_RSRC2:TGID_Z_EN: 0
; COMPUTE_PGM_RSRC2:TIDIG_COMP_CNT: 2
	.section	.text._ZN9rocsolver6v33100L18getri_kernel_smallILi45E19rocblas_complex_numIdEPS3_EEvT1_iilPiilS6_bb,"axG",@progbits,_ZN9rocsolver6v33100L18getri_kernel_smallILi45E19rocblas_complex_numIdEPS3_EEvT1_iilPiilS6_bb,comdat
	.globl	_ZN9rocsolver6v33100L18getri_kernel_smallILi45E19rocblas_complex_numIdEPS3_EEvT1_iilPiilS6_bb ; -- Begin function _ZN9rocsolver6v33100L18getri_kernel_smallILi45E19rocblas_complex_numIdEPS3_EEvT1_iilPiilS6_bb
	.p2align	8
	.type	_ZN9rocsolver6v33100L18getri_kernel_smallILi45E19rocblas_complex_numIdEPS3_EEvT1_iilPiilS6_bb,@function
_ZN9rocsolver6v33100L18getri_kernel_smallILi45E19rocblas_complex_numIdEPS3_EEvT1_iilPiilS6_bb: ; @_ZN9rocsolver6v33100L18getri_kernel_smallILi45E19rocblas_complex_numIdEPS3_EEvT1_iilPiilS6_bb
; %bb.0:
	v_and_b32_e32 v1, 0x3ff, v0
	s_mov_b32 s4, exec_lo
	s_delay_alu instid0(VALU_DEP_1)
	v_cmpx_gt_u32_e32 45, v1
	s_cbranch_execz .LBB44_194
; %bb.1:
	s_clause 0x2
	s_load_b32 s8, s[2:3], 0x38
	s_load_b128 s[12:15], s[2:3], 0x10
	s_load_b128 s[4:7], s[2:3], 0x28
	s_getreg_b32 s11, hwreg(HW_REG_IB_STS2, 6, 4)
                                        ; implicit-def: $sgpr16_sgpr17
	s_wait_kmcnt 0x0
	s_bitcmp1_b32 s8, 8
	s_cselect_b32 s57, -1, 0
	s_bfe_u32 s9, ttmp6, 0x4000c
	s_and_b32 s10, ttmp6, 15
	s_add_co_i32 s9, s9, 1
	s_delay_alu instid0(SALU_CYCLE_1) | instskip(NEXT) | instid1(SALU_CYCLE_1)
	s_mul_i32 s9, ttmp9, s9
	s_add_co_i32 s10, s10, s9
	s_cmp_eq_u32 s11, 0
	s_cselect_b32 s18, ttmp9, s10
	s_bfe_u32 s8, s8, 0x10008
	s_ashr_i32 s19, s18, 31
	s_cmp_eq_u32 s8, 0
	s_cbranch_scc1 .LBB44_3
; %bb.2:
	s_load_b32 s8, s[2:3], 0x20
	s_mul_u64 s[4:5], s[4:5], s[18:19]
	s_delay_alu instid0(SALU_CYCLE_1) | instskip(NEXT) | instid1(SALU_CYCLE_1)
	s_lshl_b64 s[4:5], s[4:5], 2
	s_add_nc_u64 s[4:5], s[14:15], s[4:5]
	s_wait_kmcnt 0x0
	s_ashr_i32 s9, s8, 31
	s_delay_alu instid0(SALU_CYCLE_1) | instskip(NEXT) | instid1(SALU_CYCLE_1)
	s_lshl_b64 s[8:9], s[8:9], 2
	s_add_nc_u64 s[16:17], s[4:5], s[8:9]
.LBB44_3:
	s_clause 0x1
	s_load_b128 s[8:11], s[2:3], 0x0
	s_load_b32 s58, s[2:3], 0x38
	s_wait_xcnt 0x0
	s_mul_u64 s[2:3], s[12:13], s[18:19]
	s_movk_i32 s59, 0x1b0
	s_lshl_b64 s[2:3], s[2:3], 4
	s_movk_i32 s60, 0x1c0
	s_movk_i32 s61, 0x1d0
	;; [unrolled: 1-line block ×15, first 2 shown]
	s_wait_kmcnt 0x0
	v_add3_u32 v36, s11, s11, v1
	s_ashr_i32 s5, s10, 31
	s_mov_b32 s4, s10
	s_add_nc_u64 s[2:3], s[8:9], s[2:3]
	s_lshl_b64 s[4:5], s[4:5], 4
	v_add_nc_u32_e32 v38, s11, v36
	s_add_nc_u64 s[4:5], s[2:3], s[4:5]
	s_ashr_i32 s3, s11, 31
	s_mov_b32 s2, s11
	global_load_b128 v[2:5], v1, s[4:5] scale_offset
	v_add_nc_u32_e32 v40, s11, v38
	s_movk_i32 s75, 0x2b0
	s_movk_i32 s76, 0x2c0
	s_mov_b32 s45, 16
	s_mov_b32 s35, 32
	v_add_nc_u32_e32 v42, s11, v40
	s_mov_b32 s39, 48
	s_mov_b32 s43, 64
	s_movk_i32 s48, 0x50
	s_movk_i32 s50, 0x60
	v_add_nc_u32_e32 v44, s11, v42
	s_movk_i32 s53, 0x70
	s_movk_i32 s46, 0x80
	;; [unrolled: 1-line block ×4, first 2 shown]
	v_add_nc_u32_e32 v46, s11, v44
	s_movk_i32 s52, 0xb0
	s_movk_i32 s54, 0xc0
	;; [unrolled: 1-line block ×4, first 2 shown]
	v_dual_add_nc_u32 v48, s11, v46 :: v_dual_lshlrev_b32 v14, 4, v1
	s_movk_i32 s51, 0xf0
	s_movk_i32 s36, 0x100
	;; [unrolled: 1-line block ×3, first 2 shown]
	s_delay_alu instid0(VALU_DEP_1) | instskip(SKIP_3) | instid1(VALU_DEP_1)
	v_dual_mov_b32 v15, 0 :: v_dual_add_nc_u32 v50, s11, v48
	s_movk_i32 s40, 0x120
	s_movk_i32 s42, 0x130
	;; [unrolled: 1-line block ×3, first 2 shown]
	v_add_nc_u32_e32 v52, s11, v50
	v_add_nc_u64_e32 v[32:33], s[4:5], v[14:15]
	s_movk_i32 s38, 0x150
	s_movk_i32 s41, 0x160
	;; [unrolled: 1-line block ×3, first 2 shown]
	v_add_nc_u32_e32 v54, s11, v52
	s_movk_i32 s34, 0x180
	s_movk_i32 s30, 0x190
	v_lshl_add_u64 v[34:35], s[2:3], 4, v[32:33]
	s_movk_i32 s31, 0x1a0
	v_add_nc_u32_e32 v56, s11, v54
	s_clause 0x9
	global_load_b128 v[6:9], v36, s[4:5] scale_offset
	global_load_b128 v[10:13], v38, s[4:5] scale_offset
	global_load_b128 v[16:19], v[34:35], off
	global_load_b128 v[20:23], v40, s[4:5] scale_offset
	global_load_b128 v[24:27], v42, s[4:5] scale_offset
	;; [unrolled: 1-line block ×7, first 2 shown]
	v_add_nc_u32_e32 v58, s11, v56
	s_mov_b32 s28, s59
	s_mov_b32 s29, s60
	;; [unrolled: 1-line block ×4, first 2 shown]
	v_add_nc_u32_e32 v60, s11, v58
	s_mov_b32 s23, s63
	s_mov_b32 s25, s64
	;; [unrolled: 1-line block ×4, first 2 shown]
	v_add_nc_u32_e32 v62, s11, v60
	s_clause 0x1
	global_load_b128 v[128:131], v54, s[4:5] scale_offset
	global_load_b128 v[132:135], v56, s[4:5] scale_offset
	s_mov_b32 s13, s67
	s_mov_b32 s14, s68
	;; [unrolled: 1-line block ×3, first 2 shown]
	v_add_nc_u32_e32 v64, s11, v62
	s_clause 0x2
	global_load_b128 v[136:139], v58, s[4:5] scale_offset
	global_load_b128 v[140:143], v60, s[4:5] scale_offset
	global_load_b128 v[144:147], v62, s[4:5] scale_offset
	s_mov_b32 s9, s71
	s_mov_b32 s10, s72
	;; [unrolled: 1-line block ×3, first 2 shown]
	v_add_nc_u32_e32 v66, s11, v64
	s_mov_b32 s24, s74
	s_mov_b32 s15, s75
	;; [unrolled: 1-line block ×3, first 2 shown]
	s_bitcmp0_b32 s58, 0
	v_add_nc_u32_e32 v68, s11, v66
	s_mov_b32 s3, -1
	s_delay_alu instid0(VALU_DEP_1) | instskip(NEXT) | instid1(VALU_DEP_1)
	v_add_nc_u32_e32 v70, s11, v68
	v_add_nc_u32_e32 v72, s11, v70
	s_clause 0x1
	global_load_b128 v[148:151], v64, s[4:5] scale_offset
	global_load_b128 v[152:155], v66, s[4:5] scale_offset
	v_add_nc_u32_e32 v74, s11, v72
	s_delay_alu instid0(VALU_DEP_1)
	v_add_nc_u32_e32 v76, s11, v74
	s_clause 0x3
	global_load_b128 v[156:159], v68, s[4:5] scale_offset
	global_load_b128 v[160:163], v70, s[4:5] scale_offset
	;; [unrolled: 1-line block ×4, first 2 shown]
	v_add_nc_u32_e32 v78, s11, v76
	s_delay_alu instid0(VALU_DEP_1) | instskip(NEXT) | instid1(VALU_DEP_1)
	v_add_nc_u32_e32 v80, s11, v78
	v_add_nc_u32_e32 v82, s11, v80
	s_delay_alu instid0(VALU_DEP_1) | instskip(SKIP_4) | instid1(VALU_DEP_1)
	v_add_nc_u32_e32 v84, s11, v82
	s_clause 0x1
	global_load_b128 v[172:175], v76, s[4:5] scale_offset
	global_load_b128 v[176:179], v78, s[4:5] scale_offset
	v_add_nc_u32_e32 v86, s11, v84
	v_add_nc_u32_e32 v88, s11, v86
	s_clause 0x1
	global_load_b128 v[180:183], v80, s[4:5] scale_offset
	global_load_b128 v[184:187], v82, s[4:5] scale_offset
	v_add_nc_u32_e32 v90, s11, v88
	s_delay_alu instid0(VALU_DEP_1) | instskip(NEXT) | instid1(VALU_DEP_1)
	v_add_nc_u32_e32 v92, s11, v90
	v_add_nc_u32_e32 v94, s11, v92
	s_delay_alu instid0(VALU_DEP_1) | instskip(NEXT) | instid1(VALU_DEP_1)
	v_add_nc_u32_e32 v96, s11, v94
	;; [unrolled: 3-line block ×5, first 2 shown]
	v_add_nc_u32_e32 v110, s11, v108
	s_wait_loadcnt 0x19
	scratch_store_b128 off, v[2:5], off
	s_clause 0x1
	global_load_b128 v[2:5], v84, s[4:5] scale_offset
	global_load_b128 v[188:191], v86, s[4:5] scale_offset
	s_wait_loadcnt 0x1a
	scratch_store_b128 off, v[6:9], off offset:32
	s_wait_loadcnt 0x19
	scratch_store_b128 off, v[10:13], off offset:48
	s_clause 0x1
	global_load_b128 v[6:9], v88, s[4:5] scale_offset
	global_load_b128 v[10:13], v90, s[4:5] scale_offset
	s_wait_loadcnt 0x1a
	scratch_store_b128 off, v[16:19], off offset:16
	s_wait_loadcnt 0x19
	scratch_store_b128 off, v[20:23], off offset:64
	;; [unrolled: 2-line block ×3, first 2 shown]
	s_clause 0x1
	global_load_b128 v[16:19], v92, s[4:5] scale_offset
	global_load_b128 v[20:23], v94, s[4:5] scale_offset
	s_wait_loadcnt 0x19
	scratch_store_b128 off, v[28:31], off offset:96
	s_wait_loadcnt 0x18
	scratch_store_b128 off, v[112:115], off offset:112
	s_wait_xcnt 0x0
	v_add_nc_u32_e32 v112, s11, v110
	s_clause 0x1
	global_load_b128 v[24:27], v96, s[4:5] scale_offset
	global_load_b128 v[28:31], v98, s[4:5] scale_offset
	s_wait_loadcnt 0x19
	scratch_store_b128 off, v[116:119], off offset:128
	s_wait_loadcnt 0x18
	scratch_store_b128 off, v[120:123], off offset:144
	s_wait_loadcnt 0x17
	scratch_store_b128 off, v[124:127], off offset:160
	s_clause 0x1
	global_load_b128 v[122:125], v100, s[4:5] scale_offset
	global_load_b128 v[192:195], v102, s[4:5] scale_offset
	v_add_nc_u32_e32 v114, s11, v112
	s_wait_loadcnt 0x18
	scratch_store_b128 off, v[128:131], off offset:176
	s_wait_loadcnt 0x17
	scratch_store_b128 off, v[132:135], off offset:192
	v_add_nc_u32_e32 v116, s11, v114
	s_clause 0x1
	global_load_b128 v[126:129], v104, s[4:5] scale_offset
	global_load_b128 v[130:133], v106, s[4:5] scale_offset
	s_wait_loadcnt 0x18
	scratch_store_b128 off, v[136:139], off offset:208
	s_wait_loadcnt 0x17
	scratch_store_b128 off, v[140:143], off offset:224
	;; [unrolled: 2-line block ×3, first 2 shown]
	v_add_nc_u32_e32 v118, s11, v116
	s_clause 0x1
	global_load_b128 v[134:137], v108, s[4:5] scale_offset
	global_load_b128 v[138:141], v110, s[4:5] scale_offset
	s_wait_loadcnt 0x17
	scratch_store_b128 off, v[148:151], off offset:256
	s_wait_loadcnt 0x16
	scratch_store_b128 off, v[152:155], off offset:272
	v_add_nc_u32_e32 v120, s11, v118
	s_clause 0x1
	global_load_b128 v[142:145], v112, s[4:5] scale_offset
	global_load_b128 v[146:149], v114, s[4:5] scale_offset
	s_mov_b32 s11, s69
	s_wait_loadcnt 0x17
	scratch_store_b128 off, v[156:159], off offset:288
	s_wait_loadcnt 0x16
	scratch_store_b128 off, v[160:163], off offset:304
	s_clause 0x2
	global_load_b128 v[150:153], v116, s[4:5] scale_offset
	global_load_b128 v[154:157], v118, s[4:5] scale_offset
	;; [unrolled: 1-line block ×3, first 2 shown]
	s_wait_loadcnt 0x18
	scratch_store_b128 off, v[164:167], off offset:320
	s_wait_loadcnt 0x17
	scratch_store_b128 off, v[168:171], off offset:336
	;; [unrolled: 2-line block ×25, first 2 shown]
	s_cbranch_scc1 .LBB44_192
; %bb.4:
	v_cmp_eq_u32_e64 s2, 0, v1
	s_wait_xcnt 0x0
	s_and_saveexec_b32 s3, s2
; %bb.5:
	v_mov_b32_e32 v2, 0
	ds_store_b32 v2, v2 offset:1440
; %bb.6:
	s_or_b32 exec_lo, exec_lo, s3
	s_wait_storecnt_dscnt 0x0
	s_barrier_signal -1
	s_barrier_wait -1
	scratch_load_b128 v[2:5], v1, off scale_offset
	s_wait_loadcnt 0x0
	v_cmp_eq_f64_e32 vcc_lo, 0, v[2:3]
	v_cmp_eq_f64_e64 s3, 0, v[4:5]
	s_and_b32 s3, vcc_lo, s3
	s_delay_alu instid0(SALU_CYCLE_1)
	s_and_saveexec_b32 s58, s3
	s_cbranch_execz .LBB44_10
; %bb.7:
	v_mov_b32_e32 v2, 0
	s_mov_b32 s59, 0
	ds_load_b32 v3, v2 offset:1440
	s_wait_dscnt 0x0
	v_readfirstlane_b32 s3, v3
	v_add_nc_u32_e32 v3, 1, v1
	s_cmp_eq_u32 s3, 0
	s_delay_alu instid0(VALU_DEP_1) | instskip(SKIP_1) | instid1(SALU_CYCLE_1)
	v_cmp_gt_i32_e32 vcc_lo, s3, v3
	s_cselect_b32 s60, -1, 0
	s_or_b32 s60, s60, vcc_lo
	s_delay_alu instid0(SALU_CYCLE_1)
	s_and_b32 exec_lo, exec_lo, s60
	s_cbranch_execz .LBB44_10
; %bb.8:
	v_mov_b32_e32 v4, s3
.LBB44_9:                               ; =>This Inner Loop Header: Depth=1
	ds_cmpstore_rtn_b32 v4, v2, v3, v4 offset:1440
	s_wait_dscnt 0x0
	v_cmp_ne_u32_e32 vcc_lo, 0, v4
	v_cmp_le_i32_e64 s3, v4, v3
	s_and_b32 s3, vcc_lo, s3
	s_delay_alu instid0(SALU_CYCLE_1) | instskip(NEXT) | instid1(SALU_CYCLE_1)
	s_and_b32 s3, exec_lo, s3
	s_or_b32 s59, s3, s59
	s_delay_alu instid0(SALU_CYCLE_1)
	s_and_not1_b32 exec_lo, exec_lo, s59
	s_cbranch_execnz .LBB44_9
.LBB44_10:
	s_or_b32 exec_lo, exec_lo, s58
	v_mov_b32_e32 v2, 0
	s_barrier_signal -1
	s_barrier_wait -1
	ds_load_b32 v3, v2 offset:1440
	s_and_saveexec_b32 s3, s2
	s_cbranch_execz .LBB44_12
; %bb.11:
	s_lshl_b64 s[58:59], s[18:19], 2
	s_delay_alu instid0(SALU_CYCLE_1)
	s_add_nc_u64 s[58:59], s[6:7], s[58:59]
	s_wait_dscnt 0x0
	global_store_b32 v2, v3, s[58:59]
.LBB44_12:
	s_wait_xcnt 0x0
	s_or_b32 exec_lo, exec_lo, s3
	s_wait_dscnt 0x0
	v_cmp_ne_u32_e32 vcc_lo, 0, v3
	s_mov_b32 s3, 0
	s_cbranch_vccnz .LBB44_192
; %bb.13:
	v_lshl_add_u32 v15, v1, 4, 0
                                        ; implicit-def: $vgpr6_vgpr7
                                        ; implicit-def: $vgpr10_vgpr11
	scratch_load_b128 v[2:5], v15, off
	s_wait_loadcnt 0x0
	v_cmp_ngt_f64_e64 s3, |v[2:3]|, |v[4:5]|
	s_wait_xcnt 0x0
	s_and_saveexec_b32 s58, s3
	s_delay_alu instid0(SALU_CYCLE_1)
	s_xor_b32 s3, exec_lo, s58
	s_cbranch_execz .LBB44_15
; %bb.14:
	v_div_scale_f64 v[6:7], null, v[4:5], v[4:5], v[2:3]
	v_div_scale_f64 v[12:13], vcc_lo, v[2:3], v[4:5], v[2:3]
	s_delay_alu instid0(VALU_DEP_2) | instskip(SKIP_1) | instid1(TRANS32_DEP_1)
	v_rcp_f64_e32 v[8:9], v[6:7]
	v_nop
	v_fma_f64 v[10:11], -v[6:7], v[8:9], 1.0
	s_delay_alu instid0(VALU_DEP_1) | instskip(NEXT) | instid1(VALU_DEP_1)
	v_fmac_f64_e32 v[8:9], v[8:9], v[10:11]
	v_fma_f64 v[10:11], -v[6:7], v[8:9], 1.0
	s_delay_alu instid0(VALU_DEP_1) | instskip(NEXT) | instid1(VALU_DEP_1)
	v_fmac_f64_e32 v[8:9], v[8:9], v[10:11]
	v_mul_f64_e32 v[10:11], v[12:13], v[8:9]
	s_delay_alu instid0(VALU_DEP_1) | instskip(NEXT) | instid1(VALU_DEP_1)
	v_fma_f64 v[6:7], -v[6:7], v[10:11], v[12:13]
	v_div_fmas_f64 v[6:7], v[6:7], v[8:9], v[10:11]
	s_delay_alu instid0(VALU_DEP_1) | instskip(NEXT) | instid1(VALU_DEP_1)
	v_div_fixup_f64 v[6:7], v[6:7], v[4:5], v[2:3]
	v_fmac_f64_e32 v[4:5], v[2:3], v[6:7]
	s_delay_alu instid0(VALU_DEP_1) | instskip(SKIP_1) | instid1(VALU_DEP_2)
	v_div_scale_f64 v[2:3], null, v[4:5], v[4:5], 1.0
	v_div_scale_f64 v[12:13], vcc_lo, 1.0, v[4:5], 1.0
	v_rcp_f64_e32 v[8:9], v[2:3]
	v_nop
	s_delay_alu instid0(TRANS32_DEP_1) | instskip(NEXT) | instid1(VALU_DEP_1)
	v_fma_f64 v[10:11], -v[2:3], v[8:9], 1.0
	v_fmac_f64_e32 v[8:9], v[8:9], v[10:11]
	s_delay_alu instid0(VALU_DEP_1) | instskip(NEXT) | instid1(VALU_DEP_1)
	v_fma_f64 v[10:11], -v[2:3], v[8:9], 1.0
	v_fmac_f64_e32 v[8:9], v[8:9], v[10:11]
	s_delay_alu instid0(VALU_DEP_1) | instskip(NEXT) | instid1(VALU_DEP_1)
	v_mul_f64_e32 v[10:11], v[12:13], v[8:9]
	v_fma_f64 v[2:3], -v[2:3], v[10:11], v[12:13]
	s_delay_alu instid0(VALU_DEP_1) | instskip(NEXT) | instid1(VALU_DEP_1)
	v_div_fmas_f64 v[2:3], v[2:3], v[8:9], v[10:11]
	v_div_fixup_f64 v[8:9], v[2:3], v[4:5], 1.0
                                        ; implicit-def: $vgpr2_vgpr3
	s_delay_alu instid0(VALU_DEP_1) | instskip(SKIP_1) | instid1(VALU_DEP_2)
	v_mul_f64_e32 v[6:7], v[6:7], v[8:9]
	v_xor_b32_e32 v9, 0x80000000, v9
	v_xor_b32_e32 v11, 0x80000000, v7
	s_delay_alu instid0(VALU_DEP_3)
	v_mov_b32_e32 v10, v6
.LBB44_15:
	s_and_not1_saveexec_b32 s3, s3
	s_cbranch_execz .LBB44_17
; %bb.16:
	v_div_scale_f64 v[6:7], null, v[2:3], v[2:3], v[4:5]
	v_div_scale_f64 v[12:13], vcc_lo, v[4:5], v[2:3], v[4:5]
	s_delay_alu instid0(VALU_DEP_2) | instskip(SKIP_1) | instid1(TRANS32_DEP_1)
	v_rcp_f64_e32 v[8:9], v[6:7]
	v_nop
	v_fma_f64 v[10:11], -v[6:7], v[8:9], 1.0
	s_delay_alu instid0(VALU_DEP_1) | instskip(NEXT) | instid1(VALU_DEP_1)
	v_fmac_f64_e32 v[8:9], v[8:9], v[10:11]
	v_fma_f64 v[10:11], -v[6:7], v[8:9], 1.0
	s_delay_alu instid0(VALU_DEP_1) | instskip(NEXT) | instid1(VALU_DEP_1)
	v_fmac_f64_e32 v[8:9], v[8:9], v[10:11]
	v_mul_f64_e32 v[10:11], v[12:13], v[8:9]
	s_delay_alu instid0(VALU_DEP_1) | instskip(NEXT) | instid1(VALU_DEP_1)
	v_fma_f64 v[6:7], -v[6:7], v[10:11], v[12:13]
	v_div_fmas_f64 v[6:7], v[6:7], v[8:9], v[10:11]
	s_delay_alu instid0(VALU_DEP_1) | instskip(NEXT) | instid1(VALU_DEP_1)
	v_div_fixup_f64 v[8:9], v[6:7], v[2:3], v[4:5]
	v_fmac_f64_e32 v[2:3], v[4:5], v[8:9]
	s_delay_alu instid0(VALU_DEP_1) | instskip(NEXT) | instid1(VALU_DEP_1)
	v_div_scale_f64 v[4:5], null, v[2:3], v[2:3], 1.0
	v_rcp_f64_e32 v[6:7], v[4:5]
	v_nop
	s_delay_alu instid0(TRANS32_DEP_1) | instskip(NEXT) | instid1(VALU_DEP_1)
	v_fma_f64 v[10:11], -v[4:5], v[6:7], 1.0
	v_fmac_f64_e32 v[6:7], v[6:7], v[10:11]
	s_delay_alu instid0(VALU_DEP_1) | instskip(NEXT) | instid1(VALU_DEP_1)
	v_fma_f64 v[10:11], -v[4:5], v[6:7], 1.0
	v_fmac_f64_e32 v[6:7], v[6:7], v[10:11]
	v_div_scale_f64 v[10:11], vcc_lo, 1.0, v[2:3], 1.0
	s_delay_alu instid0(VALU_DEP_1) | instskip(NEXT) | instid1(VALU_DEP_1)
	v_mul_f64_e32 v[12:13], v[10:11], v[6:7]
	v_fma_f64 v[4:5], -v[4:5], v[12:13], v[10:11]
	s_delay_alu instid0(VALU_DEP_1) | instskip(NEXT) | instid1(VALU_DEP_1)
	v_div_fmas_f64 v[4:5], v[4:5], v[6:7], v[12:13]
	v_div_fixup_f64 v[6:7], v[4:5], v[2:3], 1.0
	s_delay_alu instid0(VALU_DEP_1)
	v_mul_f64_e64 v[8:9], v[8:9], -v[6:7]
	v_xor_b32_e32 v11, 0x80000000, v7
	v_mov_b32_e32 v10, v6
.LBB44_17:
	s_or_b32 exec_lo, exec_lo, s3
	s_clause 0x1
	scratch_store_b128 v15, v[6:9], off
	scratch_load_b128 v[2:5], off, s45
	v_xor_b32_e32 v13, 0x80000000, v9
	v_mov_b32_e32 v12, v8
	s_wait_xcnt 0x1
	v_add_nc_u32_e32 v6, 0x2d0, v14
	ds_store_b128 v14, v[10:13]
	s_wait_loadcnt 0x0
	ds_store_b128 v14, v[2:5] offset:720
	s_wait_storecnt_dscnt 0x0
	s_barrier_signal -1
	s_barrier_wait -1
	s_wait_xcnt 0x0
	s_and_saveexec_b32 s3, s2
	s_cbranch_execz .LBB44_19
; %bb.18:
	scratch_load_b128 v[2:5], v15, off
	ds_load_b128 v[8:11], v6
	v_mov_b32_e32 v7, 0
	ds_load_b128 v[16:19], v7 offset:16
	s_wait_loadcnt_dscnt 0x1
	v_mul_f64_e32 v[12:13], v[8:9], v[4:5]
	v_mul_f64_e32 v[4:5], v[10:11], v[4:5]
	s_delay_alu instid0(VALU_DEP_2) | instskip(NEXT) | instid1(VALU_DEP_2)
	v_fmac_f64_e32 v[12:13], v[10:11], v[2:3]
	v_fma_f64 v[2:3], v[8:9], v[2:3], -v[4:5]
	s_delay_alu instid0(VALU_DEP_2) | instskip(NEXT) | instid1(VALU_DEP_2)
	v_add_f64_e32 v[8:9], 0, v[12:13]
	v_add_f64_e32 v[2:3], 0, v[2:3]
	s_wait_dscnt 0x0
	s_delay_alu instid0(VALU_DEP_2) | instskip(NEXT) | instid1(VALU_DEP_2)
	v_mul_f64_e32 v[10:11], v[8:9], v[18:19]
	v_mul_f64_e32 v[4:5], v[2:3], v[18:19]
	s_delay_alu instid0(VALU_DEP_2) | instskip(NEXT) | instid1(VALU_DEP_2)
	v_fma_f64 v[2:3], v[2:3], v[16:17], -v[10:11]
	v_fmac_f64_e32 v[4:5], v[8:9], v[16:17]
	scratch_store_b128 off, v[2:5], off offset:16
.LBB44_19:
	s_wait_xcnt 0x0
	s_or_b32 exec_lo, exec_lo, s3
	s_wait_storecnt 0x0
	s_barrier_signal -1
	s_barrier_wait -1
	scratch_load_b128 v[2:5], off, s35
	s_mov_b32 s3, exec_lo
	s_wait_loadcnt 0x0
	ds_store_b128 v6, v[2:5]
	s_wait_dscnt 0x0
	s_barrier_signal -1
	s_barrier_wait -1
	v_cmpx_gt_u32_e32 2, v1
	s_cbranch_execz .LBB44_23
; %bb.20:
	scratch_load_b128 v[2:5], v15, off
	ds_load_b128 v[8:11], v6
	s_wait_loadcnt_dscnt 0x0
	v_mul_f64_e32 v[12:13], v[10:11], v[4:5]
	v_mul_f64_e32 v[16:17], v[8:9], v[4:5]
	s_delay_alu instid0(VALU_DEP_2) | instskip(NEXT) | instid1(VALU_DEP_2)
	v_fma_f64 v[4:5], v[8:9], v[2:3], -v[12:13]
	v_fmac_f64_e32 v[16:17], v[10:11], v[2:3]
	s_delay_alu instid0(VALU_DEP_2) | instskip(NEXT) | instid1(VALU_DEP_2)
	v_add_f64_e32 v[4:5], 0, v[4:5]
	v_add_f64_e32 v[2:3], 0, v[16:17]
	s_and_saveexec_b32 s58, s2
	s_cbranch_execz .LBB44_22
; %bb.21:
	scratch_load_b128 v[8:11], off, off offset:16
	v_mov_b32_e32 v7, 0
	ds_load_b128 v[16:19], v7 offset:736
	s_wait_loadcnt_dscnt 0x0
	v_mul_f64_e32 v[12:13], v[16:17], v[10:11]
	v_mul_f64_e32 v[10:11], v[18:19], v[10:11]
	s_delay_alu instid0(VALU_DEP_2) | instskip(NEXT) | instid1(VALU_DEP_2)
	v_fmac_f64_e32 v[12:13], v[18:19], v[8:9]
	v_fma_f64 v[8:9], v[16:17], v[8:9], -v[10:11]
	s_delay_alu instid0(VALU_DEP_2) | instskip(NEXT) | instid1(VALU_DEP_2)
	v_add_f64_e32 v[2:3], v[2:3], v[12:13]
	v_add_f64_e32 v[4:5], v[4:5], v[8:9]
.LBB44_22:
	s_or_b32 exec_lo, exec_lo, s58
	v_mov_b32_e32 v7, 0
	ds_load_b128 v[8:11], v7 offset:32
	s_wait_dscnt 0x0
	v_mul_f64_e32 v[16:17], v[2:3], v[10:11]
	v_mul_f64_e32 v[12:13], v[4:5], v[10:11]
	s_delay_alu instid0(VALU_DEP_2) | instskip(NEXT) | instid1(VALU_DEP_2)
	v_fma_f64 v[10:11], v[4:5], v[8:9], -v[16:17]
	v_fmac_f64_e32 v[12:13], v[2:3], v[8:9]
	scratch_store_b128 off, v[10:13], off offset:32
.LBB44_23:
	s_wait_xcnt 0x0
	s_or_b32 exec_lo, exec_lo, s3
	s_wait_storecnt 0x0
	s_barrier_signal -1
	s_barrier_wait -1
	scratch_load_b128 v[2:5], off, s39
	v_add_nc_u32_e32 v7, -1, v1
	s_mov_b32 s2, exec_lo
	s_wait_loadcnt 0x0
	ds_store_b128 v6, v[2:5]
	s_wait_dscnt 0x0
	s_barrier_signal -1
	s_barrier_wait -1
	v_cmpx_gt_u32_e32 3, v1
	s_cbranch_execz .LBB44_27
; %bb.24:
	v_dual_mov_b32 v10, v14 :: v_dual_add_nc_u32 v8, -1, v1
	v_mov_b64_e32 v[2:3], 0
	v_mov_b64_e32 v[4:5], 0
	v_add_nc_u32_e32 v9, 0x2d0, v14
	s_delay_alu instid0(VALU_DEP_4)
	v_or_b32_e32 v10, 8, v10
	s_mov_b32 s3, 0
.LBB44_25:                              ; =>This Inner Loop Header: Depth=1
	scratch_load_b128 v[16:19], v10, off offset:-8
	ds_load_b128 v[20:23], v9
	v_dual_add_nc_u32 v8, 1, v8 :: v_dual_add_nc_u32 v9, 16, v9
	s_wait_xcnt 0x0
	v_add_nc_u32_e32 v10, 16, v10
	s_delay_alu instid0(VALU_DEP_2) | instskip(SKIP_4) | instid1(VALU_DEP_2)
	v_cmp_lt_u32_e32 vcc_lo, 1, v8
	s_or_b32 s3, vcc_lo, s3
	s_wait_loadcnt_dscnt 0x0
	v_mul_f64_e32 v[12:13], v[22:23], v[18:19]
	v_mul_f64_e32 v[18:19], v[20:21], v[18:19]
	v_fma_f64 v[12:13], v[20:21], v[16:17], -v[12:13]
	s_delay_alu instid0(VALU_DEP_2) | instskip(NEXT) | instid1(VALU_DEP_2)
	v_fmac_f64_e32 v[18:19], v[22:23], v[16:17]
	v_add_f64_e32 v[4:5], v[4:5], v[12:13]
	s_delay_alu instid0(VALU_DEP_2)
	v_add_f64_e32 v[2:3], v[2:3], v[18:19]
	s_and_not1_b32 exec_lo, exec_lo, s3
	s_cbranch_execnz .LBB44_25
; %bb.26:
	s_or_b32 exec_lo, exec_lo, s3
	v_mov_b32_e32 v8, 0
	ds_load_b128 v[8:11], v8 offset:48
	s_wait_dscnt 0x0
	v_mul_f64_e32 v[16:17], v[2:3], v[10:11]
	v_mul_f64_e32 v[12:13], v[4:5], v[10:11]
	s_delay_alu instid0(VALU_DEP_2) | instskip(NEXT) | instid1(VALU_DEP_2)
	v_fma_f64 v[10:11], v[4:5], v[8:9], -v[16:17]
	v_fmac_f64_e32 v[12:13], v[2:3], v[8:9]
	scratch_store_b128 off, v[10:13], off offset:48
.LBB44_27:
	s_wait_xcnt 0x0
	s_or_b32 exec_lo, exec_lo, s2
	s_wait_storecnt 0x0
	s_barrier_signal -1
	s_barrier_wait -1
	scratch_load_b128 v[2:5], off, s43
	s_mov_b32 s2, exec_lo
	s_wait_loadcnt 0x0
	ds_store_b128 v6, v[2:5]
	s_wait_dscnt 0x0
	s_barrier_signal -1
	s_barrier_wait -1
	v_cmpx_gt_u32_e32 4, v1
	s_cbranch_execz .LBB44_31
; %bb.28:
	v_dual_mov_b32 v10, v14 :: v_dual_add_nc_u32 v8, -1, v1
	v_mov_b64_e32 v[2:3], 0
	v_mov_b64_e32 v[4:5], 0
	v_add_nc_u32_e32 v9, 0x2d0, v14
	s_delay_alu instid0(VALU_DEP_4)
	v_or_b32_e32 v10, 8, v10
	s_mov_b32 s3, 0
.LBB44_29:                              ; =>This Inner Loop Header: Depth=1
	scratch_load_b128 v[16:19], v10, off offset:-8
	ds_load_b128 v[20:23], v9
	v_dual_add_nc_u32 v8, 1, v8 :: v_dual_add_nc_u32 v9, 16, v9
	s_wait_xcnt 0x0
	v_add_nc_u32_e32 v10, 16, v10
	s_delay_alu instid0(VALU_DEP_2) | instskip(SKIP_4) | instid1(VALU_DEP_2)
	v_cmp_lt_u32_e32 vcc_lo, 2, v8
	s_or_b32 s3, vcc_lo, s3
	s_wait_loadcnt_dscnt 0x0
	v_mul_f64_e32 v[12:13], v[22:23], v[18:19]
	v_mul_f64_e32 v[18:19], v[20:21], v[18:19]
	v_fma_f64 v[12:13], v[20:21], v[16:17], -v[12:13]
	s_delay_alu instid0(VALU_DEP_2) | instskip(NEXT) | instid1(VALU_DEP_2)
	v_fmac_f64_e32 v[18:19], v[22:23], v[16:17]
	v_add_f64_e32 v[4:5], v[4:5], v[12:13]
	s_delay_alu instid0(VALU_DEP_2)
	v_add_f64_e32 v[2:3], v[2:3], v[18:19]
	s_and_not1_b32 exec_lo, exec_lo, s3
	s_cbranch_execnz .LBB44_29
; %bb.30:
	s_or_b32 exec_lo, exec_lo, s3
	v_mov_b32_e32 v8, 0
	ds_load_b128 v[8:11], v8 offset:64
	s_wait_dscnt 0x0
	v_mul_f64_e32 v[16:17], v[2:3], v[10:11]
	v_mul_f64_e32 v[12:13], v[4:5], v[10:11]
	s_delay_alu instid0(VALU_DEP_2) | instskip(NEXT) | instid1(VALU_DEP_2)
	v_fma_f64 v[10:11], v[4:5], v[8:9], -v[16:17]
	v_fmac_f64_e32 v[12:13], v[2:3], v[8:9]
	scratch_store_b128 off, v[10:13], off offset:64
.LBB44_31:
	s_wait_xcnt 0x0
	s_or_b32 exec_lo, exec_lo, s2
	s_wait_storecnt 0x0
	s_barrier_signal -1
	s_barrier_wait -1
	scratch_load_b128 v[2:5], off, s48
	;; [unrolled: 54-line block ×19, first 2 shown]
	s_mov_b32 s2, exec_lo
	s_wait_loadcnt 0x0
	ds_store_b128 v6, v[2:5]
	s_wait_dscnt 0x0
	s_barrier_signal -1
	s_barrier_wait -1
	v_cmpx_gt_u32_e32 22, v1
	s_cbranch_execz .LBB44_103
; %bb.100:
	v_dual_mov_b32 v10, v14 :: v_dual_add_nc_u32 v8, -1, v1
	v_mov_b64_e32 v[2:3], 0
	v_mov_b64_e32 v[4:5], 0
	v_add_nc_u32_e32 v9, 0x2d0, v14
	s_delay_alu instid0(VALU_DEP_4)
	v_or_b32_e32 v10, 8, v10
	s_mov_b32 s3, 0
.LBB44_101:                             ; =>This Inner Loop Header: Depth=1
	scratch_load_b128 v[16:19], v10, off offset:-8
	ds_load_b128 v[20:23], v9
	v_dual_add_nc_u32 v8, 1, v8 :: v_dual_add_nc_u32 v9, 16, v9
	s_wait_xcnt 0x0
	v_add_nc_u32_e32 v10, 16, v10
	s_delay_alu instid0(VALU_DEP_2) | instskip(SKIP_4) | instid1(VALU_DEP_2)
	v_cmp_lt_u32_e32 vcc_lo, 20, v8
	s_or_b32 s3, vcc_lo, s3
	s_wait_loadcnt_dscnt 0x0
	v_mul_f64_e32 v[12:13], v[22:23], v[18:19]
	v_mul_f64_e32 v[18:19], v[20:21], v[18:19]
	v_fma_f64 v[12:13], v[20:21], v[16:17], -v[12:13]
	s_delay_alu instid0(VALU_DEP_2) | instskip(NEXT) | instid1(VALU_DEP_2)
	v_fmac_f64_e32 v[18:19], v[22:23], v[16:17]
	v_add_f64_e32 v[4:5], v[4:5], v[12:13]
	s_delay_alu instid0(VALU_DEP_2)
	v_add_f64_e32 v[2:3], v[2:3], v[18:19]
	s_and_not1_b32 exec_lo, exec_lo, s3
	s_cbranch_execnz .LBB44_101
; %bb.102:
	s_or_b32 exec_lo, exec_lo, s3
	v_mov_b32_e32 v8, 0
	ds_load_b128 v[8:11], v8 offset:352
	s_wait_dscnt 0x0
	v_mul_f64_e32 v[16:17], v[2:3], v[10:11]
	v_mul_f64_e32 v[12:13], v[4:5], v[10:11]
	s_delay_alu instid0(VALU_DEP_2) | instskip(NEXT) | instid1(VALU_DEP_2)
	v_fma_f64 v[10:11], v[4:5], v[8:9], -v[16:17]
	v_fmac_f64_e32 v[12:13], v[2:3], v[8:9]
	scratch_store_b128 off, v[10:13], off offset:352
.LBB44_103:
	s_wait_xcnt 0x0
	s_or_b32 exec_lo, exec_lo, s2
	s_wait_storecnt 0x0
	s_barrier_signal -1
	s_barrier_wait -1
	scratch_load_b128 v[2:5], off, s33
	s_mov_b32 s2, exec_lo
	s_wait_loadcnt 0x0
	ds_store_b128 v6, v[2:5]
	s_wait_dscnt 0x0
	s_barrier_signal -1
	s_barrier_wait -1
	v_cmpx_gt_u32_e32 23, v1
	s_cbranch_execz .LBB44_107
; %bb.104:
	v_dual_mov_b32 v10, v14 :: v_dual_add_nc_u32 v8, -1, v1
	v_mov_b64_e32 v[2:3], 0
	v_mov_b64_e32 v[4:5], 0
	v_add_nc_u32_e32 v9, 0x2d0, v14
	s_delay_alu instid0(VALU_DEP_4)
	v_or_b32_e32 v10, 8, v10
	s_mov_b32 s3, 0
.LBB44_105:                             ; =>This Inner Loop Header: Depth=1
	scratch_load_b128 v[16:19], v10, off offset:-8
	ds_load_b128 v[20:23], v9
	v_dual_add_nc_u32 v8, 1, v8 :: v_dual_add_nc_u32 v9, 16, v9
	s_wait_xcnt 0x0
	v_add_nc_u32_e32 v10, 16, v10
	s_delay_alu instid0(VALU_DEP_2) | instskip(SKIP_4) | instid1(VALU_DEP_2)
	v_cmp_lt_u32_e32 vcc_lo, 21, v8
	s_or_b32 s3, vcc_lo, s3
	s_wait_loadcnt_dscnt 0x0
	v_mul_f64_e32 v[12:13], v[22:23], v[18:19]
	v_mul_f64_e32 v[18:19], v[20:21], v[18:19]
	v_fma_f64 v[12:13], v[20:21], v[16:17], -v[12:13]
	s_delay_alu instid0(VALU_DEP_2) | instskip(NEXT) | instid1(VALU_DEP_2)
	v_fmac_f64_e32 v[18:19], v[22:23], v[16:17]
	v_add_f64_e32 v[4:5], v[4:5], v[12:13]
	s_delay_alu instid0(VALU_DEP_2)
	v_add_f64_e32 v[2:3], v[2:3], v[18:19]
	s_and_not1_b32 exec_lo, exec_lo, s3
	s_cbranch_execnz .LBB44_105
; %bb.106:
	s_or_b32 exec_lo, exec_lo, s3
	v_mov_b32_e32 v8, 0
	ds_load_b128 v[8:11], v8 offset:368
	s_wait_dscnt 0x0
	v_mul_f64_e32 v[16:17], v[2:3], v[10:11]
	v_mul_f64_e32 v[12:13], v[4:5], v[10:11]
	s_delay_alu instid0(VALU_DEP_2) | instskip(NEXT) | instid1(VALU_DEP_2)
	v_fma_f64 v[10:11], v[4:5], v[8:9], -v[16:17]
	v_fmac_f64_e32 v[12:13], v[2:3], v[8:9]
	scratch_store_b128 off, v[10:13], off offset:368
.LBB44_107:
	s_wait_xcnt 0x0
	s_or_b32 exec_lo, exec_lo, s2
	s_wait_storecnt 0x0
	s_barrier_signal -1
	s_barrier_wait -1
	scratch_load_b128 v[2:5], off, s34
	;; [unrolled: 54-line block ×22, first 2 shown]
	s_mov_b32 s2, exec_lo
	s_wait_loadcnt 0x0
	ds_store_b128 v6, v[2:5]
	s_wait_dscnt 0x0
	s_barrier_signal -1
	s_barrier_wait -1
	v_cmpx_ne_u32_e32 44, v1
	s_cbranch_execz .LBB44_191
; %bb.188:
	v_mov_b32_e32 v8, v14
	v_mov_b64_e32 v[2:3], 0
	v_mov_b64_e32 v[4:5], 0
	s_mov_b32 s3, 0
	s_delay_alu instid0(VALU_DEP_3)
	v_or_b32_e32 v8, 8, v8
.LBB44_189:                             ; =>This Inner Loop Header: Depth=1
	scratch_load_b128 v[10:13], v8, off offset:-8
	ds_load_b128 v[14:17], v6
	v_dual_add_nc_u32 v7, 1, v7 :: v_dual_add_nc_u32 v6, 16, v6
	s_wait_xcnt 0x0
	v_add_nc_u32_e32 v8, 16, v8
	s_delay_alu instid0(VALU_DEP_2) | instskip(SKIP_4) | instid1(VALU_DEP_2)
	v_cmp_lt_u32_e32 vcc_lo, 42, v7
	s_or_b32 s3, vcc_lo, s3
	s_wait_loadcnt_dscnt 0x0
	v_mul_f64_e32 v[18:19], v[16:17], v[12:13]
	v_mul_f64_e32 v[12:13], v[14:15], v[12:13]
	v_fma_f64 v[14:15], v[14:15], v[10:11], -v[18:19]
	s_delay_alu instid0(VALU_DEP_2) | instskip(NEXT) | instid1(VALU_DEP_2)
	v_fmac_f64_e32 v[12:13], v[16:17], v[10:11]
	v_add_f64_e32 v[4:5], v[4:5], v[14:15]
	s_delay_alu instid0(VALU_DEP_2)
	v_add_f64_e32 v[2:3], v[2:3], v[12:13]
	s_and_not1_b32 exec_lo, exec_lo, s3
	s_cbranch_execnz .LBB44_189
; %bb.190:
	s_or_b32 exec_lo, exec_lo, s3
	v_mov_b32_e32 v6, 0
	ds_load_b128 v[6:9], v6 offset:704
	s_wait_dscnt 0x0
	v_mul_f64_e32 v[12:13], v[2:3], v[8:9]
	v_mul_f64_e32 v[10:11], v[4:5], v[8:9]
	s_delay_alu instid0(VALU_DEP_2) | instskip(NEXT) | instid1(VALU_DEP_2)
	v_fma_f64 v[8:9], v[4:5], v[6:7], -v[12:13]
	v_fmac_f64_e32 v[10:11], v[2:3], v[6:7]
	scratch_store_b128 off, v[8:11], off offset:704
.LBB44_191:
	s_wait_xcnt 0x0
	s_or_b32 exec_lo, exec_lo, s2
	s_mov_b32 s3, -1
	s_wait_storecnt 0x0
	s_barrier_signal -1
	s_barrier_wait -1
.LBB44_192:
	s_and_b32 vcc_lo, exec_lo, s3
	s_cbranch_vccz .LBB44_194
; %bb.193:
	s_wait_xcnt 0x12
	v_mov_b32_e32 v2, 0
	s_lshl_b64 s[2:3], s[18:19], 2
	s_delay_alu instid0(SALU_CYCLE_1)
	s_add_nc_u64 s[2:3], s[6:7], s[2:3]
	global_load_b32 v2, v2, s[2:3]
	s_wait_loadcnt 0x0
	v_cmp_ne_u32_e32 vcc_lo, 0, v2
	s_cbranch_vccz .LBB44_195
.LBB44_194:
	s_sendmsg sendmsg(MSG_DEALLOC_VGPRS)
	s_endpgm
.LBB44_195:
	s_wait_xcnt 0xb
	v_lshl_add_u32 v122, v1, 4, 0x2d0
	s_wait_xcnt 0x0
	s_mov_b32 s2, exec_lo
	v_cmpx_eq_u32_e32 44, v1
	s_cbranch_execz .LBB44_197
; %bb.196:
	scratch_load_b128 v[2:5], off, s15
	v_mov_b32_e32 v6, 0
	s_delay_alu instid0(VALU_DEP_1)
	v_dual_mov_b32 v7, v6 :: v_dual_mov_b32 v8, v6
	v_mov_b32_e32 v9, v6
	scratch_store_b128 off, v[6:9], off offset:688
	s_wait_loadcnt 0x0
	ds_store_b128 v122, v[2:5]
.LBB44_197:
	s_wait_xcnt 0x0
	s_or_b32 exec_lo, exec_lo, s2
	s_wait_storecnt_dscnt 0x0
	s_barrier_signal -1
	s_barrier_wait -1
	s_clause 0x1
	scratch_load_b128 v[4:7], off, off offset:704
	scratch_load_b128 v[8:11], off, off offset:688
	v_mov_b32_e32 v2, 0
	s_mov_b32 s2, exec_lo
	ds_load_b128 v[12:15], v2 offset:1424
	s_wait_loadcnt_dscnt 0x100
	v_mul_f64_e32 v[16:17], v[14:15], v[6:7]
	v_mul_f64_e32 v[6:7], v[12:13], v[6:7]
	s_delay_alu instid0(VALU_DEP_2) | instskip(NEXT) | instid1(VALU_DEP_2)
	v_fma_f64 v[12:13], v[12:13], v[4:5], -v[16:17]
	v_fmac_f64_e32 v[6:7], v[14:15], v[4:5]
	s_delay_alu instid0(VALU_DEP_2) | instskip(NEXT) | instid1(VALU_DEP_2)
	v_add_f64_e32 v[4:5], 0, v[12:13]
	v_add_f64_e32 v[6:7], 0, v[6:7]
	s_wait_loadcnt 0x0
	s_delay_alu instid0(VALU_DEP_2) | instskip(NEXT) | instid1(VALU_DEP_2)
	v_add_f64_e64 v[4:5], v[8:9], -v[4:5]
	v_add_f64_e64 v[6:7], v[10:11], -v[6:7]
	scratch_store_b128 off, v[4:7], off offset:688
	s_wait_xcnt 0x0
	v_cmpx_lt_u32_e32 42, v1
	s_cbranch_execz .LBB44_199
; %bb.198:
	scratch_load_b128 v[6:9], off, s24
	v_dual_mov_b32 v3, v2 :: v_dual_mov_b32 v4, v2
	v_mov_b32_e32 v5, v2
	scratch_store_b128 off, v[2:5], off offset:672
	s_wait_loadcnt 0x0
	ds_store_b128 v122, v[6:9]
.LBB44_199:
	s_wait_xcnt 0x0
	s_or_b32 exec_lo, exec_lo, s2
	s_wait_storecnt_dscnt 0x0
	s_barrier_signal -1
	s_barrier_wait -1
	s_clause 0x2
	scratch_load_b128 v[4:7], off, off offset:688
	scratch_load_b128 v[8:11], off, off offset:704
	scratch_load_b128 v[12:15], off, off offset:672
	ds_load_b128 v[16:19], v2 offset:1408
	ds_load_b128 v[20:23], v2 offset:1424
	s_mov_b32 s2, exec_lo
	s_wait_loadcnt_dscnt 0x201
	v_mul_f64_e32 v[2:3], v[18:19], v[6:7]
	v_mul_f64_e32 v[6:7], v[16:17], v[6:7]
	s_wait_loadcnt_dscnt 0x100
	v_mul_f64_e32 v[24:25], v[20:21], v[10:11]
	v_mul_f64_e32 v[10:11], v[22:23], v[10:11]
	s_delay_alu instid0(VALU_DEP_4) | instskip(NEXT) | instid1(VALU_DEP_4)
	v_fma_f64 v[2:3], v[16:17], v[4:5], -v[2:3]
	v_fmac_f64_e32 v[6:7], v[18:19], v[4:5]
	s_delay_alu instid0(VALU_DEP_4) | instskip(NEXT) | instid1(VALU_DEP_4)
	v_fmac_f64_e32 v[24:25], v[22:23], v[8:9]
	v_fma_f64 v[4:5], v[20:21], v[8:9], -v[10:11]
	s_delay_alu instid0(VALU_DEP_4) | instskip(NEXT) | instid1(VALU_DEP_4)
	v_add_f64_e32 v[2:3], 0, v[2:3]
	v_add_f64_e32 v[6:7], 0, v[6:7]
	s_delay_alu instid0(VALU_DEP_2) | instskip(NEXT) | instid1(VALU_DEP_2)
	v_add_f64_e32 v[2:3], v[2:3], v[4:5]
	v_add_f64_e32 v[4:5], v[6:7], v[24:25]
	s_wait_loadcnt 0x0
	s_delay_alu instid0(VALU_DEP_2) | instskip(NEXT) | instid1(VALU_DEP_2)
	v_add_f64_e64 v[2:3], v[12:13], -v[2:3]
	v_add_f64_e64 v[4:5], v[14:15], -v[4:5]
	scratch_store_b128 off, v[2:5], off offset:672
	s_wait_xcnt 0x0
	v_cmpx_lt_u32_e32 41, v1
	s_cbranch_execz .LBB44_201
; %bb.200:
	scratch_load_b128 v[2:5], off, s8
	v_mov_b32_e32 v6, 0
	s_delay_alu instid0(VALU_DEP_1)
	v_dual_mov_b32 v7, v6 :: v_dual_mov_b32 v8, v6
	v_mov_b32_e32 v9, v6
	scratch_store_b128 off, v[6:9], off offset:656
	s_wait_loadcnt 0x0
	ds_store_b128 v122, v[2:5]
.LBB44_201:
	s_wait_xcnt 0x0
	s_or_b32 exec_lo, exec_lo, s2
	s_wait_storecnt_dscnt 0x0
	s_barrier_signal -1
	s_barrier_wait -1
	s_clause 0x3
	scratch_load_b128 v[4:7], off, off offset:672
	scratch_load_b128 v[8:11], off, off offset:688
	;; [unrolled: 1-line block ×4, first 2 shown]
	v_mov_b32_e32 v2, 0
	ds_load_b128 v[20:23], v2 offset:1392
	ds_load_b128 v[24:27], v2 offset:1408
	s_mov_b32 s2, exec_lo
	s_wait_loadcnt_dscnt 0x301
	v_mul_f64_e32 v[28:29], v[22:23], v[6:7]
	v_mul_f64_e32 v[30:31], v[20:21], v[6:7]
	s_wait_loadcnt_dscnt 0x200
	v_mul_f64_e32 v[124:125], v[24:25], v[10:11]
	v_mul_f64_e32 v[10:11], v[26:27], v[10:11]
	s_delay_alu instid0(VALU_DEP_4) | instskip(NEXT) | instid1(VALU_DEP_4)
	v_fma_f64 v[20:21], v[20:21], v[4:5], -v[28:29]
	v_fmac_f64_e32 v[30:31], v[22:23], v[4:5]
	ds_load_b128 v[4:7], v2 offset:1424
	v_fmac_f64_e32 v[124:125], v[26:27], v[8:9]
	v_fma_f64 v[8:9], v[24:25], v[8:9], -v[10:11]
	s_wait_loadcnt_dscnt 0x100
	v_mul_f64_e32 v[22:23], v[4:5], v[14:15]
	v_mul_f64_e32 v[14:15], v[6:7], v[14:15]
	v_add_f64_e32 v[10:11], 0, v[20:21]
	v_add_f64_e32 v[20:21], 0, v[30:31]
	s_delay_alu instid0(VALU_DEP_4) | instskip(NEXT) | instid1(VALU_DEP_4)
	v_fmac_f64_e32 v[22:23], v[6:7], v[12:13]
	v_fma_f64 v[4:5], v[4:5], v[12:13], -v[14:15]
	s_delay_alu instid0(VALU_DEP_4) | instskip(NEXT) | instid1(VALU_DEP_4)
	v_add_f64_e32 v[6:7], v[10:11], v[8:9]
	v_add_f64_e32 v[8:9], v[20:21], v[124:125]
	s_delay_alu instid0(VALU_DEP_2) | instskip(NEXT) | instid1(VALU_DEP_2)
	v_add_f64_e32 v[4:5], v[6:7], v[4:5]
	v_add_f64_e32 v[6:7], v[8:9], v[22:23]
	s_wait_loadcnt 0x0
	s_delay_alu instid0(VALU_DEP_2) | instskip(NEXT) | instid1(VALU_DEP_2)
	v_add_f64_e64 v[4:5], v[16:17], -v[4:5]
	v_add_f64_e64 v[6:7], v[18:19], -v[6:7]
	scratch_store_b128 off, v[4:7], off offset:656
	s_wait_xcnt 0x0
	v_cmpx_lt_u32_e32 40, v1
	s_cbranch_execz .LBB44_203
; %bb.202:
	scratch_load_b128 v[6:9], off, s10
	v_dual_mov_b32 v3, v2 :: v_dual_mov_b32 v4, v2
	v_mov_b32_e32 v5, v2
	scratch_store_b128 off, v[2:5], off offset:640
	s_wait_loadcnt 0x0
	ds_store_b128 v122, v[6:9]
.LBB44_203:
	s_wait_xcnt 0x0
	s_or_b32 exec_lo, exec_lo, s2
	s_wait_storecnt_dscnt 0x0
	s_barrier_signal -1
	s_barrier_wait -1
	s_clause 0x4
	scratch_load_b128 v[4:7], off, off offset:656
	scratch_load_b128 v[8:11], off, off offset:672
	;; [unrolled: 1-line block ×5, first 2 shown]
	ds_load_b128 v[24:27], v2 offset:1376
	ds_load_b128 v[28:31], v2 offset:1392
	s_mov_b32 s2, exec_lo
	s_wait_loadcnt_dscnt 0x401
	v_mul_f64_e32 v[124:125], v[26:27], v[6:7]
	v_mul_f64_e32 v[126:127], v[24:25], v[6:7]
	s_wait_loadcnt_dscnt 0x300
	v_mul_f64_e32 v[128:129], v[28:29], v[10:11]
	v_mul_f64_e32 v[10:11], v[30:31], v[10:11]
	s_delay_alu instid0(VALU_DEP_4) | instskip(NEXT) | instid1(VALU_DEP_4)
	v_fma_f64 v[124:125], v[24:25], v[4:5], -v[124:125]
	v_fmac_f64_e32 v[126:127], v[26:27], v[4:5]
	ds_load_b128 v[4:7], v2 offset:1408
	ds_load_b128 v[24:27], v2 offset:1424
	v_fmac_f64_e32 v[128:129], v[30:31], v[8:9]
	v_fma_f64 v[8:9], v[28:29], v[8:9], -v[10:11]
	s_wait_loadcnt_dscnt 0x201
	v_mul_f64_e32 v[2:3], v[4:5], v[14:15]
	v_mul_f64_e32 v[14:15], v[6:7], v[14:15]
	s_wait_loadcnt_dscnt 0x100
	v_mul_f64_e32 v[30:31], v[24:25], v[18:19]
	v_mul_f64_e32 v[18:19], v[26:27], v[18:19]
	v_add_f64_e32 v[10:11], 0, v[124:125]
	v_add_f64_e32 v[28:29], 0, v[126:127]
	v_fmac_f64_e32 v[2:3], v[6:7], v[12:13]
	v_fma_f64 v[4:5], v[4:5], v[12:13], -v[14:15]
	v_fmac_f64_e32 v[30:31], v[26:27], v[16:17]
	v_add_f64_e32 v[6:7], v[10:11], v[8:9]
	v_add_f64_e32 v[8:9], v[28:29], v[128:129]
	v_fma_f64 v[10:11], v[24:25], v[16:17], -v[18:19]
	s_delay_alu instid0(VALU_DEP_3) | instskip(NEXT) | instid1(VALU_DEP_3)
	v_add_f64_e32 v[4:5], v[6:7], v[4:5]
	v_add_f64_e32 v[2:3], v[8:9], v[2:3]
	s_delay_alu instid0(VALU_DEP_2) | instskip(NEXT) | instid1(VALU_DEP_2)
	v_add_f64_e32 v[4:5], v[4:5], v[10:11]
	v_add_f64_e32 v[6:7], v[2:3], v[30:31]
	s_wait_loadcnt 0x0
	s_delay_alu instid0(VALU_DEP_2) | instskip(NEXT) | instid1(VALU_DEP_2)
	v_add_f64_e64 v[2:3], v[20:21], -v[4:5]
	v_add_f64_e64 v[4:5], v[22:23], -v[6:7]
	scratch_store_b128 off, v[2:5], off offset:640
	s_wait_xcnt 0x0
	v_cmpx_lt_u32_e32 39, v1
	s_cbranch_execz .LBB44_205
; %bb.204:
	scratch_load_b128 v[2:5], off, s9
	v_mov_b32_e32 v6, 0
	s_delay_alu instid0(VALU_DEP_1)
	v_dual_mov_b32 v7, v6 :: v_dual_mov_b32 v8, v6
	v_mov_b32_e32 v9, v6
	scratch_store_b128 off, v[6:9], off offset:624
	s_wait_loadcnt 0x0
	ds_store_b128 v122, v[2:5]
.LBB44_205:
	s_wait_xcnt 0x0
	s_or_b32 exec_lo, exec_lo, s2
	s_wait_storecnt_dscnt 0x0
	s_barrier_signal -1
	s_barrier_wait -1
	s_clause 0x5
	scratch_load_b128 v[4:7], off, off offset:640
	scratch_load_b128 v[8:11], off, off offset:656
	;; [unrolled: 1-line block ×6, first 2 shown]
	v_mov_b32_e32 v2, 0
	ds_load_b128 v[28:31], v2 offset:1360
	ds_load_b128 v[124:127], v2 offset:1376
	s_mov_b32 s2, exec_lo
	s_wait_loadcnt_dscnt 0x501
	v_mul_f64_e32 v[128:129], v[30:31], v[6:7]
	v_mul_f64_e32 v[130:131], v[28:29], v[6:7]
	s_wait_loadcnt_dscnt 0x400
	v_mul_f64_e32 v[132:133], v[124:125], v[10:11]
	v_mul_f64_e32 v[10:11], v[126:127], v[10:11]
	s_delay_alu instid0(VALU_DEP_4) | instskip(NEXT) | instid1(VALU_DEP_4)
	v_fma_f64 v[128:129], v[28:29], v[4:5], -v[128:129]
	v_fmac_f64_e32 v[130:131], v[30:31], v[4:5]
	ds_load_b128 v[4:7], v2 offset:1392
	ds_load_b128 v[28:31], v2 offset:1408
	v_fmac_f64_e32 v[132:133], v[126:127], v[8:9]
	v_fma_f64 v[8:9], v[124:125], v[8:9], -v[10:11]
	s_wait_loadcnt_dscnt 0x301
	v_mul_f64_e32 v[134:135], v[4:5], v[14:15]
	v_mul_f64_e32 v[14:15], v[6:7], v[14:15]
	s_wait_loadcnt_dscnt 0x200
	v_mul_f64_e32 v[126:127], v[28:29], v[18:19]
	v_mul_f64_e32 v[18:19], v[30:31], v[18:19]
	v_add_f64_e32 v[10:11], 0, v[128:129]
	v_add_f64_e32 v[124:125], 0, v[130:131]
	v_fmac_f64_e32 v[134:135], v[6:7], v[12:13]
	v_fma_f64 v[12:13], v[4:5], v[12:13], -v[14:15]
	ds_load_b128 v[4:7], v2 offset:1424
	v_fmac_f64_e32 v[126:127], v[30:31], v[16:17]
	v_fma_f64 v[16:17], v[28:29], v[16:17], -v[18:19]
	v_add_f64_e32 v[8:9], v[10:11], v[8:9]
	v_add_f64_e32 v[10:11], v[124:125], v[132:133]
	s_wait_loadcnt_dscnt 0x100
	v_mul_f64_e32 v[14:15], v[4:5], v[22:23]
	v_mul_f64_e32 v[22:23], v[6:7], v[22:23]
	s_delay_alu instid0(VALU_DEP_4) | instskip(NEXT) | instid1(VALU_DEP_4)
	v_add_f64_e32 v[8:9], v[8:9], v[12:13]
	v_add_f64_e32 v[10:11], v[10:11], v[134:135]
	s_delay_alu instid0(VALU_DEP_4) | instskip(NEXT) | instid1(VALU_DEP_4)
	v_fmac_f64_e32 v[14:15], v[6:7], v[20:21]
	v_fma_f64 v[4:5], v[4:5], v[20:21], -v[22:23]
	s_delay_alu instid0(VALU_DEP_4) | instskip(NEXT) | instid1(VALU_DEP_4)
	v_add_f64_e32 v[6:7], v[8:9], v[16:17]
	v_add_f64_e32 v[8:9], v[10:11], v[126:127]
	s_delay_alu instid0(VALU_DEP_2) | instskip(NEXT) | instid1(VALU_DEP_2)
	v_add_f64_e32 v[4:5], v[6:7], v[4:5]
	v_add_f64_e32 v[6:7], v[8:9], v[14:15]
	s_wait_loadcnt 0x0
	s_delay_alu instid0(VALU_DEP_2) | instskip(NEXT) | instid1(VALU_DEP_2)
	v_add_f64_e64 v[4:5], v[24:25], -v[4:5]
	v_add_f64_e64 v[6:7], v[26:27], -v[6:7]
	scratch_store_b128 off, v[4:7], off offset:624
	s_wait_xcnt 0x0
	v_cmpx_lt_u32_e32 38, v1
	s_cbranch_execz .LBB44_207
; %bb.206:
	scratch_load_b128 v[6:9], off, s12
	v_dual_mov_b32 v3, v2 :: v_dual_mov_b32 v4, v2
	v_mov_b32_e32 v5, v2
	scratch_store_b128 off, v[2:5], off offset:608
	s_wait_loadcnt 0x0
	ds_store_b128 v122, v[6:9]
.LBB44_207:
	s_wait_xcnt 0x0
	s_or_b32 exec_lo, exec_lo, s2
	s_wait_storecnt_dscnt 0x0
	s_barrier_signal -1
	s_barrier_wait -1
	s_clause 0x6
	scratch_load_b128 v[4:7], off, off offset:624
	scratch_load_b128 v[8:11], off, off offset:640
	;; [unrolled: 1-line block ×7, first 2 shown]
	ds_load_b128 v[124:127], v2 offset:1344
	ds_load_b128 v[128:131], v2 offset:1360
	s_mov_b32 s2, exec_lo
	s_wait_loadcnt_dscnt 0x601
	v_mul_f64_e32 v[132:133], v[126:127], v[6:7]
	v_mul_f64_e32 v[134:135], v[124:125], v[6:7]
	s_wait_loadcnt_dscnt 0x500
	v_mul_f64_e32 v[136:137], v[128:129], v[10:11]
	v_mul_f64_e32 v[10:11], v[130:131], v[10:11]
	s_delay_alu instid0(VALU_DEP_4) | instskip(NEXT) | instid1(VALU_DEP_4)
	v_fma_f64 v[132:133], v[124:125], v[4:5], -v[132:133]
	v_fmac_f64_e32 v[134:135], v[126:127], v[4:5]
	ds_load_b128 v[4:7], v2 offset:1376
	ds_load_b128 v[124:127], v2 offset:1392
	v_fmac_f64_e32 v[136:137], v[130:131], v[8:9]
	v_fma_f64 v[8:9], v[128:129], v[8:9], -v[10:11]
	s_wait_loadcnt_dscnt 0x401
	v_mul_f64_e32 v[138:139], v[4:5], v[14:15]
	v_mul_f64_e32 v[14:15], v[6:7], v[14:15]
	s_wait_loadcnt_dscnt 0x300
	v_mul_f64_e32 v[130:131], v[124:125], v[18:19]
	v_mul_f64_e32 v[18:19], v[126:127], v[18:19]
	v_add_f64_e32 v[10:11], 0, v[132:133]
	v_add_f64_e32 v[128:129], 0, v[134:135]
	v_fmac_f64_e32 v[138:139], v[6:7], v[12:13]
	v_fma_f64 v[12:13], v[4:5], v[12:13], -v[14:15]
	v_fmac_f64_e32 v[130:131], v[126:127], v[16:17]
	v_fma_f64 v[16:17], v[124:125], v[16:17], -v[18:19]
	v_add_f64_e32 v[14:15], v[10:11], v[8:9]
	v_add_f64_e32 v[128:129], v[128:129], v[136:137]
	ds_load_b128 v[4:7], v2 offset:1408
	ds_load_b128 v[8:11], v2 offset:1424
	s_wait_loadcnt_dscnt 0x201
	v_mul_f64_e32 v[2:3], v[4:5], v[22:23]
	v_mul_f64_e32 v[22:23], v[6:7], v[22:23]
	s_wait_loadcnt_dscnt 0x100
	v_mul_f64_e32 v[18:19], v[8:9], v[26:27]
	v_mul_f64_e32 v[26:27], v[10:11], v[26:27]
	v_add_f64_e32 v[12:13], v[14:15], v[12:13]
	v_add_f64_e32 v[14:15], v[128:129], v[138:139]
	v_fmac_f64_e32 v[2:3], v[6:7], v[20:21]
	v_fma_f64 v[4:5], v[4:5], v[20:21], -v[22:23]
	v_fmac_f64_e32 v[18:19], v[10:11], v[24:25]
	v_fma_f64 v[8:9], v[8:9], v[24:25], -v[26:27]
	v_add_f64_e32 v[6:7], v[12:13], v[16:17]
	v_add_f64_e32 v[12:13], v[14:15], v[130:131]
	s_delay_alu instid0(VALU_DEP_2) | instskip(NEXT) | instid1(VALU_DEP_2)
	v_add_f64_e32 v[4:5], v[6:7], v[4:5]
	v_add_f64_e32 v[2:3], v[12:13], v[2:3]
	s_delay_alu instid0(VALU_DEP_2) | instskip(NEXT) | instid1(VALU_DEP_2)
	v_add_f64_e32 v[4:5], v[4:5], v[8:9]
	v_add_f64_e32 v[6:7], v[2:3], v[18:19]
	s_wait_loadcnt 0x0
	s_delay_alu instid0(VALU_DEP_2) | instskip(NEXT) | instid1(VALU_DEP_2)
	v_add_f64_e64 v[2:3], v[28:29], -v[4:5]
	v_add_f64_e64 v[4:5], v[30:31], -v[6:7]
	scratch_store_b128 off, v[2:5], off offset:608
	s_wait_xcnt 0x0
	v_cmpx_lt_u32_e32 37, v1
	s_cbranch_execz .LBB44_209
; %bb.208:
	scratch_load_b128 v[2:5], off, s11
	v_mov_b32_e32 v6, 0
	s_delay_alu instid0(VALU_DEP_1)
	v_dual_mov_b32 v7, v6 :: v_dual_mov_b32 v8, v6
	v_mov_b32_e32 v9, v6
	scratch_store_b128 off, v[6:9], off offset:592
	s_wait_loadcnt 0x0
	ds_store_b128 v122, v[2:5]
.LBB44_209:
	s_wait_xcnt 0x0
	s_or_b32 exec_lo, exec_lo, s2
	s_wait_storecnt_dscnt 0x0
	s_barrier_signal -1
	s_barrier_wait -1
	s_clause 0x7
	scratch_load_b128 v[4:7], off, off offset:608
	scratch_load_b128 v[8:11], off, off offset:624
	;; [unrolled: 1-line block ×8, first 2 shown]
	v_mov_b32_e32 v2, 0
	ds_load_b128 v[128:131], v2 offset:1328
	ds_load_b128 v[132:135], v2 offset:1344
	s_mov_b32 s2, exec_lo
	s_wait_loadcnt_dscnt 0x701
	v_mul_f64_e32 v[136:137], v[130:131], v[6:7]
	v_mul_f64_e32 v[138:139], v[128:129], v[6:7]
	s_wait_loadcnt_dscnt 0x600
	v_mul_f64_e32 v[140:141], v[132:133], v[10:11]
	v_mul_f64_e32 v[10:11], v[134:135], v[10:11]
	s_delay_alu instid0(VALU_DEP_4) | instskip(NEXT) | instid1(VALU_DEP_4)
	v_fma_f64 v[136:137], v[128:129], v[4:5], -v[136:137]
	v_fmac_f64_e32 v[138:139], v[130:131], v[4:5]
	ds_load_b128 v[4:7], v2 offset:1360
	ds_load_b128 v[128:131], v2 offset:1376
	v_fmac_f64_e32 v[140:141], v[134:135], v[8:9]
	v_fma_f64 v[8:9], v[132:133], v[8:9], -v[10:11]
	s_wait_loadcnt_dscnt 0x501
	v_mul_f64_e32 v[142:143], v[4:5], v[14:15]
	v_mul_f64_e32 v[14:15], v[6:7], v[14:15]
	s_wait_loadcnt_dscnt 0x400
	v_mul_f64_e32 v[134:135], v[128:129], v[18:19]
	v_mul_f64_e32 v[18:19], v[130:131], v[18:19]
	v_add_f64_e32 v[10:11], 0, v[136:137]
	v_add_f64_e32 v[132:133], 0, v[138:139]
	v_fmac_f64_e32 v[142:143], v[6:7], v[12:13]
	v_fma_f64 v[12:13], v[4:5], v[12:13], -v[14:15]
	v_fmac_f64_e32 v[134:135], v[130:131], v[16:17]
	v_fma_f64 v[16:17], v[128:129], v[16:17], -v[18:19]
	v_add_f64_e32 v[14:15], v[10:11], v[8:9]
	v_add_f64_e32 v[132:133], v[132:133], v[140:141]
	ds_load_b128 v[4:7], v2 offset:1392
	ds_load_b128 v[8:11], v2 offset:1408
	s_wait_loadcnt_dscnt 0x301
	v_mul_f64_e32 v[136:137], v[4:5], v[22:23]
	v_mul_f64_e32 v[22:23], v[6:7], v[22:23]
	s_wait_loadcnt_dscnt 0x200
	v_mul_f64_e32 v[18:19], v[8:9], v[26:27]
	v_mul_f64_e32 v[26:27], v[10:11], v[26:27]
	v_add_f64_e32 v[12:13], v[14:15], v[12:13]
	v_add_f64_e32 v[14:15], v[132:133], v[142:143]
	v_fmac_f64_e32 v[136:137], v[6:7], v[20:21]
	v_fma_f64 v[20:21], v[4:5], v[20:21], -v[22:23]
	ds_load_b128 v[4:7], v2 offset:1424
	v_fmac_f64_e32 v[18:19], v[10:11], v[24:25]
	v_fma_f64 v[8:9], v[8:9], v[24:25], -v[26:27]
	v_add_f64_e32 v[12:13], v[12:13], v[16:17]
	v_add_f64_e32 v[14:15], v[14:15], v[134:135]
	s_wait_loadcnt_dscnt 0x100
	v_mul_f64_e32 v[16:17], v[4:5], v[30:31]
	v_mul_f64_e32 v[22:23], v[6:7], v[30:31]
	s_delay_alu instid0(VALU_DEP_4) | instskip(NEXT) | instid1(VALU_DEP_4)
	v_add_f64_e32 v[10:11], v[12:13], v[20:21]
	v_add_f64_e32 v[12:13], v[14:15], v[136:137]
	s_delay_alu instid0(VALU_DEP_4) | instskip(NEXT) | instid1(VALU_DEP_4)
	v_fmac_f64_e32 v[16:17], v[6:7], v[28:29]
	v_fma_f64 v[4:5], v[4:5], v[28:29], -v[22:23]
	s_delay_alu instid0(VALU_DEP_4) | instskip(NEXT) | instid1(VALU_DEP_4)
	v_add_f64_e32 v[6:7], v[10:11], v[8:9]
	v_add_f64_e32 v[8:9], v[12:13], v[18:19]
	s_delay_alu instid0(VALU_DEP_2) | instskip(NEXT) | instid1(VALU_DEP_2)
	v_add_f64_e32 v[4:5], v[6:7], v[4:5]
	v_add_f64_e32 v[6:7], v[8:9], v[16:17]
	s_wait_loadcnt 0x0
	s_delay_alu instid0(VALU_DEP_2) | instskip(NEXT) | instid1(VALU_DEP_2)
	v_add_f64_e64 v[4:5], v[124:125], -v[4:5]
	v_add_f64_e64 v[6:7], v[126:127], -v[6:7]
	scratch_store_b128 off, v[4:7], off offset:592
	s_wait_xcnt 0x0
	v_cmpx_lt_u32_e32 36, v1
	s_cbranch_execz .LBB44_211
; %bb.210:
	scratch_load_b128 v[6:9], off, s14
	v_dual_mov_b32 v3, v2 :: v_dual_mov_b32 v4, v2
	v_mov_b32_e32 v5, v2
	scratch_store_b128 off, v[2:5], off offset:576
	s_wait_loadcnt 0x0
	ds_store_b128 v122, v[6:9]
.LBB44_211:
	s_wait_xcnt 0x0
	s_or_b32 exec_lo, exec_lo, s2
	s_wait_storecnt_dscnt 0x0
	s_barrier_signal -1
	s_barrier_wait -1
	s_clause 0x7
	scratch_load_b128 v[4:7], off, off offset:592
	scratch_load_b128 v[8:11], off, off offset:608
	;; [unrolled: 1-line block ×8, first 2 shown]
	ds_load_b128 v[128:131], v2 offset:1312
	ds_load_b128 v[132:135], v2 offset:1328
	scratch_load_b128 v[136:139], off, off offset:576
	s_mov_b32 s2, exec_lo
	s_wait_loadcnt_dscnt 0x801
	v_mul_f64_e32 v[140:141], v[130:131], v[6:7]
	v_mul_f64_e32 v[142:143], v[128:129], v[6:7]
	s_wait_loadcnt_dscnt 0x700
	v_mul_f64_e32 v[144:145], v[132:133], v[10:11]
	v_mul_f64_e32 v[10:11], v[134:135], v[10:11]
	s_delay_alu instid0(VALU_DEP_4) | instskip(NEXT) | instid1(VALU_DEP_4)
	v_fma_f64 v[140:141], v[128:129], v[4:5], -v[140:141]
	v_fmac_f64_e32 v[142:143], v[130:131], v[4:5]
	ds_load_b128 v[4:7], v2 offset:1344
	ds_load_b128 v[128:131], v2 offset:1360
	v_fmac_f64_e32 v[144:145], v[134:135], v[8:9]
	v_fma_f64 v[8:9], v[132:133], v[8:9], -v[10:11]
	s_wait_loadcnt_dscnt 0x601
	v_mul_f64_e32 v[146:147], v[4:5], v[14:15]
	v_mul_f64_e32 v[14:15], v[6:7], v[14:15]
	s_wait_loadcnt_dscnt 0x500
	v_mul_f64_e32 v[134:135], v[128:129], v[18:19]
	v_mul_f64_e32 v[18:19], v[130:131], v[18:19]
	v_add_f64_e32 v[10:11], 0, v[140:141]
	v_add_f64_e32 v[132:133], 0, v[142:143]
	v_fmac_f64_e32 v[146:147], v[6:7], v[12:13]
	v_fma_f64 v[12:13], v[4:5], v[12:13], -v[14:15]
	v_fmac_f64_e32 v[134:135], v[130:131], v[16:17]
	v_fma_f64 v[16:17], v[128:129], v[16:17], -v[18:19]
	v_add_f64_e32 v[14:15], v[10:11], v[8:9]
	v_add_f64_e32 v[132:133], v[132:133], v[144:145]
	ds_load_b128 v[4:7], v2 offset:1376
	ds_load_b128 v[8:11], v2 offset:1392
	s_wait_loadcnt_dscnt 0x401
	v_mul_f64_e32 v[140:141], v[4:5], v[22:23]
	v_mul_f64_e32 v[22:23], v[6:7], v[22:23]
	s_wait_loadcnt_dscnt 0x300
	v_mul_f64_e32 v[18:19], v[8:9], v[26:27]
	v_mul_f64_e32 v[26:27], v[10:11], v[26:27]
	v_add_f64_e32 v[12:13], v[14:15], v[12:13]
	v_add_f64_e32 v[14:15], v[132:133], v[146:147]
	v_fmac_f64_e32 v[140:141], v[6:7], v[20:21]
	v_fma_f64 v[20:21], v[4:5], v[20:21], -v[22:23]
	v_fmac_f64_e32 v[18:19], v[10:11], v[24:25]
	v_fma_f64 v[8:9], v[8:9], v[24:25], -v[26:27]
	v_add_f64_e32 v[16:17], v[12:13], v[16:17]
	v_add_f64_e32 v[22:23], v[14:15], v[134:135]
	ds_load_b128 v[4:7], v2 offset:1408
	ds_load_b128 v[12:15], v2 offset:1424
	s_wait_loadcnt_dscnt 0x201
	v_mul_f64_e32 v[2:3], v[4:5], v[30:31]
	v_mul_f64_e32 v[30:31], v[6:7], v[30:31]
	v_add_f64_e32 v[10:11], v[16:17], v[20:21]
	v_add_f64_e32 v[16:17], v[22:23], v[140:141]
	s_wait_loadcnt_dscnt 0x100
	v_mul_f64_e32 v[20:21], v[12:13], v[126:127]
	v_mul_f64_e32 v[22:23], v[14:15], v[126:127]
	v_fmac_f64_e32 v[2:3], v[6:7], v[28:29]
	v_fma_f64 v[4:5], v[4:5], v[28:29], -v[30:31]
	v_add_f64_e32 v[6:7], v[10:11], v[8:9]
	v_add_f64_e32 v[8:9], v[16:17], v[18:19]
	v_fmac_f64_e32 v[20:21], v[14:15], v[124:125]
	v_fma_f64 v[10:11], v[12:13], v[124:125], -v[22:23]
	s_delay_alu instid0(VALU_DEP_4) | instskip(NEXT) | instid1(VALU_DEP_4)
	v_add_f64_e32 v[4:5], v[6:7], v[4:5]
	v_add_f64_e32 v[2:3], v[8:9], v[2:3]
	s_delay_alu instid0(VALU_DEP_2) | instskip(NEXT) | instid1(VALU_DEP_2)
	v_add_f64_e32 v[4:5], v[4:5], v[10:11]
	v_add_f64_e32 v[6:7], v[2:3], v[20:21]
	s_wait_loadcnt 0x0
	s_delay_alu instid0(VALU_DEP_2) | instskip(NEXT) | instid1(VALU_DEP_2)
	v_add_f64_e64 v[2:3], v[136:137], -v[4:5]
	v_add_f64_e64 v[4:5], v[138:139], -v[6:7]
	scratch_store_b128 off, v[2:5], off offset:576
	s_wait_xcnt 0x0
	v_cmpx_lt_u32_e32 35, v1
	s_cbranch_execz .LBB44_213
; %bb.212:
	scratch_load_b128 v[2:5], off, s13
	v_mov_b32_e32 v6, 0
	s_delay_alu instid0(VALU_DEP_1)
	v_dual_mov_b32 v7, v6 :: v_dual_mov_b32 v8, v6
	v_mov_b32_e32 v9, v6
	scratch_store_b128 off, v[6:9], off offset:560
	s_wait_loadcnt 0x0
	ds_store_b128 v122, v[2:5]
.LBB44_213:
	s_wait_xcnt 0x0
	s_or_b32 exec_lo, exec_lo, s2
	s_wait_storecnt_dscnt 0x0
	s_barrier_signal -1
	s_barrier_wait -1
	s_clause 0x8
	scratch_load_b128 v[4:7], off, off offset:576
	scratch_load_b128 v[8:11], off, off offset:592
	;; [unrolled: 1-line block ×9, first 2 shown]
	v_mov_b32_e32 v2, 0
	scratch_load_b128 v[136:139], off, off offset:560
	s_mov_b32 s2, exec_lo
	ds_load_b128 v[132:135], v2 offset:1296
	ds_load_b128 v[140:143], v2 offset:1312
	s_wait_loadcnt_dscnt 0x901
	v_mul_f64_e32 v[144:145], v[134:135], v[6:7]
	v_mul_f64_e32 v[146:147], v[132:133], v[6:7]
	s_wait_loadcnt_dscnt 0x800
	v_mul_f64_e32 v[148:149], v[140:141], v[10:11]
	v_mul_f64_e32 v[10:11], v[142:143], v[10:11]
	s_delay_alu instid0(VALU_DEP_4) | instskip(NEXT) | instid1(VALU_DEP_4)
	v_fma_f64 v[144:145], v[132:133], v[4:5], -v[144:145]
	v_fmac_f64_e32 v[146:147], v[134:135], v[4:5]
	ds_load_b128 v[4:7], v2 offset:1328
	ds_load_b128 v[132:135], v2 offset:1344
	v_fmac_f64_e32 v[148:149], v[142:143], v[8:9]
	v_fma_f64 v[8:9], v[140:141], v[8:9], -v[10:11]
	s_wait_loadcnt_dscnt 0x701
	v_mul_f64_e32 v[150:151], v[4:5], v[14:15]
	v_mul_f64_e32 v[14:15], v[6:7], v[14:15]
	s_wait_loadcnt_dscnt 0x600
	v_mul_f64_e32 v[142:143], v[132:133], v[18:19]
	v_mul_f64_e32 v[18:19], v[134:135], v[18:19]
	v_add_f64_e32 v[10:11], 0, v[144:145]
	v_add_f64_e32 v[140:141], 0, v[146:147]
	v_fmac_f64_e32 v[150:151], v[6:7], v[12:13]
	v_fma_f64 v[12:13], v[4:5], v[12:13], -v[14:15]
	v_fmac_f64_e32 v[142:143], v[134:135], v[16:17]
	v_fma_f64 v[16:17], v[132:133], v[16:17], -v[18:19]
	v_add_f64_e32 v[14:15], v[10:11], v[8:9]
	v_add_f64_e32 v[140:141], v[140:141], v[148:149]
	ds_load_b128 v[4:7], v2 offset:1360
	ds_load_b128 v[8:11], v2 offset:1376
	s_wait_loadcnt_dscnt 0x501
	v_mul_f64_e32 v[144:145], v[4:5], v[22:23]
	v_mul_f64_e32 v[22:23], v[6:7], v[22:23]
	s_wait_loadcnt_dscnt 0x400
	v_mul_f64_e32 v[18:19], v[8:9], v[26:27]
	v_mul_f64_e32 v[26:27], v[10:11], v[26:27]
	v_add_f64_e32 v[12:13], v[14:15], v[12:13]
	v_add_f64_e32 v[14:15], v[140:141], v[150:151]
	v_fmac_f64_e32 v[144:145], v[6:7], v[20:21]
	v_fma_f64 v[20:21], v[4:5], v[20:21], -v[22:23]
	v_fmac_f64_e32 v[18:19], v[10:11], v[24:25]
	v_fma_f64 v[8:9], v[8:9], v[24:25], -v[26:27]
	v_add_f64_e32 v[16:17], v[12:13], v[16:17]
	v_add_f64_e32 v[22:23], v[14:15], v[142:143]
	ds_load_b128 v[4:7], v2 offset:1392
	ds_load_b128 v[12:15], v2 offset:1408
	s_wait_loadcnt_dscnt 0x301
	v_mul_f64_e32 v[132:133], v[4:5], v[30:31]
	v_mul_f64_e32 v[30:31], v[6:7], v[30:31]
	v_add_f64_e32 v[10:11], v[16:17], v[20:21]
	v_add_f64_e32 v[16:17], v[22:23], v[144:145]
	s_wait_loadcnt_dscnt 0x200
	v_mul_f64_e32 v[20:21], v[12:13], v[126:127]
	v_mul_f64_e32 v[22:23], v[14:15], v[126:127]
	v_fmac_f64_e32 v[132:133], v[6:7], v[28:29]
	v_fma_f64 v[24:25], v[4:5], v[28:29], -v[30:31]
	ds_load_b128 v[4:7], v2 offset:1424
	v_add_f64_e32 v[8:9], v[10:11], v[8:9]
	v_add_f64_e32 v[10:11], v[16:17], v[18:19]
	v_fmac_f64_e32 v[20:21], v[14:15], v[124:125]
	v_fma_f64 v[12:13], v[12:13], v[124:125], -v[22:23]
	s_wait_loadcnt_dscnt 0x100
	v_mul_f64_e32 v[16:17], v[4:5], v[130:131]
	v_mul_f64_e32 v[18:19], v[6:7], v[130:131]
	v_add_f64_e32 v[8:9], v[8:9], v[24:25]
	v_add_f64_e32 v[10:11], v[10:11], v[132:133]
	s_delay_alu instid0(VALU_DEP_4) | instskip(NEXT) | instid1(VALU_DEP_4)
	v_fmac_f64_e32 v[16:17], v[6:7], v[128:129]
	v_fma_f64 v[4:5], v[4:5], v[128:129], -v[18:19]
	s_delay_alu instid0(VALU_DEP_4) | instskip(NEXT) | instid1(VALU_DEP_4)
	v_add_f64_e32 v[6:7], v[8:9], v[12:13]
	v_add_f64_e32 v[8:9], v[10:11], v[20:21]
	s_delay_alu instid0(VALU_DEP_2) | instskip(NEXT) | instid1(VALU_DEP_2)
	v_add_f64_e32 v[4:5], v[6:7], v[4:5]
	v_add_f64_e32 v[6:7], v[8:9], v[16:17]
	s_wait_loadcnt 0x0
	s_delay_alu instid0(VALU_DEP_2) | instskip(NEXT) | instid1(VALU_DEP_2)
	v_add_f64_e64 v[4:5], v[136:137], -v[4:5]
	v_add_f64_e64 v[6:7], v[138:139], -v[6:7]
	scratch_store_b128 off, v[4:7], off offset:560
	s_wait_xcnt 0x0
	v_cmpx_lt_u32_e32 34, v1
	s_cbranch_execz .LBB44_215
; %bb.214:
	scratch_load_b128 v[6:9], off, s21
	v_dual_mov_b32 v3, v2 :: v_dual_mov_b32 v4, v2
	v_mov_b32_e32 v5, v2
	scratch_store_b128 off, v[2:5], off offset:544
	s_wait_loadcnt 0x0
	ds_store_b128 v122, v[6:9]
.LBB44_215:
	s_wait_xcnt 0x0
	s_or_b32 exec_lo, exec_lo, s2
	s_wait_storecnt_dscnt 0x0
	s_barrier_signal -1
	s_barrier_wait -1
	s_clause 0x9
	scratch_load_b128 v[4:7], off, off offset:560
	scratch_load_b128 v[8:11], off, off offset:576
	;; [unrolled: 1-line block ×10, first 2 shown]
	ds_load_b128 v[136:139], v2 offset:1280
	ds_load_b128 v[140:143], v2 offset:1296
	scratch_load_b128 v[144:147], off, off offset:544
	s_mov_b32 s2, exec_lo
	s_wait_loadcnt_dscnt 0xa01
	v_mul_f64_e32 v[148:149], v[138:139], v[6:7]
	v_mul_f64_e32 v[150:151], v[136:137], v[6:7]
	s_wait_loadcnt_dscnt 0x900
	v_mul_f64_e32 v[152:153], v[140:141], v[10:11]
	v_mul_f64_e32 v[10:11], v[142:143], v[10:11]
	s_delay_alu instid0(VALU_DEP_4) | instskip(NEXT) | instid1(VALU_DEP_4)
	v_fma_f64 v[148:149], v[136:137], v[4:5], -v[148:149]
	v_fmac_f64_e32 v[150:151], v[138:139], v[4:5]
	ds_load_b128 v[4:7], v2 offset:1312
	ds_load_b128 v[136:139], v2 offset:1328
	v_fmac_f64_e32 v[152:153], v[142:143], v[8:9]
	v_fma_f64 v[8:9], v[140:141], v[8:9], -v[10:11]
	s_wait_loadcnt_dscnt 0x801
	v_mul_f64_e32 v[154:155], v[4:5], v[14:15]
	v_mul_f64_e32 v[14:15], v[6:7], v[14:15]
	s_wait_loadcnt_dscnt 0x700
	v_mul_f64_e32 v[142:143], v[136:137], v[18:19]
	v_mul_f64_e32 v[18:19], v[138:139], v[18:19]
	v_add_f64_e32 v[10:11], 0, v[148:149]
	v_add_f64_e32 v[140:141], 0, v[150:151]
	v_fmac_f64_e32 v[154:155], v[6:7], v[12:13]
	v_fma_f64 v[12:13], v[4:5], v[12:13], -v[14:15]
	v_fmac_f64_e32 v[142:143], v[138:139], v[16:17]
	v_fma_f64 v[16:17], v[136:137], v[16:17], -v[18:19]
	v_add_f64_e32 v[14:15], v[10:11], v[8:9]
	v_add_f64_e32 v[140:141], v[140:141], v[152:153]
	ds_load_b128 v[4:7], v2 offset:1344
	ds_load_b128 v[8:11], v2 offset:1360
	s_wait_loadcnt_dscnt 0x601
	v_mul_f64_e32 v[148:149], v[4:5], v[22:23]
	v_mul_f64_e32 v[22:23], v[6:7], v[22:23]
	s_wait_loadcnt_dscnt 0x500
	v_mul_f64_e32 v[18:19], v[8:9], v[26:27]
	v_mul_f64_e32 v[26:27], v[10:11], v[26:27]
	v_add_f64_e32 v[12:13], v[14:15], v[12:13]
	v_add_f64_e32 v[14:15], v[140:141], v[154:155]
	v_fmac_f64_e32 v[148:149], v[6:7], v[20:21]
	v_fma_f64 v[20:21], v[4:5], v[20:21], -v[22:23]
	v_fmac_f64_e32 v[18:19], v[10:11], v[24:25]
	v_fma_f64 v[8:9], v[8:9], v[24:25], -v[26:27]
	v_add_f64_e32 v[16:17], v[12:13], v[16:17]
	v_add_f64_e32 v[22:23], v[14:15], v[142:143]
	ds_load_b128 v[4:7], v2 offset:1376
	ds_load_b128 v[12:15], v2 offset:1392
	s_wait_loadcnt_dscnt 0x401
	v_mul_f64_e32 v[136:137], v[4:5], v[30:31]
	v_mul_f64_e32 v[30:31], v[6:7], v[30:31]
	v_add_f64_e32 v[10:11], v[16:17], v[20:21]
	v_add_f64_e32 v[16:17], v[22:23], v[148:149]
	s_wait_loadcnt_dscnt 0x300
	v_mul_f64_e32 v[20:21], v[12:13], v[126:127]
	v_mul_f64_e32 v[22:23], v[14:15], v[126:127]
	v_fmac_f64_e32 v[136:137], v[6:7], v[28:29]
	v_fma_f64 v[24:25], v[4:5], v[28:29], -v[30:31]
	v_add_f64_e32 v[26:27], v[10:11], v[8:9]
	v_add_f64_e32 v[16:17], v[16:17], v[18:19]
	ds_load_b128 v[4:7], v2 offset:1408
	ds_load_b128 v[8:11], v2 offset:1424
	v_fmac_f64_e32 v[20:21], v[14:15], v[124:125]
	v_fma_f64 v[12:13], v[12:13], v[124:125], -v[22:23]
	s_wait_loadcnt_dscnt 0x201
	v_mul_f64_e32 v[2:3], v[4:5], v[130:131]
	v_mul_f64_e32 v[18:19], v[6:7], v[130:131]
	s_wait_loadcnt_dscnt 0x100
	v_mul_f64_e32 v[22:23], v[8:9], v[134:135]
	v_add_f64_e32 v[14:15], v[26:27], v[24:25]
	v_add_f64_e32 v[16:17], v[16:17], v[136:137]
	v_mul_f64_e32 v[24:25], v[10:11], v[134:135]
	v_fmac_f64_e32 v[2:3], v[6:7], v[128:129]
	v_fma_f64 v[4:5], v[4:5], v[128:129], -v[18:19]
	v_fmac_f64_e32 v[22:23], v[10:11], v[132:133]
	v_add_f64_e32 v[6:7], v[14:15], v[12:13]
	v_add_f64_e32 v[12:13], v[16:17], v[20:21]
	v_fma_f64 v[8:9], v[8:9], v[132:133], -v[24:25]
	s_delay_alu instid0(VALU_DEP_3) | instskip(NEXT) | instid1(VALU_DEP_3)
	v_add_f64_e32 v[4:5], v[6:7], v[4:5]
	v_add_f64_e32 v[2:3], v[12:13], v[2:3]
	s_delay_alu instid0(VALU_DEP_2) | instskip(NEXT) | instid1(VALU_DEP_2)
	v_add_f64_e32 v[4:5], v[4:5], v[8:9]
	v_add_f64_e32 v[6:7], v[2:3], v[22:23]
	s_wait_loadcnt 0x0
	s_delay_alu instid0(VALU_DEP_2) | instskip(NEXT) | instid1(VALU_DEP_2)
	v_add_f64_e64 v[2:3], v[144:145], -v[4:5]
	v_add_f64_e64 v[4:5], v[146:147], -v[6:7]
	scratch_store_b128 off, v[2:5], off offset:544
	s_wait_xcnt 0x0
	v_cmpx_lt_u32_e32 33, v1
	s_cbranch_execz .LBB44_217
; %bb.216:
	scratch_load_b128 v[2:5], off, s20
	v_mov_b32_e32 v6, 0
	s_delay_alu instid0(VALU_DEP_1)
	v_dual_mov_b32 v7, v6 :: v_dual_mov_b32 v8, v6
	v_mov_b32_e32 v9, v6
	scratch_store_b128 off, v[6:9], off offset:528
	s_wait_loadcnt 0x0
	ds_store_b128 v122, v[2:5]
.LBB44_217:
	s_wait_xcnt 0x0
	s_or_b32 exec_lo, exec_lo, s2
	s_wait_storecnt_dscnt 0x0
	s_barrier_signal -1
	s_barrier_wait -1
	s_clause 0x9
	scratch_load_b128 v[4:7], off, off offset:544
	scratch_load_b128 v[8:11], off, off offset:560
	;; [unrolled: 1-line block ×10, first 2 shown]
	v_mov_b32_e32 v2, 0
	s_mov_b32 s2, exec_lo
	ds_load_b128 v[136:139], v2 offset:1264
	s_clause 0x1
	scratch_load_b128 v[140:143], off, off offset:704
	scratch_load_b128 v[144:147], off, off offset:528
	s_wait_loadcnt_dscnt 0xb00
	v_mul_f64_e32 v[152:153], v[138:139], v[6:7]
	v_mul_f64_e32 v[154:155], v[136:137], v[6:7]
	ds_load_b128 v[148:151], v2 offset:1280
	s_wait_loadcnt_dscnt 0xa00
	v_mul_f64_e32 v[156:157], v[148:149], v[10:11]
	v_mul_f64_e32 v[10:11], v[150:151], v[10:11]
	v_fma_f64 v[152:153], v[136:137], v[4:5], -v[152:153]
	v_fmac_f64_e32 v[154:155], v[138:139], v[4:5]
	ds_load_b128 v[4:7], v2 offset:1296
	ds_load_b128 v[136:139], v2 offset:1312
	s_wait_loadcnt_dscnt 0x901
	v_mul_f64_e32 v[158:159], v[4:5], v[14:15]
	v_mul_f64_e32 v[14:15], v[6:7], v[14:15]
	v_fmac_f64_e32 v[156:157], v[150:151], v[8:9]
	v_fma_f64 v[8:9], v[148:149], v[8:9], -v[10:11]
	s_wait_loadcnt_dscnt 0x800
	v_mul_f64_e32 v[150:151], v[136:137], v[18:19]
	v_mul_f64_e32 v[18:19], v[138:139], v[18:19]
	v_add_f64_e32 v[10:11], 0, v[152:153]
	v_add_f64_e32 v[148:149], 0, v[154:155]
	v_fmac_f64_e32 v[158:159], v[6:7], v[12:13]
	v_fma_f64 v[12:13], v[4:5], v[12:13], -v[14:15]
	v_fmac_f64_e32 v[150:151], v[138:139], v[16:17]
	v_fma_f64 v[16:17], v[136:137], v[16:17], -v[18:19]
	v_add_f64_e32 v[14:15], v[10:11], v[8:9]
	v_add_f64_e32 v[148:149], v[148:149], v[156:157]
	ds_load_b128 v[4:7], v2 offset:1328
	ds_load_b128 v[8:11], v2 offset:1344
	s_wait_loadcnt_dscnt 0x701
	v_mul_f64_e32 v[152:153], v[4:5], v[22:23]
	v_mul_f64_e32 v[22:23], v[6:7], v[22:23]
	s_wait_loadcnt_dscnt 0x600
	v_mul_f64_e32 v[18:19], v[8:9], v[26:27]
	v_mul_f64_e32 v[26:27], v[10:11], v[26:27]
	v_add_f64_e32 v[12:13], v[14:15], v[12:13]
	v_add_f64_e32 v[14:15], v[148:149], v[158:159]
	v_fmac_f64_e32 v[152:153], v[6:7], v[20:21]
	v_fma_f64 v[20:21], v[4:5], v[20:21], -v[22:23]
	v_fmac_f64_e32 v[18:19], v[10:11], v[24:25]
	v_fma_f64 v[8:9], v[8:9], v[24:25], -v[26:27]
	v_add_f64_e32 v[16:17], v[12:13], v[16:17]
	v_add_f64_e32 v[22:23], v[14:15], v[150:151]
	ds_load_b128 v[4:7], v2 offset:1360
	ds_load_b128 v[12:15], v2 offset:1376
	s_wait_loadcnt_dscnt 0x501
	v_mul_f64_e32 v[136:137], v[4:5], v[30:31]
	v_mul_f64_e32 v[30:31], v[6:7], v[30:31]
	v_add_f64_e32 v[10:11], v[16:17], v[20:21]
	v_add_f64_e32 v[16:17], v[22:23], v[152:153]
	s_wait_loadcnt_dscnt 0x400
	v_mul_f64_e32 v[20:21], v[12:13], v[126:127]
	v_mul_f64_e32 v[22:23], v[14:15], v[126:127]
	v_fmac_f64_e32 v[136:137], v[6:7], v[28:29]
	v_fma_f64 v[24:25], v[4:5], v[28:29], -v[30:31]
	v_add_f64_e32 v[26:27], v[10:11], v[8:9]
	v_add_f64_e32 v[16:17], v[16:17], v[18:19]
	ds_load_b128 v[4:7], v2 offset:1392
	ds_load_b128 v[8:11], v2 offset:1408
	v_fmac_f64_e32 v[20:21], v[14:15], v[124:125]
	v_fma_f64 v[12:13], v[12:13], v[124:125], -v[22:23]
	s_wait_loadcnt_dscnt 0x301
	v_mul_f64_e32 v[18:19], v[4:5], v[130:131]
	v_mul_f64_e32 v[28:29], v[6:7], v[130:131]
	s_wait_loadcnt_dscnt 0x200
	v_mul_f64_e32 v[22:23], v[8:9], v[134:135]
	v_add_f64_e32 v[14:15], v[26:27], v[24:25]
	v_add_f64_e32 v[16:17], v[16:17], v[136:137]
	v_mul_f64_e32 v[24:25], v[10:11], v[134:135]
	v_fmac_f64_e32 v[18:19], v[6:7], v[128:129]
	v_fma_f64 v[26:27], v[4:5], v[128:129], -v[28:29]
	ds_load_b128 v[4:7], v2 offset:1424
	v_fmac_f64_e32 v[22:23], v[10:11], v[132:133]
	v_add_f64_e32 v[12:13], v[14:15], v[12:13]
	v_add_f64_e32 v[14:15], v[16:17], v[20:21]
	v_fma_f64 v[8:9], v[8:9], v[132:133], -v[24:25]
	s_wait_loadcnt_dscnt 0x100
	v_mul_f64_e32 v[16:17], v[4:5], v[142:143]
	v_mul_f64_e32 v[20:21], v[6:7], v[142:143]
	v_add_f64_e32 v[10:11], v[12:13], v[26:27]
	v_add_f64_e32 v[12:13], v[14:15], v[18:19]
	s_delay_alu instid0(VALU_DEP_4) | instskip(NEXT) | instid1(VALU_DEP_4)
	v_fmac_f64_e32 v[16:17], v[6:7], v[140:141]
	v_fma_f64 v[4:5], v[4:5], v[140:141], -v[20:21]
	s_delay_alu instid0(VALU_DEP_4) | instskip(NEXT) | instid1(VALU_DEP_4)
	v_add_f64_e32 v[6:7], v[10:11], v[8:9]
	v_add_f64_e32 v[8:9], v[12:13], v[22:23]
	s_delay_alu instid0(VALU_DEP_2) | instskip(NEXT) | instid1(VALU_DEP_2)
	v_add_f64_e32 v[4:5], v[6:7], v[4:5]
	v_add_f64_e32 v[6:7], v[8:9], v[16:17]
	s_wait_loadcnt 0x0
	s_delay_alu instid0(VALU_DEP_2) | instskip(NEXT) | instid1(VALU_DEP_2)
	v_add_f64_e64 v[4:5], v[144:145], -v[4:5]
	v_add_f64_e64 v[6:7], v[146:147], -v[6:7]
	scratch_store_b128 off, v[4:7], off offset:528
	s_wait_xcnt 0x0
	v_cmpx_lt_u32_e32 32, v1
	s_cbranch_execz .LBB44_219
; %bb.218:
	scratch_load_b128 v[6:9], off, s25
	v_dual_mov_b32 v3, v2 :: v_dual_mov_b32 v4, v2
	v_mov_b32_e32 v5, v2
	scratch_store_b128 off, v[2:5], off offset:512
	s_wait_loadcnt 0x0
	ds_store_b128 v122, v[6:9]
.LBB44_219:
	s_wait_xcnt 0x0
	s_or_b32 exec_lo, exec_lo, s2
	s_wait_storecnt_dscnt 0x0
	s_barrier_signal -1
	s_barrier_wait -1
	s_clause 0x9
	scratch_load_b128 v[4:7], off, off offset:528
	scratch_load_b128 v[8:11], off, off offset:544
	;; [unrolled: 1-line block ×10, first 2 shown]
	ds_load_b128 v[136:139], v2 offset:1248
	ds_load_b128 v[144:147], v2 offset:1264
	s_clause 0x2
	scratch_load_b128 v[140:143], off, off offset:688
	scratch_load_b128 v[148:151], off, off offset:512
	;; [unrolled: 1-line block ×3, first 2 shown]
	s_mov_b32 s2, exec_lo
	s_wait_loadcnt_dscnt 0xc01
	v_mul_f64_e32 v[156:157], v[138:139], v[6:7]
	v_mul_f64_e32 v[158:159], v[136:137], v[6:7]
	s_wait_loadcnt_dscnt 0xb00
	v_mul_f64_e32 v[160:161], v[144:145], v[10:11]
	v_mul_f64_e32 v[10:11], v[146:147], v[10:11]
	s_delay_alu instid0(VALU_DEP_4) | instskip(NEXT) | instid1(VALU_DEP_4)
	v_fma_f64 v[156:157], v[136:137], v[4:5], -v[156:157]
	v_fmac_f64_e32 v[158:159], v[138:139], v[4:5]
	ds_load_b128 v[4:7], v2 offset:1280
	ds_load_b128 v[136:139], v2 offset:1296
	v_fmac_f64_e32 v[160:161], v[146:147], v[8:9]
	v_fma_f64 v[8:9], v[144:145], v[8:9], -v[10:11]
	s_wait_loadcnt_dscnt 0xa01
	v_mul_f64_e32 v[162:163], v[4:5], v[14:15]
	v_mul_f64_e32 v[14:15], v[6:7], v[14:15]
	s_wait_loadcnt_dscnt 0x900
	v_mul_f64_e32 v[146:147], v[136:137], v[18:19]
	v_mul_f64_e32 v[18:19], v[138:139], v[18:19]
	v_add_f64_e32 v[10:11], 0, v[156:157]
	v_add_f64_e32 v[144:145], 0, v[158:159]
	v_fmac_f64_e32 v[162:163], v[6:7], v[12:13]
	v_fma_f64 v[12:13], v[4:5], v[12:13], -v[14:15]
	v_fmac_f64_e32 v[146:147], v[138:139], v[16:17]
	v_fma_f64 v[16:17], v[136:137], v[16:17], -v[18:19]
	v_add_f64_e32 v[14:15], v[10:11], v[8:9]
	v_add_f64_e32 v[144:145], v[144:145], v[160:161]
	ds_load_b128 v[4:7], v2 offset:1312
	ds_load_b128 v[8:11], v2 offset:1328
	s_wait_loadcnt_dscnt 0x801
	v_mul_f64_e32 v[156:157], v[4:5], v[22:23]
	v_mul_f64_e32 v[22:23], v[6:7], v[22:23]
	s_wait_loadcnt_dscnt 0x700
	v_mul_f64_e32 v[18:19], v[8:9], v[26:27]
	v_mul_f64_e32 v[26:27], v[10:11], v[26:27]
	v_add_f64_e32 v[12:13], v[14:15], v[12:13]
	v_add_f64_e32 v[14:15], v[144:145], v[162:163]
	v_fmac_f64_e32 v[156:157], v[6:7], v[20:21]
	v_fma_f64 v[20:21], v[4:5], v[20:21], -v[22:23]
	v_fmac_f64_e32 v[18:19], v[10:11], v[24:25]
	v_fma_f64 v[8:9], v[8:9], v[24:25], -v[26:27]
	v_add_f64_e32 v[16:17], v[12:13], v[16:17]
	v_add_f64_e32 v[22:23], v[14:15], v[146:147]
	ds_load_b128 v[4:7], v2 offset:1344
	ds_load_b128 v[12:15], v2 offset:1360
	s_wait_loadcnt_dscnt 0x601
	v_mul_f64_e32 v[136:137], v[4:5], v[30:31]
	v_mul_f64_e32 v[30:31], v[6:7], v[30:31]
	v_add_f64_e32 v[10:11], v[16:17], v[20:21]
	v_add_f64_e32 v[16:17], v[22:23], v[156:157]
	s_wait_loadcnt_dscnt 0x500
	v_mul_f64_e32 v[20:21], v[12:13], v[126:127]
	v_mul_f64_e32 v[22:23], v[14:15], v[126:127]
	v_fmac_f64_e32 v[136:137], v[6:7], v[28:29]
	v_fma_f64 v[24:25], v[4:5], v[28:29], -v[30:31]
	v_add_f64_e32 v[26:27], v[10:11], v[8:9]
	v_add_f64_e32 v[16:17], v[16:17], v[18:19]
	ds_load_b128 v[4:7], v2 offset:1376
	ds_load_b128 v[8:11], v2 offset:1392
	v_fmac_f64_e32 v[20:21], v[14:15], v[124:125]
	v_fma_f64 v[12:13], v[12:13], v[124:125], -v[22:23]
	s_wait_loadcnt_dscnt 0x401
	v_mul_f64_e32 v[18:19], v[4:5], v[130:131]
	v_mul_f64_e32 v[28:29], v[6:7], v[130:131]
	s_wait_loadcnt_dscnt 0x300
	v_mul_f64_e32 v[22:23], v[8:9], v[134:135]
	v_add_f64_e32 v[14:15], v[26:27], v[24:25]
	v_add_f64_e32 v[16:17], v[16:17], v[136:137]
	v_mul_f64_e32 v[24:25], v[10:11], v[134:135]
	v_fmac_f64_e32 v[18:19], v[6:7], v[128:129]
	v_fma_f64 v[26:27], v[4:5], v[128:129], -v[28:29]
	v_fmac_f64_e32 v[22:23], v[10:11], v[132:133]
	v_add_f64_e32 v[28:29], v[14:15], v[12:13]
	v_add_f64_e32 v[16:17], v[16:17], v[20:21]
	ds_load_b128 v[4:7], v2 offset:1408
	ds_load_b128 v[12:15], v2 offset:1424
	v_fma_f64 v[8:9], v[8:9], v[132:133], -v[24:25]
	s_wait_loadcnt_dscnt 0x201
	v_mul_f64_e32 v[2:3], v[4:5], v[142:143]
	v_mul_f64_e32 v[20:21], v[6:7], v[142:143]
	s_wait_loadcnt_dscnt 0x0
	v_mul_f64_e32 v[24:25], v[14:15], v[154:155]
	v_add_f64_e32 v[10:11], v[28:29], v[26:27]
	v_add_f64_e32 v[16:17], v[16:17], v[18:19]
	v_mul_f64_e32 v[18:19], v[12:13], v[154:155]
	v_fmac_f64_e32 v[2:3], v[6:7], v[140:141]
	v_fma_f64 v[4:5], v[4:5], v[140:141], -v[20:21]
	v_add_f64_e32 v[6:7], v[10:11], v[8:9]
	v_add_f64_e32 v[8:9], v[16:17], v[22:23]
	v_fmac_f64_e32 v[18:19], v[14:15], v[152:153]
	v_fma_f64 v[10:11], v[12:13], v[152:153], -v[24:25]
	s_delay_alu instid0(VALU_DEP_4) | instskip(NEXT) | instid1(VALU_DEP_4)
	v_add_f64_e32 v[4:5], v[6:7], v[4:5]
	v_add_f64_e32 v[2:3], v[8:9], v[2:3]
	s_delay_alu instid0(VALU_DEP_2) | instskip(NEXT) | instid1(VALU_DEP_2)
	v_add_f64_e32 v[4:5], v[4:5], v[10:11]
	v_add_f64_e32 v[6:7], v[2:3], v[18:19]
	s_delay_alu instid0(VALU_DEP_2) | instskip(NEXT) | instid1(VALU_DEP_2)
	v_add_f64_e64 v[2:3], v[148:149], -v[4:5]
	v_add_f64_e64 v[4:5], v[150:151], -v[6:7]
	scratch_store_b128 off, v[2:5], off offset:512
	s_wait_xcnt 0x0
	v_cmpx_lt_u32_e32 31, v1
	s_cbranch_execz .LBB44_221
; %bb.220:
	scratch_load_b128 v[2:5], off, s23
	v_mov_b32_e32 v6, 0
	s_delay_alu instid0(VALU_DEP_1)
	v_dual_mov_b32 v7, v6 :: v_dual_mov_b32 v8, v6
	v_mov_b32_e32 v9, v6
	scratch_store_b128 off, v[6:9], off offset:496
	s_wait_loadcnt 0x0
	ds_store_b128 v122, v[2:5]
.LBB44_221:
	s_wait_xcnt 0x0
	s_or_b32 exec_lo, exec_lo, s2
	s_wait_storecnt_dscnt 0x0
	s_barrier_signal -1
	s_barrier_wait -1
	s_clause 0x9
	scratch_load_b128 v[4:7], off, off offset:512
	scratch_load_b128 v[8:11], off, off offset:528
	;; [unrolled: 1-line block ×10, first 2 shown]
	v_mov_b32_e32 v2, 0
	s_mov_b32 s2, exec_lo
	ds_load_b128 v[136:139], v2 offset:1232
	s_clause 0x2
	scratch_load_b128 v[140:143], off, off offset:672
	scratch_load_b128 v[144:147], off, off offset:496
	;; [unrolled: 1-line block ×3, first 2 shown]
	s_wait_loadcnt_dscnt 0xc00
	v_mul_f64_e32 v[156:157], v[138:139], v[6:7]
	v_mul_f64_e32 v[160:161], v[136:137], v[6:7]
	ds_load_b128 v[148:151], v2 offset:1248
	v_fma_f64 v[164:165], v[136:137], v[4:5], -v[156:157]
	v_fmac_f64_e32 v[160:161], v[138:139], v[4:5]
	ds_load_b128 v[4:7], v2 offset:1264
	s_wait_loadcnt_dscnt 0xb01
	v_mul_f64_e32 v[162:163], v[148:149], v[10:11]
	v_mul_f64_e32 v[10:11], v[150:151], v[10:11]
	scratch_load_b128 v[136:139], off, off offset:704
	ds_load_b128 v[156:159], v2 offset:1280
	s_wait_loadcnt_dscnt 0xb01
	v_mul_f64_e32 v[166:167], v[4:5], v[14:15]
	v_mul_f64_e32 v[14:15], v[6:7], v[14:15]
	v_fmac_f64_e32 v[162:163], v[150:151], v[8:9]
	v_fma_f64 v[8:9], v[148:149], v[8:9], -v[10:11]
	v_add_f64_e32 v[10:11], 0, v[164:165]
	v_add_f64_e32 v[148:149], 0, v[160:161]
	s_wait_loadcnt_dscnt 0xa00
	v_mul_f64_e32 v[150:151], v[156:157], v[18:19]
	v_mul_f64_e32 v[18:19], v[158:159], v[18:19]
	v_fmac_f64_e32 v[166:167], v[6:7], v[12:13]
	v_fma_f64 v[12:13], v[4:5], v[12:13], -v[14:15]
	v_add_f64_e32 v[14:15], v[10:11], v[8:9]
	v_add_f64_e32 v[148:149], v[148:149], v[162:163]
	ds_load_b128 v[4:7], v2 offset:1296
	ds_load_b128 v[8:11], v2 offset:1312
	v_fmac_f64_e32 v[150:151], v[158:159], v[16:17]
	v_fma_f64 v[16:17], v[156:157], v[16:17], -v[18:19]
	s_wait_loadcnt_dscnt 0x901
	v_mul_f64_e32 v[160:161], v[4:5], v[22:23]
	v_mul_f64_e32 v[22:23], v[6:7], v[22:23]
	s_wait_loadcnt_dscnt 0x800
	v_mul_f64_e32 v[18:19], v[8:9], v[26:27]
	v_mul_f64_e32 v[26:27], v[10:11], v[26:27]
	v_add_f64_e32 v[12:13], v[14:15], v[12:13]
	v_add_f64_e32 v[14:15], v[148:149], v[166:167]
	v_fmac_f64_e32 v[160:161], v[6:7], v[20:21]
	v_fma_f64 v[20:21], v[4:5], v[20:21], -v[22:23]
	v_fmac_f64_e32 v[18:19], v[10:11], v[24:25]
	v_fma_f64 v[8:9], v[8:9], v[24:25], -v[26:27]
	v_add_f64_e32 v[16:17], v[12:13], v[16:17]
	v_add_f64_e32 v[22:23], v[14:15], v[150:151]
	ds_load_b128 v[4:7], v2 offset:1328
	ds_load_b128 v[12:15], v2 offset:1344
	s_wait_loadcnt_dscnt 0x701
	v_mul_f64_e32 v[148:149], v[4:5], v[30:31]
	v_mul_f64_e32 v[30:31], v[6:7], v[30:31]
	v_add_f64_e32 v[10:11], v[16:17], v[20:21]
	v_add_f64_e32 v[16:17], v[22:23], v[160:161]
	s_wait_loadcnt_dscnt 0x600
	v_mul_f64_e32 v[20:21], v[12:13], v[126:127]
	v_mul_f64_e32 v[22:23], v[14:15], v[126:127]
	v_fmac_f64_e32 v[148:149], v[6:7], v[28:29]
	v_fma_f64 v[24:25], v[4:5], v[28:29], -v[30:31]
	v_add_f64_e32 v[26:27], v[10:11], v[8:9]
	v_add_f64_e32 v[16:17], v[16:17], v[18:19]
	ds_load_b128 v[4:7], v2 offset:1360
	ds_load_b128 v[8:11], v2 offset:1376
	v_fmac_f64_e32 v[20:21], v[14:15], v[124:125]
	v_fma_f64 v[12:13], v[12:13], v[124:125], -v[22:23]
	s_wait_loadcnt_dscnt 0x501
	v_mul_f64_e32 v[18:19], v[4:5], v[130:131]
	v_mul_f64_e32 v[28:29], v[6:7], v[130:131]
	s_wait_loadcnt_dscnt 0x400
	v_mul_f64_e32 v[22:23], v[8:9], v[134:135]
	v_add_f64_e32 v[14:15], v[26:27], v[24:25]
	v_add_f64_e32 v[16:17], v[16:17], v[148:149]
	v_mul_f64_e32 v[24:25], v[10:11], v[134:135]
	v_fmac_f64_e32 v[18:19], v[6:7], v[128:129]
	v_fma_f64 v[26:27], v[4:5], v[128:129], -v[28:29]
	v_fmac_f64_e32 v[22:23], v[10:11], v[132:133]
	v_add_f64_e32 v[28:29], v[14:15], v[12:13]
	v_add_f64_e32 v[16:17], v[16:17], v[20:21]
	ds_load_b128 v[4:7], v2 offset:1392
	ds_load_b128 v[12:15], v2 offset:1408
	v_fma_f64 v[8:9], v[8:9], v[132:133], -v[24:25]
	s_wait_loadcnt_dscnt 0x301
	v_mul_f64_e32 v[20:21], v[4:5], v[142:143]
	v_mul_f64_e32 v[30:31], v[6:7], v[142:143]
	s_wait_loadcnt_dscnt 0x100
	v_mul_f64_e32 v[24:25], v[14:15], v[154:155]
	v_add_f64_e32 v[10:11], v[28:29], v[26:27]
	v_add_f64_e32 v[16:17], v[16:17], v[18:19]
	v_mul_f64_e32 v[18:19], v[12:13], v[154:155]
	v_fmac_f64_e32 v[20:21], v[6:7], v[140:141]
	v_fma_f64 v[26:27], v[4:5], v[140:141], -v[30:31]
	ds_load_b128 v[4:7], v2 offset:1424
	v_fma_f64 v[12:13], v[12:13], v[152:153], -v[24:25]
	v_add_f64_e32 v[8:9], v[10:11], v[8:9]
	v_add_f64_e32 v[10:11], v[16:17], v[22:23]
	v_fmac_f64_e32 v[18:19], v[14:15], v[152:153]
	s_wait_loadcnt_dscnt 0x0
	v_mul_f64_e32 v[16:17], v[4:5], v[138:139]
	v_mul_f64_e32 v[22:23], v[6:7], v[138:139]
	v_add_f64_e32 v[8:9], v[8:9], v[26:27]
	v_add_f64_e32 v[10:11], v[10:11], v[20:21]
	s_delay_alu instid0(VALU_DEP_4) | instskip(NEXT) | instid1(VALU_DEP_4)
	v_fmac_f64_e32 v[16:17], v[6:7], v[136:137]
	v_fma_f64 v[4:5], v[4:5], v[136:137], -v[22:23]
	s_delay_alu instid0(VALU_DEP_4) | instskip(NEXT) | instid1(VALU_DEP_4)
	v_add_f64_e32 v[6:7], v[8:9], v[12:13]
	v_add_f64_e32 v[8:9], v[10:11], v[18:19]
	s_delay_alu instid0(VALU_DEP_2) | instskip(NEXT) | instid1(VALU_DEP_2)
	v_add_f64_e32 v[4:5], v[6:7], v[4:5]
	v_add_f64_e32 v[6:7], v[8:9], v[16:17]
	s_delay_alu instid0(VALU_DEP_2) | instskip(NEXT) | instid1(VALU_DEP_2)
	v_add_f64_e64 v[4:5], v[144:145], -v[4:5]
	v_add_f64_e64 v[6:7], v[146:147], -v[6:7]
	scratch_store_b128 off, v[4:7], off offset:496
	s_wait_xcnt 0x0
	v_cmpx_lt_u32_e32 30, v1
	s_cbranch_execz .LBB44_223
; %bb.222:
	scratch_load_b128 v[6:9], off, s27
	v_dual_mov_b32 v3, v2 :: v_dual_mov_b32 v4, v2
	v_mov_b32_e32 v5, v2
	scratch_store_b128 off, v[2:5], off offset:480
	s_wait_loadcnt 0x0
	ds_store_b128 v122, v[6:9]
.LBB44_223:
	s_wait_xcnt 0x0
	s_or_b32 exec_lo, exec_lo, s2
	s_wait_storecnt_dscnt 0x0
	s_barrier_signal -1
	s_barrier_wait -1
	s_clause 0x9
	scratch_load_b128 v[4:7], off, off offset:496
	scratch_load_b128 v[8:11], off, off offset:512
	;; [unrolled: 1-line block ×10, first 2 shown]
	ds_load_b128 v[136:139], v2 offset:1216
	ds_load_b128 v[144:147], v2 offset:1232
	s_clause 0x2
	scratch_load_b128 v[140:143], off, off offset:656
	scratch_load_b128 v[148:151], off, off offset:480
	;; [unrolled: 1-line block ×3, first 2 shown]
	s_mov_b32 s2, exec_lo
	s_wait_loadcnt_dscnt 0xc01
	v_mul_f64_e32 v[156:157], v[138:139], v[6:7]
	v_mul_f64_e32 v[160:161], v[136:137], v[6:7]
	s_wait_loadcnt_dscnt 0xb00
	v_mul_f64_e32 v[162:163], v[144:145], v[10:11]
	v_mul_f64_e32 v[10:11], v[146:147], v[10:11]
	s_delay_alu instid0(VALU_DEP_4) | instskip(NEXT) | instid1(VALU_DEP_4)
	v_fma_f64 v[164:165], v[136:137], v[4:5], -v[156:157]
	v_fmac_f64_e32 v[160:161], v[138:139], v[4:5]
	ds_load_b128 v[4:7], v2 offset:1248
	ds_load_b128 v[136:139], v2 offset:1264
	scratch_load_b128 v[156:159], off, off offset:688
	v_fmac_f64_e32 v[162:163], v[146:147], v[8:9]
	v_fma_f64 v[144:145], v[144:145], v[8:9], -v[10:11]
	scratch_load_b128 v[8:11], off, off offset:704
	s_wait_loadcnt_dscnt 0xc01
	v_mul_f64_e32 v[166:167], v[4:5], v[14:15]
	v_mul_f64_e32 v[14:15], v[6:7], v[14:15]
	v_add_f64_e32 v[146:147], 0, v[164:165]
	v_add_f64_e32 v[160:161], 0, v[160:161]
	s_wait_loadcnt_dscnt 0xb00
	v_mul_f64_e32 v[164:165], v[136:137], v[18:19]
	v_mul_f64_e32 v[18:19], v[138:139], v[18:19]
	v_fmac_f64_e32 v[166:167], v[6:7], v[12:13]
	v_fma_f64 v[168:169], v[4:5], v[12:13], -v[14:15]
	ds_load_b128 v[4:7], v2 offset:1280
	ds_load_b128 v[12:15], v2 offset:1296
	v_add_f64_e32 v[144:145], v[146:147], v[144:145]
	v_add_f64_e32 v[146:147], v[160:161], v[162:163]
	v_fmac_f64_e32 v[164:165], v[138:139], v[16:17]
	v_fma_f64 v[16:17], v[136:137], v[16:17], -v[18:19]
	s_wait_loadcnt_dscnt 0xa01
	v_mul_f64_e32 v[160:161], v[4:5], v[22:23]
	v_mul_f64_e32 v[22:23], v[6:7], v[22:23]
	s_wait_loadcnt_dscnt 0x900
	v_mul_f64_e32 v[138:139], v[12:13], v[26:27]
	v_mul_f64_e32 v[26:27], v[14:15], v[26:27]
	v_add_f64_e32 v[18:19], v[144:145], v[168:169]
	v_add_f64_e32 v[136:137], v[146:147], v[166:167]
	v_fmac_f64_e32 v[160:161], v[6:7], v[20:21]
	v_fma_f64 v[20:21], v[4:5], v[20:21], -v[22:23]
	v_fmac_f64_e32 v[138:139], v[14:15], v[24:25]
	v_fma_f64 v[12:13], v[12:13], v[24:25], -v[26:27]
	v_add_f64_e32 v[22:23], v[18:19], v[16:17]
	v_add_f64_e32 v[136:137], v[136:137], v[164:165]
	ds_load_b128 v[4:7], v2 offset:1312
	ds_load_b128 v[16:19], v2 offset:1328
	s_wait_loadcnt_dscnt 0x801
	v_mul_f64_e32 v[144:145], v[4:5], v[30:31]
	v_mul_f64_e32 v[30:31], v[6:7], v[30:31]
	s_wait_loadcnt_dscnt 0x700
	v_mul_f64_e32 v[24:25], v[18:19], v[126:127]
	v_add_f64_e32 v[14:15], v[22:23], v[20:21]
	v_add_f64_e32 v[20:21], v[136:137], v[160:161]
	v_mul_f64_e32 v[22:23], v[16:17], v[126:127]
	v_fmac_f64_e32 v[144:145], v[6:7], v[28:29]
	v_fma_f64 v[26:27], v[4:5], v[28:29], -v[30:31]
	v_fma_f64 v[16:17], v[16:17], v[124:125], -v[24:25]
	v_add_f64_e32 v[28:29], v[14:15], v[12:13]
	v_add_f64_e32 v[20:21], v[20:21], v[138:139]
	ds_load_b128 v[4:7], v2 offset:1344
	ds_load_b128 v[12:15], v2 offset:1360
	v_fmac_f64_e32 v[22:23], v[18:19], v[124:125]
	s_wait_loadcnt_dscnt 0x601
	v_mul_f64_e32 v[30:31], v[4:5], v[130:131]
	v_mul_f64_e32 v[126:127], v[6:7], v[130:131]
	s_wait_loadcnt_dscnt 0x500
	v_mul_f64_e32 v[24:25], v[12:13], v[134:135]
	v_add_f64_e32 v[18:19], v[28:29], v[26:27]
	v_add_f64_e32 v[20:21], v[20:21], v[144:145]
	v_mul_f64_e32 v[26:27], v[14:15], v[134:135]
	v_fmac_f64_e32 v[30:31], v[6:7], v[128:129]
	v_fma_f64 v[28:29], v[4:5], v[128:129], -v[126:127]
	v_fmac_f64_e32 v[24:25], v[14:15], v[132:133]
	v_add_f64_e32 v[124:125], v[18:19], v[16:17]
	v_add_f64_e32 v[20:21], v[20:21], v[22:23]
	ds_load_b128 v[4:7], v2 offset:1376
	ds_load_b128 v[16:19], v2 offset:1392
	v_fma_f64 v[12:13], v[12:13], v[132:133], -v[26:27]
	s_wait_loadcnt_dscnt 0x401
	v_mul_f64_e32 v[22:23], v[4:5], v[142:143]
	v_mul_f64_e32 v[126:127], v[6:7], v[142:143]
	s_wait_loadcnt_dscnt 0x200
	v_mul_f64_e32 v[26:27], v[16:17], v[154:155]
	v_add_f64_e32 v[14:15], v[124:125], v[28:29]
	v_add_f64_e32 v[20:21], v[20:21], v[30:31]
	v_mul_f64_e32 v[28:29], v[18:19], v[154:155]
	v_fmac_f64_e32 v[22:23], v[6:7], v[140:141]
	v_fma_f64 v[30:31], v[4:5], v[140:141], -v[126:127]
	v_fmac_f64_e32 v[26:27], v[18:19], v[152:153]
	v_add_f64_e32 v[124:125], v[14:15], v[12:13]
	v_add_f64_e32 v[20:21], v[20:21], v[24:25]
	ds_load_b128 v[4:7], v2 offset:1408
	ds_load_b128 v[12:15], v2 offset:1424
	v_fma_f64 v[16:17], v[16:17], v[152:153], -v[28:29]
	s_wait_loadcnt_dscnt 0x101
	v_mul_f64_e32 v[2:3], v[4:5], v[158:159]
	v_mul_f64_e32 v[24:25], v[6:7], v[158:159]
	v_add_f64_e32 v[18:19], v[124:125], v[30:31]
	v_add_f64_e32 v[20:21], v[20:21], v[22:23]
	s_wait_loadcnt_dscnt 0x0
	v_mul_f64_e32 v[22:23], v[12:13], v[10:11]
	v_mul_f64_e32 v[10:11], v[14:15], v[10:11]
	v_fmac_f64_e32 v[2:3], v[6:7], v[156:157]
	v_fma_f64 v[4:5], v[4:5], v[156:157], -v[24:25]
	v_add_f64_e32 v[6:7], v[18:19], v[16:17]
	v_add_f64_e32 v[16:17], v[20:21], v[26:27]
	v_fmac_f64_e32 v[22:23], v[14:15], v[8:9]
	v_fma_f64 v[8:9], v[12:13], v[8:9], -v[10:11]
	s_delay_alu instid0(VALU_DEP_4) | instskip(NEXT) | instid1(VALU_DEP_4)
	v_add_f64_e32 v[4:5], v[6:7], v[4:5]
	v_add_f64_e32 v[2:3], v[16:17], v[2:3]
	s_delay_alu instid0(VALU_DEP_2) | instskip(NEXT) | instid1(VALU_DEP_2)
	v_add_f64_e32 v[4:5], v[4:5], v[8:9]
	v_add_f64_e32 v[6:7], v[2:3], v[22:23]
	s_delay_alu instid0(VALU_DEP_2) | instskip(NEXT) | instid1(VALU_DEP_2)
	v_add_f64_e64 v[2:3], v[148:149], -v[4:5]
	v_add_f64_e64 v[4:5], v[150:151], -v[6:7]
	scratch_store_b128 off, v[2:5], off offset:480
	s_wait_xcnt 0x0
	v_cmpx_lt_u32_e32 29, v1
	s_cbranch_execz .LBB44_225
; %bb.224:
	scratch_load_b128 v[2:5], off, s26
	v_mov_b32_e32 v6, 0
	s_delay_alu instid0(VALU_DEP_1)
	v_dual_mov_b32 v7, v6 :: v_dual_mov_b32 v8, v6
	v_mov_b32_e32 v9, v6
	scratch_store_b128 off, v[6:9], off offset:464
	s_wait_loadcnt 0x0
	ds_store_b128 v122, v[2:5]
.LBB44_225:
	s_wait_xcnt 0x0
	s_or_b32 exec_lo, exec_lo, s2
	s_wait_storecnt_dscnt 0x0
	s_barrier_signal -1
	s_barrier_wait -1
	s_clause 0x9
	scratch_load_b128 v[4:7], off, off offset:480
	scratch_load_b128 v[8:11], off, off offset:496
	;; [unrolled: 1-line block ×10, first 2 shown]
	v_mov_b32_e32 v2, 0
	s_mov_b32 s2, exec_lo
	ds_load_b128 v[136:139], v2 offset:1200
	s_clause 0x2
	scratch_load_b128 v[140:143], off, off offset:640
	scratch_load_b128 v[144:147], off, off offset:464
	;; [unrolled: 1-line block ×3, first 2 shown]
	s_wait_loadcnt_dscnt 0xc00
	v_mul_f64_e32 v[156:157], v[138:139], v[6:7]
	v_mul_f64_e32 v[160:161], v[136:137], v[6:7]
	ds_load_b128 v[148:151], v2 offset:1216
	v_fma_f64 v[164:165], v[136:137], v[4:5], -v[156:157]
	v_fmac_f64_e32 v[160:161], v[138:139], v[4:5]
	ds_load_b128 v[4:7], v2 offset:1232
	s_wait_loadcnt_dscnt 0xb01
	v_mul_f64_e32 v[162:163], v[148:149], v[10:11]
	v_mul_f64_e32 v[10:11], v[150:151], v[10:11]
	scratch_load_b128 v[136:139], off, off offset:672
	ds_load_b128 v[156:159], v2 offset:1248
	s_wait_loadcnt_dscnt 0xb01
	v_mul_f64_e32 v[166:167], v[4:5], v[14:15]
	v_mul_f64_e32 v[14:15], v[6:7], v[14:15]
	v_add_f64_e32 v[160:161], 0, v[160:161]
	v_fmac_f64_e32 v[162:163], v[150:151], v[8:9]
	v_fma_f64 v[148:149], v[148:149], v[8:9], -v[10:11]
	v_add_f64_e32 v[150:151], 0, v[164:165]
	scratch_load_b128 v[8:11], off, off offset:688
	v_fmac_f64_e32 v[166:167], v[6:7], v[12:13]
	v_fma_f64 v[168:169], v[4:5], v[12:13], -v[14:15]
	ds_load_b128 v[4:7], v2 offset:1264
	s_wait_loadcnt_dscnt 0xb01
	v_mul_f64_e32 v[164:165], v[156:157], v[18:19]
	v_mul_f64_e32 v[18:19], v[158:159], v[18:19]
	scratch_load_b128 v[12:15], off, off offset:704
	v_add_f64_e32 v[160:161], v[160:161], v[162:163]
	v_add_f64_e32 v[170:171], v[150:151], v[148:149]
	ds_load_b128 v[148:151], v2 offset:1280
	s_wait_loadcnt_dscnt 0xb01
	v_mul_f64_e32 v[162:163], v[4:5], v[22:23]
	v_mul_f64_e32 v[22:23], v[6:7], v[22:23]
	v_fmac_f64_e32 v[164:165], v[158:159], v[16:17]
	v_fma_f64 v[16:17], v[156:157], v[16:17], -v[18:19]
	s_wait_loadcnt_dscnt 0xa00
	v_mul_f64_e32 v[158:159], v[148:149], v[26:27]
	v_mul_f64_e32 v[26:27], v[150:151], v[26:27]
	v_add_f64_e32 v[156:157], v[160:161], v[166:167]
	v_add_f64_e32 v[18:19], v[170:171], v[168:169]
	v_fmac_f64_e32 v[162:163], v[6:7], v[20:21]
	v_fma_f64 v[20:21], v[4:5], v[20:21], -v[22:23]
	v_fmac_f64_e32 v[158:159], v[150:151], v[24:25]
	v_fma_f64 v[24:25], v[148:149], v[24:25], -v[26:27]
	v_add_f64_e32 v[156:157], v[156:157], v[164:165]
	v_add_f64_e32 v[22:23], v[18:19], v[16:17]
	ds_load_b128 v[4:7], v2 offset:1296
	ds_load_b128 v[16:19], v2 offset:1312
	s_wait_loadcnt_dscnt 0x901
	v_mul_f64_e32 v[160:161], v[4:5], v[30:31]
	v_mul_f64_e32 v[30:31], v[6:7], v[30:31]
	s_wait_loadcnt_dscnt 0x800
	v_mul_f64_e32 v[26:27], v[16:17], v[126:127]
	v_mul_f64_e32 v[126:127], v[18:19], v[126:127]
	v_add_f64_e32 v[20:21], v[22:23], v[20:21]
	v_add_f64_e32 v[22:23], v[156:157], v[162:163]
	v_fmac_f64_e32 v[160:161], v[6:7], v[28:29]
	v_fma_f64 v[28:29], v[4:5], v[28:29], -v[30:31]
	v_fmac_f64_e32 v[26:27], v[18:19], v[124:125]
	v_fma_f64 v[16:17], v[16:17], v[124:125], -v[126:127]
	v_add_f64_e32 v[24:25], v[20:21], v[24:25]
	v_add_f64_e32 v[30:31], v[22:23], v[158:159]
	ds_load_b128 v[4:7], v2 offset:1328
	ds_load_b128 v[20:23], v2 offset:1344
	s_wait_loadcnt_dscnt 0x701
	v_mul_f64_e32 v[148:149], v[4:5], v[130:131]
	v_mul_f64_e32 v[130:131], v[6:7], v[130:131]
	v_add_f64_e32 v[18:19], v[24:25], v[28:29]
	v_add_f64_e32 v[24:25], v[30:31], v[160:161]
	s_wait_loadcnt_dscnt 0x600
	v_mul_f64_e32 v[28:29], v[20:21], v[134:135]
	v_mul_f64_e32 v[30:31], v[22:23], v[134:135]
	v_fmac_f64_e32 v[148:149], v[6:7], v[128:129]
	v_fma_f64 v[124:125], v[4:5], v[128:129], -v[130:131]
	v_add_f64_e32 v[126:127], v[18:19], v[16:17]
	v_add_f64_e32 v[24:25], v[24:25], v[26:27]
	ds_load_b128 v[4:7], v2 offset:1360
	ds_load_b128 v[16:19], v2 offset:1376
	v_fmac_f64_e32 v[28:29], v[22:23], v[132:133]
	v_fma_f64 v[20:21], v[20:21], v[132:133], -v[30:31]
	s_wait_loadcnt_dscnt 0x501
	v_mul_f64_e32 v[26:27], v[4:5], v[142:143]
	v_mul_f64_e32 v[128:129], v[6:7], v[142:143]
	s_wait_loadcnt_dscnt 0x300
	v_mul_f64_e32 v[30:31], v[16:17], v[154:155]
	v_add_f64_e32 v[22:23], v[126:127], v[124:125]
	v_add_f64_e32 v[24:25], v[24:25], v[148:149]
	v_mul_f64_e32 v[124:125], v[18:19], v[154:155]
	v_fmac_f64_e32 v[26:27], v[6:7], v[140:141]
	v_fma_f64 v[126:127], v[4:5], v[140:141], -v[128:129]
	v_fmac_f64_e32 v[30:31], v[18:19], v[152:153]
	v_add_f64_e32 v[128:129], v[22:23], v[20:21]
	v_add_f64_e32 v[24:25], v[24:25], v[28:29]
	ds_load_b128 v[4:7], v2 offset:1392
	ds_load_b128 v[20:23], v2 offset:1408
	v_fma_f64 v[16:17], v[16:17], v[152:153], -v[124:125]
	s_wait_loadcnt_dscnt 0x201
	v_mul_f64_e32 v[28:29], v[4:5], v[138:139]
	v_mul_f64_e32 v[130:131], v[6:7], v[138:139]
	v_add_f64_e32 v[18:19], v[128:129], v[126:127]
	v_add_f64_e32 v[24:25], v[24:25], v[26:27]
	s_wait_loadcnt_dscnt 0x100
	v_mul_f64_e32 v[26:27], v[20:21], v[10:11]
	v_mul_f64_e32 v[10:11], v[22:23], v[10:11]
	v_fmac_f64_e32 v[28:29], v[6:7], v[136:137]
	v_fma_f64 v[124:125], v[4:5], v[136:137], -v[130:131]
	ds_load_b128 v[4:7], v2 offset:1424
	v_add_f64_e32 v[16:17], v[18:19], v[16:17]
	v_add_f64_e32 v[18:19], v[24:25], v[30:31]
	v_fmac_f64_e32 v[26:27], v[22:23], v[8:9]
	v_fma_f64 v[8:9], v[20:21], v[8:9], -v[10:11]
	s_wait_loadcnt_dscnt 0x0
	v_mul_f64_e32 v[24:25], v[4:5], v[14:15]
	v_mul_f64_e32 v[14:15], v[6:7], v[14:15]
	v_add_f64_e32 v[10:11], v[16:17], v[124:125]
	v_add_f64_e32 v[16:17], v[18:19], v[28:29]
	s_delay_alu instid0(VALU_DEP_4) | instskip(NEXT) | instid1(VALU_DEP_4)
	v_fmac_f64_e32 v[24:25], v[6:7], v[12:13]
	v_fma_f64 v[4:5], v[4:5], v[12:13], -v[14:15]
	s_delay_alu instid0(VALU_DEP_4) | instskip(NEXT) | instid1(VALU_DEP_4)
	v_add_f64_e32 v[6:7], v[10:11], v[8:9]
	v_add_f64_e32 v[8:9], v[16:17], v[26:27]
	s_delay_alu instid0(VALU_DEP_2) | instskip(NEXT) | instid1(VALU_DEP_2)
	v_add_f64_e32 v[4:5], v[6:7], v[4:5]
	v_add_f64_e32 v[6:7], v[8:9], v[24:25]
	s_delay_alu instid0(VALU_DEP_2) | instskip(NEXT) | instid1(VALU_DEP_2)
	v_add_f64_e64 v[4:5], v[144:145], -v[4:5]
	v_add_f64_e64 v[6:7], v[146:147], -v[6:7]
	scratch_store_b128 off, v[4:7], off offset:464
	s_wait_xcnt 0x0
	v_cmpx_lt_u32_e32 28, v1
	s_cbranch_execz .LBB44_227
; %bb.226:
	scratch_load_b128 v[6:9], off, s29
	v_dual_mov_b32 v3, v2 :: v_dual_mov_b32 v4, v2
	v_mov_b32_e32 v5, v2
	scratch_store_b128 off, v[2:5], off offset:448
	s_wait_loadcnt 0x0
	ds_store_b128 v122, v[6:9]
.LBB44_227:
	s_wait_xcnt 0x0
	s_or_b32 exec_lo, exec_lo, s2
	s_wait_storecnt_dscnt 0x0
	s_barrier_signal -1
	s_barrier_wait -1
	s_clause 0x9
	scratch_load_b128 v[4:7], off, off offset:464
	scratch_load_b128 v[8:11], off, off offset:480
	;; [unrolled: 1-line block ×10, first 2 shown]
	ds_load_b128 v[136:139], v2 offset:1184
	ds_load_b128 v[144:147], v2 offset:1200
	s_clause 0x2
	scratch_load_b128 v[140:143], off, off offset:624
	scratch_load_b128 v[148:151], off, off offset:448
	;; [unrolled: 1-line block ×3, first 2 shown]
	s_mov_b32 s2, exec_lo
	s_wait_loadcnt_dscnt 0xc01
	v_mul_f64_e32 v[156:157], v[138:139], v[6:7]
	v_mul_f64_e32 v[160:161], v[136:137], v[6:7]
	s_wait_loadcnt_dscnt 0xb00
	v_mul_f64_e32 v[162:163], v[144:145], v[10:11]
	v_mul_f64_e32 v[10:11], v[146:147], v[10:11]
	s_delay_alu instid0(VALU_DEP_4) | instskip(NEXT) | instid1(VALU_DEP_4)
	v_fma_f64 v[164:165], v[136:137], v[4:5], -v[156:157]
	v_fmac_f64_e32 v[160:161], v[138:139], v[4:5]
	ds_load_b128 v[4:7], v2 offset:1216
	ds_load_b128 v[136:139], v2 offset:1232
	scratch_load_b128 v[156:159], off, off offset:656
	v_fmac_f64_e32 v[162:163], v[146:147], v[8:9]
	v_fma_f64 v[144:145], v[144:145], v[8:9], -v[10:11]
	scratch_load_b128 v[8:11], off, off offset:672
	s_wait_loadcnt_dscnt 0xc01
	v_mul_f64_e32 v[166:167], v[4:5], v[14:15]
	v_mul_f64_e32 v[14:15], v[6:7], v[14:15]
	v_add_f64_e32 v[146:147], 0, v[164:165]
	v_add_f64_e32 v[160:161], 0, v[160:161]
	s_wait_loadcnt_dscnt 0xb00
	v_mul_f64_e32 v[164:165], v[136:137], v[18:19]
	v_mul_f64_e32 v[18:19], v[138:139], v[18:19]
	v_fmac_f64_e32 v[166:167], v[6:7], v[12:13]
	v_fma_f64 v[168:169], v[4:5], v[12:13], -v[14:15]
	ds_load_b128 v[4:7], v2 offset:1248
	ds_load_b128 v[12:15], v2 offset:1264
	v_add_f64_e32 v[170:171], v[146:147], v[144:145]
	v_add_f64_e32 v[160:161], v[160:161], v[162:163]
	scratch_load_b128 v[144:147], off, off offset:688
	v_fmac_f64_e32 v[164:165], v[138:139], v[16:17]
	v_fma_f64 v[136:137], v[136:137], v[16:17], -v[18:19]
	scratch_load_b128 v[16:19], off, off offset:704
	s_wait_loadcnt_dscnt 0xc01
	v_mul_f64_e32 v[162:163], v[4:5], v[22:23]
	v_mul_f64_e32 v[22:23], v[6:7], v[22:23]
	v_add_f64_e32 v[138:139], v[170:171], v[168:169]
	v_add_f64_e32 v[160:161], v[160:161], v[166:167]
	s_wait_loadcnt_dscnt 0xb00
	v_mul_f64_e32 v[166:167], v[12:13], v[26:27]
	v_mul_f64_e32 v[26:27], v[14:15], v[26:27]
	v_fmac_f64_e32 v[162:163], v[6:7], v[20:21]
	v_fma_f64 v[168:169], v[4:5], v[20:21], -v[22:23]
	ds_load_b128 v[4:7], v2 offset:1280
	ds_load_b128 v[20:23], v2 offset:1296
	v_add_f64_e32 v[136:137], v[138:139], v[136:137]
	v_add_f64_e32 v[138:139], v[160:161], v[164:165]
	s_wait_loadcnt_dscnt 0xa01
	v_mul_f64_e32 v[160:161], v[4:5], v[30:31]
	v_mul_f64_e32 v[30:31], v[6:7], v[30:31]
	v_fmac_f64_e32 v[166:167], v[14:15], v[24:25]
	v_fma_f64 v[12:13], v[12:13], v[24:25], -v[26:27]
	s_wait_loadcnt_dscnt 0x900
	v_mul_f64_e32 v[26:27], v[20:21], v[126:127]
	v_mul_f64_e32 v[126:127], v[22:23], v[126:127]
	v_add_f64_e32 v[14:15], v[136:137], v[168:169]
	v_add_f64_e32 v[24:25], v[138:139], v[162:163]
	v_fmac_f64_e32 v[160:161], v[6:7], v[28:29]
	v_fma_f64 v[28:29], v[4:5], v[28:29], -v[30:31]
	v_fmac_f64_e32 v[26:27], v[22:23], v[124:125]
	v_fma_f64 v[20:21], v[20:21], v[124:125], -v[126:127]
	v_add_f64_e32 v[30:31], v[14:15], v[12:13]
	v_add_f64_e32 v[24:25], v[24:25], v[166:167]
	ds_load_b128 v[4:7], v2 offset:1312
	ds_load_b128 v[12:15], v2 offset:1328
	s_wait_loadcnt_dscnt 0x801
	v_mul_f64_e32 v[136:137], v[4:5], v[130:131]
	v_mul_f64_e32 v[130:131], v[6:7], v[130:131]
	v_add_f64_e32 v[22:23], v[30:31], v[28:29]
	v_add_f64_e32 v[24:25], v[24:25], v[160:161]
	s_wait_loadcnt_dscnt 0x700
	v_mul_f64_e32 v[28:29], v[12:13], v[134:135]
	v_mul_f64_e32 v[30:31], v[14:15], v[134:135]
	v_fmac_f64_e32 v[136:137], v[6:7], v[128:129]
	v_fma_f64 v[124:125], v[4:5], v[128:129], -v[130:131]
	v_add_f64_e32 v[126:127], v[22:23], v[20:21]
	v_add_f64_e32 v[24:25], v[24:25], v[26:27]
	ds_load_b128 v[4:7], v2 offset:1344
	ds_load_b128 v[20:23], v2 offset:1360
	v_fmac_f64_e32 v[28:29], v[14:15], v[132:133]
	v_fma_f64 v[12:13], v[12:13], v[132:133], -v[30:31]
	s_wait_loadcnt_dscnt 0x601
	v_mul_f64_e32 v[26:27], v[4:5], v[142:143]
	v_mul_f64_e32 v[128:129], v[6:7], v[142:143]
	s_wait_loadcnt_dscnt 0x400
	v_mul_f64_e32 v[30:31], v[20:21], v[154:155]
	v_add_f64_e32 v[14:15], v[126:127], v[124:125]
	v_add_f64_e32 v[24:25], v[24:25], v[136:137]
	v_mul_f64_e32 v[124:125], v[22:23], v[154:155]
	v_fmac_f64_e32 v[26:27], v[6:7], v[140:141]
	v_fma_f64 v[126:127], v[4:5], v[140:141], -v[128:129]
	v_fmac_f64_e32 v[30:31], v[22:23], v[152:153]
	v_add_f64_e32 v[128:129], v[14:15], v[12:13]
	v_add_f64_e32 v[24:25], v[24:25], v[28:29]
	ds_load_b128 v[4:7], v2 offset:1376
	ds_load_b128 v[12:15], v2 offset:1392
	v_fma_f64 v[20:21], v[20:21], v[152:153], -v[124:125]
	s_wait_loadcnt_dscnt 0x301
	v_mul_f64_e32 v[28:29], v[4:5], v[158:159]
	v_mul_f64_e32 v[130:131], v[6:7], v[158:159]
	v_add_f64_e32 v[22:23], v[128:129], v[126:127]
	v_add_f64_e32 v[24:25], v[24:25], v[26:27]
	s_wait_loadcnt_dscnt 0x200
	v_mul_f64_e32 v[26:27], v[12:13], v[10:11]
	v_mul_f64_e32 v[10:11], v[14:15], v[10:11]
	v_fmac_f64_e32 v[28:29], v[6:7], v[156:157]
	v_fma_f64 v[124:125], v[4:5], v[156:157], -v[130:131]
	v_add_f64_e32 v[126:127], v[22:23], v[20:21]
	v_add_f64_e32 v[24:25], v[24:25], v[30:31]
	ds_load_b128 v[4:7], v2 offset:1408
	ds_load_b128 v[20:23], v2 offset:1424
	v_fmac_f64_e32 v[26:27], v[14:15], v[8:9]
	v_fma_f64 v[8:9], v[12:13], v[8:9], -v[10:11]
	s_wait_loadcnt_dscnt 0x101
	v_mul_f64_e32 v[2:3], v[4:5], v[146:147]
	v_mul_f64_e32 v[30:31], v[6:7], v[146:147]
	s_wait_loadcnt_dscnt 0x0
	v_mul_f64_e32 v[14:15], v[20:21], v[18:19]
	v_mul_f64_e32 v[18:19], v[22:23], v[18:19]
	v_add_f64_e32 v[10:11], v[126:127], v[124:125]
	v_add_f64_e32 v[12:13], v[24:25], v[28:29]
	v_fmac_f64_e32 v[2:3], v[6:7], v[144:145]
	v_fma_f64 v[4:5], v[4:5], v[144:145], -v[30:31]
	v_fmac_f64_e32 v[14:15], v[22:23], v[16:17]
	v_add_f64_e32 v[6:7], v[10:11], v[8:9]
	v_add_f64_e32 v[8:9], v[12:13], v[26:27]
	v_fma_f64 v[10:11], v[20:21], v[16:17], -v[18:19]
	s_delay_alu instid0(VALU_DEP_3) | instskip(NEXT) | instid1(VALU_DEP_3)
	v_add_f64_e32 v[4:5], v[6:7], v[4:5]
	v_add_f64_e32 v[2:3], v[8:9], v[2:3]
	s_delay_alu instid0(VALU_DEP_2) | instskip(NEXT) | instid1(VALU_DEP_2)
	v_add_f64_e32 v[4:5], v[4:5], v[10:11]
	v_add_f64_e32 v[6:7], v[2:3], v[14:15]
	s_delay_alu instid0(VALU_DEP_2) | instskip(NEXT) | instid1(VALU_DEP_2)
	v_add_f64_e64 v[2:3], v[148:149], -v[4:5]
	v_add_f64_e64 v[4:5], v[150:151], -v[6:7]
	scratch_store_b128 off, v[2:5], off offset:448
	s_wait_xcnt 0x0
	v_cmpx_lt_u32_e32 27, v1
	s_cbranch_execz .LBB44_229
; %bb.228:
	scratch_load_b128 v[2:5], off, s28
	v_mov_b32_e32 v6, 0
	s_delay_alu instid0(VALU_DEP_1)
	v_dual_mov_b32 v7, v6 :: v_dual_mov_b32 v8, v6
	v_mov_b32_e32 v9, v6
	scratch_store_b128 off, v[6:9], off offset:432
	s_wait_loadcnt 0x0
	ds_store_b128 v122, v[2:5]
.LBB44_229:
	s_wait_xcnt 0x0
	s_or_b32 exec_lo, exec_lo, s2
	s_wait_storecnt_dscnt 0x0
	s_barrier_signal -1
	s_barrier_wait -1
	s_clause 0x9
	scratch_load_b128 v[4:7], off, off offset:448
	scratch_load_b128 v[8:11], off, off offset:464
	;; [unrolled: 1-line block ×10, first 2 shown]
	v_mov_b32_e32 v2, 0
	s_mov_b32 s2, exec_lo
	ds_load_b128 v[136:139], v2 offset:1168
	s_clause 0x2
	scratch_load_b128 v[140:143], off, off offset:608
	scratch_load_b128 v[144:147], off, off offset:432
	;; [unrolled: 1-line block ×3, first 2 shown]
	s_wait_loadcnt_dscnt 0xc00
	v_mul_f64_e32 v[156:157], v[138:139], v[6:7]
	v_mul_f64_e32 v[160:161], v[136:137], v[6:7]
	ds_load_b128 v[148:151], v2 offset:1184
	v_fma_f64 v[164:165], v[136:137], v[4:5], -v[156:157]
	v_fmac_f64_e32 v[160:161], v[138:139], v[4:5]
	ds_load_b128 v[4:7], v2 offset:1200
	s_wait_loadcnt_dscnt 0xb01
	v_mul_f64_e32 v[162:163], v[148:149], v[10:11]
	v_mul_f64_e32 v[10:11], v[150:151], v[10:11]
	scratch_load_b128 v[136:139], off, off offset:640
	ds_load_b128 v[156:159], v2 offset:1216
	s_wait_loadcnt_dscnt 0xb01
	v_mul_f64_e32 v[166:167], v[4:5], v[14:15]
	v_mul_f64_e32 v[14:15], v[6:7], v[14:15]
	v_add_f64_e32 v[160:161], 0, v[160:161]
	v_fmac_f64_e32 v[162:163], v[150:151], v[8:9]
	v_fma_f64 v[148:149], v[148:149], v[8:9], -v[10:11]
	v_add_f64_e32 v[150:151], 0, v[164:165]
	scratch_load_b128 v[8:11], off, off offset:656
	v_fmac_f64_e32 v[166:167], v[6:7], v[12:13]
	v_fma_f64 v[168:169], v[4:5], v[12:13], -v[14:15]
	ds_load_b128 v[4:7], v2 offset:1232
	s_wait_loadcnt_dscnt 0xb01
	v_mul_f64_e32 v[164:165], v[156:157], v[18:19]
	v_mul_f64_e32 v[18:19], v[158:159], v[18:19]
	scratch_load_b128 v[12:15], off, off offset:672
	v_add_f64_e32 v[160:161], v[160:161], v[162:163]
	v_add_f64_e32 v[170:171], v[150:151], v[148:149]
	ds_load_b128 v[148:151], v2 offset:1248
	s_wait_loadcnt_dscnt 0xb01
	v_mul_f64_e32 v[162:163], v[4:5], v[22:23]
	v_mul_f64_e32 v[22:23], v[6:7], v[22:23]
	v_fmac_f64_e32 v[164:165], v[158:159], v[16:17]
	v_fma_f64 v[156:157], v[156:157], v[16:17], -v[18:19]
	scratch_load_b128 v[16:19], off, off offset:688
	v_add_f64_e32 v[160:161], v[160:161], v[166:167]
	v_add_f64_e32 v[158:159], v[170:171], v[168:169]
	v_fmac_f64_e32 v[162:163], v[6:7], v[20:21]
	v_fma_f64 v[168:169], v[4:5], v[20:21], -v[22:23]
	ds_load_b128 v[4:7], v2 offset:1264
	s_wait_loadcnt_dscnt 0xb01
	v_mul_f64_e32 v[166:167], v[148:149], v[26:27]
	v_mul_f64_e32 v[26:27], v[150:151], v[26:27]
	scratch_load_b128 v[20:23], off, off offset:704
	v_add_f64_e32 v[160:161], v[160:161], v[164:165]
	s_wait_loadcnt_dscnt 0xb00
	v_mul_f64_e32 v[164:165], v[4:5], v[30:31]
	v_add_f64_e32 v[170:171], v[158:159], v[156:157]
	v_mul_f64_e32 v[30:31], v[6:7], v[30:31]
	ds_load_b128 v[156:159], v2 offset:1280
	v_fmac_f64_e32 v[166:167], v[150:151], v[24:25]
	v_fma_f64 v[24:25], v[148:149], v[24:25], -v[26:27]
	s_wait_loadcnt_dscnt 0xa00
	v_mul_f64_e32 v[150:151], v[156:157], v[126:127]
	v_mul_f64_e32 v[126:127], v[158:159], v[126:127]
	v_add_f64_e32 v[148:149], v[160:161], v[162:163]
	v_fmac_f64_e32 v[164:165], v[6:7], v[28:29]
	v_add_f64_e32 v[26:27], v[170:171], v[168:169]
	v_fma_f64 v[28:29], v[4:5], v[28:29], -v[30:31]
	v_fmac_f64_e32 v[150:151], v[158:159], v[124:125]
	v_fma_f64 v[124:125], v[156:157], v[124:125], -v[126:127]
	v_add_f64_e32 v[148:149], v[148:149], v[166:167]
	v_add_f64_e32 v[30:31], v[26:27], v[24:25]
	ds_load_b128 v[4:7], v2 offset:1296
	ds_load_b128 v[24:27], v2 offset:1312
	s_wait_loadcnt_dscnt 0x901
	v_mul_f64_e32 v[160:161], v[4:5], v[130:131]
	v_mul_f64_e32 v[130:131], v[6:7], v[130:131]
	s_wait_loadcnt_dscnt 0x800
	v_mul_f64_e32 v[126:127], v[24:25], v[134:135]
	v_mul_f64_e32 v[134:135], v[26:27], v[134:135]
	v_add_f64_e32 v[28:29], v[30:31], v[28:29]
	v_add_f64_e32 v[30:31], v[148:149], v[164:165]
	v_fmac_f64_e32 v[160:161], v[6:7], v[128:129]
	v_fma_f64 v[128:129], v[4:5], v[128:129], -v[130:131]
	v_fmac_f64_e32 v[126:127], v[26:27], v[132:133]
	v_fma_f64 v[24:25], v[24:25], v[132:133], -v[134:135]
	v_add_f64_e32 v[124:125], v[28:29], v[124:125]
	v_add_f64_e32 v[130:131], v[30:31], v[150:151]
	ds_load_b128 v[4:7], v2 offset:1328
	ds_load_b128 v[28:31], v2 offset:1344
	s_wait_loadcnt_dscnt 0x701
	v_mul_f64_e32 v[148:149], v[4:5], v[142:143]
	v_mul_f64_e32 v[142:143], v[6:7], v[142:143]
	v_add_f64_e32 v[26:27], v[124:125], v[128:129]
	v_add_f64_e32 v[124:125], v[130:131], v[160:161]
	s_wait_loadcnt_dscnt 0x500
	v_mul_f64_e32 v[128:129], v[28:29], v[154:155]
	v_mul_f64_e32 v[130:131], v[30:31], v[154:155]
	v_fmac_f64_e32 v[148:149], v[6:7], v[140:141]
	v_fma_f64 v[132:133], v[4:5], v[140:141], -v[142:143]
	v_add_f64_e32 v[134:135], v[26:27], v[24:25]
	v_add_f64_e32 v[124:125], v[124:125], v[126:127]
	ds_load_b128 v[4:7], v2 offset:1360
	ds_load_b128 v[24:27], v2 offset:1376
	v_fmac_f64_e32 v[128:129], v[30:31], v[152:153]
	v_fma_f64 v[28:29], v[28:29], v[152:153], -v[130:131]
	s_wait_loadcnt_dscnt 0x401
	v_mul_f64_e32 v[126:127], v[4:5], v[138:139]
	v_mul_f64_e32 v[138:139], v[6:7], v[138:139]
	v_add_f64_e32 v[30:31], v[134:135], v[132:133]
	v_add_f64_e32 v[124:125], v[124:125], v[148:149]
	s_wait_loadcnt_dscnt 0x300
	v_mul_f64_e32 v[130:131], v[24:25], v[10:11]
	v_mul_f64_e32 v[10:11], v[26:27], v[10:11]
	v_fmac_f64_e32 v[126:127], v[6:7], v[136:137]
	v_fma_f64 v[132:133], v[4:5], v[136:137], -v[138:139]
	v_add_f64_e32 v[134:135], v[30:31], v[28:29]
	v_add_f64_e32 v[124:125], v[124:125], v[128:129]
	ds_load_b128 v[4:7], v2 offset:1392
	ds_load_b128 v[28:31], v2 offset:1408
	v_fmac_f64_e32 v[130:131], v[26:27], v[8:9]
	v_fma_f64 v[8:9], v[24:25], v[8:9], -v[10:11]
	s_wait_loadcnt_dscnt 0x201
	v_mul_f64_e32 v[128:129], v[4:5], v[14:15]
	v_mul_f64_e32 v[14:15], v[6:7], v[14:15]
	s_wait_loadcnt_dscnt 0x100
	v_mul_f64_e32 v[26:27], v[28:29], v[18:19]
	v_mul_f64_e32 v[18:19], v[30:31], v[18:19]
	v_add_f64_e32 v[10:11], v[134:135], v[132:133]
	v_add_f64_e32 v[24:25], v[124:125], v[126:127]
	v_fmac_f64_e32 v[128:129], v[6:7], v[12:13]
	v_fma_f64 v[12:13], v[4:5], v[12:13], -v[14:15]
	ds_load_b128 v[4:7], v2 offset:1424
	v_fmac_f64_e32 v[26:27], v[30:31], v[16:17]
	v_fma_f64 v[16:17], v[28:29], v[16:17], -v[18:19]
	v_add_f64_e32 v[8:9], v[10:11], v[8:9]
	v_add_f64_e32 v[10:11], v[24:25], v[130:131]
	s_wait_loadcnt_dscnt 0x0
	v_mul_f64_e32 v[14:15], v[4:5], v[22:23]
	v_mul_f64_e32 v[22:23], v[6:7], v[22:23]
	s_delay_alu instid0(VALU_DEP_4) | instskip(NEXT) | instid1(VALU_DEP_4)
	v_add_f64_e32 v[8:9], v[8:9], v[12:13]
	v_add_f64_e32 v[10:11], v[10:11], v[128:129]
	s_delay_alu instid0(VALU_DEP_4) | instskip(NEXT) | instid1(VALU_DEP_4)
	v_fmac_f64_e32 v[14:15], v[6:7], v[20:21]
	v_fma_f64 v[4:5], v[4:5], v[20:21], -v[22:23]
	s_delay_alu instid0(VALU_DEP_4) | instskip(NEXT) | instid1(VALU_DEP_4)
	v_add_f64_e32 v[6:7], v[8:9], v[16:17]
	v_add_f64_e32 v[8:9], v[10:11], v[26:27]
	s_delay_alu instid0(VALU_DEP_2) | instskip(NEXT) | instid1(VALU_DEP_2)
	v_add_f64_e32 v[4:5], v[6:7], v[4:5]
	v_add_f64_e32 v[6:7], v[8:9], v[14:15]
	s_delay_alu instid0(VALU_DEP_2) | instskip(NEXT) | instid1(VALU_DEP_2)
	v_add_f64_e64 v[4:5], v[144:145], -v[4:5]
	v_add_f64_e64 v[6:7], v[146:147], -v[6:7]
	scratch_store_b128 off, v[4:7], off offset:432
	s_wait_xcnt 0x0
	v_cmpx_lt_u32_e32 26, v1
	s_cbranch_execz .LBB44_231
; %bb.230:
	scratch_load_b128 v[6:9], off, s31
	v_dual_mov_b32 v3, v2 :: v_dual_mov_b32 v4, v2
	v_mov_b32_e32 v5, v2
	scratch_store_b128 off, v[2:5], off offset:416
	s_wait_loadcnt 0x0
	ds_store_b128 v122, v[6:9]
.LBB44_231:
	s_wait_xcnt 0x0
	s_or_b32 exec_lo, exec_lo, s2
	s_wait_storecnt_dscnt 0x0
	s_barrier_signal -1
	s_barrier_wait -1
	s_clause 0x9
	scratch_load_b128 v[4:7], off, off offset:432
	scratch_load_b128 v[8:11], off, off offset:448
	;; [unrolled: 1-line block ×10, first 2 shown]
	ds_load_b128 v[136:139], v2 offset:1152
	ds_load_b128 v[144:147], v2 offset:1168
	s_clause 0x2
	scratch_load_b128 v[140:143], off, off offset:592
	scratch_load_b128 v[148:151], off, off offset:416
	scratch_load_b128 v[152:155], off, off offset:608
	s_mov_b32 s2, exec_lo
	s_wait_loadcnt_dscnt 0xc01
	v_mul_f64_e32 v[156:157], v[138:139], v[6:7]
	v_mul_f64_e32 v[160:161], v[136:137], v[6:7]
	s_wait_loadcnt_dscnt 0xb00
	v_mul_f64_e32 v[162:163], v[144:145], v[10:11]
	v_mul_f64_e32 v[10:11], v[146:147], v[10:11]
	s_delay_alu instid0(VALU_DEP_4) | instskip(NEXT) | instid1(VALU_DEP_4)
	v_fma_f64 v[164:165], v[136:137], v[4:5], -v[156:157]
	v_fmac_f64_e32 v[160:161], v[138:139], v[4:5]
	ds_load_b128 v[4:7], v2 offset:1184
	ds_load_b128 v[136:139], v2 offset:1200
	scratch_load_b128 v[156:159], off, off offset:624
	v_fmac_f64_e32 v[162:163], v[146:147], v[8:9]
	v_fma_f64 v[144:145], v[144:145], v[8:9], -v[10:11]
	scratch_load_b128 v[8:11], off, off offset:640
	s_wait_loadcnt_dscnt 0xc01
	v_mul_f64_e32 v[166:167], v[4:5], v[14:15]
	v_mul_f64_e32 v[14:15], v[6:7], v[14:15]
	v_add_f64_e32 v[146:147], 0, v[164:165]
	v_add_f64_e32 v[160:161], 0, v[160:161]
	s_wait_loadcnt_dscnt 0xb00
	v_mul_f64_e32 v[164:165], v[136:137], v[18:19]
	v_mul_f64_e32 v[18:19], v[138:139], v[18:19]
	v_fmac_f64_e32 v[166:167], v[6:7], v[12:13]
	v_fma_f64 v[168:169], v[4:5], v[12:13], -v[14:15]
	ds_load_b128 v[4:7], v2 offset:1216
	ds_load_b128 v[12:15], v2 offset:1232
	v_add_f64_e32 v[170:171], v[146:147], v[144:145]
	v_add_f64_e32 v[160:161], v[160:161], v[162:163]
	scratch_load_b128 v[144:147], off, off offset:656
	v_fmac_f64_e32 v[164:165], v[138:139], v[16:17]
	v_fma_f64 v[136:137], v[136:137], v[16:17], -v[18:19]
	scratch_load_b128 v[16:19], off, off offset:672
	s_wait_loadcnt_dscnt 0xc01
	v_mul_f64_e32 v[162:163], v[4:5], v[22:23]
	v_mul_f64_e32 v[22:23], v[6:7], v[22:23]
	v_add_f64_e32 v[138:139], v[170:171], v[168:169]
	v_add_f64_e32 v[160:161], v[160:161], v[166:167]
	s_wait_loadcnt_dscnt 0xb00
	v_mul_f64_e32 v[166:167], v[12:13], v[26:27]
	v_mul_f64_e32 v[26:27], v[14:15], v[26:27]
	v_fmac_f64_e32 v[162:163], v[6:7], v[20:21]
	v_fma_f64 v[168:169], v[4:5], v[20:21], -v[22:23]
	ds_load_b128 v[4:7], v2 offset:1248
	ds_load_b128 v[20:23], v2 offset:1264
	v_add_f64_e32 v[170:171], v[138:139], v[136:137]
	v_add_f64_e32 v[160:161], v[160:161], v[164:165]
	scratch_load_b128 v[136:139], off, off offset:688
	s_wait_loadcnt_dscnt 0xb01
	v_mul_f64_e32 v[164:165], v[4:5], v[30:31]
	v_mul_f64_e32 v[30:31], v[6:7], v[30:31]
	v_fmac_f64_e32 v[166:167], v[14:15], v[24:25]
	v_fma_f64 v[24:25], v[12:13], v[24:25], -v[26:27]
	scratch_load_b128 v[12:15], off, off offset:704
	v_add_f64_e32 v[26:27], v[170:171], v[168:169]
	v_add_f64_e32 v[160:161], v[160:161], v[162:163]
	s_wait_loadcnt_dscnt 0xb00
	v_mul_f64_e32 v[162:163], v[20:21], v[126:127]
	v_mul_f64_e32 v[126:127], v[22:23], v[126:127]
	v_fmac_f64_e32 v[164:165], v[6:7], v[28:29]
	v_fma_f64 v[28:29], v[4:5], v[28:29], -v[30:31]
	v_add_f64_e32 v[30:31], v[26:27], v[24:25]
	v_add_f64_e32 v[160:161], v[160:161], v[166:167]
	ds_load_b128 v[4:7], v2 offset:1280
	ds_load_b128 v[24:27], v2 offset:1296
	v_fmac_f64_e32 v[162:163], v[22:23], v[124:125]
	v_fma_f64 v[20:21], v[20:21], v[124:125], -v[126:127]
	s_wait_loadcnt_dscnt 0xa01
	v_mul_f64_e32 v[166:167], v[4:5], v[130:131]
	v_mul_f64_e32 v[130:131], v[6:7], v[130:131]
	s_wait_loadcnt_dscnt 0x900
	v_mul_f64_e32 v[124:125], v[26:27], v[134:135]
	v_add_f64_e32 v[22:23], v[30:31], v[28:29]
	v_add_f64_e32 v[28:29], v[160:161], v[164:165]
	v_mul_f64_e32 v[30:31], v[24:25], v[134:135]
	v_fmac_f64_e32 v[166:167], v[6:7], v[128:129]
	v_fma_f64 v[126:127], v[4:5], v[128:129], -v[130:131]
	v_fma_f64 v[24:25], v[24:25], v[132:133], -v[124:125]
	v_add_f64_e32 v[128:129], v[22:23], v[20:21]
	v_add_f64_e32 v[28:29], v[28:29], v[162:163]
	ds_load_b128 v[4:7], v2 offset:1312
	ds_load_b128 v[20:23], v2 offset:1328
	v_fmac_f64_e32 v[30:31], v[26:27], v[132:133]
	s_wait_loadcnt_dscnt 0x801
	v_mul_f64_e32 v[130:131], v[4:5], v[142:143]
	v_mul_f64_e32 v[134:135], v[6:7], v[142:143]
	s_wait_loadcnt_dscnt 0x600
	v_mul_f64_e32 v[124:125], v[20:21], v[154:155]
	v_add_f64_e32 v[26:27], v[128:129], v[126:127]
	v_add_f64_e32 v[28:29], v[28:29], v[166:167]
	v_mul_f64_e32 v[126:127], v[22:23], v[154:155]
	v_fmac_f64_e32 v[130:131], v[6:7], v[140:141]
	v_fma_f64 v[128:129], v[4:5], v[140:141], -v[134:135]
	v_fmac_f64_e32 v[124:125], v[22:23], v[152:153]
	v_add_f64_e32 v[132:133], v[26:27], v[24:25]
	v_add_f64_e32 v[28:29], v[28:29], v[30:31]
	ds_load_b128 v[4:7], v2 offset:1344
	ds_load_b128 v[24:27], v2 offset:1360
	v_fma_f64 v[20:21], v[20:21], v[152:153], -v[126:127]
	s_wait_loadcnt_dscnt 0x501
	v_mul_f64_e32 v[30:31], v[4:5], v[158:159]
	v_mul_f64_e32 v[134:135], v[6:7], v[158:159]
	s_wait_loadcnt_dscnt 0x400
	v_mul_f64_e32 v[126:127], v[24:25], v[10:11]
	v_mul_f64_e32 v[10:11], v[26:27], v[10:11]
	v_add_f64_e32 v[22:23], v[132:133], v[128:129]
	v_add_f64_e32 v[28:29], v[28:29], v[130:131]
	v_fmac_f64_e32 v[30:31], v[6:7], v[156:157]
	v_fma_f64 v[128:129], v[4:5], v[156:157], -v[134:135]
	v_fmac_f64_e32 v[126:127], v[26:27], v[8:9]
	v_fma_f64 v[8:9], v[24:25], v[8:9], -v[10:11]
	v_add_f64_e32 v[130:131], v[22:23], v[20:21]
	v_add_f64_e32 v[28:29], v[28:29], v[124:125]
	ds_load_b128 v[4:7], v2 offset:1376
	ds_load_b128 v[20:23], v2 offset:1392
	s_wait_loadcnt_dscnt 0x301
	v_mul_f64_e32 v[124:125], v[4:5], v[146:147]
	v_mul_f64_e32 v[132:133], v[6:7], v[146:147]
	s_wait_loadcnt_dscnt 0x200
	v_mul_f64_e32 v[26:27], v[20:21], v[18:19]
	v_mul_f64_e32 v[18:19], v[22:23], v[18:19]
	v_add_f64_e32 v[10:11], v[130:131], v[128:129]
	v_add_f64_e32 v[24:25], v[28:29], v[30:31]
	v_fmac_f64_e32 v[124:125], v[6:7], v[144:145]
	v_fma_f64 v[28:29], v[4:5], v[144:145], -v[132:133]
	v_fmac_f64_e32 v[26:27], v[22:23], v[16:17]
	v_fma_f64 v[16:17], v[20:21], v[16:17], -v[18:19]
	v_add_f64_e32 v[30:31], v[10:11], v[8:9]
	v_add_f64_e32 v[24:25], v[24:25], v[126:127]
	ds_load_b128 v[4:7], v2 offset:1408
	ds_load_b128 v[8:11], v2 offset:1424
	s_wait_loadcnt_dscnt 0x101
	v_mul_f64_e32 v[2:3], v[4:5], v[138:139]
	v_mul_f64_e32 v[126:127], v[6:7], v[138:139]
	s_wait_loadcnt_dscnt 0x0
	v_mul_f64_e32 v[22:23], v[8:9], v[14:15]
	v_mul_f64_e32 v[14:15], v[10:11], v[14:15]
	v_add_f64_e32 v[18:19], v[30:31], v[28:29]
	v_add_f64_e32 v[20:21], v[24:25], v[124:125]
	v_fmac_f64_e32 v[2:3], v[6:7], v[136:137]
	v_fma_f64 v[4:5], v[4:5], v[136:137], -v[126:127]
	v_fmac_f64_e32 v[22:23], v[10:11], v[12:13]
	v_fma_f64 v[8:9], v[8:9], v[12:13], -v[14:15]
	v_add_f64_e32 v[6:7], v[18:19], v[16:17]
	v_add_f64_e32 v[16:17], v[20:21], v[26:27]
	s_delay_alu instid0(VALU_DEP_2) | instskip(NEXT) | instid1(VALU_DEP_2)
	v_add_f64_e32 v[4:5], v[6:7], v[4:5]
	v_add_f64_e32 v[2:3], v[16:17], v[2:3]
	s_delay_alu instid0(VALU_DEP_2) | instskip(NEXT) | instid1(VALU_DEP_2)
	;; [unrolled: 3-line block ×3, first 2 shown]
	v_add_f64_e64 v[2:3], v[148:149], -v[4:5]
	v_add_f64_e64 v[4:5], v[150:151], -v[6:7]
	scratch_store_b128 off, v[2:5], off offset:416
	s_wait_xcnt 0x0
	v_cmpx_lt_u32_e32 25, v1
	s_cbranch_execz .LBB44_233
; %bb.232:
	scratch_load_b128 v[2:5], off, s30
	v_mov_b32_e32 v6, 0
	s_delay_alu instid0(VALU_DEP_1)
	v_dual_mov_b32 v7, v6 :: v_dual_mov_b32 v8, v6
	v_mov_b32_e32 v9, v6
	scratch_store_b128 off, v[6:9], off offset:400
	s_wait_loadcnt 0x0
	ds_store_b128 v122, v[2:5]
.LBB44_233:
	s_wait_xcnt 0x0
	s_or_b32 exec_lo, exec_lo, s2
	s_wait_storecnt_dscnt 0x0
	s_barrier_signal -1
	s_barrier_wait -1
	s_clause 0x9
	scratch_load_b128 v[4:7], off, off offset:416
	scratch_load_b128 v[8:11], off, off offset:432
	scratch_load_b128 v[12:15], off, off offset:448
	scratch_load_b128 v[16:19], off, off offset:464
	scratch_load_b128 v[20:23], off, off offset:480
	scratch_load_b128 v[24:27], off, off offset:496
	scratch_load_b128 v[28:31], off, off offset:512
	scratch_load_b128 v[124:127], off, off offset:528
	scratch_load_b128 v[128:131], off, off offset:544
	scratch_load_b128 v[132:135], off, off offset:560
	v_mov_b32_e32 v2, 0
	s_mov_b32 s2, exec_lo
	ds_load_b128 v[136:139], v2 offset:1136
	s_clause 0x2
	scratch_load_b128 v[140:143], off, off offset:576
	scratch_load_b128 v[144:147], off, off offset:400
	;; [unrolled: 1-line block ×3, first 2 shown]
	s_wait_loadcnt_dscnt 0xc00
	v_mul_f64_e32 v[156:157], v[138:139], v[6:7]
	v_mul_f64_e32 v[160:161], v[136:137], v[6:7]
	ds_load_b128 v[148:151], v2 offset:1152
	v_fma_f64 v[164:165], v[136:137], v[4:5], -v[156:157]
	v_fmac_f64_e32 v[160:161], v[138:139], v[4:5]
	ds_load_b128 v[4:7], v2 offset:1168
	s_wait_loadcnt_dscnt 0xb01
	v_mul_f64_e32 v[162:163], v[148:149], v[10:11]
	v_mul_f64_e32 v[10:11], v[150:151], v[10:11]
	scratch_load_b128 v[136:139], off, off offset:608
	ds_load_b128 v[156:159], v2 offset:1184
	s_wait_loadcnt_dscnt 0xb01
	v_mul_f64_e32 v[166:167], v[4:5], v[14:15]
	v_mul_f64_e32 v[14:15], v[6:7], v[14:15]
	v_add_f64_e32 v[160:161], 0, v[160:161]
	v_fmac_f64_e32 v[162:163], v[150:151], v[8:9]
	v_fma_f64 v[148:149], v[148:149], v[8:9], -v[10:11]
	v_add_f64_e32 v[150:151], 0, v[164:165]
	scratch_load_b128 v[8:11], off, off offset:624
	v_fmac_f64_e32 v[166:167], v[6:7], v[12:13]
	v_fma_f64 v[168:169], v[4:5], v[12:13], -v[14:15]
	ds_load_b128 v[4:7], v2 offset:1200
	s_wait_loadcnt_dscnt 0xb01
	v_mul_f64_e32 v[164:165], v[156:157], v[18:19]
	v_mul_f64_e32 v[18:19], v[158:159], v[18:19]
	scratch_load_b128 v[12:15], off, off offset:640
	v_add_f64_e32 v[160:161], v[160:161], v[162:163]
	v_add_f64_e32 v[170:171], v[150:151], v[148:149]
	ds_load_b128 v[148:151], v2 offset:1216
	s_wait_loadcnt_dscnt 0xb01
	v_mul_f64_e32 v[162:163], v[4:5], v[22:23]
	v_mul_f64_e32 v[22:23], v[6:7], v[22:23]
	v_fmac_f64_e32 v[164:165], v[158:159], v[16:17]
	v_fma_f64 v[156:157], v[156:157], v[16:17], -v[18:19]
	scratch_load_b128 v[16:19], off, off offset:656
	v_add_f64_e32 v[160:161], v[160:161], v[166:167]
	v_add_f64_e32 v[158:159], v[170:171], v[168:169]
	v_fmac_f64_e32 v[162:163], v[6:7], v[20:21]
	v_fma_f64 v[168:169], v[4:5], v[20:21], -v[22:23]
	ds_load_b128 v[4:7], v2 offset:1232
	s_wait_loadcnt_dscnt 0xb01
	v_mul_f64_e32 v[166:167], v[148:149], v[26:27]
	v_mul_f64_e32 v[26:27], v[150:151], v[26:27]
	scratch_load_b128 v[20:23], off, off offset:672
	v_add_f64_e32 v[160:161], v[160:161], v[164:165]
	s_wait_loadcnt_dscnt 0xb00
	v_mul_f64_e32 v[164:165], v[4:5], v[30:31]
	v_add_f64_e32 v[170:171], v[158:159], v[156:157]
	v_mul_f64_e32 v[30:31], v[6:7], v[30:31]
	ds_load_b128 v[156:159], v2 offset:1248
	v_fmac_f64_e32 v[166:167], v[150:151], v[24:25]
	v_fma_f64 v[148:149], v[148:149], v[24:25], -v[26:27]
	scratch_load_b128 v[24:27], off, off offset:688
	v_add_f64_e32 v[160:161], v[160:161], v[162:163]
	v_fmac_f64_e32 v[164:165], v[6:7], v[28:29]
	v_add_f64_e32 v[150:151], v[170:171], v[168:169]
	v_fma_f64 v[168:169], v[4:5], v[28:29], -v[30:31]
	ds_load_b128 v[4:7], v2 offset:1264
	s_wait_loadcnt_dscnt 0xb01
	v_mul_f64_e32 v[162:163], v[156:157], v[126:127]
	v_mul_f64_e32 v[126:127], v[158:159], v[126:127]
	scratch_load_b128 v[28:31], off, off offset:704
	v_add_f64_e32 v[160:161], v[160:161], v[166:167]
	s_wait_loadcnt_dscnt 0xb00
	v_mul_f64_e32 v[166:167], v[4:5], v[130:131]
	v_add_f64_e32 v[170:171], v[150:151], v[148:149]
	v_mul_f64_e32 v[130:131], v[6:7], v[130:131]
	ds_load_b128 v[148:151], v2 offset:1280
	v_fmac_f64_e32 v[162:163], v[158:159], v[124:125]
	v_fma_f64 v[124:125], v[156:157], v[124:125], -v[126:127]
	s_wait_loadcnt_dscnt 0xa00
	v_mul_f64_e32 v[158:159], v[148:149], v[134:135]
	v_mul_f64_e32 v[134:135], v[150:151], v[134:135]
	v_add_f64_e32 v[156:157], v[160:161], v[164:165]
	v_fmac_f64_e32 v[166:167], v[6:7], v[128:129]
	v_add_f64_e32 v[126:127], v[170:171], v[168:169]
	v_fma_f64 v[128:129], v[4:5], v[128:129], -v[130:131]
	v_fmac_f64_e32 v[158:159], v[150:151], v[132:133]
	v_fma_f64 v[132:133], v[148:149], v[132:133], -v[134:135]
	v_add_f64_e32 v[156:157], v[156:157], v[162:163]
	v_add_f64_e32 v[130:131], v[126:127], v[124:125]
	ds_load_b128 v[4:7], v2 offset:1296
	ds_load_b128 v[124:127], v2 offset:1312
	s_wait_loadcnt_dscnt 0x901
	v_mul_f64_e32 v[160:161], v[4:5], v[142:143]
	v_mul_f64_e32 v[142:143], v[6:7], v[142:143]
	s_wait_loadcnt_dscnt 0x700
	v_mul_f64_e32 v[134:135], v[124:125], v[154:155]
	v_mul_f64_e32 v[148:149], v[126:127], v[154:155]
	v_add_f64_e32 v[128:129], v[130:131], v[128:129]
	v_add_f64_e32 v[130:131], v[156:157], v[166:167]
	v_fmac_f64_e32 v[160:161], v[6:7], v[140:141]
	v_fma_f64 v[140:141], v[4:5], v[140:141], -v[142:143]
	v_fmac_f64_e32 v[134:135], v[126:127], v[152:153]
	v_fma_f64 v[124:125], v[124:125], v[152:153], -v[148:149]
	v_add_f64_e32 v[132:133], v[128:129], v[132:133]
	v_add_f64_e32 v[142:143], v[130:131], v[158:159]
	ds_load_b128 v[4:7], v2 offset:1328
	ds_load_b128 v[128:131], v2 offset:1344
	s_wait_loadcnt_dscnt 0x601
	v_mul_f64_e32 v[150:151], v[4:5], v[138:139]
	v_mul_f64_e32 v[138:139], v[6:7], v[138:139]
	v_add_f64_e32 v[126:127], v[132:133], v[140:141]
	v_add_f64_e32 v[132:133], v[142:143], v[160:161]
	s_wait_loadcnt_dscnt 0x500
	v_mul_f64_e32 v[140:141], v[128:129], v[10:11]
	v_mul_f64_e32 v[10:11], v[130:131], v[10:11]
	v_fmac_f64_e32 v[150:151], v[6:7], v[136:137]
	v_fma_f64 v[136:137], v[4:5], v[136:137], -v[138:139]
	v_add_f64_e32 v[138:139], v[126:127], v[124:125]
	v_add_f64_e32 v[132:133], v[132:133], v[134:135]
	ds_load_b128 v[4:7], v2 offset:1360
	ds_load_b128 v[124:127], v2 offset:1376
	v_fmac_f64_e32 v[140:141], v[130:131], v[8:9]
	v_fma_f64 v[8:9], v[128:129], v[8:9], -v[10:11]
	s_wait_loadcnt_dscnt 0x401
	v_mul_f64_e32 v[134:135], v[4:5], v[14:15]
	v_mul_f64_e32 v[14:15], v[6:7], v[14:15]
	s_wait_loadcnt_dscnt 0x300
	v_mul_f64_e32 v[130:131], v[124:125], v[18:19]
	v_mul_f64_e32 v[18:19], v[126:127], v[18:19]
	v_add_f64_e32 v[10:11], v[138:139], v[136:137]
	v_add_f64_e32 v[128:129], v[132:133], v[150:151]
	v_fmac_f64_e32 v[134:135], v[6:7], v[12:13]
	v_fma_f64 v[12:13], v[4:5], v[12:13], -v[14:15]
	v_fmac_f64_e32 v[130:131], v[126:127], v[16:17]
	v_fma_f64 v[16:17], v[124:125], v[16:17], -v[18:19]
	v_add_f64_e32 v[14:15], v[10:11], v[8:9]
	v_add_f64_e32 v[128:129], v[128:129], v[140:141]
	ds_load_b128 v[4:7], v2 offset:1392
	ds_load_b128 v[8:11], v2 offset:1408
	s_wait_loadcnt_dscnt 0x201
	v_mul_f64_e32 v[132:133], v[4:5], v[22:23]
	v_mul_f64_e32 v[22:23], v[6:7], v[22:23]
	s_wait_loadcnt_dscnt 0x100
	v_mul_f64_e32 v[18:19], v[8:9], v[26:27]
	v_mul_f64_e32 v[26:27], v[10:11], v[26:27]
	v_add_f64_e32 v[12:13], v[14:15], v[12:13]
	v_add_f64_e32 v[14:15], v[128:129], v[134:135]
	v_fmac_f64_e32 v[132:133], v[6:7], v[20:21]
	v_fma_f64 v[20:21], v[4:5], v[20:21], -v[22:23]
	ds_load_b128 v[4:7], v2 offset:1424
	v_fmac_f64_e32 v[18:19], v[10:11], v[24:25]
	v_fma_f64 v[8:9], v[8:9], v[24:25], -v[26:27]
	v_add_f64_e32 v[12:13], v[12:13], v[16:17]
	v_add_f64_e32 v[14:15], v[14:15], v[130:131]
	s_wait_loadcnt_dscnt 0x0
	v_mul_f64_e32 v[16:17], v[4:5], v[30:31]
	v_mul_f64_e32 v[22:23], v[6:7], v[30:31]
	s_delay_alu instid0(VALU_DEP_4) | instskip(NEXT) | instid1(VALU_DEP_4)
	v_add_f64_e32 v[10:11], v[12:13], v[20:21]
	v_add_f64_e32 v[12:13], v[14:15], v[132:133]
	s_delay_alu instid0(VALU_DEP_4) | instskip(NEXT) | instid1(VALU_DEP_4)
	v_fmac_f64_e32 v[16:17], v[6:7], v[28:29]
	v_fma_f64 v[4:5], v[4:5], v[28:29], -v[22:23]
	s_delay_alu instid0(VALU_DEP_4) | instskip(NEXT) | instid1(VALU_DEP_4)
	v_add_f64_e32 v[6:7], v[10:11], v[8:9]
	v_add_f64_e32 v[8:9], v[12:13], v[18:19]
	s_delay_alu instid0(VALU_DEP_2) | instskip(NEXT) | instid1(VALU_DEP_2)
	v_add_f64_e32 v[4:5], v[6:7], v[4:5]
	v_add_f64_e32 v[6:7], v[8:9], v[16:17]
	s_delay_alu instid0(VALU_DEP_2) | instskip(NEXT) | instid1(VALU_DEP_2)
	v_add_f64_e64 v[4:5], v[144:145], -v[4:5]
	v_add_f64_e64 v[6:7], v[146:147], -v[6:7]
	scratch_store_b128 off, v[4:7], off offset:400
	s_wait_xcnt 0x0
	v_cmpx_lt_u32_e32 24, v1
	s_cbranch_execz .LBB44_235
; %bb.234:
	scratch_load_b128 v[6:9], off, s34
	v_dual_mov_b32 v3, v2 :: v_dual_mov_b32 v4, v2
	v_mov_b32_e32 v5, v2
	scratch_store_b128 off, v[2:5], off offset:384
	s_wait_loadcnt 0x0
	ds_store_b128 v122, v[6:9]
.LBB44_235:
	s_wait_xcnt 0x0
	s_or_b32 exec_lo, exec_lo, s2
	s_wait_storecnt_dscnt 0x0
	s_barrier_signal -1
	s_barrier_wait -1
	s_clause 0x9
	scratch_load_b128 v[4:7], off, off offset:400
	scratch_load_b128 v[8:11], off, off offset:416
	;; [unrolled: 1-line block ×10, first 2 shown]
	ds_load_b128 v[136:139], v2 offset:1120
	ds_load_b128 v[144:147], v2 offset:1136
	s_clause 0x2
	scratch_load_b128 v[140:143], off, off offset:560
	scratch_load_b128 v[148:151], off, off offset:384
	scratch_load_b128 v[152:155], off, off offset:576
	s_mov_b32 s2, exec_lo
	s_wait_loadcnt_dscnt 0xc01
	v_mul_f64_e32 v[156:157], v[138:139], v[6:7]
	v_mul_f64_e32 v[160:161], v[136:137], v[6:7]
	s_wait_loadcnt_dscnt 0xb00
	v_mul_f64_e32 v[162:163], v[144:145], v[10:11]
	v_mul_f64_e32 v[10:11], v[146:147], v[10:11]
	s_delay_alu instid0(VALU_DEP_4) | instskip(NEXT) | instid1(VALU_DEP_4)
	v_fma_f64 v[164:165], v[136:137], v[4:5], -v[156:157]
	v_fmac_f64_e32 v[160:161], v[138:139], v[4:5]
	ds_load_b128 v[4:7], v2 offset:1152
	ds_load_b128 v[136:139], v2 offset:1168
	scratch_load_b128 v[156:159], off, off offset:592
	v_fmac_f64_e32 v[162:163], v[146:147], v[8:9]
	v_fma_f64 v[144:145], v[144:145], v[8:9], -v[10:11]
	scratch_load_b128 v[8:11], off, off offset:608
	s_wait_loadcnt_dscnt 0xc01
	v_mul_f64_e32 v[166:167], v[4:5], v[14:15]
	v_mul_f64_e32 v[14:15], v[6:7], v[14:15]
	v_add_f64_e32 v[146:147], 0, v[164:165]
	v_add_f64_e32 v[160:161], 0, v[160:161]
	s_wait_loadcnt_dscnt 0xb00
	v_mul_f64_e32 v[164:165], v[136:137], v[18:19]
	v_mul_f64_e32 v[18:19], v[138:139], v[18:19]
	v_fmac_f64_e32 v[166:167], v[6:7], v[12:13]
	v_fma_f64 v[168:169], v[4:5], v[12:13], -v[14:15]
	ds_load_b128 v[4:7], v2 offset:1184
	ds_load_b128 v[12:15], v2 offset:1200
	v_add_f64_e32 v[170:171], v[146:147], v[144:145]
	v_add_f64_e32 v[160:161], v[160:161], v[162:163]
	scratch_load_b128 v[144:147], off, off offset:624
	v_fmac_f64_e32 v[164:165], v[138:139], v[16:17]
	v_fma_f64 v[136:137], v[136:137], v[16:17], -v[18:19]
	scratch_load_b128 v[16:19], off, off offset:640
	s_wait_loadcnt_dscnt 0xc01
	v_mul_f64_e32 v[162:163], v[4:5], v[22:23]
	v_mul_f64_e32 v[22:23], v[6:7], v[22:23]
	v_add_f64_e32 v[138:139], v[170:171], v[168:169]
	v_add_f64_e32 v[160:161], v[160:161], v[166:167]
	s_wait_loadcnt_dscnt 0xb00
	v_mul_f64_e32 v[166:167], v[12:13], v[26:27]
	v_mul_f64_e32 v[26:27], v[14:15], v[26:27]
	v_fmac_f64_e32 v[162:163], v[6:7], v[20:21]
	v_fma_f64 v[168:169], v[4:5], v[20:21], -v[22:23]
	ds_load_b128 v[4:7], v2 offset:1216
	ds_load_b128 v[20:23], v2 offset:1232
	v_add_f64_e32 v[170:171], v[138:139], v[136:137]
	v_add_f64_e32 v[160:161], v[160:161], v[164:165]
	scratch_load_b128 v[136:139], off, off offset:656
	s_wait_loadcnt_dscnt 0xb01
	v_mul_f64_e32 v[164:165], v[4:5], v[30:31]
	v_mul_f64_e32 v[30:31], v[6:7], v[30:31]
	v_fmac_f64_e32 v[166:167], v[14:15], v[24:25]
	v_fma_f64 v[24:25], v[12:13], v[24:25], -v[26:27]
	scratch_load_b128 v[12:15], off, off offset:672
	v_add_f64_e32 v[26:27], v[170:171], v[168:169]
	v_add_f64_e32 v[160:161], v[160:161], v[162:163]
	s_wait_loadcnt_dscnt 0xb00
	v_mul_f64_e32 v[162:163], v[20:21], v[126:127]
	v_mul_f64_e32 v[126:127], v[22:23], v[126:127]
	v_fmac_f64_e32 v[164:165], v[6:7], v[28:29]
	v_fma_f64 v[168:169], v[4:5], v[28:29], -v[30:31]
	v_add_f64_e32 v[170:171], v[26:27], v[24:25]
	v_add_f64_e32 v[160:161], v[160:161], v[166:167]
	ds_load_b128 v[4:7], v2 offset:1248
	ds_load_b128 v[24:27], v2 offset:1264
	scratch_load_b128 v[28:31], off, off offset:688
	v_fmac_f64_e32 v[162:163], v[22:23], v[124:125]
	v_fma_f64 v[124:125], v[20:21], v[124:125], -v[126:127]
	scratch_load_b128 v[20:23], off, off offset:704
	s_wait_loadcnt_dscnt 0xc01
	v_mul_f64_e32 v[166:167], v[4:5], v[130:131]
	v_mul_f64_e32 v[130:131], v[6:7], v[130:131]
	v_add_f64_e32 v[126:127], v[170:171], v[168:169]
	v_add_f64_e32 v[160:161], v[160:161], v[164:165]
	s_wait_loadcnt_dscnt 0xb00
	v_mul_f64_e32 v[164:165], v[24:25], v[134:135]
	v_mul_f64_e32 v[134:135], v[26:27], v[134:135]
	v_fmac_f64_e32 v[166:167], v[6:7], v[128:129]
	v_fma_f64 v[128:129], v[4:5], v[128:129], -v[130:131]
	v_add_f64_e32 v[130:131], v[126:127], v[124:125]
	v_add_f64_e32 v[160:161], v[160:161], v[162:163]
	ds_load_b128 v[4:7], v2 offset:1280
	ds_load_b128 v[124:127], v2 offset:1296
	v_fmac_f64_e32 v[164:165], v[26:27], v[132:133]
	v_fma_f64 v[24:25], v[24:25], v[132:133], -v[134:135]
	s_wait_loadcnt_dscnt 0xa01
	v_mul_f64_e32 v[162:163], v[4:5], v[142:143]
	v_mul_f64_e32 v[142:143], v[6:7], v[142:143]
	s_wait_loadcnt_dscnt 0x800
	v_mul_f64_e32 v[132:133], v[126:127], v[154:155]
	v_add_f64_e32 v[26:27], v[130:131], v[128:129]
	v_add_f64_e32 v[128:129], v[160:161], v[166:167]
	v_mul_f64_e32 v[130:131], v[124:125], v[154:155]
	v_fmac_f64_e32 v[162:163], v[6:7], v[140:141]
	v_fma_f64 v[134:135], v[4:5], v[140:141], -v[142:143]
	v_fma_f64 v[124:125], v[124:125], v[152:153], -v[132:133]
	v_add_f64_e32 v[140:141], v[26:27], v[24:25]
	v_add_f64_e32 v[128:129], v[128:129], v[164:165]
	ds_load_b128 v[4:7], v2 offset:1312
	ds_load_b128 v[24:27], v2 offset:1328
	v_fmac_f64_e32 v[130:131], v[126:127], v[152:153]
	s_wait_loadcnt_dscnt 0x701
	v_mul_f64_e32 v[142:143], v[4:5], v[158:159]
	v_mul_f64_e32 v[154:155], v[6:7], v[158:159]
	s_wait_loadcnt_dscnt 0x600
	v_mul_f64_e32 v[132:133], v[24:25], v[10:11]
	v_mul_f64_e32 v[10:11], v[26:27], v[10:11]
	v_add_f64_e32 v[126:127], v[140:141], v[134:135]
	v_add_f64_e32 v[128:129], v[128:129], v[162:163]
	v_fmac_f64_e32 v[142:143], v[6:7], v[156:157]
	v_fma_f64 v[134:135], v[4:5], v[156:157], -v[154:155]
	v_fmac_f64_e32 v[132:133], v[26:27], v[8:9]
	v_fma_f64 v[8:9], v[24:25], v[8:9], -v[10:11]
	v_add_f64_e32 v[140:141], v[126:127], v[124:125]
	v_add_f64_e32 v[128:129], v[128:129], v[130:131]
	ds_load_b128 v[4:7], v2 offset:1344
	ds_load_b128 v[124:127], v2 offset:1360
	s_wait_loadcnt_dscnt 0x501
	v_mul_f64_e32 v[130:131], v[4:5], v[146:147]
	v_mul_f64_e32 v[146:147], v[6:7], v[146:147]
	s_wait_loadcnt_dscnt 0x400
	v_mul_f64_e32 v[26:27], v[124:125], v[18:19]
	v_mul_f64_e32 v[18:19], v[126:127], v[18:19]
	v_add_f64_e32 v[10:11], v[140:141], v[134:135]
	v_add_f64_e32 v[24:25], v[128:129], v[142:143]
	v_fmac_f64_e32 v[130:131], v[6:7], v[144:145]
	v_fma_f64 v[128:129], v[4:5], v[144:145], -v[146:147]
	v_fmac_f64_e32 v[26:27], v[126:127], v[16:17]
	v_fma_f64 v[16:17], v[124:125], v[16:17], -v[18:19]
	v_add_f64_e32 v[134:135], v[10:11], v[8:9]
	v_add_f64_e32 v[24:25], v[24:25], v[132:133]
	ds_load_b128 v[4:7], v2 offset:1376
	ds_load_b128 v[8:11], v2 offset:1392
	;; [unrolled: 16-line block ×3, first 2 shown]
	s_wait_loadcnt_dscnt 0x101
	v_mul_f64_e32 v[2:3], v[4:5], v[30:31]
	v_mul_f64_e32 v[26:27], v[6:7], v[30:31]
	v_add_f64_e32 v[10:11], v[18:19], v[128:129]
	v_add_f64_e32 v[12:13], v[24:25], v[132:133]
	s_wait_loadcnt_dscnt 0x0
	v_mul_f64_e32 v[18:19], v[14:15], v[22:23]
	v_mul_f64_e32 v[22:23], v[16:17], v[22:23]
	v_fmac_f64_e32 v[2:3], v[6:7], v[28:29]
	v_fma_f64 v[4:5], v[4:5], v[28:29], -v[26:27]
	v_add_f64_e32 v[6:7], v[10:11], v[8:9]
	v_add_f64_e32 v[8:9], v[12:13], v[124:125]
	v_fmac_f64_e32 v[18:19], v[16:17], v[20:21]
	v_fma_f64 v[10:11], v[14:15], v[20:21], -v[22:23]
	s_delay_alu instid0(VALU_DEP_4) | instskip(NEXT) | instid1(VALU_DEP_4)
	v_add_f64_e32 v[4:5], v[6:7], v[4:5]
	v_add_f64_e32 v[2:3], v[8:9], v[2:3]
	s_delay_alu instid0(VALU_DEP_2) | instskip(NEXT) | instid1(VALU_DEP_2)
	v_add_f64_e32 v[4:5], v[4:5], v[10:11]
	v_add_f64_e32 v[6:7], v[2:3], v[18:19]
	s_delay_alu instid0(VALU_DEP_2) | instskip(NEXT) | instid1(VALU_DEP_2)
	v_add_f64_e64 v[2:3], v[148:149], -v[4:5]
	v_add_f64_e64 v[4:5], v[150:151], -v[6:7]
	scratch_store_b128 off, v[2:5], off offset:384
	s_wait_xcnt 0x0
	v_cmpx_lt_u32_e32 23, v1
	s_cbranch_execz .LBB44_237
; %bb.236:
	scratch_load_b128 v[2:5], off, s33
	v_mov_b32_e32 v6, 0
	s_delay_alu instid0(VALU_DEP_1)
	v_dual_mov_b32 v7, v6 :: v_dual_mov_b32 v8, v6
	v_mov_b32_e32 v9, v6
	scratch_store_b128 off, v[6:9], off offset:368
	s_wait_loadcnt 0x0
	ds_store_b128 v122, v[2:5]
.LBB44_237:
	s_wait_xcnt 0x0
	s_or_b32 exec_lo, exec_lo, s2
	s_wait_storecnt_dscnt 0x0
	s_barrier_signal -1
	s_barrier_wait -1
	s_clause 0x9
	scratch_load_b128 v[4:7], off, off offset:384
	scratch_load_b128 v[8:11], off, off offset:400
	;; [unrolled: 1-line block ×10, first 2 shown]
	v_mov_b32_e32 v2, 0
	s_mov_b32 s2, exec_lo
	ds_load_b128 v[136:139], v2 offset:1104
	s_clause 0x2
	scratch_load_b128 v[140:143], off, off offset:544
	scratch_load_b128 v[144:147], off, off offset:368
	;; [unrolled: 1-line block ×3, first 2 shown]
	s_wait_loadcnt_dscnt 0xc00
	v_mul_f64_e32 v[156:157], v[138:139], v[6:7]
	v_mul_f64_e32 v[160:161], v[136:137], v[6:7]
	ds_load_b128 v[148:151], v2 offset:1120
	v_fma_f64 v[164:165], v[136:137], v[4:5], -v[156:157]
	v_fmac_f64_e32 v[160:161], v[138:139], v[4:5]
	ds_load_b128 v[4:7], v2 offset:1136
	s_wait_loadcnt_dscnt 0xb01
	v_mul_f64_e32 v[162:163], v[148:149], v[10:11]
	v_mul_f64_e32 v[10:11], v[150:151], v[10:11]
	scratch_load_b128 v[136:139], off, off offset:576
	ds_load_b128 v[156:159], v2 offset:1152
	s_wait_loadcnt_dscnt 0xb01
	v_mul_f64_e32 v[166:167], v[4:5], v[14:15]
	v_mul_f64_e32 v[14:15], v[6:7], v[14:15]
	v_add_f64_e32 v[160:161], 0, v[160:161]
	v_fmac_f64_e32 v[162:163], v[150:151], v[8:9]
	v_fma_f64 v[148:149], v[148:149], v[8:9], -v[10:11]
	v_add_f64_e32 v[150:151], 0, v[164:165]
	scratch_load_b128 v[8:11], off, off offset:592
	v_fmac_f64_e32 v[166:167], v[6:7], v[12:13]
	v_fma_f64 v[168:169], v[4:5], v[12:13], -v[14:15]
	ds_load_b128 v[4:7], v2 offset:1168
	s_wait_loadcnt_dscnt 0xb01
	v_mul_f64_e32 v[164:165], v[156:157], v[18:19]
	v_mul_f64_e32 v[18:19], v[158:159], v[18:19]
	scratch_load_b128 v[12:15], off, off offset:608
	v_add_f64_e32 v[160:161], v[160:161], v[162:163]
	v_add_f64_e32 v[170:171], v[150:151], v[148:149]
	ds_load_b128 v[148:151], v2 offset:1184
	s_wait_loadcnt_dscnt 0xb01
	v_mul_f64_e32 v[162:163], v[4:5], v[22:23]
	v_mul_f64_e32 v[22:23], v[6:7], v[22:23]
	v_fmac_f64_e32 v[164:165], v[158:159], v[16:17]
	v_fma_f64 v[156:157], v[156:157], v[16:17], -v[18:19]
	scratch_load_b128 v[16:19], off, off offset:624
	v_add_f64_e32 v[160:161], v[160:161], v[166:167]
	v_add_f64_e32 v[158:159], v[170:171], v[168:169]
	v_fmac_f64_e32 v[162:163], v[6:7], v[20:21]
	v_fma_f64 v[168:169], v[4:5], v[20:21], -v[22:23]
	ds_load_b128 v[4:7], v2 offset:1200
	s_wait_loadcnt_dscnt 0xb01
	v_mul_f64_e32 v[166:167], v[148:149], v[26:27]
	v_mul_f64_e32 v[26:27], v[150:151], v[26:27]
	scratch_load_b128 v[20:23], off, off offset:640
	v_add_f64_e32 v[160:161], v[160:161], v[164:165]
	s_wait_loadcnt_dscnt 0xb00
	v_mul_f64_e32 v[164:165], v[4:5], v[30:31]
	v_add_f64_e32 v[170:171], v[158:159], v[156:157]
	v_mul_f64_e32 v[30:31], v[6:7], v[30:31]
	ds_load_b128 v[156:159], v2 offset:1216
	v_fmac_f64_e32 v[166:167], v[150:151], v[24:25]
	v_fma_f64 v[148:149], v[148:149], v[24:25], -v[26:27]
	scratch_load_b128 v[24:27], off, off offset:656
	v_add_f64_e32 v[160:161], v[160:161], v[162:163]
	v_fmac_f64_e32 v[164:165], v[6:7], v[28:29]
	v_add_f64_e32 v[150:151], v[170:171], v[168:169]
	v_fma_f64 v[168:169], v[4:5], v[28:29], -v[30:31]
	ds_load_b128 v[4:7], v2 offset:1232
	s_wait_loadcnt_dscnt 0xb01
	v_mul_f64_e32 v[162:163], v[156:157], v[126:127]
	v_mul_f64_e32 v[126:127], v[158:159], v[126:127]
	scratch_load_b128 v[28:31], off, off offset:672
	v_add_f64_e32 v[160:161], v[160:161], v[166:167]
	s_wait_loadcnt_dscnt 0xb00
	v_mul_f64_e32 v[166:167], v[4:5], v[130:131]
	v_add_f64_e32 v[170:171], v[150:151], v[148:149]
	v_mul_f64_e32 v[130:131], v[6:7], v[130:131]
	ds_load_b128 v[148:151], v2 offset:1248
	v_fmac_f64_e32 v[162:163], v[158:159], v[124:125]
	v_fma_f64 v[156:157], v[156:157], v[124:125], -v[126:127]
	scratch_load_b128 v[124:127], off, off offset:688
	v_add_f64_e32 v[160:161], v[160:161], v[164:165]
	v_fmac_f64_e32 v[166:167], v[6:7], v[128:129]
	v_add_f64_e32 v[158:159], v[170:171], v[168:169]
	v_fma_f64 v[168:169], v[4:5], v[128:129], -v[130:131]
	ds_load_b128 v[4:7], v2 offset:1264
	s_wait_loadcnt_dscnt 0xb01
	v_mul_f64_e32 v[164:165], v[148:149], v[134:135]
	v_mul_f64_e32 v[134:135], v[150:151], v[134:135]
	scratch_load_b128 v[128:131], off, off offset:704
	v_add_f64_e32 v[160:161], v[160:161], v[162:163]
	s_wait_loadcnt_dscnt 0xb00
	v_mul_f64_e32 v[162:163], v[4:5], v[142:143]
	v_add_f64_e32 v[170:171], v[158:159], v[156:157]
	v_mul_f64_e32 v[142:143], v[6:7], v[142:143]
	ds_load_b128 v[156:159], v2 offset:1280
	v_fmac_f64_e32 v[164:165], v[150:151], v[132:133]
	v_fma_f64 v[132:133], v[148:149], v[132:133], -v[134:135]
	s_wait_loadcnt_dscnt 0x900
	v_mul_f64_e32 v[150:151], v[156:157], v[154:155]
	v_mul_f64_e32 v[154:155], v[158:159], v[154:155]
	v_add_f64_e32 v[148:149], v[160:161], v[166:167]
	v_fmac_f64_e32 v[162:163], v[6:7], v[140:141]
	v_add_f64_e32 v[134:135], v[170:171], v[168:169]
	v_fma_f64 v[140:141], v[4:5], v[140:141], -v[142:143]
	v_fmac_f64_e32 v[150:151], v[158:159], v[152:153]
	v_fma_f64 v[152:153], v[156:157], v[152:153], -v[154:155]
	v_add_f64_e32 v[148:149], v[148:149], v[164:165]
	v_add_f64_e32 v[142:143], v[134:135], v[132:133]
	ds_load_b128 v[4:7], v2 offset:1296
	ds_load_b128 v[132:135], v2 offset:1312
	s_wait_loadcnt_dscnt 0x801
	v_mul_f64_e32 v[160:161], v[4:5], v[138:139]
	v_mul_f64_e32 v[138:139], v[6:7], v[138:139]
	v_add_f64_e32 v[140:141], v[142:143], v[140:141]
	v_add_f64_e32 v[142:143], v[148:149], v[162:163]
	s_wait_loadcnt_dscnt 0x700
	v_mul_f64_e32 v[148:149], v[132:133], v[10:11]
	v_mul_f64_e32 v[10:11], v[134:135], v[10:11]
	v_fmac_f64_e32 v[160:161], v[6:7], v[136:137]
	v_fma_f64 v[154:155], v[4:5], v[136:137], -v[138:139]
	ds_load_b128 v[4:7], v2 offset:1328
	ds_load_b128 v[136:139], v2 offset:1344
	v_add_f64_e32 v[140:141], v[140:141], v[152:153]
	v_add_f64_e32 v[142:143], v[142:143], v[150:151]
	v_fmac_f64_e32 v[148:149], v[134:135], v[8:9]
	v_fma_f64 v[8:9], v[132:133], v[8:9], -v[10:11]
	s_wait_loadcnt_dscnt 0x601
	v_mul_f64_e32 v[150:151], v[4:5], v[14:15]
	v_mul_f64_e32 v[14:15], v[6:7], v[14:15]
	s_wait_loadcnt_dscnt 0x500
	v_mul_f64_e32 v[134:135], v[136:137], v[18:19]
	v_mul_f64_e32 v[18:19], v[138:139], v[18:19]
	v_add_f64_e32 v[10:11], v[140:141], v[154:155]
	v_add_f64_e32 v[132:133], v[142:143], v[160:161]
	v_fmac_f64_e32 v[150:151], v[6:7], v[12:13]
	v_fma_f64 v[12:13], v[4:5], v[12:13], -v[14:15]
	v_fmac_f64_e32 v[134:135], v[138:139], v[16:17]
	v_fma_f64 v[16:17], v[136:137], v[16:17], -v[18:19]
	v_add_f64_e32 v[14:15], v[10:11], v[8:9]
	v_add_f64_e32 v[132:133], v[132:133], v[148:149]
	ds_load_b128 v[4:7], v2 offset:1360
	ds_load_b128 v[8:11], v2 offset:1376
	s_wait_loadcnt_dscnt 0x401
	v_mul_f64_e32 v[140:141], v[4:5], v[22:23]
	v_mul_f64_e32 v[22:23], v[6:7], v[22:23]
	s_wait_loadcnt_dscnt 0x300
	v_mul_f64_e32 v[18:19], v[8:9], v[26:27]
	v_mul_f64_e32 v[26:27], v[10:11], v[26:27]
	v_add_f64_e32 v[12:13], v[14:15], v[12:13]
	v_add_f64_e32 v[14:15], v[132:133], v[150:151]
	v_fmac_f64_e32 v[140:141], v[6:7], v[20:21]
	v_fma_f64 v[20:21], v[4:5], v[20:21], -v[22:23]
	v_fmac_f64_e32 v[18:19], v[10:11], v[24:25]
	v_fma_f64 v[8:9], v[8:9], v[24:25], -v[26:27]
	v_add_f64_e32 v[16:17], v[12:13], v[16:17]
	v_add_f64_e32 v[22:23], v[14:15], v[134:135]
	ds_load_b128 v[4:7], v2 offset:1392
	ds_load_b128 v[12:15], v2 offset:1408
	s_wait_loadcnt_dscnt 0x201
	v_mul_f64_e32 v[132:133], v[4:5], v[30:31]
	v_mul_f64_e32 v[30:31], v[6:7], v[30:31]
	v_add_f64_e32 v[10:11], v[16:17], v[20:21]
	v_add_f64_e32 v[16:17], v[22:23], v[140:141]
	s_wait_loadcnt_dscnt 0x100
	v_mul_f64_e32 v[20:21], v[12:13], v[126:127]
	v_mul_f64_e32 v[22:23], v[14:15], v[126:127]
	v_fmac_f64_e32 v[132:133], v[6:7], v[28:29]
	v_fma_f64 v[24:25], v[4:5], v[28:29], -v[30:31]
	ds_load_b128 v[4:7], v2 offset:1424
	v_add_f64_e32 v[8:9], v[10:11], v[8:9]
	v_add_f64_e32 v[10:11], v[16:17], v[18:19]
	v_fmac_f64_e32 v[20:21], v[14:15], v[124:125]
	v_fma_f64 v[12:13], v[12:13], v[124:125], -v[22:23]
	s_wait_loadcnt_dscnt 0x0
	v_mul_f64_e32 v[16:17], v[4:5], v[130:131]
	v_mul_f64_e32 v[18:19], v[6:7], v[130:131]
	v_add_f64_e32 v[8:9], v[8:9], v[24:25]
	v_add_f64_e32 v[10:11], v[10:11], v[132:133]
	s_delay_alu instid0(VALU_DEP_4) | instskip(NEXT) | instid1(VALU_DEP_4)
	v_fmac_f64_e32 v[16:17], v[6:7], v[128:129]
	v_fma_f64 v[4:5], v[4:5], v[128:129], -v[18:19]
	s_delay_alu instid0(VALU_DEP_4) | instskip(NEXT) | instid1(VALU_DEP_4)
	v_add_f64_e32 v[6:7], v[8:9], v[12:13]
	v_add_f64_e32 v[8:9], v[10:11], v[20:21]
	s_delay_alu instid0(VALU_DEP_2) | instskip(NEXT) | instid1(VALU_DEP_2)
	v_add_f64_e32 v[4:5], v[6:7], v[4:5]
	v_add_f64_e32 v[6:7], v[8:9], v[16:17]
	s_delay_alu instid0(VALU_DEP_2) | instskip(NEXT) | instid1(VALU_DEP_2)
	v_add_f64_e64 v[4:5], v[144:145], -v[4:5]
	v_add_f64_e64 v[6:7], v[146:147], -v[6:7]
	scratch_store_b128 off, v[4:7], off offset:368
	s_wait_xcnt 0x0
	v_cmpx_lt_u32_e32 22, v1
	s_cbranch_execz .LBB44_239
; %bb.238:
	scratch_load_b128 v[6:9], off, s41
	v_dual_mov_b32 v3, v2 :: v_dual_mov_b32 v4, v2
	v_mov_b32_e32 v5, v2
	scratch_store_b128 off, v[2:5], off offset:352
	s_wait_loadcnt 0x0
	ds_store_b128 v122, v[6:9]
.LBB44_239:
	s_wait_xcnt 0x0
	s_or_b32 exec_lo, exec_lo, s2
	s_wait_storecnt_dscnt 0x0
	s_barrier_signal -1
	s_barrier_wait -1
	s_clause 0x9
	scratch_load_b128 v[4:7], off, off offset:368
	scratch_load_b128 v[8:11], off, off offset:384
	;; [unrolled: 1-line block ×10, first 2 shown]
	ds_load_b128 v[136:139], v2 offset:1088
	ds_load_b128 v[144:147], v2 offset:1104
	s_clause 0x2
	scratch_load_b128 v[140:143], off, off offset:528
	scratch_load_b128 v[148:151], off, off offset:352
	;; [unrolled: 1-line block ×3, first 2 shown]
	s_mov_b32 s2, exec_lo
	s_wait_loadcnt_dscnt 0xc01
	v_mul_f64_e32 v[156:157], v[138:139], v[6:7]
	v_mul_f64_e32 v[160:161], v[136:137], v[6:7]
	s_wait_loadcnt_dscnt 0xb00
	v_mul_f64_e32 v[162:163], v[144:145], v[10:11]
	v_mul_f64_e32 v[10:11], v[146:147], v[10:11]
	s_delay_alu instid0(VALU_DEP_4) | instskip(NEXT) | instid1(VALU_DEP_4)
	v_fma_f64 v[164:165], v[136:137], v[4:5], -v[156:157]
	v_fmac_f64_e32 v[160:161], v[138:139], v[4:5]
	ds_load_b128 v[4:7], v2 offset:1120
	ds_load_b128 v[136:139], v2 offset:1136
	scratch_load_b128 v[156:159], off, off offset:560
	v_fmac_f64_e32 v[162:163], v[146:147], v[8:9]
	v_fma_f64 v[144:145], v[144:145], v[8:9], -v[10:11]
	scratch_load_b128 v[8:11], off, off offset:576
	s_wait_loadcnt_dscnt 0xc01
	v_mul_f64_e32 v[166:167], v[4:5], v[14:15]
	v_mul_f64_e32 v[14:15], v[6:7], v[14:15]
	v_add_f64_e32 v[146:147], 0, v[164:165]
	v_add_f64_e32 v[160:161], 0, v[160:161]
	s_wait_loadcnt_dscnt 0xb00
	v_mul_f64_e32 v[164:165], v[136:137], v[18:19]
	v_mul_f64_e32 v[18:19], v[138:139], v[18:19]
	v_fmac_f64_e32 v[166:167], v[6:7], v[12:13]
	v_fma_f64 v[168:169], v[4:5], v[12:13], -v[14:15]
	ds_load_b128 v[4:7], v2 offset:1152
	ds_load_b128 v[12:15], v2 offset:1168
	v_add_f64_e32 v[170:171], v[146:147], v[144:145]
	v_add_f64_e32 v[160:161], v[160:161], v[162:163]
	scratch_load_b128 v[144:147], off, off offset:592
	v_fmac_f64_e32 v[164:165], v[138:139], v[16:17]
	v_fma_f64 v[136:137], v[136:137], v[16:17], -v[18:19]
	scratch_load_b128 v[16:19], off, off offset:608
	s_wait_loadcnt_dscnt 0xc01
	v_mul_f64_e32 v[162:163], v[4:5], v[22:23]
	v_mul_f64_e32 v[22:23], v[6:7], v[22:23]
	v_add_f64_e32 v[138:139], v[170:171], v[168:169]
	v_add_f64_e32 v[160:161], v[160:161], v[166:167]
	s_wait_loadcnt_dscnt 0xb00
	v_mul_f64_e32 v[166:167], v[12:13], v[26:27]
	v_mul_f64_e32 v[26:27], v[14:15], v[26:27]
	v_fmac_f64_e32 v[162:163], v[6:7], v[20:21]
	v_fma_f64 v[168:169], v[4:5], v[20:21], -v[22:23]
	ds_load_b128 v[4:7], v2 offset:1184
	ds_load_b128 v[20:23], v2 offset:1200
	v_add_f64_e32 v[170:171], v[138:139], v[136:137]
	v_add_f64_e32 v[160:161], v[160:161], v[164:165]
	scratch_load_b128 v[136:139], off, off offset:624
	s_wait_loadcnt_dscnt 0xb01
	v_mul_f64_e32 v[164:165], v[4:5], v[30:31]
	v_mul_f64_e32 v[30:31], v[6:7], v[30:31]
	v_fmac_f64_e32 v[166:167], v[14:15], v[24:25]
	v_fma_f64 v[24:25], v[12:13], v[24:25], -v[26:27]
	scratch_load_b128 v[12:15], off, off offset:640
	v_add_f64_e32 v[26:27], v[170:171], v[168:169]
	v_add_f64_e32 v[160:161], v[160:161], v[162:163]
	s_wait_loadcnt_dscnt 0xb00
	v_mul_f64_e32 v[162:163], v[20:21], v[126:127]
	v_mul_f64_e32 v[126:127], v[22:23], v[126:127]
	v_fmac_f64_e32 v[164:165], v[6:7], v[28:29]
	v_fma_f64 v[168:169], v[4:5], v[28:29], -v[30:31]
	v_add_f64_e32 v[170:171], v[26:27], v[24:25]
	v_add_f64_e32 v[160:161], v[160:161], v[166:167]
	ds_load_b128 v[4:7], v2 offset:1216
	ds_load_b128 v[24:27], v2 offset:1232
	scratch_load_b128 v[28:31], off, off offset:656
	v_fmac_f64_e32 v[162:163], v[22:23], v[124:125]
	v_fma_f64 v[124:125], v[20:21], v[124:125], -v[126:127]
	scratch_load_b128 v[20:23], off, off offset:672
	s_wait_loadcnt_dscnt 0xc01
	v_mul_f64_e32 v[166:167], v[4:5], v[130:131]
	v_mul_f64_e32 v[130:131], v[6:7], v[130:131]
	v_add_f64_e32 v[126:127], v[170:171], v[168:169]
	v_add_f64_e32 v[160:161], v[160:161], v[164:165]
	s_wait_loadcnt_dscnt 0xb00
	v_mul_f64_e32 v[164:165], v[24:25], v[134:135]
	v_mul_f64_e32 v[134:135], v[26:27], v[134:135]
	v_fmac_f64_e32 v[166:167], v[6:7], v[128:129]
	v_fma_f64 v[168:169], v[4:5], v[128:129], -v[130:131]
	v_add_f64_e32 v[170:171], v[126:127], v[124:125]
	v_add_f64_e32 v[160:161], v[160:161], v[162:163]
	ds_load_b128 v[4:7], v2 offset:1248
	ds_load_b128 v[124:127], v2 offset:1264
	scratch_load_b128 v[128:131], off, off offset:688
	v_fmac_f64_e32 v[164:165], v[26:27], v[132:133]
	v_fma_f64 v[132:133], v[24:25], v[132:133], -v[134:135]
	scratch_load_b128 v[24:27], off, off offset:704
	s_wait_loadcnt_dscnt 0xc01
	v_mul_f64_e32 v[162:163], v[4:5], v[142:143]
	v_mul_f64_e32 v[142:143], v[6:7], v[142:143]
	v_add_f64_e32 v[134:135], v[170:171], v[168:169]
	v_add_f64_e32 v[160:161], v[160:161], v[166:167]
	s_wait_loadcnt_dscnt 0xa00
	v_mul_f64_e32 v[166:167], v[124:125], v[154:155]
	v_mul_f64_e32 v[154:155], v[126:127], v[154:155]
	v_fmac_f64_e32 v[162:163], v[6:7], v[140:141]
	v_fma_f64 v[140:141], v[4:5], v[140:141], -v[142:143]
	v_add_f64_e32 v[142:143], v[134:135], v[132:133]
	v_add_f64_e32 v[160:161], v[160:161], v[164:165]
	ds_load_b128 v[4:7], v2 offset:1280
	ds_load_b128 v[132:135], v2 offset:1296
	v_fmac_f64_e32 v[166:167], v[126:127], v[152:153]
	v_fma_f64 v[124:125], v[124:125], v[152:153], -v[154:155]
	s_wait_loadcnt_dscnt 0x901
	v_mul_f64_e32 v[164:165], v[4:5], v[158:159]
	v_mul_f64_e32 v[158:159], v[6:7], v[158:159]
	v_add_f64_e32 v[126:127], v[142:143], v[140:141]
	v_add_f64_e32 v[140:141], v[160:161], v[162:163]
	s_wait_loadcnt_dscnt 0x800
	v_mul_f64_e32 v[142:143], v[132:133], v[10:11]
	v_mul_f64_e32 v[10:11], v[134:135], v[10:11]
	v_fmac_f64_e32 v[164:165], v[6:7], v[156:157]
	v_fma_f64 v[152:153], v[4:5], v[156:157], -v[158:159]
	v_add_f64_e32 v[154:155], v[126:127], v[124:125]
	v_add_f64_e32 v[140:141], v[140:141], v[166:167]
	ds_load_b128 v[4:7], v2 offset:1312
	ds_load_b128 v[124:127], v2 offset:1328
	v_fmac_f64_e32 v[142:143], v[134:135], v[8:9]
	v_fma_f64 v[8:9], v[132:133], v[8:9], -v[10:11]
	s_wait_loadcnt_dscnt 0x701
	v_mul_f64_e32 v[156:157], v[4:5], v[146:147]
	v_mul_f64_e32 v[146:147], v[6:7], v[146:147]
	s_wait_loadcnt_dscnt 0x600
	v_mul_f64_e32 v[134:135], v[124:125], v[18:19]
	v_mul_f64_e32 v[18:19], v[126:127], v[18:19]
	v_add_f64_e32 v[10:11], v[154:155], v[152:153]
	v_add_f64_e32 v[132:133], v[140:141], v[164:165]
	v_fmac_f64_e32 v[156:157], v[6:7], v[144:145]
	v_fma_f64 v[140:141], v[4:5], v[144:145], -v[146:147]
	v_fmac_f64_e32 v[134:135], v[126:127], v[16:17]
	v_fma_f64 v[16:17], v[124:125], v[16:17], -v[18:19]
	v_add_f64_e32 v[144:145], v[10:11], v[8:9]
	v_add_f64_e32 v[132:133], v[132:133], v[142:143]
	ds_load_b128 v[4:7], v2 offset:1344
	ds_load_b128 v[8:11], v2 offset:1360
	s_wait_loadcnt_dscnt 0x501
	v_mul_f64_e32 v[142:143], v[4:5], v[138:139]
	v_mul_f64_e32 v[138:139], v[6:7], v[138:139]
	s_wait_loadcnt_dscnt 0x400
	v_mul_f64_e32 v[126:127], v[8:9], v[14:15]
	v_add_f64_e32 v[18:19], v[144:145], v[140:141]
	v_add_f64_e32 v[124:125], v[132:133], v[156:157]
	v_mul_f64_e32 v[132:133], v[10:11], v[14:15]
	v_fmac_f64_e32 v[142:143], v[6:7], v[136:137]
	v_fma_f64 v[136:137], v[4:5], v[136:137], -v[138:139]
	v_fmac_f64_e32 v[126:127], v[10:11], v[12:13]
	v_add_f64_e32 v[18:19], v[18:19], v[16:17]
	v_add_f64_e32 v[124:125], v[124:125], v[134:135]
	ds_load_b128 v[4:7], v2 offset:1376
	ds_load_b128 v[14:17], v2 offset:1392
	v_fma_f64 v[8:9], v[8:9], v[12:13], -v[132:133]
	s_wait_loadcnt_dscnt 0x301
	v_mul_f64_e32 v[134:135], v[4:5], v[30:31]
	v_mul_f64_e32 v[30:31], v[6:7], v[30:31]
	v_add_f64_e32 v[10:11], v[18:19], v[136:137]
	v_add_f64_e32 v[12:13], v[124:125], v[142:143]
	s_wait_loadcnt_dscnt 0x200
	v_mul_f64_e32 v[18:19], v[14:15], v[22:23]
	v_mul_f64_e32 v[22:23], v[16:17], v[22:23]
	v_fmac_f64_e32 v[134:135], v[6:7], v[28:29]
	v_fma_f64 v[28:29], v[4:5], v[28:29], -v[30:31]
	v_add_f64_e32 v[30:31], v[10:11], v[8:9]
	v_add_f64_e32 v[12:13], v[12:13], v[126:127]
	ds_load_b128 v[4:7], v2 offset:1408
	ds_load_b128 v[8:11], v2 offset:1424
	v_fmac_f64_e32 v[18:19], v[16:17], v[20:21]
	v_fma_f64 v[14:15], v[14:15], v[20:21], -v[22:23]
	s_wait_loadcnt_dscnt 0x101
	v_mul_f64_e32 v[2:3], v[4:5], v[130:131]
	v_mul_f64_e32 v[124:125], v[6:7], v[130:131]
	s_wait_loadcnt_dscnt 0x0
	v_mul_f64_e32 v[20:21], v[8:9], v[26:27]
	v_mul_f64_e32 v[22:23], v[10:11], v[26:27]
	v_add_f64_e32 v[16:17], v[30:31], v[28:29]
	v_add_f64_e32 v[12:13], v[12:13], v[134:135]
	v_fmac_f64_e32 v[2:3], v[6:7], v[128:129]
	v_fma_f64 v[4:5], v[4:5], v[128:129], -v[124:125]
	v_fmac_f64_e32 v[20:21], v[10:11], v[24:25]
	v_fma_f64 v[8:9], v[8:9], v[24:25], -v[22:23]
	v_add_f64_e32 v[6:7], v[16:17], v[14:15]
	v_add_f64_e32 v[12:13], v[12:13], v[18:19]
	s_delay_alu instid0(VALU_DEP_2) | instskip(NEXT) | instid1(VALU_DEP_2)
	v_add_f64_e32 v[4:5], v[6:7], v[4:5]
	v_add_f64_e32 v[2:3], v[12:13], v[2:3]
	s_delay_alu instid0(VALU_DEP_2) | instskip(NEXT) | instid1(VALU_DEP_2)
	;; [unrolled: 3-line block ×3, first 2 shown]
	v_add_f64_e64 v[2:3], v[148:149], -v[4:5]
	v_add_f64_e64 v[4:5], v[150:151], -v[6:7]
	scratch_store_b128 off, v[2:5], off offset:352
	s_wait_xcnt 0x0
	v_cmpx_lt_u32_e32 21, v1
	s_cbranch_execz .LBB44_241
; %bb.240:
	scratch_load_b128 v[2:5], off, s38
	v_mov_b32_e32 v6, 0
	s_delay_alu instid0(VALU_DEP_1)
	v_dual_mov_b32 v7, v6 :: v_dual_mov_b32 v8, v6
	v_mov_b32_e32 v9, v6
	scratch_store_b128 off, v[6:9], off offset:336
	s_wait_loadcnt 0x0
	ds_store_b128 v122, v[2:5]
.LBB44_241:
	s_wait_xcnt 0x0
	s_or_b32 exec_lo, exec_lo, s2
	s_wait_storecnt_dscnt 0x0
	s_barrier_signal -1
	s_barrier_wait -1
	s_clause 0x9
	scratch_load_b128 v[4:7], off, off offset:352
	scratch_load_b128 v[8:11], off, off offset:368
	;; [unrolled: 1-line block ×10, first 2 shown]
	v_mov_b32_e32 v2, 0
	s_mov_b32 s2, exec_lo
	ds_load_b128 v[136:139], v2 offset:1072
	s_clause 0x2
	scratch_load_b128 v[140:143], off, off offset:512
	scratch_load_b128 v[144:147], off, off offset:336
	;; [unrolled: 1-line block ×3, first 2 shown]
	s_wait_loadcnt_dscnt 0xc00
	v_mul_f64_e32 v[156:157], v[138:139], v[6:7]
	v_mul_f64_e32 v[160:161], v[136:137], v[6:7]
	ds_load_b128 v[148:151], v2 offset:1088
	v_fma_f64 v[164:165], v[136:137], v[4:5], -v[156:157]
	v_fmac_f64_e32 v[160:161], v[138:139], v[4:5]
	ds_load_b128 v[4:7], v2 offset:1104
	s_wait_loadcnt_dscnt 0xb01
	v_mul_f64_e32 v[162:163], v[148:149], v[10:11]
	v_mul_f64_e32 v[10:11], v[150:151], v[10:11]
	scratch_load_b128 v[136:139], off, off offset:544
	ds_load_b128 v[156:159], v2 offset:1120
	s_wait_loadcnt_dscnt 0xb01
	v_mul_f64_e32 v[166:167], v[4:5], v[14:15]
	v_mul_f64_e32 v[14:15], v[6:7], v[14:15]
	v_add_f64_e32 v[160:161], 0, v[160:161]
	v_fmac_f64_e32 v[162:163], v[150:151], v[8:9]
	v_fma_f64 v[148:149], v[148:149], v[8:9], -v[10:11]
	v_add_f64_e32 v[150:151], 0, v[164:165]
	scratch_load_b128 v[8:11], off, off offset:560
	v_fmac_f64_e32 v[166:167], v[6:7], v[12:13]
	v_fma_f64 v[168:169], v[4:5], v[12:13], -v[14:15]
	ds_load_b128 v[4:7], v2 offset:1136
	s_wait_loadcnt_dscnt 0xb01
	v_mul_f64_e32 v[164:165], v[156:157], v[18:19]
	v_mul_f64_e32 v[18:19], v[158:159], v[18:19]
	scratch_load_b128 v[12:15], off, off offset:576
	v_add_f64_e32 v[160:161], v[160:161], v[162:163]
	v_add_f64_e32 v[170:171], v[150:151], v[148:149]
	ds_load_b128 v[148:151], v2 offset:1152
	s_wait_loadcnt_dscnt 0xb01
	v_mul_f64_e32 v[162:163], v[4:5], v[22:23]
	v_mul_f64_e32 v[22:23], v[6:7], v[22:23]
	v_fmac_f64_e32 v[164:165], v[158:159], v[16:17]
	v_fma_f64 v[156:157], v[156:157], v[16:17], -v[18:19]
	scratch_load_b128 v[16:19], off, off offset:592
	v_add_f64_e32 v[160:161], v[160:161], v[166:167]
	v_add_f64_e32 v[158:159], v[170:171], v[168:169]
	v_fmac_f64_e32 v[162:163], v[6:7], v[20:21]
	v_fma_f64 v[168:169], v[4:5], v[20:21], -v[22:23]
	ds_load_b128 v[4:7], v2 offset:1168
	s_wait_loadcnt_dscnt 0xb01
	v_mul_f64_e32 v[166:167], v[148:149], v[26:27]
	v_mul_f64_e32 v[26:27], v[150:151], v[26:27]
	scratch_load_b128 v[20:23], off, off offset:608
	v_add_f64_e32 v[160:161], v[160:161], v[164:165]
	s_wait_loadcnt_dscnt 0xb00
	v_mul_f64_e32 v[164:165], v[4:5], v[30:31]
	v_add_f64_e32 v[170:171], v[158:159], v[156:157]
	v_mul_f64_e32 v[30:31], v[6:7], v[30:31]
	ds_load_b128 v[156:159], v2 offset:1184
	v_fmac_f64_e32 v[166:167], v[150:151], v[24:25]
	v_fma_f64 v[148:149], v[148:149], v[24:25], -v[26:27]
	scratch_load_b128 v[24:27], off, off offset:624
	v_add_f64_e32 v[160:161], v[160:161], v[162:163]
	v_fmac_f64_e32 v[164:165], v[6:7], v[28:29]
	v_add_f64_e32 v[150:151], v[170:171], v[168:169]
	v_fma_f64 v[168:169], v[4:5], v[28:29], -v[30:31]
	ds_load_b128 v[4:7], v2 offset:1200
	s_wait_loadcnt_dscnt 0xb01
	v_mul_f64_e32 v[162:163], v[156:157], v[126:127]
	v_mul_f64_e32 v[126:127], v[158:159], v[126:127]
	scratch_load_b128 v[28:31], off, off offset:640
	v_add_f64_e32 v[160:161], v[160:161], v[166:167]
	s_wait_loadcnt_dscnt 0xb00
	v_mul_f64_e32 v[166:167], v[4:5], v[130:131]
	v_add_f64_e32 v[170:171], v[150:151], v[148:149]
	v_mul_f64_e32 v[130:131], v[6:7], v[130:131]
	ds_load_b128 v[148:151], v2 offset:1216
	v_fmac_f64_e32 v[162:163], v[158:159], v[124:125]
	v_fma_f64 v[156:157], v[156:157], v[124:125], -v[126:127]
	scratch_load_b128 v[124:127], off, off offset:656
	v_add_f64_e32 v[160:161], v[160:161], v[164:165]
	v_fmac_f64_e32 v[166:167], v[6:7], v[128:129]
	v_add_f64_e32 v[158:159], v[170:171], v[168:169]
	;; [unrolled: 18-line block ×3, first 2 shown]
	v_fma_f64 v[168:169], v[4:5], v[140:141], -v[142:143]
	ds_load_b128 v[4:7], v2 offset:1264
	s_wait_loadcnt_dscnt 0xa01
	v_mul_f64_e32 v[166:167], v[156:157], v[154:155]
	v_mul_f64_e32 v[154:155], v[158:159], v[154:155]
	scratch_load_b128 v[140:143], off, off offset:704
	v_add_f64_e32 v[160:161], v[160:161], v[164:165]
	v_add_f64_e32 v[170:171], v[150:151], v[148:149]
	s_wait_loadcnt_dscnt 0xa00
	v_mul_f64_e32 v[164:165], v[4:5], v[138:139]
	v_mul_f64_e32 v[138:139], v[6:7], v[138:139]
	v_fmac_f64_e32 v[166:167], v[158:159], v[152:153]
	v_fma_f64 v[152:153], v[156:157], v[152:153], -v[154:155]
	ds_load_b128 v[148:151], v2 offset:1280
	v_add_f64_e32 v[156:157], v[160:161], v[162:163]
	v_add_f64_e32 v[154:155], v[170:171], v[168:169]
	s_wait_loadcnt_dscnt 0x900
	v_mul_f64_e32 v[158:159], v[148:149], v[10:11]
	v_mul_f64_e32 v[10:11], v[150:151], v[10:11]
	v_fmac_f64_e32 v[164:165], v[6:7], v[136:137]
	v_fma_f64 v[160:161], v[4:5], v[136:137], -v[138:139]
	ds_load_b128 v[4:7], v2 offset:1296
	ds_load_b128 v[136:139], v2 offset:1312
	v_add_f64_e32 v[152:153], v[154:155], v[152:153]
	v_add_f64_e32 v[154:155], v[156:157], v[166:167]
	s_wait_loadcnt_dscnt 0x801
	v_mul_f64_e32 v[156:157], v[4:5], v[14:15]
	v_mul_f64_e32 v[14:15], v[6:7], v[14:15]
	v_fmac_f64_e32 v[158:159], v[150:151], v[8:9]
	v_fma_f64 v[8:9], v[148:149], v[8:9], -v[10:11]
	s_wait_loadcnt_dscnt 0x700
	v_mul_f64_e32 v[150:151], v[136:137], v[18:19]
	v_mul_f64_e32 v[18:19], v[138:139], v[18:19]
	v_add_f64_e32 v[10:11], v[152:153], v[160:161]
	v_add_f64_e32 v[148:149], v[154:155], v[164:165]
	v_fmac_f64_e32 v[156:157], v[6:7], v[12:13]
	v_fma_f64 v[12:13], v[4:5], v[12:13], -v[14:15]
	v_fmac_f64_e32 v[150:151], v[138:139], v[16:17]
	v_fma_f64 v[16:17], v[136:137], v[16:17], -v[18:19]
	v_add_f64_e32 v[14:15], v[10:11], v[8:9]
	v_add_f64_e32 v[148:149], v[148:149], v[158:159]
	ds_load_b128 v[4:7], v2 offset:1328
	ds_load_b128 v[8:11], v2 offset:1344
	s_wait_loadcnt_dscnt 0x601
	v_mul_f64_e32 v[152:153], v[4:5], v[22:23]
	v_mul_f64_e32 v[22:23], v[6:7], v[22:23]
	s_wait_loadcnt_dscnt 0x500
	v_mul_f64_e32 v[18:19], v[8:9], v[26:27]
	v_mul_f64_e32 v[26:27], v[10:11], v[26:27]
	v_add_f64_e32 v[12:13], v[14:15], v[12:13]
	v_add_f64_e32 v[14:15], v[148:149], v[156:157]
	v_fmac_f64_e32 v[152:153], v[6:7], v[20:21]
	v_fma_f64 v[20:21], v[4:5], v[20:21], -v[22:23]
	v_fmac_f64_e32 v[18:19], v[10:11], v[24:25]
	v_fma_f64 v[8:9], v[8:9], v[24:25], -v[26:27]
	v_add_f64_e32 v[16:17], v[12:13], v[16:17]
	v_add_f64_e32 v[22:23], v[14:15], v[150:151]
	ds_load_b128 v[4:7], v2 offset:1360
	ds_load_b128 v[12:15], v2 offset:1376
	s_wait_loadcnt_dscnt 0x401
	v_mul_f64_e32 v[136:137], v[4:5], v[30:31]
	v_mul_f64_e32 v[30:31], v[6:7], v[30:31]
	v_add_f64_e32 v[10:11], v[16:17], v[20:21]
	v_add_f64_e32 v[16:17], v[22:23], v[152:153]
	s_wait_loadcnt_dscnt 0x300
	v_mul_f64_e32 v[20:21], v[12:13], v[126:127]
	v_mul_f64_e32 v[22:23], v[14:15], v[126:127]
	v_fmac_f64_e32 v[136:137], v[6:7], v[28:29]
	v_fma_f64 v[24:25], v[4:5], v[28:29], -v[30:31]
	v_add_f64_e32 v[26:27], v[10:11], v[8:9]
	v_add_f64_e32 v[16:17], v[16:17], v[18:19]
	ds_load_b128 v[4:7], v2 offset:1392
	ds_load_b128 v[8:11], v2 offset:1408
	v_fmac_f64_e32 v[20:21], v[14:15], v[124:125]
	v_fma_f64 v[12:13], v[12:13], v[124:125], -v[22:23]
	s_wait_loadcnt_dscnt 0x201
	v_mul_f64_e32 v[18:19], v[4:5], v[130:131]
	v_mul_f64_e32 v[28:29], v[6:7], v[130:131]
	s_wait_loadcnt_dscnt 0x100
	v_mul_f64_e32 v[22:23], v[8:9], v[134:135]
	v_add_f64_e32 v[14:15], v[26:27], v[24:25]
	v_add_f64_e32 v[16:17], v[16:17], v[136:137]
	v_mul_f64_e32 v[24:25], v[10:11], v[134:135]
	v_fmac_f64_e32 v[18:19], v[6:7], v[128:129]
	v_fma_f64 v[26:27], v[4:5], v[128:129], -v[28:29]
	ds_load_b128 v[4:7], v2 offset:1424
	v_fmac_f64_e32 v[22:23], v[10:11], v[132:133]
	v_add_f64_e32 v[12:13], v[14:15], v[12:13]
	v_add_f64_e32 v[14:15], v[16:17], v[20:21]
	v_fma_f64 v[8:9], v[8:9], v[132:133], -v[24:25]
	s_wait_loadcnt_dscnt 0x0
	v_mul_f64_e32 v[16:17], v[4:5], v[142:143]
	v_mul_f64_e32 v[20:21], v[6:7], v[142:143]
	v_add_f64_e32 v[10:11], v[12:13], v[26:27]
	v_add_f64_e32 v[12:13], v[14:15], v[18:19]
	s_delay_alu instid0(VALU_DEP_4) | instskip(NEXT) | instid1(VALU_DEP_4)
	v_fmac_f64_e32 v[16:17], v[6:7], v[140:141]
	v_fma_f64 v[4:5], v[4:5], v[140:141], -v[20:21]
	s_delay_alu instid0(VALU_DEP_4) | instskip(NEXT) | instid1(VALU_DEP_4)
	v_add_f64_e32 v[6:7], v[10:11], v[8:9]
	v_add_f64_e32 v[8:9], v[12:13], v[22:23]
	s_delay_alu instid0(VALU_DEP_2) | instskip(NEXT) | instid1(VALU_DEP_2)
	v_add_f64_e32 v[4:5], v[6:7], v[4:5]
	v_add_f64_e32 v[6:7], v[8:9], v[16:17]
	s_delay_alu instid0(VALU_DEP_2) | instskip(NEXT) | instid1(VALU_DEP_2)
	v_add_f64_e64 v[4:5], v[144:145], -v[4:5]
	v_add_f64_e64 v[6:7], v[146:147], -v[6:7]
	scratch_store_b128 off, v[4:7], off offset:336
	s_wait_xcnt 0x0
	v_cmpx_lt_u32_e32 20, v1
	s_cbranch_execz .LBB44_243
; %bb.242:
	scratch_load_b128 v[6:9], off, s44
	v_dual_mov_b32 v3, v2 :: v_dual_mov_b32 v4, v2
	v_mov_b32_e32 v5, v2
	scratch_store_b128 off, v[2:5], off offset:320
	s_wait_loadcnt 0x0
	ds_store_b128 v122, v[6:9]
.LBB44_243:
	s_wait_xcnt 0x0
	s_or_b32 exec_lo, exec_lo, s2
	s_wait_storecnt_dscnt 0x0
	s_barrier_signal -1
	s_barrier_wait -1
	s_clause 0x9
	scratch_load_b128 v[4:7], off, off offset:336
	scratch_load_b128 v[8:11], off, off offset:352
	;; [unrolled: 1-line block ×10, first 2 shown]
	ds_load_b128 v[136:139], v2 offset:1056
	ds_load_b128 v[144:147], v2 offset:1072
	s_clause 0x2
	scratch_load_b128 v[140:143], off, off offset:496
	scratch_load_b128 v[148:151], off, off offset:320
	;; [unrolled: 1-line block ×3, first 2 shown]
	s_mov_b32 s2, exec_lo
	s_wait_loadcnt_dscnt 0xc01
	v_mul_f64_e32 v[156:157], v[138:139], v[6:7]
	v_mul_f64_e32 v[160:161], v[136:137], v[6:7]
	s_wait_loadcnt_dscnt 0xb00
	v_mul_f64_e32 v[162:163], v[144:145], v[10:11]
	v_mul_f64_e32 v[10:11], v[146:147], v[10:11]
	s_delay_alu instid0(VALU_DEP_4) | instskip(NEXT) | instid1(VALU_DEP_4)
	v_fma_f64 v[164:165], v[136:137], v[4:5], -v[156:157]
	v_fmac_f64_e32 v[160:161], v[138:139], v[4:5]
	ds_load_b128 v[4:7], v2 offset:1088
	ds_load_b128 v[136:139], v2 offset:1104
	scratch_load_b128 v[156:159], off, off offset:528
	v_fmac_f64_e32 v[162:163], v[146:147], v[8:9]
	v_fma_f64 v[144:145], v[144:145], v[8:9], -v[10:11]
	scratch_load_b128 v[8:11], off, off offset:544
	s_wait_loadcnt_dscnt 0xc01
	v_mul_f64_e32 v[166:167], v[4:5], v[14:15]
	v_mul_f64_e32 v[14:15], v[6:7], v[14:15]
	v_add_f64_e32 v[146:147], 0, v[164:165]
	v_add_f64_e32 v[160:161], 0, v[160:161]
	s_wait_loadcnt_dscnt 0xb00
	v_mul_f64_e32 v[164:165], v[136:137], v[18:19]
	v_mul_f64_e32 v[18:19], v[138:139], v[18:19]
	v_fmac_f64_e32 v[166:167], v[6:7], v[12:13]
	v_fma_f64 v[168:169], v[4:5], v[12:13], -v[14:15]
	ds_load_b128 v[4:7], v2 offset:1120
	ds_load_b128 v[12:15], v2 offset:1136
	v_add_f64_e32 v[170:171], v[146:147], v[144:145]
	v_add_f64_e32 v[160:161], v[160:161], v[162:163]
	scratch_load_b128 v[144:147], off, off offset:560
	v_fmac_f64_e32 v[164:165], v[138:139], v[16:17]
	v_fma_f64 v[136:137], v[136:137], v[16:17], -v[18:19]
	scratch_load_b128 v[16:19], off, off offset:576
	s_wait_loadcnt_dscnt 0xc01
	v_mul_f64_e32 v[162:163], v[4:5], v[22:23]
	v_mul_f64_e32 v[22:23], v[6:7], v[22:23]
	v_add_f64_e32 v[138:139], v[170:171], v[168:169]
	v_add_f64_e32 v[160:161], v[160:161], v[166:167]
	s_wait_loadcnt_dscnt 0xb00
	v_mul_f64_e32 v[166:167], v[12:13], v[26:27]
	v_mul_f64_e32 v[26:27], v[14:15], v[26:27]
	v_fmac_f64_e32 v[162:163], v[6:7], v[20:21]
	v_fma_f64 v[168:169], v[4:5], v[20:21], -v[22:23]
	ds_load_b128 v[4:7], v2 offset:1152
	ds_load_b128 v[20:23], v2 offset:1168
	v_add_f64_e32 v[170:171], v[138:139], v[136:137]
	v_add_f64_e32 v[160:161], v[160:161], v[164:165]
	scratch_load_b128 v[136:139], off, off offset:592
	s_wait_loadcnt_dscnt 0xb01
	v_mul_f64_e32 v[164:165], v[4:5], v[30:31]
	v_mul_f64_e32 v[30:31], v[6:7], v[30:31]
	v_fmac_f64_e32 v[166:167], v[14:15], v[24:25]
	v_fma_f64 v[24:25], v[12:13], v[24:25], -v[26:27]
	scratch_load_b128 v[12:15], off, off offset:608
	v_add_f64_e32 v[26:27], v[170:171], v[168:169]
	v_add_f64_e32 v[160:161], v[160:161], v[162:163]
	s_wait_loadcnt_dscnt 0xb00
	v_mul_f64_e32 v[162:163], v[20:21], v[126:127]
	v_mul_f64_e32 v[126:127], v[22:23], v[126:127]
	v_fmac_f64_e32 v[164:165], v[6:7], v[28:29]
	v_fma_f64 v[168:169], v[4:5], v[28:29], -v[30:31]
	v_add_f64_e32 v[170:171], v[26:27], v[24:25]
	v_add_f64_e32 v[160:161], v[160:161], v[166:167]
	ds_load_b128 v[4:7], v2 offset:1184
	ds_load_b128 v[24:27], v2 offset:1200
	scratch_load_b128 v[28:31], off, off offset:624
	v_fmac_f64_e32 v[162:163], v[22:23], v[124:125]
	v_fma_f64 v[124:125], v[20:21], v[124:125], -v[126:127]
	scratch_load_b128 v[20:23], off, off offset:640
	s_wait_loadcnt_dscnt 0xc01
	v_mul_f64_e32 v[166:167], v[4:5], v[130:131]
	v_mul_f64_e32 v[130:131], v[6:7], v[130:131]
	v_add_f64_e32 v[126:127], v[170:171], v[168:169]
	v_add_f64_e32 v[160:161], v[160:161], v[164:165]
	s_wait_loadcnt_dscnt 0xb00
	v_mul_f64_e32 v[164:165], v[24:25], v[134:135]
	v_mul_f64_e32 v[134:135], v[26:27], v[134:135]
	v_fmac_f64_e32 v[166:167], v[6:7], v[128:129]
	v_fma_f64 v[168:169], v[4:5], v[128:129], -v[130:131]
	v_add_f64_e32 v[170:171], v[126:127], v[124:125]
	v_add_f64_e32 v[160:161], v[160:161], v[162:163]
	ds_load_b128 v[4:7], v2 offset:1216
	ds_load_b128 v[124:127], v2 offset:1232
	scratch_load_b128 v[128:131], off, off offset:656
	v_fmac_f64_e32 v[164:165], v[26:27], v[132:133]
	v_fma_f64 v[132:133], v[24:25], v[132:133], -v[134:135]
	scratch_load_b128 v[24:27], off, off offset:672
	s_wait_loadcnt_dscnt 0xc01
	v_mul_f64_e32 v[162:163], v[4:5], v[142:143]
	v_mul_f64_e32 v[142:143], v[6:7], v[142:143]
	;; [unrolled: 18-line block ×3, first 2 shown]
	v_add_f64_e32 v[154:155], v[170:171], v[168:169]
	v_add_f64_e32 v[160:161], v[160:161], v[162:163]
	s_wait_loadcnt_dscnt 0xa00
	v_mul_f64_e32 v[162:163], v[132:133], v[10:11]
	v_mul_f64_e32 v[10:11], v[134:135], v[10:11]
	v_fmac_f64_e32 v[164:165], v[6:7], v[156:157]
	v_fma_f64 v[156:157], v[4:5], v[156:157], -v[158:159]
	v_add_f64_e32 v[158:159], v[154:155], v[152:153]
	v_add_f64_e32 v[160:161], v[160:161], v[166:167]
	ds_load_b128 v[4:7], v2 offset:1280
	ds_load_b128 v[152:155], v2 offset:1296
	v_fmac_f64_e32 v[162:163], v[134:135], v[8:9]
	v_fma_f64 v[8:9], v[132:133], v[8:9], -v[10:11]
	s_wait_loadcnt_dscnt 0x901
	v_mul_f64_e32 v[166:167], v[4:5], v[146:147]
	v_mul_f64_e32 v[146:147], v[6:7], v[146:147]
	s_wait_loadcnt_dscnt 0x800
	v_mul_f64_e32 v[134:135], v[152:153], v[18:19]
	v_mul_f64_e32 v[18:19], v[154:155], v[18:19]
	v_add_f64_e32 v[10:11], v[158:159], v[156:157]
	v_add_f64_e32 v[132:133], v[160:161], v[164:165]
	v_fmac_f64_e32 v[166:167], v[6:7], v[144:145]
	v_fma_f64 v[144:145], v[4:5], v[144:145], -v[146:147]
	v_fmac_f64_e32 v[134:135], v[154:155], v[16:17]
	v_fma_f64 v[16:17], v[152:153], v[16:17], -v[18:19]
	v_add_f64_e32 v[146:147], v[10:11], v[8:9]
	v_add_f64_e32 v[132:133], v[132:133], v[162:163]
	ds_load_b128 v[4:7], v2 offset:1312
	ds_load_b128 v[8:11], v2 offset:1328
	s_wait_loadcnt_dscnt 0x701
	v_mul_f64_e32 v[156:157], v[4:5], v[138:139]
	v_mul_f64_e32 v[138:139], v[6:7], v[138:139]
	v_add_f64_e32 v[18:19], v[146:147], v[144:145]
	v_add_f64_e32 v[132:133], v[132:133], v[166:167]
	s_wait_loadcnt_dscnt 0x600
	v_mul_f64_e32 v[144:145], v[8:9], v[14:15]
	v_mul_f64_e32 v[146:147], v[10:11], v[14:15]
	v_fmac_f64_e32 v[156:157], v[6:7], v[136:137]
	v_fma_f64 v[136:137], v[4:5], v[136:137], -v[138:139]
	v_add_f64_e32 v[18:19], v[18:19], v[16:17]
	v_add_f64_e32 v[132:133], v[132:133], v[134:135]
	ds_load_b128 v[4:7], v2 offset:1344
	ds_load_b128 v[14:17], v2 offset:1360
	v_fmac_f64_e32 v[144:145], v[10:11], v[12:13]
	v_fma_f64 v[8:9], v[8:9], v[12:13], -v[146:147]
	s_wait_loadcnt_dscnt 0x501
	v_mul_f64_e32 v[134:135], v[4:5], v[30:31]
	v_mul_f64_e32 v[30:31], v[6:7], v[30:31]
	v_add_f64_e32 v[10:11], v[18:19], v[136:137]
	v_add_f64_e32 v[12:13], v[132:133], v[156:157]
	s_wait_loadcnt_dscnt 0x400
	v_mul_f64_e32 v[18:19], v[14:15], v[22:23]
	v_mul_f64_e32 v[22:23], v[16:17], v[22:23]
	v_fmac_f64_e32 v[134:135], v[6:7], v[28:29]
	v_fma_f64 v[28:29], v[4:5], v[28:29], -v[30:31]
	v_add_f64_e32 v[30:31], v[10:11], v[8:9]
	v_add_f64_e32 v[12:13], v[12:13], v[144:145]
	ds_load_b128 v[4:7], v2 offset:1376
	ds_load_b128 v[8:11], v2 offset:1392
	v_fmac_f64_e32 v[18:19], v[16:17], v[20:21]
	v_fma_f64 v[14:15], v[14:15], v[20:21], -v[22:23]
	s_wait_loadcnt_dscnt 0x301
	v_mul_f64_e32 v[132:133], v[4:5], v[130:131]
	v_mul_f64_e32 v[130:131], v[6:7], v[130:131]
	s_wait_loadcnt_dscnt 0x200
	v_mul_f64_e32 v[20:21], v[8:9], v[26:27]
	v_mul_f64_e32 v[22:23], v[10:11], v[26:27]
	v_add_f64_e32 v[16:17], v[30:31], v[28:29]
	v_add_f64_e32 v[12:13], v[12:13], v[134:135]
	v_fmac_f64_e32 v[132:133], v[6:7], v[128:129]
	v_fma_f64 v[26:27], v[4:5], v[128:129], -v[130:131]
	v_fmac_f64_e32 v[20:21], v[10:11], v[24:25]
	v_fma_f64 v[8:9], v[8:9], v[24:25], -v[22:23]
	v_add_f64_e32 v[16:17], v[16:17], v[14:15]
	v_add_f64_e32 v[18:19], v[12:13], v[18:19]
	ds_load_b128 v[4:7], v2 offset:1408
	ds_load_b128 v[12:15], v2 offset:1424
	s_wait_loadcnt_dscnt 0x101
	v_mul_f64_e32 v[2:3], v[4:5], v[142:143]
	v_mul_f64_e32 v[28:29], v[6:7], v[142:143]
	s_wait_loadcnt_dscnt 0x0
	v_mul_f64_e32 v[22:23], v[14:15], v[126:127]
	v_add_f64_e32 v[10:11], v[16:17], v[26:27]
	v_add_f64_e32 v[16:17], v[18:19], v[132:133]
	v_mul_f64_e32 v[18:19], v[12:13], v[126:127]
	v_fmac_f64_e32 v[2:3], v[6:7], v[140:141]
	v_fma_f64 v[4:5], v[4:5], v[140:141], -v[28:29]
	v_add_f64_e32 v[6:7], v[10:11], v[8:9]
	v_add_f64_e32 v[8:9], v[16:17], v[20:21]
	v_fmac_f64_e32 v[18:19], v[14:15], v[124:125]
	v_fma_f64 v[10:11], v[12:13], v[124:125], -v[22:23]
	s_delay_alu instid0(VALU_DEP_4) | instskip(NEXT) | instid1(VALU_DEP_4)
	v_add_f64_e32 v[4:5], v[6:7], v[4:5]
	v_add_f64_e32 v[2:3], v[8:9], v[2:3]
	s_delay_alu instid0(VALU_DEP_2) | instskip(NEXT) | instid1(VALU_DEP_2)
	v_add_f64_e32 v[4:5], v[4:5], v[10:11]
	v_add_f64_e32 v[6:7], v[2:3], v[18:19]
	s_delay_alu instid0(VALU_DEP_2) | instskip(NEXT) | instid1(VALU_DEP_2)
	v_add_f64_e64 v[2:3], v[148:149], -v[4:5]
	v_add_f64_e64 v[4:5], v[150:151], -v[6:7]
	scratch_store_b128 off, v[2:5], off offset:320
	s_wait_xcnt 0x0
	v_cmpx_lt_u32_e32 19, v1
	s_cbranch_execz .LBB44_245
; %bb.244:
	scratch_load_b128 v[2:5], off, s42
	v_mov_b32_e32 v6, 0
	s_delay_alu instid0(VALU_DEP_1)
	v_dual_mov_b32 v7, v6 :: v_dual_mov_b32 v8, v6
	v_mov_b32_e32 v9, v6
	scratch_store_b128 off, v[6:9], off offset:304
	s_wait_loadcnt 0x0
	ds_store_b128 v122, v[2:5]
.LBB44_245:
	s_wait_xcnt 0x0
	s_or_b32 exec_lo, exec_lo, s2
	s_wait_storecnt_dscnt 0x0
	s_barrier_signal -1
	s_barrier_wait -1
	s_clause 0x9
	scratch_load_b128 v[4:7], off, off offset:320
	scratch_load_b128 v[8:11], off, off offset:336
	scratch_load_b128 v[12:15], off, off offset:352
	scratch_load_b128 v[16:19], off, off offset:368
	scratch_load_b128 v[20:23], off, off offset:384
	scratch_load_b128 v[24:27], off, off offset:400
	scratch_load_b128 v[28:31], off, off offset:416
	scratch_load_b128 v[124:127], off, off offset:432
	scratch_load_b128 v[128:131], off, off offset:448
	scratch_load_b128 v[132:135], off, off offset:464
	v_mov_b32_e32 v2, 0
	s_mov_b32 s2, exec_lo
	ds_load_b128 v[136:139], v2 offset:1040
	s_clause 0x2
	scratch_load_b128 v[140:143], off, off offset:480
	scratch_load_b128 v[144:147], off, off offset:304
	;; [unrolled: 1-line block ×3, first 2 shown]
	s_wait_loadcnt_dscnt 0xc00
	v_mul_f64_e32 v[156:157], v[138:139], v[6:7]
	v_mul_f64_e32 v[160:161], v[136:137], v[6:7]
	ds_load_b128 v[148:151], v2 offset:1056
	v_fma_f64 v[164:165], v[136:137], v[4:5], -v[156:157]
	v_fmac_f64_e32 v[160:161], v[138:139], v[4:5]
	ds_load_b128 v[4:7], v2 offset:1072
	s_wait_loadcnt_dscnt 0xb01
	v_mul_f64_e32 v[162:163], v[148:149], v[10:11]
	v_mul_f64_e32 v[10:11], v[150:151], v[10:11]
	scratch_load_b128 v[136:139], off, off offset:512
	ds_load_b128 v[156:159], v2 offset:1088
	s_wait_loadcnt_dscnt 0xb01
	v_mul_f64_e32 v[166:167], v[4:5], v[14:15]
	v_mul_f64_e32 v[14:15], v[6:7], v[14:15]
	v_add_f64_e32 v[160:161], 0, v[160:161]
	v_fmac_f64_e32 v[162:163], v[150:151], v[8:9]
	v_fma_f64 v[148:149], v[148:149], v[8:9], -v[10:11]
	v_add_f64_e32 v[150:151], 0, v[164:165]
	scratch_load_b128 v[8:11], off, off offset:528
	v_fmac_f64_e32 v[166:167], v[6:7], v[12:13]
	v_fma_f64 v[168:169], v[4:5], v[12:13], -v[14:15]
	ds_load_b128 v[4:7], v2 offset:1104
	s_wait_loadcnt_dscnt 0xb01
	v_mul_f64_e32 v[164:165], v[156:157], v[18:19]
	v_mul_f64_e32 v[18:19], v[158:159], v[18:19]
	scratch_load_b128 v[12:15], off, off offset:544
	v_add_f64_e32 v[160:161], v[160:161], v[162:163]
	v_add_f64_e32 v[170:171], v[150:151], v[148:149]
	ds_load_b128 v[148:151], v2 offset:1120
	s_wait_loadcnt_dscnt 0xb01
	v_mul_f64_e32 v[162:163], v[4:5], v[22:23]
	v_mul_f64_e32 v[22:23], v[6:7], v[22:23]
	v_fmac_f64_e32 v[164:165], v[158:159], v[16:17]
	v_fma_f64 v[156:157], v[156:157], v[16:17], -v[18:19]
	scratch_load_b128 v[16:19], off, off offset:560
	v_add_f64_e32 v[160:161], v[160:161], v[166:167]
	v_add_f64_e32 v[158:159], v[170:171], v[168:169]
	v_fmac_f64_e32 v[162:163], v[6:7], v[20:21]
	v_fma_f64 v[168:169], v[4:5], v[20:21], -v[22:23]
	ds_load_b128 v[4:7], v2 offset:1136
	s_wait_loadcnt_dscnt 0xb01
	v_mul_f64_e32 v[166:167], v[148:149], v[26:27]
	v_mul_f64_e32 v[26:27], v[150:151], v[26:27]
	scratch_load_b128 v[20:23], off, off offset:576
	v_add_f64_e32 v[160:161], v[160:161], v[164:165]
	s_wait_loadcnt_dscnt 0xb00
	v_mul_f64_e32 v[164:165], v[4:5], v[30:31]
	v_add_f64_e32 v[170:171], v[158:159], v[156:157]
	v_mul_f64_e32 v[30:31], v[6:7], v[30:31]
	ds_load_b128 v[156:159], v2 offset:1152
	v_fmac_f64_e32 v[166:167], v[150:151], v[24:25]
	v_fma_f64 v[148:149], v[148:149], v[24:25], -v[26:27]
	scratch_load_b128 v[24:27], off, off offset:592
	v_add_f64_e32 v[160:161], v[160:161], v[162:163]
	v_fmac_f64_e32 v[164:165], v[6:7], v[28:29]
	v_add_f64_e32 v[150:151], v[170:171], v[168:169]
	v_fma_f64 v[168:169], v[4:5], v[28:29], -v[30:31]
	ds_load_b128 v[4:7], v2 offset:1168
	s_wait_loadcnt_dscnt 0xb01
	v_mul_f64_e32 v[162:163], v[156:157], v[126:127]
	v_mul_f64_e32 v[126:127], v[158:159], v[126:127]
	scratch_load_b128 v[28:31], off, off offset:608
	v_add_f64_e32 v[160:161], v[160:161], v[166:167]
	s_wait_loadcnt_dscnt 0xb00
	v_mul_f64_e32 v[166:167], v[4:5], v[130:131]
	v_add_f64_e32 v[170:171], v[150:151], v[148:149]
	v_mul_f64_e32 v[130:131], v[6:7], v[130:131]
	ds_load_b128 v[148:151], v2 offset:1184
	v_fmac_f64_e32 v[162:163], v[158:159], v[124:125]
	v_fma_f64 v[156:157], v[156:157], v[124:125], -v[126:127]
	scratch_load_b128 v[124:127], off, off offset:624
	v_add_f64_e32 v[160:161], v[160:161], v[164:165]
	v_fmac_f64_e32 v[166:167], v[6:7], v[128:129]
	v_add_f64_e32 v[158:159], v[170:171], v[168:169]
	v_fma_f64 v[168:169], v[4:5], v[128:129], -v[130:131]
	ds_load_b128 v[4:7], v2 offset:1200
	s_wait_loadcnt_dscnt 0xb01
	v_mul_f64_e32 v[164:165], v[148:149], v[134:135]
	v_mul_f64_e32 v[134:135], v[150:151], v[134:135]
	scratch_load_b128 v[128:131], off, off offset:640
	v_add_f64_e32 v[160:161], v[160:161], v[162:163]
	s_wait_loadcnt_dscnt 0xb00
	v_mul_f64_e32 v[162:163], v[4:5], v[142:143]
	v_add_f64_e32 v[170:171], v[158:159], v[156:157]
	v_mul_f64_e32 v[142:143], v[6:7], v[142:143]
	ds_load_b128 v[156:159], v2 offset:1216
	v_fmac_f64_e32 v[164:165], v[150:151], v[132:133]
	v_fma_f64 v[148:149], v[148:149], v[132:133], -v[134:135]
	scratch_load_b128 v[132:135], off, off offset:656
	v_add_f64_e32 v[160:161], v[160:161], v[166:167]
	v_fmac_f64_e32 v[162:163], v[6:7], v[140:141]
	v_add_f64_e32 v[150:151], v[170:171], v[168:169]
	v_fma_f64 v[168:169], v[4:5], v[140:141], -v[142:143]
	ds_load_b128 v[4:7], v2 offset:1232
	s_wait_loadcnt_dscnt 0xa01
	v_mul_f64_e32 v[166:167], v[156:157], v[154:155]
	v_mul_f64_e32 v[154:155], v[158:159], v[154:155]
	scratch_load_b128 v[140:143], off, off offset:672
	v_add_f64_e32 v[160:161], v[160:161], v[164:165]
	v_add_f64_e32 v[170:171], v[150:151], v[148:149]
	s_wait_loadcnt_dscnt 0xa00
	v_mul_f64_e32 v[164:165], v[4:5], v[138:139]
	v_mul_f64_e32 v[138:139], v[6:7], v[138:139]
	v_fmac_f64_e32 v[166:167], v[158:159], v[152:153]
	v_fma_f64 v[156:157], v[156:157], v[152:153], -v[154:155]
	ds_load_b128 v[148:151], v2 offset:1248
	scratch_load_b128 v[152:155], off, off offset:688
	v_add_f64_e32 v[160:161], v[160:161], v[162:163]
	v_add_f64_e32 v[158:159], v[170:171], v[168:169]
	v_fmac_f64_e32 v[164:165], v[6:7], v[136:137]
	v_fma_f64 v[168:169], v[4:5], v[136:137], -v[138:139]
	ds_load_b128 v[4:7], v2 offset:1264
	s_wait_loadcnt_dscnt 0xa01
	v_mul_f64_e32 v[162:163], v[148:149], v[10:11]
	v_mul_f64_e32 v[10:11], v[150:151], v[10:11]
	scratch_load_b128 v[136:139], off, off offset:704
	v_add_f64_e32 v[160:161], v[160:161], v[166:167]
	s_wait_loadcnt_dscnt 0xa00
	v_mul_f64_e32 v[166:167], v[4:5], v[14:15]
	v_add_f64_e32 v[170:171], v[158:159], v[156:157]
	v_mul_f64_e32 v[14:15], v[6:7], v[14:15]
	ds_load_b128 v[156:159], v2 offset:1280
	v_fmac_f64_e32 v[162:163], v[150:151], v[8:9]
	v_fma_f64 v[8:9], v[148:149], v[8:9], -v[10:11]
	s_wait_loadcnt_dscnt 0x900
	v_mul_f64_e32 v[150:151], v[156:157], v[18:19]
	v_mul_f64_e32 v[18:19], v[158:159], v[18:19]
	v_add_f64_e32 v[148:149], v[160:161], v[164:165]
	v_fmac_f64_e32 v[166:167], v[6:7], v[12:13]
	v_add_f64_e32 v[10:11], v[170:171], v[168:169]
	v_fma_f64 v[12:13], v[4:5], v[12:13], -v[14:15]
	v_fmac_f64_e32 v[150:151], v[158:159], v[16:17]
	v_fma_f64 v[16:17], v[156:157], v[16:17], -v[18:19]
	v_add_f64_e32 v[148:149], v[148:149], v[162:163]
	v_add_f64_e32 v[14:15], v[10:11], v[8:9]
	ds_load_b128 v[4:7], v2 offset:1296
	ds_load_b128 v[8:11], v2 offset:1312
	s_wait_loadcnt_dscnt 0x801
	v_mul_f64_e32 v[160:161], v[4:5], v[22:23]
	v_mul_f64_e32 v[22:23], v[6:7], v[22:23]
	s_wait_loadcnt_dscnt 0x700
	v_mul_f64_e32 v[18:19], v[8:9], v[26:27]
	v_mul_f64_e32 v[26:27], v[10:11], v[26:27]
	v_add_f64_e32 v[12:13], v[14:15], v[12:13]
	v_add_f64_e32 v[14:15], v[148:149], v[166:167]
	v_fmac_f64_e32 v[160:161], v[6:7], v[20:21]
	v_fma_f64 v[20:21], v[4:5], v[20:21], -v[22:23]
	v_fmac_f64_e32 v[18:19], v[10:11], v[24:25]
	v_fma_f64 v[8:9], v[8:9], v[24:25], -v[26:27]
	v_add_f64_e32 v[16:17], v[12:13], v[16:17]
	v_add_f64_e32 v[22:23], v[14:15], v[150:151]
	ds_load_b128 v[4:7], v2 offset:1328
	ds_load_b128 v[12:15], v2 offset:1344
	s_wait_loadcnt_dscnt 0x601
	v_mul_f64_e32 v[148:149], v[4:5], v[30:31]
	v_mul_f64_e32 v[30:31], v[6:7], v[30:31]
	v_add_f64_e32 v[10:11], v[16:17], v[20:21]
	v_add_f64_e32 v[16:17], v[22:23], v[160:161]
	s_wait_loadcnt_dscnt 0x500
	v_mul_f64_e32 v[20:21], v[12:13], v[126:127]
	v_mul_f64_e32 v[22:23], v[14:15], v[126:127]
	v_fmac_f64_e32 v[148:149], v[6:7], v[28:29]
	v_fma_f64 v[24:25], v[4:5], v[28:29], -v[30:31]
	v_add_f64_e32 v[26:27], v[10:11], v[8:9]
	v_add_f64_e32 v[16:17], v[16:17], v[18:19]
	ds_load_b128 v[4:7], v2 offset:1360
	ds_load_b128 v[8:11], v2 offset:1376
	v_fmac_f64_e32 v[20:21], v[14:15], v[124:125]
	v_fma_f64 v[12:13], v[12:13], v[124:125], -v[22:23]
	s_wait_loadcnt_dscnt 0x401
	v_mul_f64_e32 v[18:19], v[4:5], v[130:131]
	v_mul_f64_e32 v[28:29], v[6:7], v[130:131]
	s_wait_loadcnt_dscnt 0x300
	v_mul_f64_e32 v[22:23], v[8:9], v[134:135]
	v_add_f64_e32 v[14:15], v[26:27], v[24:25]
	v_add_f64_e32 v[16:17], v[16:17], v[148:149]
	v_mul_f64_e32 v[24:25], v[10:11], v[134:135]
	v_fmac_f64_e32 v[18:19], v[6:7], v[128:129]
	v_fma_f64 v[26:27], v[4:5], v[128:129], -v[28:29]
	v_fmac_f64_e32 v[22:23], v[10:11], v[132:133]
	v_add_f64_e32 v[28:29], v[14:15], v[12:13]
	v_add_f64_e32 v[16:17], v[16:17], v[20:21]
	ds_load_b128 v[4:7], v2 offset:1392
	ds_load_b128 v[12:15], v2 offset:1408
	v_fma_f64 v[8:9], v[8:9], v[132:133], -v[24:25]
	s_wait_loadcnt_dscnt 0x201
	v_mul_f64_e32 v[20:21], v[4:5], v[142:143]
	v_mul_f64_e32 v[30:31], v[6:7], v[142:143]
	s_wait_loadcnt_dscnt 0x100
	v_mul_f64_e32 v[24:25], v[14:15], v[154:155]
	v_add_f64_e32 v[10:11], v[28:29], v[26:27]
	v_add_f64_e32 v[16:17], v[16:17], v[18:19]
	v_mul_f64_e32 v[18:19], v[12:13], v[154:155]
	v_fmac_f64_e32 v[20:21], v[6:7], v[140:141]
	v_fma_f64 v[26:27], v[4:5], v[140:141], -v[30:31]
	ds_load_b128 v[4:7], v2 offset:1424
	v_fma_f64 v[12:13], v[12:13], v[152:153], -v[24:25]
	v_add_f64_e32 v[8:9], v[10:11], v[8:9]
	v_add_f64_e32 v[10:11], v[16:17], v[22:23]
	v_fmac_f64_e32 v[18:19], v[14:15], v[152:153]
	s_wait_loadcnt_dscnt 0x0
	v_mul_f64_e32 v[16:17], v[4:5], v[138:139]
	v_mul_f64_e32 v[22:23], v[6:7], v[138:139]
	v_add_f64_e32 v[8:9], v[8:9], v[26:27]
	v_add_f64_e32 v[10:11], v[10:11], v[20:21]
	s_delay_alu instid0(VALU_DEP_4) | instskip(NEXT) | instid1(VALU_DEP_4)
	v_fmac_f64_e32 v[16:17], v[6:7], v[136:137]
	v_fma_f64 v[4:5], v[4:5], v[136:137], -v[22:23]
	s_delay_alu instid0(VALU_DEP_4) | instskip(NEXT) | instid1(VALU_DEP_4)
	v_add_f64_e32 v[6:7], v[8:9], v[12:13]
	v_add_f64_e32 v[8:9], v[10:11], v[18:19]
	s_delay_alu instid0(VALU_DEP_2) | instskip(NEXT) | instid1(VALU_DEP_2)
	v_add_f64_e32 v[4:5], v[6:7], v[4:5]
	v_add_f64_e32 v[6:7], v[8:9], v[16:17]
	s_delay_alu instid0(VALU_DEP_2) | instskip(NEXT) | instid1(VALU_DEP_2)
	v_add_f64_e64 v[4:5], v[144:145], -v[4:5]
	v_add_f64_e64 v[6:7], v[146:147], -v[6:7]
	scratch_store_b128 off, v[4:7], off offset:304
	s_wait_xcnt 0x0
	v_cmpx_lt_u32_e32 18, v1
	s_cbranch_execz .LBB44_247
; %bb.246:
	scratch_load_b128 v[6:9], off, s40
	v_dual_mov_b32 v3, v2 :: v_dual_mov_b32 v4, v2
	v_mov_b32_e32 v5, v2
	scratch_store_b128 off, v[2:5], off offset:288
	s_wait_loadcnt 0x0
	ds_store_b128 v122, v[6:9]
.LBB44_247:
	s_wait_xcnt 0x0
	s_or_b32 exec_lo, exec_lo, s2
	s_wait_storecnt_dscnt 0x0
	s_barrier_signal -1
	s_barrier_wait -1
	s_clause 0x9
	scratch_load_b128 v[4:7], off, off offset:304
	scratch_load_b128 v[8:11], off, off offset:320
	;; [unrolled: 1-line block ×10, first 2 shown]
	ds_load_b128 v[136:139], v2 offset:1024
	ds_load_b128 v[144:147], v2 offset:1040
	s_clause 0x2
	scratch_load_b128 v[140:143], off, off offset:464
	scratch_load_b128 v[148:151], off, off offset:288
	;; [unrolled: 1-line block ×3, first 2 shown]
	s_mov_b32 s2, exec_lo
	s_wait_loadcnt_dscnt 0xc01
	v_mul_f64_e32 v[156:157], v[138:139], v[6:7]
	v_mul_f64_e32 v[160:161], v[136:137], v[6:7]
	s_wait_loadcnt_dscnt 0xb00
	v_mul_f64_e32 v[162:163], v[144:145], v[10:11]
	v_mul_f64_e32 v[10:11], v[146:147], v[10:11]
	s_delay_alu instid0(VALU_DEP_4) | instskip(NEXT) | instid1(VALU_DEP_4)
	v_fma_f64 v[164:165], v[136:137], v[4:5], -v[156:157]
	v_fmac_f64_e32 v[160:161], v[138:139], v[4:5]
	ds_load_b128 v[4:7], v2 offset:1056
	ds_load_b128 v[136:139], v2 offset:1072
	scratch_load_b128 v[156:159], off, off offset:496
	v_fmac_f64_e32 v[162:163], v[146:147], v[8:9]
	v_fma_f64 v[144:145], v[144:145], v[8:9], -v[10:11]
	scratch_load_b128 v[8:11], off, off offset:512
	s_wait_loadcnt_dscnt 0xc01
	v_mul_f64_e32 v[166:167], v[4:5], v[14:15]
	v_mul_f64_e32 v[14:15], v[6:7], v[14:15]
	v_add_f64_e32 v[146:147], 0, v[164:165]
	v_add_f64_e32 v[160:161], 0, v[160:161]
	s_wait_loadcnt_dscnt 0xb00
	v_mul_f64_e32 v[164:165], v[136:137], v[18:19]
	v_mul_f64_e32 v[18:19], v[138:139], v[18:19]
	v_fmac_f64_e32 v[166:167], v[6:7], v[12:13]
	v_fma_f64 v[168:169], v[4:5], v[12:13], -v[14:15]
	ds_load_b128 v[4:7], v2 offset:1088
	ds_load_b128 v[12:15], v2 offset:1104
	v_add_f64_e32 v[170:171], v[146:147], v[144:145]
	v_add_f64_e32 v[160:161], v[160:161], v[162:163]
	scratch_load_b128 v[144:147], off, off offset:528
	v_fmac_f64_e32 v[164:165], v[138:139], v[16:17]
	v_fma_f64 v[136:137], v[136:137], v[16:17], -v[18:19]
	scratch_load_b128 v[16:19], off, off offset:544
	s_wait_loadcnt_dscnt 0xc01
	v_mul_f64_e32 v[162:163], v[4:5], v[22:23]
	v_mul_f64_e32 v[22:23], v[6:7], v[22:23]
	v_add_f64_e32 v[138:139], v[170:171], v[168:169]
	v_add_f64_e32 v[160:161], v[160:161], v[166:167]
	s_wait_loadcnt_dscnt 0xb00
	v_mul_f64_e32 v[166:167], v[12:13], v[26:27]
	v_mul_f64_e32 v[26:27], v[14:15], v[26:27]
	v_fmac_f64_e32 v[162:163], v[6:7], v[20:21]
	v_fma_f64 v[168:169], v[4:5], v[20:21], -v[22:23]
	ds_load_b128 v[4:7], v2 offset:1120
	ds_load_b128 v[20:23], v2 offset:1136
	v_add_f64_e32 v[170:171], v[138:139], v[136:137]
	v_add_f64_e32 v[160:161], v[160:161], v[164:165]
	scratch_load_b128 v[136:139], off, off offset:560
	s_wait_loadcnt_dscnt 0xb01
	v_mul_f64_e32 v[164:165], v[4:5], v[30:31]
	v_mul_f64_e32 v[30:31], v[6:7], v[30:31]
	v_fmac_f64_e32 v[166:167], v[14:15], v[24:25]
	v_fma_f64 v[24:25], v[12:13], v[24:25], -v[26:27]
	scratch_load_b128 v[12:15], off, off offset:576
	v_add_f64_e32 v[26:27], v[170:171], v[168:169]
	v_add_f64_e32 v[160:161], v[160:161], v[162:163]
	s_wait_loadcnt_dscnt 0xb00
	v_mul_f64_e32 v[162:163], v[20:21], v[126:127]
	v_mul_f64_e32 v[126:127], v[22:23], v[126:127]
	v_fmac_f64_e32 v[164:165], v[6:7], v[28:29]
	v_fma_f64 v[168:169], v[4:5], v[28:29], -v[30:31]
	v_add_f64_e32 v[170:171], v[26:27], v[24:25]
	v_add_f64_e32 v[160:161], v[160:161], v[166:167]
	ds_load_b128 v[4:7], v2 offset:1152
	ds_load_b128 v[24:27], v2 offset:1168
	scratch_load_b128 v[28:31], off, off offset:592
	v_fmac_f64_e32 v[162:163], v[22:23], v[124:125]
	v_fma_f64 v[124:125], v[20:21], v[124:125], -v[126:127]
	scratch_load_b128 v[20:23], off, off offset:608
	s_wait_loadcnt_dscnt 0xc01
	v_mul_f64_e32 v[166:167], v[4:5], v[130:131]
	v_mul_f64_e32 v[130:131], v[6:7], v[130:131]
	v_add_f64_e32 v[126:127], v[170:171], v[168:169]
	v_add_f64_e32 v[160:161], v[160:161], v[164:165]
	s_wait_loadcnt_dscnt 0xb00
	v_mul_f64_e32 v[164:165], v[24:25], v[134:135]
	v_mul_f64_e32 v[134:135], v[26:27], v[134:135]
	v_fmac_f64_e32 v[166:167], v[6:7], v[128:129]
	v_fma_f64 v[168:169], v[4:5], v[128:129], -v[130:131]
	v_add_f64_e32 v[170:171], v[126:127], v[124:125]
	v_add_f64_e32 v[160:161], v[160:161], v[162:163]
	ds_load_b128 v[4:7], v2 offset:1184
	ds_load_b128 v[124:127], v2 offset:1200
	scratch_load_b128 v[128:131], off, off offset:624
	v_fmac_f64_e32 v[164:165], v[26:27], v[132:133]
	v_fma_f64 v[132:133], v[24:25], v[132:133], -v[134:135]
	scratch_load_b128 v[24:27], off, off offset:640
	s_wait_loadcnt_dscnt 0xc01
	v_mul_f64_e32 v[162:163], v[4:5], v[142:143]
	v_mul_f64_e32 v[142:143], v[6:7], v[142:143]
	;; [unrolled: 18-line block ×4, first 2 shown]
	v_add_f64_e32 v[134:135], v[170:171], v[168:169]
	v_add_f64_e32 v[160:161], v[160:161], v[164:165]
	s_wait_loadcnt_dscnt 0xa00
	v_mul_f64_e32 v[164:165], v[152:153], v[18:19]
	v_mul_f64_e32 v[18:19], v[154:155], v[18:19]
	v_fmac_f64_e32 v[166:167], v[6:7], v[144:145]
	v_fma_f64 v[144:145], v[4:5], v[144:145], -v[146:147]
	v_add_f64_e32 v[146:147], v[134:135], v[132:133]
	v_add_f64_e32 v[160:161], v[160:161], v[162:163]
	ds_load_b128 v[4:7], v2 offset:1280
	ds_load_b128 v[132:135], v2 offset:1296
	v_fmac_f64_e32 v[164:165], v[154:155], v[16:17]
	v_fma_f64 v[16:17], v[152:153], v[16:17], -v[18:19]
	s_wait_loadcnt_dscnt 0x901
	v_mul_f64_e32 v[162:163], v[4:5], v[138:139]
	v_mul_f64_e32 v[138:139], v[6:7], v[138:139]
	s_wait_loadcnt_dscnt 0x800
	v_mul_f64_e32 v[152:153], v[134:135], v[14:15]
	v_add_f64_e32 v[18:19], v[146:147], v[144:145]
	v_add_f64_e32 v[144:145], v[160:161], v[166:167]
	v_mul_f64_e32 v[146:147], v[132:133], v[14:15]
	v_fmac_f64_e32 v[162:163], v[6:7], v[136:137]
	v_fma_f64 v[136:137], v[4:5], v[136:137], -v[138:139]
	v_add_f64_e32 v[18:19], v[18:19], v[16:17]
	v_add_f64_e32 v[138:139], v[144:145], v[164:165]
	ds_load_b128 v[4:7], v2 offset:1312
	ds_load_b128 v[14:17], v2 offset:1328
	v_fmac_f64_e32 v[146:147], v[134:135], v[12:13]
	v_fma_f64 v[12:13], v[132:133], v[12:13], -v[152:153]
	s_wait_loadcnt_dscnt 0x701
	v_mul_f64_e32 v[144:145], v[4:5], v[30:31]
	v_mul_f64_e32 v[30:31], v[6:7], v[30:31]
	s_wait_loadcnt_dscnt 0x600
	v_mul_f64_e32 v[134:135], v[14:15], v[22:23]
	v_mul_f64_e32 v[22:23], v[16:17], v[22:23]
	v_add_f64_e32 v[18:19], v[18:19], v[136:137]
	v_add_f64_e32 v[132:133], v[138:139], v[162:163]
	v_fmac_f64_e32 v[144:145], v[6:7], v[28:29]
	v_fma_f64 v[136:137], v[4:5], v[28:29], -v[30:31]
	ds_load_b128 v[4:7], v2 offset:1344
	ds_load_b128 v[28:31], v2 offset:1360
	v_fmac_f64_e32 v[134:135], v[16:17], v[20:21]
	v_fma_f64 v[14:15], v[14:15], v[20:21], -v[22:23]
	v_add_f64_e32 v[12:13], v[18:19], v[12:13]
	v_add_f64_e32 v[18:19], v[132:133], v[146:147]
	s_wait_loadcnt_dscnt 0x501
	v_mul_f64_e32 v[132:133], v[4:5], v[130:131]
	v_mul_f64_e32 v[130:131], v[6:7], v[130:131]
	s_wait_loadcnt_dscnt 0x400
	v_mul_f64_e32 v[20:21], v[30:31], v[26:27]
	v_add_f64_e32 v[12:13], v[12:13], v[136:137]
	v_add_f64_e32 v[16:17], v[18:19], v[144:145]
	v_mul_f64_e32 v[18:19], v[28:29], v[26:27]
	v_fmac_f64_e32 v[132:133], v[6:7], v[128:129]
	v_fma_f64 v[22:23], v[4:5], v[128:129], -v[130:131]
	v_fma_f64 v[20:21], v[28:29], v[24:25], -v[20:21]
	v_add_f64_e32 v[26:27], v[12:13], v[14:15]
	v_add_f64_e32 v[16:17], v[16:17], v[134:135]
	ds_load_b128 v[4:7], v2 offset:1376
	ds_load_b128 v[12:15], v2 offset:1392
	v_fmac_f64_e32 v[18:19], v[30:31], v[24:25]
	s_wait_loadcnt_dscnt 0x301
	v_mul_f64_e32 v[128:129], v[4:5], v[142:143]
	v_mul_f64_e32 v[130:131], v[6:7], v[142:143]
	s_wait_loadcnt_dscnt 0x200
	v_mul_f64_e32 v[24:25], v[12:13], v[126:127]
	v_add_f64_e32 v[22:23], v[26:27], v[22:23]
	v_add_f64_e32 v[16:17], v[16:17], v[132:133]
	v_mul_f64_e32 v[26:27], v[14:15], v[126:127]
	v_fmac_f64_e32 v[128:129], v[6:7], v[140:141]
	v_fma_f64 v[28:29], v[4:5], v[140:141], -v[130:131]
	v_fmac_f64_e32 v[24:25], v[14:15], v[124:125]
	v_add_f64_e32 v[20:21], v[22:23], v[20:21]
	v_add_f64_e32 v[22:23], v[16:17], v[18:19]
	ds_load_b128 v[4:7], v2 offset:1408
	ds_load_b128 v[16:19], v2 offset:1424
	v_fma_f64 v[12:13], v[12:13], v[124:125], -v[26:27]
	s_wait_loadcnt_dscnt 0x101
	v_mul_f64_e32 v[2:3], v[4:5], v[158:159]
	v_mul_f64_e32 v[30:31], v[6:7], v[158:159]
	v_add_f64_e32 v[14:15], v[20:21], v[28:29]
	v_add_f64_e32 v[20:21], v[22:23], v[128:129]
	s_wait_loadcnt_dscnt 0x0
	v_mul_f64_e32 v[22:23], v[16:17], v[10:11]
	v_mul_f64_e32 v[10:11], v[18:19], v[10:11]
	v_fmac_f64_e32 v[2:3], v[6:7], v[156:157]
	v_fma_f64 v[4:5], v[4:5], v[156:157], -v[30:31]
	v_add_f64_e32 v[6:7], v[14:15], v[12:13]
	v_add_f64_e32 v[12:13], v[20:21], v[24:25]
	v_fmac_f64_e32 v[22:23], v[18:19], v[8:9]
	v_fma_f64 v[8:9], v[16:17], v[8:9], -v[10:11]
	s_delay_alu instid0(VALU_DEP_4) | instskip(NEXT) | instid1(VALU_DEP_4)
	v_add_f64_e32 v[4:5], v[6:7], v[4:5]
	v_add_f64_e32 v[2:3], v[12:13], v[2:3]
	s_delay_alu instid0(VALU_DEP_2) | instskip(NEXT) | instid1(VALU_DEP_2)
	v_add_f64_e32 v[4:5], v[4:5], v[8:9]
	v_add_f64_e32 v[6:7], v[2:3], v[22:23]
	s_delay_alu instid0(VALU_DEP_2) | instskip(NEXT) | instid1(VALU_DEP_2)
	v_add_f64_e64 v[2:3], v[148:149], -v[4:5]
	v_add_f64_e64 v[4:5], v[150:151], -v[6:7]
	scratch_store_b128 off, v[2:5], off offset:288
	s_wait_xcnt 0x0
	v_cmpx_lt_u32_e32 17, v1
	s_cbranch_execz .LBB44_249
; %bb.248:
	scratch_load_b128 v[2:5], off, s37
	v_mov_b32_e32 v6, 0
	s_delay_alu instid0(VALU_DEP_1)
	v_dual_mov_b32 v7, v6 :: v_dual_mov_b32 v8, v6
	v_mov_b32_e32 v9, v6
	scratch_store_b128 off, v[6:9], off offset:272
	s_wait_loadcnt 0x0
	ds_store_b128 v122, v[2:5]
.LBB44_249:
	s_wait_xcnt 0x0
	s_or_b32 exec_lo, exec_lo, s2
	s_wait_storecnt_dscnt 0x0
	s_barrier_signal -1
	s_barrier_wait -1
	s_clause 0x9
	scratch_load_b128 v[4:7], off, off offset:288
	scratch_load_b128 v[8:11], off, off offset:304
	;; [unrolled: 1-line block ×10, first 2 shown]
	v_mov_b32_e32 v2, 0
	s_mov_b32 s2, exec_lo
	ds_load_b128 v[136:139], v2 offset:1008
	s_clause 0x2
	scratch_load_b128 v[140:143], off, off offset:448
	scratch_load_b128 v[144:147], off, off offset:272
	;; [unrolled: 1-line block ×3, first 2 shown]
	s_wait_loadcnt_dscnt 0xc00
	v_mul_f64_e32 v[156:157], v[138:139], v[6:7]
	v_mul_f64_e32 v[160:161], v[136:137], v[6:7]
	ds_load_b128 v[148:151], v2 offset:1024
	v_fma_f64 v[164:165], v[136:137], v[4:5], -v[156:157]
	v_fmac_f64_e32 v[160:161], v[138:139], v[4:5]
	ds_load_b128 v[4:7], v2 offset:1040
	s_wait_loadcnt_dscnt 0xb01
	v_mul_f64_e32 v[162:163], v[148:149], v[10:11]
	v_mul_f64_e32 v[10:11], v[150:151], v[10:11]
	scratch_load_b128 v[136:139], off, off offset:480
	ds_load_b128 v[156:159], v2 offset:1056
	s_wait_loadcnt_dscnt 0xb01
	v_mul_f64_e32 v[166:167], v[4:5], v[14:15]
	v_mul_f64_e32 v[14:15], v[6:7], v[14:15]
	v_add_f64_e32 v[160:161], 0, v[160:161]
	v_fmac_f64_e32 v[162:163], v[150:151], v[8:9]
	v_fma_f64 v[148:149], v[148:149], v[8:9], -v[10:11]
	v_add_f64_e32 v[150:151], 0, v[164:165]
	scratch_load_b128 v[8:11], off, off offset:496
	v_fmac_f64_e32 v[166:167], v[6:7], v[12:13]
	v_fma_f64 v[168:169], v[4:5], v[12:13], -v[14:15]
	ds_load_b128 v[4:7], v2 offset:1072
	s_wait_loadcnt_dscnt 0xb01
	v_mul_f64_e32 v[164:165], v[156:157], v[18:19]
	v_mul_f64_e32 v[18:19], v[158:159], v[18:19]
	scratch_load_b128 v[12:15], off, off offset:512
	v_add_f64_e32 v[160:161], v[160:161], v[162:163]
	v_add_f64_e32 v[170:171], v[150:151], v[148:149]
	ds_load_b128 v[148:151], v2 offset:1088
	s_wait_loadcnt_dscnt 0xb01
	v_mul_f64_e32 v[162:163], v[4:5], v[22:23]
	v_mul_f64_e32 v[22:23], v[6:7], v[22:23]
	v_fmac_f64_e32 v[164:165], v[158:159], v[16:17]
	v_fma_f64 v[156:157], v[156:157], v[16:17], -v[18:19]
	scratch_load_b128 v[16:19], off, off offset:528
	v_add_f64_e32 v[160:161], v[160:161], v[166:167]
	v_add_f64_e32 v[158:159], v[170:171], v[168:169]
	v_fmac_f64_e32 v[162:163], v[6:7], v[20:21]
	v_fma_f64 v[168:169], v[4:5], v[20:21], -v[22:23]
	ds_load_b128 v[4:7], v2 offset:1104
	s_wait_loadcnt_dscnt 0xb01
	v_mul_f64_e32 v[166:167], v[148:149], v[26:27]
	v_mul_f64_e32 v[26:27], v[150:151], v[26:27]
	scratch_load_b128 v[20:23], off, off offset:544
	v_add_f64_e32 v[160:161], v[160:161], v[164:165]
	s_wait_loadcnt_dscnt 0xb00
	v_mul_f64_e32 v[164:165], v[4:5], v[30:31]
	v_add_f64_e32 v[170:171], v[158:159], v[156:157]
	v_mul_f64_e32 v[30:31], v[6:7], v[30:31]
	ds_load_b128 v[156:159], v2 offset:1120
	v_fmac_f64_e32 v[166:167], v[150:151], v[24:25]
	v_fma_f64 v[148:149], v[148:149], v[24:25], -v[26:27]
	scratch_load_b128 v[24:27], off, off offset:560
	v_add_f64_e32 v[160:161], v[160:161], v[162:163]
	v_fmac_f64_e32 v[164:165], v[6:7], v[28:29]
	v_add_f64_e32 v[150:151], v[170:171], v[168:169]
	v_fma_f64 v[168:169], v[4:5], v[28:29], -v[30:31]
	ds_load_b128 v[4:7], v2 offset:1136
	s_wait_loadcnt_dscnt 0xb01
	v_mul_f64_e32 v[162:163], v[156:157], v[126:127]
	v_mul_f64_e32 v[126:127], v[158:159], v[126:127]
	scratch_load_b128 v[28:31], off, off offset:576
	v_add_f64_e32 v[160:161], v[160:161], v[166:167]
	s_wait_loadcnt_dscnt 0xb00
	v_mul_f64_e32 v[166:167], v[4:5], v[130:131]
	v_add_f64_e32 v[170:171], v[150:151], v[148:149]
	v_mul_f64_e32 v[130:131], v[6:7], v[130:131]
	ds_load_b128 v[148:151], v2 offset:1152
	v_fmac_f64_e32 v[162:163], v[158:159], v[124:125]
	v_fma_f64 v[156:157], v[156:157], v[124:125], -v[126:127]
	scratch_load_b128 v[124:127], off, off offset:592
	v_add_f64_e32 v[160:161], v[160:161], v[164:165]
	v_fmac_f64_e32 v[166:167], v[6:7], v[128:129]
	v_add_f64_e32 v[158:159], v[170:171], v[168:169]
	;; [unrolled: 18-line block ×3, first 2 shown]
	v_fma_f64 v[168:169], v[4:5], v[140:141], -v[142:143]
	ds_load_b128 v[4:7], v2 offset:1200
	s_wait_loadcnt_dscnt 0xa01
	v_mul_f64_e32 v[166:167], v[156:157], v[154:155]
	v_mul_f64_e32 v[154:155], v[158:159], v[154:155]
	scratch_load_b128 v[140:143], off, off offset:640
	v_add_f64_e32 v[160:161], v[160:161], v[164:165]
	v_add_f64_e32 v[170:171], v[150:151], v[148:149]
	s_wait_loadcnt_dscnt 0xa00
	v_mul_f64_e32 v[164:165], v[4:5], v[138:139]
	v_mul_f64_e32 v[138:139], v[6:7], v[138:139]
	v_fmac_f64_e32 v[166:167], v[158:159], v[152:153]
	v_fma_f64 v[156:157], v[156:157], v[152:153], -v[154:155]
	ds_load_b128 v[148:151], v2 offset:1216
	scratch_load_b128 v[152:155], off, off offset:656
	v_add_f64_e32 v[160:161], v[160:161], v[162:163]
	v_add_f64_e32 v[158:159], v[170:171], v[168:169]
	v_fmac_f64_e32 v[164:165], v[6:7], v[136:137]
	v_fma_f64 v[168:169], v[4:5], v[136:137], -v[138:139]
	ds_load_b128 v[4:7], v2 offset:1232
	s_wait_loadcnt_dscnt 0xa01
	v_mul_f64_e32 v[162:163], v[148:149], v[10:11]
	v_mul_f64_e32 v[10:11], v[150:151], v[10:11]
	scratch_load_b128 v[136:139], off, off offset:672
	v_add_f64_e32 v[160:161], v[160:161], v[166:167]
	s_wait_loadcnt_dscnt 0xa00
	v_mul_f64_e32 v[166:167], v[4:5], v[14:15]
	v_add_f64_e32 v[170:171], v[158:159], v[156:157]
	v_mul_f64_e32 v[14:15], v[6:7], v[14:15]
	ds_load_b128 v[156:159], v2 offset:1248
	v_fmac_f64_e32 v[162:163], v[150:151], v[8:9]
	v_fma_f64 v[148:149], v[148:149], v[8:9], -v[10:11]
	scratch_load_b128 v[8:11], off, off offset:688
	v_add_f64_e32 v[160:161], v[160:161], v[164:165]
	v_fmac_f64_e32 v[166:167], v[6:7], v[12:13]
	v_add_f64_e32 v[150:151], v[170:171], v[168:169]
	v_fma_f64 v[168:169], v[4:5], v[12:13], -v[14:15]
	ds_load_b128 v[4:7], v2 offset:1264
	s_wait_loadcnt_dscnt 0xa01
	v_mul_f64_e32 v[164:165], v[156:157], v[18:19]
	v_mul_f64_e32 v[18:19], v[158:159], v[18:19]
	scratch_load_b128 v[12:15], off, off offset:704
	v_add_f64_e32 v[160:161], v[160:161], v[162:163]
	s_wait_loadcnt_dscnt 0xa00
	v_mul_f64_e32 v[162:163], v[4:5], v[22:23]
	v_add_f64_e32 v[170:171], v[150:151], v[148:149]
	v_mul_f64_e32 v[22:23], v[6:7], v[22:23]
	ds_load_b128 v[148:151], v2 offset:1280
	v_fmac_f64_e32 v[164:165], v[158:159], v[16:17]
	v_fma_f64 v[16:17], v[156:157], v[16:17], -v[18:19]
	s_wait_loadcnt_dscnt 0x900
	v_mul_f64_e32 v[158:159], v[148:149], v[26:27]
	v_mul_f64_e32 v[26:27], v[150:151], v[26:27]
	v_add_f64_e32 v[156:157], v[160:161], v[166:167]
	v_fmac_f64_e32 v[162:163], v[6:7], v[20:21]
	v_add_f64_e32 v[18:19], v[170:171], v[168:169]
	v_fma_f64 v[20:21], v[4:5], v[20:21], -v[22:23]
	v_fmac_f64_e32 v[158:159], v[150:151], v[24:25]
	v_fma_f64 v[24:25], v[148:149], v[24:25], -v[26:27]
	v_add_f64_e32 v[156:157], v[156:157], v[164:165]
	v_add_f64_e32 v[22:23], v[18:19], v[16:17]
	ds_load_b128 v[4:7], v2 offset:1296
	ds_load_b128 v[16:19], v2 offset:1312
	s_wait_loadcnt_dscnt 0x801
	v_mul_f64_e32 v[160:161], v[4:5], v[30:31]
	v_mul_f64_e32 v[30:31], v[6:7], v[30:31]
	s_wait_loadcnt_dscnt 0x700
	v_mul_f64_e32 v[26:27], v[16:17], v[126:127]
	v_mul_f64_e32 v[126:127], v[18:19], v[126:127]
	v_add_f64_e32 v[20:21], v[22:23], v[20:21]
	v_add_f64_e32 v[22:23], v[156:157], v[162:163]
	v_fmac_f64_e32 v[160:161], v[6:7], v[28:29]
	v_fma_f64 v[28:29], v[4:5], v[28:29], -v[30:31]
	v_fmac_f64_e32 v[26:27], v[18:19], v[124:125]
	v_fma_f64 v[16:17], v[16:17], v[124:125], -v[126:127]
	v_add_f64_e32 v[24:25], v[20:21], v[24:25]
	v_add_f64_e32 v[30:31], v[22:23], v[158:159]
	ds_load_b128 v[4:7], v2 offset:1328
	ds_load_b128 v[20:23], v2 offset:1344
	s_wait_loadcnt_dscnt 0x601
	v_mul_f64_e32 v[148:149], v[4:5], v[130:131]
	v_mul_f64_e32 v[130:131], v[6:7], v[130:131]
	v_add_f64_e32 v[18:19], v[24:25], v[28:29]
	v_add_f64_e32 v[24:25], v[30:31], v[160:161]
	s_wait_loadcnt_dscnt 0x500
	v_mul_f64_e32 v[28:29], v[20:21], v[134:135]
	v_mul_f64_e32 v[30:31], v[22:23], v[134:135]
	v_fmac_f64_e32 v[148:149], v[6:7], v[128:129]
	v_fma_f64 v[124:125], v[4:5], v[128:129], -v[130:131]
	v_add_f64_e32 v[126:127], v[18:19], v[16:17]
	v_add_f64_e32 v[24:25], v[24:25], v[26:27]
	ds_load_b128 v[4:7], v2 offset:1360
	ds_load_b128 v[16:19], v2 offset:1376
	v_fmac_f64_e32 v[28:29], v[22:23], v[132:133]
	v_fma_f64 v[20:21], v[20:21], v[132:133], -v[30:31]
	s_wait_loadcnt_dscnt 0x401
	v_mul_f64_e32 v[26:27], v[4:5], v[142:143]
	v_mul_f64_e32 v[128:129], v[6:7], v[142:143]
	s_wait_loadcnt_dscnt 0x300
	v_mul_f64_e32 v[30:31], v[16:17], v[154:155]
	v_add_f64_e32 v[22:23], v[126:127], v[124:125]
	v_add_f64_e32 v[24:25], v[24:25], v[148:149]
	v_mul_f64_e32 v[124:125], v[18:19], v[154:155]
	v_fmac_f64_e32 v[26:27], v[6:7], v[140:141]
	v_fma_f64 v[126:127], v[4:5], v[140:141], -v[128:129]
	v_fmac_f64_e32 v[30:31], v[18:19], v[152:153]
	v_add_f64_e32 v[128:129], v[22:23], v[20:21]
	v_add_f64_e32 v[24:25], v[24:25], v[28:29]
	ds_load_b128 v[4:7], v2 offset:1392
	ds_load_b128 v[20:23], v2 offset:1408
	v_fma_f64 v[16:17], v[16:17], v[152:153], -v[124:125]
	s_wait_loadcnt_dscnt 0x201
	v_mul_f64_e32 v[28:29], v[4:5], v[138:139]
	v_mul_f64_e32 v[130:131], v[6:7], v[138:139]
	v_add_f64_e32 v[18:19], v[128:129], v[126:127]
	v_add_f64_e32 v[24:25], v[24:25], v[26:27]
	s_wait_loadcnt_dscnt 0x100
	v_mul_f64_e32 v[26:27], v[20:21], v[10:11]
	v_mul_f64_e32 v[10:11], v[22:23], v[10:11]
	v_fmac_f64_e32 v[28:29], v[6:7], v[136:137]
	v_fma_f64 v[124:125], v[4:5], v[136:137], -v[130:131]
	ds_load_b128 v[4:7], v2 offset:1424
	v_add_f64_e32 v[16:17], v[18:19], v[16:17]
	v_add_f64_e32 v[18:19], v[24:25], v[30:31]
	v_fmac_f64_e32 v[26:27], v[22:23], v[8:9]
	v_fma_f64 v[8:9], v[20:21], v[8:9], -v[10:11]
	s_wait_loadcnt_dscnt 0x0
	v_mul_f64_e32 v[24:25], v[4:5], v[14:15]
	v_mul_f64_e32 v[14:15], v[6:7], v[14:15]
	v_add_f64_e32 v[10:11], v[16:17], v[124:125]
	v_add_f64_e32 v[16:17], v[18:19], v[28:29]
	s_delay_alu instid0(VALU_DEP_4) | instskip(NEXT) | instid1(VALU_DEP_4)
	v_fmac_f64_e32 v[24:25], v[6:7], v[12:13]
	v_fma_f64 v[4:5], v[4:5], v[12:13], -v[14:15]
	s_delay_alu instid0(VALU_DEP_4) | instskip(NEXT) | instid1(VALU_DEP_4)
	v_add_f64_e32 v[6:7], v[10:11], v[8:9]
	v_add_f64_e32 v[8:9], v[16:17], v[26:27]
	s_delay_alu instid0(VALU_DEP_2) | instskip(NEXT) | instid1(VALU_DEP_2)
	v_add_f64_e32 v[4:5], v[6:7], v[4:5]
	v_add_f64_e32 v[6:7], v[8:9], v[24:25]
	s_delay_alu instid0(VALU_DEP_2) | instskip(NEXT) | instid1(VALU_DEP_2)
	v_add_f64_e64 v[4:5], v[144:145], -v[4:5]
	v_add_f64_e64 v[6:7], v[146:147], -v[6:7]
	scratch_store_b128 off, v[4:7], off offset:272
	s_wait_xcnt 0x0
	v_cmpx_lt_u32_e32 16, v1
	s_cbranch_execz .LBB44_251
; %bb.250:
	scratch_load_b128 v[6:9], off, s36
	v_dual_mov_b32 v3, v2 :: v_dual_mov_b32 v4, v2
	v_mov_b32_e32 v5, v2
	scratch_store_b128 off, v[2:5], off offset:256
	s_wait_loadcnt 0x0
	ds_store_b128 v122, v[6:9]
.LBB44_251:
	s_wait_xcnt 0x0
	s_or_b32 exec_lo, exec_lo, s2
	s_wait_storecnt_dscnt 0x0
	s_barrier_signal -1
	s_barrier_wait -1
	s_clause 0x9
	scratch_load_b128 v[4:7], off, off offset:272
	scratch_load_b128 v[8:11], off, off offset:288
	scratch_load_b128 v[12:15], off, off offset:304
	scratch_load_b128 v[16:19], off, off offset:320
	scratch_load_b128 v[20:23], off, off offset:336
	scratch_load_b128 v[24:27], off, off offset:352
	scratch_load_b128 v[28:31], off, off offset:368
	scratch_load_b128 v[124:127], off, off offset:384
	scratch_load_b128 v[128:131], off, off offset:400
	scratch_load_b128 v[132:135], off, off offset:416
	ds_load_b128 v[136:139], v2 offset:992
	ds_load_b128 v[144:147], v2 offset:1008
	s_clause 0x2
	scratch_load_b128 v[140:143], off, off offset:432
	scratch_load_b128 v[148:151], off, off offset:256
	;; [unrolled: 1-line block ×3, first 2 shown]
	s_mov_b32 s2, exec_lo
	s_wait_loadcnt_dscnt 0xc01
	v_mul_f64_e32 v[156:157], v[138:139], v[6:7]
	v_mul_f64_e32 v[160:161], v[136:137], v[6:7]
	s_wait_loadcnt_dscnt 0xb00
	v_mul_f64_e32 v[162:163], v[144:145], v[10:11]
	v_mul_f64_e32 v[10:11], v[146:147], v[10:11]
	s_delay_alu instid0(VALU_DEP_4) | instskip(NEXT) | instid1(VALU_DEP_4)
	v_fma_f64 v[164:165], v[136:137], v[4:5], -v[156:157]
	v_fmac_f64_e32 v[160:161], v[138:139], v[4:5]
	ds_load_b128 v[4:7], v2 offset:1024
	ds_load_b128 v[136:139], v2 offset:1040
	scratch_load_b128 v[156:159], off, off offset:464
	v_fmac_f64_e32 v[162:163], v[146:147], v[8:9]
	v_fma_f64 v[144:145], v[144:145], v[8:9], -v[10:11]
	scratch_load_b128 v[8:11], off, off offset:480
	s_wait_loadcnt_dscnt 0xc01
	v_mul_f64_e32 v[166:167], v[4:5], v[14:15]
	v_mul_f64_e32 v[14:15], v[6:7], v[14:15]
	v_add_f64_e32 v[146:147], 0, v[164:165]
	v_add_f64_e32 v[160:161], 0, v[160:161]
	s_wait_loadcnt_dscnt 0xb00
	v_mul_f64_e32 v[164:165], v[136:137], v[18:19]
	v_mul_f64_e32 v[18:19], v[138:139], v[18:19]
	v_fmac_f64_e32 v[166:167], v[6:7], v[12:13]
	v_fma_f64 v[168:169], v[4:5], v[12:13], -v[14:15]
	ds_load_b128 v[4:7], v2 offset:1056
	ds_load_b128 v[12:15], v2 offset:1072
	v_add_f64_e32 v[170:171], v[146:147], v[144:145]
	v_add_f64_e32 v[160:161], v[160:161], v[162:163]
	scratch_load_b128 v[144:147], off, off offset:496
	v_fmac_f64_e32 v[164:165], v[138:139], v[16:17]
	v_fma_f64 v[136:137], v[136:137], v[16:17], -v[18:19]
	scratch_load_b128 v[16:19], off, off offset:512
	s_wait_loadcnt_dscnt 0xc01
	v_mul_f64_e32 v[162:163], v[4:5], v[22:23]
	v_mul_f64_e32 v[22:23], v[6:7], v[22:23]
	v_add_f64_e32 v[138:139], v[170:171], v[168:169]
	v_add_f64_e32 v[160:161], v[160:161], v[166:167]
	s_wait_loadcnt_dscnt 0xb00
	v_mul_f64_e32 v[166:167], v[12:13], v[26:27]
	v_mul_f64_e32 v[26:27], v[14:15], v[26:27]
	v_fmac_f64_e32 v[162:163], v[6:7], v[20:21]
	v_fma_f64 v[168:169], v[4:5], v[20:21], -v[22:23]
	ds_load_b128 v[4:7], v2 offset:1088
	ds_load_b128 v[20:23], v2 offset:1104
	v_add_f64_e32 v[170:171], v[138:139], v[136:137]
	v_add_f64_e32 v[160:161], v[160:161], v[164:165]
	scratch_load_b128 v[136:139], off, off offset:528
	s_wait_loadcnt_dscnt 0xb01
	v_mul_f64_e32 v[164:165], v[4:5], v[30:31]
	v_mul_f64_e32 v[30:31], v[6:7], v[30:31]
	v_fmac_f64_e32 v[166:167], v[14:15], v[24:25]
	v_fma_f64 v[24:25], v[12:13], v[24:25], -v[26:27]
	scratch_load_b128 v[12:15], off, off offset:544
	v_add_f64_e32 v[26:27], v[170:171], v[168:169]
	v_add_f64_e32 v[160:161], v[160:161], v[162:163]
	s_wait_loadcnt_dscnt 0xb00
	v_mul_f64_e32 v[162:163], v[20:21], v[126:127]
	v_mul_f64_e32 v[126:127], v[22:23], v[126:127]
	v_fmac_f64_e32 v[164:165], v[6:7], v[28:29]
	v_fma_f64 v[168:169], v[4:5], v[28:29], -v[30:31]
	v_add_f64_e32 v[170:171], v[26:27], v[24:25]
	v_add_f64_e32 v[160:161], v[160:161], v[166:167]
	ds_load_b128 v[4:7], v2 offset:1120
	ds_load_b128 v[24:27], v2 offset:1136
	scratch_load_b128 v[28:31], off, off offset:560
	v_fmac_f64_e32 v[162:163], v[22:23], v[124:125]
	v_fma_f64 v[124:125], v[20:21], v[124:125], -v[126:127]
	scratch_load_b128 v[20:23], off, off offset:576
	s_wait_loadcnt_dscnt 0xc01
	v_mul_f64_e32 v[166:167], v[4:5], v[130:131]
	v_mul_f64_e32 v[130:131], v[6:7], v[130:131]
	v_add_f64_e32 v[126:127], v[170:171], v[168:169]
	v_add_f64_e32 v[160:161], v[160:161], v[164:165]
	s_wait_loadcnt_dscnt 0xb00
	v_mul_f64_e32 v[164:165], v[24:25], v[134:135]
	v_mul_f64_e32 v[134:135], v[26:27], v[134:135]
	v_fmac_f64_e32 v[166:167], v[6:7], v[128:129]
	v_fma_f64 v[168:169], v[4:5], v[128:129], -v[130:131]
	v_add_f64_e32 v[170:171], v[126:127], v[124:125]
	v_add_f64_e32 v[160:161], v[160:161], v[162:163]
	ds_load_b128 v[4:7], v2 offset:1152
	ds_load_b128 v[124:127], v2 offset:1168
	scratch_load_b128 v[128:131], off, off offset:592
	v_fmac_f64_e32 v[164:165], v[26:27], v[132:133]
	v_fma_f64 v[132:133], v[24:25], v[132:133], -v[134:135]
	scratch_load_b128 v[24:27], off, off offset:608
	s_wait_loadcnt_dscnt 0xc01
	v_mul_f64_e32 v[162:163], v[4:5], v[142:143]
	v_mul_f64_e32 v[142:143], v[6:7], v[142:143]
	;; [unrolled: 18-line block ×5, first 2 shown]
	v_add_f64_e32 v[154:155], v[170:171], v[168:169]
	v_add_f64_e32 v[160:161], v[160:161], v[166:167]
	s_wait_loadcnt_dscnt 0xa00
	v_mul_f64_e32 v[166:167], v[132:133], v[14:15]
	v_mul_f64_e32 v[14:15], v[134:135], v[14:15]
	v_fmac_f64_e32 v[162:163], v[6:7], v[136:137]
	v_fma_f64 v[168:169], v[4:5], v[136:137], -v[138:139]
	ds_load_b128 v[4:7], v2 offset:1280
	ds_load_b128 v[136:139], v2 offset:1296
	v_add_f64_e32 v[152:153], v[154:155], v[152:153]
	v_add_f64_e32 v[154:155], v[160:161], v[164:165]
	v_fmac_f64_e32 v[166:167], v[134:135], v[12:13]
	v_fma_f64 v[12:13], v[132:133], v[12:13], -v[14:15]
	s_wait_loadcnt_dscnt 0x901
	v_mul_f64_e32 v[160:161], v[4:5], v[30:31]
	v_mul_f64_e32 v[30:31], v[6:7], v[30:31]
	s_wait_loadcnt_dscnt 0x800
	v_mul_f64_e32 v[134:135], v[136:137], v[22:23]
	v_mul_f64_e32 v[22:23], v[138:139], v[22:23]
	v_add_f64_e32 v[14:15], v[152:153], v[168:169]
	v_add_f64_e32 v[132:133], v[154:155], v[162:163]
	v_fmac_f64_e32 v[160:161], v[6:7], v[28:29]
	v_fma_f64 v[28:29], v[4:5], v[28:29], -v[30:31]
	v_fmac_f64_e32 v[134:135], v[138:139], v[20:21]
	v_fma_f64 v[20:21], v[136:137], v[20:21], -v[22:23]
	v_add_f64_e32 v[30:31], v[14:15], v[12:13]
	v_add_f64_e32 v[132:133], v[132:133], v[166:167]
	ds_load_b128 v[4:7], v2 offset:1312
	ds_load_b128 v[12:15], v2 offset:1328
	s_wait_loadcnt_dscnt 0x701
	v_mul_f64_e32 v[152:153], v[4:5], v[130:131]
	v_mul_f64_e32 v[130:131], v[6:7], v[130:131]
	v_add_f64_e32 v[22:23], v[30:31], v[28:29]
	v_add_f64_e32 v[28:29], v[132:133], v[160:161]
	s_wait_loadcnt_dscnt 0x600
	v_mul_f64_e32 v[30:31], v[12:13], v[26:27]
	v_mul_f64_e32 v[26:27], v[14:15], v[26:27]
	v_fmac_f64_e32 v[152:153], v[6:7], v[128:129]
	v_fma_f64 v[128:129], v[4:5], v[128:129], -v[130:131]
	v_add_f64_e32 v[130:131], v[22:23], v[20:21]
	v_add_f64_e32 v[28:29], v[28:29], v[134:135]
	ds_load_b128 v[4:7], v2 offset:1344
	ds_load_b128 v[20:23], v2 offset:1360
	v_fmac_f64_e32 v[30:31], v[14:15], v[24:25]
	v_fma_f64 v[12:13], v[12:13], v[24:25], -v[26:27]
	s_wait_loadcnt_dscnt 0x501
	v_mul_f64_e32 v[132:133], v[4:5], v[142:143]
	v_mul_f64_e32 v[134:135], v[6:7], v[142:143]
	s_wait_loadcnt_dscnt 0x400
	v_mul_f64_e32 v[26:27], v[20:21], v[126:127]
	v_add_f64_e32 v[14:15], v[130:131], v[128:129]
	v_add_f64_e32 v[24:25], v[28:29], v[152:153]
	v_mul_f64_e32 v[28:29], v[22:23], v[126:127]
	v_fmac_f64_e32 v[132:133], v[6:7], v[140:141]
	v_fma_f64 v[126:127], v[4:5], v[140:141], -v[134:135]
	v_fmac_f64_e32 v[26:27], v[22:23], v[124:125]
	v_add_f64_e32 v[128:129], v[14:15], v[12:13]
	v_add_f64_e32 v[24:25], v[24:25], v[30:31]
	ds_load_b128 v[4:7], v2 offset:1376
	ds_load_b128 v[12:15], v2 offset:1392
	v_fma_f64 v[20:21], v[20:21], v[124:125], -v[28:29]
	s_wait_loadcnt_dscnt 0x301
	v_mul_f64_e32 v[30:31], v[4:5], v[158:159]
	v_mul_f64_e32 v[130:131], v[6:7], v[158:159]
	s_wait_loadcnt_dscnt 0x200
	v_mul_f64_e32 v[28:29], v[12:13], v[10:11]
	v_mul_f64_e32 v[10:11], v[14:15], v[10:11]
	v_add_f64_e32 v[22:23], v[128:129], v[126:127]
	v_add_f64_e32 v[24:25], v[24:25], v[132:133]
	v_fmac_f64_e32 v[30:31], v[6:7], v[156:157]
	v_fma_f64 v[124:125], v[4:5], v[156:157], -v[130:131]
	v_fmac_f64_e32 v[28:29], v[14:15], v[8:9]
	v_fma_f64 v[8:9], v[12:13], v[8:9], -v[10:11]
	v_add_f64_e32 v[126:127], v[22:23], v[20:21]
	v_add_f64_e32 v[24:25], v[24:25], v[26:27]
	ds_load_b128 v[4:7], v2 offset:1408
	ds_load_b128 v[20:23], v2 offset:1424
	s_wait_loadcnt_dscnt 0x101
	v_mul_f64_e32 v[2:3], v[4:5], v[146:147]
	v_mul_f64_e32 v[26:27], v[6:7], v[146:147]
	s_wait_loadcnt_dscnt 0x0
	v_mul_f64_e32 v[14:15], v[20:21], v[18:19]
	v_mul_f64_e32 v[18:19], v[22:23], v[18:19]
	v_add_f64_e32 v[10:11], v[126:127], v[124:125]
	v_add_f64_e32 v[12:13], v[24:25], v[30:31]
	v_fmac_f64_e32 v[2:3], v[6:7], v[144:145]
	v_fma_f64 v[4:5], v[4:5], v[144:145], -v[26:27]
	v_fmac_f64_e32 v[14:15], v[22:23], v[16:17]
	v_add_f64_e32 v[6:7], v[10:11], v[8:9]
	v_add_f64_e32 v[8:9], v[12:13], v[28:29]
	v_fma_f64 v[10:11], v[20:21], v[16:17], -v[18:19]
	s_delay_alu instid0(VALU_DEP_3) | instskip(NEXT) | instid1(VALU_DEP_3)
	v_add_f64_e32 v[4:5], v[6:7], v[4:5]
	v_add_f64_e32 v[2:3], v[8:9], v[2:3]
	s_delay_alu instid0(VALU_DEP_2) | instskip(NEXT) | instid1(VALU_DEP_2)
	v_add_f64_e32 v[4:5], v[4:5], v[10:11]
	v_add_f64_e32 v[6:7], v[2:3], v[14:15]
	s_delay_alu instid0(VALU_DEP_2) | instskip(NEXT) | instid1(VALU_DEP_2)
	v_add_f64_e64 v[2:3], v[148:149], -v[4:5]
	v_add_f64_e64 v[4:5], v[150:151], -v[6:7]
	scratch_store_b128 off, v[2:5], off offset:256
	s_wait_xcnt 0x0
	v_cmpx_lt_u32_e32 15, v1
	s_cbranch_execz .LBB44_253
; %bb.252:
	scratch_load_b128 v[2:5], off, s51
	v_mov_b32_e32 v6, 0
	s_delay_alu instid0(VALU_DEP_1)
	v_dual_mov_b32 v7, v6 :: v_dual_mov_b32 v8, v6
	v_mov_b32_e32 v9, v6
	scratch_store_b128 off, v[6:9], off offset:240
	s_wait_loadcnt 0x0
	ds_store_b128 v122, v[2:5]
.LBB44_253:
	s_wait_xcnt 0x0
	s_or_b32 exec_lo, exec_lo, s2
	s_wait_storecnt_dscnt 0x0
	s_barrier_signal -1
	s_barrier_wait -1
	s_clause 0x9
	scratch_load_b128 v[4:7], off, off offset:256
	scratch_load_b128 v[8:11], off, off offset:272
	;; [unrolled: 1-line block ×10, first 2 shown]
	v_mov_b32_e32 v2, 0
	s_mov_b32 s2, exec_lo
	ds_load_b128 v[136:139], v2 offset:976
	s_clause 0x2
	scratch_load_b128 v[140:143], off, off offset:416
	scratch_load_b128 v[144:147], off, off offset:240
	scratch_load_b128 v[152:155], off, off offset:432
	s_wait_loadcnt_dscnt 0xc00
	v_mul_f64_e32 v[156:157], v[138:139], v[6:7]
	v_mul_f64_e32 v[160:161], v[136:137], v[6:7]
	ds_load_b128 v[148:151], v2 offset:992
	v_fma_f64 v[164:165], v[136:137], v[4:5], -v[156:157]
	v_fmac_f64_e32 v[160:161], v[138:139], v[4:5]
	ds_load_b128 v[4:7], v2 offset:1008
	s_wait_loadcnt_dscnt 0xb01
	v_mul_f64_e32 v[162:163], v[148:149], v[10:11]
	v_mul_f64_e32 v[10:11], v[150:151], v[10:11]
	scratch_load_b128 v[136:139], off, off offset:448
	ds_load_b128 v[156:159], v2 offset:1024
	s_wait_loadcnt_dscnt 0xb01
	v_mul_f64_e32 v[166:167], v[4:5], v[14:15]
	v_mul_f64_e32 v[14:15], v[6:7], v[14:15]
	v_add_f64_e32 v[160:161], 0, v[160:161]
	v_fmac_f64_e32 v[162:163], v[150:151], v[8:9]
	v_fma_f64 v[148:149], v[148:149], v[8:9], -v[10:11]
	v_add_f64_e32 v[150:151], 0, v[164:165]
	scratch_load_b128 v[8:11], off, off offset:464
	v_fmac_f64_e32 v[166:167], v[6:7], v[12:13]
	v_fma_f64 v[168:169], v[4:5], v[12:13], -v[14:15]
	ds_load_b128 v[4:7], v2 offset:1040
	s_wait_loadcnt_dscnt 0xb01
	v_mul_f64_e32 v[164:165], v[156:157], v[18:19]
	v_mul_f64_e32 v[18:19], v[158:159], v[18:19]
	scratch_load_b128 v[12:15], off, off offset:480
	v_add_f64_e32 v[160:161], v[160:161], v[162:163]
	v_add_f64_e32 v[170:171], v[150:151], v[148:149]
	ds_load_b128 v[148:151], v2 offset:1056
	s_wait_loadcnt_dscnt 0xb01
	v_mul_f64_e32 v[162:163], v[4:5], v[22:23]
	v_mul_f64_e32 v[22:23], v[6:7], v[22:23]
	v_fmac_f64_e32 v[164:165], v[158:159], v[16:17]
	v_fma_f64 v[156:157], v[156:157], v[16:17], -v[18:19]
	scratch_load_b128 v[16:19], off, off offset:496
	v_add_f64_e32 v[160:161], v[160:161], v[166:167]
	v_add_f64_e32 v[158:159], v[170:171], v[168:169]
	v_fmac_f64_e32 v[162:163], v[6:7], v[20:21]
	v_fma_f64 v[168:169], v[4:5], v[20:21], -v[22:23]
	ds_load_b128 v[4:7], v2 offset:1072
	s_wait_loadcnt_dscnt 0xb01
	v_mul_f64_e32 v[166:167], v[148:149], v[26:27]
	v_mul_f64_e32 v[26:27], v[150:151], v[26:27]
	scratch_load_b128 v[20:23], off, off offset:512
	v_add_f64_e32 v[160:161], v[160:161], v[164:165]
	s_wait_loadcnt_dscnt 0xb00
	v_mul_f64_e32 v[164:165], v[4:5], v[30:31]
	v_add_f64_e32 v[170:171], v[158:159], v[156:157]
	v_mul_f64_e32 v[30:31], v[6:7], v[30:31]
	ds_load_b128 v[156:159], v2 offset:1088
	v_fmac_f64_e32 v[166:167], v[150:151], v[24:25]
	v_fma_f64 v[148:149], v[148:149], v[24:25], -v[26:27]
	scratch_load_b128 v[24:27], off, off offset:528
	v_add_f64_e32 v[160:161], v[160:161], v[162:163]
	v_fmac_f64_e32 v[164:165], v[6:7], v[28:29]
	v_add_f64_e32 v[150:151], v[170:171], v[168:169]
	v_fma_f64 v[168:169], v[4:5], v[28:29], -v[30:31]
	ds_load_b128 v[4:7], v2 offset:1104
	s_wait_loadcnt_dscnt 0xb01
	v_mul_f64_e32 v[162:163], v[156:157], v[126:127]
	v_mul_f64_e32 v[126:127], v[158:159], v[126:127]
	scratch_load_b128 v[28:31], off, off offset:544
	v_add_f64_e32 v[160:161], v[160:161], v[166:167]
	s_wait_loadcnt_dscnt 0xb00
	v_mul_f64_e32 v[166:167], v[4:5], v[130:131]
	v_add_f64_e32 v[170:171], v[150:151], v[148:149]
	v_mul_f64_e32 v[130:131], v[6:7], v[130:131]
	ds_load_b128 v[148:151], v2 offset:1120
	v_fmac_f64_e32 v[162:163], v[158:159], v[124:125]
	v_fma_f64 v[156:157], v[156:157], v[124:125], -v[126:127]
	scratch_load_b128 v[124:127], off, off offset:560
	v_add_f64_e32 v[160:161], v[160:161], v[164:165]
	v_fmac_f64_e32 v[166:167], v[6:7], v[128:129]
	v_add_f64_e32 v[158:159], v[170:171], v[168:169]
	;; [unrolled: 18-line block ×3, first 2 shown]
	v_fma_f64 v[168:169], v[4:5], v[140:141], -v[142:143]
	ds_load_b128 v[4:7], v2 offset:1168
	s_wait_loadcnt_dscnt 0xa01
	v_mul_f64_e32 v[166:167], v[156:157], v[154:155]
	v_mul_f64_e32 v[154:155], v[158:159], v[154:155]
	scratch_load_b128 v[140:143], off, off offset:608
	v_add_f64_e32 v[160:161], v[160:161], v[164:165]
	v_add_f64_e32 v[170:171], v[150:151], v[148:149]
	s_wait_loadcnt_dscnt 0xa00
	v_mul_f64_e32 v[164:165], v[4:5], v[138:139]
	v_mul_f64_e32 v[138:139], v[6:7], v[138:139]
	v_fmac_f64_e32 v[166:167], v[158:159], v[152:153]
	v_fma_f64 v[156:157], v[156:157], v[152:153], -v[154:155]
	ds_load_b128 v[148:151], v2 offset:1184
	scratch_load_b128 v[152:155], off, off offset:624
	v_add_f64_e32 v[160:161], v[160:161], v[162:163]
	v_add_f64_e32 v[158:159], v[170:171], v[168:169]
	v_fmac_f64_e32 v[164:165], v[6:7], v[136:137]
	v_fma_f64 v[168:169], v[4:5], v[136:137], -v[138:139]
	ds_load_b128 v[4:7], v2 offset:1200
	s_wait_loadcnt_dscnt 0xa01
	v_mul_f64_e32 v[162:163], v[148:149], v[10:11]
	v_mul_f64_e32 v[10:11], v[150:151], v[10:11]
	scratch_load_b128 v[136:139], off, off offset:640
	v_add_f64_e32 v[160:161], v[160:161], v[166:167]
	s_wait_loadcnt_dscnt 0xa00
	v_mul_f64_e32 v[166:167], v[4:5], v[14:15]
	v_add_f64_e32 v[170:171], v[158:159], v[156:157]
	v_mul_f64_e32 v[14:15], v[6:7], v[14:15]
	ds_load_b128 v[156:159], v2 offset:1216
	v_fmac_f64_e32 v[162:163], v[150:151], v[8:9]
	v_fma_f64 v[148:149], v[148:149], v[8:9], -v[10:11]
	scratch_load_b128 v[8:11], off, off offset:656
	v_add_f64_e32 v[160:161], v[160:161], v[164:165]
	v_fmac_f64_e32 v[166:167], v[6:7], v[12:13]
	v_add_f64_e32 v[150:151], v[170:171], v[168:169]
	v_fma_f64 v[168:169], v[4:5], v[12:13], -v[14:15]
	ds_load_b128 v[4:7], v2 offset:1232
	s_wait_loadcnt_dscnt 0xa01
	v_mul_f64_e32 v[164:165], v[156:157], v[18:19]
	v_mul_f64_e32 v[18:19], v[158:159], v[18:19]
	scratch_load_b128 v[12:15], off, off offset:672
	v_add_f64_e32 v[160:161], v[160:161], v[162:163]
	s_wait_loadcnt_dscnt 0xa00
	v_mul_f64_e32 v[162:163], v[4:5], v[22:23]
	v_add_f64_e32 v[170:171], v[150:151], v[148:149]
	v_mul_f64_e32 v[22:23], v[6:7], v[22:23]
	ds_load_b128 v[148:151], v2 offset:1248
	v_fmac_f64_e32 v[164:165], v[158:159], v[16:17]
	v_fma_f64 v[156:157], v[156:157], v[16:17], -v[18:19]
	scratch_load_b128 v[16:19], off, off offset:688
	v_add_f64_e32 v[160:161], v[160:161], v[166:167]
	v_fmac_f64_e32 v[162:163], v[6:7], v[20:21]
	v_add_f64_e32 v[158:159], v[170:171], v[168:169]
	v_fma_f64 v[168:169], v[4:5], v[20:21], -v[22:23]
	ds_load_b128 v[4:7], v2 offset:1264
	s_wait_loadcnt_dscnt 0xa01
	v_mul_f64_e32 v[166:167], v[148:149], v[26:27]
	v_mul_f64_e32 v[26:27], v[150:151], v[26:27]
	scratch_load_b128 v[20:23], off, off offset:704
	v_add_f64_e32 v[160:161], v[160:161], v[164:165]
	s_wait_loadcnt_dscnt 0xa00
	v_mul_f64_e32 v[164:165], v[4:5], v[30:31]
	v_add_f64_e32 v[170:171], v[158:159], v[156:157]
	v_mul_f64_e32 v[30:31], v[6:7], v[30:31]
	ds_load_b128 v[156:159], v2 offset:1280
	v_fmac_f64_e32 v[166:167], v[150:151], v[24:25]
	v_fma_f64 v[24:25], v[148:149], v[24:25], -v[26:27]
	s_wait_loadcnt_dscnt 0x900
	v_mul_f64_e32 v[150:151], v[156:157], v[126:127]
	v_mul_f64_e32 v[126:127], v[158:159], v[126:127]
	v_add_f64_e32 v[148:149], v[160:161], v[162:163]
	v_fmac_f64_e32 v[164:165], v[6:7], v[28:29]
	v_add_f64_e32 v[26:27], v[170:171], v[168:169]
	v_fma_f64 v[28:29], v[4:5], v[28:29], -v[30:31]
	v_fmac_f64_e32 v[150:151], v[158:159], v[124:125]
	v_fma_f64 v[124:125], v[156:157], v[124:125], -v[126:127]
	v_add_f64_e32 v[148:149], v[148:149], v[166:167]
	v_add_f64_e32 v[30:31], v[26:27], v[24:25]
	ds_load_b128 v[4:7], v2 offset:1296
	ds_load_b128 v[24:27], v2 offset:1312
	s_wait_loadcnt_dscnt 0x801
	v_mul_f64_e32 v[160:161], v[4:5], v[130:131]
	v_mul_f64_e32 v[130:131], v[6:7], v[130:131]
	s_wait_loadcnt_dscnt 0x700
	v_mul_f64_e32 v[126:127], v[24:25], v[134:135]
	v_mul_f64_e32 v[134:135], v[26:27], v[134:135]
	v_add_f64_e32 v[28:29], v[30:31], v[28:29]
	v_add_f64_e32 v[30:31], v[148:149], v[164:165]
	v_fmac_f64_e32 v[160:161], v[6:7], v[128:129]
	v_fma_f64 v[128:129], v[4:5], v[128:129], -v[130:131]
	v_fmac_f64_e32 v[126:127], v[26:27], v[132:133]
	v_fma_f64 v[24:25], v[24:25], v[132:133], -v[134:135]
	v_add_f64_e32 v[124:125], v[28:29], v[124:125]
	v_add_f64_e32 v[130:131], v[30:31], v[150:151]
	ds_load_b128 v[4:7], v2 offset:1328
	ds_load_b128 v[28:31], v2 offset:1344
	s_wait_loadcnt_dscnt 0x601
	v_mul_f64_e32 v[148:149], v[4:5], v[142:143]
	v_mul_f64_e32 v[142:143], v[6:7], v[142:143]
	v_add_f64_e32 v[26:27], v[124:125], v[128:129]
	v_add_f64_e32 v[124:125], v[130:131], v[160:161]
	s_wait_loadcnt_dscnt 0x500
	v_mul_f64_e32 v[128:129], v[28:29], v[154:155]
	v_mul_f64_e32 v[130:131], v[30:31], v[154:155]
	v_fmac_f64_e32 v[148:149], v[6:7], v[140:141]
	v_fma_f64 v[132:133], v[4:5], v[140:141], -v[142:143]
	v_add_f64_e32 v[134:135], v[26:27], v[24:25]
	v_add_f64_e32 v[124:125], v[124:125], v[126:127]
	ds_load_b128 v[4:7], v2 offset:1360
	ds_load_b128 v[24:27], v2 offset:1376
	v_fmac_f64_e32 v[128:129], v[30:31], v[152:153]
	v_fma_f64 v[28:29], v[28:29], v[152:153], -v[130:131]
	s_wait_loadcnt_dscnt 0x401
	v_mul_f64_e32 v[126:127], v[4:5], v[138:139]
	v_mul_f64_e32 v[138:139], v[6:7], v[138:139]
	s_wait_loadcnt_dscnt 0x300
	v_mul_f64_e32 v[130:131], v[24:25], v[10:11]
	v_mul_f64_e32 v[10:11], v[26:27], v[10:11]
	v_add_f64_e32 v[30:31], v[134:135], v[132:133]
	v_add_f64_e32 v[124:125], v[124:125], v[148:149]
	v_fmac_f64_e32 v[126:127], v[6:7], v[136:137]
	v_fma_f64 v[132:133], v[4:5], v[136:137], -v[138:139]
	v_fmac_f64_e32 v[130:131], v[26:27], v[8:9]
	v_fma_f64 v[8:9], v[24:25], v[8:9], -v[10:11]
	v_add_f64_e32 v[134:135], v[30:31], v[28:29]
	v_add_f64_e32 v[124:125], v[124:125], v[128:129]
	ds_load_b128 v[4:7], v2 offset:1392
	ds_load_b128 v[28:31], v2 offset:1408
	s_wait_loadcnt_dscnt 0x201
	v_mul_f64_e32 v[128:129], v[4:5], v[14:15]
	v_mul_f64_e32 v[14:15], v[6:7], v[14:15]
	s_wait_loadcnt_dscnt 0x100
	v_mul_f64_e32 v[26:27], v[28:29], v[18:19]
	v_mul_f64_e32 v[18:19], v[30:31], v[18:19]
	v_add_f64_e32 v[10:11], v[134:135], v[132:133]
	v_add_f64_e32 v[24:25], v[124:125], v[126:127]
	v_fmac_f64_e32 v[128:129], v[6:7], v[12:13]
	v_fma_f64 v[12:13], v[4:5], v[12:13], -v[14:15]
	ds_load_b128 v[4:7], v2 offset:1424
	v_fmac_f64_e32 v[26:27], v[30:31], v[16:17]
	v_fma_f64 v[16:17], v[28:29], v[16:17], -v[18:19]
	v_add_f64_e32 v[8:9], v[10:11], v[8:9]
	v_add_f64_e32 v[10:11], v[24:25], v[130:131]
	s_wait_loadcnt_dscnt 0x0
	v_mul_f64_e32 v[14:15], v[4:5], v[22:23]
	v_mul_f64_e32 v[22:23], v[6:7], v[22:23]
	s_delay_alu instid0(VALU_DEP_4) | instskip(NEXT) | instid1(VALU_DEP_4)
	v_add_f64_e32 v[8:9], v[8:9], v[12:13]
	v_add_f64_e32 v[10:11], v[10:11], v[128:129]
	s_delay_alu instid0(VALU_DEP_4) | instskip(NEXT) | instid1(VALU_DEP_4)
	v_fmac_f64_e32 v[14:15], v[6:7], v[20:21]
	v_fma_f64 v[4:5], v[4:5], v[20:21], -v[22:23]
	s_delay_alu instid0(VALU_DEP_4) | instskip(NEXT) | instid1(VALU_DEP_4)
	v_add_f64_e32 v[6:7], v[8:9], v[16:17]
	v_add_f64_e32 v[8:9], v[10:11], v[26:27]
	s_delay_alu instid0(VALU_DEP_2) | instskip(NEXT) | instid1(VALU_DEP_2)
	v_add_f64_e32 v[4:5], v[6:7], v[4:5]
	v_add_f64_e32 v[6:7], v[8:9], v[14:15]
	s_delay_alu instid0(VALU_DEP_2) | instskip(NEXT) | instid1(VALU_DEP_2)
	v_add_f64_e64 v[4:5], v[144:145], -v[4:5]
	v_add_f64_e64 v[6:7], v[146:147], -v[6:7]
	scratch_store_b128 off, v[4:7], off offset:240
	s_wait_xcnt 0x0
	v_cmpx_lt_u32_e32 14, v1
	s_cbranch_execz .LBB44_255
; %bb.254:
	scratch_load_b128 v[6:9], off, s56
	v_dual_mov_b32 v3, v2 :: v_dual_mov_b32 v4, v2
	v_mov_b32_e32 v5, v2
	scratch_store_b128 off, v[2:5], off offset:224
	s_wait_loadcnt 0x0
	ds_store_b128 v122, v[6:9]
.LBB44_255:
	s_wait_xcnt 0x0
	s_or_b32 exec_lo, exec_lo, s2
	s_wait_storecnt_dscnt 0x0
	s_barrier_signal -1
	s_barrier_wait -1
	s_clause 0x9
	scratch_load_b128 v[4:7], off, off offset:240
	scratch_load_b128 v[8:11], off, off offset:256
	;; [unrolled: 1-line block ×10, first 2 shown]
	ds_load_b128 v[136:139], v2 offset:960
	ds_load_b128 v[144:147], v2 offset:976
	s_clause 0x2
	scratch_load_b128 v[140:143], off, off offset:400
	scratch_load_b128 v[148:151], off, off offset:224
	scratch_load_b128 v[152:155], off, off offset:416
	s_mov_b32 s2, exec_lo
	s_wait_loadcnt_dscnt 0xc01
	v_mul_f64_e32 v[156:157], v[138:139], v[6:7]
	v_mul_f64_e32 v[160:161], v[136:137], v[6:7]
	s_wait_loadcnt_dscnt 0xb00
	v_mul_f64_e32 v[162:163], v[144:145], v[10:11]
	v_mul_f64_e32 v[10:11], v[146:147], v[10:11]
	s_delay_alu instid0(VALU_DEP_4) | instskip(NEXT) | instid1(VALU_DEP_4)
	v_fma_f64 v[164:165], v[136:137], v[4:5], -v[156:157]
	v_fmac_f64_e32 v[160:161], v[138:139], v[4:5]
	ds_load_b128 v[4:7], v2 offset:992
	ds_load_b128 v[136:139], v2 offset:1008
	scratch_load_b128 v[156:159], off, off offset:432
	v_fmac_f64_e32 v[162:163], v[146:147], v[8:9]
	v_fma_f64 v[144:145], v[144:145], v[8:9], -v[10:11]
	scratch_load_b128 v[8:11], off, off offset:448
	s_wait_loadcnt_dscnt 0xc01
	v_mul_f64_e32 v[166:167], v[4:5], v[14:15]
	v_mul_f64_e32 v[14:15], v[6:7], v[14:15]
	v_add_f64_e32 v[146:147], 0, v[164:165]
	v_add_f64_e32 v[160:161], 0, v[160:161]
	s_wait_loadcnt_dscnt 0xb00
	v_mul_f64_e32 v[164:165], v[136:137], v[18:19]
	v_mul_f64_e32 v[18:19], v[138:139], v[18:19]
	v_fmac_f64_e32 v[166:167], v[6:7], v[12:13]
	v_fma_f64 v[168:169], v[4:5], v[12:13], -v[14:15]
	ds_load_b128 v[4:7], v2 offset:1024
	ds_load_b128 v[12:15], v2 offset:1040
	v_add_f64_e32 v[170:171], v[146:147], v[144:145]
	v_add_f64_e32 v[160:161], v[160:161], v[162:163]
	scratch_load_b128 v[144:147], off, off offset:464
	v_fmac_f64_e32 v[164:165], v[138:139], v[16:17]
	v_fma_f64 v[136:137], v[136:137], v[16:17], -v[18:19]
	scratch_load_b128 v[16:19], off, off offset:480
	s_wait_loadcnt_dscnt 0xc01
	v_mul_f64_e32 v[162:163], v[4:5], v[22:23]
	v_mul_f64_e32 v[22:23], v[6:7], v[22:23]
	v_add_f64_e32 v[138:139], v[170:171], v[168:169]
	v_add_f64_e32 v[160:161], v[160:161], v[166:167]
	s_wait_loadcnt_dscnt 0xb00
	v_mul_f64_e32 v[166:167], v[12:13], v[26:27]
	v_mul_f64_e32 v[26:27], v[14:15], v[26:27]
	v_fmac_f64_e32 v[162:163], v[6:7], v[20:21]
	v_fma_f64 v[168:169], v[4:5], v[20:21], -v[22:23]
	ds_load_b128 v[4:7], v2 offset:1056
	ds_load_b128 v[20:23], v2 offset:1072
	v_add_f64_e32 v[170:171], v[138:139], v[136:137]
	v_add_f64_e32 v[160:161], v[160:161], v[164:165]
	scratch_load_b128 v[136:139], off, off offset:496
	s_wait_loadcnt_dscnt 0xb01
	v_mul_f64_e32 v[164:165], v[4:5], v[30:31]
	v_mul_f64_e32 v[30:31], v[6:7], v[30:31]
	v_fmac_f64_e32 v[166:167], v[14:15], v[24:25]
	v_fma_f64 v[24:25], v[12:13], v[24:25], -v[26:27]
	scratch_load_b128 v[12:15], off, off offset:512
	v_add_f64_e32 v[26:27], v[170:171], v[168:169]
	v_add_f64_e32 v[160:161], v[160:161], v[162:163]
	s_wait_loadcnt_dscnt 0xb00
	v_mul_f64_e32 v[162:163], v[20:21], v[126:127]
	v_mul_f64_e32 v[126:127], v[22:23], v[126:127]
	v_fmac_f64_e32 v[164:165], v[6:7], v[28:29]
	v_fma_f64 v[168:169], v[4:5], v[28:29], -v[30:31]
	v_add_f64_e32 v[170:171], v[26:27], v[24:25]
	v_add_f64_e32 v[160:161], v[160:161], v[166:167]
	ds_load_b128 v[4:7], v2 offset:1088
	ds_load_b128 v[24:27], v2 offset:1104
	scratch_load_b128 v[28:31], off, off offset:528
	v_fmac_f64_e32 v[162:163], v[22:23], v[124:125]
	v_fma_f64 v[124:125], v[20:21], v[124:125], -v[126:127]
	scratch_load_b128 v[20:23], off, off offset:544
	s_wait_loadcnt_dscnt 0xc01
	v_mul_f64_e32 v[166:167], v[4:5], v[130:131]
	v_mul_f64_e32 v[130:131], v[6:7], v[130:131]
	v_add_f64_e32 v[126:127], v[170:171], v[168:169]
	v_add_f64_e32 v[160:161], v[160:161], v[164:165]
	s_wait_loadcnt_dscnt 0xb00
	v_mul_f64_e32 v[164:165], v[24:25], v[134:135]
	v_mul_f64_e32 v[134:135], v[26:27], v[134:135]
	v_fmac_f64_e32 v[166:167], v[6:7], v[128:129]
	v_fma_f64 v[168:169], v[4:5], v[128:129], -v[130:131]
	v_add_f64_e32 v[170:171], v[126:127], v[124:125]
	v_add_f64_e32 v[160:161], v[160:161], v[162:163]
	ds_load_b128 v[4:7], v2 offset:1120
	ds_load_b128 v[124:127], v2 offset:1136
	scratch_load_b128 v[128:131], off, off offset:560
	v_fmac_f64_e32 v[164:165], v[26:27], v[132:133]
	v_fma_f64 v[132:133], v[24:25], v[132:133], -v[134:135]
	scratch_load_b128 v[24:27], off, off offset:576
	s_wait_loadcnt_dscnt 0xc01
	v_mul_f64_e32 v[162:163], v[4:5], v[142:143]
	v_mul_f64_e32 v[142:143], v[6:7], v[142:143]
	;; [unrolled: 18-line block ×5, first 2 shown]
	v_add_f64_e32 v[154:155], v[170:171], v[168:169]
	v_add_f64_e32 v[160:161], v[160:161], v[166:167]
	s_wait_loadcnt_dscnt 0xa00
	v_mul_f64_e32 v[166:167], v[132:133], v[14:15]
	v_mul_f64_e32 v[14:15], v[134:135], v[14:15]
	v_fmac_f64_e32 v[162:163], v[6:7], v[136:137]
	v_fma_f64 v[168:169], v[4:5], v[136:137], -v[138:139]
	ds_load_b128 v[4:7], v2 offset:1248
	ds_load_b128 v[136:139], v2 offset:1264
	v_add_f64_e32 v[170:171], v[154:155], v[152:153]
	v_add_f64_e32 v[160:161], v[160:161], v[164:165]
	scratch_load_b128 v[152:155], off, off offset:688
	v_fmac_f64_e32 v[166:167], v[134:135], v[12:13]
	v_fma_f64 v[132:133], v[132:133], v[12:13], -v[14:15]
	scratch_load_b128 v[12:15], off, off offset:704
	s_wait_loadcnt_dscnt 0xb01
	v_mul_f64_e32 v[164:165], v[4:5], v[30:31]
	v_mul_f64_e32 v[30:31], v[6:7], v[30:31]
	v_add_f64_e32 v[134:135], v[170:171], v[168:169]
	v_add_f64_e32 v[160:161], v[160:161], v[162:163]
	s_wait_loadcnt_dscnt 0xa00
	v_mul_f64_e32 v[162:163], v[136:137], v[22:23]
	v_mul_f64_e32 v[22:23], v[138:139], v[22:23]
	v_fmac_f64_e32 v[164:165], v[6:7], v[28:29]
	v_fma_f64 v[168:169], v[4:5], v[28:29], -v[30:31]
	ds_load_b128 v[4:7], v2 offset:1280
	ds_load_b128 v[28:31], v2 offset:1296
	v_add_f64_e32 v[132:133], v[134:135], v[132:133]
	v_add_f64_e32 v[134:135], v[160:161], v[166:167]
	v_fmac_f64_e32 v[162:163], v[138:139], v[20:21]
	s_wait_loadcnt_dscnt 0x901
	v_mul_f64_e32 v[160:161], v[4:5], v[130:131]
	v_mul_f64_e32 v[130:131], v[6:7], v[130:131]
	v_fma_f64 v[20:21], v[136:137], v[20:21], -v[22:23]
	v_add_f64_e32 v[22:23], v[132:133], v[168:169]
	v_add_f64_e32 v[132:133], v[134:135], v[164:165]
	s_wait_loadcnt_dscnt 0x800
	v_mul_f64_e32 v[134:135], v[28:29], v[26:27]
	v_mul_f64_e32 v[26:27], v[30:31], v[26:27]
	v_fmac_f64_e32 v[160:161], v[6:7], v[128:129]
	v_fma_f64 v[128:129], v[4:5], v[128:129], -v[130:131]
	v_add_f64_e32 v[130:131], v[22:23], v[20:21]
	v_add_f64_e32 v[132:133], v[132:133], v[162:163]
	ds_load_b128 v[4:7], v2 offset:1312
	ds_load_b128 v[20:23], v2 offset:1328
	v_fmac_f64_e32 v[134:135], v[30:31], v[24:25]
	v_fma_f64 v[24:25], v[28:29], v[24:25], -v[26:27]
	s_wait_loadcnt_dscnt 0x701
	v_mul_f64_e32 v[136:137], v[4:5], v[142:143]
	v_mul_f64_e32 v[138:139], v[6:7], v[142:143]
	s_wait_loadcnt_dscnt 0x600
	v_mul_f64_e32 v[30:31], v[20:21], v[126:127]
	v_mul_f64_e32 v[126:127], v[22:23], v[126:127]
	v_add_f64_e32 v[26:27], v[130:131], v[128:129]
	v_add_f64_e32 v[28:29], v[132:133], v[160:161]
	v_fmac_f64_e32 v[136:137], v[6:7], v[140:141]
	v_fma_f64 v[128:129], v[4:5], v[140:141], -v[138:139]
	v_fmac_f64_e32 v[30:31], v[22:23], v[124:125]
	v_fma_f64 v[20:21], v[20:21], v[124:125], -v[126:127]
	v_add_f64_e32 v[130:131], v[26:27], v[24:25]
	v_add_f64_e32 v[28:29], v[28:29], v[134:135]
	ds_load_b128 v[4:7], v2 offset:1344
	ds_load_b128 v[24:27], v2 offset:1360
	s_wait_loadcnt_dscnt 0x501
	v_mul_f64_e32 v[132:133], v[4:5], v[158:159]
	v_mul_f64_e32 v[134:135], v[6:7], v[158:159]
	s_wait_loadcnt_dscnt 0x400
	v_mul_f64_e32 v[124:125], v[24:25], v[10:11]
	v_mul_f64_e32 v[10:11], v[26:27], v[10:11]
	v_add_f64_e32 v[22:23], v[130:131], v[128:129]
	v_add_f64_e32 v[28:29], v[28:29], v[136:137]
	v_fmac_f64_e32 v[132:133], v[6:7], v[156:157]
	v_fma_f64 v[126:127], v[4:5], v[156:157], -v[134:135]
	v_fmac_f64_e32 v[124:125], v[26:27], v[8:9]
	v_fma_f64 v[8:9], v[24:25], v[8:9], -v[10:11]
	v_add_f64_e32 v[128:129], v[22:23], v[20:21]
	v_add_f64_e32 v[28:29], v[28:29], v[30:31]
	ds_load_b128 v[4:7], v2 offset:1376
	ds_load_b128 v[20:23], v2 offset:1392
	;; [unrolled: 16-line block ×3, first 2 shown]
	s_wait_loadcnt_dscnt 0x101
	v_mul_f64_e32 v[2:3], v[4:5], v[154:155]
	v_mul_f64_e32 v[124:125], v[6:7], v[154:155]
	s_wait_loadcnt_dscnt 0x0
	v_mul_f64_e32 v[22:23], v[8:9], v[14:15]
	v_mul_f64_e32 v[14:15], v[10:11], v[14:15]
	v_add_f64_e32 v[18:19], v[126:127], v[28:29]
	v_add_f64_e32 v[20:21], v[24:25], v[30:31]
	v_fmac_f64_e32 v[2:3], v[6:7], v[152:153]
	v_fma_f64 v[4:5], v[4:5], v[152:153], -v[124:125]
	v_fmac_f64_e32 v[22:23], v[10:11], v[12:13]
	v_fma_f64 v[8:9], v[8:9], v[12:13], -v[14:15]
	v_add_f64_e32 v[6:7], v[18:19], v[16:17]
	v_add_f64_e32 v[16:17], v[20:21], v[26:27]
	s_delay_alu instid0(VALU_DEP_2) | instskip(NEXT) | instid1(VALU_DEP_2)
	v_add_f64_e32 v[4:5], v[6:7], v[4:5]
	v_add_f64_e32 v[2:3], v[16:17], v[2:3]
	s_delay_alu instid0(VALU_DEP_2) | instskip(NEXT) | instid1(VALU_DEP_2)
	;; [unrolled: 3-line block ×3, first 2 shown]
	v_add_f64_e64 v[2:3], v[148:149], -v[4:5]
	v_add_f64_e64 v[4:5], v[150:151], -v[6:7]
	scratch_store_b128 off, v[2:5], off offset:224
	s_wait_xcnt 0x0
	v_cmpx_lt_u32_e32 13, v1
	s_cbranch_execz .LBB44_257
; %bb.256:
	scratch_load_b128 v[2:5], off, s55
	v_mov_b32_e32 v6, 0
	s_delay_alu instid0(VALU_DEP_1)
	v_dual_mov_b32 v7, v6 :: v_dual_mov_b32 v8, v6
	v_mov_b32_e32 v9, v6
	scratch_store_b128 off, v[6:9], off offset:208
	s_wait_loadcnt 0x0
	ds_store_b128 v122, v[2:5]
.LBB44_257:
	s_wait_xcnt 0x0
	s_or_b32 exec_lo, exec_lo, s2
	s_wait_storecnt_dscnt 0x0
	s_barrier_signal -1
	s_barrier_wait -1
	s_clause 0x9
	scratch_load_b128 v[4:7], off, off offset:224
	scratch_load_b128 v[8:11], off, off offset:240
	;; [unrolled: 1-line block ×10, first 2 shown]
	v_mov_b32_e32 v2, 0
	s_mov_b32 s2, exec_lo
	ds_load_b128 v[136:139], v2 offset:944
	s_clause 0x2
	scratch_load_b128 v[140:143], off, off offset:384
	scratch_load_b128 v[144:147], off, off offset:208
	;; [unrolled: 1-line block ×3, first 2 shown]
	s_wait_loadcnt_dscnt 0xc00
	v_mul_f64_e32 v[156:157], v[138:139], v[6:7]
	v_mul_f64_e32 v[160:161], v[136:137], v[6:7]
	ds_load_b128 v[148:151], v2 offset:960
	v_fma_f64 v[164:165], v[136:137], v[4:5], -v[156:157]
	v_fmac_f64_e32 v[160:161], v[138:139], v[4:5]
	ds_load_b128 v[4:7], v2 offset:976
	s_wait_loadcnt_dscnt 0xb01
	v_mul_f64_e32 v[162:163], v[148:149], v[10:11]
	v_mul_f64_e32 v[10:11], v[150:151], v[10:11]
	scratch_load_b128 v[136:139], off, off offset:416
	ds_load_b128 v[156:159], v2 offset:992
	s_wait_loadcnt_dscnt 0xb01
	v_mul_f64_e32 v[166:167], v[4:5], v[14:15]
	v_mul_f64_e32 v[14:15], v[6:7], v[14:15]
	v_add_f64_e32 v[160:161], 0, v[160:161]
	v_fmac_f64_e32 v[162:163], v[150:151], v[8:9]
	v_fma_f64 v[148:149], v[148:149], v[8:9], -v[10:11]
	v_add_f64_e32 v[150:151], 0, v[164:165]
	scratch_load_b128 v[8:11], off, off offset:432
	v_fmac_f64_e32 v[166:167], v[6:7], v[12:13]
	v_fma_f64 v[168:169], v[4:5], v[12:13], -v[14:15]
	ds_load_b128 v[4:7], v2 offset:1008
	s_wait_loadcnt_dscnt 0xb01
	v_mul_f64_e32 v[164:165], v[156:157], v[18:19]
	v_mul_f64_e32 v[18:19], v[158:159], v[18:19]
	scratch_load_b128 v[12:15], off, off offset:448
	v_add_f64_e32 v[160:161], v[160:161], v[162:163]
	v_add_f64_e32 v[170:171], v[150:151], v[148:149]
	ds_load_b128 v[148:151], v2 offset:1024
	s_wait_loadcnt_dscnt 0xb01
	v_mul_f64_e32 v[162:163], v[4:5], v[22:23]
	v_mul_f64_e32 v[22:23], v[6:7], v[22:23]
	v_fmac_f64_e32 v[164:165], v[158:159], v[16:17]
	v_fma_f64 v[156:157], v[156:157], v[16:17], -v[18:19]
	scratch_load_b128 v[16:19], off, off offset:464
	v_add_f64_e32 v[160:161], v[160:161], v[166:167]
	v_add_f64_e32 v[158:159], v[170:171], v[168:169]
	v_fmac_f64_e32 v[162:163], v[6:7], v[20:21]
	v_fma_f64 v[168:169], v[4:5], v[20:21], -v[22:23]
	ds_load_b128 v[4:7], v2 offset:1040
	s_wait_loadcnt_dscnt 0xb01
	v_mul_f64_e32 v[166:167], v[148:149], v[26:27]
	v_mul_f64_e32 v[26:27], v[150:151], v[26:27]
	scratch_load_b128 v[20:23], off, off offset:480
	v_add_f64_e32 v[160:161], v[160:161], v[164:165]
	s_wait_loadcnt_dscnt 0xb00
	v_mul_f64_e32 v[164:165], v[4:5], v[30:31]
	v_add_f64_e32 v[170:171], v[158:159], v[156:157]
	v_mul_f64_e32 v[30:31], v[6:7], v[30:31]
	ds_load_b128 v[156:159], v2 offset:1056
	v_fmac_f64_e32 v[166:167], v[150:151], v[24:25]
	v_fma_f64 v[148:149], v[148:149], v[24:25], -v[26:27]
	scratch_load_b128 v[24:27], off, off offset:496
	v_add_f64_e32 v[160:161], v[160:161], v[162:163]
	v_fmac_f64_e32 v[164:165], v[6:7], v[28:29]
	v_add_f64_e32 v[150:151], v[170:171], v[168:169]
	v_fma_f64 v[168:169], v[4:5], v[28:29], -v[30:31]
	ds_load_b128 v[4:7], v2 offset:1072
	s_wait_loadcnt_dscnt 0xb01
	v_mul_f64_e32 v[162:163], v[156:157], v[126:127]
	v_mul_f64_e32 v[126:127], v[158:159], v[126:127]
	scratch_load_b128 v[28:31], off, off offset:512
	v_add_f64_e32 v[160:161], v[160:161], v[166:167]
	s_wait_loadcnt_dscnt 0xb00
	v_mul_f64_e32 v[166:167], v[4:5], v[130:131]
	v_add_f64_e32 v[170:171], v[150:151], v[148:149]
	v_mul_f64_e32 v[130:131], v[6:7], v[130:131]
	ds_load_b128 v[148:151], v2 offset:1088
	v_fmac_f64_e32 v[162:163], v[158:159], v[124:125]
	v_fma_f64 v[156:157], v[156:157], v[124:125], -v[126:127]
	scratch_load_b128 v[124:127], off, off offset:528
	v_add_f64_e32 v[160:161], v[160:161], v[164:165]
	v_fmac_f64_e32 v[166:167], v[6:7], v[128:129]
	v_add_f64_e32 v[158:159], v[170:171], v[168:169]
	;; [unrolled: 18-line block ×3, first 2 shown]
	v_fma_f64 v[168:169], v[4:5], v[140:141], -v[142:143]
	ds_load_b128 v[4:7], v2 offset:1136
	s_wait_loadcnt_dscnt 0xa01
	v_mul_f64_e32 v[166:167], v[156:157], v[154:155]
	v_mul_f64_e32 v[154:155], v[158:159], v[154:155]
	scratch_load_b128 v[140:143], off, off offset:576
	v_add_f64_e32 v[160:161], v[160:161], v[164:165]
	v_add_f64_e32 v[170:171], v[150:151], v[148:149]
	s_wait_loadcnt_dscnt 0xa00
	v_mul_f64_e32 v[164:165], v[4:5], v[138:139]
	v_mul_f64_e32 v[138:139], v[6:7], v[138:139]
	v_fmac_f64_e32 v[166:167], v[158:159], v[152:153]
	v_fma_f64 v[156:157], v[156:157], v[152:153], -v[154:155]
	ds_load_b128 v[148:151], v2 offset:1152
	scratch_load_b128 v[152:155], off, off offset:592
	v_add_f64_e32 v[160:161], v[160:161], v[162:163]
	v_add_f64_e32 v[158:159], v[170:171], v[168:169]
	v_fmac_f64_e32 v[164:165], v[6:7], v[136:137]
	v_fma_f64 v[168:169], v[4:5], v[136:137], -v[138:139]
	ds_load_b128 v[4:7], v2 offset:1168
	s_wait_loadcnt_dscnt 0xa01
	v_mul_f64_e32 v[162:163], v[148:149], v[10:11]
	v_mul_f64_e32 v[10:11], v[150:151], v[10:11]
	scratch_load_b128 v[136:139], off, off offset:608
	v_add_f64_e32 v[160:161], v[160:161], v[166:167]
	s_wait_loadcnt_dscnt 0xa00
	v_mul_f64_e32 v[166:167], v[4:5], v[14:15]
	v_add_f64_e32 v[170:171], v[158:159], v[156:157]
	v_mul_f64_e32 v[14:15], v[6:7], v[14:15]
	ds_load_b128 v[156:159], v2 offset:1184
	v_fmac_f64_e32 v[162:163], v[150:151], v[8:9]
	v_fma_f64 v[148:149], v[148:149], v[8:9], -v[10:11]
	scratch_load_b128 v[8:11], off, off offset:624
	v_add_f64_e32 v[160:161], v[160:161], v[164:165]
	v_fmac_f64_e32 v[166:167], v[6:7], v[12:13]
	v_add_f64_e32 v[150:151], v[170:171], v[168:169]
	v_fma_f64 v[168:169], v[4:5], v[12:13], -v[14:15]
	ds_load_b128 v[4:7], v2 offset:1200
	s_wait_loadcnt_dscnt 0xa01
	v_mul_f64_e32 v[164:165], v[156:157], v[18:19]
	v_mul_f64_e32 v[18:19], v[158:159], v[18:19]
	scratch_load_b128 v[12:15], off, off offset:640
	v_add_f64_e32 v[160:161], v[160:161], v[162:163]
	s_wait_loadcnt_dscnt 0xa00
	v_mul_f64_e32 v[162:163], v[4:5], v[22:23]
	v_add_f64_e32 v[170:171], v[150:151], v[148:149]
	v_mul_f64_e32 v[22:23], v[6:7], v[22:23]
	ds_load_b128 v[148:151], v2 offset:1216
	v_fmac_f64_e32 v[164:165], v[158:159], v[16:17]
	v_fma_f64 v[156:157], v[156:157], v[16:17], -v[18:19]
	scratch_load_b128 v[16:19], off, off offset:656
	v_add_f64_e32 v[160:161], v[160:161], v[166:167]
	v_fmac_f64_e32 v[162:163], v[6:7], v[20:21]
	v_add_f64_e32 v[158:159], v[170:171], v[168:169]
	;; [unrolled: 18-line block ×3, first 2 shown]
	v_fma_f64 v[168:169], v[4:5], v[28:29], -v[30:31]
	ds_load_b128 v[4:7], v2 offset:1264
	s_wait_loadcnt_dscnt 0xa01
	v_mul_f64_e32 v[162:163], v[156:157], v[126:127]
	v_mul_f64_e32 v[126:127], v[158:159], v[126:127]
	scratch_load_b128 v[28:31], off, off offset:704
	v_add_f64_e32 v[160:161], v[160:161], v[166:167]
	s_wait_loadcnt_dscnt 0xa00
	v_mul_f64_e32 v[166:167], v[4:5], v[130:131]
	v_add_f64_e32 v[170:171], v[150:151], v[148:149]
	v_mul_f64_e32 v[130:131], v[6:7], v[130:131]
	ds_load_b128 v[148:151], v2 offset:1280
	v_fmac_f64_e32 v[162:163], v[158:159], v[124:125]
	v_fma_f64 v[124:125], v[156:157], v[124:125], -v[126:127]
	s_wait_loadcnt_dscnt 0x900
	v_mul_f64_e32 v[158:159], v[148:149], v[134:135]
	v_mul_f64_e32 v[134:135], v[150:151], v[134:135]
	v_add_f64_e32 v[156:157], v[160:161], v[164:165]
	v_fmac_f64_e32 v[166:167], v[6:7], v[128:129]
	v_add_f64_e32 v[126:127], v[170:171], v[168:169]
	v_fma_f64 v[128:129], v[4:5], v[128:129], -v[130:131]
	v_fmac_f64_e32 v[158:159], v[150:151], v[132:133]
	v_fma_f64 v[132:133], v[148:149], v[132:133], -v[134:135]
	v_add_f64_e32 v[156:157], v[156:157], v[162:163]
	v_add_f64_e32 v[130:131], v[126:127], v[124:125]
	ds_load_b128 v[4:7], v2 offset:1296
	ds_load_b128 v[124:127], v2 offset:1312
	s_wait_loadcnt_dscnt 0x801
	v_mul_f64_e32 v[160:161], v[4:5], v[142:143]
	v_mul_f64_e32 v[142:143], v[6:7], v[142:143]
	s_wait_loadcnt_dscnt 0x700
	v_mul_f64_e32 v[134:135], v[124:125], v[154:155]
	v_mul_f64_e32 v[148:149], v[126:127], v[154:155]
	v_add_f64_e32 v[128:129], v[130:131], v[128:129]
	v_add_f64_e32 v[130:131], v[156:157], v[166:167]
	v_fmac_f64_e32 v[160:161], v[6:7], v[140:141]
	v_fma_f64 v[140:141], v[4:5], v[140:141], -v[142:143]
	v_fmac_f64_e32 v[134:135], v[126:127], v[152:153]
	v_fma_f64 v[124:125], v[124:125], v[152:153], -v[148:149]
	v_add_f64_e32 v[132:133], v[128:129], v[132:133]
	v_add_f64_e32 v[142:143], v[130:131], v[158:159]
	ds_load_b128 v[4:7], v2 offset:1328
	ds_load_b128 v[128:131], v2 offset:1344
	s_wait_loadcnt_dscnt 0x601
	v_mul_f64_e32 v[150:151], v[4:5], v[138:139]
	v_mul_f64_e32 v[138:139], v[6:7], v[138:139]
	v_add_f64_e32 v[126:127], v[132:133], v[140:141]
	v_add_f64_e32 v[132:133], v[142:143], v[160:161]
	s_wait_loadcnt_dscnt 0x500
	v_mul_f64_e32 v[140:141], v[128:129], v[10:11]
	v_mul_f64_e32 v[10:11], v[130:131], v[10:11]
	v_fmac_f64_e32 v[150:151], v[6:7], v[136:137]
	v_fma_f64 v[136:137], v[4:5], v[136:137], -v[138:139]
	v_add_f64_e32 v[138:139], v[126:127], v[124:125]
	v_add_f64_e32 v[132:133], v[132:133], v[134:135]
	ds_load_b128 v[4:7], v2 offset:1360
	ds_load_b128 v[124:127], v2 offset:1376
	v_fmac_f64_e32 v[140:141], v[130:131], v[8:9]
	v_fma_f64 v[8:9], v[128:129], v[8:9], -v[10:11]
	s_wait_loadcnt_dscnt 0x401
	v_mul_f64_e32 v[134:135], v[4:5], v[14:15]
	v_mul_f64_e32 v[14:15], v[6:7], v[14:15]
	s_wait_loadcnt_dscnt 0x300
	v_mul_f64_e32 v[130:131], v[124:125], v[18:19]
	v_mul_f64_e32 v[18:19], v[126:127], v[18:19]
	v_add_f64_e32 v[10:11], v[138:139], v[136:137]
	v_add_f64_e32 v[128:129], v[132:133], v[150:151]
	v_fmac_f64_e32 v[134:135], v[6:7], v[12:13]
	v_fma_f64 v[12:13], v[4:5], v[12:13], -v[14:15]
	v_fmac_f64_e32 v[130:131], v[126:127], v[16:17]
	v_fma_f64 v[16:17], v[124:125], v[16:17], -v[18:19]
	v_add_f64_e32 v[14:15], v[10:11], v[8:9]
	v_add_f64_e32 v[128:129], v[128:129], v[140:141]
	ds_load_b128 v[4:7], v2 offset:1392
	ds_load_b128 v[8:11], v2 offset:1408
	s_wait_loadcnt_dscnt 0x201
	v_mul_f64_e32 v[132:133], v[4:5], v[22:23]
	v_mul_f64_e32 v[22:23], v[6:7], v[22:23]
	s_wait_loadcnt_dscnt 0x100
	v_mul_f64_e32 v[18:19], v[8:9], v[26:27]
	v_mul_f64_e32 v[26:27], v[10:11], v[26:27]
	v_add_f64_e32 v[12:13], v[14:15], v[12:13]
	v_add_f64_e32 v[14:15], v[128:129], v[134:135]
	v_fmac_f64_e32 v[132:133], v[6:7], v[20:21]
	v_fma_f64 v[20:21], v[4:5], v[20:21], -v[22:23]
	ds_load_b128 v[4:7], v2 offset:1424
	v_fmac_f64_e32 v[18:19], v[10:11], v[24:25]
	v_fma_f64 v[8:9], v[8:9], v[24:25], -v[26:27]
	v_add_f64_e32 v[12:13], v[12:13], v[16:17]
	v_add_f64_e32 v[14:15], v[14:15], v[130:131]
	s_wait_loadcnt_dscnt 0x0
	v_mul_f64_e32 v[16:17], v[4:5], v[30:31]
	v_mul_f64_e32 v[22:23], v[6:7], v[30:31]
	s_delay_alu instid0(VALU_DEP_4) | instskip(NEXT) | instid1(VALU_DEP_4)
	v_add_f64_e32 v[10:11], v[12:13], v[20:21]
	v_add_f64_e32 v[12:13], v[14:15], v[132:133]
	s_delay_alu instid0(VALU_DEP_4) | instskip(NEXT) | instid1(VALU_DEP_4)
	v_fmac_f64_e32 v[16:17], v[6:7], v[28:29]
	v_fma_f64 v[4:5], v[4:5], v[28:29], -v[22:23]
	s_delay_alu instid0(VALU_DEP_4) | instskip(NEXT) | instid1(VALU_DEP_4)
	v_add_f64_e32 v[6:7], v[10:11], v[8:9]
	v_add_f64_e32 v[8:9], v[12:13], v[18:19]
	s_delay_alu instid0(VALU_DEP_2) | instskip(NEXT) | instid1(VALU_DEP_2)
	v_add_f64_e32 v[4:5], v[6:7], v[4:5]
	v_add_f64_e32 v[6:7], v[8:9], v[16:17]
	s_delay_alu instid0(VALU_DEP_2) | instskip(NEXT) | instid1(VALU_DEP_2)
	v_add_f64_e64 v[4:5], v[144:145], -v[4:5]
	v_add_f64_e64 v[6:7], v[146:147], -v[6:7]
	scratch_store_b128 off, v[4:7], off offset:208
	s_wait_xcnt 0x0
	v_cmpx_lt_u32_e32 12, v1
	s_cbranch_execz .LBB44_259
; %bb.258:
	scratch_load_b128 v[6:9], off, s54
	v_dual_mov_b32 v3, v2 :: v_dual_mov_b32 v4, v2
	v_mov_b32_e32 v5, v2
	scratch_store_b128 off, v[2:5], off offset:192
	s_wait_loadcnt 0x0
	ds_store_b128 v122, v[6:9]
.LBB44_259:
	s_wait_xcnt 0x0
	s_or_b32 exec_lo, exec_lo, s2
	s_wait_storecnt_dscnt 0x0
	s_barrier_signal -1
	s_barrier_wait -1
	s_clause 0x9
	scratch_load_b128 v[4:7], off, off offset:208
	scratch_load_b128 v[8:11], off, off offset:224
	;; [unrolled: 1-line block ×10, first 2 shown]
	ds_load_b128 v[136:139], v2 offset:928
	ds_load_b128 v[144:147], v2 offset:944
	s_clause 0x2
	scratch_load_b128 v[140:143], off, off offset:368
	scratch_load_b128 v[148:151], off, off offset:192
	scratch_load_b128 v[152:155], off, off offset:384
	s_mov_b32 s2, exec_lo
	s_wait_loadcnt_dscnt 0xc01
	v_mul_f64_e32 v[156:157], v[138:139], v[6:7]
	v_mul_f64_e32 v[160:161], v[136:137], v[6:7]
	s_wait_loadcnt_dscnt 0xb00
	v_mul_f64_e32 v[162:163], v[144:145], v[10:11]
	v_mul_f64_e32 v[10:11], v[146:147], v[10:11]
	s_delay_alu instid0(VALU_DEP_4) | instskip(NEXT) | instid1(VALU_DEP_4)
	v_fma_f64 v[164:165], v[136:137], v[4:5], -v[156:157]
	v_fmac_f64_e32 v[160:161], v[138:139], v[4:5]
	ds_load_b128 v[4:7], v2 offset:960
	ds_load_b128 v[136:139], v2 offset:976
	scratch_load_b128 v[156:159], off, off offset:400
	v_fmac_f64_e32 v[162:163], v[146:147], v[8:9]
	v_fma_f64 v[144:145], v[144:145], v[8:9], -v[10:11]
	scratch_load_b128 v[8:11], off, off offset:416
	s_wait_loadcnt_dscnt 0xc01
	v_mul_f64_e32 v[166:167], v[4:5], v[14:15]
	v_mul_f64_e32 v[14:15], v[6:7], v[14:15]
	v_add_f64_e32 v[146:147], 0, v[164:165]
	v_add_f64_e32 v[160:161], 0, v[160:161]
	s_wait_loadcnt_dscnt 0xb00
	v_mul_f64_e32 v[164:165], v[136:137], v[18:19]
	v_mul_f64_e32 v[18:19], v[138:139], v[18:19]
	v_fmac_f64_e32 v[166:167], v[6:7], v[12:13]
	v_fma_f64 v[168:169], v[4:5], v[12:13], -v[14:15]
	ds_load_b128 v[4:7], v2 offset:992
	ds_load_b128 v[12:15], v2 offset:1008
	v_add_f64_e32 v[170:171], v[146:147], v[144:145]
	v_add_f64_e32 v[160:161], v[160:161], v[162:163]
	scratch_load_b128 v[144:147], off, off offset:432
	v_fmac_f64_e32 v[164:165], v[138:139], v[16:17]
	v_fma_f64 v[136:137], v[136:137], v[16:17], -v[18:19]
	scratch_load_b128 v[16:19], off, off offset:448
	s_wait_loadcnt_dscnt 0xc01
	v_mul_f64_e32 v[162:163], v[4:5], v[22:23]
	v_mul_f64_e32 v[22:23], v[6:7], v[22:23]
	v_add_f64_e32 v[138:139], v[170:171], v[168:169]
	v_add_f64_e32 v[160:161], v[160:161], v[166:167]
	s_wait_loadcnt_dscnt 0xb00
	v_mul_f64_e32 v[166:167], v[12:13], v[26:27]
	v_mul_f64_e32 v[26:27], v[14:15], v[26:27]
	v_fmac_f64_e32 v[162:163], v[6:7], v[20:21]
	v_fma_f64 v[168:169], v[4:5], v[20:21], -v[22:23]
	ds_load_b128 v[4:7], v2 offset:1024
	ds_load_b128 v[20:23], v2 offset:1040
	v_add_f64_e32 v[170:171], v[138:139], v[136:137]
	v_add_f64_e32 v[160:161], v[160:161], v[164:165]
	scratch_load_b128 v[136:139], off, off offset:464
	s_wait_loadcnt_dscnt 0xb01
	v_mul_f64_e32 v[164:165], v[4:5], v[30:31]
	v_mul_f64_e32 v[30:31], v[6:7], v[30:31]
	v_fmac_f64_e32 v[166:167], v[14:15], v[24:25]
	v_fma_f64 v[24:25], v[12:13], v[24:25], -v[26:27]
	scratch_load_b128 v[12:15], off, off offset:480
	v_add_f64_e32 v[26:27], v[170:171], v[168:169]
	v_add_f64_e32 v[160:161], v[160:161], v[162:163]
	s_wait_loadcnt_dscnt 0xb00
	v_mul_f64_e32 v[162:163], v[20:21], v[126:127]
	v_mul_f64_e32 v[126:127], v[22:23], v[126:127]
	v_fmac_f64_e32 v[164:165], v[6:7], v[28:29]
	v_fma_f64 v[168:169], v[4:5], v[28:29], -v[30:31]
	v_add_f64_e32 v[170:171], v[26:27], v[24:25]
	v_add_f64_e32 v[160:161], v[160:161], v[166:167]
	ds_load_b128 v[4:7], v2 offset:1056
	ds_load_b128 v[24:27], v2 offset:1072
	scratch_load_b128 v[28:31], off, off offset:496
	v_fmac_f64_e32 v[162:163], v[22:23], v[124:125]
	v_fma_f64 v[124:125], v[20:21], v[124:125], -v[126:127]
	scratch_load_b128 v[20:23], off, off offset:512
	s_wait_loadcnt_dscnt 0xc01
	v_mul_f64_e32 v[166:167], v[4:5], v[130:131]
	v_mul_f64_e32 v[130:131], v[6:7], v[130:131]
	v_add_f64_e32 v[126:127], v[170:171], v[168:169]
	v_add_f64_e32 v[160:161], v[160:161], v[164:165]
	s_wait_loadcnt_dscnt 0xb00
	v_mul_f64_e32 v[164:165], v[24:25], v[134:135]
	v_mul_f64_e32 v[134:135], v[26:27], v[134:135]
	v_fmac_f64_e32 v[166:167], v[6:7], v[128:129]
	v_fma_f64 v[168:169], v[4:5], v[128:129], -v[130:131]
	v_add_f64_e32 v[170:171], v[126:127], v[124:125]
	v_add_f64_e32 v[160:161], v[160:161], v[162:163]
	ds_load_b128 v[4:7], v2 offset:1088
	ds_load_b128 v[124:127], v2 offset:1104
	scratch_load_b128 v[128:131], off, off offset:528
	v_fmac_f64_e32 v[164:165], v[26:27], v[132:133]
	v_fma_f64 v[132:133], v[24:25], v[132:133], -v[134:135]
	scratch_load_b128 v[24:27], off, off offset:544
	s_wait_loadcnt_dscnt 0xc01
	v_mul_f64_e32 v[162:163], v[4:5], v[142:143]
	v_mul_f64_e32 v[142:143], v[6:7], v[142:143]
	;; [unrolled: 18-line block ×5, first 2 shown]
	v_add_f64_e32 v[154:155], v[170:171], v[168:169]
	v_add_f64_e32 v[160:161], v[160:161], v[166:167]
	s_wait_loadcnt_dscnt 0xa00
	v_mul_f64_e32 v[166:167], v[132:133], v[14:15]
	v_mul_f64_e32 v[14:15], v[134:135], v[14:15]
	v_fmac_f64_e32 v[162:163], v[6:7], v[136:137]
	v_fma_f64 v[168:169], v[4:5], v[136:137], -v[138:139]
	ds_load_b128 v[4:7], v2 offset:1216
	ds_load_b128 v[136:139], v2 offset:1232
	v_add_f64_e32 v[170:171], v[154:155], v[152:153]
	v_add_f64_e32 v[160:161], v[160:161], v[164:165]
	scratch_load_b128 v[152:155], off, off offset:656
	v_fmac_f64_e32 v[166:167], v[134:135], v[12:13]
	v_fma_f64 v[132:133], v[132:133], v[12:13], -v[14:15]
	scratch_load_b128 v[12:15], off, off offset:672
	s_wait_loadcnt_dscnt 0xb01
	v_mul_f64_e32 v[164:165], v[4:5], v[30:31]
	v_mul_f64_e32 v[30:31], v[6:7], v[30:31]
	v_add_f64_e32 v[134:135], v[170:171], v[168:169]
	v_add_f64_e32 v[160:161], v[160:161], v[162:163]
	s_wait_loadcnt_dscnt 0xa00
	v_mul_f64_e32 v[162:163], v[136:137], v[22:23]
	v_mul_f64_e32 v[22:23], v[138:139], v[22:23]
	v_fmac_f64_e32 v[164:165], v[6:7], v[28:29]
	v_fma_f64 v[168:169], v[4:5], v[28:29], -v[30:31]
	ds_load_b128 v[4:7], v2 offset:1248
	ds_load_b128 v[28:31], v2 offset:1264
	v_add_f64_e32 v[170:171], v[134:135], v[132:133]
	v_add_f64_e32 v[160:161], v[160:161], v[166:167]
	scratch_load_b128 v[132:135], off, off offset:688
	s_wait_loadcnt_dscnt 0xa01
	v_mul_f64_e32 v[166:167], v[4:5], v[130:131]
	v_mul_f64_e32 v[130:131], v[6:7], v[130:131]
	v_fmac_f64_e32 v[162:163], v[138:139], v[20:21]
	v_fma_f64 v[136:137], v[136:137], v[20:21], -v[22:23]
	scratch_load_b128 v[20:23], off, off offset:704
	v_add_f64_e32 v[138:139], v[170:171], v[168:169]
	v_add_f64_e32 v[160:161], v[160:161], v[164:165]
	s_wait_loadcnt_dscnt 0xa00
	v_mul_f64_e32 v[164:165], v[28:29], v[26:27]
	v_mul_f64_e32 v[26:27], v[30:31], v[26:27]
	v_fmac_f64_e32 v[166:167], v[6:7], v[128:129]
	v_fma_f64 v[168:169], v[4:5], v[128:129], -v[130:131]
	ds_load_b128 v[4:7], v2 offset:1280
	ds_load_b128 v[128:131], v2 offset:1296
	v_add_f64_e32 v[136:137], v[138:139], v[136:137]
	v_add_f64_e32 v[138:139], v[160:161], v[162:163]
	v_fmac_f64_e32 v[164:165], v[30:31], v[24:25]
	s_wait_loadcnt_dscnt 0x901
	v_mul_f64_e32 v[160:161], v[4:5], v[142:143]
	v_mul_f64_e32 v[142:143], v[6:7], v[142:143]
	v_fma_f64 v[24:25], v[28:29], v[24:25], -v[26:27]
	s_wait_loadcnt_dscnt 0x800
	v_mul_f64_e32 v[30:31], v[128:129], v[126:127]
	v_mul_f64_e32 v[126:127], v[130:131], v[126:127]
	v_add_f64_e32 v[26:27], v[136:137], v[168:169]
	v_add_f64_e32 v[28:29], v[138:139], v[166:167]
	v_fmac_f64_e32 v[160:161], v[6:7], v[140:141]
	v_fma_f64 v[136:137], v[4:5], v[140:141], -v[142:143]
	v_fmac_f64_e32 v[30:31], v[130:131], v[124:125]
	v_fma_f64 v[124:125], v[128:129], v[124:125], -v[126:127]
	v_add_f64_e32 v[138:139], v[26:27], v[24:25]
	v_add_f64_e32 v[28:29], v[28:29], v[164:165]
	ds_load_b128 v[4:7], v2 offset:1312
	ds_load_b128 v[24:27], v2 offset:1328
	s_wait_loadcnt_dscnt 0x701
	v_mul_f64_e32 v[140:141], v[4:5], v[158:159]
	v_mul_f64_e32 v[142:143], v[6:7], v[158:159]
	s_wait_loadcnt_dscnt 0x600
	v_mul_f64_e32 v[128:129], v[24:25], v[10:11]
	v_mul_f64_e32 v[10:11], v[26:27], v[10:11]
	v_add_f64_e32 v[126:127], v[138:139], v[136:137]
	v_add_f64_e32 v[28:29], v[28:29], v[160:161]
	v_fmac_f64_e32 v[140:141], v[6:7], v[156:157]
	v_fma_f64 v[130:131], v[4:5], v[156:157], -v[142:143]
	v_fmac_f64_e32 v[128:129], v[26:27], v[8:9]
	v_fma_f64 v[8:9], v[24:25], v[8:9], -v[10:11]
	v_add_f64_e32 v[124:125], v[126:127], v[124:125]
	v_add_f64_e32 v[126:127], v[28:29], v[30:31]
	ds_load_b128 v[4:7], v2 offset:1344
	ds_load_b128 v[28:31], v2 offset:1360
	s_wait_loadcnt_dscnt 0x501
	v_mul_f64_e32 v[136:137], v[4:5], v[146:147]
	v_mul_f64_e32 v[138:139], v[6:7], v[146:147]
	;; [unrolled: 16-line block ×4, first 2 shown]
	v_add_f64_e32 v[10:11], v[18:19], v[124:125]
	v_add_f64_e32 v[12:13], v[24:25], v[128:129]
	s_wait_loadcnt_dscnt 0x0
	v_mul_f64_e32 v[18:19], v[14:15], v[22:23]
	v_mul_f64_e32 v[22:23], v[16:17], v[22:23]
	v_fmac_f64_e32 v[2:3], v[6:7], v[132:133]
	v_fma_f64 v[4:5], v[4:5], v[132:133], -v[26:27]
	v_add_f64_e32 v[6:7], v[10:11], v[8:9]
	v_add_f64_e32 v[8:9], v[12:13], v[28:29]
	v_fmac_f64_e32 v[18:19], v[16:17], v[20:21]
	v_fma_f64 v[10:11], v[14:15], v[20:21], -v[22:23]
	s_delay_alu instid0(VALU_DEP_4) | instskip(NEXT) | instid1(VALU_DEP_4)
	v_add_f64_e32 v[4:5], v[6:7], v[4:5]
	v_add_f64_e32 v[2:3], v[8:9], v[2:3]
	s_delay_alu instid0(VALU_DEP_2) | instskip(NEXT) | instid1(VALU_DEP_2)
	v_add_f64_e32 v[4:5], v[4:5], v[10:11]
	v_add_f64_e32 v[6:7], v[2:3], v[18:19]
	s_delay_alu instid0(VALU_DEP_2) | instskip(NEXT) | instid1(VALU_DEP_2)
	v_add_f64_e64 v[2:3], v[148:149], -v[4:5]
	v_add_f64_e64 v[4:5], v[150:151], -v[6:7]
	scratch_store_b128 off, v[2:5], off offset:192
	s_wait_xcnt 0x0
	v_cmpx_lt_u32_e32 11, v1
	s_cbranch_execz .LBB44_261
; %bb.260:
	scratch_load_b128 v[2:5], off, s52
	v_mov_b32_e32 v6, 0
	s_delay_alu instid0(VALU_DEP_1)
	v_dual_mov_b32 v7, v6 :: v_dual_mov_b32 v8, v6
	v_mov_b32_e32 v9, v6
	scratch_store_b128 off, v[6:9], off offset:176
	s_wait_loadcnt 0x0
	ds_store_b128 v122, v[2:5]
.LBB44_261:
	s_wait_xcnt 0x0
	s_or_b32 exec_lo, exec_lo, s2
	s_wait_storecnt_dscnt 0x0
	s_barrier_signal -1
	s_barrier_wait -1
	s_clause 0x9
	scratch_load_b128 v[4:7], off, off offset:192
	scratch_load_b128 v[8:11], off, off offset:208
	;; [unrolled: 1-line block ×10, first 2 shown]
	v_mov_b32_e32 v2, 0
	s_mov_b32 s2, exec_lo
	ds_load_b128 v[136:139], v2 offset:912
	s_clause 0x2
	scratch_load_b128 v[140:143], off, off offset:352
	scratch_load_b128 v[144:147], off, off offset:176
	;; [unrolled: 1-line block ×3, first 2 shown]
	s_wait_loadcnt_dscnt 0xc00
	v_mul_f64_e32 v[156:157], v[138:139], v[6:7]
	v_mul_f64_e32 v[160:161], v[136:137], v[6:7]
	ds_load_b128 v[148:151], v2 offset:928
	v_fma_f64 v[164:165], v[136:137], v[4:5], -v[156:157]
	v_fmac_f64_e32 v[160:161], v[138:139], v[4:5]
	ds_load_b128 v[4:7], v2 offset:944
	s_wait_loadcnt_dscnt 0xb01
	v_mul_f64_e32 v[162:163], v[148:149], v[10:11]
	v_mul_f64_e32 v[10:11], v[150:151], v[10:11]
	scratch_load_b128 v[136:139], off, off offset:384
	ds_load_b128 v[156:159], v2 offset:960
	s_wait_loadcnt_dscnt 0xb01
	v_mul_f64_e32 v[166:167], v[4:5], v[14:15]
	v_mul_f64_e32 v[14:15], v[6:7], v[14:15]
	v_add_f64_e32 v[160:161], 0, v[160:161]
	v_fmac_f64_e32 v[162:163], v[150:151], v[8:9]
	v_fma_f64 v[148:149], v[148:149], v[8:9], -v[10:11]
	v_add_f64_e32 v[150:151], 0, v[164:165]
	scratch_load_b128 v[8:11], off, off offset:400
	v_fmac_f64_e32 v[166:167], v[6:7], v[12:13]
	v_fma_f64 v[168:169], v[4:5], v[12:13], -v[14:15]
	ds_load_b128 v[4:7], v2 offset:976
	s_wait_loadcnt_dscnt 0xb01
	v_mul_f64_e32 v[164:165], v[156:157], v[18:19]
	v_mul_f64_e32 v[18:19], v[158:159], v[18:19]
	scratch_load_b128 v[12:15], off, off offset:416
	v_add_f64_e32 v[160:161], v[160:161], v[162:163]
	v_add_f64_e32 v[170:171], v[150:151], v[148:149]
	ds_load_b128 v[148:151], v2 offset:992
	s_wait_loadcnt_dscnt 0xb01
	v_mul_f64_e32 v[162:163], v[4:5], v[22:23]
	v_mul_f64_e32 v[22:23], v[6:7], v[22:23]
	v_fmac_f64_e32 v[164:165], v[158:159], v[16:17]
	v_fma_f64 v[156:157], v[156:157], v[16:17], -v[18:19]
	scratch_load_b128 v[16:19], off, off offset:432
	v_add_f64_e32 v[160:161], v[160:161], v[166:167]
	v_add_f64_e32 v[158:159], v[170:171], v[168:169]
	v_fmac_f64_e32 v[162:163], v[6:7], v[20:21]
	v_fma_f64 v[168:169], v[4:5], v[20:21], -v[22:23]
	ds_load_b128 v[4:7], v2 offset:1008
	s_wait_loadcnt_dscnt 0xb01
	v_mul_f64_e32 v[166:167], v[148:149], v[26:27]
	v_mul_f64_e32 v[26:27], v[150:151], v[26:27]
	scratch_load_b128 v[20:23], off, off offset:448
	v_add_f64_e32 v[160:161], v[160:161], v[164:165]
	s_wait_loadcnt_dscnt 0xb00
	v_mul_f64_e32 v[164:165], v[4:5], v[30:31]
	v_add_f64_e32 v[170:171], v[158:159], v[156:157]
	v_mul_f64_e32 v[30:31], v[6:7], v[30:31]
	ds_load_b128 v[156:159], v2 offset:1024
	v_fmac_f64_e32 v[166:167], v[150:151], v[24:25]
	v_fma_f64 v[148:149], v[148:149], v[24:25], -v[26:27]
	scratch_load_b128 v[24:27], off, off offset:464
	v_add_f64_e32 v[160:161], v[160:161], v[162:163]
	v_fmac_f64_e32 v[164:165], v[6:7], v[28:29]
	v_add_f64_e32 v[150:151], v[170:171], v[168:169]
	v_fma_f64 v[168:169], v[4:5], v[28:29], -v[30:31]
	ds_load_b128 v[4:7], v2 offset:1040
	s_wait_loadcnt_dscnt 0xb01
	v_mul_f64_e32 v[162:163], v[156:157], v[126:127]
	v_mul_f64_e32 v[126:127], v[158:159], v[126:127]
	scratch_load_b128 v[28:31], off, off offset:480
	v_add_f64_e32 v[160:161], v[160:161], v[166:167]
	s_wait_loadcnt_dscnt 0xb00
	v_mul_f64_e32 v[166:167], v[4:5], v[130:131]
	v_add_f64_e32 v[170:171], v[150:151], v[148:149]
	v_mul_f64_e32 v[130:131], v[6:7], v[130:131]
	ds_load_b128 v[148:151], v2 offset:1056
	v_fmac_f64_e32 v[162:163], v[158:159], v[124:125]
	v_fma_f64 v[156:157], v[156:157], v[124:125], -v[126:127]
	scratch_load_b128 v[124:127], off, off offset:496
	v_add_f64_e32 v[160:161], v[160:161], v[164:165]
	v_fmac_f64_e32 v[166:167], v[6:7], v[128:129]
	v_add_f64_e32 v[158:159], v[170:171], v[168:169]
	;; [unrolled: 18-line block ×3, first 2 shown]
	v_fma_f64 v[168:169], v[4:5], v[140:141], -v[142:143]
	ds_load_b128 v[4:7], v2 offset:1104
	s_wait_loadcnt_dscnt 0xa01
	v_mul_f64_e32 v[166:167], v[156:157], v[154:155]
	v_mul_f64_e32 v[154:155], v[158:159], v[154:155]
	scratch_load_b128 v[140:143], off, off offset:544
	v_add_f64_e32 v[160:161], v[160:161], v[164:165]
	v_add_f64_e32 v[170:171], v[150:151], v[148:149]
	s_wait_loadcnt_dscnt 0xa00
	v_mul_f64_e32 v[164:165], v[4:5], v[138:139]
	v_mul_f64_e32 v[138:139], v[6:7], v[138:139]
	v_fmac_f64_e32 v[166:167], v[158:159], v[152:153]
	v_fma_f64 v[156:157], v[156:157], v[152:153], -v[154:155]
	ds_load_b128 v[148:151], v2 offset:1120
	scratch_load_b128 v[152:155], off, off offset:560
	v_add_f64_e32 v[160:161], v[160:161], v[162:163]
	v_add_f64_e32 v[158:159], v[170:171], v[168:169]
	v_fmac_f64_e32 v[164:165], v[6:7], v[136:137]
	v_fma_f64 v[168:169], v[4:5], v[136:137], -v[138:139]
	ds_load_b128 v[4:7], v2 offset:1136
	s_wait_loadcnt_dscnt 0xa01
	v_mul_f64_e32 v[162:163], v[148:149], v[10:11]
	v_mul_f64_e32 v[10:11], v[150:151], v[10:11]
	scratch_load_b128 v[136:139], off, off offset:576
	v_add_f64_e32 v[160:161], v[160:161], v[166:167]
	s_wait_loadcnt_dscnt 0xa00
	v_mul_f64_e32 v[166:167], v[4:5], v[14:15]
	v_add_f64_e32 v[170:171], v[158:159], v[156:157]
	v_mul_f64_e32 v[14:15], v[6:7], v[14:15]
	ds_load_b128 v[156:159], v2 offset:1152
	v_fmac_f64_e32 v[162:163], v[150:151], v[8:9]
	v_fma_f64 v[148:149], v[148:149], v[8:9], -v[10:11]
	scratch_load_b128 v[8:11], off, off offset:592
	v_add_f64_e32 v[160:161], v[160:161], v[164:165]
	v_fmac_f64_e32 v[166:167], v[6:7], v[12:13]
	v_add_f64_e32 v[150:151], v[170:171], v[168:169]
	v_fma_f64 v[168:169], v[4:5], v[12:13], -v[14:15]
	ds_load_b128 v[4:7], v2 offset:1168
	s_wait_loadcnt_dscnt 0xa01
	v_mul_f64_e32 v[164:165], v[156:157], v[18:19]
	v_mul_f64_e32 v[18:19], v[158:159], v[18:19]
	scratch_load_b128 v[12:15], off, off offset:608
	v_add_f64_e32 v[160:161], v[160:161], v[162:163]
	s_wait_loadcnt_dscnt 0xa00
	v_mul_f64_e32 v[162:163], v[4:5], v[22:23]
	v_add_f64_e32 v[170:171], v[150:151], v[148:149]
	v_mul_f64_e32 v[22:23], v[6:7], v[22:23]
	ds_load_b128 v[148:151], v2 offset:1184
	v_fmac_f64_e32 v[164:165], v[158:159], v[16:17]
	v_fma_f64 v[156:157], v[156:157], v[16:17], -v[18:19]
	scratch_load_b128 v[16:19], off, off offset:624
	v_add_f64_e32 v[160:161], v[160:161], v[166:167]
	v_fmac_f64_e32 v[162:163], v[6:7], v[20:21]
	v_add_f64_e32 v[158:159], v[170:171], v[168:169]
	;; [unrolled: 18-line block ×4, first 2 shown]
	v_fma_f64 v[168:169], v[4:5], v[128:129], -v[130:131]
	ds_load_b128 v[4:7], v2 offset:1264
	s_wait_loadcnt_dscnt 0xa01
	v_mul_f64_e32 v[164:165], v[148:149], v[134:135]
	v_mul_f64_e32 v[134:135], v[150:151], v[134:135]
	scratch_load_b128 v[128:131], off, off offset:704
	v_add_f64_e32 v[160:161], v[160:161], v[162:163]
	s_wait_loadcnt_dscnt 0xa00
	v_mul_f64_e32 v[162:163], v[4:5], v[142:143]
	v_add_f64_e32 v[170:171], v[158:159], v[156:157]
	v_mul_f64_e32 v[142:143], v[6:7], v[142:143]
	ds_load_b128 v[156:159], v2 offset:1280
	v_fmac_f64_e32 v[164:165], v[150:151], v[132:133]
	v_fma_f64 v[132:133], v[148:149], v[132:133], -v[134:135]
	s_wait_loadcnt_dscnt 0x900
	v_mul_f64_e32 v[150:151], v[156:157], v[154:155]
	v_mul_f64_e32 v[154:155], v[158:159], v[154:155]
	v_add_f64_e32 v[148:149], v[160:161], v[166:167]
	v_fmac_f64_e32 v[162:163], v[6:7], v[140:141]
	v_add_f64_e32 v[134:135], v[170:171], v[168:169]
	v_fma_f64 v[140:141], v[4:5], v[140:141], -v[142:143]
	v_fmac_f64_e32 v[150:151], v[158:159], v[152:153]
	v_fma_f64 v[152:153], v[156:157], v[152:153], -v[154:155]
	v_add_f64_e32 v[148:149], v[148:149], v[164:165]
	v_add_f64_e32 v[142:143], v[134:135], v[132:133]
	ds_load_b128 v[4:7], v2 offset:1296
	ds_load_b128 v[132:135], v2 offset:1312
	s_wait_loadcnt_dscnt 0x801
	v_mul_f64_e32 v[160:161], v[4:5], v[138:139]
	v_mul_f64_e32 v[138:139], v[6:7], v[138:139]
	v_add_f64_e32 v[140:141], v[142:143], v[140:141]
	v_add_f64_e32 v[142:143], v[148:149], v[162:163]
	s_wait_loadcnt_dscnt 0x700
	v_mul_f64_e32 v[148:149], v[132:133], v[10:11]
	v_mul_f64_e32 v[10:11], v[134:135], v[10:11]
	v_fmac_f64_e32 v[160:161], v[6:7], v[136:137]
	v_fma_f64 v[154:155], v[4:5], v[136:137], -v[138:139]
	ds_load_b128 v[4:7], v2 offset:1328
	ds_load_b128 v[136:139], v2 offset:1344
	v_add_f64_e32 v[140:141], v[140:141], v[152:153]
	v_add_f64_e32 v[142:143], v[142:143], v[150:151]
	v_fmac_f64_e32 v[148:149], v[134:135], v[8:9]
	v_fma_f64 v[8:9], v[132:133], v[8:9], -v[10:11]
	s_wait_loadcnt_dscnt 0x601
	v_mul_f64_e32 v[150:151], v[4:5], v[14:15]
	v_mul_f64_e32 v[14:15], v[6:7], v[14:15]
	s_wait_loadcnt_dscnt 0x500
	v_mul_f64_e32 v[134:135], v[136:137], v[18:19]
	v_mul_f64_e32 v[18:19], v[138:139], v[18:19]
	v_add_f64_e32 v[10:11], v[140:141], v[154:155]
	v_add_f64_e32 v[132:133], v[142:143], v[160:161]
	v_fmac_f64_e32 v[150:151], v[6:7], v[12:13]
	v_fma_f64 v[12:13], v[4:5], v[12:13], -v[14:15]
	v_fmac_f64_e32 v[134:135], v[138:139], v[16:17]
	v_fma_f64 v[16:17], v[136:137], v[16:17], -v[18:19]
	v_add_f64_e32 v[14:15], v[10:11], v[8:9]
	v_add_f64_e32 v[132:133], v[132:133], v[148:149]
	ds_load_b128 v[4:7], v2 offset:1360
	ds_load_b128 v[8:11], v2 offset:1376
	s_wait_loadcnt_dscnt 0x401
	v_mul_f64_e32 v[140:141], v[4:5], v[22:23]
	v_mul_f64_e32 v[22:23], v[6:7], v[22:23]
	s_wait_loadcnt_dscnt 0x300
	v_mul_f64_e32 v[18:19], v[8:9], v[26:27]
	v_mul_f64_e32 v[26:27], v[10:11], v[26:27]
	v_add_f64_e32 v[12:13], v[14:15], v[12:13]
	v_add_f64_e32 v[14:15], v[132:133], v[150:151]
	v_fmac_f64_e32 v[140:141], v[6:7], v[20:21]
	v_fma_f64 v[20:21], v[4:5], v[20:21], -v[22:23]
	v_fmac_f64_e32 v[18:19], v[10:11], v[24:25]
	v_fma_f64 v[8:9], v[8:9], v[24:25], -v[26:27]
	v_add_f64_e32 v[16:17], v[12:13], v[16:17]
	v_add_f64_e32 v[22:23], v[14:15], v[134:135]
	ds_load_b128 v[4:7], v2 offset:1392
	ds_load_b128 v[12:15], v2 offset:1408
	s_wait_loadcnt_dscnt 0x201
	v_mul_f64_e32 v[132:133], v[4:5], v[30:31]
	v_mul_f64_e32 v[30:31], v[6:7], v[30:31]
	v_add_f64_e32 v[10:11], v[16:17], v[20:21]
	v_add_f64_e32 v[16:17], v[22:23], v[140:141]
	s_wait_loadcnt_dscnt 0x100
	v_mul_f64_e32 v[20:21], v[12:13], v[126:127]
	v_mul_f64_e32 v[22:23], v[14:15], v[126:127]
	v_fmac_f64_e32 v[132:133], v[6:7], v[28:29]
	v_fma_f64 v[24:25], v[4:5], v[28:29], -v[30:31]
	ds_load_b128 v[4:7], v2 offset:1424
	v_add_f64_e32 v[8:9], v[10:11], v[8:9]
	v_add_f64_e32 v[10:11], v[16:17], v[18:19]
	v_fmac_f64_e32 v[20:21], v[14:15], v[124:125]
	v_fma_f64 v[12:13], v[12:13], v[124:125], -v[22:23]
	s_wait_loadcnt_dscnt 0x0
	v_mul_f64_e32 v[16:17], v[4:5], v[130:131]
	v_mul_f64_e32 v[18:19], v[6:7], v[130:131]
	v_add_f64_e32 v[8:9], v[8:9], v[24:25]
	v_add_f64_e32 v[10:11], v[10:11], v[132:133]
	s_delay_alu instid0(VALU_DEP_4) | instskip(NEXT) | instid1(VALU_DEP_4)
	v_fmac_f64_e32 v[16:17], v[6:7], v[128:129]
	v_fma_f64 v[4:5], v[4:5], v[128:129], -v[18:19]
	s_delay_alu instid0(VALU_DEP_4) | instskip(NEXT) | instid1(VALU_DEP_4)
	v_add_f64_e32 v[6:7], v[8:9], v[12:13]
	v_add_f64_e32 v[8:9], v[10:11], v[20:21]
	s_delay_alu instid0(VALU_DEP_2) | instskip(NEXT) | instid1(VALU_DEP_2)
	v_add_f64_e32 v[4:5], v[6:7], v[4:5]
	v_add_f64_e32 v[6:7], v[8:9], v[16:17]
	s_delay_alu instid0(VALU_DEP_2) | instskip(NEXT) | instid1(VALU_DEP_2)
	v_add_f64_e64 v[4:5], v[144:145], -v[4:5]
	v_add_f64_e64 v[6:7], v[146:147], -v[6:7]
	scratch_store_b128 off, v[4:7], off offset:176
	s_wait_xcnt 0x0
	v_cmpx_lt_u32_e32 10, v1
	s_cbranch_execz .LBB44_263
; %bb.262:
	scratch_load_b128 v[6:9], off, s49
	v_dual_mov_b32 v3, v2 :: v_dual_mov_b32 v4, v2
	v_mov_b32_e32 v5, v2
	scratch_store_b128 off, v[2:5], off offset:160
	s_wait_loadcnt 0x0
	ds_store_b128 v122, v[6:9]
.LBB44_263:
	s_wait_xcnt 0x0
	s_or_b32 exec_lo, exec_lo, s2
	s_wait_storecnt_dscnt 0x0
	s_barrier_signal -1
	s_barrier_wait -1
	s_clause 0x9
	scratch_load_b128 v[4:7], off, off offset:176
	scratch_load_b128 v[8:11], off, off offset:192
	scratch_load_b128 v[12:15], off, off offset:208
	scratch_load_b128 v[16:19], off, off offset:224
	scratch_load_b128 v[20:23], off, off offset:240
	scratch_load_b128 v[24:27], off, off offset:256
	scratch_load_b128 v[28:31], off, off offset:272
	scratch_load_b128 v[124:127], off, off offset:288
	scratch_load_b128 v[128:131], off, off offset:304
	scratch_load_b128 v[132:135], off, off offset:320
	ds_load_b128 v[136:139], v2 offset:896
	ds_load_b128 v[144:147], v2 offset:912
	s_clause 0x2
	scratch_load_b128 v[140:143], off, off offset:336
	scratch_load_b128 v[148:151], off, off offset:160
	;; [unrolled: 1-line block ×3, first 2 shown]
	s_mov_b32 s2, exec_lo
	s_wait_loadcnt_dscnt 0xc01
	v_mul_f64_e32 v[156:157], v[138:139], v[6:7]
	v_mul_f64_e32 v[160:161], v[136:137], v[6:7]
	s_wait_loadcnt_dscnt 0xb00
	v_mul_f64_e32 v[162:163], v[144:145], v[10:11]
	v_mul_f64_e32 v[10:11], v[146:147], v[10:11]
	s_delay_alu instid0(VALU_DEP_4) | instskip(NEXT) | instid1(VALU_DEP_4)
	v_fma_f64 v[164:165], v[136:137], v[4:5], -v[156:157]
	v_fmac_f64_e32 v[160:161], v[138:139], v[4:5]
	ds_load_b128 v[4:7], v2 offset:928
	ds_load_b128 v[136:139], v2 offset:944
	scratch_load_b128 v[156:159], off, off offset:368
	v_fmac_f64_e32 v[162:163], v[146:147], v[8:9]
	v_fma_f64 v[144:145], v[144:145], v[8:9], -v[10:11]
	scratch_load_b128 v[8:11], off, off offset:384
	s_wait_loadcnt_dscnt 0xc01
	v_mul_f64_e32 v[166:167], v[4:5], v[14:15]
	v_mul_f64_e32 v[14:15], v[6:7], v[14:15]
	v_add_f64_e32 v[146:147], 0, v[164:165]
	v_add_f64_e32 v[160:161], 0, v[160:161]
	s_wait_loadcnt_dscnt 0xb00
	v_mul_f64_e32 v[164:165], v[136:137], v[18:19]
	v_mul_f64_e32 v[18:19], v[138:139], v[18:19]
	v_fmac_f64_e32 v[166:167], v[6:7], v[12:13]
	v_fma_f64 v[168:169], v[4:5], v[12:13], -v[14:15]
	ds_load_b128 v[4:7], v2 offset:960
	ds_load_b128 v[12:15], v2 offset:976
	v_add_f64_e32 v[170:171], v[146:147], v[144:145]
	v_add_f64_e32 v[160:161], v[160:161], v[162:163]
	scratch_load_b128 v[144:147], off, off offset:400
	v_fmac_f64_e32 v[164:165], v[138:139], v[16:17]
	v_fma_f64 v[136:137], v[136:137], v[16:17], -v[18:19]
	scratch_load_b128 v[16:19], off, off offset:416
	s_wait_loadcnt_dscnt 0xc01
	v_mul_f64_e32 v[162:163], v[4:5], v[22:23]
	v_mul_f64_e32 v[22:23], v[6:7], v[22:23]
	v_add_f64_e32 v[138:139], v[170:171], v[168:169]
	v_add_f64_e32 v[160:161], v[160:161], v[166:167]
	s_wait_loadcnt_dscnt 0xb00
	v_mul_f64_e32 v[166:167], v[12:13], v[26:27]
	v_mul_f64_e32 v[26:27], v[14:15], v[26:27]
	v_fmac_f64_e32 v[162:163], v[6:7], v[20:21]
	v_fma_f64 v[168:169], v[4:5], v[20:21], -v[22:23]
	ds_load_b128 v[4:7], v2 offset:992
	ds_load_b128 v[20:23], v2 offset:1008
	v_add_f64_e32 v[170:171], v[138:139], v[136:137]
	v_add_f64_e32 v[160:161], v[160:161], v[164:165]
	scratch_load_b128 v[136:139], off, off offset:432
	s_wait_loadcnt_dscnt 0xb01
	v_mul_f64_e32 v[164:165], v[4:5], v[30:31]
	v_mul_f64_e32 v[30:31], v[6:7], v[30:31]
	v_fmac_f64_e32 v[166:167], v[14:15], v[24:25]
	v_fma_f64 v[24:25], v[12:13], v[24:25], -v[26:27]
	scratch_load_b128 v[12:15], off, off offset:448
	v_add_f64_e32 v[26:27], v[170:171], v[168:169]
	v_add_f64_e32 v[160:161], v[160:161], v[162:163]
	s_wait_loadcnt_dscnt 0xb00
	v_mul_f64_e32 v[162:163], v[20:21], v[126:127]
	v_mul_f64_e32 v[126:127], v[22:23], v[126:127]
	v_fmac_f64_e32 v[164:165], v[6:7], v[28:29]
	v_fma_f64 v[168:169], v[4:5], v[28:29], -v[30:31]
	v_add_f64_e32 v[170:171], v[26:27], v[24:25]
	v_add_f64_e32 v[160:161], v[160:161], v[166:167]
	ds_load_b128 v[4:7], v2 offset:1024
	ds_load_b128 v[24:27], v2 offset:1040
	scratch_load_b128 v[28:31], off, off offset:464
	v_fmac_f64_e32 v[162:163], v[22:23], v[124:125]
	v_fma_f64 v[124:125], v[20:21], v[124:125], -v[126:127]
	scratch_load_b128 v[20:23], off, off offset:480
	s_wait_loadcnt_dscnt 0xc01
	v_mul_f64_e32 v[166:167], v[4:5], v[130:131]
	v_mul_f64_e32 v[130:131], v[6:7], v[130:131]
	v_add_f64_e32 v[126:127], v[170:171], v[168:169]
	v_add_f64_e32 v[160:161], v[160:161], v[164:165]
	s_wait_loadcnt_dscnt 0xb00
	v_mul_f64_e32 v[164:165], v[24:25], v[134:135]
	v_mul_f64_e32 v[134:135], v[26:27], v[134:135]
	v_fmac_f64_e32 v[166:167], v[6:7], v[128:129]
	v_fma_f64 v[168:169], v[4:5], v[128:129], -v[130:131]
	v_add_f64_e32 v[170:171], v[126:127], v[124:125]
	v_add_f64_e32 v[160:161], v[160:161], v[162:163]
	ds_load_b128 v[4:7], v2 offset:1056
	ds_load_b128 v[124:127], v2 offset:1072
	scratch_load_b128 v[128:131], off, off offset:496
	v_fmac_f64_e32 v[164:165], v[26:27], v[132:133]
	v_fma_f64 v[132:133], v[24:25], v[132:133], -v[134:135]
	scratch_load_b128 v[24:27], off, off offset:512
	s_wait_loadcnt_dscnt 0xc01
	v_mul_f64_e32 v[162:163], v[4:5], v[142:143]
	v_mul_f64_e32 v[142:143], v[6:7], v[142:143]
	v_add_f64_e32 v[134:135], v[170:171], v[168:169]
	v_add_f64_e32 v[160:161], v[160:161], v[166:167]
	s_wait_loadcnt_dscnt 0xa00
	v_mul_f64_e32 v[166:167], v[124:125], v[154:155]
	v_mul_f64_e32 v[154:155], v[126:127], v[154:155]
	v_fmac_f64_e32 v[162:163], v[6:7], v[140:141]
	v_fma_f64 v[168:169], v[4:5], v[140:141], -v[142:143]
	v_add_f64_e32 v[170:171], v[134:135], v[132:133]
	v_add_f64_e32 v[160:161], v[160:161], v[164:165]
	ds_load_b128 v[4:7], v2 offset:1088
	ds_load_b128 v[132:135], v2 offset:1104
	scratch_load_b128 v[140:143], off, off offset:528
	v_fmac_f64_e32 v[166:167], v[126:127], v[152:153]
	v_fma_f64 v[152:153], v[124:125], v[152:153], -v[154:155]
	scratch_load_b128 v[124:127], off, off offset:544
	s_wait_loadcnt_dscnt 0xb01
	v_mul_f64_e32 v[164:165], v[4:5], v[158:159]
	v_mul_f64_e32 v[158:159], v[6:7], v[158:159]
	v_add_f64_e32 v[154:155], v[170:171], v[168:169]
	v_add_f64_e32 v[160:161], v[160:161], v[162:163]
	s_wait_loadcnt_dscnt 0xa00
	v_mul_f64_e32 v[162:163], v[132:133], v[10:11]
	v_mul_f64_e32 v[10:11], v[134:135], v[10:11]
	v_fmac_f64_e32 v[164:165], v[6:7], v[156:157]
	v_fma_f64 v[168:169], v[4:5], v[156:157], -v[158:159]
	v_add_f64_e32 v[170:171], v[154:155], v[152:153]
	v_add_f64_e32 v[160:161], v[160:161], v[166:167]
	ds_load_b128 v[4:7], v2 offset:1120
	ds_load_b128 v[152:155], v2 offset:1136
	scratch_load_b128 v[156:159], off, off offset:560
	v_fmac_f64_e32 v[162:163], v[134:135], v[8:9]
	v_fma_f64 v[132:133], v[132:133], v[8:9], -v[10:11]
	scratch_load_b128 v[8:11], off, off offset:576
	s_wait_loadcnt_dscnt 0xb01
	v_mul_f64_e32 v[166:167], v[4:5], v[146:147]
	v_mul_f64_e32 v[146:147], v[6:7], v[146:147]
	v_add_f64_e32 v[134:135], v[170:171], v[168:169]
	v_add_f64_e32 v[160:161], v[160:161], v[164:165]
	s_wait_loadcnt_dscnt 0xa00
	v_mul_f64_e32 v[164:165], v[152:153], v[18:19]
	v_mul_f64_e32 v[18:19], v[154:155], v[18:19]
	v_fmac_f64_e32 v[166:167], v[6:7], v[144:145]
	v_fma_f64 v[168:169], v[4:5], v[144:145], -v[146:147]
	v_add_f64_e32 v[170:171], v[134:135], v[132:133]
	v_add_f64_e32 v[160:161], v[160:161], v[162:163]
	ds_load_b128 v[4:7], v2 offset:1152
	ds_load_b128 v[132:135], v2 offset:1168
	scratch_load_b128 v[144:147], off, off offset:592
	v_fmac_f64_e32 v[164:165], v[154:155], v[16:17]
	v_fma_f64 v[152:153], v[152:153], v[16:17], -v[18:19]
	scratch_load_b128 v[16:19], off, off offset:608
	s_wait_loadcnt_dscnt 0xb01
	v_mul_f64_e32 v[162:163], v[4:5], v[138:139]
	v_mul_f64_e32 v[138:139], v[6:7], v[138:139]
	v_add_f64_e32 v[154:155], v[170:171], v[168:169]
	v_add_f64_e32 v[160:161], v[160:161], v[166:167]
	s_wait_loadcnt_dscnt 0xa00
	v_mul_f64_e32 v[166:167], v[132:133], v[14:15]
	v_mul_f64_e32 v[14:15], v[134:135], v[14:15]
	v_fmac_f64_e32 v[162:163], v[6:7], v[136:137]
	v_fma_f64 v[168:169], v[4:5], v[136:137], -v[138:139]
	ds_load_b128 v[4:7], v2 offset:1184
	ds_load_b128 v[136:139], v2 offset:1200
	v_add_f64_e32 v[170:171], v[154:155], v[152:153]
	v_add_f64_e32 v[160:161], v[160:161], v[164:165]
	scratch_load_b128 v[152:155], off, off offset:624
	v_fmac_f64_e32 v[166:167], v[134:135], v[12:13]
	v_fma_f64 v[132:133], v[132:133], v[12:13], -v[14:15]
	scratch_load_b128 v[12:15], off, off offset:640
	s_wait_loadcnt_dscnt 0xb01
	v_mul_f64_e32 v[164:165], v[4:5], v[30:31]
	v_mul_f64_e32 v[30:31], v[6:7], v[30:31]
	v_add_f64_e32 v[134:135], v[170:171], v[168:169]
	v_add_f64_e32 v[160:161], v[160:161], v[162:163]
	s_wait_loadcnt_dscnt 0xa00
	v_mul_f64_e32 v[162:163], v[136:137], v[22:23]
	v_mul_f64_e32 v[22:23], v[138:139], v[22:23]
	v_fmac_f64_e32 v[164:165], v[6:7], v[28:29]
	v_fma_f64 v[168:169], v[4:5], v[28:29], -v[30:31]
	ds_load_b128 v[4:7], v2 offset:1216
	ds_load_b128 v[28:31], v2 offset:1232
	v_add_f64_e32 v[170:171], v[134:135], v[132:133]
	v_add_f64_e32 v[160:161], v[160:161], v[166:167]
	scratch_load_b128 v[132:135], off, off offset:656
	s_wait_loadcnt_dscnt 0xa01
	v_mul_f64_e32 v[166:167], v[4:5], v[130:131]
	v_mul_f64_e32 v[130:131], v[6:7], v[130:131]
	v_fmac_f64_e32 v[162:163], v[138:139], v[20:21]
	v_fma_f64 v[136:137], v[136:137], v[20:21], -v[22:23]
	scratch_load_b128 v[20:23], off, off offset:672
	v_add_f64_e32 v[138:139], v[170:171], v[168:169]
	v_add_f64_e32 v[160:161], v[160:161], v[164:165]
	s_wait_loadcnt_dscnt 0xa00
	v_mul_f64_e32 v[164:165], v[28:29], v[26:27]
	v_mul_f64_e32 v[26:27], v[30:31], v[26:27]
	v_fmac_f64_e32 v[166:167], v[6:7], v[128:129]
	v_fma_f64 v[168:169], v[4:5], v[128:129], -v[130:131]
	ds_load_b128 v[4:7], v2 offset:1248
	ds_load_b128 v[128:131], v2 offset:1264
	v_add_f64_e32 v[170:171], v[138:139], v[136:137]
	v_add_f64_e32 v[160:161], v[160:161], v[162:163]
	scratch_load_b128 v[136:139], off, off offset:688
	s_wait_loadcnt_dscnt 0xa01
	v_mul_f64_e32 v[162:163], v[4:5], v[142:143]
	v_mul_f64_e32 v[142:143], v[6:7], v[142:143]
	v_fmac_f64_e32 v[164:165], v[30:31], v[24:25]
	v_fma_f64 v[28:29], v[28:29], v[24:25], -v[26:27]
	scratch_load_b128 v[24:27], off, off offset:704
	v_add_f64_e32 v[30:31], v[170:171], v[168:169]
	v_add_f64_e32 v[160:161], v[160:161], v[166:167]
	s_wait_loadcnt_dscnt 0xa00
	v_mul_f64_e32 v[166:167], v[128:129], v[126:127]
	v_mul_f64_e32 v[126:127], v[130:131], v[126:127]
	v_fmac_f64_e32 v[162:163], v[6:7], v[140:141]
	v_fma_f64 v[140:141], v[4:5], v[140:141], -v[142:143]
	v_add_f64_e32 v[142:143], v[30:31], v[28:29]
	v_add_f64_e32 v[160:161], v[160:161], v[164:165]
	ds_load_b128 v[4:7], v2 offset:1280
	ds_load_b128 v[28:31], v2 offset:1296
	v_fmac_f64_e32 v[166:167], v[130:131], v[124:125]
	v_fma_f64 v[124:125], v[128:129], v[124:125], -v[126:127]
	s_wait_loadcnt_dscnt 0x901
	v_mul_f64_e32 v[164:165], v[4:5], v[158:159]
	v_mul_f64_e32 v[158:159], v[6:7], v[158:159]
	s_wait_loadcnt_dscnt 0x800
	v_mul_f64_e32 v[130:131], v[28:29], v[10:11]
	v_mul_f64_e32 v[10:11], v[30:31], v[10:11]
	v_add_f64_e32 v[126:127], v[142:143], v[140:141]
	v_add_f64_e32 v[128:129], v[160:161], v[162:163]
	v_fmac_f64_e32 v[164:165], v[6:7], v[156:157]
	v_fma_f64 v[140:141], v[4:5], v[156:157], -v[158:159]
	v_fmac_f64_e32 v[130:131], v[30:31], v[8:9]
	v_fma_f64 v[8:9], v[28:29], v[8:9], -v[10:11]
	v_add_f64_e32 v[142:143], v[126:127], v[124:125]
	v_add_f64_e32 v[128:129], v[128:129], v[166:167]
	ds_load_b128 v[4:7], v2 offset:1312
	ds_load_b128 v[124:127], v2 offset:1328
	s_wait_loadcnt_dscnt 0x701
	v_mul_f64_e32 v[156:157], v[4:5], v[146:147]
	v_mul_f64_e32 v[146:147], v[6:7], v[146:147]
	s_wait_loadcnt_dscnt 0x600
	v_mul_f64_e32 v[30:31], v[124:125], v[18:19]
	v_mul_f64_e32 v[18:19], v[126:127], v[18:19]
	v_add_f64_e32 v[10:11], v[142:143], v[140:141]
	v_add_f64_e32 v[28:29], v[128:129], v[164:165]
	v_fmac_f64_e32 v[156:157], v[6:7], v[144:145]
	v_fma_f64 v[128:129], v[4:5], v[144:145], -v[146:147]
	v_fmac_f64_e32 v[30:31], v[126:127], v[16:17]
	v_fma_f64 v[16:17], v[124:125], v[16:17], -v[18:19]
	v_add_f64_e32 v[140:141], v[10:11], v[8:9]
	v_add_f64_e32 v[28:29], v[28:29], v[130:131]
	ds_load_b128 v[4:7], v2 offset:1344
	ds_load_b128 v[8:11], v2 offset:1360
	;; [unrolled: 16-line block ×3, first 2 shown]
	s_wait_loadcnt_dscnt 0x301
	v_mul_f64_e32 v[30:31], v[4:5], v[134:135]
	v_mul_f64_e32 v[134:135], v[6:7], v[134:135]
	v_add_f64_e32 v[10:11], v[18:19], v[128:129]
	v_add_f64_e32 v[12:13], v[28:29], v[130:131]
	s_wait_loadcnt_dscnt 0x200
	v_mul_f64_e32 v[18:19], v[14:15], v[22:23]
	v_mul_f64_e32 v[22:23], v[16:17], v[22:23]
	v_fmac_f64_e32 v[30:31], v[6:7], v[132:133]
	v_fma_f64 v[28:29], v[4:5], v[132:133], -v[134:135]
	v_add_f64_e32 v[126:127], v[10:11], v[8:9]
	v_add_f64_e32 v[12:13], v[12:13], v[124:125]
	ds_load_b128 v[4:7], v2 offset:1408
	ds_load_b128 v[8:11], v2 offset:1424
	v_fmac_f64_e32 v[18:19], v[16:17], v[20:21]
	v_fma_f64 v[14:15], v[14:15], v[20:21], -v[22:23]
	s_wait_loadcnt_dscnt 0x101
	v_mul_f64_e32 v[2:3], v[4:5], v[138:139]
	v_mul_f64_e32 v[124:125], v[6:7], v[138:139]
	s_wait_loadcnt_dscnt 0x0
	v_mul_f64_e32 v[20:21], v[8:9], v[26:27]
	v_mul_f64_e32 v[22:23], v[10:11], v[26:27]
	v_add_f64_e32 v[16:17], v[126:127], v[28:29]
	v_add_f64_e32 v[12:13], v[12:13], v[30:31]
	v_fmac_f64_e32 v[2:3], v[6:7], v[136:137]
	v_fma_f64 v[4:5], v[4:5], v[136:137], -v[124:125]
	v_fmac_f64_e32 v[20:21], v[10:11], v[24:25]
	v_fma_f64 v[8:9], v[8:9], v[24:25], -v[22:23]
	v_add_f64_e32 v[6:7], v[16:17], v[14:15]
	v_add_f64_e32 v[12:13], v[12:13], v[18:19]
	s_delay_alu instid0(VALU_DEP_2) | instskip(NEXT) | instid1(VALU_DEP_2)
	v_add_f64_e32 v[4:5], v[6:7], v[4:5]
	v_add_f64_e32 v[2:3], v[12:13], v[2:3]
	s_delay_alu instid0(VALU_DEP_2) | instskip(NEXT) | instid1(VALU_DEP_2)
	;; [unrolled: 3-line block ×3, first 2 shown]
	v_add_f64_e64 v[2:3], v[148:149], -v[4:5]
	v_add_f64_e64 v[4:5], v[150:151], -v[6:7]
	scratch_store_b128 off, v[2:5], off offset:160
	s_wait_xcnt 0x0
	v_cmpx_lt_u32_e32 9, v1
	s_cbranch_execz .LBB44_265
; %bb.264:
	scratch_load_b128 v[2:5], off, s47
	v_mov_b32_e32 v6, 0
	s_delay_alu instid0(VALU_DEP_1)
	v_dual_mov_b32 v7, v6 :: v_dual_mov_b32 v8, v6
	v_mov_b32_e32 v9, v6
	scratch_store_b128 off, v[6:9], off offset:144
	s_wait_loadcnt 0x0
	ds_store_b128 v122, v[2:5]
.LBB44_265:
	s_wait_xcnt 0x0
	s_or_b32 exec_lo, exec_lo, s2
	s_wait_storecnt_dscnt 0x0
	s_barrier_signal -1
	s_barrier_wait -1
	s_clause 0x9
	scratch_load_b128 v[4:7], off, off offset:160
	scratch_load_b128 v[8:11], off, off offset:176
	;; [unrolled: 1-line block ×10, first 2 shown]
	v_mov_b32_e32 v2, 0
	s_mov_b32 s2, exec_lo
	ds_load_b128 v[136:139], v2 offset:880
	s_clause 0x2
	scratch_load_b128 v[140:143], off, off offset:320
	scratch_load_b128 v[144:147], off, off offset:144
	;; [unrolled: 1-line block ×3, first 2 shown]
	s_wait_loadcnt_dscnt 0xc00
	v_mul_f64_e32 v[156:157], v[138:139], v[6:7]
	v_mul_f64_e32 v[160:161], v[136:137], v[6:7]
	ds_load_b128 v[148:151], v2 offset:896
	v_fma_f64 v[164:165], v[136:137], v[4:5], -v[156:157]
	v_fmac_f64_e32 v[160:161], v[138:139], v[4:5]
	ds_load_b128 v[4:7], v2 offset:912
	s_wait_loadcnt_dscnt 0xb01
	v_mul_f64_e32 v[162:163], v[148:149], v[10:11]
	v_mul_f64_e32 v[10:11], v[150:151], v[10:11]
	scratch_load_b128 v[136:139], off, off offset:352
	ds_load_b128 v[156:159], v2 offset:928
	s_wait_loadcnt_dscnt 0xb01
	v_mul_f64_e32 v[166:167], v[4:5], v[14:15]
	v_mul_f64_e32 v[14:15], v[6:7], v[14:15]
	v_add_f64_e32 v[160:161], 0, v[160:161]
	v_fmac_f64_e32 v[162:163], v[150:151], v[8:9]
	v_fma_f64 v[148:149], v[148:149], v[8:9], -v[10:11]
	v_add_f64_e32 v[150:151], 0, v[164:165]
	scratch_load_b128 v[8:11], off, off offset:368
	v_fmac_f64_e32 v[166:167], v[6:7], v[12:13]
	v_fma_f64 v[168:169], v[4:5], v[12:13], -v[14:15]
	ds_load_b128 v[4:7], v2 offset:944
	s_wait_loadcnt_dscnt 0xb01
	v_mul_f64_e32 v[164:165], v[156:157], v[18:19]
	v_mul_f64_e32 v[18:19], v[158:159], v[18:19]
	scratch_load_b128 v[12:15], off, off offset:384
	v_add_f64_e32 v[160:161], v[160:161], v[162:163]
	v_add_f64_e32 v[170:171], v[150:151], v[148:149]
	ds_load_b128 v[148:151], v2 offset:960
	s_wait_loadcnt_dscnt 0xb01
	v_mul_f64_e32 v[162:163], v[4:5], v[22:23]
	v_mul_f64_e32 v[22:23], v[6:7], v[22:23]
	v_fmac_f64_e32 v[164:165], v[158:159], v[16:17]
	v_fma_f64 v[156:157], v[156:157], v[16:17], -v[18:19]
	scratch_load_b128 v[16:19], off, off offset:400
	v_add_f64_e32 v[160:161], v[160:161], v[166:167]
	v_add_f64_e32 v[158:159], v[170:171], v[168:169]
	v_fmac_f64_e32 v[162:163], v[6:7], v[20:21]
	v_fma_f64 v[168:169], v[4:5], v[20:21], -v[22:23]
	ds_load_b128 v[4:7], v2 offset:976
	s_wait_loadcnt_dscnt 0xb01
	v_mul_f64_e32 v[166:167], v[148:149], v[26:27]
	v_mul_f64_e32 v[26:27], v[150:151], v[26:27]
	scratch_load_b128 v[20:23], off, off offset:416
	v_add_f64_e32 v[160:161], v[160:161], v[164:165]
	s_wait_loadcnt_dscnt 0xb00
	v_mul_f64_e32 v[164:165], v[4:5], v[30:31]
	v_add_f64_e32 v[170:171], v[158:159], v[156:157]
	v_mul_f64_e32 v[30:31], v[6:7], v[30:31]
	ds_load_b128 v[156:159], v2 offset:992
	v_fmac_f64_e32 v[166:167], v[150:151], v[24:25]
	v_fma_f64 v[148:149], v[148:149], v[24:25], -v[26:27]
	scratch_load_b128 v[24:27], off, off offset:432
	v_add_f64_e32 v[160:161], v[160:161], v[162:163]
	v_fmac_f64_e32 v[164:165], v[6:7], v[28:29]
	v_add_f64_e32 v[150:151], v[170:171], v[168:169]
	v_fma_f64 v[168:169], v[4:5], v[28:29], -v[30:31]
	ds_load_b128 v[4:7], v2 offset:1008
	s_wait_loadcnt_dscnt 0xb01
	v_mul_f64_e32 v[162:163], v[156:157], v[126:127]
	v_mul_f64_e32 v[126:127], v[158:159], v[126:127]
	scratch_load_b128 v[28:31], off, off offset:448
	v_add_f64_e32 v[160:161], v[160:161], v[166:167]
	s_wait_loadcnt_dscnt 0xb00
	v_mul_f64_e32 v[166:167], v[4:5], v[130:131]
	v_add_f64_e32 v[170:171], v[150:151], v[148:149]
	v_mul_f64_e32 v[130:131], v[6:7], v[130:131]
	ds_load_b128 v[148:151], v2 offset:1024
	v_fmac_f64_e32 v[162:163], v[158:159], v[124:125]
	v_fma_f64 v[156:157], v[156:157], v[124:125], -v[126:127]
	scratch_load_b128 v[124:127], off, off offset:464
	v_add_f64_e32 v[160:161], v[160:161], v[164:165]
	v_fmac_f64_e32 v[166:167], v[6:7], v[128:129]
	v_add_f64_e32 v[158:159], v[170:171], v[168:169]
	;; [unrolled: 18-line block ×3, first 2 shown]
	v_fma_f64 v[168:169], v[4:5], v[140:141], -v[142:143]
	ds_load_b128 v[4:7], v2 offset:1072
	s_wait_loadcnt_dscnt 0xa01
	v_mul_f64_e32 v[166:167], v[156:157], v[154:155]
	v_mul_f64_e32 v[154:155], v[158:159], v[154:155]
	scratch_load_b128 v[140:143], off, off offset:512
	v_add_f64_e32 v[160:161], v[160:161], v[164:165]
	v_add_f64_e32 v[170:171], v[150:151], v[148:149]
	s_wait_loadcnt_dscnt 0xa00
	v_mul_f64_e32 v[164:165], v[4:5], v[138:139]
	v_mul_f64_e32 v[138:139], v[6:7], v[138:139]
	v_fmac_f64_e32 v[166:167], v[158:159], v[152:153]
	v_fma_f64 v[156:157], v[156:157], v[152:153], -v[154:155]
	ds_load_b128 v[148:151], v2 offset:1088
	scratch_load_b128 v[152:155], off, off offset:528
	v_add_f64_e32 v[160:161], v[160:161], v[162:163]
	v_add_f64_e32 v[158:159], v[170:171], v[168:169]
	v_fmac_f64_e32 v[164:165], v[6:7], v[136:137]
	v_fma_f64 v[168:169], v[4:5], v[136:137], -v[138:139]
	ds_load_b128 v[4:7], v2 offset:1104
	s_wait_loadcnt_dscnt 0xa01
	v_mul_f64_e32 v[162:163], v[148:149], v[10:11]
	v_mul_f64_e32 v[10:11], v[150:151], v[10:11]
	scratch_load_b128 v[136:139], off, off offset:544
	v_add_f64_e32 v[160:161], v[160:161], v[166:167]
	s_wait_loadcnt_dscnt 0xa00
	v_mul_f64_e32 v[166:167], v[4:5], v[14:15]
	v_add_f64_e32 v[170:171], v[158:159], v[156:157]
	v_mul_f64_e32 v[14:15], v[6:7], v[14:15]
	ds_load_b128 v[156:159], v2 offset:1120
	v_fmac_f64_e32 v[162:163], v[150:151], v[8:9]
	v_fma_f64 v[148:149], v[148:149], v[8:9], -v[10:11]
	scratch_load_b128 v[8:11], off, off offset:560
	v_add_f64_e32 v[160:161], v[160:161], v[164:165]
	v_fmac_f64_e32 v[166:167], v[6:7], v[12:13]
	v_add_f64_e32 v[150:151], v[170:171], v[168:169]
	v_fma_f64 v[168:169], v[4:5], v[12:13], -v[14:15]
	ds_load_b128 v[4:7], v2 offset:1136
	s_wait_loadcnt_dscnt 0xa01
	v_mul_f64_e32 v[164:165], v[156:157], v[18:19]
	v_mul_f64_e32 v[18:19], v[158:159], v[18:19]
	scratch_load_b128 v[12:15], off, off offset:576
	v_add_f64_e32 v[160:161], v[160:161], v[162:163]
	s_wait_loadcnt_dscnt 0xa00
	v_mul_f64_e32 v[162:163], v[4:5], v[22:23]
	v_add_f64_e32 v[170:171], v[150:151], v[148:149]
	v_mul_f64_e32 v[22:23], v[6:7], v[22:23]
	ds_load_b128 v[148:151], v2 offset:1152
	v_fmac_f64_e32 v[164:165], v[158:159], v[16:17]
	v_fma_f64 v[156:157], v[156:157], v[16:17], -v[18:19]
	scratch_load_b128 v[16:19], off, off offset:592
	v_add_f64_e32 v[160:161], v[160:161], v[166:167]
	v_fmac_f64_e32 v[162:163], v[6:7], v[20:21]
	v_add_f64_e32 v[158:159], v[170:171], v[168:169]
	;; [unrolled: 18-line block ×5, first 2 shown]
	v_fma_f64 v[168:169], v[4:5], v[140:141], -v[142:143]
	ds_load_b128 v[4:7], v2 offset:1264
	s_wait_loadcnt_dscnt 0xa01
	v_mul_f64_e32 v[166:167], v[156:157], v[154:155]
	v_mul_f64_e32 v[154:155], v[158:159], v[154:155]
	scratch_load_b128 v[140:143], off, off offset:704
	v_add_f64_e32 v[160:161], v[160:161], v[164:165]
	s_wait_loadcnt_dscnt 0xa00
	v_mul_f64_e32 v[164:165], v[4:5], v[138:139]
	v_add_f64_e32 v[170:171], v[150:151], v[148:149]
	v_mul_f64_e32 v[138:139], v[6:7], v[138:139]
	ds_load_b128 v[148:151], v2 offset:1280
	v_fmac_f64_e32 v[166:167], v[158:159], v[152:153]
	v_fma_f64 v[152:153], v[156:157], v[152:153], -v[154:155]
	s_wait_loadcnt_dscnt 0x900
	v_mul_f64_e32 v[158:159], v[148:149], v[10:11]
	v_mul_f64_e32 v[10:11], v[150:151], v[10:11]
	v_add_f64_e32 v[156:157], v[160:161], v[162:163]
	v_fmac_f64_e32 v[164:165], v[6:7], v[136:137]
	v_add_f64_e32 v[154:155], v[170:171], v[168:169]
	v_fma_f64 v[160:161], v[4:5], v[136:137], -v[138:139]
	ds_load_b128 v[4:7], v2 offset:1296
	ds_load_b128 v[136:139], v2 offset:1312
	v_fmac_f64_e32 v[158:159], v[150:151], v[8:9]
	v_fma_f64 v[8:9], v[148:149], v[8:9], -v[10:11]
	v_add_f64_e32 v[152:153], v[154:155], v[152:153]
	v_add_f64_e32 v[154:155], v[156:157], v[166:167]
	s_wait_loadcnt_dscnt 0x801
	v_mul_f64_e32 v[156:157], v[4:5], v[14:15]
	v_mul_f64_e32 v[14:15], v[6:7], v[14:15]
	s_wait_loadcnt_dscnt 0x700
	v_mul_f64_e32 v[150:151], v[136:137], v[18:19]
	v_mul_f64_e32 v[18:19], v[138:139], v[18:19]
	v_add_f64_e32 v[10:11], v[152:153], v[160:161]
	v_add_f64_e32 v[148:149], v[154:155], v[164:165]
	v_fmac_f64_e32 v[156:157], v[6:7], v[12:13]
	v_fma_f64 v[12:13], v[4:5], v[12:13], -v[14:15]
	v_fmac_f64_e32 v[150:151], v[138:139], v[16:17]
	v_fma_f64 v[16:17], v[136:137], v[16:17], -v[18:19]
	v_add_f64_e32 v[14:15], v[10:11], v[8:9]
	v_add_f64_e32 v[148:149], v[148:149], v[158:159]
	ds_load_b128 v[4:7], v2 offset:1328
	ds_load_b128 v[8:11], v2 offset:1344
	s_wait_loadcnt_dscnt 0x601
	v_mul_f64_e32 v[152:153], v[4:5], v[22:23]
	v_mul_f64_e32 v[22:23], v[6:7], v[22:23]
	s_wait_loadcnt_dscnt 0x500
	v_mul_f64_e32 v[18:19], v[8:9], v[26:27]
	v_mul_f64_e32 v[26:27], v[10:11], v[26:27]
	v_add_f64_e32 v[12:13], v[14:15], v[12:13]
	v_add_f64_e32 v[14:15], v[148:149], v[156:157]
	v_fmac_f64_e32 v[152:153], v[6:7], v[20:21]
	v_fma_f64 v[20:21], v[4:5], v[20:21], -v[22:23]
	v_fmac_f64_e32 v[18:19], v[10:11], v[24:25]
	v_fma_f64 v[8:9], v[8:9], v[24:25], -v[26:27]
	v_add_f64_e32 v[16:17], v[12:13], v[16:17]
	v_add_f64_e32 v[22:23], v[14:15], v[150:151]
	ds_load_b128 v[4:7], v2 offset:1360
	ds_load_b128 v[12:15], v2 offset:1376
	s_wait_loadcnt_dscnt 0x401
	v_mul_f64_e32 v[136:137], v[4:5], v[30:31]
	v_mul_f64_e32 v[30:31], v[6:7], v[30:31]
	v_add_f64_e32 v[10:11], v[16:17], v[20:21]
	v_add_f64_e32 v[16:17], v[22:23], v[152:153]
	s_wait_loadcnt_dscnt 0x300
	v_mul_f64_e32 v[20:21], v[12:13], v[126:127]
	v_mul_f64_e32 v[22:23], v[14:15], v[126:127]
	v_fmac_f64_e32 v[136:137], v[6:7], v[28:29]
	v_fma_f64 v[24:25], v[4:5], v[28:29], -v[30:31]
	v_add_f64_e32 v[26:27], v[10:11], v[8:9]
	v_add_f64_e32 v[16:17], v[16:17], v[18:19]
	ds_load_b128 v[4:7], v2 offset:1392
	ds_load_b128 v[8:11], v2 offset:1408
	v_fmac_f64_e32 v[20:21], v[14:15], v[124:125]
	v_fma_f64 v[12:13], v[12:13], v[124:125], -v[22:23]
	s_wait_loadcnt_dscnt 0x201
	v_mul_f64_e32 v[18:19], v[4:5], v[130:131]
	v_mul_f64_e32 v[28:29], v[6:7], v[130:131]
	s_wait_loadcnt_dscnt 0x100
	v_mul_f64_e32 v[22:23], v[8:9], v[134:135]
	v_add_f64_e32 v[14:15], v[26:27], v[24:25]
	v_add_f64_e32 v[16:17], v[16:17], v[136:137]
	v_mul_f64_e32 v[24:25], v[10:11], v[134:135]
	v_fmac_f64_e32 v[18:19], v[6:7], v[128:129]
	v_fma_f64 v[26:27], v[4:5], v[128:129], -v[28:29]
	ds_load_b128 v[4:7], v2 offset:1424
	v_fmac_f64_e32 v[22:23], v[10:11], v[132:133]
	v_add_f64_e32 v[12:13], v[14:15], v[12:13]
	v_add_f64_e32 v[14:15], v[16:17], v[20:21]
	v_fma_f64 v[8:9], v[8:9], v[132:133], -v[24:25]
	s_wait_loadcnt_dscnt 0x0
	v_mul_f64_e32 v[16:17], v[4:5], v[142:143]
	v_mul_f64_e32 v[20:21], v[6:7], v[142:143]
	v_add_f64_e32 v[10:11], v[12:13], v[26:27]
	v_add_f64_e32 v[12:13], v[14:15], v[18:19]
	s_delay_alu instid0(VALU_DEP_4) | instskip(NEXT) | instid1(VALU_DEP_4)
	v_fmac_f64_e32 v[16:17], v[6:7], v[140:141]
	v_fma_f64 v[4:5], v[4:5], v[140:141], -v[20:21]
	s_delay_alu instid0(VALU_DEP_4) | instskip(NEXT) | instid1(VALU_DEP_4)
	v_add_f64_e32 v[6:7], v[10:11], v[8:9]
	v_add_f64_e32 v[8:9], v[12:13], v[22:23]
	s_delay_alu instid0(VALU_DEP_2) | instskip(NEXT) | instid1(VALU_DEP_2)
	v_add_f64_e32 v[4:5], v[6:7], v[4:5]
	v_add_f64_e32 v[6:7], v[8:9], v[16:17]
	s_delay_alu instid0(VALU_DEP_2) | instskip(NEXT) | instid1(VALU_DEP_2)
	v_add_f64_e64 v[4:5], v[144:145], -v[4:5]
	v_add_f64_e64 v[6:7], v[146:147], -v[6:7]
	scratch_store_b128 off, v[4:7], off offset:144
	s_wait_xcnt 0x0
	v_cmpx_lt_u32_e32 8, v1
	s_cbranch_execz .LBB44_267
; %bb.266:
	scratch_load_b128 v[6:9], off, s46
	v_dual_mov_b32 v3, v2 :: v_dual_mov_b32 v4, v2
	v_mov_b32_e32 v5, v2
	scratch_store_b128 off, v[2:5], off offset:128
	s_wait_loadcnt 0x0
	ds_store_b128 v122, v[6:9]
.LBB44_267:
	s_wait_xcnt 0x0
	s_or_b32 exec_lo, exec_lo, s2
	s_wait_storecnt_dscnt 0x0
	s_barrier_signal -1
	s_barrier_wait -1
	s_clause 0x9
	scratch_load_b128 v[4:7], off, off offset:144
	scratch_load_b128 v[8:11], off, off offset:160
	;; [unrolled: 1-line block ×10, first 2 shown]
	ds_load_b128 v[136:139], v2 offset:864
	ds_load_b128 v[144:147], v2 offset:880
	s_clause 0x2
	scratch_load_b128 v[140:143], off, off offset:304
	scratch_load_b128 v[148:151], off, off offset:128
	;; [unrolled: 1-line block ×3, first 2 shown]
	s_mov_b32 s2, exec_lo
	s_wait_loadcnt_dscnt 0xc01
	v_mul_f64_e32 v[156:157], v[138:139], v[6:7]
	v_mul_f64_e32 v[160:161], v[136:137], v[6:7]
	s_wait_loadcnt_dscnt 0xb00
	v_mul_f64_e32 v[162:163], v[144:145], v[10:11]
	v_mul_f64_e32 v[10:11], v[146:147], v[10:11]
	s_delay_alu instid0(VALU_DEP_4) | instskip(NEXT) | instid1(VALU_DEP_4)
	v_fma_f64 v[164:165], v[136:137], v[4:5], -v[156:157]
	v_fmac_f64_e32 v[160:161], v[138:139], v[4:5]
	ds_load_b128 v[4:7], v2 offset:896
	ds_load_b128 v[136:139], v2 offset:912
	scratch_load_b128 v[156:159], off, off offset:336
	v_fmac_f64_e32 v[162:163], v[146:147], v[8:9]
	v_fma_f64 v[144:145], v[144:145], v[8:9], -v[10:11]
	scratch_load_b128 v[8:11], off, off offset:352
	s_wait_loadcnt_dscnt 0xc01
	v_mul_f64_e32 v[166:167], v[4:5], v[14:15]
	v_mul_f64_e32 v[14:15], v[6:7], v[14:15]
	v_add_f64_e32 v[146:147], 0, v[164:165]
	v_add_f64_e32 v[160:161], 0, v[160:161]
	s_wait_loadcnt_dscnt 0xb00
	v_mul_f64_e32 v[164:165], v[136:137], v[18:19]
	v_mul_f64_e32 v[18:19], v[138:139], v[18:19]
	v_fmac_f64_e32 v[166:167], v[6:7], v[12:13]
	v_fma_f64 v[168:169], v[4:5], v[12:13], -v[14:15]
	ds_load_b128 v[4:7], v2 offset:928
	ds_load_b128 v[12:15], v2 offset:944
	v_add_f64_e32 v[170:171], v[146:147], v[144:145]
	v_add_f64_e32 v[160:161], v[160:161], v[162:163]
	scratch_load_b128 v[144:147], off, off offset:368
	v_fmac_f64_e32 v[164:165], v[138:139], v[16:17]
	v_fma_f64 v[136:137], v[136:137], v[16:17], -v[18:19]
	scratch_load_b128 v[16:19], off, off offset:384
	s_wait_loadcnt_dscnt 0xc01
	v_mul_f64_e32 v[162:163], v[4:5], v[22:23]
	v_mul_f64_e32 v[22:23], v[6:7], v[22:23]
	v_add_f64_e32 v[138:139], v[170:171], v[168:169]
	v_add_f64_e32 v[160:161], v[160:161], v[166:167]
	s_wait_loadcnt_dscnt 0xb00
	v_mul_f64_e32 v[166:167], v[12:13], v[26:27]
	v_mul_f64_e32 v[26:27], v[14:15], v[26:27]
	v_fmac_f64_e32 v[162:163], v[6:7], v[20:21]
	v_fma_f64 v[168:169], v[4:5], v[20:21], -v[22:23]
	ds_load_b128 v[4:7], v2 offset:960
	ds_load_b128 v[20:23], v2 offset:976
	v_add_f64_e32 v[170:171], v[138:139], v[136:137]
	v_add_f64_e32 v[160:161], v[160:161], v[164:165]
	scratch_load_b128 v[136:139], off, off offset:400
	s_wait_loadcnt_dscnt 0xb01
	v_mul_f64_e32 v[164:165], v[4:5], v[30:31]
	v_mul_f64_e32 v[30:31], v[6:7], v[30:31]
	v_fmac_f64_e32 v[166:167], v[14:15], v[24:25]
	v_fma_f64 v[24:25], v[12:13], v[24:25], -v[26:27]
	scratch_load_b128 v[12:15], off, off offset:416
	v_add_f64_e32 v[26:27], v[170:171], v[168:169]
	v_add_f64_e32 v[160:161], v[160:161], v[162:163]
	s_wait_loadcnt_dscnt 0xb00
	v_mul_f64_e32 v[162:163], v[20:21], v[126:127]
	v_mul_f64_e32 v[126:127], v[22:23], v[126:127]
	v_fmac_f64_e32 v[164:165], v[6:7], v[28:29]
	v_fma_f64 v[168:169], v[4:5], v[28:29], -v[30:31]
	v_add_f64_e32 v[170:171], v[26:27], v[24:25]
	v_add_f64_e32 v[160:161], v[160:161], v[166:167]
	ds_load_b128 v[4:7], v2 offset:992
	ds_load_b128 v[24:27], v2 offset:1008
	scratch_load_b128 v[28:31], off, off offset:432
	v_fmac_f64_e32 v[162:163], v[22:23], v[124:125]
	v_fma_f64 v[124:125], v[20:21], v[124:125], -v[126:127]
	scratch_load_b128 v[20:23], off, off offset:448
	s_wait_loadcnt_dscnt 0xc01
	v_mul_f64_e32 v[166:167], v[4:5], v[130:131]
	v_mul_f64_e32 v[130:131], v[6:7], v[130:131]
	v_add_f64_e32 v[126:127], v[170:171], v[168:169]
	v_add_f64_e32 v[160:161], v[160:161], v[164:165]
	s_wait_loadcnt_dscnt 0xb00
	v_mul_f64_e32 v[164:165], v[24:25], v[134:135]
	v_mul_f64_e32 v[134:135], v[26:27], v[134:135]
	v_fmac_f64_e32 v[166:167], v[6:7], v[128:129]
	v_fma_f64 v[168:169], v[4:5], v[128:129], -v[130:131]
	v_add_f64_e32 v[170:171], v[126:127], v[124:125]
	v_add_f64_e32 v[160:161], v[160:161], v[162:163]
	ds_load_b128 v[4:7], v2 offset:1024
	ds_load_b128 v[124:127], v2 offset:1040
	scratch_load_b128 v[128:131], off, off offset:464
	v_fmac_f64_e32 v[164:165], v[26:27], v[132:133]
	v_fma_f64 v[132:133], v[24:25], v[132:133], -v[134:135]
	scratch_load_b128 v[24:27], off, off offset:480
	s_wait_loadcnt_dscnt 0xc01
	v_mul_f64_e32 v[162:163], v[4:5], v[142:143]
	v_mul_f64_e32 v[142:143], v[6:7], v[142:143]
	;; [unrolled: 18-line block ×5, first 2 shown]
	v_add_f64_e32 v[154:155], v[170:171], v[168:169]
	v_add_f64_e32 v[160:161], v[160:161], v[166:167]
	s_wait_loadcnt_dscnt 0xa00
	v_mul_f64_e32 v[166:167], v[132:133], v[14:15]
	v_mul_f64_e32 v[14:15], v[134:135], v[14:15]
	v_fmac_f64_e32 v[162:163], v[6:7], v[136:137]
	v_fma_f64 v[168:169], v[4:5], v[136:137], -v[138:139]
	ds_load_b128 v[4:7], v2 offset:1152
	ds_load_b128 v[136:139], v2 offset:1168
	v_add_f64_e32 v[170:171], v[154:155], v[152:153]
	v_add_f64_e32 v[160:161], v[160:161], v[164:165]
	scratch_load_b128 v[152:155], off, off offset:592
	v_fmac_f64_e32 v[166:167], v[134:135], v[12:13]
	v_fma_f64 v[132:133], v[132:133], v[12:13], -v[14:15]
	scratch_load_b128 v[12:15], off, off offset:608
	s_wait_loadcnt_dscnt 0xb01
	v_mul_f64_e32 v[164:165], v[4:5], v[30:31]
	v_mul_f64_e32 v[30:31], v[6:7], v[30:31]
	v_add_f64_e32 v[134:135], v[170:171], v[168:169]
	v_add_f64_e32 v[160:161], v[160:161], v[162:163]
	s_wait_loadcnt_dscnt 0xa00
	v_mul_f64_e32 v[162:163], v[136:137], v[22:23]
	v_mul_f64_e32 v[22:23], v[138:139], v[22:23]
	v_fmac_f64_e32 v[164:165], v[6:7], v[28:29]
	v_fma_f64 v[168:169], v[4:5], v[28:29], -v[30:31]
	ds_load_b128 v[4:7], v2 offset:1184
	ds_load_b128 v[28:31], v2 offset:1200
	v_add_f64_e32 v[170:171], v[134:135], v[132:133]
	v_add_f64_e32 v[160:161], v[160:161], v[166:167]
	scratch_load_b128 v[132:135], off, off offset:624
	s_wait_loadcnt_dscnt 0xa01
	v_mul_f64_e32 v[166:167], v[4:5], v[130:131]
	v_mul_f64_e32 v[130:131], v[6:7], v[130:131]
	v_fmac_f64_e32 v[162:163], v[138:139], v[20:21]
	v_fma_f64 v[136:137], v[136:137], v[20:21], -v[22:23]
	scratch_load_b128 v[20:23], off, off offset:640
	v_add_f64_e32 v[138:139], v[170:171], v[168:169]
	v_add_f64_e32 v[160:161], v[160:161], v[164:165]
	s_wait_loadcnt_dscnt 0xa00
	v_mul_f64_e32 v[164:165], v[28:29], v[26:27]
	v_mul_f64_e32 v[26:27], v[30:31], v[26:27]
	v_fmac_f64_e32 v[166:167], v[6:7], v[128:129]
	v_fma_f64 v[168:169], v[4:5], v[128:129], -v[130:131]
	ds_load_b128 v[4:7], v2 offset:1216
	ds_load_b128 v[128:131], v2 offset:1232
	v_add_f64_e32 v[170:171], v[138:139], v[136:137]
	v_add_f64_e32 v[160:161], v[160:161], v[162:163]
	scratch_load_b128 v[136:139], off, off offset:656
	s_wait_loadcnt_dscnt 0xa01
	v_mul_f64_e32 v[162:163], v[4:5], v[142:143]
	v_mul_f64_e32 v[142:143], v[6:7], v[142:143]
	v_fmac_f64_e32 v[164:165], v[30:31], v[24:25]
	v_fma_f64 v[28:29], v[28:29], v[24:25], -v[26:27]
	scratch_load_b128 v[24:27], off, off offset:672
	v_add_f64_e32 v[30:31], v[170:171], v[168:169]
	v_add_f64_e32 v[160:161], v[160:161], v[166:167]
	s_wait_loadcnt_dscnt 0xa00
	v_mul_f64_e32 v[166:167], v[128:129], v[126:127]
	v_mul_f64_e32 v[126:127], v[130:131], v[126:127]
	v_fmac_f64_e32 v[162:163], v[6:7], v[140:141]
	v_fma_f64 v[168:169], v[4:5], v[140:141], -v[142:143]
	v_add_f64_e32 v[170:171], v[30:31], v[28:29]
	v_add_f64_e32 v[160:161], v[160:161], v[164:165]
	ds_load_b128 v[4:7], v2 offset:1248
	ds_load_b128 v[28:31], v2 offset:1264
	scratch_load_b128 v[140:143], off, off offset:688
	v_fmac_f64_e32 v[166:167], v[130:131], v[124:125]
	v_fma_f64 v[128:129], v[128:129], v[124:125], -v[126:127]
	scratch_load_b128 v[124:127], off, off offset:704
	s_wait_loadcnt_dscnt 0xb01
	v_mul_f64_e32 v[164:165], v[4:5], v[158:159]
	v_mul_f64_e32 v[158:159], v[6:7], v[158:159]
	v_add_f64_e32 v[130:131], v[170:171], v[168:169]
	v_add_f64_e32 v[160:161], v[160:161], v[162:163]
	s_wait_loadcnt_dscnt 0xa00
	v_mul_f64_e32 v[162:163], v[28:29], v[10:11]
	v_mul_f64_e32 v[10:11], v[30:31], v[10:11]
	v_fmac_f64_e32 v[164:165], v[6:7], v[156:157]
	v_fma_f64 v[156:157], v[4:5], v[156:157], -v[158:159]
	v_add_f64_e32 v[158:159], v[130:131], v[128:129]
	v_add_f64_e32 v[160:161], v[160:161], v[166:167]
	ds_load_b128 v[4:7], v2 offset:1280
	ds_load_b128 v[128:131], v2 offset:1296
	v_fmac_f64_e32 v[162:163], v[30:31], v[8:9]
	v_fma_f64 v[8:9], v[28:29], v[8:9], -v[10:11]
	s_wait_loadcnt_dscnt 0x901
	v_mul_f64_e32 v[166:167], v[4:5], v[146:147]
	v_mul_f64_e32 v[146:147], v[6:7], v[146:147]
	s_wait_loadcnt_dscnt 0x800
	v_mul_f64_e32 v[30:31], v[128:129], v[18:19]
	v_mul_f64_e32 v[18:19], v[130:131], v[18:19]
	v_add_f64_e32 v[10:11], v[158:159], v[156:157]
	v_add_f64_e32 v[28:29], v[160:161], v[164:165]
	v_fmac_f64_e32 v[166:167], v[6:7], v[144:145]
	v_fma_f64 v[144:145], v[4:5], v[144:145], -v[146:147]
	v_fmac_f64_e32 v[30:31], v[130:131], v[16:17]
	v_fma_f64 v[16:17], v[128:129], v[16:17], -v[18:19]
	v_add_f64_e32 v[146:147], v[10:11], v[8:9]
	v_add_f64_e32 v[28:29], v[28:29], v[162:163]
	ds_load_b128 v[4:7], v2 offset:1312
	ds_load_b128 v[8:11], v2 offset:1328
	s_wait_loadcnt_dscnt 0x701
	v_mul_f64_e32 v[156:157], v[4:5], v[154:155]
	v_mul_f64_e32 v[154:155], v[6:7], v[154:155]
	s_wait_loadcnt_dscnt 0x600
	v_mul_f64_e32 v[128:129], v[8:9], v[14:15]
	v_mul_f64_e32 v[130:131], v[10:11], v[14:15]
	v_add_f64_e32 v[18:19], v[146:147], v[144:145]
	v_add_f64_e32 v[28:29], v[28:29], v[166:167]
	v_fmac_f64_e32 v[156:157], v[6:7], v[152:153]
	v_fma_f64 v[144:145], v[4:5], v[152:153], -v[154:155]
	v_fmac_f64_e32 v[128:129], v[10:11], v[12:13]
	v_fma_f64 v[8:9], v[8:9], v[12:13], -v[130:131]
	v_add_f64_e32 v[18:19], v[18:19], v[16:17]
	v_add_f64_e32 v[28:29], v[28:29], v[30:31]
	ds_load_b128 v[4:7], v2 offset:1344
	ds_load_b128 v[14:17], v2 offset:1360
	s_wait_loadcnt_dscnt 0x501
	v_mul_f64_e32 v[30:31], v[4:5], v[134:135]
	v_mul_f64_e32 v[134:135], v[6:7], v[134:135]
	v_add_f64_e32 v[10:11], v[18:19], v[144:145]
	v_add_f64_e32 v[12:13], v[28:29], v[156:157]
	s_wait_loadcnt_dscnt 0x400
	v_mul_f64_e32 v[18:19], v[14:15], v[22:23]
	v_mul_f64_e32 v[22:23], v[16:17], v[22:23]
	v_fmac_f64_e32 v[30:31], v[6:7], v[132:133]
	v_fma_f64 v[28:29], v[4:5], v[132:133], -v[134:135]
	v_add_f64_e32 v[130:131], v[10:11], v[8:9]
	v_add_f64_e32 v[12:13], v[12:13], v[128:129]
	ds_load_b128 v[4:7], v2 offset:1376
	ds_load_b128 v[8:11], v2 offset:1392
	v_fmac_f64_e32 v[18:19], v[16:17], v[20:21]
	v_fma_f64 v[14:15], v[14:15], v[20:21], -v[22:23]
	s_wait_loadcnt_dscnt 0x301
	v_mul_f64_e32 v[128:129], v[4:5], v[138:139]
	v_mul_f64_e32 v[132:133], v[6:7], v[138:139]
	s_wait_loadcnt_dscnt 0x200
	v_mul_f64_e32 v[20:21], v[8:9], v[26:27]
	v_mul_f64_e32 v[22:23], v[10:11], v[26:27]
	v_add_f64_e32 v[16:17], v[130:131], v[28:29]
	v_add_f64_e32 v[12:13], v[12:13], v[30:31]
	v_fmac_f64_e32 v[128:129], v[6:7], v[136:137]
	v_fma_f64 v[26:27], v[4:5], v[136:137], -v[132:133]
	v_fmac_f64_e32 v[20:21], v[10:11], v[24:25]
	v_fma_f64 v[8:9], v[8:9], v[24:25], -v[22:23]
	v_add_f64_e32 v[16:17], v[16:17], v[14:15]
	v_add_f64_e32 v[18:19], v[12:13], v[18:19]
	ds_load_b128 v[4:7], v2 offset:1408
	ds_load_b128 v[12:15], v2 offset:1424
	s_wait_loadcnt_dscnt 0x101
	v_mul_f64_e32 v[2:3], v[4:5], v[142:143]
	v_mul_f64_e32 v[28:29], v[6:7], v[142:143]
	s_wait_loadcnt_dscnt 0x0
	v_mul_f64_e32 v[22:23], v[14:15], v[126:127]
	v_add_f64_e32 v[10:11], v[16:17], v[26:27]
	v_add_f64_e32 v[16:17], v[18:19], v[128:129]
	v_mul_f64_e32 v[18:19], v[12:13], v[126:127]
	v_fmac_f64_e32 v[2:3], v[6:7], v[140:141]
	v_fma_f64 v[4:5], v[4:5], v[140:141], -v[28:29]
	v_add_f64_e32 v[6:7], v[10:11], v[8:9]
	v_add_f64_e32 v[8:9], v[16:17], v[20:21]
	v_fmac_f64_e32 v[18:19], v[14:15], v[124:125]
	v_fma_f64 v[10:11], v[12:13], v[124:125], -v[22:23]
	s_delay_alu instid0(VALU_DEP_4) | instskip(NEXT) | instid1(VALU_DEP_4)
	v_add_f64_e32 v[4:5], v[6:7], v[4:5]
	v_add_f64_e32 v[2:3], v[8:9], v[2:3]
	s_delay_alu instid0(VALU_DEP_2) | instskip(NEXT) | instid1(VALU_DEP_2)
	v_add_f64_e32 v[4:5], v[4:5], v[10:11]
	v_add_f64_e32 v[6:7], v[2:3], v[18:19]
	s_delay_alu instid0(VALU_DEP_2) | instskip(NEXT) | instid1(VALU_DEP_2)
	v_add_f64_e64 v[2:3], v[148:149], -v[4:5]
	v_add_f64_e64 v[4:5], v[150:151], -v[6:7]
	scratch_store_b128 off, v[2:5], off offset:128
	s_wait_xcnt 0x0
	v_cmpx_lt_u32_e32 7, v1
	s_cbranch_execz .LBB44_269
; %bb.268:
	scratch_load_b128 v[2:5], off, s53
	v_mov_b32_e32 v6, 0
	s_delay_alu instid0(VALU_DEP_1)
	v_dual_mov_b32 v7, v6 :: v_dual_mov_b32 v8, v6
	v_mov_b32_e32 v9, v6
	scratch_store_b128 off, v[6:9], off offset:112
	s_wait_loadcnt 0x0
	ds_store_b128 v122, v[2:5]
.LBB44_269:
	s_wait_xcnt 0x0
	s_or_b32 exec_lo, exec_lo, s2
	s_wait_storecnt_dscnt 0x0
	s_barrier_signal -1
	s_barrier_wait -1
	s_clause 0x9
	scratch_load_b128 v[4:7], off, off offset:128
	scratch_load_b128 v[8:11], off, off offset:144
	;; [unrolled: 1-line block ×10, first 2 shown]
	v_mov_b32_e32 v2, 0
	s_mov_b32 s2, exec_lo
	ds_load_b128 v[136:139], v2 offset:848
	s_clause 0x2
	scratch_load_b128 v[140:143], off, off offset:288
	scratch_load_b128 v[144:147], off, off offset:112
	scratch_load_b128 v[152:155], off, off offset:304
	s_wait_loadcnt_dscnt 0xc00
	v_mul_f64_e32 v[156:157], v[138:139], v[6:7]
	v_mul_f64_e32 v[160:161], v[136:137], v[6:7]
	ds_load_b128 v[148:151], v2 offset:864
	v_fma_f64 v[164:165], v[136:137], v[4:5], -v[156:157]
	v_fmac_f64_e32 v[160:161], v[138:139], v[4:5]
	ds_load_b128 v[4:7], v2 offset:880
	s_wait_loadcnt_dscnt 0xb01
	v_mul_f64_e32 v[162:163], v[148:149], v[10:11]
	v_mul_f64_e32 v[10:11], v[150:151], v[10:11]
	scratch_load_b128 v[136:139], off, off offset:320
	ds_load_b128 v[156:159], v2 offset:896
	s_wait_loadcnt_dscnt 0xb01
	v_mul_f64_e32 v[166:167], v[4:5], v[14:15]
	v_mul_f64_e32 v[14:15], v[6:7], v[14:15]
	v_add_f64_e32 v[160:161], 0, v[160:161]
	v_fmac_f64_e32 v[162:163], v[150:151], v[8:9]
	v_fma_f64 v[148:149], v[148:149], v[8:9], -v[10:11]
	v_add_f64_e32 v[150:151], 0, v[164:165]
	scratch_load_b128 v[8:11], off, off offset:336
	v_fmac_f64_e32 v[166:167], v[6:7], v[12:13]
	v_fma_f64 v[168:169], v[4:5], v[12:13], -v[14:15]
	ds_load_b128 v[4:7], v2 offset:912
	s_wait_loadcnt_dscnt 0xb01
	v_mul_f64_e32 v[164:165], v[156:157], v[18:19]
	v_mul_f64_e32 v[18:19], v[158:159], v[18:19]
	scratch_load_b128 v[12:15], off, off offset:352
	v_add_f64_e32 v[160:161], v[160:161], v[162:163]
	v_add_f64_e32 v[170:171], v[150:151], v[148:149]
	ds_load_b128 v[148:151], v2 offset:928
	s_wait_loadcnt_dscnt 0xb01
	v_mul_f64_e32 v[162:163], v[4:5], v[22:23]
	v_mul_f64_e32 v[22:23], v[6:7], v[22:23]
	v_fmac_f64_e32 v[164:165], v[158:159], v[16:17]
	v_fma_f64 v[156:157], v[156:157], v[16:17], -v[18:19]
	scratch_load_b128 v[16:19], off, off offset:368
	v_add_f64_e32 v[160:161], v[160:161], v[166:167]
	v_add_f64_e32 v[158:159], v[170:171], v[168:169]
	v_fmac_f64_e32 v[162:163], v[6:7], v[20:21]
	v_fma_f64 v[168:169], v[4:5], v[20:21], -v[22:23]
	ds_load_b128 v[4:7], v2 offset:944
	s_wait_loadcnt_dscnt 0xb01
	v_mul_f64_e32 v[166:167], v[148:149], v[26:27]
	v_mul_f64_e32 v[26:27], v[150:151], v[26:27]
	scratch_load_b128 v[20:23], off, off offset:384
	v_add_f64_e32 v[160:161], v[160:161], v[164:165]
	s_wait_loadcnt_dscnt 0xb00
	v_mul_f64_e32 v[164:165], v[4:5], v[30:31]
	v_add_f64_e32 v[170:171], v[158:159], v[156:157]
	v_mul_f64_e32 v[30:31], v[6:7], v[30:31]
	ds_load_b128 v[156:159], v2 offset:960
	v_fmac_f64_e32 v[166:167], v[150:151], v[24:25]
	v_fma_f64 v[148:149], v[148:149], v[24:25], -v[26:27]
	scratch_load_b128 v[24:27], off, off offset:400
	v_add_f64_e32 v[160:161], v[160:161], v[162:163]
	v_fmac_f64_e32 v[164:165], v[6:7], v[28:29]
	v_add_f64_e32 v[150:151], v[170:171], v[168:169]
	v_fma_f64 v[168:169], v[4:5], v[28:29], -v[30:31]
	ds_load_b128 v[4:7], v2 offset:976
	s_wait_loadcnt_dscnt 0xb01
	v_mul_f64_e32 v[162:163], v[156:157], v[126:127]
	v_mul_f64_e32 v[126:127], v[158:159], v[126:127]
	scratch_load_b128 v[28:31], off, off offset:416
	v_add_f64_e32 v[160:161], v[160:161], v[166:167]
	s_wait_loadcnt_dscnt 0xb00
	v_mul_f64_e32 v[166:167], v[4:5], v[130:131]
	v_add_f64_e32 v[170:171], v[150:151], v[148:149]
	v_mul_f64_e32 v[130:131], v[6:7], v[130:131]
	ds_load_b128 v[148:151], v2 offset:992
	v_fmac_f64_e32 v[162:163], v[158:159], v[124:125]
	v_fma_f64 v[156:157], v[156:157], v[124:125], -v[126:127]
	scratch_load_b128 v[124:127], off, off offset:432
	v_add_f64_e32 v[160:161], v[160:161], v[164:165]
	v_fmac_f64_e32 v[166:167], v[6:7], v[128:129]
	v_add_f64_e32 v[158:159], v[170:171], v[168:169]
	v_fma_f64 v[168:169], v[4:5], v[128:129], -v[130:131]
	ds_load_b128 v[4:7], v2 offset:1008
	s_wait_loadcnt_dscnt 0xb01
	v_mul_f64_e32 v[164:165], v[148:149], v[134:135]
	v_mul_f64_e32 v[134:135], v[150:151], v[134:135]
	scratch_load_b128 v[128:131], off, off offset:448
	v_add_f64_e32 v[160:161], v[160:161], v[162:163]
	s_wait_loadcnt_dscnt 0xb00
	v_mul_f64_e32 v[162:163], v[4:5], v[142:143]
	v_add_f64_e32 v[170:171], v[158:159], v[156:157]
	v_mul_f64_e32 v[142:143], v[6:7], v[142:143]
	ds_load_b128 v[156:159], v2 offset:1024
	v_fmac_f64_e32 v[164:165], v[150:151], v[132:133]
	v_fma_f64 v[148:149], v[148:149], v[132:133], -v[134:135]
	scratch_load_b128 v[132:135], off, off offset:464
	v_add_f64_e32 v[160:161], v[160:161], v[166:167]
	v_fmac_f64_e32 v[162:163], v[6:7], v[140:141]
	v_add_f64_e32 v[150:151], v[170:171], v[168:169]
	v_fma_f64 v[168:169], v[4:5], v[140:141], -v[142:143]
	ds_load_b128 v[4:7], v2 offset:1040
	s_wait_loadcnt_dscnt 0xa01
	v_mul_f64_e32 v[166:167], v[156:157], v[154:155]
	v_mul_f64_e32 v[154:155], v[158:159], v[154:155]
	scratch_load_b128 v[140:143], off, off offset:480
	v_add_f64_e32 v[160:161], v[160:161], v[164:165]
	v_add_f64_e32 v[170:171], v[150:151], v[148:149]
	s_wait_loadcnt_dscnt 0xa00
	v_mul_f64_e32 v[164:165], v[4:5], v[138:139]
	v_mul_f64_e32 v[138:139], v[6:7], v[138:139]
	v_fmac_f64_e32 v[166:167], v[158:159], v[152:153]
	v_fma_f64 v[156:157], v[156:157], v[152:153], -v[154:155]
	ds_load_b128 v[148:151], v2 offset:1056
	scratch_load_b128 v[152:155], off, off offset:496
	v_add_f64_e32 v[160:161], v[160:161], v[162:163]
	v_add_f64_e32 v[158:159], v[170:171], v[168:169]
	v_fmac_f64_e32 v[164:165], v[6:7], v[136:137]
	v_fma_f64 v[168:169], v[4:5], v[136:137], -v[138:139]
	ds_load_b128 v[4:7], v2 offset:1072
	s_wait_loadcnt_dscnt 0xa01
	v_mul_f64_e32 v[162:163], v[148:149], v[10:11]
	v_mul_f64_e32 v[10:11], v[150:151], v[10:11]
	scratch_load_b128 v[136:139], off, off offset:512
	v_add_f64_e32 v[160:161], v[160:161], v[166:167]
	s_wait_loadcnt_dscnt 0xa00
	v_mul_f64_e32 v[166:167], v[4:5], v[14:15]
	v_add_f64_e32 v[170:171], v[158:159], v[156:157]
	v_mul_f64_e32 v[14:15], v[6:7], v[14:15]
	ds_load_b128 v[156:159], v2 offset:1088
	v_fmac_f64_e32 v[162:163], v[150:151], v[8:9]
	v_fma_f64 v[148:149], v[148:149], v[8:9], -v[10:11]
	scratch_load_b128 v[8:11], off, off offset:528
	v_add_f64_e32 v[160:161], v[160:161], v[164:165]
	v_fmac_f64_e32 v[166:167], v[6:7], v[12:13]
	v_add_f64_e32 v[150:151], v[170:171], v[168:169]
	v_fma_f64 v[168:169], v[4:5], v[12:13], -v[14:15]
	ds_load_b128 v[4:7], v2 offset:1104
	s_wait_loadcnt_dscnt 0xa01
	v_mul_f64_e32 v[164:165], v[156:157], v[18:19]
	v_mul_f64_e32 v[18:19], v[158:159], v[18:19]
	scratch_load_b128 v[12:15], off, off offset:544
	v_add_f64_e32 v[160:161], v[160:161], v[162:163]
	s_wait_loadcnt_dscnt 0xa00
	v_mul_f64_e32 v[162:163], v[4:5], v[22:23]
	v_add_f64_e32 v[170:171], v[150:151], v[148:149]
	v_mul_f64_e32 v[22:23], v[6:7], v[22:23]
	ds_load_b128 v[148:151], v2 offset:1120
	v_fmac_f64_e32 v[164:165], v[158:159], v[16:17]
	v_fma_f64 v[156:157], v[156:157], v[16:17], -v[18:19]
	scratch_load_b128 v[16:19], off, off offset:560
	v_add_f64_e32 v[160:161], v[160:161], v[166:167]
	v_fmac_f64_e32 v[162:163], v[6:7], v[20:21]
	v_add_f64_e32 v[158:159], v[170:171], v[168:169]
	;; [unrolled: 18-line block ×6, first 2 shown]
	v_fma_f64 v[168:169], v[4:5], v[136:137], -v[138:139]
	ds_load_b128 v[4:7], v2 offset:1264
	s_wait_loadcnt_dscnt 0xa01
	v_mul_f64_e32 v[162:163], v[148:149], v[10:11]
	v_mul_f64_e32 v[10:11], v[150:151], v[10:11]
	scratch_load_b128 v[136:139], off, off offset:704
	v_add_f64_e32 v[160:161], v[160:161], v[166:167]
	s_wait_loadcnt_dscnt 0xa00
	v_mul_f64_e32 v[166:167], v[4:5], v[14:15]
	v_add_f64_e32 v[170:171], v[158:159], v[156:157]
	v_mul_f64_e32 v[14:15], v[6:7], v[14:15]
	ds_load_b128 v[156:159], v2 offset:1280
	v_fmac_f64_e32 v[162:163], v[150:151], v[8:9]
	v_fma_f64 v[8:9], v[148:149], v[8:9], -v[10:11]
	s_wait_loadcnt_dscnt 0x900
	v_mul_f64_e32 v[150:151], v[156:157], v[18:19]
	v_mul_f64_e32 v[18:19], v[158:159], v[18:19]
	v_add_f64_e32 v[148:149], v[160:161], v[164:165]
	v_fmac_f64_e32 v[166:167], v[6:7], v[12:13]
	v_add_f64_e32 v[10:11], v[170:171], v[168:169]
	v_fma_f64 v[12:13], v[4:5], v[12:13], -v[14:15]
	v_fmac_f64_e32 v[150:151], v[158:159], v[16:17]
	v_fma_f64 v[16:17], v[156:157], v[16:17], -v[18:19]
	v_add_f64_e32 v[148:149], v[148:149], v[162:163]
	v_add_f64_e32 v[14:15], v[10:11], v[8:9]
	ds_load_b128 v[4:7], v2 offset:1296
	ds_load_b128 v[8:11], v2 offset:1312
	s_wait_loadcnt_dscnt 0x801
	v_mul_f64_e32 v[160:161], v[4:5], v[22:23]
	v_mul_f64_e32 v[22:23], v[6:7], v[22:23]
	s_wait_loadcnt_dscnt 0x700
	v_mul_f64_e32 v[18:19], v[8:9], v[26:27]
	v_mul_f64_e32 v[26:27], v[10:11], v[26:27]
	v_add_f64_e32 v[12:13], v[14:15], v[12:13]
	v_add_f64_e32 v[14:15], v[148:149], v[166:167]
	v_fmac_f64_e32 v[160:161], v[6:7], v[20:21]
	v_fma_f64 v[20:21], v[4:5], v[20:21], -v[22:23]
	v_fmac_f64_e32 v[18:19], v[10:11], v[24:25]
	v_fma_f64 v[8:9], v[8:9], v[24:25], -v[26:27]
	v_add_f64_e32 v[16:17], v[12:13], v[16:17]
	v_add_f64_e32 v[22:23], v[14:15], v[150:151]
	ds_load_b128 v[4:7], v2 offset:1328
	ds_load_b128 v[12:15], v2 offset:1344
	s_wait_loadcnt_dscnt 0x601
	v_mul_f64_e32 v[148:149], v[4:5], v[30:31]
	v_mul_f64_e32 v[30:31], v[6:7], v[30:31]
	v_add_f64_e32 v[10:11], v[16:17], v[20:21]
	v_add_f64_e32 v[16:17], v[22:23], v[160:161]
	s_wait_loadcnt_dscnt 0x500
	v_mul_f64_e32 v[20:21], v[12:13], v[126:127]
	v_mul_f64_e32 v[22:23], v[14:15], v[126:127]
	v_fmac_f64_e32 v[148:149], v[6:7], v[28:29]
	v_fma_f64 v[24:25], v[4:5], v[28:29], -v[30:31]
	v_add_f64_e32 v[26:27], v[10:11], v[8:9]
	v_add_f64_e32 v[16:17], v[16:17], v[18:19]
	ds_load_b128 v[4:7], v2 offset:1360
	ds_load_b128 v[8:11], v2 offset:1376
	v_fmac_f64_e32 v[20:21], v[14:15], v[124:125]
	v_fma_f64 v[12:13], v[12:13], v[124:125], -v[22:23]
	s_wait_loadcnt_dscnt 0x401
	v_mul_f64_e32 v[18:19], v[4:5], v[130:131]
	v_mul_f64_e32 v[28:29], v[6:7], v[130:131]
	s_wait_loadcnt_dscnt 0x300
	v_mul_f64_e32 v[22:23], v[8:9], v[134:135]
	v_add_f64_e32 v[14:15], v[26:27], v[24:25]
	v_add_f64_e32 v[16:17], v[16:17], v[148:149]
	v_mul_f64_e32 v[24:25], v[10:11], v[134:135]
	v_fmac_f64_e32 v[18:19], v[6:7], v[128:129]
	v_fma_f64 v[26:27], v[4:5], v[128:129], -v[28:29]
	v_fmac_f64_e32 v[22:23], v[10:11], v[132:133]
	v_add_f64_e32 v[28:29], v[14:15], v[12:13]
	v_add_f64_e32 v[16:17], v[16:17], v[20:21]
	ds_load_b128 v[4:7], v2 offset:1392
	ds_load_b128 v[12:15], v2 offset:1408
	v_fma_f64 v[8:9], v[8:9], v[132:133], -v[24:25]
	s_wait_loadcnt_dscnt 0x201
	v_mul_f64_e32 v[20:21], v[4:5], v[142:143]
	v_mul_f64_e32 v[30:31], v[6:7], v[142:143]
	s_wait_loadcnt_dscnt 0x100
	v_mul_f64_e32 v[24:25], v[14:15], v[154:155]
	v_add_f64_e32 v[10:11], v[28:29], v[26:27]
	v_add_f64_e32 v[16:17], v[16:17], v[18:19]
	v_mul_f64_e32 v[18:19], v[12:13], v[154:155]
	v_fmac_f64_e32 v[20:21], v[6:7], v[140:141]
	v_fma_f64 v[26:27], v[4:5], v[140:141], -v[30:31]
	ds_load_b128 v[4:7], v2 offset:1424
	v_fma_f64 v[12:13], v[12:13], v[152:153], -v[24:25]
	v_add_f64_e32 v[8:9], v[10:11], v[8:9]
	v_add_f64_e32 v[10:11], v[16:17], v[22:23]
	v_fmac_f64_e32 v[18:19], v[14:15], v[152:153]
	s_wait_loadcnt_dscnt 0x0
	v_mul_f64_e32 v[16:17], v[4:5], v[138:139]
	v_mul_f64_e32 v[22:23], v[6:7], v[138:139]
	v_add_f64_e32 v[8:9], v[8:9], v[26:27]
	v_add_f64_e32 v[10:11], v[10:11], v[20:21]
	s_delay_alu instid0(VALU_DEP_4) | instskip(NEXT) | instid1(VALU_DEP_4)
	v_fmac_f64_e32 v[16:17], v[6:7], v[136:137]
	v_fma_f64 v[4:5], v[4:5], v[136:137], -v[22:23]
	s_delay_alu instid0(VALU_DEP_4) | instskip(NEXT) | instid1(VALU_DEP_4)
	v_add_f64_e32 v[6:7], v[8:9], v[12:13]
	v_add_f64_e32 v[8:9], v[10:11], v[18:19]
	s_delay_alu instid0(VALU_DEP_2) | instskip(NEXT) | instid1(VALU_DEP_2)
	v_add_f64_e32 v[4:5], v[6:7], v[4:5]
	v_add_f64_e32 v[6:7], v[8:9], v[16:17]
	s_delay_alu instid0(VALU_DEP_2) | instskip(NEXT) | instid1(VALU_DEP_2)
	v_add_f64_e64 v[4:5], v[144:145], -v[4:5]
	v_add_f64_e64 v[6:7], v[146:147], -v[6:7]
	scratch_store_b128 off, v[4:7], off offset:112
	s_wait_xcnt 0x0
	v_cmpx_lt_u32_e32 6, v1
	s_cbranch_execz .LBB44_271
; %bb.270:
	scratch_load_b128 v[6:9], off, s50
	v_dual_mov_b32 v3, v2 :: v_dual_mov_b32 v4, v2
	v_mov_b32_e32 v5, v2
	scratch_store_b128 off, v[2:5], off offset:96
	s_wait_loadcnt 0x0
	ds_store_b128 v122, v[6:9]
.LBB44_271:
	s_wait_xcnt 0x0
	s_or_b32 exec_lo, exec_lo, s2
	s_wait_storecnt_dscnt 0x0
	s_barrier_signal -1
	s_barrier_wait -1
	s_clause 0x9
	scratch_load_b128 v[4:7], off, off offset:112
	scratch_load_b128 v[8:11], off, off offset:128
	;; [unrolled: 1-line block ×10, first 2 shown]
	ds_load_b128 v[136:139], v2 offset:832
	ds_load_b128 v[144:147], v2 offset:848
	s_clause 0x2
	scratch_load_b128 v[140:143], off, off offset:272
	scratch_load_b128 v[148:151], off, off offset:96
	;; [unrolled: 1-line block ×3, first 2 shown]
	s_mov_b32 s2, exec_lo
	s_wait_loadcnt_dscnt 0xc01
	v_mul_f64_e32 v[156:157], v[138:139], v[6:7]
	v_mul_f64_e32 v[160:161], v[136:137], v[6:7]
	s_wait_loadcnt_dscnt 0xb00
	v_mul_f64_e32 v[162:163], v[144:145], v[10:11]
	v_mul_f64_e32 v[10:11], v[146:147], v[10:11]
	s_delay_alu instid0(VALU_DEP_4) | instskip(NEXT) | instid1(VALU_DEP_4)
	v_fma_f64 v[164:165], v[136:137], v[4:5], -v[156:157]
	v_fmac_f64_e32 v[160:161], v[138:139], v[4:5]
	ds_load_b128 v[4:7], v2 offset:864
	ds_load_b128 v[136:139], v2 offset:880
	scratch_load_b128 v[156:159], off, off offset:304
	v_fmac_f64_e32 v[162:163], v[146:147], v[8:9]
	v_fma_f64 v[144:145], v[144:145], v[8:9], -v[10:11]
	scratch_load_b128 v[8:11], off, off offset:320
	s_wait_loadcnt_dscnt 0xc01
	v_mul_f64_e32 v[166:167], v[4:5], v[14:15]
	v_mul_f64_e32 v[14:15], v[6:7], v[14:15]
	v_add_f64_e32 v[146:147], 0, v[164:165]
	v_add_f64_e32 v[160:161], 0, v[160:161]
	s_wait_loadcnt_dscnt 0xb00
	v_mul_f64_e32 v[164:165], v[136:137], v[18:19]
	v_mul_f64_e32 v[18:19], v[138:139], v[18:19]
	v_fmac_f64_e32 v[166:167], v[6:7], v[12:13]
	v_fma_f64 v[168:169], v[4:5], v[12:13], -v[14:15]
	ds_load_b128 v[4:7], v2 offset:896
	ds_load_b128 v[12:15], v2 offset:912
	v_add_f64_e32 v[170:171], v[146:147], v[144:145]
	v_add_f64_e32 v[160:161], v[160:161], v[162:163]
	scratch_load_b128 v[144:147], off, off offset:336
	v_fmac_f64_e32 v[164:165], v[138:139], v[16:17]
	v_fma_f64 v[136:137], v[136:137], v[16:17], -v[18:19]
	scratch_load_b128 v[16:19], off, off offset:352
	s_wait_loadcnt_dscnt 0xc01
	v_mul_f64_e32 v[162:163], v[4:5], v[22:23]
	v_mul_f64_e32 v[22:23], v[6:7], v[22:23]
	v_add_f64_e32 v[138:139], v[170:171], v[168:169]
	v_add_f64_e32 v[160:161], v[160:161], v[166:167]
	s_wait_loadcnt_dscnt 0xb00
	v_mul_f64_e32 v[166:167], v[12:13], v[26:27]
	v_mul_f64_e32 v[26:27], v[14:15], v[26:27]
	v_fmac_f64_e32 v[162:163], v[6:7], v[20:21]
	v_fma_f64 v[168:169], v[4:5], v[20:21], -v[22:23]
	ds_load_b128 v[4:7], v2 offset:928
	ds_load_b128 v[20:23], v2 offset:944
	v_add_f64_e32 v[170:171], v[138:139], v[136:137]
	v_add_f64_e32 v[160:161], v[160:161], v[164:165]
	scratch_load_b128 v[136:139], off, off offset:368
	s_wait_loadcnt_dscnt 0xb01
	v_mul_f64_e32 v[164:165], v[4:5], v[30:31]
	v_mul_f64_e32 v[30:31], v[6:7], v[30:31]
	v_fmac_f64_e32 v[166:167], v[14:15], v[24:25]
	v_fma_f64 v[24:25], v[12:13], v[24:25], -v[26:27]
	scratch_load_b128 v[12:15], off, off offset:384
	v_add_f64_e32 v[26:27], v[170:171], v[168:169]
	v_add_f64_e32 v[160:161], v[160:161], v[162:163]
	s_wait_loadcnt_dscnt 0xb00
	v_mul_f64_e32 v[162:163], v[20:21], v[126:127]
	v_mul_f64_e32 v[126:127], v[22:23], v[126:127]
	v_fmac_f64_e32 v[164:165], v[6:7], v[28:29]
	v_fma_f64 v[168:169], v[4:5], v[28:29], -v[30:31]
	v_add_f64_e32 v[170:171], v[26:27], v[24:25]
	v_add_f64_e32 v[160:161], v[160:161], v[166:167]
	ds_load_b128 v[4:7], v2 offset:960
	ds_load_b128 v[24:27], v2 offset:976
	scratch_load_b128 v[28:31], off, off offset:400
	v_fmac_f64_e32 v[162:163], v[22:23], v[124:125]
	v_fma_f64 v[124:125], v[20:21], v[124:125], -v[126:127]
	scratch_load_b128 v[20:23], off, off offset:416
	s_wait_loadcnt_dscnt 0xc01
	v_mul_f64_e32 v[166:167], v[4:5], v[130:131]
	v_mul_f64_e32 v[130:131], v[6:7], v[130:131]
	v_add_f64_e32 v[126:127], v[170:171], v[168:169]
	v_add_f64_e32 v[160:161], v[160:161], v[164:165]
	s_wait_loadcnt_dscnt 0xb00
	v_mul_f64_e32 v[164:165], v[24:25], v[134:135]
	v_mul_f64_e32 v[134:135], v[26:27], v[134:135]
	v_fmac_f64_e32 v[166:167], v[6:7], v[128:129]
	v_fma_f64 v[168:169], v[4:5], v[128:129], -v[130:131]
	v_add_f64_e32 v[170:171], v[126:127], v[124:125]
	v_add_f64_e32 v[160:161], v[160:161], v[162:163]
	ds_load_b128 v[4:7], v2 offset:992
	ds_load_b128 v[124:127], v2 offset:1008
	scratch_load_b128 v[128:131], off, off offset:432
	v_fmac_f64_e32 v[164:165], v[26:27], v[132:133]
	v_fma_f64 v[132:133], v[24:25], v[132:133], -v[134:135]
	scratch_load_b128 v[24:27], off, off offset:448
	s_wait_loadcnt_dscnt 0xc01
	v_mul_f64_e32 v[162:163], v[4:5], v[142:143]
	v_mul_f64_e32 v[142:143], v[6:7], v[142:143]
	;; [unrolled: 18-line block ×5, first 2 shown]
	v_add_f64_e32 v[154:155], v[170:171], v[168:169]
	v_add_f64_e32 v[160:161], v[160:161], v[166:167]
	s_wait_loadcnt_dscnt 0xa00
	v_mul_f64_e32 v[166:167], v[132:133], v[14:15]
	v_mul_f64_e32 v[14:15], v[134:135], v[14:15]
	v_fmac_f64_e32 v[162:163], v[6:7], v[136:137]
	v_fma_f64 v[168:169], v[4:5], v[136:137], -v[138:139]
	ds_load_b128 v[4:7], v2 offset:1120
	ds_load_b128 v[136:139], v2 offset:1136
	v_add_f64_e32 v[170:171], v[154:155], v[152:153]
	v_add_f64_e32 v[160:161], v[160:161], v[164:165]
	scratch_load_b128 v[152:155], off, off offset:560
	v_fmac_f64_e32 v[166:167], v[134:135], v[12:13]
	v_fma_f64 v[132:133], v[132:133], v[12:13], -v[14:15]
	scratch_load_b128 v[12:15], off, off offset:576
	s_wait_loadcnt_dscnt 0xb01
	v_mul_f64_e32 v[164:165], v[4:5], v[30:31]
	v_mul_f64_e32 v[30:31], v[6:7], v[30:31]
	v_add_f64_e32 v[134:135], v[170:171], v[168:169]
	v_add_f64_e32 v[160:161], v[160:161], v[162:163]
	s_wait_loadcnt_dscnt 0xa00
	v_mul_f64_e32 v[162:163], v[136:137], v[22:23]
	v_mul_f64_e32 v[22:23], v[138:139], v[22:23]
	v_fmac_f64_e32 v[164:165], v[6:7], v[28:29]
	v_fma_f64 v[168:169], v[4:5], v[28:29], -v[30:31]
	ds_load_b128 v[4:7], v2 offset:1152
	ds_load_b128 v[28:31], v2 offset:1168
	v_add_f64_e32 v[170:171], v[134:135], v[132:133]
	v_add_f64_e32 v[160:161], v[160:161], v[166:167]
	scratch_load_b128 v[132:135], off, off offset:592
	s_wait_loadcnt_dscnt 0xa01
	v_mul_f64_e32 v[166:167], v[4:5], v[130:131]
	v_mul_f64_e32 v[130:131], v[6:7], v[130:131]
	v_fmac_f64_e32 v[162:163], v[138:139], v[20:21]
	v_fma_f64 v[136:137], v[136:137], v[20:21], -v[22:23]
	scratch_load_b128 v[20:23], off, off offset:608
	v_add_f64_e32 v[138:139], v[170:171], v[168:169]
	v_add_f64_e32 v[160:161], v[160:161], v[164:165]
	s_wait_loadcnt_dscnt 0xa00
	v_mul_f64_e32 v[164:165], v[28:29], v[26:27]
	v_mul_f64_e32 v[26:27], v[30:31], v[26:27]
	v_fmac_f64_e32 v[166:167], v[6:7], v[128:129]
	v_fma_f64 v[168:169], v[4:5], v[128:129], -v[130:131]
	ds_load_b128 v[4:7], v2 offset:1184
	ds_load_b128 v[128:131], v2 offset:1200
	v_add_f64_e32 v[170:171], v[138:139], v[136:137]
	v_add_f64_e32 v[160:161], v[160:161], v[162:163]
	scratch_load_b128 v[136:139], off, off offset:624
	s_wait_loadcnt_dscnt 0xa01
	v_mul_f64_e32 v[162:163], v[4:5], v[142:143]
	v_mul_f64_e32 v[142:143], v[6:7], v[142:143]
	v_fmac_f64_e32 v[164:165], v[30:31], v[24:25]
	v_fma_f64 v[28:29], v[28:29], v[24:25], -v[26:27]
	scratch_load_b128 v[24:27], off, off offset:640
	v_add_f64_e32 v[30:31], v[170:171], v[168:169]
	v_add_f64_e32 v[160:161], v[160:161], v[166:167]
	s_wait_loadcnt_dscnt 0xa00
	v_mul_f64_e32 v[166:167], v[128:129], v[126:127]
	v_mul_f64_e32 v[126:127], v[130:131], v[126:127]
	v_fmac_f64_e32 v[162:163], v[6:7], v[140:141]
	v_fma_f64 v[168:169], v[4:5], v[140:141], -v[142:143]
	v_add_f64_e32 v[170:171], v[30:31], v[28:29]
	v_add_f64_e32 v[160:161], v[160:161], v[164:165]
	ds_load_b128 v[4:7], v2 offset:1216
	ds_load_b128 v[28:31], v2 offset:1232
	scratch_load_b128 v[140:143], off, off offset:656
	v_fmac_f64_e32 v[166:167], v[130:131], v[124:125]
	v_fma_f64 v[128:129], v[128:129], v[124:125], -v[126:127]
	scratch_load_b128 v[124:127], off, off offset:672
	s_wait_loadcnt_dscnt 0xb01
	v_mul_f64_e32 v[164:165], v[4:5], v[158:159]
	v_mul_f64_e32 v[158:159], v[6:7], v[158:159]
	v_add_f64_e32 v[130:131], v[170:171], v[168:169]
	v_add_f64_e32 v[160:161], v[160:161], v[162:163]
	s_wait_loadcnt_dscnt 0xa00
	v_mul_f64_e32 v[162:163], v[28:29], v[10:11]
	v_mul_f64_e32 v[10:11], v[30:31], v[10:11]
	v_fmac_f64_e32 v[164:165], v[6:7], v[156:157]
	v_fma_f64 v[168:169], v[4:5], v[156:157], -v[158:159]
	v_add_f64_e32 v[170:171], v[130:131], v[128:129]
	v_add_f64_e32 v[160:161], v[160:161], v[166:167]
	ds_load_b128 v[4:7], v2 offset:1248
	ds_load_b128 v[128:131], v2 offset:1264
	scratch_load_b128 v[156:159], off, off offset:688
	v_fmac_f64_e32 v[162:163], v[30:31], v[8:9]
	v_fma_f64 v[28:29], v[28:29], v[8:9], -v[10:11]
	scratch_load_b128 v[8:11], off, off offset:704
	s_wait_loadcnt_dscnt 0xb01
	v_mul_f64_e32 v[166:167], v[4:5], v[146:147]
	v_mul_f64_e32 v[146:147], v[6:7], v[146:147]
	v_add_f64_e32 v[30:31], v[170:171], v[168:169]
	v_add_f64_e32 v[160:161], v[160:161], v[164:165]
	s_wait_loadcnt_dscnt 0xa00
	v_mul_f64_e32 v[164:165], v[128:129], v[18:19]
	v_mul_f64_e32 v[18:19], v[130:131], v[18:19]
	v_fmac_f64_e32 v[166:167], v[6:7], v[144:145]
	v_fma_f64 v[144:145], v[4:5], v[144:145], -v[146:147]
	v_add_f64_e32 v[146:147], v[30:31], v[28:29]
	v_add_f64_e32 v[160:161], v[160:161], v[162:163]
	ds_load_b128 v[4:7], v2 offset:1280
	ds_load_b128 v[28:31], v2 offset:1296
	v_fmac_f64_e32 v[164:165], v[130:131], v[16:17]
	v_fma_f64 v[16:17], v[128:129], v[16:17], -v[18:19]
	s_wait_loadcnt_dscnt 0x901
	v_mul_f64_e32 v[162:163], v[4:5], v[154:155]
	v_mul_f64_e32 v[154:155], v[6:7], v[154:155]
	s_wait_loadcnt_dscnt 0x800
	v_mul_f64_e32 v[130:131], v[28:29], v[14:15]
	v_add_f64_e32 v[18:19], v[146:147], v[144:145]
	v_add_f64_e32 v[128:129], v[160:161], v[166:167]
	v_mul_f64_e32 v[144:145], v[30:31], v[14:15]
	v_fmac_f64_e32 v[162:163], v[6:7], v[152:153]
	v_fma_f64 v[146:147], v[4:5], v[152:153], -v[154:155]
	v_fmac_f64_e32 v[130:131], v[30:31], v[12:13]
	v_add_f64_e32 v[18:19], v[18:19], v[16:17]
	v_add_f64_e32 v[128:129], v[128:129], v[164:165]
	ds_load_b128 v[4:7], v2 offset:1312
	ds_load_b128 v[14:17], v2 offset:1328
	v_fma_f64 v[12:13], v[28:29], v[12:13], -v[144:145]
	s_wait_loadcnt_dscnt 0x701
	v_mul_f64_e32 v[152:153], v[4:5], v[134:135]
	v_mul_f64_e32 v[134:135], v[6:7], v[134:135]
	v_add_f64_e32 v[18:19], v[18:19], v[146:147]
	v_add_f64_e32 v[28:29], v[128:129], v[162:163]
	s_wait_loadcnt_dscnt 0x600
	v_mul_f64_e32 v[128:129], v[14:15], v[22:23]
	v_mul_f64_e32 v[22:23], v[16:17], v[22:23]
	v_fmac_f64_e32 v[152:153], v[6:7], v[132:133]
	v_fma_f64 v[132:133], v[4:5], v[132:133], -v[134:135]
	v_add_f64_e32 v[12:13], v[18:19], v[12:13]
	v_add_f64_e32 v[18:19], v[28:29], v[130:131]
	ds_load_b128 v[4:7], v2 offset:1344
	ds_load_b128 v[28:31], v2 offset:1360
	v_fmac_f64_e32 v[128:129], v[16:17], v[20:21]
	v_fma_f64 v[14:15], v[14:15], v[20:21], -v[22:23]
	s_wait_loadcnt_dscnt 0x501
	v_mul_f64_e32 v[130:131], v[4:5], v[138:139]
	v_mul_f64_e32 v[134:135], v[6:7], v[138:139]
	s_wait_loadcnt_dscnt 0x400
	v_mul_f64_e32 v[20:21], v[30:31], v[26:27]
	v_add_f64_e32 v[12:13], v[12:13], v[132:133]
	v_add_f64_e32 v[16:17], v[18:19], v[152:153]
	v_mul_f64_e32 v[18:19], v[28:29], v[26:27]
	v_fmac_f64_e32 v[130:131], v[6:7], v[136:137]
	v_fma_f64 v[22:23], v[4:5], v[136:137], -v[134:135]
	v_fma_f64 v[20:21], v[28:29], v[24:25], -v[20:21]
	v_add_f64_e32 v[26:27], v[12:13], v[14:15]
	v_add_f64_e32 v[16:17], v[16:17], v[128:129]
	ds_load_b128 v[4:7], v2 offset:1376
	ds_load_b128 v[12:15], v2 offset:1392
	v_fmac_f64_e32 v[18:19], v[30:31], v[24:25]
	s_wait_loadcnt_dscnt 0x301
	v_mul_f64_e32 v[128:129], v[4:5], v[142:143]
	v_mul_f64_e32 v[132:133], v[6:7], v[142:143]
	s_wait_loadcnt_dscnt 0x200
	v_mul_f64_e32 v[24:25], v[12:13], v[126:127]
	v_add_f64_e32 v[22:23], v[26:27], v[22:23]
	v_add_f64_e32 v[16:17], v[16:17], v[130:131]
	v_mul_f64_e32 v[26:27], v[14:15], v[126:127]
	v_fmac_f64_e32 v[128:129], v[6:7], v[140:141]
	v_fma_f64 v[28:29], v[4:5], v[140:141], -v[132:133]
	v_fmac_f64_e32 v[24:25], v[14:15], v[124:125]
	v_add_f64_e32 v[20:21], v[22:23], v[20:21]
	v_add_f64_e32 v[22:23], v[16:17], v[18:19]
	ds_load_b128 v[4:7], v2 offset:1408
	ds_load_b128 v[16:19], v2 offset:1424
	v_fma_f64 v[12:13], v[12:13], v[124:125], -v[26:27]
	s_wait_loadcnt_dscnt 0x101
	v_mul_f64_e32 v[2:3], v[4:5], v[158:159]
	v_mul_f64_e32 v[30:31], v[6:7], v[158:159]
	v_add_f64_e32 v[14:15], v[20:21], v[28:29]
	v_add_f64_e32 v[20:21], v[22:23], v[128:129]
	s_wait_loadcnt_dscnt 0x0
	v_mul_f64_e32 v[22:23], v[16:17], v[10:11]
	v_mul_f64_e32 v[10:11], v[18:19], v[10:11]
	v_fmac_f64_e32 v[2:3], v[6:7], v[156:157]
	v_fma_f64 v[4:5], v[4:5], v[156:157], -v[30:31]
	v_add_f64_e32 v[6:7], v[14:15], v[12:13]
	v_add_f64_e32 v[12:13], v[20:21], v[24:25]
	v_fmac_f64_e32 v[22:23], v[18:19], v[8:9]
	v_fma_f64 v[8:9], v[16:17], v[8:9], -v[10:11]
	s_delay_alu instid0(VALU_DEP_4) | instskip(NEXT) | instid1(VALU_DEP_4)
	v_add_f64_e32 v[4:5], v[6:7], v[4:5]
	v_add_f64_e32 v[2:3], v[12:13], v[2:3]
	s_delay_alu instid0(VALU_DEP_2) | instskip(NEXT) | instid1(VALU_DEP_2)
	v_add_f64_e32 v[4:5], v[4:5], v[8:9]
	v_add_f64_e32 v[6:7], v[2:3], v[22:23]
	s_delay_alu instid0(VALU_DEP_2) | instskip(NEXT) | instid1(VALU_DEP_2)
	v_add_f64_e64 v[2:3], v[148:149], -v[4:5]
	v_add_f64_e64 v[4:5], v[150:151], -v[6:7]
	scratch_store_b128 off, v[2:5], off offset:96
	s_wait_xcnt 0x0
	v_cmpx_lt_u32_e32 5, v1
	s_cbranch_execz .LBB44_273
; %bb.272:
	scratch_load_b128 v[2:5], off, s48
	v_mov_b32_e32 v6, 0
	s_delay_alu instid0(VALU_DEP_1)
	v_dual_mov_b32 v7, v6 :: v_dual_mov_b32 v8, v6
	v_mov_b32_e32 v9, v6
	scratch_store_b128 off, v[6:9], off offset:80
	s_wait_loadcnt 0x0
	ds_store_b128 v122, v[2:5]
.LBB44_273:
	s_wait_xcnt 0x0
	s_or_b32 exec_lo, exec_lo, s2
	s_wait_storecnt_dscnt 0x0
	s_barrier_signal -1
	s_barrier_wait -1
	s_clause 0x9
	scratch_load_b128 v[4:7], off, off offset:96
	scratch_load_b128 v[8:11], off, off offset:112
	;; [unrolled: 1-line block ×10, first 2 shown]
	v_mov_b32_e32 v2, 0
	s_mov_b32 s2, exec_lo
	ds_load_b128 v[136:139], v2 offset:816
	s_clause 0x2
	scratch_load_b128 v[140:143], off, off offset:256
	scratch_load_b128 v[144:147], off, off offset:80
	;; [unrolled: 1-line block ×3, first 2 shown]
	s_wait_loadcnt_dscnt 0xc00
	v_mul_f64_e32 v[156:157], v[138:139], v[6:7]
	v_mul_f64_e32 v[160:161], v[136:137], v[6:7]
	ds_load_b128 v[148:151], v2 offset:832
	v_fma_f64 v[164:165], v[136:137], v[4:5], -v[156:157]
	v_fmac_f64_e32 v[160:161], v[138:139], v[4:5]
	ds_load_b128 v[4:7], v2 offset:848
	s_wait_loadcnt_dscnt 0xb01
	v_mul_f64_e32 v[162:163], v[148:149], v[10:11]
	v_mul_f64_e32 v[10:11], v[150:151], v[10:11]
	scratch_load_b128 v[136:139], off, off offset:288
	ds_load_b128 v[156:159], v2 offset:864
	s_wait_loadcnt_dscnt 0xb01
	v_mul_f64_e32 v[166:167], v[4:5], v[14:15]
	v_mul_f64_e32 v[14:15], v[6:7], v[14:15]
	v_add_f64_e32 v[160:161], 0, v[160:161]
	v_fmac_f64_e32 v[162:163], v[150:151], v[8:9]
	v_fma_f64 v[148:149], v[148:149], v[8:9], -v[10:11]
	v_add_f64_e32 v[150:151], 0, v[164:165]
	scratch_load_b128 v[8:11], off, off offset:304
	v_fmac_f64_e32 v[166:167], v[6:7], v[12:13]
	v_fma_f64 v[168:169], v[4:5], v[12:13], -v[14:15]
	ds_load_b128 v[4:7], v2 offset:880
	s_wait_loadcnt_dscnt 0xb01
	v_mul_f64_e32 v[164:165], v[156:157], v[18:19]
	v_mul_f64_e32 v[18:19], v[158:159], v[18:19]
	scratch_load_b128 v[12:15], off, off offset:320
	v_add_f64_e32 v[160:161], v[160:161], v[162:163]
	v_add_f64_e32 v[170:171], v[150:151], v[148:149]
	ds_load_b128 v[148:151], v2 offset:896
	s_wait_loadcnt_dscnt 0xb01
	v_mul_f64_e32 v[162:163], v[4:5], v[22:23]
	v_mul_f64_e32 v[22:23], v[6:7], v[22:23]
	v_fmac_f64_e32 v[164:165], v[158:159], v[16:17]
	v_fma_f64 v[156:157], v[156:157], v[16:17], -v[18:19]
	scratch_load_b128 v[16:19], off, off offset:336
	v_add_f64_e32 v[160:161], v[160:161], v[166:167]
	v_add_f64_e32 v[158:159], v[170:171], v[168:169]
	v_fmac_f64_e32 v[162:163], v[6:7], v[20:21]
	v_fma_f64 v[168:169], v[4:5], v[20:21], -v[22:23]
	ds_load_b128 v[4:7], v2 offset:912
	s_wait_loadcnt_dscnt 0xb01
	v_mul_f64_e32 v[166:167], v[148:149], v[26:27]
	v_mul_f64_e32 v[26:27], v[150:151], v[26:27]
	scratch_load_b128 v[20:23], off, off offset:352
	v_add_f64_e32 v[160:161], v[160:161], v[164:165]
	s_wait_loadcnt_dscnt 0xb00
	v_mul_f64_e32 v[164:165], v[4:5], v[30:31]
	v_add_f64_e32 v[170:171], v[158:159], v[156:157]
	v_mul_f64_e32 v[30:31], v[6:7], v[30:31]
	ds_load_b128 v[156:159], v2 offset:928
	v_fmac_f64_e32 v[166:167], v[150:151], v[24:25]
	v_fma_f64 v[148:149], v[148:149], v[24:25], -v[26:27]
	scratch_load_b128 v[24:27], off, off offset:368
	v_add_f64_e32 v[160:161], v[160:161], v[162:163]
	v_fmac_f64_e32 v[164:165], v[6:7], v[28:29]
	v_add_f64_e32 v[150:151], v[170:171], v[168:169]
	v_fma_f64 v[168:169], v[4:5], v[28:29], -v[30:31]
	ds_load_b128 v[4:7], v2 offset:944
	s_wait_loadcnt_dscnt 0xb01
	v_mul_f64_e32 v[162:163], v[156:157], v[126:127]
	v_mul_f64_e32 v[126:127], v[158:159], v[126:127]
	scratch_load_b128 v[28:31], off, off offset:384
	v_add_f64_e32 v[160:161], v[160:161], v[166:167]
	s_wait_loadcnt_dscnt 0xb00
	v_mul_f64_e32 v[166:167], v[4:5], v[130:131]
	v_add_f64_e32 v[170:171], v[150:151], v[148:149]
	v_mul_f64_e32 v[130:131], v[6:7], v[130:131]
	ds_load_b128 v[148:151], v2 offset:960
	v_fmac_f64_e32 v[162:163], v[158:159], v[124:125]
	v_fma_f64 v[156:157], v[156:157], v[124:125], -v[126:127]
	scratch_load_b128 v[124:127], off, off offset:400
	v_add_f64_e32 v[160:161], v[160:161], v[164:165]
	v_fmac_f64_e32 v[166:167], v[6:7], v[128:129]
	v_add_f64_e32 v[158:159], v[170:171], v[168:169]
	v_fma_f64 v[168:169], v[4:5], v[128:129], -v[130:131]
	ds_load_b128 v[4:7], v2 offset:976
	s_wait_loadcnt_dscnt 0xb01
	v_mul_f64_e32 v[164:165], v[148:149], v[134:135]
	v_mul_f64_e32 v[134:135], v[150:151], v[134:135]
	scratch_load_b128 v[128:131], off, off offset:416
	v_add_f64_e32 v[160:161], v[160:161], v[162:163]
	s_wait_loadcnt_dscnt 0xb00
	v_mul_f64_e32 v[162:163], v[4:5], v[142:143]
	v_add_f64_e32 v[170:171], v[158:159], v[156:157]
	v_mul_f64_e32 v[142:143], v[6:7], v[142:143]
	ds_load_b128 v[156:159], v2 offset:992
	v_fmac_f64_e32 v[164:165], v[150:151], v[132:133]
	v_fma_f64 v[148:149], v[148:149], v[132:133], -v[134:135]
	scratch_load_b128 v[132:135], off, off offset:432
	v_add_f64_e32 v[160:161], v[160:161], v[166:167]
	v_fmac_f64_e32 v[162:163], v[6:7], v[140:141]
	v_add_f64_e32 v[150:151], v[170:171], v[168:169]
	v_fma_f64 v[168:169], v[4:5], v[140:141], -v[142:143]
	ds_load_b128 v[4:7], v2 offset:1008
	s_wait_loadcnt_dscnt 0xa01
	v_mul_f64_e32 v[166:167], v[156:157], v[154:155]
	v_mul_f64_e32 v[154:155], v[158:159], v[154:155]
	scratch_load_b128 v[140:143], off, off offset:448
	v_add_f64_e32 v[160:161], v[160:161], v[164:165]
	v_add_f64_e32 v[170:171], v[150:151], v[148:149]
	s_wait_loadcnt_dscnt 0xa00
	v_mul_f64_e32 v[164:165], v[4:5], v[138:139]
	v_mul_f64_e32 v[138:139], v[6:7], v[138:139]
	v_fmac_f64_e32 v[166:167], v[158:159], v[152:153]
	v_fma_f64 v[156:157], v[156:157], v[152:153], -v[154:155]
	ds_load_b128 v[148:151], v2 offset:1024
	scratch_load_b128 v[152:155], off, off offset:464
	v_add_f64_e32 v[160:161], v[160:161], v[162:163]
	v_add_f64_e32 v[158:159], v[170:171], v[168:169]
	v_fmac_f64_e32 v[164:165], v[6:7], v[136:137]
	v_fma_f64 v[168:169], v[4:5], v[136:137], -v[138:139]
	ds_load_b128 v[4:7], v2 offset:1040
	s_wait_loadcnt_dscnt 0xa01
	v_mul_f64_e32 v[162:163], v[148:149], v[10:11]
	v_mul_f64_e32 v[10:11], v[150:151], v[10:11]
	scratch_load_b128 v[136:139], off, off offset:480
	v_add_f64_e32 v[160:161], v[160:161], v[166:167]
	s_wait_loadcnt_dscnt 0xa00
	v_mul_f64_e32 v[166:167], v[4:5], v[14:15]
	v_add_f64_e32 v[170:171], v[158:159], v[156:157]
	v_mul_f64_e32 v[14:15], v[6:7], v[14:15]
	ds_load_b128 v[156:159], v2 offset:1056
	v_fmac_f64_e32 v[162:163], v[150:151], v[8:9]
	v_fma_f64 v[148:149], v[148:149], v[8:9], -v[10:11]
	scratch_load_b128 v[8:11], off, off offset:496
	v_add_f64_e32 v[160:161], v[160:161], v[164:165]
	v_fmac_f64_e32 v[166:167], v[6:7], v[12:13]
	v_add_f64_e32 v[150:151], v[170:171], v[168:169]
	v_fma_f64 v[168:169], v[4:5], v[12:13], -v[14:15]
	ds_load_b128 v[4:7], v2 offset:1072
	s_wait_loadcnt_dscnt 0xa01
	v_mul_f64_e32 v[164:165], v[156:157], v[18:19]
	v_mul_f64_e32 v[18:19], v[158:159], v[18:19]
	scratch_load_b128 v[12:15], off, off offset:512
	v_add_f64_e32 v[160:161], v[160:161], v[162:163]
	s_wait_loadcnt_dscnt 0xa00
	v_mul_f64_e32 v[162:163], v[4:5], v[22:23]
	v_add_f64_e32 v[170:171], v[150:151], v[148:149]
	v_mul_f64_e32 v[22:23], v[6:7], v[22:23]
	ds_load_b128 v[148:151], v2 offset:1088
	v_fmac_f64_e32 v[164:165], v[158:159], v[16:17]
	v_fma_f64 v[156:157], v[156:157], v[16:17], -v[18:19]
	scratch_load_b128 v[16:19], off, off offset:528
	v_add_f64_e32 v[160:161], v[160:161], v[166:167]
	v_fmac_f64_e32 v[162:163], v[6:7], v[20:21]
	v_add_f64_e32 v[158:159], v[170:171], v[168:169]
	;; [unrolled: 18-line block ×7, first 2 shown]
	v_fma_f64 v[168:169], v[4:5], v[12:13], -v[14:15]
	ds_load_b128 v[4:7], v2 offset:1264
	s_wait_loadcnt_dscnt 0xa01
	v_mul_f64_e32 v[164:165], v[156:157], v[18:19]
	v_mul_f64_e32 v[18:19], v[158:159], v[18:19]
	scratch_load_b128 v[12:15], off, off offset:704
	v_add_f64_e32 v[160:161], v[160:161], v[162:163]
	s_wait_loadcnt_dscnt 0xa00
	v_mul_f64_e32 v[162:163], v[4:5], v[22:23]
	v_add_f64_e32 v[170:171], v[150:151], v[148:149]
	v_mul_f64_e32 v[22:23], v[6:7], v[22:23]
	ds_load_b128 v[148:151], v2 offset:1280
	v_fmac_f64_e32 v[164:165], v[158:159], v[16:17]
	v_fma_f64 v[16:17], v[156:157], v[16:17], -v[18:19]
	s_wait_loadcnt_dscnt 0x900
	v_mul_f64_e32 v[158:159], v[148:149], v[26:27]
	v_mul_f64_e32 v[26:27], v[150:151], v[26:27]
	v_add_f64_e32 v[156:157], v[160:161], v[166:167]
	v_fmac_f64_e32 v[162:163], v[6:7], v[20:21]
	v_add_f64_e32 v[18:19], v[170:171], v[168:169]
	v_fma_f64 v[20:21], v[4:5], v[20:21], -v[22:23]
	v_fmac_f64_e32 v[158:159], v[150:151], v[24:25]
	v_fma_f64 v[24:25], v[148:149], v[24:25], -v[26:27]
	v_add_f64_e32 v[156:157], v[156:157], v[164:165]
	v_add_f64_e32 v[22:23], v[18:19], v[16:17]
	ds_load_b128 v[4:7], v2 offset:1296
	ds_load_b128 v[16:19], v2 offset:1312
	s_wait_loadcnt_dscnt 0x801
	v_mul_f64_e32 v[160:161], v[4:5], v[30:31]
	v_mul_f64_e32 v[30:31], v[6:7], v[30:31]
	s_wait_loadcnt_dscnt 0x700
	v_mul_f64_e32 v[26:27], v[16:17], v[126:127]
	v_mul_f64_e32 v[126:127], v[18:19], v[126:127]
	v_add_f64_e32 v[20:21], v[22:23], v[20:21]
	v_add_f64_e32 v[22:23], v[156:157], v[162:163]
	v_fmac_f64_e32 v[160:161], v[6:7], v[28:29]
	v_fma_f64 v[28:29], v[4:5], v[28:29], -v[30:31]
	v_fmac_f64_e32 v[26:27], v[18:19], v[124:125]
	v_fma_f64 v[16:17], v[16:17], v[124:125], -v[126:127]
	v_add_f64_e32 v[24:25], v[20:21], v[24:25]
	v_add_f64_e32 v[30:31], v[22:23], v[158:159]
	ds_load_b128 v[4:7], v2 offset:1328
	ds_load_b128 v[20:23], v2 offset:1344
	s_wait_loadcnt_dscnt 0x601
	v_mul_f64_e32 v[148:149], v[4:5], v[130:131]
	v_mul_f64_e32 v[130:131], v[6:7], v[130:131]
	v_add_f64_e32 v[18:19], v[24:25], v[28:29]
	v_add_f64_e32 v[24:25], v[30:31], v[160:161]
	s_wait_loadcnt_dscnt 0x500
	v_mul_f64_e32 v[28:29], v[20:21], v[134:135]
	v_mul_f64_e32 v[30:31], v[22:23], v[134:135]
	v_fmac_f64_e32 v[148:149], v[6:7], v[128:129]
	v_fma_f64 v[124:125], v[4:5], v[128:129], -v[130:131]
	v_add_f64_e32 v[126:127], v[18:19], v[16:17]
	v_add_f64_e32 v[24:25], v[24:25], v[26:27]
	ds_load_b128 v[4:7], v2 offset:1360
	ds_load_b128 v[16:19], v2 offset:1376
	v_fmac_f64_e32 v[28:29], v[22:23], v[132:133]
	v_fma_f64 v[20:21], v[20:21], v[132:133], -v[30:31]
	s_wait_loadcnt_dscnt 0x401
	v_mul_f64_e32 v[26:27], v[4:5], v[142:143]
	v_mul_f64_e32 v[128:129], v[6:7], v[142:143]
	s_wait_loadcnt_dscnt 0x300
	v_mul_f64_e32 v[30:31], v[16:17], v[154:155]
	v_add_f64_e32 v[22:23], v[126:127], v[124:125]
	v_add_f64_e32 v[24:25], v[24:25], v[148:149]
	v_mul_f64_e32 v[124:125], v[18:19], v[154:155]
	v_fmac_f64_e32 v[26:27], v[6:7], v[140:141]
	v_fma_f64 v[126:127], v[4:5], v[140:141], -v[128:129]
	v_fmac_f64_e32 v[30:31], v[18:19], v[152:153]
	v_add_f64_e32 v[128:129], v[22:23], v[20:21]
	v_add_f64_e32 v[24:25], v[24:25], v[28:29]
	ds_load_b128 v[4:7], v2 offset:1392
	ds_load_b128 v[20:23], v2 offset:1408
	v_fma_f64 v[16:17], v[16:17], v[152:153], -v[124:125]
	s_wait_loadcnt_dscnt 0x201
	v_mul_f64_e32 v[28:29], v[4:5], v[138:139]
	v_mul_f64_e32 v[130:131], v[6:7], v[138:139]
	v_add_f64_e32 v[18:19], v[128:129], v[126:127]
	v_add_f64_e32 v[24:25], v[24:25], v[26:27]
	s_wait_loadcnt_dscnt 0x100
	v_mul_f64_e32 v[26:27], v[20:21], v[10:11]
	v_mul_f64_e32 v[10:11], v[22:23], v[10:11]
	v_fmac_f64_e32 v[28:29], v[6:7], v[136:137]
	v_fma_f64 v[124:125], v[4:5], v[136:137], -v[130:131]
	ds_load_b128 v[4:7], v2 offset:1424
	v_add_f64_e32 v[16:17], v[18:19], v[16:17]
	v_add_f64_e32 v[18:19], v[24:25], v[30:31]
	v_fmac_f64_e32 v[26:27], v[22:23], v[8:9]
	v_fma_f64 v[8:9], v[20:21], v[8:9], -v[10:11]
	s_wait_loadcnt_dscnt 0x0
	v_mul_f64_e32 v[24:25], v[4:5], v[14:15]
	v_mul_f64_e32 v[14:15], v[6:7], v[14:15]
	v_add_f64_e32 v[10:11], v[16:17], v[124:125]
	v_add_f64_e32 v[16:17], v[18:19], v[28:29]
	s_delay_alu instid0(VALU_DEP_4) | instskip(NEXT) | instid1(VALU_DEP_4)
	v_fmac_f64_e32 v[24:25], v[6:7], v[12:13]
	v_fma_f64 v[4:5], v[4:5], v[12:13], -v[14:15]
	s_delay_alu instid0(VALU_DEP_4) | instskip(NEXT) | instid1(VALU_DEP_4)
	v_add_f64_e32 v[6:7], v[10:11], v[8:9]
	v_add_f64_e32 v[8:9], v[16:17], v[26:27]
	s_delay_alu instid0(VALU_DEP_2) | instskip(NEXT) | instid1(VALU_DEP_2)
	v_add_f64_e32 v[4:5], v[6:7], v[4:5]
	v_add_f64_e32 v[6:7], v[8:9], v[24:25]
	s_delay_alu instid0(VALU_DEP_2) | instskip(NEXT) | instid1(VALU_DEP_2)
	v_add_f64_e64 v[4:5], v[144:145], -v[4:5]
	v_add_f64_e64 v[6:7], v[146:147], -v[6:7]
	scratch_store_b128 off, v[4:7], off offset:80
	s_wait_xcnt 0x0
	v_cmpx_lt_u32_e32 4, v1
	s_cbranch_execz .LBB44_275
; %bb.274:
	scratch_load_b128 v[6:9], off, s43
	v_dual_mov_b32 v3, v2 :: v_dual_mov_b32 v4, v2
	v_mov_b32_e32 v5, v2
	scratch_store_b128 off, v[2:5], off offset:64
	s_wait_loadcnt 0x0
	ds_store_b128 v122, v[6:9]
.LBB44_275:
	s_wait_xcnt 0x0
	s_or_b32 exec_lo, exec_lo, s2
	s_wait_storecnt_dscnt 0x0
	s_barrier_signal -1
	s_barrier_wait -1
	s_clause 0x9
	scratch_load_b128 v[4:7], off, off offset:80
	scratch_load_b128 v[8:11], off, off offset:96
	;; [unrolled: 1-line block ×10, first 2 shown]
	ds_load_b128 v[136:139], v2 offset:800
	ds_load_b128 v[144:147], v2 offset:816
	s_clause 0x2
	scratch_load_b128 v[140:143], off, off offset:240
	scratch_load_b128 v[148:151], off, off offset:64
	;; [unrolled: 1-line block ×3, first 2 shown]
	s_mov_b32 s2, exec_lo
	s_wait_loadcnt_dscnt 0xc01
	v_mul_f64_e32 v[156:157], v[138:139], v[6:7]
	v_mul_f64_e32 v[160:161], v[136:137], v[6:7]
	s_wait_loadcnt_dscnt 0xb00
	v_mul_f64_e32 v[162:163], v[144:145], v[10:11]
	v_mul_f64_e32 v[10:11], v[146:147], v[10:11]
	s_delay_alu instid0(VALU_DEP_4) | instskip(NEXT) | instid1(VALU_DEP_4)
	v_fma_f64 v[164:165], v[136:137], v[4:5], -v[156:157]
	v_fmac_f64_e32 v[160:161], v[138:139], v[4:5]
	ds_load_b128 v[4:7], v2 offset:832
	ds_load_b128 v[136:139], v2 offset:848
	scratch_load_b128 v[156:159], off, off offset:272
	v_fmac_f64_e32 v[162:163], v[146:147], v[8:9]
	v_fma_f64 v[144:145], v[144:145], v[8:9], -v[10:11]
	scratch_load_b128 v[8:11], off, off offset:288
	s_wait_loadcnt_dscnt 0xc01
	v_mul_f64_e32 v[166:167], v[4:5], v[14:15]
	v_mul_f64_e32 v[14:15], v[6:7], v[14:15]
	v_add_f64_e32 v[146:147], 0, v[164:165]
	v_add_f64_e32 v[160:161], 0, v[160:161]
	s_wait_loadcnt_dscnt 0xb00
	v_mul_f64_e32 v[164:165], v[136:137], v[18:19]
	v_mul_f64_e32 v[18:19], v[138:139], v[18:19]
	v_fmac_f64_e32 v[166:167], v[6:7], v[12:13]
	v_fma_f64 v[168:169], v[4:5], v[12:13], -v[14:15]
	ds_load_b128 v[4:7], v2 offset:864
	ds_load_b128 v[12:15], v2 offset:880
	v_add_f64_e32 v[170:171], v[146:147], v[144:145]
	v_add_f64_e32 v[160:161], v[160:161], v[162:163]
	scratch_load_b128 v[144:147], off, off offset:304
	v_fmac_f64_e32 v[164:165], v[138:139], v[16:17]
	v_fma_f64 v[136:137], v[136:137], v[16:17], -v[18:19]
	scratch_load_b128 v[16:19], off, off offset:320
	s_wait_loadcnt_dscnt 0xc01
	v_mul_f64_e32 v[162:163], v[4:5], v[22:23]
	v_mul_f64_e32 v[22:23], v[6:7], v[22:23]
	v_add_f64_e32 v[138:139], v[170:171], v[168:169]
	v_add_f64_e32 v[160:161], v[160:161], v[166:167]
	s_wait_loadcnt_dscnt 0xb00
	v_mul_f64_e32 v[166:167], v[12:13], v[26:27]
	v_mul_f64_e32 v[26:27], v[14:15], v[26:27]
	v_fmac_f64_e32 v[162:163], v[6:7], v[20:21]
	v_fma_f64 v[168:169], v[4:5], v[20:21], -v[22:23]
	ds_load_b128 v[4:7], v2 offset:896
	ds_load_b128 v[20:23], v2 offset:912
	v_add_f64_e32 v[170:171], v[138:139], v[136:137]
	v_add_f64_e32 v[160:161], v[160:161], v[164:165]
	scratch_load_b128 v[136:139], off, off offset:336
	s_wait_loadcnt_dscnt 0xb01
	v_mul_f64_e32 v[164:165], v[4:5], v[30:31]
	v_mul_f64_e32 v[30:31], v[6:7], v[30:31]
	v_fmac_f64_e32 v[166:167], v[14:15], v[24:25]
	v_fma_f64 v[24:25], v[12:13], v[24:25], -v[26:27]
	scratch_load_b128 v[12:15], off, off offset:352
	v_add_f64_e32 v[26:27], v[170:171], v[168:169]
	v_add_f64_e32 v[160:161], v[160:161], v[162:163]
	s_wait_loadcnt_dscnt 0xb00
	v_mul_f64_e32 v[162:163], v[20:21], v[126:127]
	v_mul_f64_e32 v[126:127], v[22:23], v[126:127]
	v_fmac_f64_e32 v[164:165], v[6:7], v[28:29]
	v_fma_f64 v[168:169], v[4:5], v[28:29], -v[30:31]
	v_add_f64_e32 v[170:171], v[26:27], v[24:25]
	v_add_f64_e32 v[160:161], v[160:161], v[166:167]
	ds_load_b128 v[4:7], v2 offset:928
	ds_load_b128 v[24:27], v2 offset:944
	scratch_load_b128 v[28:31], off, off offset:368
	v_fmac_f64_e32 v[162:163], v[22:23], v[124:125]
	v_fma_f64 v[124:125], v[20:21], v[124:125], -v[126:127]
	scratch_load_b128 v[20:23], off, off offset:384
	s_wait_loadcnt_dscnt 0xc01
	v_mul_f64_e32 v[166:167], v[4:5], v[130:131]
	v_mul_f64_e32 v[130:131], v[6:7], v[130:131]
	v_add_f64_e32 v[126:127], v[170:171], v[168:169]
	v_add_f64_e32 v[160:161], v[160:161], v[164:165]
	s_wait_loadcnt_dscnt 0xb00
	v_mul_f64_e32 v[164:165], v[24:25], v[134:135]
	v_mul_f64_e32 v[134:135], v[26:27], v[134:135]
	v_fmac_f64_e32 v[166:167], v[6:7], v[128:129]
	v_fma_f64 v[168:169], v[4:5], v[128:129], -v[130:131]
	v_add_f64_e32 v[170:171], v[126:127], v[124:125]
	v_add_f64_e32 v[160:161], v[160:161], v[162:163]
	ds_load_b128 v[4:7], v2 offset:960
	ds_load_b128 v[124:127], v2 offset:976
	scratch_load_b128 v[128:131], off, off offset:400
	v_fmac_f64_e32 v[164:165], v[26:27], v[132:133]
	v_fma_f64 v[132:133], v[24:25], v[132:133], -v[134:135]
	scratch_load_b128 v[24:27], off, off offset:416
	s_wait_loadcnt_dscnt 0xc01
	v_mul_f64_e32 v[162:163], v[4:5], v[142:143]
	v_mul_f64_e32 v[142:143], v[6:7], v[142:143]
	;; [unrolled: 18-line block ×5, first 2 shown]
	v_add_f64_e32 v[154:155], v[170:171], v[168:169]
	v_add_f64_e32 v[160:161], v[160:161], v[166:167]
	s_wait_loadcnt_dscnt 0xa00
	v_mul_f64_e32 v[166:167], v[132:133], v[14:15]
	v_mul_f64_e32 v[14:15], v[134:135], v[14:15]
	v_fmac_f64_e32 v[162:163], v[6:7], v[136:137]
	v_fma_f64 v[168:169], v[4:5], v[136:137], -v[138:139]
	ds_load_b128 v[4:7], v2 offset:1088
	ds_load_b128 v[136:139], v2 offset:1104
	v_add_f64_e32 v[170:171], v[154:155], v[152:153]
	v_add_f64_e32 v[160:161], v[160:161], v[164:165]
	scratch_load_b128 v[152:155], off, off offset:528
	v_fmac_f64_e32 v[166:167], v[134:135], v[12:13]
	v_fma_f64 v[132:133], v[132:133], v[12:13], -v[14:15]
	scratch_load_b128 v[12:15], off, off offset:544
	s_wait_loadcnt_dscnt 0xb01
	v_mul_f64_e32 v[164:165], v[4:5], v[30:31]
	v_mul_f64_e32 v[30:31], v[6:7], v[30:31]
	v_add_f64_e32 v[134:135], v[170:171], v[168:169]
	v_add_f64_e32 v[160:161], v[160:161], v[162:163]
	s_wait_loadcnt_dscnt 0xa00
	v_mul_f64_e32 v[162:163], v[136:137], v[22:23]
	v_mul_f64_e32 v[22:23], v[138:139], v[22:23]
	v_fmac_f64_e32 v[164:165], v[6:7], v[28:29]
	v_fma_f64 v[168:169], v[4:5], v[28:29], -v[30:31]
	ds_load_b128 v[4:7], v2 offset:1120
	ds_load_b128 v[28:31], v2 offset:1136
	v_add_f64_e32 v[170:171], v[134:135], v[132:133]
	v_add_f64_e32 v[160:161], v[160:161], v[166:167]
	scratch_load_b128 v[132:135], off, off offset:560
	s_wait_loadcnt_dscnt 0xa01
	v_mul_f64_e32 v[166:167], v[4:5], v[130:131]
	v_mul_f64_e32 v[130:131], v[6:7], v[130:131]
	v_fmac_f64_e32 v[162:163], v[138:139], v[20:21]
	v_fma_f64 v[136:137], v[136:137], v[20:21], -v[22:23]
	scratch_load_b128 v[20:23], off, off offset:576
	v_add_f64_e32 v[138:139], v[170:171], v[168:169]
	v_add_f64_e32 v[160:161], v[160:161], v[164:165]
	s_wait_loadcnt_dscnt 0xa00
	v_mul_f64_e32 v[164:165], v[28:29], v[26:27]
	v_mul_f64_e32 v[26:27], v[30:31], v[26:27]
	v_fmac_f64_e32 v[166:167], v[6:7], v[128:129]
	v_fma_f64 v[168:169], v[4:5], v[128:129], -v[130:131]
	ds_load_b128 v[4:7], v2 offset:1152
	ds_load_b128 v[128:131], v2 offset:1168
	v_add_f64_e32 v[170:171], v[138:139], v[136:137]
	v_add_f64_e32 v[160:161], v[160:161], v[162:163]
	scratch_load_b128 v[136:139], off, off offset:592
	s_wait_loadcnt_dscnt 0xa01
	v_mul_f64_e32 v[162:163], v[4:5], v[142:143]
	v_mul_f64_e32 v[142:143], v[6:7], v[142:143]
	v_fmac_f64_e32 v[164:165], v[30:31], v[24:25]
	v_fma_f64 v[28:29], v[28:29], v[24:25], -v[26:27]
	scratch_load_b128 v[24:27], off, off offset:608
	v_add_f64_e32 v[30:31], v[170:171], v[168:169]
	v_add_f64_e32 v[160:161], v[160:161], v[166:167]
	s_wait_loadcnt_dscnt 0xa00
	v_mul_f64_e32 v[166:167], v[128:129], v[126:127]
	v_mul_f64_e32 v[126:127], v[130:131], v[126:127]
	v_fmac_f64_e32 v[162:163], v[6:7], v[140:141]
	v_fma_f64 v[168:169], v[4:5], v[140:141], -v[142:143]
	v_add_f64_e32 v[170:171], v[30:31], v[28:29]
	v_add_f64_e32 v[160:161], v[160:161], v[164:165]
	ds_load_b128 v[4:7], v2 offset:1184
	ds_load_b128 v[28:31], v2 offset:1200
	scratch_load_b128 v[140:143], off, off offset:624
	v_fmac_f64_e32 v[166:167], v[130:131], v[124:125]
	v_fma_f64 v[128:129], v[128:129], v[124:125], -v[126:127]
	scratch_load_b128 v[124:127], off, off offset:640
	s_wait_loadcnt_dscnt 0xb01
	v_mul_f64_e32 v[164:165], v[4:5], v[158:159]
	v_mul_f64_e32 v[158:159], v[6:7], v[158:159]
	v_add_f64_e32 v[130:131], v[170:171], v[168:169]
	v_add_f64_e32 v[160:161], v[160:161], v[162:163]
	s_wait_loadcnt_dscnt 0xa00
	v_mul_f64_e32 v[162:163], v[28:29], v[10:11]
	v_mul_f64_e32 v[10:11], v[30:31], v[10:11]
	v_fmac_f64_e32 v[164:165], v[6:7], v[156:157]
	v_fma_f64 v[168:169], v[4:5], v[156:157], -v[158:159]
	v_add_f64_e32 v[170:171], v[130:131], v[128:129]
	v_add_f64_e32 v[160:161], v[160:161], v[166:167]
	ds_load_b128 v[4:7], v2 offset:1216
	ds_load_b128 v[128:131], v2 offset:1232
	scratch_load_b128 v[156:159], off, off offset:656
	v_fmac_f64_e32 v[162:163], v[30:31], v[8:9]
	v_fma_f64 v[28:29], v[28:29], v[8:9], -v[10:11]
	scratch_load_b128 v[8:11], off, off offset:672
	s_wait_loadcnt_dscnt 0xb01
	v_mul_f64_e32 v[166:167], v[4:5], v[146:147]
	v_mul_f64_e32 v[146:147], v[6:7], v[146:147]
	;; [unrolled: 18-line block ×3, first 2 shown]
	v_add_f64_e32 v[130:131], v[170:171], v[168:169]
	v_add_f64_e32 v[160:161], v[160:161], v[166:167]
	s_wait_loadcnt_dscnt 0xa00
	v_mul_f64_e32 v[166:167], v[28:29], v[14:15]
	v_mul_f64_e32 v[14:15], v[30:31], v[14:15]
	v_fmac_f64_e32 v[162:163], v[6:7], v[152:153]
	v_fma_f64 v[152:153], v[4:5], v[152:153], -v[154:155]
	v_add_f64_e32 v[154:155], v[130:131], v[128:129]
	v_add_f64_e32 v[160:161], v[160:161], v[164:165]
	ds_load_b128 v[4:7], v2 offset:1280
	ds_load_b128 v[128:131], v2 offset:1296
	v_fmac_f64_e32 v[166:167], v[30:31], v[12:13]
	v_fma_f64 v[12:13], v[28:29], v[12:13], -v[14:15]
	s_wait_loadcnt_dscnt 0x901
	v_mul_f64_e32 v[164:165], v[4:5], v[134:135]
	v_mul_f64_e32 v[134:135], v[6:7], v[134:135]
	s_wait_loadcnt_dscnt 0x800
	v_mul_f64_e32 v[30:31], v[128:129], v[22:23]
	v_mul_f64_e32 v[22:23], v[130:131], v[22:23]
	v_add_f64_e32 v[14:15], v[154:155], v[152:153]
	v_add_f64_e32 v[28:29], v[160:161], v[162:163]
	v_fmac_f64_e32 v[164:165], v[6:7], v[132:133]
	v_fma_f64 v[132:133], v[4:5], v[132:133], -v[134:135]
	v_fmac_f64_e32 v[30:31], v[130:131], v[20:21]
	v_fma_f64 v[20:21], v[128:129], v[20:21], -v[22:23]
	v_add_f64_e32 v[134:135], v[14:15], v[12:13]
	v_add_f64_e32 v[28:29], v[28:29], v[166:167]
	ds_load_b128 v[4:7], v2 offset:1312
	ds_load_b128 v[12:15], v2 offset:1328
	s_wait_loadcnt_dscnt 0x701
	v_mul_f64_e32 v[152:153], v[4:5], v[138:139]
	v_mul_f64_e32 v[138:139], v[6:7], v[138:139]
	s_wait_loadcnt_dscnt 0x600
	v_mul_f64_e32 v[128:129], v[12:13], v[26:27]
	v_mul_f64_e32 v[26:27], v[14:15], v[26:27]
	v_add_f64_e32 v[22:23], v[134:135], v[132:133]
	v_add_f64_e32 v[28:29], v[28:29], v[164:165]
	v_fmac_f64_e32 v[152:153], v[6:7], v[136:137]
	v_fma_f64 v[130:131], v[4:5], v[136:137], -v[138:139]
	v_fmac_f64_e32 v[128:129], v[14:15], v[24:25]
	v_fma_f64 v[12:13], v[12:13], v[24:25], -v[26:27]
	v_add_f64_e32 v[132:133], v[22:23], v[20:21]
	v_add_f64_e32 v[28:29], v[28:29], v[30:31]
	ds_load_b128 v[4:7], v2 offset:1344
	ds_load_b128 v[20:23], v2 offset:1360
	s_wait_loadcnt_dscnt 0x501
	v_mul_f64_e32 v[30:31], v[4:5], v[142:143]
	v_mul_f64_e32 v[134:135], v[6:7], v[142:143]
	s_wait_loadcnt_dscnt 0x400
	v_mul_f64_e32 v[26:27], v[20:21], v[126:127]
	v_add_f64_e32 v[14:15], v[132:133], v[130:131]
	v_add_f64_e32 v[24:25], v[28:29], v[152:153]
	v_mul_f64_e32 v[28:29], v[22:23], v[126:127]
	v_fmac_f64_e32 v[30:31], v[6:7], v[140:141]
	v_fma_f64 v[126:127], v[4:5], v[140:141], -v[134:135]
	v_fmac_f64_e32 v[26:27], v[22:23], v[124:125]
	v_add_f64_e32 v[130:131], v[14:15], v[12:13]
	v_add_f64_e32 v[24:25], v[24:25], v[128:129]
	ds_load_b128 v[4:7], v2 offset:1376
	ds_load_b128 v[12:15], v2 offset:1392
	v_fma_f64 v[20:21], v[20:21], v[124:125], -v[28:29]
	s_wait_loadcnt_dscnt 0x301
	v_mul_f64_e32 v[128:129], v[4:5], v[158:159]
	v_mul_f64_e32 v[132:133], v[6:7], v[158:159]
	s_wait_loadcnt_dscnt 0x200
	v_mul_f64_e32 v[28:29], v[12:13], v[10:11]
	v_mul_f64_e32 v[10:11], v[14:15], v[10:11]
	v_add_f64_e32 v[22:23], v[130:131], v[126:127]
	v_add_f64_e32 v[24:25], v[24:25], v[30:31]
	v_fmac_f64_e32 v[128:129], v[6:7], v[156:157]
	v_fma_f64 v[30:31], v[4:5], v[156:157], -v[132:133]
	v_fmac_f64_e32 v[28:29], v[14:15], v[8:9]
	v_fma_f64 v[8:9], v[12:13], v[8:9], -v[10:11]
	v_add_f64_e32 v[124:125], v[22:23], v[20:21]
	v_add_f64_e32 v[24:25], v[24:25], v[26:27]
	ds_load_b128 v[4:7], v2 offset:1408
	ds_load_b128 v[20:23], v2 offset:1424
	s_wait_loadcnt_dscnt 0x101
	v_mul_f64_e32 v[2:3], v[4:5], v[146:147]
	v_mul_f64_e32 v[26:27], v[6:7], v[146:147]
	s_wait_loadcnt_dscnt 0x0
	v_mul_f64_e32 v[14:15], v[20:21], v[18:19]
	v_mul_f64_e32 v[18:19], v[22:23], v[18:19]
	v_add_f64_e32 v[10:11], v[124:125], v[30:31]
	v_add_f64_e32 v[12:13], v[24:25], v[128:129]
	v_fmac_f64_e32 v[2:3], v[6:7], v[144:145]
	v_fma_f64 v[4:5], v[4:5], v[144:145], -v[26:27]
	v_fmac_f64_e32 v[14:15], v[22:23], v[16:17]
	v_add_f64_e32 v[6:7], v[10:11], v[8:9]
	v_add_f64_e32 v[8:9], v[12:13], v[28:29]
	v_fma_f64 v[10:11], v[20:21], v[16:17], -v[18:19]
	s_delay_alu instid0(VALU_DEP_3) | instskip(NEXT) | instid1(VALU_DEP_3)
	v_add_f64_e32 v[4:5], v[6:7], v[4:5]
	v_add_f64_e32 v[2:3], v[8:9], v[2:3]
	s_delay_alu instid0(VALU_DEP_2) | instskip(NEXT) | instid1(VALU_DEP_2)
	v_add_f64_e32 v[4:5], v[4:5], v[10:11]
	v_add_f64_e32 v[6:7], v[2:3], v[14:15]
	s_delay_alu instid0(VALU_DEP_2) | instskip(NEXT) | instid1(VALU_DEP_2)
	v_add_f64_e64 v[2:3], v[148:149], -v[4:5]
	v_add_f64_e64 v[4:5], v[150:151], -v[6:7]
	scratch_store_b128 off, v[2:5], off offset:64
	s_wait_xcnt 0x0
	v_cmpx_lt_u32_e32 3, v1
	s_cbranch_execz .LBB44_277
; %bb.276:
	scratch_load_b128 v[2:5], off, s39
	v_mov_b32_e32 v6, 0
	s_delay_alu instid0(VALU_DEP_1)
	v_dual_mov_b32 v7, v6 :: v_dual_mov_b32 v8, v6
	v_mov_b32_e32 v9, v6
	scratch_store_b128 off, v[6:9], off offset:48
	s_wait_loadcnt 0x0
	ds_store_b128 v122, v[2:5]
.LBB44_277:
	s_wait_xcnt 0x0
	s_or_b32 exec_lo, exec_lo, s2
	s_wait_storecnt_dscnt 0x0
	s_barrier_signal -1
	s_barrier_wait -1
	s_clause 0x9
	scratch_load_b128 v[4:7], off, off offset:64
	scratch_load_b128 v[8:11], off, off offset:80
	;; [unrolled: 1-line block ×10, first 2 shown]
	v_mov_b32_e32 v2, 0
	s_mov_b32 s2, exec_lo
	ds_load_b128 v[136:139], v2 offset:784
	s_clause 0x2
	scratch_load_b128 v[140:143], off, off offset:224
	scratch_load_b128 v[144:147], off, off offset:48
	scratch_load_b128 v[152:155], off, off offset:240
	s_wait_loadcnt_dscnt 0xc00
	v_mul_f64_e32 v[156:157], v[138:139], v[6:7]
	v_mul_f64_e32 v[160:161], v[136:137], v[6:7]
	ds_load_b128 v[148:151], v2 offset:800
	v_fma_f64 v[164:165], v[136:137], v[4:5], -v[156:157]
	v_fmac_f64_e32 v[160:161], v[138:139], v[4:5]
	ds_load_b128 v[4:7], v2 offset:816
	s_wait_loadcnt_dscnt 0xb01
	v_mul_f64_e32 v[162:163], v[148:149], v[10:11]
	v_mul_f64_e32 v[10:11], v[150:151], v[10:11]
	scratch_load_b128 v[136:139], off, off offset:256
	ds_load_b128 v[156:159], v2 offset:832
	s_wait_loadcnt_dscnt 0xb01
	v_mul_f64_e32 v[166:167], v[4:5], v[14:15]
	v_mul_f64_e32 v[14:15], v[6:7], v[14:15]
	v_add_f64_e32 v[160:161], 0, v[160:161]
	v_fmac_f64_e32 v[162:163], v[150:151], v[8:9]
	v_fma_f64 v[148:149], v[148:149], v[8:9], -v[10:11]
	v_add_f64_e32 v[150:151], 0, v[164:165]
	scratch_load_b128 v[8:11], off, off offset:272
	v_fmac_f64_e32 v[166:167], v[6:7], v[12:13]
	v_fma_f64 v[168:169], v[4:5], v[12:13], -v[14:15]
	ds_load_b128 v[4:7], v2 offset:848
	s_wait_loadcnt_dscnt 0xb01
	v_mul_f64_e32 v[164:165], v[156:157], v[18:19]
	v_mul_f64_e32 v[18:19], v[158:159], v[18:19]
	scratch_load_b128 v[12:15], off, off offset:288
	v_add_f64_e32 v[160:161], v[160:161], v[162:163]
	v_add_f64_e32 v[170:171], v[150:151], v[148:149]
	ds_load_b128 v[148:151], v2 offset:864
	s_wait_loadcnt_dscnt 0xb01
	v_mul_f64_e32 v[162:163], v[4:5], v[22:23]
	v_mul_f64_e32 v[22:23], v[6:7], v[22:23]
	v_fmac_f64_e32 v[164:165], v[158:159], v[16:17]
	v_fma_f64 v[156:157], v[156:157], v[16:17], -v[18:19]
	scratch_load_b128 v[16:19], off, off offset:304
	v_add_f64_e32 v[160:161], v[160:161], v[166:167]
	v_add_f64_e32 v[158:159], v[170:171], v[168:169]
	v_fmac_f64_e32 v[162:163], v[6:7], v[20:21]
	v_fma_f64 v[168:169], v[4:5], v[20:21], -v[22:23]
	ds_load_b128 v[4:7], v2 offset:880
	s_wait_loadcnt_dscnt 0xb01
	v_mul_f64_e32 v[166:167], v[148:149], v[26:27]
	v_mul_f64_e32 v[26:27], v[150:151], v[26:27]
	scratch_load_b128 v[20:23], off, off offset:320
	v_add_f64_e32 v[160:161], v[160:161], v[164:165]
	s_wait_loadcnt_dscnt 0xb00
	v_mul_f64_e32 v[164:165], v[4:5], v[30:31]
	v_add_f64_e32 v[170:171], v[158:159], v[156:157]
	v_mul_f64_e32 v[30:31], v[6:7], v[30:31]
	ds_load_b128 v[156:159], v2 offset:896
	v_fmac_f64_e32 v[166:167], v[150:151], v[24:25]
	v_fma_f64 v[148:149], v[148:149], v[24:25], -v[26:27]
	scratch_load_b128 v[24:27], off, off offset:336
	v_add_f64_e32 v[160:161], v[160:161], v[162:163]
	v_fmac_f64_e32 v[164:165], v[6:7], v[28:29]
	v_add_f64_e32 v[150:151], v[170:171], v[168:169]
	v_fma_f64 v[168:169], v[4:5], v[28:29], -v[30:31]
	ds_load_b128 v[4:7], v2 offset:912
	s_wait_loadcnt_dscnt 0xb01
	v_mul_f64_e32 v[162:163], v[156:157], v[126:127]
	v_mul_f64_e32 v[126:127], v[158:159], v[126:127]
	scratch_load_b128 v[28:31], off, off offset:352
	v_add_f64_e32 v[160:161], v[160:161], v[166:167]
	s_wait_loadcnt_dscnt 0xb00
	v_mul_f64_e32 v[166:167], v[4:5], v[130:131]
	v_add_f64_e32 v[170:171], v[150:151], v[148:149]
	v_mul_f64_e32 v[130:131], v[6:7], v[130:131]
	ds_load_b128 v[148:151], v2 offset:928
	v_fmac_f64_e32 v[162:163], v[158:159], v[124:125]
	v_fma_f64 v[156:157], v[156:157], v[124:125], -v[126:127]
	scratch_load_b128 v[124:127], off, off offset:368
	v_add_f64_e32 v[160:161], v[160:161], v[164:165]
	v_fmac_f64_e32 v[166:167], v[6:7], v[128:129]
	v_add_f64_e32 v[158:159], v[170:171], v[168:169]
	;; [unrolled: 18-line block ×3, first 2 shown]
	v_fma_f64 v[168:169], v[4:5], v[140:141], -v[142:143]
	ds_load_b128 v[4:7], v2 offset:976
	s_wait_loadcnt_dscnt 0xa01
	v_mul_f64_e32 v[166:167], v[156:157], v[154:155]
	v_mul_f64_e32 v[154:155], v[158:159], v[154:155]
	scratch_load_b128 v[140:143], off, off offset:416
	v_add_f64_e32 v[160:161], v[160:161], v[164:165]
	v_add_f64_e32 v[170:171], v[150:151], v[148:149]
	s_wait_loadcnt_dscnt 0xa00
	v_mul_f64_e32 v[164:165], v[4:5], v[138:139]
	v_mul_f64_e32 v[138:139], v[6:7], v[138:139]
	v_fmac_f64_e32 v[166:167], v[158:159], v[152:153]
	v_fma_f64 v[156:157], v[156:157], v[152:153], -v[154:155]
	ds_load_b128 v[148:151], v2 offset:992
	scratch_load_b128 v[152:155], off, off offset:432
	v_add_f64_e32 v[160:161], v[160:161], v[162:163]
	v_add_f64_e32 v[158:159], v[170:171], v[168:169]
	v_fmac_f64_e32 v[164:165], v[6:7], v[136:137]
	v_fma_f64 v[168:169], v[4:5], v[136:137], -v[138:139]
	ds_load_b128 v[4:7], v2 offset:1008
	s_wait_loadcnt_dscnt 0xa01
	v_mul_f64_e32 v[162:163], v[148:149], v[10:11]
	v_mul_f64_e32 v[10:11], v[150:151], v[10:11]
	scratch_load_b128 v[136:139], off, off offset:448
	v_add_f64_e32 v[160:161], v[160:161], v[166:167]
	s_wait_loadcnt_dscnt 0xa00
	v_mul_f64_e32 v[166:167], v[4:5], v[14:15]
	v_add_f64_e32 v[170:171], v[158:159], v[156:157]
	v_mul_f64_e32 v[14:15], v[6:7], v[14:15]
	ds_load_b128 v[156:159], v2 offset:1024
	v_fmac_f64_e32 v[162:163], v[150:151], v[8:9]
	v_fma_f64 v[148:149], v[148:149], v[8:9], -v[10:11]
	scratch_load_b128 v[8:11], off, off offset:464
	v_add_f64_e32 v[160:161], v[160:161], v[164:165]
	v_fmac_f64_e32 v[166:167], v[6:7], v[12:13]
	v_add_f64_e32 v[150:151], v[170:171], v[168:169]
	v_fma_f64 v[168:169], v[4:5], v[12:13], -v[14:15]
	ds_load_b128 v[4:7], v2 offset:1040
	s_wait_loadcnt_dscnt 0xa01
	v_mul_f64_e32 v[164:165], v[156:157], v[18:19]
	v_mul_f64_e32 v[18:19], v[158:159], v[18:19]
	scratch_load_b128 v[12:15], off, off offset:480
	v_add_f64_e32 v[160:161], v[160:161], v[162:163]
	s_wait_loadcnt_dscnt 0xa00
	v_mul_f64_e32 v[162:163], v[4:5], v[22:23]
	v_add_f64_e32 v[170:171], v[150:151], v[148:149]
	v_mul_f64_e32 v[22:23], v[6:7], v[22:23]
	ds_load_b128 v[148:151], v2 offset:1056
	v_fmac_f64_e32 v[164:165], v[158:159], v[16:17]
	v_fma_f64 v[156:157], v[156:157], v[16:17], -v[18:19]
	scratch_load_b128 v[16:19], off, off offset:496
	v_add_f64_e32 v[160:161], v[160:161], v[166:167]
	v_fmac_f64_e32 v[162:163], v[6:7], v[20:21]
	v_add_f64_e32 v[158:159], v[170:171], v[168:169]
	;; [unrolled: 18-line block ×8, first 2 shown]
	v_fma_f64 v[168:169], v[4:5], v[20:21], -v[22:23]
	ds_load_b128 v[4:7], v2 offset:1264
	s_wait_loadcnt_dscnt 0xa01
	v_mul_f64_e32 v[166:167], v[148:149], v[26:27]
	v_mul_f64_e32 v[26:27], v[150:151], v[26:27]
	scratch_load_b128 v[20:23], off, off offset:704
	v_add_f64_e32 v[160:161], v[160:161], v[164:165]
	s_wait_loadcnt_dscnt 0xa00
	v_mul_f64_e32 v[164:165], v[4:5], v[30:31]
	v_add_f64_e32 v[170:171], v[158:159], v[156:157]
	v_mul_f64_e32 v[30:31], v[6:7], v[30:31]
	ds_load_b128 v[156:159], v2 offset:1280
	v_fmac_f64_e32 v[166:167], v[150:151], v[24:25]
	v_fma_f64 v[24:25], v[148:149], v[24:25], -v[26:27]
	s_wait_loadcnt_dscnt 0x900
	v_mul_f64_e32 v[150:151], v[156:157], v[126:127]
	v_mul_f64_e32 v[126:127], v[158:159], v[126:127]
	v_add_f64_e32 v[148:149], v[160:161], v[162:163]
	v_fmac_f64_e32 v[164:165], v[6:7], v[28:29]
	v_add_f64_e32 v[26:27], v[170:171], v[168:169]
	v_fma_f64 v[28:29], v[4:5], v[28:29], -v[30:31]
	v_fmac_f64_e32 v[150:151], v[158:159], v[124:125]
	v_fma_f64 v[124:125], v[156:157], v[124:125], -v[126:127]
	v_add_f64_e32 v[148:149], v[148:149], v[166:167]
	v_add_f64_e32 v[30:31], v[26:27], v[24:25]
	ds_load_b128 v[4:7], v2 offset:1296
	ds_load_b128 v[24:27], v2 offset:1312
	s_wait_loadcnt_dscnt 0x801
	v_mul_f64_e32 v[160:161], v[4:5], v[130:131]
	v_mul_f64_e32 v[130:131], v[6:7], v[130:131]
	s_wait_loadcnt_dscnt 0x700
	v_mul_f64_e32 v[126:127], v[24:25], v[134:135]
	v_mul_f64_e32 v[134:135], v[26:27], v[134:135]
	v_add_f64_e32 v[28:29], v[30:31], v[28:29]
	v_add_f64_e32 v[30:31], v[148:149], v[164:165]
	v_fmac_f64_e32 v[160:161], v[6:7], v[128:129]
	v_fma_f64 v[128:129], v[4:5], v[128:129], -v[130:131]
	v_fmac_f64_e32 v[126:127], v[26:27], v[132:133]
	v_fma_f64 v[24:25], v[24:25], v[132:133], -v[134:135]
	v_add_f64_e32 v[124:125], v[28:29], v[124:125]
	v_add_f64_e32 v[130:131], v[30:31], v[150:151]
	ds_load_b128 v[4:7], v2 offset:1328
	ds_load_b128 v[28:31], v2 offset:1344
	s_wait_loadcnt_dscnt 0x601
	v_mul_f64_e32 v[148:149], v[4:5], v[142:143]
	v_mul_f64_e32 v[142:143], v[6:7], v[142:143]
	v_add_f64_e32 v[26:27], v[124:125], v[128:129]
	v_add_f64_e32 v[124:125], v[130:131], v[160:161]
	s_wait_loadcnt_dscnt 0x500
	v_mul_f64_e32 v[128:129], v[28:29], v[154:155]
	v_mul_f64_e32 v[130:131], v[30:31], v[154:155]
	v_fmac_f64_e32 v[148:149], v[6:7], v[140:141]
	v_fma_f64 v[132:133], v[4:5], v[140:141], -v[142:143]
	v_add_f64_e32 v[134:135], v[26:27], v[24:25]
	v_add_f64_e32 v[124:125], v[124:125], v[126:127]
	ds_load_b128 v[4:7], v2 offset:1360
	ds_load_b128 v[24:27], v2 offset:1376
	v_fmac_f64_e32 v[128:129], v[30:31], v[152:153]
	v_fma_f64 v[28:29], v[28:29], v[152:153], -v[130:131]
	s_wait_loadcnt_dscnt 0x401
	v_mul_f64_e32 v[126:127], v[4:5], v[138:139]
	v_mul_f64_e32 v[138:139], v[6:7], v[138:139]
	s_wait_loadcnt_dscnt 0x300
	v_mul_f64_e32 v[130:131], v[24:25], v[10:11]
	v_mul_f64_e32 v[10:11], v[26:27], v[10:11]
	v_add_f64_e32 v[30:31], v[134:135], v[132:133]
	v_add_f64_e32 v[124:125], v[124:125], v[148:149]
	v_fmac_f64_e32 v[126:127], v[6:7], v[136:137]
	v_fma_f64 v[132:133], v[4:5], v[136:137], -v[138:139]
	v_fmac_f64_e32 v[130:131], v[26:27], v[8:9]
	v_fma_f64 v[8:9], v[24:25], v[8:9], -v[10:11]
	v_add_f64_e32 v[134:135], v[30:31], v[28:29]
	v_add_f64_e32 v[124:125], v[124:125], v[128:129]
	ds_load_b128 v[4:7], v2 offset:1392
	ds_load_b128 v[28:31], v2 offset:1408
	s_wait_loadcnt_dscnt 0x201
	v_mul_f64_e32 v[128:129], v[4:5], v[14:15]
	v_mul_f64_e32 v[14:15], v[6:7], v[14:15]
	s_wait_loadcnt_dscnt 0x100
	v_mul_f64_e32 v[26:27], v[28:29], v[18:19]
	v_mul_f64_e32 v[18:19], v[30:31], v[18:19]
	v_add_f64_e32 v[10:11], v[134:135], v[132:133]
	v_add_f64_e32 v[24:25], v[124:125], v[126:127]
	v_fmac_f64_e32 v[128:129], v[6:7], v[12:13]
	v_fma_f64 v[12:13], v[4:5], v[12:13], -v[14:15]
	ds_load_b128 v[4:7], v2 offset:1424
	v_fmac_f64_e32 v[26:27], v[30:31], v[16:17]
	v_fma_f64 v[16:17], v[28:29], v[16:17], -v[18:19]
	v_add_f64_e32 v[8:9], v[10:11], v[8:9]
	v_add_f64_e32 v[10:11], v[24:25], v[130:131]
	s_wait_loadcnt_dscnt 0x0
	v_mul_f64_e32 v[14:15], v[4:5], v[22:23]
	v_mul_f64_e32 v[22:23], v[6:7], v[22:23]
	s_delay_alu instid0(VALU_DEP_4) | instskip(NEXT) | instid1(VALU_DEP_4)
	v_add_f64_e32 v[8:9], v[8:9], v[12:13]
	v_add_f64_e32 v[10:11], v[10:11], v[128:129]
	s_delay_alu instid0(VALU_DEP_4) | instskip(NEXT) | instid1(VALU_DEP_4)
	v_fmac_f64_e32 v[14:15], v[6:7], v[20:21]
	v_fma_f64 v[4:5], v[4:5], v[20:21], -v[22:23]
	s_delay_alu instid0(VALU_DEP_4) | instskip(NEXT) | instid1(VALU_DEP_4)
	v_add_f64_e32 v[6:7], v[8:9], v[16:17]
	v_add_f64_e32 v[8:9], v[10:11], v[26:27]
	s_delay_alu instid0(VALU_DEP_2) | instskip(NEXT) | instid1(VALU_DEP_2)
	v_add_f64_e32 v[4:5], v[6:7], v[4:5]
	v_add_f64_e32 v[6:7], v[8:9], v[14:15]
	s_delay_alu instid0(VALU_DEP_2) | instskip(NEXT) | instid1(VALU_DEP_2)
	v_add_f64_e64 v[4:5], v[144:145], -v[4:5]
	v_add_f64_e64 v[6:7], v[146:147], -v[6:7]
	scratch_store_b128 off, v[4:7], off offset:48
	s_wait_xcnt 0x0
	v_cmpx_lt_u32_e32 2, v1
	s_cbranch_execz .LBB44_279
; %bb.278:
	scratch_load_b128 v[6:9], off, s35
	v_dual_mov_b32 v3, v2 :: v_dual_mov_b32 v4, v2
	v_mov_b32_e32 v5, v2
	scratch_store_b128 off, v[2:5], off offset:32
	s_wait_loadcnt 0x0
	ds_store_b128 v122, v[6:9]
.LBB44_279:
	s_wait_xcnt 0x0
	s_or_b32 exec_lo, exec_lo, s2
	s_wait_storecnt_dscnt 0x0
	s_barrier_signal -1
	s_barrier_wait -1
	s_clause 0x9
	scratch_load_b128 v[4:7], off, off offset:48
	scratch_load_b128 v[8:11], off, off offset:64
	scratch_load_b128 v[12:15], off, off offset:80
	scratch_load_b128 v[16:19], off, off offset:96
	scratch_load_b128 v[20:23], off, off offset:112
	scratch_load_b128 v[24:27], off, off offset:128
	scratch_load_b128 v[28:31], off, off offset:144
	scratch_load_b128 v[124:127], off, off offset:160
	scratch_load_b128 v[128:131], off, off offset:176
	scratch_load_b128 v[132:135], off, off offset:192
	ds_load_b128 v[136:139], v2 offset:768
	ds_load_b128 v[144:147], v2 offset:784
	s_clause 0x2
	scratch_load_b128 v[140:143], off, off offset:208
	scratch_load_b128 v[148:151], off, off offset:32
	;; [unrolled: 1-line block ×3, first 2 shown]
	s_mov_b32 s2, exec_lo
	v_ashrrev_i32_e32 v37, 31, v36
	v_ashrrev_i32_e32 v41, 31, v40
	;; [unrolled: 1-line block ×3, first 2 shown]
	v_dual_ashrrev_i32 v49, 31, v48 :: v_dual_ashrrev_i32 v39, 31, v38
	v_dual_ashrrev_i32 v43, 31, v42 :: v_dual_ashrrev_i32 v53, 31, v52
	;; [unrolled: 1-line block ×8, first 2 shown]
	v_ashrrev_i32_e32 v81, 31, v80
	v_ashrrev_i32_e32 v85, 31, v84
	v_dual_ashrrev_i32 v89, 31, v88 :: v_dual_ashrrev_i32 v71, 31, v70
	v_ashrrev_i32_e32 v75, 31, v74
	v_ashrrev_i32_e32 v79, 31, v78
	v_dual_ashrrev_i32 v83, 31, v82 :: v_dual_ashrrev_i32 v93, 31, v92
	v_dual_ashrrev_i32 v97, 31, v96 :: v_dual_ashrrev_i32 v87, 31, v86
	;; [unrolled: 1-line block ×3, first 2 shown]
	v_ashrrev_i32_e32 v105, 31, v104
	v_dual_ashrrev_i32 v109, 31, v108 :: v_dual_ashrrev_i32 v95, 31, v94
	v_dual_ashrrev_i32 v113, 31, v112 :: v_dual_ashrrev_i32 v99, 31, v98
	v_ashrrev_i32_e32 v117, 31, v116
	v_dual_ashrrev_i32 v121, 31, v120 :: v_dual_ashrrev_i32 v103, 31, v102
	v_ashrrev_i32_e32 v107, 31, v106
	v_ashrrev_i32_e32 v111, 31, v110
	;; [unrolled: 1-line block ×4, first 2 shown]
	s_wait_loadcnt_dscnt 0xc01
	v_mul_f64_e32 v[156:157], v[138:139], v[6:7]
	v_mul_f64_e32 v[160:161], v[136:137], v[6:7]
	s_wait_loadcnt_dscnt 0xb00
	v_mul_f64_e32 v[162:163], v[144:145], v[10:11]
	v_mul_f64_e32 v[10:11], v[146:147], v[10:11]
	s_delay_alu instid0(VALU_DEP_4) | instskip(NEXT) | instid1(VALU_DEP_4)
	v_fma_f64 v[164:165], v[136:137], v[4:5], -v[156:157]
	v_fmac_f64_e32 v[160:161], v[138:139], v[4:5]
	ds_load_b128 v[4:7], v2 offset:800
	ds_load_b128 v[156:159], v2 offset:816
	scratch_load_b128 v[136:139], off, off offset:240
	v_fmac_f64_e32 v[162:163], v[146:147], v[8:9]
	v_fma_f64 v[144:145], v[144:145], v[8:9], -v[10:11]
	scratch_load_b128 v[8:11], off, off offset:256
	s_wait_loadcnt_dscnt 0xc01
	v_mul_f64_e32 v[166:167], v[4:5], v[14:15]
	v_mul_f64_e32 v[14:15], v[6:7], v[14:15]
	v_add_f64_e32 v[146:147], 0, v[164:165]
	v_add_f64_e32 v[160:161], 0, v[160:161]
	s_wait_loadcnt_dscnt 0xb00
	v_mul_f64_e32 v[164:165], v[156:157], v[18:19]
	v_mul_f64_e32 v[18:19], v[158:159], v[18:19]
	v_fmac_f64_e32 v[166:167], v[6:7], v[12:13]
	v_fma_f64 v[168:169], v[4:5], v[12:13], -v[14:15]
	ds_load_b128 v[4:7], v2 offset:832
	scratch_load_b128 v[12:15], off, off offset:272
	v_add_f64_e32 v[170:171], v[146:147], v[144:145]
	v_add_f64_e32 v[160:161], v[160:161], v[162:163]
	ds_load_b128 v[144:147], v2 offset:848
	v_fmac_f64_e32 v[164:165], v[158:159], v[16:17]
	v_fma_f64 v[156:157], v[156:157], v[16:17], -v[18:19]
	scratch_load_b128 v[16:19], off, off offset:288
	s_wait_loadcnt_dscnt 0xc01
	v_mul_f64_e32 v[162:163], v[4:5], v[22:23]
	v_mul_f64_e32 v[22:23], v[6:7], v[22:23]
	v_add_f64_e32 v[158:159], v[170:171], v[168:169]
	v_add_f64_e32 v[160:161], v[160:161], v[166:167]
	s_wait_loadcnt_dscnt 0xb00
	v_mul_f64_e32 v[166:167], v[144:145], v[26:27]
	v_mul_f64_e32 v[26:27], v[146:147], v[26:27]
	v_fmac_f64_e32 v[162:163], v[6:7], v[20:21]
	v_fma_f64 v[168:169], v[4:5], v[20:21], -v[22:23]
	ds_load_b128 v[4:7], v2 offset:864
	scratch_load_b128 v[20:23], off, off offset:304
	v_add_f64_e32 v[170:171], v[158:159], v[156:157]
	v_add_f64_e32 v[160:161], v[160:161], v[164:165]
	ds_load_b128 v[156:159], v2 offset:880
	s_wait_loadcnt_dscnt 0xb01
	v_mul_f64_e32 v[164:165], v[4:5], v[30:31]
	v_mul_f64_e32 v[30:31], v[6:7], v[30:31]
	v_fmac_f64_e32 v[166:167], v[146:147], v[24:25]
	v_fma_f64 v[144:145], v[144:145], v[24:25], -v[26:27]
	scratch_load_b128 v[24:27], off, off offset:320
	v_add_f64_e32 v[146:147], v[170:171], v[168:169]
	v_add_f64_e32 v[160:161], v[160:161], v[162:163]
	s_wait_loadcnt_dscnt 0xb00
	v_mul_f64_e32 v[162:163], v[156:157], v[126:127]
	v_mul_f64_e32 v[126:127], v[158:159], v[126:127]
	v_fmac_f64_e32 v[164:165], v[6:7], v[28:29]
	v_fma_f64 v[168:169], v[4:5], v[28:29], -v[30:31]
	ds_load_b128 v[4:7], v2 offset:896
	scratch_load_b128 v[28:31], off, off offset:336
	v_add_f64_e32 v[170:171], v[146:147], v[144:145]
	v_add_f64_e32 v[160:161], v[160:161], v[166:167]
	ds_load_b128 v[144:147], v2 offset:912
	s_wait_loadcnt_dscnt 0xb01
	v_mul_f64_e32 v[166:167], v[4:5], v[130:131]
	v_mul_f64_e32 v[130:131], v[6:7], v[130:131]
	v_fmac_f64_e32 v[162:163], v[158:159], v[124:125]
	v_fma_f64 v[156:157], v[156:157], v[124:125], -v[126:127]
	scratch_load_b128 v[124:127], off, off offset:352
	;; [unrolled: 18-line block ×3, first 2 shown]
	v_add_f64_e32 v[146:147], v[170:171], v[168:169]
	v_add_f64_e32 v[160:161], v[160:161], v[166:167]
	s_wait_loadcnt_dscnt 0xa00
	v_mul_f64_e32 v[166:167], v[156:157], v[154:155]
	v_mul_f64_e32 v[154:155], v[158:159], v[154:155]
	v_fmac_f64_e32 v[162:163], v[6:7], v[140:141]
	v_fma_f64 v[168:169], v[4:5], v[140:141], -v[142:143]
	ds_load_b128 v[4:7], v2 offset:960
	scratch_load_b128 v[140:143], off, off offset:400
	v_add_f64_e32 v[170:171], v[146:147], v[144:145]
	v_add_f64_e32 v[160:161], v[160:161], v[164:165]
	ds_load_b128 v[144:147], v2 offset:976
	v_fmac_f64_e32 v[166:167], v[158:159], v[152:153]
	s_wait_loadcnt_dscnt 0xa01
	v_mul_f64_e32 v[164:165], v[4:5], v[138:139]
	v_mul_f64_e32 v[138:139], v[6:7], v[138:139]
	v_fma_f64 v[156:157], v[156:157], v[152:153], -v[154:155]
	scratch_load_b128 v[152:155], off, off offset:416
	v_add_f64_e32 v[158:159], v[170:171], v[168:169]
	v_add_f64_e32 v[160:161], v[160:161], v[162:163]
	s_wait_loadcnt_dscnt 0xa00
	v_mul_f64_e32 v[162:163], v[144:145], v[10:11]
	v_mul_f64_e32 v[10:11], v[146:147], v[10:11]
	v_fmac_f64_e32 v[164:165], v[6:7], v[136:137]
	v_fma_f64 v[168:169], v[4:5], v[136:137], -v[138:139]
	ds_load_b128 v[4:7], v2 offset:992
	scratch_load_b128 v[136:139], off, off offset:432
	v_add_f64_e32 v[170:171], v[158:159], v[156:157]
	v_add_f64_e32 v[160:161], v[160:161], v[166:167]
	ds_load_b128 v[156:159], v2 offset:1008
	s_wait_loadcnt_dscnt 0xa01
	v_mul_f64_e32 v[166:167], v[4:5], v[14:15]
	v_mul_f64_e32 v[14:15], v[6:7], v[14:15]
	v_fmac_f64_e32 v[162:163], v[146:147], v[8:9]
	v_fma_f64 v[144:145], v[144:145], v[8:9], -v[10:11]
	scratch_load_b128 v[8:11], off, off offset:448
	v_add_f64_e32 v[146:147], v[170:171], v[168:169]
	v_add_f64_e32 v[160:161], v[160:161], v[164:165]
	s_wait_loadcnt_dscnt 0xa00
	v_mul_f64_e32 v[164:165], v[156:157], v[18:19]
	v_mul_f64_e32 v[18:19], v[158:159], v[18:19]
	v_fmac_f64_e32 v[166:167], v[6:7], v[12:13]
	v_fma_f64 v[168:169], v[4:5], v[12:13], -v[14:15]
	ds_load_b128 v[4:7], v2 offset:1024
	scratch_load_b128 v[12:15], off, off offset:464
	v_add_f64_e32 v[170:171], v[146:147], v[144:145]
	v_add_f64_e32 v[160:161], v[160:161], v[162:163]
	ds_load_b128 v[144:147], v2 offset:1040
	s_wait_loadcnt_dscnt 0xa01
	v_mul_f64_e32 v[162:163], v[4:5], v[22:23]
	v_mul_f64_e32 v[22:23], v[6:7], v[22:23]
	v_fmac_f64_e32 v[164:165], v[158:159], v[16:17]
	;; [unrolled: 18-line block ×9, first 2 shown]
	v_fma_f64 v[144:145], v[144:145], v[24:25], -v[26:27]
	scratch_load_b128 v[24:27], off, off offset:704
	v_add_f64_e32 v[146:147], v[170:171], v[168:169]
	v_add_f64_e32 v[160:161], v[160:161], v[162:163]
	s_wait_loadcnt_dscnt 0xa00
	v_mul_f64_e32 v[162:163], v[156:157], v[126:127]
	v_mul_f64_e32 v[126:127], v[158:159], v[126:127]
	v_fmac_f64_e32 v[164:165], v[6:7], v[28:29]
	v_fma_f64 v[168:169], v[4:5], v[28:29], -v[30:31]
	ds_load_b128 v[4:7], v2 offset:1280
	ds_load_b128 v[28:31], v2 offset:1296
	v_add_f64_e32 v[144:145], v[146:147], v[144:145]
	v_add_f64_e32 v[146:147], v[160:161], v[166:167]
	s_wait_loadcnt_dscnt 0x901
	v_mul_f64_e32 v[160:161], v[4:5], v[130:131]
	v_mul_f64_e32 v[130:131], v[6:7], v[130:131]
	v_fmac_f64_e32 v[162:163], v[158:159], v[124:125]
	v_fma_f64 v[124:125], v[156:157], v[124:125], -v[126:127]
	v_add_f64_e32 v[126:127], v[144:145], v[168:169]
	v_add_f64_e32 v[144:145], v[146:147], v[164:165]
	s_wait_loadcnt_dscnt 0x800
	v_mul_f64_e32 v[146:147], v[28:29], v[134:135]
	v_mul_f64_e32 v[134:135], v[30:31], v[134:135]
	v_fmac_f64_e32 v[160:161], v[6:7], v[128:129]
	v_fma_f64 v[128:129], v[4:5], v[128:129], -v[130:131]
	v_add_f64_e32 v[130:131], v[126:127], v[124:125]
	v_add_f64_e32 v[144:145], v[144:145], v[162:163]
	ds_load_b128 v[4:7], v2 offset:1312
	ds_load_b128 v[124:127], v2 offset:1328
	v_fmac_f64_e32 v[146:147], v[30:31], v[132:133]
	v_fma_f64 v[28:29], v[28:29], v[132:133], -v[134:135]
	s_wait_loadcnt_dscnt 0x701
	v_mul_f64_e32 v[156:157], v[4:5], v[142:143]
	v_mul_f64_e32 v[142:143], v[6:7], v[142:143]
	s_wait_loadcnt_dscnt 0x600
	v_mul_f64_e32 v[132:133], v[126:127], v[154:155]
	v_add_f64_e32 v[30:31], v[130:131], v[128:129]
	v_add_f64_e32 v[128:129], v[144:145], v[160:161]
	v_mul_f64_e32 v[130:131], v[124:125], v[154:155]
	v_fmac_f64_e32 v[156:157], v[6:7], v[140:141]
	v_fma_f64 v[134:135], v[4:5], v[140:141], -v[142:143]
	v_fma_f64 v[124:125], v[124:125], v[152:153], -v[132:133]
	v_add_f64_e32 v[140:141], v[30:31], v[28:29]
	v_add_f64_e32 v[128:129], v[128:129], v[146:147]
	ds_load_b128 v[4:7], v2 offset:1344
	ds_load_b128 v[28:31], v2 offset:1360
	v_fmac_f64_e32 v[130:131], v[126:127], v[152:153]
	s_wait_loadcnt_dscnt 0x501
	v_mul_f64_e32 v[142:143], v[4:5], v[138:139]
	v_mul_f64_e32 v[138:139], v[6:7], v[138:139]
	s_wait_loadcnt_dscnt 0x400
	v_mul_f64_e32 v[132:133], v[28:29], v[10:11]
	v_mul_f64_e32 v[10:11], v[30:31], v[10:11]
	v_add_f64_e32 v[126:127], v[140:141], v[134:135]
	v_add_f64_e32 v[128:129], v[128:129], v[156:157]
	v_fmac_f64_e32 v[142:143], v[6:7], v[136:137]
	v_fma_f64 v[134:135], v[4:5], v[136:137], -v[138:139]
	v_fmac_f64_e32 v[132:133], v[30:31], v[8:9]
	v_fma_f64 v[8:9], v[28:29], v[8:9], -v[10:11]
	v_add_f64_e32 v[136:137], v[126:127], v[124:125]
	v_add_f64_e32 v[128:129], v[128:129], v[130:131]
	ds_load_b128 v[4:7], v2 offset:1376
	ds_load_b128 v[124:127], v2 offset:1392
	s_wait_loadcnt_dscnt 0x301
	v_mul_f64_e32 v[130:131], v[4:5], v[14:15]
	v_mul_f64_e32 v[14:15], v[6:7], v[14:15]
	s_wait_loadcnt_dscnt 0x200
	v_mul_f64_e32 v[30:31], v[124:125], v[18:19]
	v_mul_f64_e32 v[18:19], v[126:127], v[18:19]
	v_add_f64_e32 v[10:11], v[136:137], v[134:135]
	v_add_f64_e32 v[28:29], v[128:129], v[142:143]
	v_fmac_f64_e32 v[130:131], v[6:7], v[12:13]
	v_fma_f64 v[12:13], v[4:5], v[12:13], -v[14:15]
	v_fmac_f64_e32 v[30:31], v[126:127], v[16:17]
	v_fma_f64 v[16:17], v[124:125], v[16:17], -v[18:19]
	v_add_f64_e32 v[14:15], v[10:11], v[8:9]
	v_add_f64_e32 v[28:29], v[28:29], v[132:133]
	ds_load_b128 v[4:7], v2 offset:1408
	ds_load_b128 v[8:11], v2 offset:1424
	s_wait_loadcnt_dscnt 0x101
	v_mul_f64_e32 v[2:3], v[4:5], v[22:23]
	v_mul_f64_e32 v[22:23], v[6:7], v[22:23]
	s_wait_loadcnt_dscnt 0x0
	v_mul_f64_e32 v[18:19], v[8:9], v[26:27]
	v_mul_f64_e32 v[26:27], v[10:11], v[26:27]
	v_add_f64_e32 v[12:13], v[14:15], v[12:13]
	v_add_f64_e32 v[14:15], v[28:29], v[130:131]
	v_fmac_f64_e32 v[2:3], v[6:7], v[20:21]
	v_fma_f64 v[4:5], v[4:5], v[20:21], -v[22:23]
	v_fmac_f64_e32 v[18:19], v[10:11], v[24:25]
	v_fma_f64 v[8:9], v[8:9], v[24:25], -v[26:27]
	v_add_f64_e32 v[6:7], v[12:13], v[16:17]
	v_add_f64_e32 v[12:13], v[14:15], v[30:31]
	s_delay_alu instid0(VALU_DEP_2) | instskip(NEXT) | instid1(VALU_DEP_2)
	v_add_f64_e32 v[4:5], v[6:7], v[4:5]
	v_add_f64_e32 v[2:3], v[12:13], v[2:3]
	s_delay_alu instid0(VALU_DEP_2) | instskip(NEXT) | instid1(VALU_DEP_2)
	v_add_f64_e32 v[4:5], v[4:5], v[8:9]
	v_add_f64_e32 v[6:7], v[2:3], v[18:19]
	s_delay_alu instid0(VALU_DEP_2) | instskip(NEXT) | instid1(VALU_DEP_2)
	v_add_f64_e64 v[2:3], v[148:149], -v[4:5]
	v_add_f64_e64 v[4:5], v[150:151], -v[6:7]
	scratch_store_b128 off, v[2:5], off offset:32
	s_wait_xcnt 0x0
	v_cmpx_lt_u32_e32 1, v1
	s_cbranch_execz .LBB44_281
; %bb.280:
	scratch_load_b128 v[2:5], off, s45
	v_mov_b32_e32 v6, 0
	s_delay_alu instid0(VALU_DEP_1)
	v_dual_mov_b32 v7, v6 :: v_dual_mov_b32 v8, v6
	v_mov_b32_e32 v9, v6
	scratch_store_b128 off, v[6:9], off offset:16
	s_wait_loadcnt 0x0
	ds_store_b128 v122, v[2:5]
.LBB44_281:
	s_wait_xcnt 0x0
	s_or_b32 exec_lo, exec_lo, s2
	s_wait_storecnt_dscnt 0x0
	s_barrier_signal -1
	s_barrier_wait -1
	s_clause 0x9
	scratch_load_b128 v[4:7], off, off offset:32
	scratch_load_b128 v[8:11], off, off offset:48
	;; [unrolled: 1-line block ×10, first 2 shown]
	v_mov_b32_e32 v2, 0
	s_mov_b32 s2, exec_lo
	ds_load_b128 v[136:139], v2 offset:752
	s_clause 0x2
	scratch_load_b128 v[140:143], off, off offset:192
	scratch_load_b128 v[144:147], off, off offset:16
	;; [unrolled: 1-line block ×3, first 2 shown]
	s_wait_loadcnt_dscnt 0xc00
	v_mul_f64_e32 v[156:157], v[138:139], v[6:7]
	v_mul_f64_e32 v[160:161], v[136:137], v[6:7]
	ds_load_b128 v[148:151], v2 offset:768
	v_fma_f64 v[164:165], v[136:137], v[4:5], -v[156:157]
	v_fmac_f64_e32 v[160:161], v[138:139], v[4:5]
	ds_load_b128 v[4:7], v2 offset:784
	s_wait_loadcnt_dscnt 0xb01
	v_mul_f64_e32 v[162:163], v[148:149], v[10:11]
	v_mul_f64_e32 v[10:11], v[150:151], v[10:11]
	scratch_load_b128 v[136:139], off, off offset:224
	ds_load_b128 v[156:159], v2 offset:800
	s_wait_loadcnt_dscnt 0xb01
	v_mul_f64_e32 v[166:167], v[4:5], v[14:15]
	v_mul_f64_e32 v[14:15], v[6:7], v[14:15]
	v_add_f64_e32 v[160:161], 0, v[160:161]
	v_fmac_f64_e32 v[162:163], v[150:151], v[8:9]
	v_fma_f64 v[148:149], v[148:149], v[8:9], -v[10:11]
	v_add_f64_e32 v[150:151], 0, v[164:165]
	scratch_load_b128 v[8:11], off, off offset:240
	v_fmac_f64_e32 v[166:167], v[6:7], v[12:13]
	v_fma_f64 v[168:169], v[4:5], v[12:13], -v[14:15]
	ds_load_b128 v[4:7], v2 offset:816
	s_wait_loadcnt_dscnt 0xb01
	v_mul_f64_e32 v[164:165], v[156:157], v[18:19]
	v_mul_f64_e32 v[18:19], v[158:159], v[18:19]
	scratch_load_b128 v[12:15], off, off offset:256
	v_add_f64_e32 v[160:161], v[160:161], v[162:163]
	v_add_f64_e32 v[170:171], v[150:151], v[148:149]
	ds_load_b128 v[148:151], v2 offset:832
	s_wait_loadcnt_dscnt 0xb01
	v_mul_f64_e32 v[162:163], v[4:5], v[22:23]
	v_mul_f64_e32 v[22:23], v[6:7], v[22:23]
	v_fmac_f64_e32 v[164:165], v[158:159], v[16:17]
	v_fma_f64 v[156:157], v[156:157], v[16:17], -v[18:19]
	scratch_load_b128 v[16:19], off, off offset:272
	v_add_f64_e32 v[160:161], v[160:161], v[166:167]
	v_add_f64_e32 v[158:159], v[170:171], v[168:169]
	v_fmac_f64_e32 v[162:163], v[6:7], v[20:21]
	v_fma_f64 v[168:169], v[4:5], v[20:21], -v[22:23]
	ds_load_b128 v[4:7], v2 offset:848
	s_wait_loadcnt_dscnt 0xb01
	v_mul_f64_e32 v[166:167], v[148:149], v[26:27]
	v_mul_f64_e32 v[26:27], v[150:151], v[26:27]
	scratch_load_b128 v[20:23], off, off offset:288
	v_add_f64_e32 v[160:161], v[160:161], v[164:165]
	s_wait_loadcnt_dscnt 0xb00
	v_mul_f64_e32 v[164:165], v[4:5], v[30:31]
	v_add_f64_e32 v[170:171], v[158:159], v[156:157]
	v_mul_f64_e32 v[30:31], v[6:7], v[30:31]
	ds_load_b128 v[156:159], v2 offset:864
	v_fmac_f64_e32 v[166:167], v[150:151], v[24:25]
	v_fma_f64 v[148:149], v[148:149], v[24:25], -v[26:27]
	scratch_load_b128 v[24:27], off, off offset:304
	v_add_f64_e32 v[160:161], v[160:161], v[162:163]
	v_fmac_f64_e32 v[164:165], v[6:7], v[28:29]
	v_add_f64_e32 v[150:151], v[170:171], v[168:169]
	v_fma_f64 v[168:169], v[4:5], v[28:29], -v[30:31]
	ds_load_b128 v[4:7], v2 offset:880
	s_wait_loadcnt_dscnt 0xb01
	v_mul_f64_e32 v[162:163], v[156:157], v[126:127]
	v_mul_f64_e32 v[126:127], v[158:159], v[126:127]
	scratch_load_b128 v[28:31], off, off offset:320
	v_add_f64_e32 v[160:161], v[160:161], v[166:167]
	s_wait_loadcnt_dscnt 0xb00
	v_mul_f64_e32 v[166:167], v[4:5], v[130:131]
	v_add_f64_e32 v[170:171], v[150:151], v[148:149]
	v_mul_f64_e32 v[130:131], v[6:7], v[130:131]
	ds_load_b128 v[148:151], v2 offset:896
	v_fmac_f64_e32 v[162:163], v[158:159], v[124:125]
	v_fma_f64 v[156:157], v[156:157], v[124:125], -v[126:127]
	scratch_load_b128 v[124:127], off, off offset:336
	v_add_f64_e32 v[160:161], v[160:161], v[164:165]
	v_fmac_f64_e32 v[166:167], v[6:7], v[128:129]
	v_add_f64_e32 v[158:159], v[170:171], v[168:169]
	;; [unrolled: 18-line block ×3, first 2 shown]
	v_fma_f64 v[168:169], v[4:5], v[140:141], -v[142:143]
	ds_load_b128 v[4:7], v2 offset:944
	s_wait_loadcnt_dscnt 0xa01
	v_mul_f64_e32 v[166:167], v[156:157], v[154:155]
	v_mul_f64_e32 v[154:155], v[158:159], v[154:155]
	scratch_load_b128 v[140:143], off, off offset:384
	v_add_f64_e32 v[160:161], v[160:161], v[164:165]
	v_add_f64_e32 v[170:171], v[150:151], v[148:149]
	s_wait_loadcnt_dscnt 0xa00
	v_mul_f64_e32 v[164:165], v[4:5], v[138:139]
	v_mul_f64_e32 v[138:139], v[6:7], v[138:139]
	v_fmac_f64_e32 v[166:167], v[158:159], v[152:153]
	v_fma_f64 v[156:157], v[156:157], v[152:153], -v[154:155]
	ds_load_b128 v[148:151], v2 offset:960
	scratch_load_b128 v[152:155], off, off offset:400
	v_add_f64_e32 v[160:161], v[160:161], v[162:163]
	v_add_f64_e32 v[158:159], v[170:171], v[168:169]
	v_fmac_f64_e32 v[164:165], v[6:7], v[136:137]
	v_fma_f64 v[168:169], v[4:5], v[136:137], -v[138:139]
	ds_load_b128 v[4:7], v2 offset:976
	s_wait_loadcnt_dscnt 0xa01
	v_mul_f64_e32 v[162:163], v[148:149], v[10:11]
	v_mul_f64_e32 v[10:11], v[150:151], v[10:11]
	scratch_load_b128 v[136:139], off, off offset:416
	v_add_f64_e32 v[160:161], v[160:161], v[166:167]
	s_wait_loadcnt_dscnt 0xa00
	v_mul_f64_e32 v[166:167], v[4:5], v[14:15]
	v_add_f64_e32 v[170:171], v[158:159], v[156:157]
	v_mul_f64_e32 v[14:15], v[6:7], v[14:15]
	ds_load_b128 v[156:159], v2 offset:992
	v_fmac_f64_e32 v[162:163], v[150:151], v[8:9]
	v_fma_f64 v[148:149], v[148:149], v[8:9], -v[10:11]
	scratch_load_b128 v[8:11], off, off offset:432
	v_add_f64_e32 v[160:161], v[160:161], v[164:165]
	v_fmac_f64_e32 v[166:167], v[6:7], v[12:13]
	v_add_f64_e32 v[150:151], v[170:171], v[168:169]
	v_fma_f64 v[168:169], v[4:5], v[12:13], -v[14:15]
	ds_load_b128 v[4:7], v2 offset:1008
	s_wait_loadcnt_dscnt 0xa01
	v_mul_f64_e32 v[164:165], v[156:157], v[18:19]
	v_mul_f64_e32 v[18:19], v[158:159], v[18:19]
	scratch_load_b128 v[12:15], off, off offset:448
	v_add_f64_e32 v[160:161], v[160:161], v[162:163]
	s_wait_loadcnt_dscnt 0xa00
	v_mul_f64_e32 v[162:163], v[4:5], v[22:23]
	v_add_f64_e32 v[170:171], v[150:151], v[148:149]
	v_mul_f64_e32 v[22:23], v[6:7], v[22:23]
	ds_load_b128 v[148:151], v2 offset:1024
	v_fmac_f64_e32 v[164:165], v[158:159], v[16:17]
	v_fma_f64 v[156:157], v[156:157], v[16:17], -v[18:19]
	scratch_load_b128 v[16:19], off, off offset:464
	v_add_f64_e32 v[160:161], v[160:161], v[166:167]
	v_fmac_f64_e32 v[162:163], v[6:7], v[20:21]
	v_add_f64_e32 v[158:159], v[170:171], v[168:169]
	v_fma_f64 v[168:169], v[4:5], v[20:21], -v[22:23]
	ds_load_b128 v[4:7], v2 offset:1040
	s_wait_loadcnt_dscnt 0xa01
	v_mul_f64_e32 v[166:167], v[148:149], v[26:27]
	v_mul_f64_e32 v[26:27], v[150:151], v[26:27]
	scratch_load_b128 v[20:23], off, off offset:480
	v_add_f64_e32 v[160:161], v[160:161], v[164:165]
	s_wait_loadcnt_dscnt 0xa00
	v_mul_f64_e32 v[164:165], v[4:5], v[30:31]
	v_add_f64_e32 v[170:171], v[158:159], v[156:157]
	v_mul_f64_e32 v[30:31], v[6:7], v[30:31]
	ds_load_b128 v[156:159], v2 offset:1056
	v_fmac_f64_e32 v[166:167], v[150:151], v[24:25]
	v_fma_f64 v[148:149], v[148:149], v[24:25], -v[26:27]
	scratch_load_b128 v[24:27], off, off offset:496
	v_add_f64_e32 v[160:161], v[160:161], v[162:163]
	v_fmac_f64_e32 v[164:165], v[6:7], v[28:29]
	v_add_f64_e32 v[150:151], v[170:171], v[168:169]
	v_fma_f64 v[168:169], v[4:5], v[28:29], -v[30:31]
	ds_load_b128 v[4:7], v2 offset:1072
	s_wait_loadcnt_dscnt 0xa01
	v_mul_f64_e32 v[162:163], v[156:157], v[126:127]
	v_mul_f64_e32 v[126:127], v[158:159], v[126:127]
	scratch_load_b128 v[28:31], off, off offset:512
	v_add_f64_e32 v[160:161], v[160:161], v[166:167]
	s_wait_loadcnt_dscnt 0xa00
	v_mul_f64_e32 v[166:167], v[4:5], v[130:131]
	v_add_f64_e32 v[170:171], v[150:151], v[148:149]
	v_mul_f64_e32 v[130:131], v[6:7], v[130:131]
	ds_load_b128 v[148:151], v2 offset:1088
	v_fmac_f64_e32 v[162:163], v[158:159], v[124:125]
	v_fma_f64 v[156:157], v[156:157], v[124:125], -v[126:127]
	scratch_load_b128 v[124:127], off, off offset:528
	v_add_f64_e32 v[160:161], v[160:161], v[164:165]
	v_fmac_f64_e32 v[166:167], v[6:7], v[128:129]
	v_add_f64_e32 v[158:159], v[170:171], v[168:169]
	v_fma_f64 v[168:169], v[4:5], v[128:129], -v[130:131]
	ds_load_b128 v[4:7], v2 offset:1104
	s_wait_loadcnt_dscnt 0xa01
	v_mul_f64_e32 v[164:165], v[148:149], v[134:135]
	v_mul_f64_e32 v[134:135], v[150:151], v[134:135]
	scratch_load_b128 v[128:131], off, off offset:544
	v_add_f64_e32 v[160:161], v[160:161], v[162:163]
	s_wait_loadcnt_dscnt 0xa00
	v_mul_f64_e32 v[162:163], v[4:5], v[142:143]
	v_add_f64_e32 v[170:171], v[158:159], v[156:157]
	v_mul_f64_e32 v[142:143], v[6:7], v[142:143]
	ds_load_b128 v[156:159], v2 offset:1120
	v_fmac_f64_e32 v[164:165], v[150:151], v[132:133]
	v_fma_f64 v[148:149], v[148:149], v[132:133], -v[134:135]
	scratch_load_b128 v[132:135], off, off offset:560
	v_add_f64_e32 v[160:161], v[160:161], v[166:167]
	v_fmac_f64_e32 v[162:163], v[6:7], v[140:141]
	v_add_f64_e32 v[150:151], v[170:171], v[168:169]
	v_fma_f64 v[168:169], v[4:5], v[140:141], -v[142:143]
	ds_load_b128 v[4:7], v2 offset:1136
	s_wait_loadcnt_dscnt 0xa01
	v_mul_f64_e32 v[166:167], v[156:157], v[154:155]
	v_mul_f64_e32 v[154:155], v[158:159], v[154:155]
	scratch_load_b128 v[140:143], off, off offset:576
	v_add_f64_e32 v[160:161], v[160:161], v[164:165]
	s_wait_loadcnt_dscnt 0xa00
	v_mul_f64_e32 v[164:165], v[4:5], v[138:139]
	v_add_f64_e32 v[170:171], v[150:151], v[148:149]
	v_mul_f64_e32 v[138:139], v[6:7], v[138:139]
	ds_load_b128 v[148:151], v2 offset:1152
	v_fmac_f64_e32 v[166:167], v[158:159], v[152:153]
	v_fma_f64 v[156:157], v[156:157], v[152:153], -v[154:155]
	scratch_load_b128 v[152:155], off, off offset:592
	v_add_f64_e32 v[160:161], v[160:161], v[162:163]
	v_fmac_f64_e32 v[164:165], v[6:7], v[136:137]
	v_add_f64_e32 v[158:159], v[170:171], v[168:169]
	v_fma_f64 v[168:169], v[4:5], v[136:137], -v[138:139]
	ds_load_b128 v[4:7], v2 offset:1168
	s_wait_loadcnt_dscnt 0xa01
	v_mul_f64_e32 v[162:163], v[148:149], v[10:11]
	v_mul_f64_e32 v[10:11], v[150:151], v[10:11]
	scratch_load_b128 v[136:139], off, off offset:608
	v_add_f64_e32 v[160:161], v[160:161], v[166:167]
	s_wait_loadcnt_dscnt 0xa00
	v_mul_f64_e32 v[166:167], v[4:5], v[14:15]
	v_add_f64_e32 v[170:171], v[158:159], v[156:157]
	v_mul_f64_e32 v[14:15], v[6:7], v[14:15]
	ds_load_b128 v[156:159], v2 offset:1184
	v_fmac_f64_e32 v[162:163], v[150:151], v[8:9]
	v_fma_f64 v[148:149], v[148:149], v[8:9], -v[10:11]
	scratch_load_b128 v[8:11], off, off offset:624
	v_add_f64_e32 v[160:161], v[160:161], v[164:165]
	v_fmac_f64_e32 v[166:167], v[6:7], v[12:13]
	v_add_f64_e32 v[150:151], v[170:171], v[168:169]
	v_fma_f64 v[168:169], v[4:5], v[12:13], -v[14:15]
	ds_load_b128 v[4:7], v2 offset:1200
	s_wait_loadcnt_dscnt 0xa01
	v_mul_f64_e32 v[164:165], v[156:157], v[18:19]
	v_mul_f64_e32 v[18:19], v[158:159], v[18:19]
	scratch_load_b128 v[12:15], off, off offset:640
	v_add_f64_e32 v[160:161], v[160:161], v[162:163]
	s_wait_loadcnt_dscnt 0xa00
	v_mul_f64_e32 v[162:163], v[4:5], v[22:23]
	v_add_f64_e32 v[170:171], v[150:151], v[148:149]
	v_mul_f64_e32 v[22:23], v[6:7], v[22:23]
	ds_load_b128 v[148:151], v2 offset:1216
	v_fmac_f64_e32 v[164:165], v[158:159], v[16:17]
	v_fma_f64 v[156:157], v[156:157], v[16:17], -v[18:19]
	scratch_load_b128 v[16:19], off, off offset:656
	v_add_f64_e32 v[160:161], v[160:161], v[166:167]
	v_fmac_f64_e32 v[162:163], v[6:7], v[20:21]
	v_add_f64_e32 v[158:159], v[170:171], v[168:169]
	v_fma_f64 v[168:169], v[4:5], v[20:21], -v[22:23]
	ds_load_b128 v[4:7], v2 offset:1232
	s_wait_loadcnt_dscnt 0xa01
	v_mul_f64_e32 v[166:167], v[148:149], v[26:27]
	v_mul_f64_e32 v[26:27], v[150:151], v[26:27]
	scratch_load_b128 v[20:23], off, off offset:672
	v_add_f64_e32 v[160:161], v[160:161], v[164:165]
	s_wait_loadcnt_dscnt 0xa00
	v_mul_f64_e32 v[164:165], v[4:5], v[30:31]
	v_add_f64_e32 v[170:171], v[158:159], v[156:157]
	v_mul_f64_e32 v[30:31], v[6:7], v[30:31]
	ds_load_b128 v[156:159], v2 offset:1248
	v_fmac_f64_e32 v[166:167], v[150:151], v[24:25]
	v_fma_f64 v[148:149], v[148:149], v[24:25], -v[26:27]
	scratch_load_b128 v[24:27], off, off offset:688
	v_add_f64_e32 v[160:161], v[160:161], v[162:163]
	v_fmac_f64_e32 v[164:165], v[6:7], v[28:29]
	v_add_f64_e32 v[150:151], v[170:171], v[168:169]
	v_fma_f64 v[168:169], v[4:5], v[28:29], -v[30:31]
	ds_load_b128 v[4:7], v2 offset:1264
	s_wait_loadcnt_dscnt 0xa01
	v_mul_f64_e32 v[162:163], v[156:157], v[126:127]
	v_mul_f64_e32 v[126:127], v[158:159], v[126:127]
	scratch_load_b128 v[28:31], off, off offset:704
	v_add_f64_e32 v[160:161], v[160:161], v[166:167]
	s_wait_loadcnt_dscnt 0xa00
	v_mul_f64_e32 v[166:167], v[4:5], v[130:131]
	v_add_f64_e32 v[170:171], v[150:151], v[148:149]
	v_mul_f64_e32 v[130:131], v[6:7], v[130:131]
	ds_load_b128 v[148:151], v2 offset:1280
	v_fmac_f64_e32 v[162:163], v[158:159], v[124:125]
	v_fma_f64 v[124:125], v[156:157], v[124:125], -v[126:127]
	s_wait_loadcnt_dscnt 0x900
	v_mul_f64_e32 v[158:159], v[148:149], v[134:135]
	v_mul_f64_e32 v[134:135], v[150:151], v[134:135]
	v_add_f64_e32 v[156:157], v[160:161], v[164:165]
	v_fmac_f64_e32 v[166:167], v[6:7], v[128:129]
	v_add_f64_e32 v[126:127], v[170:171], v[168:169]
	v_fma_f64 v[128:129], v[4:5], v[128:129], -v[130:131]
	v_fmac_f64_e32 v[158:159], v[150:151], v[132:133]
	v_fma_f64 v[132:133], v[148:149], v[132:133], -v[134:135]
	v_add_f64_e32 v[156:157], v[156:157], v[162:163]
	v_add_f64_e32 v[130:131], v[126:127], v[124:125]
	ds_load_b128 v[4:7], v2 offset:1296
	ds_load_b128 v[124:127], v2 offset:1312
	s_wait_loadcnt_dscnt 0x801
	v_mul_f64_e32 v[160:161], v[4:5], v[142:143]
	v_mul_f64_e32 v[142:143], v[6:7], v[142:143]
	s_wait_loadcnt_dscnt 0x700
	v_mul_f64_e32 v[134:135], v[124:125], v[154:155]
	v_mul_f64_e32 v[148:149], v[126:127], v[154:155]
	v_add_f64_e32 v[128:129], v[130:131], v[128:129]
	v_add_f64_e32 v[130:131], v[156:157], v[166:167]
	v_fmac_f64_e32 v[160:161], v[6:7], v[140:141]
	v_fma_f64 v[140:141], v[4:5], v[140:141], -v[142:143]
	v_fmac_f64_e32 v[134:135], v[126:127], v[152:153]
	v_fma_f64 v[124:125], v[124:125], v[152:153], -v[148:149]
	v_add_f64_e32 v[132:133], v[128:129], v[132:133]
	v_add_f64_e32 v[142:143], v[130:131], v[158:159]
	ds_load_b128 v[4:7], v2 offset:1328
	ds_load_b128 v[128:131], v2 offset:1344
	s_wait_loadcnt_dscnt 0x601
	v_mul_f64_e32 v[150:151], v[4:5], v[138:139]
	v_mul_f64_e32 v[138:139], v[6:7], v[138:139]
	v_add_f64_e32 v[126:127], v[132:133], v[140:141]
	v_add_f64_e32 v[132:133], v[142:143], v[160:161]
	s_wait_loadcnt_dscnt 0x500
	v_mul_f64_e32 v[140:141], v[128:129], v[10:11]
	v_mul_f64_e32 v[10:11], v[130:131], v[10:11]
	v_fmac_f64_e32 v[150:151], v[6:7], v[136:137]
	v_fma_f64 v[136:137], v[4:5], v[136:137], -v[138:139]
	v_add_f64_e32 v[138:139], v[126:127], v[124:125]
	v_add_f64_e32 v[132:133], v[132:133], v[134:135]
	ds_load_b128 v[4:7], v2 offset:1360
	ds_load_b128 v[124:127], v2 offset:1376
	v_fmac_f64_e32 v[140:141], v[130:131], v[8:9]
	v_fma_f64 v[8:9], v[128:129], v[8:9], -v[10:11]
	s_wait_loadcnt_dscnt 0x401
	v_mul_f64_e32 v[134:135], v[4:5], v[14:15]
	v_mul_f64_e32 v[14:15], v[6:7], v[14:15]
	s_wait_loadcnt_dscnt 0x300
	v_mul_f64_e32 v[130:131], v[124:125], v[18:19]
	v_mul_f64_e32 v[18:19], v[126:127], v[18:19]
	v_add_f64_e32 v[10:11], v[138:139], v[136:137]
	v_add_f64_e32 v[128:129], v[132:133], v[150:151]
	v_fmac_f64_e32 v[134:135], v[6:7], v[12:13]
	v_fma_f64 v[12:13], v[4:5], v[12:13], -v[14:15]
	v_fmac_f64_e32 v[130:131], v[126:127], v[16:17]
	v_fma_f64 v[16:17], v[124:125], v[16:17], -v[18:19]
	v_add_f64_e32 v[14:15], v[10:11], v[8:9]
	v_add_f64_e32 v[128:129], v[128:129], v[140:141]
	ds_load_b128 v[4:7], v2 offset:1392
	ds_load_b128 v[8:11], v2 offset:1408
	s_wait_loadcnt_dscnt 0x201
	v_mul_f64_e32 v[132:133], v[4:5], v[22:23]
	v_mul_f64_e32 v[22:23], v[6:7], v[22:23]
	s_wait_loadcnt_dscnt 0x100
	v_mul_f64_e32 v[18:19], v[8:9], v[26:27]
	v_mul_f64_e32 v[26:27], v[10:11], v[26:27]
	v_add_f64_e32 v[12:13], v[14:15], v[12:13]
	v_add_f64_e32 v[14:15], v[128:129], v[134:135]
	v_fmac_f64_e32 v[132:133], v[6:7], v[20:21]
	v_fma_f64 v[20:21], v[4:5], v[20:21], -v[22:23]
	ds_load_b128 v[4:7], v2 offset:1424
	v_fmac_f64_e32 v[18:19], v[10:11], v[24:25]
	v_fma_f64 v[8:9], v[8:9], v[24:25], -v[26:27]
	v_add_f64_e32 v[12:13], v[12:13], v[16:17]
	v_add_f64_e32 v[14:15], v[14:15], v[130:131]
	s_wait_loadcnt_dscnt 0x0
	v_mul_f64_e32 v[16:17], v[4:5], v[30:31]
	v_mul_f64_e32 v[22:23], v[6:7], v[30:31]
	s_delay_alu instid0(VALU_DEP_4) | instskip(NEXT) | instid1(VALU_DEP_4)
	v_add_f64_e32 v[10:11], v[12:13], v[20:21]
	v_add_f64_e32 v[12:13], v[14:15], v[132:133]
	s_delay_alu instid0(VALU_DEP_4) | instskip(NEXT) | instid1(VALU_DEP_4)
	v_fmac_f64_e32 v[16:17], v[6:7], v[28:29]
	v_fma_f64 v[4:5], v[4:5], v[28:29], -v[22:23]
	s_delay_alu instid0(VALU_DEP_4) | instskip(NEXT) | instid1(VALU_DEP_4)
	v_add_f64_e32 v[6:7], v[10:11], v[8:9]
	v_add_f64_e32 v[8:9], v[12:13], v[18:19]
	s_delay_alu instid0(VALU_DEP_2) | instskip(NEXT) | instid1(VALU_DEP_2)
	v_add_f64_e32 v[4:5], v[6:7], v[4:5]
	v_add_f64_e32 v[6:7], v[8:9], v[16:17]
	s_delay_alu instid0(VALU_DEP_2) | instskip(NEXT) | instid1(VALU_DEP_2)
	v_add_f64_e64 v[4:5], v[144:145], -v[4:5]
	v_add_f64_e64 v[6:7], v[146:147], -v[6:7]
	scratch_store_b128 off, v[4:7], off offset:16
	s_wait_xcnt 0x0
	v_cmpx_ne_u32_e32 0, v1
	s_cbranch_execz .LBB44_283
; %bb.282:
	scratch_load_b128 v[6:9], off, off
	v_dual_mov_b32 v3, v2 :: v_dual_mov_b32 v4, v2
	v_mov_b32_e32 v5, v2
	scratch_store_b128 off, v[2:5], off
	s_wait_loadcnt 0x0
	ds_store_b128 v122, v[6:9]
.LBB44_283:
	s_wait_xcnt 0x0
	s_or_b32 exec_lo, exec_lo, s2
	s_wait_storecnt_dscnt 0x0
	s_barrier_signal -1
	s_barrier_wait -1
	s_clause 0x9
	scratch_load_b128 v[4:7], off, off offset:16
	scratch_load_b128 v[8:11], off, off offset:32
	;; [unrolled: 1-line block ×10, first 2 shown]
	ds_load_b128 v[134:137], v2 offset:736
	ds_load_b128 v[142:145], v2 offset:752
	s_clause 0x2
	scratch_load_b128 v[138:141], off, off offset:176
	scratch_load_b128 v[146:149], off, off
	scratch_load_b128 v[150:153], off, off offset:192
	s_and_b32 vcc_lo, exec_lo, s57
	s_wait_loadcnt_dscnt 0xc01
	v_mul_f64_e32 v[154:155], v[136:137], v[6:7]
	v_mul_f64_e32 v[158:159], v[134:135], v[6:7]
	s_wait_loadcnt_dscnt 0xb00
	v_mul_f64_e32 v[160:161], v[142:143], v[10:11]
	v_mul_f64_e32 v[10:11], v[144:145], v[10:11]
	s_delay_alu instid0(VALU_DEP_4) | instskip(NEXT) | instid1(VALU_DEP_4)
	v_fma_f64 v[162:163], v[134:135], v[4:5], -v[154:155]
	v_fmac_f64_e32 v[158:159], v[136:137], v[4:5]
	ds_load_b128 v[4:7], v2 offset:768
	ds_load_b128 v[134:137], v2 offset:784
	scratch_load_b128 v[154:157], off, off offset:208
	v_fmac_f64_e32 v[160:161], v[144:145], v[8:9]
	v_fma_f64 v[142:143], v[142:143], v[8:9], -v[10:11]
	scratch_load_b128 v[8:11], off, off offset:224
	s_wait_loadcnt_dscnt 0xc01
	v_mul_f64_e32 v[164:165], v[4:5], v[14:15]
	v_mul_f64_e32 v[14:15], v[6:7], v[14:15]
	v_add_f64_e32 v[144:145], 0, v[162:163]
	v_add_f64_e32 v[158:159], 0, v[158:159]
	s_wait_loadcnt_dscnt 0xb00
	v_mul_f64_e32 v[162:163], v[134:135], v[18:19]
	v_mul_f64_e32 v[18:19], v[136:137], v[18:19]
	v_fmac_f64_e32 v[164:165], v[6:7], v[12:13]
	v_fma_f64 v[166:167], v[4:5], v[12:13], -v[14:15]
	ds_load_b128 v[4:7], v2 offset:800
	ds_load_b128 v[12:15], v2 offset:816
	v_add_f64_e32 v[168:169], v[144:145], v[142:143]
	v_add_f64_e32 v[158:159], v[158:159], v[160:161]
	scratch_load_b128 v[142:145], off, off offset:240
	v_fmac_f64_e32 v[162:163], v[136:137], v[16:17]
	v_fma_f64 v[134:135], v[134:135], v[16:17], -v[18:19]
	scratch_load_b128 v[16:19], off, off offset:256
	s_wait_loadcnt_dscnt 0xc01
	v_mul_f64_e32 v[160:161], v[4:5], v[22:23]
	v_mul_f64_e32 v[22:23], v[6:7], v[22:23]
	v_add_f64_e32 v[136:137], v[168:169], v[166:167]
	v_add_f64_e32 v[158:159], v[158:159], v[164:165]
	s_wait_loadcnt_dscnt 0xb00
	v_mul_f64_e32 v[164:165], v[12:13], v[26:27]
	v_mul_f64_e32 v[26:27], v[14:15], v[26:27]
	v_fmac_f64_e32 v[160:161], v[6:7], v[20:21]
	v_fma_f64 v[166:167], v[4:5], v[20:21], -v[22:23]
	ds_load_b128 v[4:7], v2 offset:832
	ds_load_b128 v[20:23], v2 offset:848
	v_add_f64_e32 v[168:169], v[136:137], v[134:135]
	v_add_f64_e32 v[158:159], v[158:159], v[162:163]
	scratch_load_b128 v[134:137], off, off offset:272
	s_wait_loadcnt_dscnt 0xb01
	v_mul_f64_e32 v[162:163], v[4:5], v[30:31]
	v_mul_f64_e32 v[30:31], v[6:7], v[30:31]
	v_fmac_f64_e32 v[164:165], v[14:15], v[24:25]
	v_fma_f64 v[24:25], v[12:13], v[24:25], -v[26:27]
	scratch_load_b128 v[12:15], off, off offset:288
	v_add_f64_e32 v[26:27], v[168:169], v[166:167]
	v_add_f64_e32 v[158:159], v[158:159], v[160:161]
	s_wait_loadcnt_dscnt 0xb00
	v_mul_f64_e32 v[160:161], v[20:21], v[124:125]
	v_mul_f64_e32 v[124:125], v[22:23], v[124:125]
	v_fmac_f64_e32 v[162:163], v[6:7], v[28:29]
	v_fma_f64 v[166:167], v[4:5], v[28:29], -v[30:31]
	v_add_f64_e32 v[168:169], v[26:27], v[24:25]
	v_add_f64_e32 v[158:159], v[158:159], v[164:165]
	ds_load_b128 v[4:7], v2 offset:864
	ds_load_b128 v[24:27], v2 offset:880
	scratch_load_b128 v[28:31], off, off offset:304
	v_fmac_f64_e32 v[160:161], v[22:23], v[122:123]
	v_fma_f64 v[122:123], v[20:21], v[122:123], -v[124:125]
	scratch_load_b128 v[20:23], off, off offset:320
	s_wait_loadcnt_dscnt 0xc01
	v_mul_f64_e32 v[164:165], v[4:5], v[128:129]
	v_mul_f64_e32 v[128:129], v[6:7], v[128:129]
	v_add_f64_e32 v[124:125], v[168:169], v[166:167]
	v_add_f64_e32 v[158:159], v[158:159], v[162:163]
	s_wait_loadcnt_dscnt 0xb00
	v_mul_f64_e32 v[162:163], v[24:25], v[132:133]
	v_mul_f64_e32 v[132:133], v[26:27], v[132:133]
	v_fmac_f64_e32 v[164:165], v[6:7], v[126:127]
	v_fma_f64 v[166:167], v[4:5], v[126:127], -v[128:129]
	v_add_f64_e32 v[168:169], v[124:125], v[122:123]
	v_add_f64_e32 v[158:159], v[158:159], v[160:161]
	ds_load_b128 v[4:7], v2 offset:896
	ds_load_b128 v[122:125], v2 offset:912
	scratch_load_b128 v[126:129], off, off offset:336
	v_fmac_f64_e32 v[162:163], v[26:27], v[130:131]
	v_fma_f64 v[130:131], v[24:25], v[130:131], -v[132:133]
	scratch_load_b128 v[24:27], off, off offset:352
	s_wait_loadcnt_dscnt 0xc01
	v_mul_f64_e32 v[160:161], v[4:5], v[140:141]
	v_mul_f64_e32 v[140:141], v[6:7], v[140:141]
	;; [unrolled: 18-line block ×5, first 2 shown]
	v_add_f64_e32 v[152:153], v[168:169], v[166:167]
	v_add_f64_e32 v[158:159], v[158:159], v[164:165]
	s_wait_loadcnt_dscnt 0xa00
	v_mul_f64_e32 v[164:165], v[130:131], v[14:15]
	v_mul_f64_e32 v[14:15], v[132:133], v[14:15]
	v_fmac_f64_e32 v[160:161], v[6:7], v[134:135]
	v_fma_f64 v[166:167], v[4:5], v[134:135], -v[136:137]
	ds_load_b128 v[4:7], v2 offset:1024
	ds_load_b128 v[134:137], v2 offset:1040
	v_add_f64_e32 v[168:169], v[152:153], v[150:151]
	v_add_f64_e32 v[158:159], v[158:159], v[162:163]
	scratch_load_b128 v[150:153], off, off offset:464
	v_fmac_f64_e32 v[164:165], v[132:133], v[12:13]
	v_fma_f64 v[130:131], v[130:131], v[12:13], -v[14:15]
	scratch_load_b128 v[12:15], off, off offset:480
	s_wait_loadcnt_dscnt 0xb01
	v_mul_f64_e32 v[162:163], v[4:5], v[30:31]
	v_mul_f64_e32 v[30:31], v[6:7], v[30:31]
	v_add_f64_e32 v[132:133], v[168:169], v[166:167]
	v_add_f64_e32 v[158:159], v[158:159], v[160:161]
	s_wait_loadcnt_dscnt 0xa00
	v_mul_f64_e32 v[160:161], v[134:135], v[22:23]
	v_mul_f64_e32 v[22:23], v[136:137], v[22:23]
	v_fmac_f64_e32 v[162:163], v[6:7], v[28:29]
	v_fma_f64 v[166:167], v[4:5], v[28:29], -v[30:31]
	ds_load_b128 v[4:7], v2 offset:1056
	ds_load_b128 v[28:31], v2 offset:1072
	v_add_f64_e32 v[168:169], v[132:133], v[130:131]
	v_add_f64_e32 v[158:159], v[158:159], v[164:165]
	scratch_load_b128 v[130:133], off, off offset:496
	s_wait_loadcnt_dscnt 0xa01
	v_mul_f64_e32 v[164:165], v[4:5], v[128:129]
	v_mul_f64_e32 v[128:129], v[6:7], v[128:129]
	v_fmac_f64_e32 v[160:161], v[136:137], v[20:21]
	v_fma_f64 v[134:135], v[134:135], v[20:21], -v[22:23]
	scratch_load_b128 v[20:23], off, off offset:512
	v_add_f64_e32 v[136:137], v[168:169], v[166:167]
	v_add_f64_e32 v[158:159], v[158:159], v[162:163]
	s_wait_loadcnt_dscnt 0xa00
	v_mul_f64_e32 v[162:163], v[28:29], v[26:27]
	v_mul_f64_e32 v[26:27], v[30:31], v[26:27]
	v_fmac_f64_e32 v[164:165], v[6:7], v[126:127]
	v_fma_f64 v[166:167], v[4:5], v[126:127], -v[128:129]
	ds_load_b128 v[4:7], v2 offset:1088
	ds_load_b128 v[126:129], v2 offset:1104
	v_add_f64_e32 v[168:169], v[136:137], v[134:135]
	v_add_f64_e32 v[158:159], v[158:159], v[160:161]
	scratch_load_b128 v[134:137], off, off offset:528
	s_wait_loadcnt_dscnt 0xa01
	v_mul_f64_e32 v[160:161], v[4:5], v[140:141]
	v_mul_f64_e32 v[140:141], v[6:7], v[140:141]
	v_fmac_f64_e32 v[162:163], v[30:31], v[24:25]
	v_fma_f64 v[28:29], v[28:29], v[24:25], -v[26:27]
	scratch_load_b128 v[24:27], off, off offset:544
	v_add_f64_e32 v[30:31], v[168:169], v[166:167]
	v_add_f64_e32 v[158:159], v[158:159], v[164:165]
	s_wait_loadcnt_dscnt 0xa00
	v_mul_f64_e32 v[164:165], v[126:127], v[124:125]
	v_mul_f64_e32 v[124:125], v[128:129], v[124:125]
	v_fmac_f64_e32 v[160:161], v[6:7], v[138:139]
	v_fma_f64 v[166:167], v[4:5], v[138:139], -v[140:141]
	v_add_f64_e32 v[168:169], v[30:31], v[28:29]
	v_add_f64_e32 v[158:159], v[158:159], v[162:163]
	ds_load_b128 v[4:7], v2 offset:1120
	ds_load_b128 v[28:31], v2 offset:1136
	scratch_load_b128 v[138:141], off, off offset:560
	v_fmac_f64_e32 v[164:165], v[128:129], v[122:123]
	v_fma_f64 v[126:127], v[126:127], v[122:123], -v[124:125]
	scratch_load_b128 v[122:125], off, off offset:576
	s_wait_loadcnt_dscnt 0xb01
	v_mul_f64_e32 v[162:163], v[4:5], v[156:157]
	v_mul_f64_e32 v[156:157], v[6:7], v[156:157]
	v_add_f64_e32 v[128:129], v[168:169], v[166:167]
	v_add_f64_e32 v[158:159], v[158:159], v[160:161]
	s_wait_loadcnt_dscnt 0xa00
	v_mul_f64_e32 v[160:161], v[28:29], v[10:11]
	v_mul_f64_e32 v[10:11], v[30:31], v[10:11]
	v_fmac_f64_e32 v[162:163], v[6:7], v[154:155]
	v_fma_f64 v[166:167], v[4:5], v[154:155], -v[156:157]
	v_add_f64_e32 v[168:169], v[128:129], v[126:127]
	v_add_f64_e32 v[158:159], v[158:159], v[164:165]
	ds_load_b128 v[4:7], v2 offset:1152
	ds_load_b128 v[126:129], v2 offset:1168
	scratch_load_b128 v[154:157], off, off offset:592
	v_fmac_f64_e32 v[160:161], v[30:31], v[8:9]
	v_fma_f64 v[28:29], v[28:29], v[8:9], -v[10:11]
	scratch_load_b128 v[8:11], off, off offset:608
	s_wait_loadcnt_dscnt 0xb01
	v_mul_f64_e32 v[164:165], v[4:5], v[144:145]
	v_mul_f64_e32 v[144:145], v[6:7], v[144:145]
	;; [unrolled: 18-line block ×5, first 2 shown]
	v_add_f64_e32 v[128:129], v[168:169], v[166:167]
	v_add_f64_e32 v[158:159], v[158:159], v[162:163]
	s_wait_loadcnt_dscnt 0xa00
	v_mul_f64_e32 v[162:163], v[28:29], v[26:27]
	v_mul_f64_e32 v[26:27], v[30:31], v[26:27]
	v_fmac_f64_e32 v[164:165], v[6:7], v[134:135]
	v_fma_f64 v[134:135], v[4:5], v[134:135], -v[136:137]
	v_add_f64_e32 v[136:137], v[128:129], v[126:127]
	v_add_f64_e32 v[158:159], v[158:159], v[160:161]
	ds_load_b128 v[4:7], v2 offset:1280
	ds_load_b128 v[126:129], v2 offset:1296
	v_fmac_f64_e32 v[162:163], v[30:31], v[24:25]
	v_fma_f64 v[24:25], v[28:29], v[24:25], -v[26:27]
	s_wait_loadcnt_dscnt 0x901
	v_mul_f64_e32 v[160:161], v[4:5], v[140:141]
	v_mul_f64_e32 v[140:141], v[6:7], v[140:141]
	s_wait_loadcnt_dscnt 0x800
	v_mul_f64_e32 v[30:31], v[126:127], v[124:125]
	v_mul_f64_e32 v[124:125], v[128:129], v[124:125]
	v_add_f64_e32 v[26:27], v[136:137], v[134:135]
	v_add_f64_e32 v[28:29], v[158:159], v[164:165]
	v_fmac_f64_e32 v[160:161], v[6:7], v[138:139]
	v_fma_f64 v[134:135], v[4:5], v[138:139], -v[140:141]
	v_fmac_f64_e32 v[30:31], v[128:129], v[122:123]
	v_fma_f64 v[122:123], v[126:127], v[122:123], -v[124:125]
	v_add_f64_e32 v[136:137], v[26:27], v[24:25]
	v_add_f64_e32 v[28:29], v[28:29], v[162:163]
	ds_load_b128 v[4:7], v2 offset:1312
	ds_load_b128 v[24:27], v2 offset:1328
	s_wait_loadcnt_dscnt 0x701
	v_mul_f64_e32 v[138:139], v[4:5], v[156:157]
	v_mul_f64_e32 v[140:141], v[6:7], v[156:157]
	s_wait_loadcnt_dscnt 0x600
	v_mul_f64_e32 v[126:127], v[24:25], v[10:11]
	v_mul_f64_e32 v[10:11], v[26:27], v[10:11]
	v_add_f64_e32 v[124:125], v[136:137], v[134:135]
	v_add_f64_e32 v[28:29], v[28:29], v[160:161]
	v_fmac_f64_e32 v[138:139], v[6:7], v[154:155]
	v_fma_f64 v[128:129], v[4:5], v[154:155], -v[140:141]
	v_fmac_f64_e32 v[126:127], v[26:27], v[8:9]
	v_fma_f64 v[8:9], v[24:25], v[8:9], -v[10:11]
	v_lshl_add_u64 v[140:141], v[40:41], 4, s[4:5]
	v_lshl_add_u64 v[40:41], v[92:93], 4, s[4:5]
	v_add_f64_e32 v[122:123], v[124:125], v[122:123]
	v_add_f64_e32 v[124:125], v[28:29], v[30:31]
	ds_load_b128 v[4:7], v2 offset:1344
	ds_load_b128 v[28:31], v2 offset:1360
	s_wait_loadcnt_dscnt 0x501
	v_mul_f64_e32 v[134:135], v[4:5], v[144:145]
	v_mul_f64_e32 v[136:137], v[6:7], v[144:145]
	s_wait_loadcnt_dscnt 0x400
	v_mul_f64_e32 v[26:27], v[28:29], v[18:19]
	v_mul_f64_e32 v[18:19], v[30:31], v[18:19]
	v_add_f64_e32 v[10:11], v[122:123], v[128:129]
	v_add_f64_e32 v[24:25], v[124:125], v[138:139]
	v_lshl_add_u64 v[138:139], v[38:39], 4, s[4:5]
	v_lshl_add_u64 v[38:39], v[90:91], 4, s[4:5]
	v_fmac_f64_e32 v[134:135], v[6:7], v[142:143]
	v_fma_f64 v[122:123], v[4:5], v[142:143], -v[136:137]
	v_fmac_f64_e32 v[26:27], v[30:31], v[16:17]
	v_fma_f64 v[16:17], v[28:29], v[16:17], -v[18:19]
	v_lshl_add_u64 v[142:143], v[36:37], 4, s[4:5]
	v_lshl_add_u64 v[136:137], v[42:43], 4, s[4:5]
	;; [unrolled: 1-line block ×4, first 2 shown]
	v_add_f64_e32 v[124:125], v[10:11], v[8:9]
	v_add_f64_e32 v[24:25], v[24:25], v[126:127]
	ds_load_b128 v[4:7], v2 offset:1376
	ds_load_b128 v[8:11], v2 offset:1392
	s_wait_loadcnt_dscnt 0x301
	v_mul_f64_e32 v[126:127], v[4:5], v[152:153]
	v_mul_f64_e32 v[128:129], v[6:7], v[152:153]
	s_wait_loadcnt_dscnt 0x200
	v_mul_f64_e32 v[28:29], v[8:9], v[14:15]
	v_mul_f64_e32 v[30:31], v[10:11], v[14:15]
	v_add_f64_e32 v[18:19], v[124:125], v[122:123]
	v_add_f64_e32 v[24:25], v[24:25], v[134:135]
	v_lshl_add_u64 v[134:135], v[44:45], 4, s[4:5]
	v_lshl_add_u64 v[124:125], v[56:57], 4, s[4:5]
	v_lshl_add_u64 v[44:45], v[96:97], 4, s[4:5]
	v_lshl_add_u64 v[56:57], v[108:109], 4, s[4:5]
	v_fmac_f64_e32 v[126:127], v[6:7], v[150:151]
	v_fma_f64 v[122:123], v[4:5], v[150:151], -v[128:129]
	v_fmac_f64_e32 v[28:29], v[10:11], v[12:13]
	v_fma_f64 v[8:9], v[8:9], v[12:13], -v[30:31]
	v_lshl_add_u64 v[128:129], v[50:51], 4, s[4:5]
	v_lshl_add_u64 v[30:31], v[86:87], 4, s[4:5]
	;; [unrolled: 1-line block ×3, first 2 shown]
	v_add_f64_e32 v[18:19], v[18:19], v[16:17]
	v_add_f64_e32 v[24:25], v[24:25], v[26:27]
	ds_load_b128 v[4:7], v2 offset:1408
	ds_load_b128 v[14:17], v2 offset:1424
	s_wait_loadcnt_dscnt 0x101
	v_mul_f64_e32 v[2:3], v[4:5], v[132:133]
	v_mul_f64_e32 v[26:27], v[6:7], v[132:133]
	v_lshl_add_u64 v[132:133], v[48:49], 4, s[4:5]
	v_lshl_add_u64 v[48:49], v[100:101], 4, s[4:5]
	v_add_f64_e32 v[10:11], v[18:19], v[122:123]
	v_add_f64_e32 v[12:13], v[24:25], v[126:127]
	s_wait_loadcnt_dscnt 0x0
	v_mul_f64_e32 v[18:19], v[14:15], v[22:23]
	v_mul_f64_e32 v[22:23], v[16:17], v[22:23]
	v_lshl_add_u64 v[126:127], v[52:53], 4, s[4:5]
	v_lshl_add_u64 v[122:123], v[54:55], 4, s[4:5]
	;; [unrolled: 1-line block ×5, first 2 shown]
	v_fmac_f64_e32 v[2:3], v[6:7], v[130:131]
	v_fma_f64 v[4:5], v[4:5], v[130:131], -v[26:27]
	v_lshl_add_u64 v[130:131], v[46:47], 4, s[4:5]
	v_lshl_add_u64 v[26:27], v[82:83], 4, s[4:5]
	;; [unrolled: 1-line block ×3, first 2 shown]
	v_add_f64_e32 v[6:7], v[10:11], v[8:9]
	v_add_f64_e32 v[8:9], v[12:13], v[28:29]
	v_fmac_f64_e32 v[18:19], v[16:17], v[20:21]
	v_fma_f64 v[10:11], v[14:15], v[20:21], -v[22:23]
	v_lshl_add_u64 v[12:13], v[68:69], 4, s[4:5]
	v_lshl_add_u64 v[14:15], v[70:71], 4, s[4:5]
	;; [unrolled: 1-line block ×7, first 2 shown]
	v_add_f64_e32 v[4:5], v[6:7], v[4:5]
	v_add_f64_e32 v[2:3], v[8:9], v[2:3]
	s_delay_alu instid0(VALU_DEP_2) | instskip(NEXT) | instid1(VALU_DEP_2)
	v_add_f64_e32 v[6:7], v[4:5], v[10:11]
	v_add_f64_e32 v[8:9], v[2:3], v[18:19]
	v_lshl_add_u64 v[4:5], v[58:59], 4, s[4:5]
	v_lshl_add_u64 v[2:3], v[60:61], 4, s[4:5]
	;; [unrolled: 1-line block ×7, first 2 shown]
	v_add_f64_e64 v[144:145], v[146:147], -v[6:7]
	v_add_f64_e64 v[146:147], v[148:149], -v[8:9]
	v_lshl_add_u64 v[6:7], v[62:63], 4, s[4:5]
	v_lshl_add_u64 v[8:9], v[64:65], 4, s[4:5]
	;; [unrolled: 1-line block ×4, first 2 shown]
	scratch_store_b128 off, v[144:147], off
	s_cbranch_vccz .LBB44_372
; %bb.284:
	v_mov_b32_e32 v70, 0
	s_load_b64 s[2:3], s[0:1], 0x4
	v_bfe_u32 v72, v0, 10, 10
	v_bfe_u32 v0, v0, 20, 10
	global_load_b32 v71, v70, s[16:17] offset:172
	s_wait_kmcnt 0x0
	s_lshr_b32 s0, s2, 16
	v_mul_u32_u24_e32 v72, s3, v72
	s_mul_i32 s0, s0, s3
	s_delay_alu instid0(SALU_CYCLE_1) | instskip(NEXT) | instid1(VALU_DEP_1)
	v_mul_u32_u24_e32 v1, s0, v1
	v_add3_u32 v0, v1, v72, v0
	s_delay_alu instid0(VALU_DEP_1)
	v_lshl_add_u32 v0, v0, 4, 0x5a8
	s_wait_loadcnt 0x0
	v_cmp_ne_u32_e32 vcc_lo, 44, v71
	s_cbranch_vccz .LBB44_286
; %bb.285:
	v_lshlrev_b32_e32 v1, 4, v71
	s_clause 0x1
	scratch_load_b128 v[72:75], off, s15
	scratch_load_b128 v[76:79], v1, off offset:-16
	s_wait_loadcnt 0x1
	ds_store_2addr_b64 v0, v[72:73], v[74:75] offset1:1
	s_wait_loadcnt 0x0
	s_clause 0x1
	scratch_store_b128 off, v[76:79], s15
	scratch_store_b128 v1, v[72:75], off offset:-16
.LBB44_286:
	global_load_b32 v1, v70, s[16:17] offset:168
	s_wait_loadcnt 0x0
	v_cmp_eq_u32_e32 vcc_lo, 43, v1
	s_cbranch_vccnz .LBB44_288
; %bb.287:
	v_lshlrev_b32_e32 v1, 4, v1
	s_clause 0x1
	scratch_load_b128 v[70:73], off, s24
	scratch_load_b128 v[74:77], v1, off offset:-16
	s_wait_loadcnt 0x1
	ds_store_2addr_b64 v0, v[70:71], v[72:73] offset1:1
	s_wait_loadcnt 0x0
	s_clause 0x1
	scratch_store_b128 off, v[74:77], s24
	scratch_store_b128 v1, v[70:73], off offset:-16
.LBB44_288:
	s_wait_xcnt 0x0
	v_mov_b32_e32 v1, 0
	global_load_b32 v70, v1, s[16:17] offset:164
	s_wait_loadcnt 0x0
	v_cmp_eq_u32_e32 vcc_lo, 42, v70
	s_cbranch_vccnz .LBB44_290
; %bb.289:
	v_lshlrev_b32_e32 v70, 4, v70
	s_delay_alu instid0(VALU_DEP_1)
	v_mov_b32_e32 v78, v70
	s_clause 0x1
	scratch_load_b128 v[70:73], off, s8
	scratch_load_b128 v[74:77], v78, off offset:-16
	s_wait_loadcnt 0x1
	ds_store_2addr_b64 v0, v[70:71], v[72:73] offset1:1
	s_wait_loadcnt 0x0
	s_clause 0x1
	scratch_store_b128 off, v[74:77], s8
	scratch_store_b128 v78, v[70:73], off offset:-16
.LBB44_290:
	global_load_b32 v1, v1, s[16:17] offset:160
	s_wait_loadcnt 0x0
	v_cmp_eq_u32_e32 vcc_lo, 41, v1
	s_cbranch_vccnz .LBB44_292
; %bb.291:
	s_wait_xcnt 0x0
	v_lshlrev_b32_e32 v1, 4, v1
	s_clause 0x1
	scratch_load_b128 v[70:73], off, s10
	scratch_load_b128 v[74:77], v1, off offset:-16
	s_wait_loadcnt 0x1
	ds_store_2addr_b64 v0, v[70:71], v[72:73] offset1:1
	s_wait_loadcnt 0x0
	s_clause 0x1
	scratch_store_b128 off, v[74:77], s10
	scratch_store_b128 v1, v[70:73], off offset:-16
.LBB44_292:
	s_wait_xcnt 0x0
	v_mov_b32_e32 v1, 0
	global_load_b32 v70, v1, s[16:17] offset:156
	s_wait_loadcnt 0x0
	v_cmp_eq_u32_e32 vcc_lo, 40, v70
	s_cbranch_vccnz .LBB44_294
; %bb.293:
	v_lshlrev_b32_e32 v70, 4, v70
	s_delay_alu instid0(VALU_DEP_1)
	v_mov_b32_e32 v78, v70
	s_clause 0x1
	scratch_load_b128 v[70:73], off, s9
	scratch_load_b128 v[74:77], v78, off offset:-16
	s_wait_loadcnt 0x1
	ds_store_2addr_b64 v0, v[70:71], v[72:73] offset1:1
	s_wait_loadcnt 0x0
	s_clause 0x1
	scratch_store_b128 off, v[74:77], s9
	scratch_store_b128 v78, v[70:73], off offset:-16
.LBB44_294:
	global_load_b32 v1, v1, s[16:17] offset:152
	s_wait_loadcnt 0x0
	v_cmp_eq_u32_e32 vcc_lo, 39, v1
	s_cbranch_vccnz .LBB44_296
; %bb.295:
	s_wait_xcnt 0x0
	v_lshlrev_b32_e32 v1, 4, v1
	s_clause 0x1
	scratch_load_b128 v[70:73], off, s12
	scratch_load_b128 v[74:77], v1, off offset:-16
	s_wait_loadcnt 0x1
	ds_store_2addr_b64 v0, v[70:71], v[72:73] offset1:1
	s_wait_loadcnt 0x0
	s_clause 0x1
	scratch_store_b128 off, v[74:77], s12
	scratch_store_b128 v1, v[70:73], off offset:-16
.LBB44_296:
	;; [unrolled: 37-line block ×20, first 2 shown]
	s_wait_xcnt 0x0
	v_mov_b32_e32 v1, 0
	global_load_b32 v70, v1, s[16:17] offset:4
	s_wait_loadcnt 0x0
	v_cmp_eq_u32_e32 vcc_lo, 2, v70
	s_cbranch_vccnz .LBB44_370
; %bb.369:
	v_lshlrev_b32_e32 v70, 4, v70
	s_delay_alu instid0(VALU_DEP_1)
	v_mov_b32_e32 v78, v70
	s_clause 0x1
	scratch_load_b128 v[70:73], off, s45
	scratch_load_b128 v[74:77], v78, off offset:-16
	s_wait_loadcnt 0x1
	ds_store_2addr_b64 v0, v[70:71], v[72:73] offset1:1
	s_wait_loadcnt 0x0
	s_clause 0x1
	scratch_store_b128 off, v[74:77], s45
	scratch_store_b128 v78, v[70:73], off offset:-16
.LBB44_370:
	global_load_b32 v1, v1, s[16:17]
	s_wait_loadcnt 0x0
	v_cmp_eq_u32_e32 vcc_lo, 1, v1
	s_cbranch_vccnz .LBB44_372
; %bb.371:
	s_wait_xcnt 0x0
	v_lshlrev_b32_e32 v1, 4, v1
	scratch_load_b128 v[70:73], off, off
	scratch_load_b128 v[74:77], v1, off offset:-16
	s_wait_loadcnt 0x1
	ds_store_2addr_b64 v0, v[70:71], v[72:73] offset1:1
	s_wait_loadcnt 0x0
	scratch_store_b128 off, v[74:77], off
	scratch_store_b128 v1, v[70:73], off offset:-16
.LBB44_372:
	scratch_load_b128 v[70:73], off, off
	s_clause 0x15
	scratch_load_b128 v[74:77], off, s45
	scratch_load_b128 v[78:81], off, s35
	;; [unrolled: 1-line block ×15, first 2 shown]
	; meta instruction
	; meta instruction
	;; [unrolled: 1-line block ×15, first 2 shown]
	scratch_load_b128 v[156:159], off, s36
	scratch_load_b128 v[160:163], off, s37
	;; [unrolled: 1-line block ×7, first 2 shown]
	s_wait_loadcnt 0x16
	global_store_b128 v[32:33], v[70:73], off
	s_clause 0x1
	scratch_load_b128 v[70:73], off, s33
	scratch_load_b128 v[184:187], off, s34
	s_wait_loadcnt 0x17
	global_store_b128 v[34:35], v[74:77], off
	s_clause 0x1
	scratch_load_b128 v[32:35], off, s30
	scratch_load_b128 v[74:77], off, s31
	s_wait_loadcnt 0x18
	global_store_b128 v[142:143], v[78:81], off
	s_clause 0x1
	scratch_load_b128 v[78:81], off, s28
	scratch_load_b128 v[188:191], off, s29
	s_wait_loadcnt 0x19
	global_store_b128 v[138:139], v[82:85], off
	s_wait_loadcnt 0x18
	global_store_b128 v[140:141], v[86:89], off
	s_clause 0x1
	scratch_load_b128 v[82:85], off, s26
	scratch_load_b128 v[86:89], off, s27
	s_wait_loadcnt 0x19
	global_store_b128 v[136:137], v[90:93], off
	s_clause 0x1
	scratch_load_b128 v[90:93], off, s23
	scratch_load_b128 v[136:139], off, s25
	s_wait_loadcnt 0x1a
	global_store_b128 v[134:135], v[94:97], off
	s_clause 0x1
	scratch_load_b128 v[94:97], off, s20
	scratch_load_b128 v[140:143], off, s21
	s_wait_loadcnt 0x1b
	global_store_b128 v[130:131], v[98:101], off
	;; [unrolled: 17-line block ×3, first 2 shown]
	s_wait_loadcnt 0x1c
	global_store_b128 v[124:125], v[118:121], off
	s_clause 0x1
	scratch_load_b128 v[114:117], off, s8
	scratch_load_b128 v[118:121], off, s24
	s_wait_loadcnt 0x1d
	global_store_b128 v[4:5], v[144:147], off
	s_clause 0x1
	scratch_load_b128 v[122:125], off, s15
	scratch_load_b128 v[144:147], off, s22
	s_wait_loadcnt 0x1e
	global_store_b128 v[2:3], v[148:151], off
	s_wait_loadcnt 0x1d
	global_store_b128 v[6:7], v[152:155], off
	;; [unrolled: 2-line block ×31, first 2 shown]
	s_sendmsg sendmsg(MSG_DEALLOC_VGPRS)
	s_endpgm
	.section	.rodata,"a",@progbits
	.p2align	6, 0x0
	.amdhsa_kernel _ZN9rocsolver6v33100L18getri_kernel_smallILi45E19rocblas_complex_numIdEPS3_EEvT1_iilPiilS6_bb
		.amdhsa_group_segment_fixed_size 2472
		.amdhsa_private_segment_fixed_size 736
		.amdhsa_kernarg_size 60
		.amdhsa_user_sgpr_count 4
		.amdhsa_user_sgpr_dispatch_ptr 1
		.amdhsa_user_sgpr_queue_ptr 0
		.amdhsa_user_sgpr_kernarg_segment_ptr 1
		.amdhsa_user_sgpr_dispatch_id 0
		.amdhsa_user_sgpr_kernarg_preload_length 0
		.amdhsa_user_sgpr_kernarg_preload_offset 0
		.amdhsa_user_sgpr_private_segment_size 0
		.amdhsa_wavefront_size32 1
		.amdhsa_uses_dynamic_stack 0
		.amdhsa_enable_private_segment 1
		.amdhsa_system_sgpr_workgroup_id_x 1
		.amdhsa_system_sgpr_workgroup_id_y 0
		.amdhsa_system_sgpr_workgroup_id_z 0
		.amdhsa_system_sgpr_workgroup_info 0
		.amdhsa_system_vgpr_workitem_id 2
		.amdhsa_next_free_vgpr 196
		.amdhsa_next_free_sgpr 77
		.amdhsa_named_barrier_count 0
		.amdhsa_reserve_vcc 1
		.amdhsa_float_round_mode_32 0
		.amdhsa_float_round_mode_16_64 0
		.amdhsa_float_denorm_mode_32 3
		.amdhsa_float_denorm_mode_16_64 3
		.amdhsa_fp16_overflow 0
		.amdhsa_memory_ordered 1
		.amdhsa_forward_progress 1
		.amdhsa_inst_pref_size 255
		.amdhsa_round_robin_scheduling 0
		.amdhsa_exception_fp_ieee_invalid_op 0
		.amdhsa_exception_fp_denorm_src 0
		.amdhsa_exception_fp_ieee_div_zero 0
		.amdhsa_exception_fp_ieee_overflow 0
		.amdhsa_exception_fp_ieee_underflow 0
		.amdhsa_exception_fp_ieee_inexact 0
		.amdhsa_exception_int_div_zero 0
	.end_amdhsa_kernel
	.section	.text._ZN9rocsolver6v33100L18getri_kernel_smallILi45E19rocblas_complex_numIdEPS3_EEvT1_iilPiilS6_bb,"axG",@progbits,_ZN9rocsolver6v33100L18getri_kernel_smallILi45E19rocblas_complex_numIdEPS3_EEvT1_iilPiilS6_bb,comdat
.Lfunc_end44:
	.size	_ZN9rocsolver6v33100L18getri_kernel_smallILi45E19rocblas_complex_numIdEPS3_EEvT1_iilPiilS6_bb, .Lfunc_end44-_ZN9rocsolver6v33100L18getri_kernel_smallILi45E19rocblas_complex_numIdEPS3_EEvT1_iilPiilS6_bb
                                        ; -- End function
	.set _ZN9rocsolver6v33100L18getri_kernel_smallILi45E19rocblas_complex_numIdEPS3_EEvT1_iilPiilS6_bb.num_vgpr, 196
	.set _ZN9rocsolver6v33100L18getri_kernel_smallILi45E19rocblas_complex_numIdEPS3_EEvT1_iilPiilS6_bb.num_agpr, 0
	.set _ZN9rocsolver6v33100L18getri_kernel_smallILi45E19rocblas_complex_numIdEPS3_EEvT1_iilPiilS6_bb.numbered_sgpr, 77
	.set _ZN9rocsolver6v33100L18getri_kernel_smallILi45E19rocblas_complex_numIdEPS3_EEvT1_iilPiilS6_bb.num_named_barrier, 0
	.set _ZN9rocsolver6v33100L18getri_kernel_smallILi45E19rocblas_complex_numIdEPS3_EEvT1_iilPiilS6_bb.private_seg_size, 736
	.set _ZN9rocsolver6v33100L18getri_kernel_smallILi45E19rocblas_complex_numIdEPS3_EEvT1_iilPiilS6_bb.uses_vcc, 1
	.set _ZN9rocsolver6v33100L18getri_kernel_smallILi45E19rocblas_complex_numIdEPS3_EEvT1_iilPiilS6_bb.uses_flat_scratch, 1
	.set _ZN9rocsolver6v33100L18getri_kernel_smallILi45E19rocblas_complex_numIdEPS3_EEvT1_iilPiilS6_bb.has_dyn_sized_stack, 0
	.set _ZN9rocsolver6v33100L18getri_kernel_smallILi45E19rocblas_complex_numIdEPS3_EEvT1_iilPiilS6_bb.has_recursion, 0
	.set _ZN9rocsolver6v33100L18getri_kernel_smallILi45E19rocblas_complex_numIdEPS3_EEvT1_iilPiilS6_bb.has_indirect_call, 0
	.section	.AMDGPU.csdata,"",@progbits
; Kernel info:
; codeLenInByte = 79592
; TotalNumSgprs: 79
; NumVgprs: 196
; ScratchSize: 736
; MemoryBound: 0
; FloatMode: 240
; IeeeMode: 1
; LDSByteSize: 2472 bytes/workgroup (compile time only)
; SGPRBlocks: 0
; VGPRBlocks: 12
; NumSGPRsForWavesPerEU: 79
; NumVGPRsForWavesPerEU: 196
; NamedBarCnt: 0
; Occupancy: 4
; WaveLimiterHint : 1
; COMPUTE_PGM_RSRC2:SCRATCH_EN: 1
; COMPUTE_PGM_RSRC2:USER_SGPR: 4
; COMPUTE_PGM_RSRC2:TRAP_HANDLER: 0
; COMPUTE_PGM_RSRC2:TGID_X_EN: 1
; COMPUTE_PGM_RSRC2:TGID_Y_EN: 0
; COMPUTE_PGM_RSRC2:TGID_Z_EN: 0
; COMPUTE_PGM_RSRC2:TIDIG_COMP_CNT: 2
	.section	.text._ZN9rocsolver6v33100L18getri_kernel_smallILi46E19rocblas_complex_numIdEPS3_EEvT1_iilPiilS6_bb,"axG",@progbits,_ZN9rocsolver6v33100L18getri_kernel_smallILi46E19rocblas_complex_numIdEPS3_EEvT1_iilPiilS6_bb,comdat
	.globl	_ZN9rocsolver6v33100L18getri_kernel_smallILi46E19rocblas_complex_numIdEPS3_EEvT1_iilPiilS6_bb ; -- Begin function _ZN9rocsolver6v33100L18getri_kernel_smallILi46E19rocblas_complex_numIdEPS3_EEvT1_iilPiilS6_bb
	.p2align	8
	.type	_ZN9rocsolver6v33100L18getri_kernel_smallILi46E19rocblas_complex_numIdEPS3_EEvT1_iilPiilS6_bb,@function
_ZN9rocsolver6v33100L18getri_kernel_smallILi46E19rocblas_complex_numIdEPS3_EEvT1_iilPiilS6_bb: ; @_ZN9rocsolver6v33100L18getri_kernel_smallILi46E19rocblas_complex_numIdEPS3_EEvT1_iilPiilS6_bb
; %bb.0:
	v_and_b32_e32 v1, 0x3ff, v0
	s_mov_b32 s4, exec_lo
	s_delay_alu instid0(VALU_DEP_1)
	v_cmpx_gt_u32_e32 46, v1
	s_cbranch_execz .LBB45_198
; %bb.1:
	s_clause 0x2
	s_load_b32 s8, s[2:3], 0x38
	s_load_b128 s[12:15], s[2:3], 0x10
	s_load_b128 s[4:7], s[2:3], 0x28
	s_getreg_b32 s11, hwreg(HW_REG_IB_STS2, 6, 4)
                                        ; implicit-def: $sgpr16_sgpr17
	s_wait_kmcnt 0x0
	s_bitcmp1_b32 s8, 8
	s_cselect_b32 s58, -1, 0
	s_bfe_u32 s9, ttmp6, 0x4000c
	s_and_b32 s10, ttmp6, 15
	s_add_co_i32 s9, s9, 1
	s_delay_alu instid0(SALU_CYCLE_1) | instskip(NEXT) | instid1(SALU_CYCLE_1)
	s_mul_i32 s9, ttmp9, s9
	s_add_co_i32 s10, s10, s9
	s_cmp_eq_u32 s11, 0
	s_cselect_b32 s18, ttmp9, s10
	s_bfe_u32 s8, s8, 0x10008
	s_ashr_i32 s19, s18, 31
	s_cmp_eq_u32 s8, 0
	s_cbranch_scc1 .LBB45_3
; %bb.2:
	s_load_b32 s8, s[2:3], 0x20
	s_mul_u64 s[4:5], s[4:5], s[18:19]
	s_delay_alu instid0(SALU_CYCLE_1) | instskip(NEXT) | instid1(SALU_CYCLE_1)
	s_lshl_b64 s[4:5], s[4:5], 2
	s_add_nc_u64 s[4:5], s[14:15], s[4:5]
	s_wait_kmcnt 0x0
	s_ashr_i32 s9, s8, 31
	s_delay_alu instid0(SALU_CYCLE_1) | instskip(NEXT) | instid1(SALU_CYCLE_1)
	s_lshl_b64 s[8:9], s[8:9], 2
	s_add_nc_u64 s[16:17], s[4:5], s[8:9]
.LBB45_3:
	s_clause 0x1
	s_load_b128 s[8:11], s[2:3], 0x0
	s_load_b32 s59, s[2:3], 0x38
	s_wait_xcnt 0x0
	s_mul_u64 s[2:3], s[12:13], s[18:19]
	s_movk_i32 s42, 0x1b0
	s_lshl_b64 s[2:3], s[2:3], 4
	s_movk_i32 s60, 0x1c0
	s_movk_i32 s61, 0x1d0
	s_movk_i32 s62, 0x1e0
	s_movk_i32 s63, 0x1f0
	s_movk_i32 s64, 0x200
	s_movk_i32 s65, 0x210
	s_movk_i32 s66, 0x220
	s_movk_i32 s67, 0x230
	s_movk_i32 s68, 0x240
	s_movk_i32 s69, 0x250
	s_movk_i32 s70, 0x260
	s_movk_i32 s71, 0x270
	s_movk_i32 s72, 0x280
	s_movk_i32 s73, 0x290
	s_movk_i32 s74, 0x2a0
	s_wait_kmcnt 0x0
	v_add3_u32 v36, s11, s11, v1
	s_ashr_i32 s5, s10, 31
	s_mov_b32 s4, s10
	s_add_nc_u64 s[2:3], s[8:9], s[2:3]
	s_lshl_b64 s[4:5], s[4:5], 4
	v_add_nc_u32_e32 v38, s11, v36
	s_add_nc_u64 s[4:5], s[2:3], s[4:5]
	s_ashr_i32 s3, s11, 31
	s_mov_b32 s2, s11
	global_load_b128 v[2:5], v1, s[4:5] scale_offset
	v_add_nc_u32_e32 v40, s11, v38
	s_movk_i32 s75, 0x2b0
	s_movk_i32 s76, 0x2c0
	;; [unrolled: 1-line block ×3, first 2 shown]
	s_mov_b32 s46, 16
	v_add_nc_u32_e32 v42, s11, v40
	s_mov_b32 s43, 32
	s_mov_b32 s44, 48
	;; [unrolled: 1-line block ×3, first 2 shown]
	s_movk_i32 s49, 0x50
	v_add_nc_u32_e32 v44, s11, v42
	s_movk_i32 s51, 0x60
	s_movk_i32 s54, 0x70
	;; [unrolled: 1-line block ×4, first 2 shown]
	v_add_nc_u32_e32 v46, s11, v44
	s_movk_i32 s50, 0xa0
	s_movk_i32 s53, 0xb0
	;; [unrolled: 1-line block ×4, first 2 shown]
	v_dual_add_nc_u32 v48, s11, v46 :: v_dual_lshlrev_b32 v14, 4, v1
	s_movk_i32 s57, 0xe0
	s_movk_i32 s52, 0xf0
	;; [unrolled: 1-line block ×3, first 2 shown]
	s_delay_alu instid0(VALU_DEP_1) | instskip(SKIP_3) | instid1(VALU_DEP_1)
	v_dual_mov_b32 v15, 0 :: v_dual_add_nc_u32 v50, s11, v48
	s_movk_i32 s36, 0x110
	s_movk_i32 s38, 0x120
	;; [unrolled: 1-line block ×3, first 2 shown]
	v_add_nc_u32_e32 v52, s11, v50
	v_add_nc_u64_e32 v[32:33], s[4:5], v[14:15]
	s_movk_i32 s41, 0x140
	s_movk_i32 s37, 0x150
	;; [unrolled: 1-line block ×3, first 2 shown]
	v_add_nc_u32_e32 v54, s11, v52
	s_movk_i32 s33, 0x170
	s_movk_i32 s35, 0x180
	v_lshl_add_u64 v[34:35], s[2:3], 4, v[32:33]
	s_movk_i32 s30, 0x190
	v_add_nc_u32_e32 v56, s11, v54
	s_clause 0x9
	global_load_b128 v[6:9], v36, s[4:5] scale_offset
	global_load_b128 v[10:13], v38, s[4:5] scale_offset
	global_load_b128 v[16:19], v[34:35], off
	global_load_b128 v[20:23], v40, s[4:5] scale_offset
	global_load_b128 v[24:27], v42, s[4:5] scale_offset
	;; [unrolled: 1-line block ×7, first 2 shown]
	v_add_nc_u32_e32 v58, s11, v56
	s_movk_i32 s31, 0x1a0
	s_mov_b32 s26, s42
	s_mov_b32 s27, s60
	;; [unrolled: 1-line block ×3, first 2 shown]
	v_add_nc_u32_e32 v60, s11, v58
	s_mov_b32 s24, s62
	s_mov_b32 s14, s63
	s_mov_b32 s20, s64
	s_mov_b32 s12, s65
	v_add_nc_u32_e32 v62, s11, v60
	s_clause 0x1
	global_load_b128 v[128:131], v54, s[4:5] scale_offset
	global_load_b128 v[132:135], v56, s[4:5] scale_offset
	s_mov_b32 s13, s66
	s_mov_b32 s10, s67
	;; [unrolled: 1-line block ×3, first 2 shown]
	v_add_nc_u32_e32 v64, s11, v62
	s_clause 0x2
	global_load_b128 v[136:139], v58, s[4:5] scale_offset
	global_load_b128 v[140:143], v60, s[4:5] scale_offset
	;; [unrolled: 1-line block ×3, first 2 shown]
	s_mov_b32 s9, s70
	s_mov_b32 s28, s71
	;; [unrolled: 1-line block ×3, first 2 shown]
	v_add_nc_u32_e32 v66, s11, v64
	s_mov_b32 s23, s73
	s_mov_b32 s25, s74
	;; [unrolled: 1-line block ×4, first 2 shown]
	v_add_nc_u32_e32 v68, s11, v66
	s_mov_b32 s42, s77
	s_bitcmp0_b32 s59, 0
	s_mov_b32 s3, -1
	s_delay_alu instid0(VALU_DEP_1) | instskip(NEXT) | instid1(VALU_DEP_1)
	v_add_nc_u32_e32 v70, s11, v68
	v_add_nc_u32_e32 v72, s11, v70
	s_clause 0x1
	global_load_b128 v[148:151], v64, s[4:5] scale_offset
	global_load_b128 v[152:155], v66, s[4:5] scale_offset
	v_add_nc_u32_e32 v74, s11, v72
	s_delay_alu instid0(VALU_DEP_1)
	v_add_nc_u32_e32 v76, s11, v74
	s_clause 0x4
	global_load_b128 v[156:159], v68, s[4:5] scale_offset
	global_load_b128 v[160:163], v70, s[4:5] scale_offset
	;; [unrolled: 1-line block ×5, first 2 shown]
	v_add_nc_u32_e32 v78, s11, v76
	s_delay_alu instid0(VALU_DEP_1) | instskip(NEXT) | instid1(VALU_DEP_1)
	v_add_nc_u32_e32 v80, s11, v78
	v_add_nc_u32_e32 v82, s11, v80
	s_delay_alu instid0(VALU_DEP_1) | instskip(SKIP_2) | instid1(VALU_DEP_1)
	v_add_nc_u32_e32 v84, s11, v82
	global_load_b128 v[176:179], v78, s[4:5] scale_offset
	v_add_nc_u32_e32 v86, s11, v84
	v_add_nc_u32_e32 v88, s11, v86
	s_clause 0x1
	global_load_b128 v[180:183], v80, s[4:5] scale_offset
	global_load_b128 v[184:187], v82, s[4:5] scale_offset
	v_add_nc_u32_e32 v90, s11, v88
	s_delay_alu instid0(VALU_DEP_1) | instskip(NEXT) | instid1(VALU_DEP_1)
	v_add_nc_u32_e32 v92, s11, v90
	v_add_nc_u32_e32 v94, s11, v92
	s_delay_alu instid0(VALU_DEP_1) | instskip(NEXT) | instid1(VALU_DEP_1)
	v_add_nc_u32_e32 v96, s11, v94
	;; [unrolled: 3-line block ×5, first 2 shown]
	v_add_nc_u32_e32 v110, s11, v108
	s_wait_loadcnt 0x19
	scratch_store_b128 off, v[2:5], off
	s_clause 0x1
	global_load_b128 v[2:5], v84, s[4:5] scale_offset
	global_load_b128 v[188:191], v86, s[4:5] scale_offset
	s_wait_loadcnt 0x1a
	scratch_store_b128 off, v[6:9], off offset:32
	s_wait_loadcnt 0x19
	scratch_store_b128 off, v[10:13], off offset:48
	s_clause 0x1
	global_load_b128 v[6:9], v88, s[4:5] scale_offset
	global_load_b128 v[10:13], v90, s[4:5] scale_offset
	s_wait_loadcnt 0x1a
	scratch_store_b128 off, v[16:19], off offset:16
	s_wait_loadcnt 0x19
	scratch_store_b128 off, v[20:23], off offset:64
	;; [unrolled: 2-line block ×3, first 2 shown]
	s_clause 0x1
	global_load_b128 v[16:19], v92, s[4:5] scale_offset
	global_load_b128 v[20:23], v94, s[4:5] scale_offset
	s_wait_loadcnt 0x19
	scratch_store_b128 off, v[28:31], off offset:96
	s_wait_loadcnt 0x18
	scratch_store_b128 off, v[112:115], off offset:112
	s_wait_xcnt 0x0
	v_add_nc_u32_e32 v112, s11, v110
	s_clause 0x1
	global_load_b128 v[24:27], v96, s[4:5] scale_offset
	global_load_b128 v[28:31], v98, s[4:5] scale_offset
	s_wait_loadcnt 0x19
	scratch_store_b128 off, v[116:119], off offset:128
	s_wait_loadcnt 0x18
	scratch_store_b128 off, v[120:123], off offset:144
	;; [unrolled: 2-line block ×3, first 2 shown]
	s_clause 0x1
	global_load_b128 v[124:127], v100, s[4:5] scale_offset
	global_load_b128 v[192:195], v102, s[4:5] scale_offset
	v_add_nc_u32_e32 v114, s11, v112
	s_wait_loadcnt 0x18
	scratch_store_b128 off, v[128:131], off offset:176
	s_wait_loadcnt 0x17
	scratch_store_b128 off, v[132:135], off offset:192
	v_add_nc_u32_e32 v116, s11, v114
	s_clause 0x1
	global_load_b128 v[128:131], v104, s[4:5] scale_offset
	global_load_b128 v[132:135], v106, s[4:5] scale_offset
	s_wait_loadcnt 0x18
	scratch_store_b128 off, v[136:139], off offset:208
	s_wait_loadcnt 0x17
	scratch_store_b128 off, v[140:143], off offset:224
	;; [unrolled: 2-line block ×3, first 2 shown]
	v_add_nc_u32_e32 v118, s11, v116
	s_clause 0x1
	global_load_b128 v[136:139], v108, s[4:5] scale_offset
	global_load_b128 v[140:143], v110, s[4:5] scale_offset
	s_wait_loadcnt 0x17
	scratch_store_b128 off, v[148:151], off offset:256
	s_wait_loadcnt 0x16
	scratch_store_b128 off, v[152:155], off offset:272
	v_add_nc_u32_e32 v120, s11, v118
	s_clause 0x1
	global_load_b128 v[144:147], v112, s[4:5] scale_offset
	global_load_b128 v[148:151], v114, s[4:5] scale_offset
	s_wait_loadcnt 0x17
	scratch_store_b128 off, v[156:159], off offset:288
	s_wait_loadcnt 0x16
	scratch_store_b128 off, v[160:163], off offset:304
	;; [unrolled: 8-line block ×3, first 2 shown]
	s_wait_loadcnt 0x15
	scratch_store_b128 off, v[172:175], off offset:352
	s_clause 0x1
	global_load_b128 v[160:163], v120, s[4:5] scale_offset
	global_load_b128 v[164:167], v122, s[4:5] scale_offset
	s_mov_b32 s11, s68
	s_wait_loadcnt 0x16
	scratch_store_b128 off, v[176:179], off offset:368
	s_wait_loadcnt 0x15
	scratch_store_b128 off, v[180:183], off offset:384
	s_wait_loadcnt 0x14
	scratch_store_b128 off, v[184:187], off offset:400
	s_wait_loadcnt 0x13
	scratch_store_b128 off, v[2:5], off offset:416
	s_wait_loadcnt 0x12
	scratch_store_b128 off, v[188:191], off offset:432
	s_wait_loadcnt 0x11
	scratch_store_b128 off, v[6:9], off offset:448
	s_wait_loadcnt 0x10
	scratch_store_b128 off, v[10:13], off offset:464
	s_wait_loadcnt 0xf
	scratch_store_b128 off, v[16:19], off offset:480
	s_wait_loadcnt 0xe
	scratch_store_b128 off, v[20:23], off offset:496
	s_wait_loadcnt 0xd
	scratch_store_b128 off, v[24:27], off offset:512
	s_wait_loadcnt 0xc
	scratch_store_b128 off, v[28:31], off offset:528
	s_wait_loadcnt 0xb
	scratch_store_b128 off, v[124:127], off offset:544
	s_wait_loadcnt 0xa
	scratch_store_b128 off, v[192:195], off offset:560
	s_wait_loadcnt 0x9
	scratch_store_b128 off, v[128:131], off offset:576
	s_wait_loadcnt 0x8
	scratch_store_b128 off, v[132:135], off offset:592
	s_wait_loadcnt 0x7
	scratch_store_b128 off, v[136:139], off offset:608
	s_wait_loadcnt 0x6
	scratch_store_b128 off, v[140:143], off offset:624
	s_wait_loadcnt 0x5
	scratch_store_b128 off, v[144:147], off offset:640
	s_wait_loadcnt 0x4
	scratch_store_b128 off, v[148:151], off offset:656
	s_wait_loadcnt 0x3
	scratch_store_b128 off, v[152:155], off offset:672
	s_wait_loadcnt 0x2
	scratch_store_b128 off, v[156:159], off offset:688
	s_wait_loadcnt 0x1
	scratch_store_b128 off, v[160:163], off offset:704
	s_wait_loadcnt 0x0
	scratch_store_b128 off, v[164:167], off offset:720
	s_cbranch_scc1 .LBB45_196
; %bb.4:
	v_cmp_eq_u32_e64 s2, 0, v1
	s_wait_xcnt 0x0
	s_and_saveexec_b32 s3, s2
; %bb.5:
	v_mov_b32_e32 v2, 0
	ds_store_b32 v2, v2 offset:1472
; %bb.6:
	s_or_b32 exec_lo, exec_lo, s3
	s_wait_storecnt_dscnt 0x0
	s_barrier_signal -1
	s_barrier_wait -1
	scratch_load_b128 v[2:5], v1, off scale_offset
	s_wait_loadcnt 0x0
	v_cmp_eq_f64_e32 vcc_lo, 0, v[2:3]
	v_cmp_eq_f64_e64 s3, 0, v[4:5]
	s_and_b32 s3, vcc_lo, s3
	s_delay_alu instid0(SALU_CYCLE_1)
	s_and_saveexec_b32 s59, s3
	s_cbranch_execz .LBB45_10
; %bb.7:
	v_mov_b32_e32 v2, 0
	s_mov_b32 s60, 0
	ds_load_b32 v3, v2 offset:1472
	s_wait_dscnt 0x0
	v_readfirstlane_b32 s3, v3
	v_add_nc_u32_e32 v3, 1, v1
	s_cmp_eq_u32 s3, 0
	s_delay_alu instid0(VALU_DEP_1) | instskip(SKIP_1) | instid1(SALU_CYCLE_1)
	v_cmp_gt_i32_e32 vcc_lo, s3, v3
	s_cselect_b32 s61, -1, 0
	s_or_b32 s61, s61, vcc_lo
	s_delay_alu instid0(SALU_CYCLE_1)
	s_and_b32 exec_lo, exec_lo, s61
	s_cbranch_execz .LBB45_10
; %bb.8:
	v_mov_b32_e32 v4, s3
.LBB45_9:                               ; =>This Inner Loop Header: Depth=1
	ds_cmpstore_rtn_b32 v4, v2, v3, v4 offset:1472
	s_wait_dscnt 0x0
	v_cmp_ne_u32_e32 vcc_lo, 0, v4
	v_cmp_le_i32_e64 s3, v4, v3
	s_and_b32 s3, vcc_lo, s3
	s_delay_alu instid0(SALU_CYCLE_1) | instskip(NEXT) | instid1(SALU_CYCLE_1)
	s_and_b32 s3, exec_lo, s3
	s_or_b32 s60, s3, s60
	s_delay_alu instid0(SALU_CYCLE_1)
	s_and_not1_b32 exec_lo, exec_lo, s60
	s_cbranch_execnz .LBB45_9
.LBB45_10:
	s_or_b32 exec_lo, exec_lo, s59
	v_mov_b32_e32 v2, 0
	s_barrier_signal -1
	s_barrier_wait -1
	ds_load_b32 v3, v2 offset:1472
	s_and_saveexec_b32 s3, s2
	s_cbranch_execz .LBB45_12
; %bb.11:
	s_lshl_b64 s[60:61], s[18:19], 2
	s_delay_alu instid0(SALU_CYCLE_1)
	s_add_nc_u64 s[60:61], s[6:7], s[60:61]
	s_wait_dscnt 0x0
	global_store_b32 v2, v3, s[60:61]
.LBB45_12:
	s_wait_xcnt 0x0
	s_or_b32 exec_lo, exec_lo, s3
	s_wait_dscnt 0x0
	v_cmp_ne_u32_e32 vcc_lo, 0, v3
	s_mov_b32 s3, 0
	s_cbranch_vccnz .LBB45_196
; %bb.13:
	v_lshl_add_u32 v15, v1, 4, 0
                                        ; implicit-def: $vgpr6_vgpr7
                                        ; implicit-def: $vgpr10_vgpr11
	scratch_load_b128 v[2:5], v15, off
	s_wait_loadcnt 0x0
	v_cmp_ngt_f64_e64 s3, |v[2:3]|, |v[4:5]|
	s_wait_xcnt 0x0
	s_and_saveexec_b32 s59, s3
	s_delay_alu instid0(SALU_CYCLE_1)
	s_xor_b32 s3, exec_lo, s59
	s_cbranch_execz .LBB45_15
; %bb.14:
	v_div_scale_f64 v[6:7], null, v[4:5], v[4:5], v[2:3]
	v_div_scale_f64 v[12:13], vcc_lo, v[2:3], v[4:5], v[2:3]
	s_delay_alu instid0(VALU_DEP_2) | instskip(SKIP_1) | instid1(TRANS32_DEP_1)
	v_rcp_f64_e32 v[8:9], v[6:7]
	v_nop
	v_fma_f64 v[10:11], -v[6:7], v[8:9], 1.0
	s_delay_alu instid0(VALU_DEP_1) | instskip(NEXT) | instid1(VALU_DEP_1)
	v_fmac_f64_e32 v[8:9], v[8:9], v[10:11]
	v_fma_f64 v[10:11], -v[6:7], v[8:9], 1.0
	s_delay_alu instid0(VALU_DEP_1) | instskip(NEXT) | instid1(VALU_DEP_1)
	v_fmac_f64_e32 v[8:9], v[8:9], v[10:11]
	v_mul_f64_e32 v[10:11], v[12:13], v[8:9]
	s_delay_alu instid0(VALU_DEP_1) | instskip(NEXT) | instid1(VALU_DEP_1)
	v_fma_f64 v[6:7], -v[6:7], v[10:11], v[12:13]
	v_div_fmas_f64 v[6:7], v[6:7], v[8:9], v[10:11]
	s_delay_alu instid0(VALU_DEP_1) | instskip(NEXT) | instid1(VALU_DEP_1)
	v_div_fixup_f64 v[6:7], v[6:7], v[4:5], v[2:3]
	v_fmac_f64_e32 v[4:5], v[2:3], v[6:7]
	s_delay_alu instid0(VALU_DEP_1) | instskip(SKIP_1) | instid1(VALU_DEP_2)
	v_div_scale_f64 v[2:3], null, v[4:5], v[4:5], 1.0
	v_div_scale_f64 v[12:13], vcc_lo, 1.0, v[4:5], 1.0
	v_rcp_f64_e32 v[8:9], v[2:3]
	v_nop
	s_delay_alu instid0(TRANS32_DEP_1) | instskip(NEXT) | instid1(VALU_DEP_1)
	v_fma_f64 v[10:11], -v[2:3], v[8:9], 1.0
	v_fmac_f64_e32 v[8:9], v[8:9], v[10:11]
	s_delay_alu instid0(VALU_DEP_1) | instskip(NEXT) | instid1(VALU_DEP_1)
	v_fma_f64 v[10:11], -v[2:3], v[8:9], 1.0
	v_fmac_f64_e32 v[8:9], v[8:9], v[10:11]
	s_delay_alu instid0(VALU_DEP_1) | instskip(NEXT) | instid1(VALU_DEP_1)
	v_mul_f64_e32 v[10:11], v[12:13], v[8:9]
	v_fma_f64 v[2:3], -v[2:3], v[10:11], v[12:13]
	s_delay_alu instid0(VALU_DEP_1) | instskip(NEXT) | instid1(VALU_DEP_1)
	v_div_fmas_f64 v[2:3], v[2:3], v[8:9], v[10:11]
	v_div_fixup_f64 v[8:9], v[2:3], v[4:5], 1.0
                                        ; implicit-def: $vgpr2_vgpr3
	s_delay_alu instid0(VALU_DEP_1) | instskip(SKIP_1) | instid1(VALU_DEP_2)
	v_mul_f64_e32 v[6:7], v[6:7], v[8:9]
	v_xor_b32_e32 v9, 0x80000000, v9
	v_xor_b32_e32 v11, 0x80000000, v7
	s_delay_alu instid0(VALU_DEP_3)
	v_mov_b32_e32 v10, v6
.LBB45_15:
	s_and_not1_saveexec_b32 s3, s3
	s_cbranch_execz .LBB45_17
; %bb.16:
	v_div_scale_f64 v[6:7], null, v[2:3], v[2:3], v[4:5]
	v_div_scale_f64 v[12:13], vcc_lo, v[4:5], v[2:3], v[4:5]
	s_delay_alu instid0(VALU_DEP_2) | instskip(SKIP_1) | instid1(TRANS32_DEP_1)
	v_rcp_f64_e32 v[8:9], v[6:7]
	v_nop
	v_fma_f64 v[10:11], -v[6:7], v[8:9], 1.0
	s_delay_alu instid0(VALU_DEP_1) | instskip(NEXT) | instid1(VALU_DEP_1)
	v_fmac_f64_e32 v[8:9], v[8:9], v[10:11]
	v_fma_f64 v[10:11], -v[6:7], v[8:9], 1.0
	s_delay_alu instid0(VALU_DEP_1) | instskip(NEXT) | instid1(VALU_DEP_1)
	v_fmac_f64_e32 v[8:9], v[8:9], v[10:11]
	v_mul_f64_e32 v[10:11], v[12:13], v[8:9]
	s_delay_alu instid0(VALU_DEP_1) | instskip(NEXT) | instid1(VALU_DEP_1)
	v_fma_f64 v[6:7], -v[6:7], v[10:11], v[12:13]
	v_div_fmas_f64 v[6:7], v[6:7], v[8:9], v[10:11]
	s_delay_alu instid0(VALU_DEP_1) | instskip(NEXT) | instid1(VALU_DEP_1)
	v_div_fixup_f64 v[8:9], v[6:7], v[2:3], v[4:5]
	v_fmac_f64_e32 v[2:3], v[4:5], v[8:9]
	s_delay_alu instid0(VALU_DEP_1) | instskip(NEXT) | instid1(VALU_DEP_1)
	v_div_scale_f64 v[4:5], null, v[2:3], v[2:3], 1.0
	v_rcp_f64_e32 v[6:7], v[4:5]
	v_nop
	s_delay_alu instid0(TRANS32_DEP_1) | instskip(NEXT) | instid1(VALU_DEP_1)
	v_fma_f64 v[10:11], -v[4:5], v[6:7], 1.0
	v_fmac_f64_e32 v[6:7], v[6:7], v[10:11]
	s_delay_alu instid0(VALU_DEP_1) | instskip(NEXT) | instid1(VALU_DEP_1)
	v_fma_f64 v[10:11], -v[4:5], v[6:7], 1.0
	v_fmac_f64_e32 v[6:7], v[6:7], v[10:11]
	v_div_scale_f64 v[10:11], vcc_lo, 1.0, v[2:3], 1.0
	s_delay_alu instid0(VALU_DEP_1) | instskip(NEXT) | instid1(VALU_DEP_1)
	v_mul_f64_e32 v[12:13], v[10:11], v[6:7]
	v_fma_f64 v[4:5], -v[4:5], v[12:13], v[10:11]
	s_delay_alu instid0(VALU_DEP_1) | instskip(NEXT) | instid1(VALU_DEP_1)
	v_div_fmas_f64 v[4:5], v[4:5], v[6:7], v[12:13]
	v_div_fixup_f64 v[6:7], v[4:5], v[2:3], 1.0
	s_delay_alu instid0(VALU_DEP_1)
	v_mul_f64_e64 v[8:9], v[8:9], -v[6:7]
	v_xor_b32_e32 v11, 0x80000000, v7
	v_mov_b32_e32 v10, v6
.LBB45_17:
	s_or_b32 exec_lo, exec_lo, s3
	s_clause 0x1
	scratch_store_b128 v15, v[6:9], off
	scratch_load_b128 v[2:5], off, s46
	v_xor_b32_e32 v13, 0x80000000, v9
	v_mov_b32_e32 v12, v8
	s_wait_xcnt 0x1
	v_add_nc_u32_e32 v6, 0x2e0, v14
	ds_store_b128 v14, v[10:13]
	s_wait_loadcnt 0x0
	ds_store_b128 v14, v[2:5] offset:736
	s_wait_storecnt_dscnt 0x0
	s_barrier_signal -1
	s_barrier_wait -1
	s_wait_xcnt 0x0
	s_and_saveexec_b32 s3, s2
	s_cbranch_execz .LBB45_19
; %bb.18:
	scratch_load_b128 v[2:5], v15, off
	ds_load_b128 v[8:11], v6
	v_mov_b32_e32 v7, 0
	ds_load_b128 v[16:19], v7 offset:16
	s_wait_loadcnt_dscnt 0x1
	v_mul_f64_e32 v[12:13], v[8:9], v[4:5]
	v_mul_f64_e32 v[4:5], v[10:11], v[4:5]
	s_delay_alu instid0(VALU_DEP_2) | instskip(NEXT) | instid1(VALU_DEP_2)
	v_fmac_f64_e32 v[12:13], v[10:11], v[2:3]
	v_fma_f64 v[2:3], v[8:9], v[2:3], -v[4:5]
	s_delay_alu instid0(VALU_DEP_2) | instskip(NEXT) | instid1(VALU_DEP_2)
	v_add_f64_e32 v[8:9], 0, v[12:13]
	v_add_f64_e32 v[2:3], 0, v[2:3]
	s_wait_dscnt 0x0
	s_delay_alu instid0(VALU_DEP_2) | instskip(NEXT) | instid1(VALU_DEP_2)
	v_mul_f64_e32 v[10:11], v[8:9], v[18:19]
	v_mul_f64_e32 v[4:5], v[2:3], v[18:19]
	s_delay_alu instid0(VALU_DEP_2) | instskip(NEXT) | instid1(VALU_DEP_2)
	v_fma_f64 v[2:3], v[2:3], v[16:17], -v[10:11]
	v_fmac_f64_e32 v[4:5], v[8:9], v[16:17]
	scratch_store_b128 off, v[2:5], off offset:16
.LBB45_19:
	s_wait_xcnt 0x0
	s_or_b32 exec_lo, exec_lo, s3
	s_wait_storecnt 0x0
	s_barrier_signal -1
	s_barrier_wait -1
	scratch_load_b128 v[2:5], off, s43
	s_mov_b32 s3, exec_lo
	s_wait_loadcnt 0x0
	ds_store_b128 v6, v[2:5]
	s_wait_dscnt 0x0
	s_barrier_signal -1
	s_barrier_wait -1
	v_cmpx_gt_u32_e32 2, v1
	s_cbranch_execz .LBB45_23
; %bb.20:
	scratch_load_b128 v[2:5], v15, off
	ds_load_b128 v[8:11], v6
	s_wait_loadcnt_dscnt 0x0
	v_mul_f64_e32 v[12:13], v[10:11], v[4:5]
	v_mul_f64_e32 v[16:17], v[8:9], v[4:5]
	s_delay_alu instid0(VALU_DEP_2) | instskip(NEXT) | instid1(VALU_DEP_2)
	v_fma_f64 v[4:5], v[8:9], v[2:3], -v[12:13]
	v_fmac_f64_e32 v[16:17], v[10:11], v[2:3]
	s_delay_alu instid0(VALU_DEP_2) | instskip(NEXT) | instid1(VALU_DEP_2)
	v_add_f64_e32 v[4:5], 0, v[4:5]
	v_add_f64_e32 v[2:3], 0, v[16:17]
	s_and_saveexec_b32 s59, s2
	s_cbranch_execz .LBB45_22
; %bb.21:
	scratch_load_b128 v[8:11], off, off offset:16
	v_mov_b32_e32 v7, 0
	ds_load_b128 v[16:19], v7 offset:752
	s_wait_loadcnt_dscnt 0x0
	v_mul_f64_e32 v[12:13], v[16:17], v[10:11]
	v_mul_f64_e32 v[10:11], v[18:19], v[10:11]
	s_delay_alu instid0(VALU_DEP_2) | instskip(NEXT) | instid1(VALU_DEP_2)
	v_fmac_f64_e32 v[12:13], v[18:19], v[8:9]
	v_fma_f64 v[8:9], v[16:17], v[8:9], -v[10:11]
	s_delay_alu instid0(VALU_DEP_2) | instskip(NEXT) | instid1(VALU_DEP_2)
	v_add_f64_e32 v[2:3], v[2:3], v[12:13]
	v_add_f64_e32 v[4:5], v[4:5], v[8:9]
.LBB45_22:
	s_or_b32 exec_lo, exec_lo, s59
	v_mov_b32_e32 v7, 0
	ds_load_b128 v[8:11], v7 offset:32
	s_wait_dscnt 0x0
	v_mul_f64_e32 v[16:17], v[2:3], v[10:11]
	v_mul_f64_e32 v[12:13], v[4:5], v[10:11]
	s_delay_alu instid0(VALU_DEP_2) | instskip(NEXT) | instid1(VALU_DEP_2)
	v_fma_f64 v[10:11], v[4:5], v[8:9], -v[16:17]
	v_fmac_f64_e32 v[12:13], v[2:3], v[8:9]
	scratch_store_b128 off, v[10:13], off offset:32
.LBB45_23:
	s_wait_xcnt 0x0
	s_or_b32 exec_lo, exec_lo, s3
	s_wait_storecnt 0x0
	s_barrier_signal -1
	s_barrier_wait -1
	scratch_load_b128 v[2:5], off, s44
	v_add_nc_u32_e32 v7, -1, v1
	s_mov_b32 s2, exec_lo
	s_wait_loadcnt 0x0
	ds_store_b128 v6, v[2:5]
	s_wait_dscnt 0x0
	s_barrier_signal -1
	s_barrier_wait -1
	v_cmpx_gt_u32_e32 3, v1
	s_cbranch_execz .LBB45_27
; %bb.24:
	v_dual_mov_b32 v10, v14 :: v_dual_add_nc_u32 v8, -1, v1
	v_mov_b64_e32 v[2:3], 0
	v_mov_b64_e32 v[4:5], 0
	v_add_nc_u32_e32 v9, 0x2e0, v14
	s_delay_alu instid0(VALU_DEP_4)
	v_or_b32_e32 v10, 8, v10
	s_mov_b32 s3, 0
.LBB45_25:                              ; =>This Inner Loop Header: Depth=1
	scratch_load_b128 v[16:19], v10, off offset:-8
	ds_load_b128 v[20:23], v9
	v_dual_add_nc_u32 v8, 1, v8 :: v_dual_add_nc_u32 v9, 16, v9
	s_wait_xcnt 0x0
	v_add_nc_u32_e32 v10, 16, v10
	s_delay_alu instid0(VALU_DEP_2) | instskip(SKIP_4) | instid1(VALU_DEP_2)
	v_cmp_lt_u32_e32 vcc_lo, 1, v8
	s_or_b32 s3, vcc_lo, s3
	s_wait_loadcnt_dscnt 0x0
	v_mul_f64_e32 v[12:13], v[22:23], v[18:19]
	v_mul_f64_e32 v[18:19], v[20:21], v[18:19]
	v_fma_f64 v[12:13], v[20:21], v[16:17], -v[12:13]
	s_delay_alu instid0(VALU_DEP_2) | instskip(NEXT) | instid1(VALU_DEP_2)
	v_fmac_f64_e32 v[18:19], v[22:23], v[16:17]
	v_add_f64_e32 v[4:5], v[4:5], v[12:13]
	s_delay_alu instid0(VALU_DEP_2)
	v_add_f64_e32 v[2:3], v[2:3], v[18:19]
	s_and_not1_b32 exec_lo, exec_lo, s3
	s_cbranch_execnz .LBB45_25
; %bb.26:
	s_or_b32 exec_lo, exec_lo, s3
	v_mov_b32_e32 v8, 0
	ds_load_b128 v[8:11], v8 offset:48
	s_wait_dscnt 0x0
	v_mul_f64_e32 v[16:17], v[2:3], v[10:11]
	v_mul_f64_e32 v[12:13], v[4:5], v[10:11]
	s_delay_alu instid0(VALU_DEP_2) | instskip(NEXT) | instid1(VALU_DEP_2)
	v_fma_f64 v[10:11], v[4:5], v[8:9], -v[16:17]
	v_fmac_f64_e32 v[12:13], v[2:3], v[8:9]
	scratch_store_b128 off, v[10:13], off offset:48
.LBB45_27:
	s_wait_xcnt 0x0
	s_or_b32 exec_lo, exec_lo, s2
	s_wait_storecnt 0x0
	s_barrier_signal -1
	s_barrier_wait -1
	scratch_load_b128 v[2:5], off, s45
	s_mov_b32 s2, exec_lo
	s_wait_loadcnt 0x0
	ds_store_b128 v6, v[2:5]
	s_wait_dscnt 0x0
	s_barrier_signal -1
	s_barrier_wait -1
	v_cmpx_gt_u32_e32 4, v1
	s_cbranch_execz .LBB45_31
; %bb.28:
	v_dual_mov_b32 v10, v14 :: v_dual_add_nc_u32 v8, -1, v1
	v_mov_b64_e32 v[2:3], 0
	v_mov_b64_e32 v[4:5], 0
	v_add_nc_u32_e32 v9, 0x2e0, v14
	s_delay_alu instid0(VALU_DEP_4)
	v_or_b32_e32 v10, 8, v10
	s_mov_b32 s3, 0
.LBB45_29:                              ; =>This Inner Loop Header: Depth=1
	scratch_load_b128 v[16:19], v10, off offset:-8
	ds_load_b128 v[20:23], v9
	v_dual_add_nc_u32 v8, 1, v8 :: v_dual_add_nc_u32 v9, 16, v9
	s_wait_xcnt 0x0
	v_add_nc_u32_e32 v10, 16, v10
	s_delay_alu instid0(VALU_DEP_2) | instskip(SKIP_4) | instid1(VALU_DEP_2)
	v_cmp_lt_u32_e32 vcc_lo, 2, v8
	s_or_b32 s3, vcc_lo, s3
	s_wait_loadcnt_dscnt 0x0
	v_mul_f64_e32 v[12:13], v[22:23], v[18:19]
	v_mul_f64_e32 v[18:19], v[20:21], v[18:19]
	v_fma_f64 v[12:13], v[20:21], v[16:17], -v[12:13]
	s_delay_alu instid0(VALU_DEP_2) | instskip(NEXT) | instid1(VALU_DEP_2)
	v_fmac_f64_e32 v[18:19], v[22:23], v[16:17]
	v_add_f64_e32 v[4:5], v[4:5], v[12:13]
	s_delay_alu instid0(VALU_DEP_2)
	v_add_f64_e32 v[2:3], v[2:3], v[18:19]
	s_and_not1_b32 exec_lo, exec_lo, s3
	s_cbranch_execnz .LBB45_29
; %bb.30:
	s_or_b32 exec_lo, exec_lo, s3
	v_mov_b32_e32 v8, 0
	ds_load_b128 v[8:11], v8 offset:64
	s_wait_dscnt 0x0
	v_mul_f64_e32 v[16:17], v[2:3], v[10:11]
	v_mul_f64_e32 v[12:13], v[4:5], v[10:11]
	s_delay_alu instid0(VALU_DEP_2) | instskip(NEXT) | instid1(VALU_DEP_2)
	v_fma_f64 v[10:11], v[4:5], v[8:9], -v[16:17]
	v_fmac_f64_e32 v[12:13], v[2:3], v[8:9]
	scratch_store_b128 off, v[10:13], off offset:64
.LBB45_31:
	s_wait_xcnt 0x0
	s_or_b32 exec_lo, exec_lo, s2
	s_wait_storecnt 0x0
	s_barrier_signal -1
	s_barrier_wait -1
	scratch_load_b128 v[2:5], off, s49
	;; [unrolled: 54-line block ×19, first 2 shown]
	s_mov_b32 s2, exec_lo
	s_wait_loadcnt 0x0
	ds_store_b128 v6, v[2:5]
	s_wait_dscnt 0x0
	s_barrier_signal -1
	s_barrier_wait -1
	v_cmpx_gt_u32_e32 22, v1
	s_cbranch_execz .LBB45_103
; %bb.100:
	v_dual_mov_b32 v10, v14 :: v_dual_add_nc_u32 v8, -1, v1
	v_mov_b64_e32 v[2:3], 0
	v_mov_b64_e32 v[4:5], 0
	v_add_nc_u32_e32 v9, 0x2e0, v14
	s_delay_alu instid0(VALU_DEP_4)
	v_or_b32_e32 v10, 8, v10
	s_mov_b32 s3, 0
.LBB45_101:                             ; =>This Inner Loop Header: Depth=1
	scratch_load_b128 v[16:19], v10, off offset:-8
	ds_load_b128 v[20:23], v9
	v_dual_add_nc_u32 v8, 1, v8 :: v_dual_add_nc_u32 v9, 16, v9
	s_wait_xcnt 0x0
	v_add_nc_u32_e32 v10, 16, v10
	s_delay_alu instid0(VALU_DEP_2) | instskip(SKIP_4) | instid1(VALU_DEP_2)
	v_cmp_lt_u32_e32 vcc_lo, 20, v8
	s_or_b32 s3, vcc_lo, s3
	s_wait_loadcnt_dscnt 0x0
	v_mul_f64_e32 v[12:13], v[22:23], v[18:19]
	v_mul_f64_e32 v[18:19], v[20:21], v[18:19]
	v_fma_f64 v[12:13], v[20:21], v[16:17], -v[12:13]
	s_delay_alu instid0(VALU_DEP_2) | instskip(NEXT) | instid1(VALU_DEP_2)
	v_fmac_f64_e32 v[18:19], v[22:23], v[16:17]
	v_add_f64_e32 v[4:5], v[4:5], v[12:13]
	s_delay_alu instid0(VALU_DEP_2)
	v_add_f64_e32 v[2:3], v[2:3], v[18:19]
	s_and_not1_b32 exec_lo, exec_lo, s3
	s_cbranch_execnz .LBB45_101
; %bb.102:
	s_or_b32 exec_lo, exec_lo, s3
	v_mov_b32_e32 v8, 0
	ds_load_b128 v[8:11], v8 offset:352
	s_wait_dscnt 0x0
	v_mul_f64_e32 v[16:17], v[2:3], v[10:11]
	v_mul_f64_e32 v[12:13], v[4:5], v[10:11]
	s_delay_alu instid0(VALU_DEP_2) | instskip(NEXT) | instid1(VALU_DEP_2)
	v_fma_f64 v[10:11], v[4:5], v[8:9], -v[16:17]
	v_fmac_f64_e32 v[12:13], v[2:3], v[8:9]
	scratch_store_b128 off, v[10:13], off offset:352
.LBB45_103:
	s_wait_xcnt 0x0
	s_or_b32 exec_lo, exec_lo, s2
	s_wait_storecnt 0x0
	s_barrier_signal -1
	s_barrier_wait -1
	scratch_load_b128 v[2:5], off, s33
	s_mov_b32 s2, exec_lo
	s_wait_loadcnt 0x0
	ds_store_b128 v6, v[2:5]
	s_wait_dscnt 0x0
	s_barrier_signal -1
	s_barrier_wait -1
	v_cmpx_gt_u32_e32 23, v1
	s_cbranch_execz .LBB45_107
; %bb.104:
	v_dual_mov_b32 v10, v14 :: v_dual_add_nc_u32 v8, -1, v1
	v_mov_b64_e32 v[2:3], 0
	v_mov_b64_e32 v[4:5], 0
	v_add_nc_u32_e32 v9, 0x2e0, v14
	s_delay_alu instid0(VALU_DEP_4)
	v_or_b32_e32 v10, 8, v10
	s_mov_b32 s3, 0
.LBB45_105:                             ; =>This Inner Loop Header: Depth=1
	scratch_load_b128 v[16:19], v10, off offset:-8
	ds_load_b128 v[20:23], v9
	v_dual_add_nc_u32 v8, 1, v8 :: v_dual_add_nc_u32 v9, 16, v9
	s_wait_xcnt 0x0
	v_add_nc_u32_e32 v10, 16, v10
	s_delay_alu instid0(VALU_DEP_2) | instskip(SKIP_4) | instid1(VALU_DEP_2)
	v_cmp_lt_u32_e32 vcc_lo, 21, v8
	s_or_b32 s3, vcc_lo, s3
	s_wait_loadcnt_dscnt 0x0
	v_mul_f64_e32 v[12:13], v[22:23], v[18:19]
	v_mul_f64_e32 v[18:19], v[20:21], v[18:19]
	v_fma_f64 v[12:13], v[20:21], v[16:17], -v[12:13]
	s_delay_alu instid0(VALU_DEP_2) | instskip(NEXT) | instid1(VALU_DEP_2)
	v_fmac_f64_e32 v[18:19], v[22:23], v[16:17]
	v_add_f64_e32 v[4:5], v[4:5], v[12:13]
	s_delay_alu instid0(VALU_DEP_2)
	v_add_f64_e32 v[2:3], v[2:3], v[18:19]
	s_and_not1_b32 exec_lo, exec_lo, s3
	s_cbranch_execnz .LBB45_105
; %bb.106:
	s_or_b32 exec_lo, exec_lo, s3
	v_mov_b32_e32 v8, 0
	ds_load_b128 v[8:11], v8 offset:368
	s_wait_dscnt 0x0
	v_mul_f64_e32 v[16:17], v[2:3], v[10:11]
	v_mul_f64_e32 v[12:13], v[4:5], v[10:11]
	s_delay_alu instid0(VALU_DEP_2) | instskip(NEXT) | instid1(VALU_DEP_2)
	v_fma_f64 v[10:11], v[4:5], v[8:9], -v[16:17]
	v_fmac_f64_e32 v[12:13], v[2:3], v[8:9]
	scratch_store_b128 off, v[10:13], off offset:368
.LBB45_107:
	s_wait_xcnt 0x0
	s_or_b32 exec_lo, exec_lo, s2
	s_wait_storecnt 0x0
	s_barrier_signal -1
	s_barrier_wait -1
	scratch_load_b128 v[2:5], off, s35
	;; [unrolled: 54-line block ×23, first 2 shown]
	s_mov_b32 s2, exec_lo
	s_wait_loadcnt 0x0
	ds_store_b128 v6, v[2:5]
	s_wait_dscnt 0x0
	s_barrier_signal -1
	s_barrier_wait -1
	v_cmpx_ne_u32_e32 45, v1
	s_cbranch_execz .LBB45_195
; %bb.192:
	v_mov_b32_e32 v8, v14
	v_mov_b64_e32 v[2:3], 0
	v_mov_b64_e32 v[4:5], 0
	s_mov_b32 s3, 0
	s_delay_alu instid0(VALU_DEP_3)
	v_or_b32_e32 v8, 8, v8
.LBB45_193:                             ; =>This Inner Loop Header: Depth=1
	scratch_load_b128 v[10:13], v8, off offset:-8
	ds_load_b128 v[14:17], v6
	v_dual_add_nc_u32 v7, 1, v7 :: v_dual_add_nc_u32 v6, 16, v6
	s_wait_xcnt 0x0
	v_add_nc_u32_e32 v8, 16, v8
	s_delay_alu instid0(VALU_DEP_2) | instskip(SKIP_4) | instid1(VALU_DEP_2)
	v_cmp_lt_u32_e32 vcc_lo, 43, v7
	s_or_b32 s3, vcc_lo, s3
	s_wait_loadcnt_dscnt 0x0
	v_mul_f64_e32 v[18:19], v[16:17], v[12:13]
	v_mul_f64_e32 v[12:13], v[14:15], v[12:13]
	v_fma_f64 v[14:15], v[14:15], v[10:11], -v[18:19]
	s_delay_alu instid0(VALU_DEP_2) | instskip(NEXT) | instid1(VALU_DEP_2)
	v_fmac_f64_e32 v[12:13], v[16:17], v[10:11]
	v_add_f64_e32 v[4:5], v[4:5], v[14:15]
	s_delay_alu instid0(VALU_DEP_2)
	v_add_f64_e32 v[2:3], v[2:3], v[12:13]
	s_and_not1_b32 exec_lo, exec_lo, s3
	s_cbranch_execnz .LBB45_193
; %bb.194:
	s_or_b32 exec_lo, exec_lo, s3
	v_mov_b32_e32 v6, 0
	ds_load_b128 v[6:9], v6 offset:720
	s_wait_dscnt 0x0
	v_mul_f64_e32 v[12:13], v[2:3], v[8:9]
	v_mul_f64_e32 v[10:11], v[4:5], v[8:9]
	s_delay_alu instid0(VALU_DEP_2) | instskip(NEXT) | instid1(VALU_DEP_2)
	v_fma_f64 v[8:9], v[4:5], v[6:7], -v[12:13]
	v_fmac_f64_e32 v[10:11], v[2:3], v[6:7]
	scratch_store_b128 off, v[8:11], off offset:720
.LBB45_195:
	s_wait_xcnt 0x0
	s_or_b32 exec_lo, exec_lo, s2
	s_mov_b32 s3, -1
	s_wait_storecnt 0x0
	s_barrier_signal -1
	s_barrier_wait -1
.LBB45_196:
	s_and_b32 vcc_lo, exec_lo, s3
	s_cbranch_vccz .LBB45_198
; %bb.197:
	s_wait_xcnt 0x13
	v_mov_b32_e32 v2, 0
	s_lshl_b64 s[2:3], s[18:19], 2
	s_delay_alu instid0(SALU_CYCLE_1)
	s_add_nc_u64 s[2:3], s[6:7], s[2:3]
	global_load_b32 v2, v2, s[2:3]
	s_wait_loadcnt 0x0
	v_cmp_ne_u32_e32 vcc_lo, 0, v2
	s_cbranch_vccz .LBB45_199
.LBB45_198:
	s_sendmsg sendmsg(MSG_DEALLOC_VGPRS)
	s_endpgm
.LBB45_199:
	s_wait_xcnt 0xc
	v_lshl_add_u32 v124, v1, 4, 0x2e0
	s_wait_xcnt 0x0
	s_mov_b32 s2, exec_lo
	v_cmpx_eq_u32_e32 45, v1
	s_cbranch_execz .LBB45_201
; %bb.200:
	scratch_load_b128 v[2:5], off, s22
	v_mov_b32_e32 v6, 0
	s_delay_alu instid0(VALU_DEP_1)
	v_dual_mov_b32 v7, v6 :: v_dual_mov_b32 v8, v6
	v_mov_b32_e32 v9, v6
	scratch_store_b128 off, v[6:9], off offset:704
	s_wait_loadcnt 0x0
	ds_store_b128 v124, v[2:5]
.LBB45_201:
	s_wait_xcnt 0x0
	s_or_b32 exec_lo, exec_lo, s2
	s_wait_storecnt_dscnt 0x0
	s_barrier_signal -1
	s_barrier_wait -1
	s_clause 0x1
	scratch_load_b128 v[4:7], off, off offset:720
	scratch_load_b128 v[8:11], off, off offset:704
	v_mov_b32_e32 v2, 0
	s_mov_b32 s2, exec_lo
	ds_load_b128 v[12:15], v2 offset:1456
	s_wait_loadcnt_dscnt 0x100
	v_mul_f64_e32 v[16:17], v[14:15], v[6:7]
	v_mul_f64_e32 v[6:7], v[12:13], v[6:7]
	s_delay_alu instid0(VALU_DEP_2) | instskip(NEXT) | instid1(VALU_DEP_2)
	v_fma_f64 v[12:13], v[12:13], v[4:5], -v[16:17]
	v_fmac_f64_e32 v[6:7], v[14:15], v[4:5]
	s_delay_alu instid0(VALU_DEP_2) | instskip(NEXT) | instid1(VALU_DEP_2)
	v_add_f64_e32 v[4:5], 0, v[12:13]
	v_add_f64_e32 v[6:7], 0, v[6:7]
	s_wait_loadcnt 0x0
	s_delay_alu instid0(VALU_DEP_2) | instskip(NEXT) | instid1(VALU_DEP_2)
	v_add_f64_e64 v[4:5], v[8:9], -v[4:5]
	v_add_f64_e64 v[6:7], v[10:11], -v[6:7]
	scratch_store_b128 off, v[4:7], off offset:704
	s_wait_xcnt 0x0
	v_cmpx_lt_u32_e32 43, v1
	s_cbranch_execz .LBB45_203
; %bb.202:
	scratch_load_b128 v[6:9], off, s15
	v_dual_mov_b32 v3, v2 :: v_dual_mov_b32 v4, v2
	v_mov_b32_e32 v5, v2
	scratch_store_b128 off, v[2:5], off offset:688
	s_wait_loadcnt 0x0
	ds_store_b128 v124, v[6:9]
.LBB45_203:
	s_wait_xcnt 0x0
	s_or_b32 exec_lo, exec_lo, s2
	s_wait_storecnt_dscnt 0x0
	s_barrier_signal -1
	s_barrier_wait -1
	s_clause 0x2
	scratch_load_b128 v[4:7], off, off offset:704
	scratch_load_b128 v[8:11], off, off offset:720
	;; [unrolled: 1-line block ×3, first 2 shown]
	ds_load_b128 v[16:19], v2 offset:1440
	ds_load_b128 v[20:23], v2 offset:1456
	s_mov_b32 s2, exec_lo
	s_wait_loadcnt_dscnt 0x201
	v_mul_f64_e32 v[2:3], v[18:19], v[6:7]
	v_mul_f64_e32 v[6:7], v[16:17], v[6:7]
	s_wait_loadcnt_dscnt 0x100
	v_mul_f64_e32 v[24:25], v[20:21], v[10:11]
	v_mul_f64_e32 v[10:11], v[22:23], v[10:11]
	s_delay_alu instid0(VALU_DEP_4) | instskip(NEXT) | instid1(VALU_DEP_4)
	v_fma_f64 v[2:3], v[16:17], v[4:5], -v[2:3]
	v_fmac_f64_e32 v[6:7], v[18:19], v[4:5]
	s_delay_alu instid0(VALU_DEP_4) | instskip(NEXT) | instid1(VALU_DEP_4)
	v_fmac_f64_e32 v[24:25], v[22:23], v[8:9]
	v_fma_f64 v[4:5], v[20:21], v[8:9], -v[10:11]
	s_delay_alu instid0(VALU_DEP_4) | instskip(NEXT) | instid1(VALU_DEP_4)
	v_add_f64_e32 v[2:3], 0, v[2:3]
	v_add_f64_e32 v[6:7], 0, v[6:7]
	s_delay_alu instid0(VALU_DEP_2) | instskip(NEXT) | instid1(VALU_DEP_2)
	v_add_f64_e32 v[2:3], v[2:3], v[4:5]
	v_add_f64_e32 v[4:5], v[6:7], v[24:25]
	s_wait_loadcnt 0x0
	s_delay_alu instid0(VALU_DEP_2) | instskip(NEXT) | instid1(VALU_DEP_2)
	v_add_f64_e64 v[2:3], v[12:13], -v[2:3]
	v_add_f64_e64 v[4:5], v[14:15], -v[4:5]
	scratch_store_b128 off, v[2:5], off offset:688
	s_wait_xcnt 0x0
	v_cmpx_lt_u32_e32 42, v1
	s_cbranch_execz .LBB45_205
; %bb.204:
	scratch_load_b128 v[2:5], off, s25
	v_mov_b32_e32 v6, 0
	s_delay_alu instid0(VALU_DEP_1)
	v_dual_mov_b32 v7, v6 :: v_dual_mov_b32 v8, v6
	v_mov_b32_e32 v9, v6
	scratch_store_b128 off, v[6:9], off offset:672
	s_wait_loadcnt 0x0
	ds_store_b128 v124, v[2:5]
.LBB45_205:
	s_wait_xcnt 0x0
	s_or_b32 exec_lo, exec_lo, s2
	s_wait_storecnt_dscnt 0x0
	s_barrier_signal -1
	s_barrier_wait -1
	s_clause 0x3
	scratch_load_b128 v[4:7], off, off offset:688
	scratch_load_b128 v[8:11], off, off offset:704
	;; [unrolled: 1-line block ×4, first 2 shown]
	v_mov_b32_e32 v2, 0
	ds_load_b128 v[20:23], v2 offset:1424
	ds_load_b128 v[24:27], v2 offset:1440
	s_mov_b32 s2, exec_lo
	s_wait_loadcnt_dscnt 0x301
	v_mul_f64_e32 v[28:29], v[22:23], v[6:7]
	v_mul_f64_e32 v[30:31], v[20:21], v[6:7]
	s_wait_loadcnt_dscnt 0x200
	v_mul_f64_e32 v[126:127], v[24:25], v[10:11]
	v_mul_f64_e32 v[10:11], v[26:27], v[10:11]
	s_delay_alu instid0(VALU_DEP_4) | instskip(NEXT) | instid1(VALU_DEP_4)
	v_fma_f64 v[20:21], v[20:21], v[4:5], -v[28:29]
	v_fmac_f64_e32 v[30:31], v[22:23], v[4:5]
	ds_load_b128 v[4:7], v2 offset:1456
	v_fmac_f64_e32 v[126:127], v[26:27], v[8:9]
	v_fma_f64 v[8:9], v[24:25], v[8:9], -v[10:11]
	s_wait_loadcnt_dscnt 0x100
	v_mul_f64_e32 v[22:23], v[4:5], v[14:15]
	v_mul_f64_e32 v[14:15], v[6:7], v[14:15]
	v_add_f64_e32 v[10:11], 0, v[20:21]
	v_add_f64_e32 v[20:21], 0, v[30:31]
	s_delay_alu instid0(VALU_DEP_4) | instskip(NEXT) | instid1(VALU_DEP_4)
	v_fmac_f64_e32 v[22:23], v[6:7], v[12:13]
	v_fma_f64 v[4:5], v[4:5], v[12:13], -v[14:15]
	s_delay_alu instid0(VALU_DEP_4) | instskip(NEXT) | instid1(VALU_DEP_4)
	v_add_f64_e32 v[6:7], v[10:11], v[8:9]
	v_add_f64_e32 v[8:9], v[20:21], v[126:127]
	s_delay_alu instid0(VALU_DEP_2) | instskip(NEXT) | instid1(VALU_DEP_2)
	v_add_f64_e32 v[4:5], v[6:7], v[4:5]
	v_add_f64_e32 v[6:7], v[8:9], v[22:23]
	s_wait_loadcnt 0x0
	s_delay_alu instid0(VALU_DEP_2) | instskip(NEXT) | instid1(VALU_DEP_2)
	v_add_f64_e64 v[4:5], v[16:17], -v[4:5]
	v_add_f64_e64 v[6:7], v[18:19], -v[6:7]
	scratch_store_b128 off, v[4:7], off offset:672
	s_wait_xcnt 0x0
	v_cmpx_lt_u32_e32 41, v1
	s_cbranch_execz .LBB45_207
; %bb.206:
	scratch_load_b128 v[6:9], off, s23
	v_dual_mov_b32 v3, v2 :: v_dual_mov_b32 v4, v2
	v_mov_b32_e32 v5, v2
	scratch_store_b128 off, v[2:5], off offset:656
	s_wait_loadcnt 0x0
	ds_store_b128 v124, v[6:9]
.LBB45_207:
	s_wait_xcnt 0x0
	s_or_b32 exec_lo, exec_lo, s2
	s_wait_storecnt_dscnt 0x0
	s_barrier_signal -1
	s_barrier_wait -1
	s_clause 0x4
	scratch_load_b128 v[4:7], off, off offset:672
	scratch_load_b128 v[8:11], off, off offset:688
	;; [unrolled: 1-line block ×5, first 2 shown]
	ds_load_b128 v[24:27], v2 offset:1408
	ds_load_b128 v[28:31], v2 offset:1424
	s_mov_b32 s2, exec_lo
	s_wait_loadcnt_dscnt 0x401
	v_mul_f64_e32 v[126:127], v[26:27], v[6:7]
	v_mul_f64_e32 v[128:129], v[24:25], v[6:7]
	s_wait_loadcnt_dscnt 0x300
	v_mul_f64_e32 v[130:131], v[28:29], v[10:11]
	v_mul_f64_e32 v[10:11], v[30:31], v[10:11]
	s_delay_alu instid0(VALU_DEP_4) | instskip(NEXT) | instid1(VALU_DEP_4)
	v_fma_f64 v[126:127], v[24:25], v[4:5], -v[126:127]
	v_fmac_f64_e32 v[128:129], v[26:27], v[4:5]
	ds_load_b128 v[4:7], v2 offset:1440
	ds_load_b128 v[24:27], v2 offset:1456
	v_fmac_f64_e32 v[130:131], v[30:31], v[8:9]
	v_fma_f64 v[8:9], v[28:29], v[8:9], -v[10:11]
	s_wait_loadcnt_dscnt 0x201
	v_mul_f64_e32 v[2:3], v[4:5], v[14:15]
	v_mul_f64_e32 v[14:15], v[6:7], v[14:15]
	s_wait_loadcnt_dscnt 0x100
	v_mul_f64_e32 v[30:31], v[24:25], v[18:19]
	v_mul_f64_e32 v[18:19], v[26:27], v[18:19]
	v_add_f64_e32 v[10:11], 0, v[126:127]
	v_add_f64_e32 v[28:29], 0, v[128:129]
	v_fmac_f64_e32 v[2:3], v[6:7], v[12:13]
	v_fma_f64 v[4:5], v[4:5], v[12:13], -v[14:15]
	v_fmac_f64_e32 v[30:31], v[26:27], v[16:17]
	v_add_f64_e32 v[6:7], v[10:11], v[8:9]
	v_add_f64_e32 v[8:9], v[28:29], v[130:131]
	v_fma_f64 v[10:11], v[24:25], v[16:17], -v[18:19]
	s_delay_alu instid0(VALU_DEP_3) | instskip(NEXT) | instid1(VALU_DEP_3)
	v_add_f64_e32 v[4:5], v[6:7], v[4:5]
	v_add_f64_e32 v[2:3], v[8:9], v[2:3]
	s_delay_alu instid0(VALU_DEP_2) | instskip(NEXT) | instid1(VALU_DEP_2)
	v_add_f64_e32 v[4:5], v[4:5], v[10:11]
	v_add_f64_e32 v[6:7], v[2:3], v[30:31]
	s_wait_loadcnt 0x0
	s_delay_alu instid0(VALU_DEP_2) | instskip(NEXT) | instid1(VALU_DEP_2)
	v_add_f64_e64 v[2:3], v[20:21], -v[4:5]
	v_add_f64_e64 v[4:5], v[22:23], -v[6:7]
	scratch_store_b128 off, v[2:5], off offset:656
	s_wait_xcnt 0x0
	v_cmpx_lt_u32_e32 40, v1
	s_cbranch_execz .LBB45_209
; %bb.208:
	scratch_load_b128 v[2:5], off, s29
	v_mov_b32_e32 v6, 0
	s_delay_alu instid0(VALU_DEP_1)
	v_dual_mov_b32 v7, v6 :: v_dual_mov_b32 v8, v6
	v_mov_b32_e32 v9, v6
	scratch_store_b128 off, v[6:9], off offset:640
	s_wait_loadcnt 0x0
	ds_store_b128 v124, v[2:5]
.LBB45_209:
	s_wait_xcnt 0x0
	s_or_b32 exec_lo, exec_lo, s2
	s_wait_storecnt_dscnt 0x0
	s_barrier_signal -1
	s_barrier_wait -1
	s_clause 0x5
	scratch_load_b128 v[4:7], off, off offset:656
	scratch_load_b128 v[8:11], off, off offset:672
	;; [unrolled: 1-line block ×6, first 2 shown]
	v_mov_b32_e32 v2, 0
	ds_load_b128 v[28:31], v2 offset:1392
	ds_load_b128 v[126:129], v2 offset:1408
	s_mov_b32 s2, exec_lo
	s_wait_loadcnt_dscnt 0x501
	v_mul_f64_e32 v[130:131], v[30:31], v[6:7]
	v_mul_f64_e32 v[132:133], v[28:29], v[6:7]
	s_wait_loadcnt_dscnt 0x400
	v_mul_f64_e32 v[134:135], v[126:127], v[10:11]
	v_mul_f64_e32 v[10:11], v[128:129], v[10:11]
	s_delay_alu instid0(VALU_DEP_4) | instskip(NEXT) | instid1(VALU_DEP_4)
	v_fma_f64 v[130:131], v[28:29], v[4:5], -v[130:131]
	v_fmac_f64_e32 v[132:133], v[30:31], v[4:5]
	ds_load_b128 v[4:7], v2 offset:1424
	ds_load_b128 v[28:31], v2 offset:1440
	v_fmac_f64_e32 v[134:135], v[128:129], v[8:9]
	v_fma_f64 v[8:9], v[126:127], v[8:9], -v[10:11]
	s_wait_loadcnt_dscnt 0x301
	v_mul_f64_e32 v[136:137], v[4:5], v[14:15]
	v_mul_f64_e32 v[14:15], v[6:7], v[14:15]
	s_wait_loadcnt_dscnt 0x200
	v_mul_f64_e32 v[128:129], v[28:29], v[18:19]
	v_mul_f64_e32 v[18:19], v[30:31], v[18:19]
	v_add_f64_e32 v[10:11], 0, v[130:131]
	v_add_f64_e32 v[126:127], 0, v[132:133]
	v_fmac_f64_e32 v[136:137], v[6:7], v[12:13]
	v_fma_f64 v[12:13], v[4:5], v[12:13], -v[14:15]
	ds_load_b128 v[4:7], v2 offset:1456
	v_fmac_f64_e32 v[128:129], v[30:31], v[16:17]
	v_fma_f64 v[16:17], v[28:29], v[16:17], -v[18:19]
	v_add_f64_e32 v[8:9], v[10:11], v[8:9]
	v_add_f64_e32 v[10:11], v[126:127], v[134:135]
	s_wait_loadcnt_dscnt 0x100
	v_mul_f64_e32 v[14:15], v[4:5], v[22:23]
	v_mul_f64_e32 v[22:23], v[6:7], v[22:23]
	s_delay_alu instid0(VALU_DEP_4) | instskip(NEXT) | instid1(VALU_DEP_4)
	v_add_f64_e32 v[8:9], v[8:9], v[12:13]
	v_add_f64_e32 v[10:11], v[10:11], v[136:137]
	s_delay_alu instid0(VALU_DEP_4) | instskip(NEXT) | instid1(VALU_DEP_4)
	v_fmac_f64_e32 v[14:15], v[6:7], v[20:21]
	v_fma_f64 v[4:5], v[4:5], v[20:21], -v[22:23]
	s_delay_alu instid0(VALU_DEP_4) | instskip(NEXT) | instid1(VALU_DEP_4)
	v_add_f64_e32 v[6:7], v[8:9], v[16:17]
	v_add_f64_e32 v[8:9], v[10:11], v[128:129]
	s_delay_alu instid0(VALU_DEP_2) | instskip(NEXT) | instid1(VALU_DEP_2)
	v_add_f64_e32 v[4:5], v[6:7], v[4:5]
	v_add_f64_e32 v[6:7], v[8:9], v[14:15]
	s_wait_loadcnt 0x0
	s_delay_alu instid0(VALU_DEP_2) | instskip(NEXT) | instid1(VALU_DEP_2)
	v_add_f64_e64 v[4:5], v[24:25], -v[4:5]
	v_add_f64_e64 v[6:7], v[26:27], -v[6:7]
	scratch_store_b128 off, v[4:7], off offset:640
	s_wait_xcnt 0x0
	v_cmpx_lt_u32_e32 39, v1
	s_cbranch_execz .LBB45_211
; %bb.210:
	scratch_load_b128 v[6:9], off, s28
	v_dual_mov_b32 v3, v2 :: v_dual_mov_b32 v4, v2
	v_mov_b32_e32 v5, v2
	scratch_store_b128 off, v[2:5], off offset:624
	s_wait_loadcnt 0x0
	ds_store_b128 v124, v[6:9]
.LBB45_211:
	s_wait_xcnt 0x0
	s_or_b32 exec_lo, exec_lo, s2
	s_wait_storecnt_dscnt 0x0
	s_barrier_signal -1
	s_barrier_wait -1
	s_clause 0x6
	scratch_load_b128 v[4:7], off, off offset:640
	scratch_load_b128 v[8:11], off, off offset:656
	;; [unrolled: 1-line block ×7, first 2 shown]
	ds_load_b128 v[126:129], v2 offset:1376
	ds_load_b128 v[130:133], v2 offset:1392
	s_mov_b32 s2, exec_lo
	s_wait_loadcnt_dscnt 0x601
	v_mul_f64_e32 v[134:135], v[128:129], v[6:7]
	v_mul_f64_e32 v[136:137], v[126:127], v[6:7]
	s_wait_loadcnt_dscnt 0x500
	v_mul_f64_e32 v[138:139], v[130:131], v[10:11]
	v_mul_f64_e32 v[10:11], v[132:133], v[10:11]
	s_delay_alu instid0(VALU_DEP_4) | instskip(NEXT) | instid1(VALU_DEP_4)
	v_fma_f64 v[134:135], v[126:127], v[4:5], -v[134:135]
	v_fmac_f64_e32 v[136:137], v[128:129], v[4:5]
	ds_load_b128 v[4:7], v2 offset:1408
	ds_load_b128 v[126:129], v2 offset:1424
	v_fmac_f64_e32 v[138:139], v[132:133], v[8:9]
	v_fma_f64 v[8:9], v[130:131], v[8:9], -v[10:11]
	s_wait_loadcnt_dscnt 0x401
	v_mul_f64_e32 v[140:141], v[4:5], v[14:15]
	v_mul_f64_e32 v[14:15], v[6:7], v[14:15]
	s_wait_loadcnt_dscnt 0x300
	v_mul_f64_e32 v[132:133], v[126:127], v[18:19]
	v_mul_f64_e32 v[18:19], v[128:129], v[18:19]
	v_add_f64_e32 v[10:11], 0, v[134:135]
	v_add_f64_e32 v[130:131], 0, v[136:137]
	v_fmac_f64_e32 v[140:141], v[6:7], v[12:13]
	v_fma_f64 v[12:13], v[4:5], v[12:13], -v[14:15]
	v_fmac_f64_e32 v[132:133], v[128:129], v[16:17]
	v_fma_f64 v[16:17], v[126:127], v[16:17], -v[18:19]
	v_add_f64_e32 v[14:15], v[10:11], v[8:9]
	v_add_f64_e32 v[130:131], v[130:131], v[138:139]
	ds_load_b128 v[4:7], v2 offset:1440
	ds_load_b128 v[8:11], v2 offset:1456
	s_wait_loadcnt_dscnt 0x201
	v_mul_f64_e32 v[2:3], v[4:5], v[22:23]
	v_mul_f64_e32 v[22:23], v[6:7], v[22:23]
	s_wait_loadcnt_dscnt 0x100
	v_mul_f64_e32 v[18:19], v[8:9], v[26:27]
	v_mul_f64_e32 v[26:27], v[10:11], v[26:27]
	v_add_f64_e32 v[12:13], v[14:15], v[12:13]
	v_add_f64_e32 v[14:15], v[130:131], v[140:141]
	v_fmac_f64_e32 v[2:3], v[6:7], v[20:21]
	v_fma_f64 v[4:5], v[4:5], v[20:21], -v[22:23]
	v_fmac_f64_e32 v[18:19], v[10:11], v[24:25]
	v_fma_f64 v[8:9], v[8:9], v[24:25], -v[26:27]
	v_add_f64_e32 v[6:7], v[12:13], v[16:17]
	v_add_f64_e32 v[12:13], v[14:15], v[132:133]
	s_delay_alu instid0(VALU_DEP_2) | instskip(NEXT) | instid1(VALU_DEP_2)
	v_add_f64_e32 v[4:5], v[6:7], v[4:5]
	v_add_f64_e32 v[2:3], v[12:13], v[2:3]
	s_delay_alu instid0(VALU_DEP_2) | instskip(NEXT) | instid1(VALU_DEP_2)
	v_add_f64_e32 v[4:5], v[4:5], v[8:9]
	v_add_f64_e32 v[6:7], v[2:3], v[18:19]
	s_wait_loadcnt 0x0
	s_delay_alu instid0(VALU_DEP_2) | instskip(NEXT) | instid1(VALU_DEP_2)
	v_add_f64_e64 v[2:3], v[28:29], -v[4:5]
	v_add_f64_e64 v[4:5], v[30:31], -v[6:7]
	scratch_store_b128 off, v[2:5], off offset:624
	s_wait_xcnt 0x0
	v_cmpx_lt_u32_e32 38, v1
	s_cbranch_execz .LBB45_213
; %bb.212:
	scratch_load_b128 v[2:5], off, s9
	v_mov_b32_e32 v6, 0
	s_delay_alu instid0(VALU_DEP_1)
	v_dual_mov_b32 v7, v6 :: v_dual_mov_b32 v8, v6
	v_mov_b32_e32 v9, v6
	scratch_store_b128 off, v[6:9], off offset:608
	s_wait_loadcnt 0x0
	ds_store_b128 v124, v[2:5]
.LBB45_213:
	s_wait_xcnt 0x0
	s_or_b32 exec_lo, exec_lo, s2
	s_wait_storecnt_dscnt 0x0
	s_barrier_signal -1
	s_barrier_wait -1
	s_clause 0x7
	scratch_load_b128 v[4:7], off, off offset:624
	scratch_load_b128 v[8:11], off, off offset:640
	;; [unrolled: 1-line block ×8, first 2 shown]
	v_mov_b32_e32 v2, 0
	ds_load_b128 v[130:133], v2 offset:1360
	ds_load_b128 v[134:137], v2 offset:1376
	s_mov_b32 s2, exec_lo
	s_wait_loadcnt_dscnt 0x701
	v_mul_f64_e32 v[138:139], v[132:133], v[6:7]
	v_mul_f64_e32 v[140:141], v[130:131], v[6:7]
	s_wait_loadcnt_dscnt 0x600
	v_mul_f64_e32 v[142:143], v[134:135], v[10:11]
	v_mul_f64_e32 v[10:11], v[136:137], v[10:11]
	s_delay_alu instid0(VALU_DEP_4) | instskip(NEXT) | instid1(VALU_DEP_4)
	v_fma_f64 v[138:139], v[130:131], v[4:5], -v[138:139]
	v_fmac_f64_e32 v[140:141], v[132:133], v[4:5]
	ds_load_b128 v[4:7], v2 offset:1392
	ds_load_b128 v[130:133], v2 offset:1408
	v_fmac_f64_e32 v[142:143], v[136:137], v[8:9]
	v_fma_f64 v[8:9], v[134:135], v[8:9], -v[10:11]
	s_wait_loadcnt_dscnt 0x501
	v_mul_f64_e32 v[144:145], v[4:5], v[14:15]
	v_mul_f64_e32 v[14:15], v[6:7], v[14:15]
	s_wait_loadcnt_dscnt 0x400
	v_mul_f64_e32 v[136:137], v[130:131], v[18:19]
	v_mul_f64_e32 v[18:19], v[132:133], v[18:19]
	v_add_f64_e32 v[10:11], 0, v[138:139]
	v_add_f64_e32 v[134:135], 0, v[140:141]
	v_fmac_f64_e32 v[144:145], v[6:7], v[12:13]
	v_fma_f64 v[12:13], v[4:5], v[12:13], -v[14:15]
	v_fmac_f64_e32 v[136:137], v[132:133], v[16:17]
	v_fma_f64 v[16:17], v[130:131], v[16:17], -v[18:19]
	v_add_f64_e32 v[14:15], v[10:11], v[8:9]
	v_add_f64_e32 v[134:135], v[134:135], v[142:143]
	ds_load_b128 v[4:7], v2 offset:1424
	ds_load_b128 v[8:11], v2 offset:1440
	s_wait_loadcnt_dscnt 0x301
	v_mul_f64_e32 v[138:139], v[4:5], v[22:23]
	v_mul_f64_e32 v[22:23], v[6:7], v[22:23]
	s_wait_loadcnt_dscnt 0x200
	v_mul_f64_e32 v[18:19], v[8:9], v[26:27]
	v_mul_f64_e32 v[26:27], v[10:11], v[26:27]
	v_add_f64_e32 v[12:13], v[14:15], v[12:13]
	v_add_f64_e32 v[14:15], v[134:135], v[144:145]
	v_fmac_f64_e32 v[138:139], v[6:7], v[20:21]
	v_fma_f64 v[20:21], v[4:5], v[20:21], -v[22:23]
	ds_load_b128 v[4:7], v2 offset:1456
	v_fmac_f64_e32 v[18:19], v[10:11], v[24:25]
	v_fma_f64 v[8:9], v[8:9], v[24:25], -v[26:27]
	v_add_f64_e32 v[12:13], v[12:13], v[16:17]
	v_add_f64_e32 v[14:15], v[14:15], v[136:137]
	s_wait_loadcnt_dscnt 0x100
	v_mul_f64_e32 v[16:17], v[4:5], v[30:31]
	v_mul_f64_e32 v[22:23], v[6:7], v[30:31]
	s_delay_alu instid0(VALU_DEP_4) | instskip(NEXT) | instid1(VALU_DEP_4)
	v_add_f64_e32 v[10:11], v[12:13], v[20:21]
	v_add_f64_e32 v[12:13], v[14:15], v[138:139]
	s_delay_alu instid0(VALU_DEP_4) | instskip(NEXT) | instid1(VALU_DEP_4)
	v_fmac_f64_e32 v[16:17], v[6:7], v[28:29]
	v_fma_f64 v[4:5], v[4:5], v[28:29], -v[22:23]
	s_delay_alu instid0(VALU_DEP_4) | instskip(NEXT) | instid1(VALU_DEP_4)
	v_add_f64_e32 v[6:7], v[10:11], v[8:9]
	v_add_f64_e32 v[8:9], v[12:13], v[18:19]
	s_delay_alu instid0(VALU_DEP_2) | instskip(NEXT) | instid1(VALU_DEP_2)
	v_add_f64_e32 v[4:5], v[6:7], v[4:5]
	v_add_f64_e32 v[6:7], v[8:9], v[16:17]
	s_wait_loadcnt 0x0
	s_delay_alu instid0(VALU_DEP_2) | instskip(NEXT) | instid1(VALU_DEP_2)
	v_add_f64_e64 v[4:5], v[126:127], -v[4:5]
	v_add_f64_e64 v[6:7], v[128:129], -v[6:7]
	scratch_store_b128 off, v[4:7], off offset:608
	s_wait_xcnt 0x0
	v_cmpx_lt_u32_e32 37, v1
	s_cbranch_execz .LBB45_215
; %bb.214:
	scratch_load_b128 v[6:9], off, s8
	v_dual_mov_b32 v3, v2 :: v_dual_mov_b32 v4, v2
	v_mov_b32_e32 v5, v2
	scratch_store_b128 off, v[2:5], off offset:592
	s_wait_loadcnt 0x0
	ds_store_b128 v124, v[6:9]
.LBB45_215:
	s_wait_xcnt 0x0
	s_or_b32 exec_lo, exec_lo, s2
	s_wait_storecnt_dscnt 0x0
	s_barrier_signal -1
	s_barrier_wait -1
	s_clause 0x7
	scratch_load_b128 v[4:7], off, off offset:608
	scratch_load_b128 v[8:11], off, off offset:624
	;; [unrolled: 1-line block ×8, first 2 shown]
	ds_load_b128 v[130:133], v2 offset:1344
	ds_load_b128 v[134:137], v2 offset:1360
	scratch_load_b128 v[138:141], off, off offset:592
	s_mov_b32 s2, exec_lo
	s_wait_loadcnt_dscnt 0x801
	v_mul_f64_e32 v[142:143], v[132:133], v[6:7]
	v_mul_f64_e32 v[144:145], v[130:131], v[6:7]
	s_wait_loadcnt_dscnt 0x700
	v_mul_f64_e32 v[146:147], v[134:135], v[10:11]
	v_mul_f64_e32 v[10:11], v[136:137], v[10:11]
	s_delay_alu instid0(VALU_DEP_4) | instskip(NEXT) | instid1(VALU_DEP_4)
	v_fma_f64 v[142:143], v[130:131], v[4:5], -v[142:143]
	v_fmac_f64_e32 v[144:145], v[132:133], v[4:5]
	ds_load_b128 v[4:7], v2 offset:1376
	ds_load_b128 v[130:133], v2 offset:1392
	v_fmac_f64_e32 v[146:147], v[136:137], v[8:9]
	v_fma_f64 v[8:9], v[134:135], v[8:9], -v[10:11]
	s_wait_loadcnt_dscnt 0x601
	v_mul_f64_e32 v[148:149], v[4:5], v[14:15]
	v_mul_f64_e32 v[14:15], v[6:7], v[14:15]
	s_wait_loadcnt_dscnt 0x500
	v_mul_f64_e32 v[136:137], v[130:131], v[18:19]
	v_mul_f64_e32 v[18:19], v[132:133], v[18:19]
	v_add_f64_e32 v[10:11], 0, v[142:143]
	v_add_f64_e32 v[134:135], 0, v[144:145]
	v_fmac_f64_e32 v[148:149], v[6:7], v[12:13]
	v_fma_f64 v[12:13], v[4:5], v[12:13], -v[14:15]
	v_fmac_f64_e32 v[136:137], v[132:133], v[16:17]
	v_fma_f64 v[16:17], v[130:131], v[16:17], -v[18:19]
	v_add_f64_e32 v[14:15], v[10:11], v[8:9]
	v_add_f64_e32 v[134:135], v[134:135], v[146:147]
	ds_load_b128 v[4:7], v2 offset:1408
	ds_load_b128 v[8:11], v2 offset:1424
	s_wait_loadcnt_dscnt 0x401
	v_mul_f64_e32 v[142:143], v[4:5], v[22:23]
	v_mul_f64_e32 v[22:23], v[6:7], v[22:23]
	s_wait_loadcnt_dscnt 0x300
	v_mul_f64_e32 v[18:19], v[8:9], v[26:27]
	v_mul_f64_e32 v[26:27], v[10:11], v[26:27]
	v_add_f64_e32 v[12:13], v[14:15], v[12:13]
	v_add_f64_e32 v[14:15], v[134:135], v[148:149]
	v_fmac_f64_e32 v[142:143], v[6:7], v[20:21]
	v_fma_f64 v[20:21], v[4:5], v[20:21], -v[22:23]
	v_fmac_f64_e32 v[18:19], v[10:11], v[24:25]
	v_fma_f64 v[8:9], v[8:9], v[24:25], -v[26:27]
	v_add_f64_e32 v[16:17], v[12:13], v[16:17]
	v_add_f64_e32 v[22:23], v[14:15], v[136:137]
	ds_load_b128 v[4:7], v2 offset:1440
	ds_load_b128 v[12:15], v2 offset:1456
	s_wait_loadcnt_dscnt 0x201
	v_mul_f64_e32 v[2:3], v[4:5], v[30:31]
	v_mul_f64_e32 v[30:31], v[6:7], v[30:31]
	v_add_f64_e32 v[10:11], v[16:17], v[20:21]
	v_add_f64_e32 v[16:17], v[22:23], v[142:143]
	s_wait_loadcnt_dscnt 0x100
	v_mul_f64_e32 v[20:21], v[12:13], v[128:129]
	v_mul_f64_e32 v[22:23], v[14:15], v[128:129]
	v_fmac_f64_e32 v[2:3], v[6:7], v[28:29]
	v_fma_f64 v[4:5], v[4:5], v[28:29], -v[30:31]
	v_add_f64_e32 v[6:7], v[10:11], v[8:9]
	v_add_f64_e32 v[8:9], v[16:17], v[18:19]
	v_fmac_f64_e32 v[20:21], v[14:15], v[126:127]
	v_fma_f64 v[10:11], v[12:13], v[126:127], -v[22:23]
	s_delay_alu instid0(VALU_DEP_4) | instskip(NEXT) | instid1(VALU_DEP_4)
	v_add_f64_e32 v[4:5], v[6:7], v[4:5]
	v_add_f64_e32 v[2:3], v[8:9], v[2:3]
	s_delay_alu instid0(VALU_DEP_2) | instskip(NEXT) | instid1(VALU_DEP_2)
	v_add_f64_e32 v[4:5], v[4:5], v[10:11]
	v_add_f64_e32 v[6:7], v[2:3], v[20:21]
	s_wait_loadcnt 0x0
	s_delay_alu instid0(VALU_DEP_2) | instskip(NEXT) | instid1(VALU_DEP_2)
	v_add_f64_e64 v[2:3], v[138:139], -v[4:5]
	v_add_f64_e64 v[4:5], v[140:141], -v[6:7]
	scratch_store_b128 off, v[2:5], off offset:592
	s_wait_xcnt 0x0
	v_cmpx_lt_u32_e32 36, v1
	s_cbranch_execz .LBB45_217
; %bb.216:
	scratch_load_b128 v[2:5], off, s11
	v_mov_b32_e32 v6, 0
	s_delay_alu instid0(VALU_DEP_1)
	v_dual_mov_b32 v7, v6 :: v_dual_mov_b32 v8, v6
	v_mov_b32_e32 v9, v6
	scratch_store_b128 off, v[6:9], off offset:576
	s_wait_loadcnt 0x0
	ds_store_b128 v124, v[2:5]
.LBB45_217:
	s_wait_xcnt 0x0
	s_or_b32 exec_lo, exec_lo, s2
	s_wait_storecnt_dscnt 0x0
	s_barrier_signal -1
	s_barrier_wait -1
	s_clause 0x8
	scratch_load_b128 v[4:7], off, off offset:592
	scratch_load_b128 v[8:11], off, off offset:608
	;; [unrolled: 1-line block ×9, first 2 shown]
	v_mov_b32_e32 v2, 0
	scratch_load_b128 v[138:141], off, off offset:576
	s_mov_b32 s2, exec_lo
	ds_load_b128 v[134:137], v2 offset:1328
	ds_load_b128 v[142:145], v2 offset:1344
	s_wait_loadcnt_dscnt 0x901
	v_mul_f64_e32 v[146:147], v[136:137], v[6:7]
	v_mul_f64_e32 v[148:149], v[134:135], v[6:7]
	s_wait_loadcnt_dscnt 0x800
	v_mul_f64_e32 v[150:151], v[142:143], v[10:11]
	v_mul_f64_e32 v[10:11], v[144:145], v[10:11]
	s_delay_alu instid0(VALU_DEP_4) | instskip(NEXT) | instid1(VALU_DEP_4)
	v_fma_f64 v[146:147], v[134:135], v[4:5], -v[146:147]
	v_fmac_f64_e32 v[148:149], v[136:137], v[4:5]
	ds_load_b128 v[4:7], v2 offset:1360
	ds_load_b128 v[134:137], v2 offset:1376
	v_fmac_f64_e32 v[150:151], v[144:145], v[8:9]
	v_fma_f64 v[8:9], v[142:143], v[8:9], -v[10:11]
	s_wait_loadcnt_dscnt 0x701
	v_mul_f64_e32 v[152:153], v[4:5], v[14:15]
	v_mul_f64_e32 v[14:15], v[6:7], v[14:15]
	s_wait_loadcnt_dscnt 0x600
	v_mul_f64_e32 v[144:145], v[134:135], v[18:19]
	v_mul_f64_e32 v[18:19], v[136:137], v[18:19]
	v_add_f64_e32 v[10:11], 0, v[146:147]
	v_add_f64_e32 v[142:143], 0, v[148:149]
	v_fmac_f64_e32 v[152:153], v[6:7], v[12:13]
	v_fma_f64 v[12:13], v[4:5], v[12:13], -v[14:15]
	v_fmac_f64_e32 v[144:145], v[136:137], v[16:17]
	v_fma_f64 v[16:17], v[134:135], v[16:17], -v[18:19]
	v_add_f64_e32 v[14:15], v[10:11], v[8:9]
	v_add_f64_e32 v[142:143], v[142:143], v[150:151]
	ds_load_b128 v[4:7], v2 offset:1392
	ds_load_b128 v[8:11], v2 offset:1408
	s_wait_loadcnt_dscnt 0x501
	v_mul_f64_e32 v[146:147], v[4:5], v[22:23]
	v_mul_f64_e32 v[22:23], v[6:7], v[22:23]
	s_wait_loadcnt_dscnt 0x400
	v_mul_f64_e32 v[18:19], v[8:9], v[26:27]
	v_mul_f64_e32 v[26:27], v[10:11], v[26:27]
	v_add_f64_e32 v[12:13], v[14:15], v[12:13]
	v_add_f64_e32 v[14:15], v[142:143], v[152:153]
	v_fmac_f64_e32 v[146:147], v[6:7], v[20:21]
	v_fma_f64 v[20:21], v[4:5], v[20:21], -v[22:23]
	v_fmac_f64_e32 v[18:19], v[10:11], v[24:25]
	v_fma_f64 v[8:9], v[8:9], v[24:25], -v[26:27]
	v_add_f64_e32 v[16:17], v[12:13], v[16:17]
	v_add_f64_e32 v[22:23], v[14:15], v[144:145]
	ds_load_b128 v[4:7], v2 offset:1424
	ds_load_b128 v[12:15], v2 offset:1440
	s_wait_loadcnt_dscnt 0x301
	v_mul_f64_e32 v[134:135], v[4:5], v[30:31]
	v_mul_f64_e32 v[30:31], v[6:7], v[30:31]
	v_add_f64_e32 v[10:11], v[16:17], v[20:21]
	v_add_f64_e32 v[16:17], v[22:23], v[146:147]
	s_wait_loadcnt_dscnt 0x200
	v_mul_f64_e32 v[20:21], v[12:13], v[128:129]
	v_mul_f64_e32 v[22:23], v[14:15], v[128:129]
	v_fmac_f64_e32 v[134:135], v[6:7], v[28:29]
	v_fma_f64 v[24:25], v[4:5], v[28:29], -v[30:31]
	ds_load_b128 v[4:7], v2 offset:1456
	v_add_f64_e32 v[8:9], v[10:11], v[8:9]
	v_add_f64_e32 v[10:11], v[16:17], v[18:19]
	v_fmac_f64_e32 v[20:21], v[14:15], v[126:127]
	v_fma_f64 v[12:13], v[12:13], v[126:127], -v[22:23]
	s_wait_loadcnt_dscnt 0x100
	v_mul_f64_e32 v[16:17], v[4:5], v[132:133]
	v_mul_f64_e32 v[18:19], v[6:7], v[132:133]
	v_add_f64_e32 v[8:9], v[8:9], v[24:25]
	v_add_f64_e32 v[10:11], v[10:11], v[134:135]
	s_delay_alu instid0(VALU_DEP_4) | instskip(NEXT) | instid1(VALU_DEP_4)
	v_fmac_f64_e32 v[16:17], v[6:7], v[130:131]
	v_fma_f64 v[4:5], v[4:5], v[130:131], -v[18:19]
	s_delay_alu instid0(VALU_DEP_4) | instskip(NEXT) | instid1(VALU_DEP_4)
	v_add_f64_e32 v[6:7], v[8:9], v[12:13]
	v_add_f64_e32 v[8:9], v[10:11], v[20:21]
	s_delay_alu instid0(VALU_DEP_2) | instskip(NEXT) | instid1(VALU_DEP_2)
	v_add_f64_e32 v[4:5], v[6:7], v[4:5]
	v_add_f64_e32 v[6:7], v[8:9], v[16:17]
	s_wait_loadcnt 0x0
	s_delay_alu instid0(VALU_DEP_2) | instskip(NEXT) | instid1(VALU_DEP_2)
	v_add_f64_e64 v[4:5], v[138:139], -v[4:5]
	v_add_f64_e64 v[6:7], v[140:141], -v[6:7]
	scratch_store_b128 off, v[4:7], off offset:576
	s_wait_xcnt 0x0
	v_cmpx_lt_u32_e32 35, v1
	s_cbranch_execz .LBB45_219
; %bb.218:
	scratch_load_b128 v[6:9], off, s10
	v_dual_mov_b32 v3, v2 :: v_dual_mov_b32 v4, v2
	v_mov_b32_e32 v5, v2
	scratch_store_b128 off, v[2:5], off offset:560
	s_wait_loadcnt 0x0
	ds_store_b128 v124, v[6:9]
.LBB45_219:
	s_wait_xcnt 0x0
	s_or_b32 exec_lo, exec_lo, s2
	s_wait_storecnt_dscnt 0x0
	s_barrier_signal -1
	s_barrier_wait -1
	s_clause 0x9
	scratch_load_b128 v[4:7], off, off offset:576
	scratch_load_b128 v[8:11], off, off offset:592
	;; [unrolled: 1-line block ×10, first 2 shown]
	ds_load_b128 v[138:141], v2 offset:1312
	ds_load_b128 v[142:145], v2 offset:1328
	scratch_load_b128 v[146:149], off, off offset:560
	s_mov_b32 s2, exec_lo
	s_wait_loadcnt_dscnt 0xa01
	v_mul_f64_e32 v[150:151], v[140:141], v[6:7]
	v_mul_f64_e32 v[152:153], v[138:139], v[6:7]
	s_wait_loadcnt_dscnt 0x900
	v_mul_f64_e32 v[154:155], v[142:143], v[10:11]
	v_mul_f64_e32 v[10:11], v[144:145], v[10:11]
	s_delay_alu instid0(VALU_DEP_4) | instskip(NEXT) | instid1(VALU_DEP_4)
	v_fma_f64 v[150:151], v[138:139], v[4:5], -v[150:151]
	v_fmac_f64_e32 v[152:153], v[140:141], v[4:5]
	ds_load_b128 v[4:7], v2 offset:1344
	ds_load_b128 v[138:141], v2 offset:1360
	v_fmac_f64_e32 v[154:155], v[144:145], v[8:9]
	v_fma_f64 v[8:9], v[142:143], v[8:9], -v[10:11]
	s_wait_loadcnt_dscnt 0x801
	v_mul_f64_e32 v[156:157], v[4:5], v[14:15]
	v_mul_f64_e32 v[14:15], v[6:7], v[14:15]
	s_wait_loadcnt_dscnt 0x700
	v_mul_f64_e32 v[144:145], v[138:139], v[18:19]
	v_mul_f64_e32 v[18:19], v[140:141], v[18:19]
	v_add_f64_e32 v[10:11], 0, v[150:151]
	v_add_f64_e32 v[142:143], 0, v[152:153]
	v_fmac_f64_e32 v[156:157], v[6:7], v[12:13]
	v_fma_f64 v[12:13], v[4:5], v[12:13], -v[14:15]
	v_fmac_f64_e32 v[144:145], v[140:141], v[16:17]
	v_fma_f64 v[16:17], v[138:139], v[16:17], -v[18:19]
	v_add_f64_e32 v[14:15], v[10:11], v[8:9]
	v_add_f64_e32 v[142:143], v[142:143], v[154:155]
	ds_load_b128 v[4:7], v2 offset:1376
	ds_load_b128 v[8:11], v2 offset:1392
	s_wait_loadcnt_dscnt 0x601
	v_mul_f64_e32 v[150:151], v[4:5], v[22:23]
	v_mul_f64_e32 v[22:23], v[6:7], v[22:23]
	s_wait_loadcnt_dscnt 0x500
	v_mul_f64_e32 v[18:19], v[8:9], v[26:27]
	v_mul_f64_e32 v[26:27], v[10:11], v[26:27]
	v_add_f64_e32 v[12:13], v[14:15], v[12:13]
	v_add_f64_e32 v[14:15], v[142:143], v[156:157]
	v_fmac_f64_e32 v[150:151], v[6:7], v[20:21]
	v_fma_f64 v[20:21], v[4:5], v[20:21], -v[22:23]
	v_fmac_f64_e32 v[18:19], v[10:11], v[24:25]
	v_fma_f64 v[8:9], v[8:9], v[24:25], -v[26:27]
	v_add_f64_e32 v[16:17], v[12:13], v[16:17]
	v_add_f64_e32 v[22:23], v[14:15], v[144:145]
	ds_load_b128 v[4:7], v2 offset:1408
	ds_load_b128 v[12:15], v2 offset:1424
	s_wait_loadcnt_dscnt 0x401
	v_mul_f64_e32 v[138:139], v[4:5], v[30:31]
	v_mul_f64_e32 v[30:31], v[6:7], v[30:31]
	v_add_f64_e32 v[10:11], v[16:17], v[20:21]
	v_add_f64_e32 v[16:17], v[22:23], v[150:151]
	s_wait_loadcnt_dscnt 0x300
	v_mul_f64_e32 v[20:21], v[12:13], v[128:129]
	v_mul_f64_e32 v[22:23], v[14:15], v[128:129]
	v_fmac_f64_e32 v[138:139], v[6:7], v[28:29]
	v_fma_f64 v[24:25], v[4:5], v[28:29], -v[30:31]
	v_add_f64_e32 v[26:27], v[10:11], v[8:9]
	v_add_f64_e32 v[16:17], v[16:17], v[18:19]
	ds_load_b128 v[4:7], v2 offset:1440
	ds_load_b128 v[8:11], v2 offset:1456
	v_fmac_f64_e32 v[20:21], v[14:15], v[126:127]
	v_fma_f64 v[12:13], v[12:13], v[126:127], -v[22:23]
	s_wait_loadcnt_dscnt 0x201
	v_mul_f64_e32 v[2:3], v[4:5], v[132:133]
	v_mul_f64_e32 v[18:19], v[6:7], v[132:133]
	s_wait_loadcnt_dscnt 0x100
	v_mul_f64_e32 v[22:23], v[8:9], v[136:137]
	v_add_f64_e32 v[14:15], v[26:27], v[24:25]
	v_add_f64_e32 v[16:17], v[16:17], v[138:139]
	v_mul_f64_e32 v[24:25], v[10:11], v[136:137]
	v_fmac_f64_e32 v[2:3], v[6:7], v[130:131]
	v_fma_f64 v[4:5], v[4:5], v[130:131], -v[18:19]
	v_fmac_f64_e32 v[22:23], v[10:11], v[134:135]
	v_add_f64_e32 v[6:7], v[14:15], v[12:13]
	v_add_f64_e32 v[12:13], v[16:17], v[20:21]
	v_fma_f64 v[8:9], v[8:9], v[134:135], -v[24:25]
	s_delay_alu instid0(VALU_DEP_3) | instskip(NEXT) | instid1(VALU_DEP_3)
	v_add_f64_e32 v[4:5], v[6:7], v[4:5]
	v_add_f64_e32 v[2:3], v[12:13], v[2:3]
	s_delay_alu instid0(VALU_DEP_2) | instskip(NEXT) | instid1(VALU_DEP_2)
	v_add_f64_e32 v[4:5], v[4:5], v[8:9]
	v_add_f64_e32 v[6:7], v[2:3], v[22:23]
	s_wait_loadcnt 0x0
	s_delay_alu instid0(VALU_DEP_2) | instskip(NEXT) | instid1(VALU_DEP_2)
	v_add_f64_e64 v[2:3], v[146:147], -v[4:5]
	v_add_f64_e64 v[4:5], v[148:149], -v[6:7]
	scratch_store_b128 off, v[2:5], off offset:560
	s_wait_xcnt 0x0
	v_cmpx_lt_u32_e32 34, v1
	s_cbranch_execz .LBB45_221
; %bb.220:
	scratch_load_b128 v[2:5], off, s13
	v_mov_b32_e32 v6, 0
	s_delay_alu instid0(VALU_DEP_1)
	v_dual_mov_b32 v7, v6 :: v_dual_mov_b32 v8, v6
	v_mov_b32_e32 v9, v6
	scratch_store_b128 off, v[6:9], off offset:544
	s_wait_loadcnt 0x0
	ds_store_b128 v124, v[2:5]
.LBB45_221:
	s_wait_xcnt 0x0
	s_or_b32 exec_lo, exec_lo, s2
	s_wait_storecnt_dscnt 0x0
	s_barrier_signal -1
	s_barrier_wait -1
	s_clause 0x9
	scratch_load_b128 v[4:7], off, off offset:560
	scratch_load_b128 v[8:11], off, off offset:576
	;; [unrolled: 1-line block ×10, first 2 shown]
	v_mov_b32_e32 v2, 0
	s_mov_b32 s2, exec_lo
	ds_load_b128 v[138:141], v2 offset:1296
	s_clause 0x1
	scratch_load_b128 v[142:145], off, off offset:720
	scratch_load_b128 v[146:149], off, off offset:544
	s_wait_loadcnt_dscnt 0xb00
	v_mul_f64_e32 v[154:155], v[140:141], v[6:7]
	v_mul_f64_e32 v[156:157], v[138:139], v[6:7]
	ds_load_b128 v[150:153], v2 offset:1312
	s_wait_loadcnt_dscnt 0xa00
	v_mul_f64_e32 v[158:159], v[150:151], v[10:11]
	v_mul_f64_e32 v[10:11], v[152:153], v[10:11]
	v_fma_f64 v[154:155], v[138:139], v[4:5], -v[154:155]
	v_fmac_f64_e32 v[156:157], v[140:141], v[4:5]
	ds_load_b128 v[4:7], v2 offset:1328
	ds_load_b128 v[138:141], v2 offset:1344
	s_wait_loadcnt_dscnt 0x901
	v_mul_f64_e32 v[160:161], v[4:5], v[14:15]
	v_mul_f64_e32 v[14:15], v[6:7], v[14:15]
	v_fmac_f64_e32 v[158:159], v[152:153], v[8:9]
	v_fma_f64 v[8:9], v[150:151], v[8:9], -v[10:11]
	s_wait_loadcnt_dscnt 0x800
	v_mul_f64_e32 v[152:153], v[138:139], v[18:19]
	v_mul_f64_e32 v[18:19], v[140:141], v[18:19]
	v_add_f64_e32 v[10:11], 0, v[154:155]
	v_add_f64_e32 v[150:151], 0, v[156:157]
	v_fmac_f64_e32 v[160:161], v[6:7], v[12:13]
	v_fma_f64 v[12:13], v[4:5], v[12:13], -v[14:15]
	v_fmac_f64_e32 v[152:153], v[140:141], v[16:17]
	v_fma_f64 v[16:17], v[138:139], v[16:17], -v[18:19]
	v_add_f64_e32 v[14:15], v[10:11], v[8:9]
	v_add_f64_e32 v[150:151], v[150:151], v[158:159]
	ds_load_b128 v[4:7], v2 offset:1360
	ds_load_b128 v[8:11], v2 offset:1376
	s_wait_loadcnt_dscnt 0x701
	v_mul_f64_e32 v[154:155], v[4:5], v[22:23]
	v_mul_f64_e32 v[22:23], v[6:7], v[22:23]
	s_wait_loadcnt_dscnt 0x600
	v_mul_f64_e32 v[18:19], v[8:9], v[26:27]
	v_mul_f64_e32 v[26:27], v[10:11], v[26:27]
	v_add_f64_e32 v[12:13], v[14:15], v[12:13]
	v_add_f64_e32 v[14:15], v[150:151], v[160:161]
	v_fmac_f64_e32 v[154:155], v[6:7], v[20:21]
	v_fma_f64 v[20:21], v[4:5], v[20:21], -v[22:23]
	v_fmac_f64_e32 v[18:19], v[10:11], v[24:25]
	v_fma_f64 v[8:9], v[8:9], v[24:25], -v[26:27]
	v_add_f64_e32 v[16:17], v[12:13], v[16:17]
	v_add_f64_e32 v[22:23], v[14:15], v[152:153]
	ds_load_b128 v[4:7], v2 offset:1392
	ds_load_b128 v[12:15], v2 offset:1408
	s_wait_loadcnt_dscnt 0x501
	v_mul_f64_e32 v[138:139], v[4:5], v[30:31]
	v_mul_f64_e32 v[30:31], v[6:7], v[30:31]
	v_add_f64_e32 v[10:11], v[16:17], v[20:21]
	v_add_f64_e32 v[16:17], v[22:23], v[154:155]
	s_wait_loadcnt_dscnt 0x400
	v_mul_f64_e32 v[20:21], v[12:13], v[128:129]
	v_mul_f64_e32 v[22:23], v[14:15], v[128:129]
	v_fmac_f64_e32 v[138:139], v[6:7], v[28:29]
	v_fma_f64 v[24:25], v[4:5], v[28:29], -v[30:31]
	v_add_f64_e32 v[26:27], v[10:11], v[8:9]
	v_add_f64_e32 v[16:17], v[16:17], v[18:19]
	ds_load_b128 v[4:7], v2 offset:1424
	ds_load_b128 v[8:11], v2 offset:1440
	v_fmac_f64_e32 v[20:21], v[14:15], v[126:127]
	v_fma_f64 v[12:13], v[12:13], v[126:127], -v[22:23]
	s_wait_loadcnt_dscnt 0x301
	v_mul_f64_e32 v[18:19], v[4:5], v[132:133]
	v_mul_f64_e32 v[28:29], v[6:7], v[132:133]
	s_wait_loadcnt_dscnt 0x200
	v_mul_f64_e32 v[22:23], v[8:9], v[136:137]
	v_add_f64_e32 v[14:15], v[26:27], v[24:25]
	v_add_f64_e32 v[16:17], v[16:17], v[138:139]
	v_mul_f64_e32 v[24:25], v[10:11], v[136:137]
	v_fmac_f64_e32 v[18:19], v[6:7], v[130:131]
	v_fma_f64 v[26:27], v[4:5], v[130:131], -v[28:29]
	ds_load_b128 v[4:7], v2 offset:1456
	v_fmac_f64_e32 v[22:23], v[10:11], v[134:135]
	v_add_f64_e32 v[12:13], v[14:15], v[12:13]
	v_add_f64_e32 v[14:15], v[16:17], v[20:21]
	v_fma_f64 v[8:9], v[8:9], v[134:135], -v[24:25]
	s_wait_loadcnt_dscnt 0x100
	v_mul_f64_e32 v[16:17], v[4:5], v[144:145]
	v_mul_f64_e32 v[20:21], v[6:7], v[144:145]
	v_add_f64_e32 v[10:11], v[12:13], v[26:27]
	v_add_f64_e32 v[12:13], v[14:15], v[18:19]
	s_delay_alu instid0(VALU_DEP_4) | instskip(NEXT) | instid1(VALU_DEP_4)
	v_fmac_f64_e32 v[16:17], v[6:7], v[142:143]
	v_fma_f64 v[4:5], v[4:5], v[142:143], -v[20:21]
	s_delay_alu instid0(VALU_DEP_4) | instskip(NEXT) | instid1(VALU_DEP_4)
	v_add_f64_e32 v[6:7], v[10:11], v[8:9]
	v_add_f64_e32 v[8:9], v[12:13], v[22:23]
	s_delay_alu instid0(VALU_DEP_2) | instskip(NEXT) | instid1(VALU_DEP_2)
	v_add_f64_e32 v[4:5], v[6:7], v[4:5]
	v_add_f64_e32 v[6:7], v[8:9], v[16:17]
	s_wait_loadcnt 0x0
	s_delay_alu instid0(VALU_DEP_2) | instskip(NEXT) | instid1(VALU_DEP_2)
	v_add_f64_e64 v[4:5], v[146:147], -v[4:5]
	v_add_f64_e64 v[6:7], v[148:149], -v[6:7]
	scratch_store_b128 off, v[4:7], off offset:544
	s_wait_xcnt 0x0
	v_cmpx_lt_u32_e32 33, v1
	s_cbranch_execz .LBB45_223
; %bb.222:
	scratch_load_b128 v[6:9], off, s12
	v_dual_mov_b32 v3, v2 :: v_dual_mov_b32 v4, v2
	v_mov_b32_e32 v5, v2
	scratch_store_b128 off, v[2:5], off offset:528
	s_wait_loadcnt 0x0
	ds_store_b128 v124, v[6:9]
.LBB45_223:
	s_wait_xcnt 0x0
	s_or_b32 exec_lo, exec_lo, s2
	s_wait_storecnt_dscnt 0x0
	s_barrier_signal -1
	s_barrier_wait -1
	s_clause 0x9
	scratch_load_b128 v[4:7], off, off offset:544
	scratch_load_b128 v[8:11], off, off offset:560
	;; [unrolled: 1-line block ×10, first 2 shown]
	ds_load_b128 v[138:141], v2 offset:1280
	ds_load_b128 v[146:149], v2 offset:1296
	s_clause 0x2
	scratch_load_b128 v[142:145], off, off offset:704
	scratch_load_b128 v[150:153], off, off offset:528
	;; [unrolled: 1-line block ×3, first 2 shown]
	s_mov_b32 s2, exec_lo
	s_wait_loadcnt_dscnt 0xc01
	v_mul_f64_e32 v[158:159], v[140:141], v[6:7]
	v_mul_f64_e32 v[160:161], v[138:139], v[6:7]
	s_wait_loadcnt_dscnt 0xb00
	v_mul_f64_e32 v[162:163], v[146:147], v[10:11]
	v_mul_f64_e32 v[10:11], v[148:149], v[10:11]
	s_delay_alu instid0(VALU_DEP_4) | instskip(NEXT) | instid1(VALU_DEP_4)
	v_fma_f64 v[158:159], v[138:139], v[4:5], -v[158:159]
	v_fmac_f64_e32 v[160:161], v[140:141], v[4:5]
	ds_load_b128 v[4:7], v2 offset:1312
	ds_load_b128 v[138:141], v2 offset:1328
	v_fmac_f64_e32 v[162:163], v[148:149], v[8:9]
	v_fma_f64 v[8:9], v[146:147], v[8:9], -v[10:11]
	s_wait_loadcnt_dscnt 0xa01
	v_mul_f64_e32 v[164:165], v[4:5], v[14:15]
	v_mul_f64_e32 v[14:15], v[6:7], v[14:15]
	s_wait_loadcnt_dscnt 0x900
	v_mul_f64_e32 v[148:149], v[138:139], v[18:19]
	v_mul_f64_e32 v[18:19], v[140:141], v[18:19]
	v_add_f64_e32 v[10:11], 0, v[158:159]
	v_add_f64_e32 v[146:147], 0, v[160:161]
	v_fmac_f64_e32 v[164:165], v[6:7], v[12:13]
	v_fma_f64 v[12:13], v[4:5], v[12:13], -v[14:15]
	v_fmac_f64_e32 v[148:149], v[140:141], v[16:17]
	v_fma_f64 v[16:17], v[138:139], v[16:17], -v[18:19]
	v_add_f64_e32 v[14:15], v[10:11], v[8:9]
	v_add_f64_e32 v[146:147], v[146:147], v[162:163]
	ds_load_b128 v[4:7], v2 offset:1344
	ds_load_b128 v[8:11], v2 offset:1360
	s_wait_loadcnt_dscnt 0x801
	v_mul_f64_e32 v[158:159], v[4:5], v[22:23]
	v_mul_f64_e32 v[22:23], v[6:7], v[22:23]
	s_wait_loadcnt_dscnt 0x700
	v_mul_f64_e32 v[18:19], v[8:9], v[26:27]
	v_mul_f64_e32 v[26:27], v[10:11], v[26:27]
	v_add_f64_e32 v[12:13], v[14:15], v[12:13]
	v_add_f64_e32 v[14:15], v[146:147], v[164:165]
	v_fmac_f64_e32 v[158:159], v[6:7], v[20:21]
	v_fma_f64 v[20:21], v[4:5], v[20:21], -v[22:23]
	v_fmac_f64_e32 v[18:19], v[10:11], v[24:25]
	v_fma_f64 v[8:9], v[8:9], v[24:25], -v[26:27]
	v_add_f64_e32 v[16:17], v[12:13], v[16:17]
	v_add_f64_e32 v[22:23], v[14:15], v[148:149]
	ds_load_b128 v[4:7], v2 offset:1376
	ds_load_b128 v[12:15], v2 offset:1392
	s_wait_loadcnt_dscnt 0x601
	v_mul_f64_e32 v[138:139], v[4:5], v[30:31]
	v_mul_f64_e32 v[30:31], v[6:7], v[30:31]
	v_add_f64_e32 v[10:11], v[16:17], v[20:21]
	v_add_f64_e32 v[16:17], v[22:23], v[158:159]
	s_wait_loadcnt_dscnt 0x500
	v_mul_f64_e32 v[20:21], v[12:13], v[128:129]
	v_mul_f64_e32 v[22:23], v[14:15], v[128:129]
	v_fmac_f64_e32 v[138:139], v[6:7], v[28:29]
	v_fma_f64 v[24:25], v[4:5], v[28:29], -v[30:31]
	v_add_f64_e32 v[26:27], v[10:11], v[8:9]
	v_add_f64_e32 v[16:17], v[16:17], v[18:19]
	ds_load_b128 v[4:7], v2 offset:1408
	ds_load_b128 v[8:11], v2 offset:1424
	v_fmac_f64_e32 v[20:21], v[14:15], v[126:127]
	v_fma_f64 v[12:13], v[12:13], v[126:127], -v[22:23]
	s_wait_loadcnt_dscnt 0x401
	v_mul_f64_e32 v[18:19], v[4:5], v[132:133]
	v_mul_f64_e32 v[28:29], v[6:7], v[132:133]
	s_wait_loadcnt_dscnt 0x300
	v_mul_f64_e32 v[22:23], v[8:9], v[136:137]
	v_add_f64_e32 v[14:15], v[26:27], v[24:25]
	v_add_f64_e32 v[16:17], v[16:17], v[138:139]
	v_mul_f64_e32 v[24:25], v[10:11], v[136:137]
	v_fmac_f64_e32 v[18:19], v[6:7], v[130:131]
	v_fma_f64 v[26:27], v[4:5], v[130:131], -v[28:29]
	v_fmac_f64_e32 v[22:23], v[10:11], v[134:135]
	v_add_f64_e32 v[28:29], v[14:15], v[12:13]
	v_add_f64_e32 v[16:17], v[16:17], v[20:21]
	ds_load_b128 v[4:7], v2 offset:1440
	ds_load_b128 v[12:15], v2 offset:1456
	v_fma_f64 v[8:9], v[8:9], v[134:135], -v[24:25]
	s_wait_loadcnt_dscnt 0x201
	v_mul_f64_e32 v[2:3], v[4:5], v[144:145]
	v_mul_f64_e32 v[20:21], v[6:7], v[144:145]
	s_wait_loadcnt_dscnt 0x0
	v_mul_f64_e32 v[24:25], v[14:15], v[156:157]
	v_add_f64_e32 v[10:11], v[28:29], v[26:27]
	v_add_f64_e32 v[16:17], v[16:17], v[18:19]
	v_mul_f64_e32 v[18:19], v[12:13], v[156:157]
	v_fmac_f64_e32 v[2:3], v[6:7], v[142:143]
	v_fma_f64 v[4:5], v[4:5], v[142:143], -v[20:21]
	v_add_f64_e32 v[6:7], v[10:11], v[8:9]
	v_add_f64_e32 v[8:9], v[16:17], v[22:23]
	v_fmac_f64_e32 v[18:19], v[14:15], v[154:155]
	v_fma_f64 v[10:11], v[12:13], v[154:155], -v[24:25]
	s_delay_alu instid0(VALU_DEP_4) | instskip(NEXT) | instid1(VALU_DEP_4)
	v_add_f64_e32 v[4:5], v[6:7], v[4:5]
	v_add_f64_e32 v[2:3], v[8:9], v[2:3]
	s_delay_alu instid0(VALU_DEP_2) | instskip(NEXT) | instid1(VALU_DEP_2)
	v_add_f64_e32 v[4:5], v[4:5], v[10:11]
	v_add_f64_e32 v[6:7], v[2:3], v[18:19]
	s_delay_alu instid0(VALU_DEP_2) | instskip(NEXT) | instid1(VALU_DEP_2)
	v_add_f64_e64 v[2:3], v[150:151], -v[4:5]
	v_add_f64_e64 v[4:5], v[152:153], -v[6:7]
	scratch_store_b128 off, v[2:5], off offset:528
	s_wait_xcnt 0x0
	v_cmpx_lt_u32_e32 32, v1
	s_cbranch_execz .LBB45_225
; %bb.224:
	scratch_load_b128 v[2:5], off, s20
	v_mov_b32_e32 v6, 0
	s_delay_alu instid0(VALU_DEP_1)
	v_dual_mov_b32 v7, v6 :: v_dual_mov_b32 v8, v6
	v_mov_b32_e32 v9, v6
	scratch_store_b128 off, v[6:9], off offset:512
	s_wait_loadcnt 0x0
	ds_store_b128 v124, v[2:5]
.LBB45_225:
	s_wait_xcnt 0x0
	s_or_b32 exec_lo, exec_lo, s2
	s_wait_storecnt_dscnt 0x0
	s_barrier_signal -1
	s_barrier_wait -1
	s_clause 0x9
	scratch_load_b128 v[4:7], off, off offset:528
	scratch_load_b128 v[8:11], off, off offset:544
	;; [unrolled: 1-line block ×10, first 2 shown]
	v_mov_b32_e32 v2, 0
	s_mov_b32 s2, exec_lo
	ds_load_b128 v[138:141], v2 offset:1264
	s_clause 0x2
	scratch_load_b128 v[142:145], off, off offset:688
	scratch_load_b128 v[146:149], off, off offset:512
	;; [unrolled: 1-line block ×3, first 2 shown]
	s_wait_loadcnt_dscnt 0xc00
	v_mul_f64_e32 v[158:159], v[140:141], v[6:7]
	v_mul_f64_e32 v[162:163], v[138:139], v[6:7]
	ds_load_b128 v[150:153], v2 offset:1280
	v_fma_f64 v[166:167], v[138:139], v[4:5], -v[158:159]
	v_fmac_f64_e32 v[162:163], v[140:141], v[4:5]
	ds_load_b128 v[4:7], v2 offset:1296
	s_wait_loadcnt_dscnt 0xb01
	v_mul_f64_e32 v[164:165], v[150:151], v[10:11]
	v_mul_f64_e32 v[10:11], v[152:153], v[10:11]
	scratch_load_b128 v[138:141], off, off offset:720
	ds_load_b128 v[158:161], v2 offset:1312
	s_wait_loadcnt_dscnt 0xb01
	v_mul_f64_e32 v[168:169], v[4:5], v[14:15]
	v_mul_f64_e32 v[14:15], v[6:7], v[14:15]
	v_fmac_f64_e32 v[164:165], v[152:153], v[8:9]
	v_fma_f64 v[8:9], v[150:151], v[8:9], -v[10:11]
	v_add_f64_e32 v[10:11], 0, v[166:167]
	v_add_f64_e32 v[150:151], 0, v[162:163]
	s_wait_loadcnt_dscnt 0xa00
	v_mul_f64_e32 v[152:153], v[158:159], v[18:19]
	v_mul_f64_e32 v[18:19], v[160:161], v[18:19]
	v_fmac_f64_e32 v[168:169], v[6:7], v[12:13]
	v_fma_f64 v[12:13], v[4:5], v[12:13], -v[14:15]
	v_add_f64_e32 v[14:15], v[10:11], v[8:9]
	v_add_f64_e32 v[150:151], v[150:151], v[164:165]
	ds_load_b128 v[4:7], v2 offset:1328
	ds_load_b128 v[8:11], v2 offset:1344
	v_fmac_f64_e32 v[152:153], v[160:161], v[16:17]
	v_fma_f64 v[16:17], v[158:159], v[16:17], -v[18:19]
	s_wait_loadcnt_dscnt 0x901
	v_mul_f64_e32 v[162:163], v[4:5], v[22:23]
	v_mul_f64_e32 v[22:23], v[6:7], v[22:23]
	s_wait_loadcnt_dscnt 0x800
	v_mul_f64_e32 v[18:19], v[8:9], v[26:27]
	v_mul_f64_e32 v[26:27], v[10:11], v[26:27]
	v_add_f64_e32 v[12:13], v[14:15], v[12:13]
	v_add_f64_e32 v[14:15], v[150:151], v[168:169]
	v_fmac_f64_e32 v[162:163], v[6:7], v[20:21]
	v_fma_f64 v[20:21], v[4:5], v[20:21], -v[22:23]
	v_fmac_f64_e32 v[18:19], v[10:11], v[24:25]
	v_fma_f64 v[8:9], v[8:9], v[24:25], -v[26:27]
	v_add_f64_e32 v[16:17], v[12:13], v[16:17]
	v_add_f64_e32 v[22:23], v[14:15], v[152:153]
	ds_load_b128 v[4:7], v2 offset:1360
	ds_load_b128 v[12:15], v2 offset:1376
	s_wait_loadcnt_dscnt 0x701
	v_mul_f64_e32 v[150:151], v[4:5], v[30:31]
	v_mul_f64_e32 v[30:31], v[6:7], v[30:31]
	v_add_f64_e32 v[10:11], v[16:17], v[20:21]
	v_add_f64_e32 v[16:17], v[22:23], v[162:163]
	s_wait_loadcnt_dscnt 0x600
	v_mul_f64_e32 v[20:21], v[12:13], v[128:129]
	v_mul_f64_e32 v[22:23], v[14:15], v[128:129]
	v_fmac_f64_e32 v[150:151], v[6:7], v[28:29]
	v_fma_f64 v[24:25], v[4:5], v[28:29], -v[30:31]
	v_add_f64_e32 v[26:27], v[10:11], v[8:9]
	v_add_f64_e32 v[16:17], v[16:17], v[18:19]
	ds_load_b128 v[4:7], v2 offset:1392
	ds_load_b128 v[8:11], v2 offset:1408
	v_fmac_f64_e32 v[20:21], v[14:15], v[126:127]
	v_fma_f64 v[12:13], v[12:13], v[126:127], -v[22:23]
	s_wait_loadcnt_dscnt 0x501
	v_mul_f64_e32 v[18:19], v[4:5], v[132:133]
	v_mul_f64_e32 v[28:29], v[6:7], v[132:133]
	s_wait_loadcnt_dscnt 0x400
	v_mul_f64_e32 v[22:23], v[8:9], v[136:137]
	v_add_f64_e32 v[14:15], v[26:27], v[24:25]
	v_add_f64_e32 v[16:17], v[16:17], v[150:151]
	v_mul_f64_e32 v[24:25], v[10:11], v[136:137]
	v_fmac_f64_e32 v[18:19], v[6:7], v[130:131]
	v_fma_f64 v[26:27], v[4:5], v[130:131], -v[28:29]
	v_fmac_f64_e32 v[22:23], v[10:11], v[134:135]
	v_add_f64_e32 v[28:29], v[14:15], v[12:13]
	v_add_f64_e32 v[16:17], v[16:17], v[20:21]
	ds_load_b128 v[4:7], v2 offset:1424
	ds_load_b128 v[12:15], v2 offset:1440
	v_fma_f64 v[8:9], v[8:9], v[134:135], -v[24:25]
	s_wait_loadcnt_dscnt 0x301
	v_mul_f64_e32 v[20:21], v[4:5], v[144:145]
	v_mul_f64_e32 v[30:31], v[6:7], v[144:145]
	s_wait_loadcnt_dscnt 0x100
	v_mul_f64_e32 v[24:25], v[14:15], v[156:157]
	v_add_f64_e32 v[10:11], v[28:29], v[26:27]
	v_add_f64_e32 v[16:17], v[16:17], v[18:19]
	v_mul_f64_e32 v[18:19], v[12:13], v[156:157]
	v_fmac_f64_e32 v[20:21], v[6:7], v[142:143]
	v_fma_f64 v[26:27], v[4:5], v[142:143], -v[30:31]
	ds_load_b128 v[4:7], v2 offset:1456
	v_fma_f64 v[12:13], v[12:13], v[154:155], -v[24:25]
	v_add_f64_e32 v[8:9], v[10:11], v[8:9]
	v_add_f64_e32 v[10:11], v[16:17], v[22:23]
	v_fmac_f64_e32 v[18:19], v[14:15], v[154:155]
	s_wait_loadcnt_dscnt 0x0
	v_mul_f64_e32 v[16:17], v[4:5], v[140:141]
	v_mul_f64_e32 v[22:23], v[6:7], v[140:141]
	v_add_f64_e32 v[8:9], v[8:9], v[26:27]
	v_add_f64_e32 v[10:11], v[10:11], v[20:21]
	s_delay_alu instid0(VALU_DEP_4) | instskip(NEXT) | instid1(VALU_DEP_4)
	v_fmac_f64_e32 v[16:17], v[6:7], v[138:139]
	v_fma_f64 v[4:5], v[4:5], v[138:139], -v[22:23]
	s_delay_alu instid0(VALU_DEP_4) | instskip(NEXT) | instid1(VALU_DEP_4)
	v_add_f64_e32 v[6:7], v[8:9], v[12:13]
	v_add_f64_e32 v[8:9], v[10:11], v[18:19]
	s_delay_alu instid0(VALU_DEP_2) | instskip(NEXT) | instid1(VALU_DEP_2)
	v_add_f64_e32 v[4:5], v[6:7], v[4:5]
	v_add_f64_e32 v[6:7], v[8:9], v[16:17]
	s_delay_alu instid0(VALU_DEP_2) | instskip(NEXT) | instid1(VALU_DEP_2)
	v_add_f64_e64 v[4:5], v[146:147], -v[4:5]
	v_add_f64_e64 v[6:7], v[148:149], -v[6:7]
	scratch_store_b128 off, v[4:7], off offset:512
	s_wait_xcnt 0x0
	v_cmpx_lt_u32_e32 31, v1
	s_cbranch_execz .LBB45_227
; %bb.226:
	scratch_load_b128 v[6:9], off, s14
	v_dual_mov_b32 v3, v2 :: v_dual_mov_b32 v4, v2
	v_mov_b32_e32 v5, v2
	scratch_store_b128 off, v[2:5], off offset:496
	s_wait_loadcnt 0x0
	ds_store_b128 v124, v[6:9]
.LBB45_227:
	s_wait_xcnt 0x0
	s_or_b32 exec_lo, exec_lo, s2
	s_wait_storecnt_dscnt 0x0
	s_barrier_signal -1
	s_barrier_wait -1
	s_clause 0x9
	scratch_load_b128 v[4:7], off, off offset:512
	scratch_load_b128 v[8:11], off, off offset:528
	;; [unrolled: 1-line block ×10, first 2 shown]
	ds_load_b128 v[138:141], v2 offset:1248
	ds_load_b128 v[146:149], v2 offset:1264
	s_clause 0x2
	scratch_load_b128 v[142:145], off, off offset:672
	scratch_load_b128 v[150:153], off, off offset:496
	;; [unrolled: 1-line block ×3, first 2 shown]
	s_mov_b32 s2, exec_lo
	s_wait_loadcnt_dscnt 0xc01
	v_mul_f64_e32 v[158:159], v[140:141], v[6:7]
	v_mul_f64_e32 v[162:163], v[138:139], v[6:7]
	s_wait_loadcnt_dscnt 0xb00
	v_mul_f64_e32 v[164:165], v[146:147], v[10:11]
	v_mul_f64_e32 v[10:11], v[148:149], v[10:11]
	s_delay_alu instid0(VALU_DEP_4) | instskip(NEXT) | instid1(VALU_DEP_4)
	v_fma_f64 v[166:167], v[138:139], v[4:5], -v[158:159]
	v_fmac_f64_e32 v[162:163], v[140:141], v[4:5]
	ds_load_b128 v[4:7], v2 offset:1280
	ds_load_b128 v[138:141], v2 offset:1296
	scratch_load_b128 v[158:161], off, off offset:704
	v_fmac_f64_e32 v[164:165], v[148:149], v[8:9]
	v_fma_f64 v[146:147], v[146:147], v[8:9], -v[10:11]
	scratch_load_b128 v[8:11], off, off offset:720
	s_wait_loadcnt_dscnt 0xc01
	v_mul_f64_e32 v[168:169], v[4:5], v[14:15]
	v_mul_f64_e32 v[14:15], v[6:7], v[14:15]
	v_add_f64_e32 v[148:149], 0, v[166:167]
	v_add_f64_e32 v[162:163], 0, v[162:163]
	s_wait_loadcnt_dscnt 0xb00
	v_mul_f64_e32 v[166:167], v[138:139], v[18:19]
	v_mul_f64_e32 v[18:19], v[140:141], v[18:19]
	v_fmac_f64_e32 v[168:169], v[6:7], v[12:13]
	v_fma_f64 v[170:171], v[4:5], v[12:13], -v[14:15]
	ds_load_b128 v[4:7], v2 offset:1312
	ds_load_b128 v[12:15], v2 offset:1328
	v_add_f64_e32 v[146:147], v[148:149], v[146:147]
	v_add_f64_e32 v[148:149], v[162:163], v[164:165]
	v_fmac_f64_e32 v[166:167], v[140:141], v[16:17]
	v_fma_f64 v[16:17], v[138:139], v[16:17], -v[18:19]
	s_wait_loadcnt_dscnt 0xa01
	v_mul_f64_e32 v[162:163], v[4:5], v[22:23]
	v_mul_f64_e32 v[22:23], v[6:7], v[22:23]
	s_wait_loadcnt_dscnt 0x900
	v_mul_f64_e32 v[140:141], v[12:13], v[26:27]
	v_mul_f64_e32 v[26:27], v[14:15], v[26:27]
	v_add_f64_e32 v[18:19], v[146:147], v[170:171]
	v_add_f64_e32 v[138:139], v[148:149], v[168:169]
	v_fmac_f64_e32 v[162:163], v[6:7], v[20:21]
	v_fma_f64 v[20:21], v[4:5], v[20:21], -v[22:23]
	v_fmac_f64_e32 v[140:141], v[14:15], v[24:25]
	v_fma_f64 v[12:13], v[12:13], v[24:25], -v[26:27]
	v_add_f64_e32 v[22:23], v[18:19], v[16:17]
	v_add_f64_e32 v[138:139], v[138:139], v[166:167]
	ds_load_b128 v[4:7], v2 offset:1344
	ds_load_b128 v[16:19], v2 offset:1360
	s_wait_loadcnt_dscnt 0x801
	v_mul_f64_e32 v[146:147], v[4:5], v[30:31]
	v_mul_f64_e32 v[30:31], v[6:7], v[30:31]
	s_wait_loadcnt_dscnt 0x700
	v_mul_f64_e32 v[24:25], v[18:19], v[128:129]
	v_add_f64_e32 v[14:15], v[22:23], v[20:21]
	v_add_f64_e32 v[20:21], v[138:139], v[162:163]
	v_mul_f64_e32 v[22:23], v[16:17], v[128:129]
	v_fmac_f64_e32 v[146:147], v[6:7], v[28:29]
	v_fma_f64 v[26:27], v[4:5], v[28:29], -v[30:31]
	v_fma_f64 v[16:17], v[16:17], v[126:127], -v[24:25]
	v_add_f64_e32 v[28:29], v[14:15], v[12:13]
	v_add_f64_e32 v[20:21], v[20:21], v[140:141]
	ds_load_b128 v[4:7], v2 offset:1376
	ds_load_b128 v[12:15], v2 offset:1392
	v_fmac_f64_e32 v[22:23], v[18:19], v[126:127]
	s_wait_loadcnt_dscnt 0x601
	v_mul_f64_e32 v[30:31], v[4:5], v[132:133]
	v_mul_f64_e32 v[128:129], v[6:7], v[132:133]
	s_wait_loadcnt_dscnt 0x500
	v_mul_f64_e32 v[24:25], v[12:13], v[136:137]
	v_add_f64_e32 v[18:19], v[28:29], v[26:27]
	v_add_f64_e32 v[20:21], v[20:21], v[146:147]
	v_mul_f64_e32 v[26:27], v[14:15], v[136:137]
	v_fmac_f64_e32 v[30:31], v[6:7], v[130:131]
	v_fma_f64 v[28:29], v[4:5], v[130:131], -v[128:129]
	v_fmac_f64_e32 v[24:25], v[14:15], v[134:135]
	v_add_f64_e32 v[126:127], v[18:19], v[16:17]
	v_add_f64_e32 v[20:21], v[20:21], v[22:23]
	ds_load_b128 v[4:7], v2 offset:1408
	ds_load_b128 v[16:19], v2 offset:1424
	v_fma_f64 v[12:13], v[12:13], v[134:135], -v[26:27]
	s_wait_loadcnt_dscnt 0x401
	v_mul_f64_e32 v[22:23], v[4:5], v[144:145]
	v_mul_f64_e32 v[128:129], v[6:7], v[144:145]
	s_wait_loadcnt_dscnt 0x200
	v_mul_f64_e32 v[26:27], v[16:17], v[156:157]
	v_add_f64_e32 v[14:15], v[126:127], v[28:29]
	v_add_f64_e32 v[20:21], v[20:21], v[30:31]
	v_mul_f64_e32 v[28:29], v[18:19], v[156:157]
	v_fmac_f64_e32 v[22:23], v[6:7], v[142:143]
	v_fma_f64 v[30:31], v[4:5], v[142:143], -v[128:129]
	v_fmac_f64_e32 v[26:27], v[18:19], v[154:155]
	v_add_f64_e32 v[126:127], v[14:15], v[12:13]
	v_add_f64_e32 v[20:21], v[20:21], v[24:25]
	ds_load_b128 v[4:7], v2 offset:1440
	ds_load_b128 v[12:15], v2 offset:1456
	v_fma_f64 v[16:17], v[16:17], v[154:155], -v[28:29]
	s_wait_loadcnt_dscnt 0x101
	v_mul_f64_e32 v[2:3], v[4:5], v[160:161]
	v_mul_f64_e32 v[24:25], v[6:7], v[160:161]
	v_add_f64_e32 v[18:19], v[126:127], v[30:31]
	v_add_f64_e32 v[20:21], v[20:21], v[22:23]
	s_wait_loadcnt_dscnt 0x0
	v_mul_f64_e32 v[22:23], v[12:13], v[10:11]
	v_mul_f64_e32 v[10:11], v[14:15], v[10:11]
	v_fmac_f64_e32 v[2:3], v[6:7], v[158:159]
	v_fma_f64 v[4:5], v[4:5], v[158:159], -v[24:25]
	v_add_f64_e32 v[6:7], v[18:19], v[16:17]
	v_add_f64_e32 v[16:17], v[20:21], v[26:27]
	v_fmac_f64_e32 v[22:23], v[14:15], v[8:9]
	v_fma_f64 v[8:9], v[12:13], v[8:9], -v[10:11]
	s_delay_alu instid0(VALU_DEP_4) | instskip(NEXT) | instid1(VALU_DEP_4)
	v_add_f64_e32 v[4:5], v[6:7], v[4:5]
	v_add_f64_e32 v[2:3], v[16:17], v[2:3]
	s_delay_alu instid0(VALU_DEP_2) | instskip(NEXT) | instid1(VALU_DEP_2)
	v_add_f64_e32 v[4:5], v[4:5], v[8:9]
	v_add_f64_e32 v[6:7], v[2:3], v[22:23]
	s_delay_alu instid0(VALU_DEP_2) | instskip(NEXT) | instid1(VALU_DEP_2)
	v_add_f64_e64 v[2:3], v[150:151], -v[4:5]
	v_add_f64_e64 v[4:5], v[152:153], -v[6:7]
	scratch_store_b128 off, v[2:5], off offset:496
	s_wait_xcnt 0x0
	v_cmpx_lt_u32_e32 30, v1
	s_cbranch_execz .LBB45_229
; %bb.228:
	scratch_load_b128 v[2:5], off, s24
	v_mov_b32_e32 v6, 0
	s_delay_alu instid0(VALU_DEP_1)
	v_dual_mov_b32 v7, v6 :: v_dual_mov_b32 v8, v6
	v_mov_b32_e32 v9, v6
	scratch_store_b128 off, v[6:9], off offset:480
	s_wait_loadcnt 0x0
	ds_store_b128 v124, v[2:5]
.LBB45_229:
	s_wait_xcnt 0x0
	s_or_b32 exec_lo, exec_lo, s2
	s_wait_storecnt_dscnt 0x0
	s_barrier_signal -1
	s_barrier_wait -1
	s_clause 0x9
	scratch_load_b128 v[4:7], off, off offset:496
	scratch_load_b128 v[8:11], off, off offset:512
	;; [unrolled: 1-line block ×10, first 2 shown]
	v_mov_b32_e32 v2, 0
	s_mov_b32 s2, exec_lo
	ds_load_b128 v[138:141], v2 offset:1232
	s_clause 0x2
	scratch_load_b128 v[142:145], off, off offset:656
	scratch_load_b128 v[146:149], off, off offset:480
	;; [unrolled: 1-line block ×3, first 2 shown]
	s_wait_loadcnt_dscnt 0xc00
	v_mul_f64_e32 v[158:159], v[140:141], v[6:7]
	v_mul_f64_e32 v[162:163], v[138:139], v[6:7]
	ds_load_b128 v[150:153], v2 offset:1248
	v_fma_f64 v[166:167], v[138:139], v[4:5], -v[158:159]
	v_fmac_f64_e32 v[162:163], v[140:141], v[4:5]
	ds_load_b128 v[4:7], v2 offset:1264
	s_wait_loadcnt_dscnt 0xb01
	v_mul_f64_e32 v[164:165], v[150:151], v[10:11]
	v_mul_f64_e32 v[10:11], v[152:153], v[10:11]
	scratch_load_b128 v[138:141], off, off offset:688
	ds_load_b128 v[158:161], v2 offset:1280
	s_wait_loadcnt_dscnt 0xb01
	v_mul_f64_e32 v[168:169], v[4:5], v[14:15]
	v_mul_f64_e32 v[14:15], v[6:7], v[14:15]
	v_add_f64_e32 v[162:163], 0, v[162:163]
	v_fmac_f64_e32 v[164:165], v[152:153], v[8:9]
	v_fma_f64 v[150:151], v[150:151], v[8:9], -v[10:11]
	v_add_f64_e32 v[152:153], 0, v[166:167]
	scratch_load_b128 v[8:11], off, off offset:704
	v_fmac_f64_e32 v[168:169], v[6:7], v[12:13]
	v_fma_f64 v[170:171], v[4:5], v[12:13], -v[14:15]
	ds_load_b128 v[4:7], v2 offset:1296
	s_wait_loadcnt_dscnt 0xb01
	v_mul_f64_e32 v[166:167], v[158:159], v[18:19]
	v_mul_f64_e32 v[18:19], v[160:161], v[18:19]
	scratch_load_b128 v[12:15], off, off offset:720
	v_add_f64_e32 v[162:163], v[162:163], v[164:165]
	v_add_f64_e32 v[172:173], v[152:153], v[150:151]
	ds_load_b128 v[150:153], v2 offset:1312
	s_wait_loadcnt_dscnt 0xb01
	v_mul_f64_e32 v[164:165], v[4:5], v[22:23]
	v_mul_f64_e32 v[22:23], v[6:7], v[22:23]
	v_fmac_f64_e32 v[166:167], v[160:161], v[16:17]
	v_fma_f64 v[16:17], v[158:159], v[16:17], -v[18:19]
	s_wait_loadcnt_dscnt 0xa00
	v_mul_f64_e32 v[160:161], v[150:151], v[26:27]
	v_mul_f64_e32 v[26:27], v[152:153], v[26:27]
	v_add_f64_e32 v[158:159], v[162:163], v[168:169]
	v_add_f64_e32 v[18:19], v[172:173], v[170:171]
	v_fmac_f64_e32 v[164:165], v[6:7], v[20:21]
	v_fma_f64 v[20:21], v[4:5], v[20:21], -v[22:23]
	v_fmac_f64_e32 v[160:161], v[152:153], v[24:25]
	v_fma_f64 v[24:25], v[150:151], v[24:25], -v[26:27]
	v_add_f64_e32 v[158:159], v[158:159], v[166:167]
	v_add_f64_e32 v[22:23], v[18:19], v[16:17]
	ds_load_b128 v[4:7], v2 offset:1328
	ds_load_b128 v[16:19], v2 offset:1344
	s_wait_loadcnt_dscnt 0x901
	v_mul_f64_e32 v[162:163], v[4:5], v[30:31]
	v_mul_f64_e32 v[30:31], v[6:7], v[30:31]
	s_wait_loadcnt_dscnt 0x800
	v_mul_f64_e32 v[26:27], v[16:17], v[128:129]
	v_mul_f64_e32 v[128:129], v[18:19], v[128:129]
	v_add_f64_e32 v[20:21], v[22:23], v[20:21]
	v_add_f64_e32 v[22:23], v[158:159], v[164:165]
	v_fmac_f64_e32 v[162:163], v[6:7], v[28:29]
	v_fma_f64 v[28:29], v[4:5], v[28:29], -v[30:31]
	v_fmac_f64_e32 v[26:27], v[18:19], v[126:127]
	v_fma_f64 v[16:17], v[16:17], v[126:127], -v[128:129]
	v_add_f64_e32 v[24:25], v[20:21], v[24:25]
	v_add_f64_e32 v[30:31], v[22:23], v[160:161]
	ds_load_b128 v[4:7], v2 offset:1360
	ds_load_b128 v[20:23], v2 offset:1376
	s_wait_loadcnt_dscnt 0x701
	v_mul_f64_e32 v[150:151], v[4:5], v[132:133]
	v_mul_f64_e32 v[132:133], v[6:7], v[132:133]
	v_add_f64_e32 v[18:19], v[24:25], v[28:29]
	v_add_f64_e32 v[24:25], v[30:31], v[162:163]
	s_wait_loadcnt_dscnt 0x600
	v_mul_f64_e32 v[28:29], v[20:21], v[136:137]
	v_mul_f64_e32 v[30:31], v[22:23], v[136:137]
	v_fmac_f64_e32 v[150:151], v[6:7], v[130:131]
	v_fma_f64 v[126:127], v[4:5], v[130:131], -v[132:133]
	v_add_f64_e32 v[128:129], v[18:19], v[16:17]
	v_add_f64_e32 v[24:25], v[24:25], v[26:27]
	ds_load_b128 v[4:7], v2 offset:1392
	ds_load_b128 v[16:19], v2 offset:1408
	v_fmac_f64_e32 v[28:29], v[22:23], v[134:135]
	v_fma_f64 v[20:21], v[20:21], v[134:135], -v[30:31]
	s_wait_loadcnt_dscnt 0x501
	v_mul_f64_e32 v[26:27], v[4:5], v[144:145]
	v_mul_f64_e32 v[130:131], v[6:7], v[144:145]
	s_wait_loadcnt_dscnt 0x300
	v_mul_f64_e32 v[30:31], v[16:17], v[156:157]
	v_add_f64_e32 v[22:23], v[128:129], v[126:127]
	v_add_f64_e32 v[24:25], v[24:25], v[150:151]
	v_mul_f64_e32 v[126:127], v[18:19], v[156:157]
	v_fmac_f64_e32 v[26:27], v[6:7], v[142:143]
	v_fma_f64 v[128:129], v[4:5], v[142:143], -v[130:131]
	v_fmac_f64_e32 v[30:31], v[18:19], v[154:155]
	v_add_f64_e32 v[130:131], v[22:23], v[20:21]
	v_add_f64_e32 v[24:25], v[24:25], v[28:29]
	ds_load_b128 v[4:7], v2 offset:1424
	ds_load_b128 v[20:23], v2 offset:1440
	v_fma_f64 v[16:17], v[16:17], v[154:155], -v[126:127]
	s_wait_loadcnt_dscnt 0x201
	v_mul_f64_e32 v[28:29], v[4:5], v[140:141]
	v_mul_f64_e32 v[132:133], v[6:7], v[140:141]
	v_add_f64_e32 v[18:19], v[130:131], v[128:129]
	v_add_f64_e32 v[24:25], v[24:25], v[26:27]
	s_wait_loadcnt_dscnt 0x100
	v_mul_f64_e32 v[26:27], v[20:21], v[10:11]
	v_mul_f64_e32 v[10:11], v[22:23], v[10:11]
	v_fmac_f64_e32 v[28:29], v[6:7], v[138:139]
	v_fma_f64 v[126:127], v[4:5], v[138:139], -v[132:133]
	ds_load_b128 v[4:7], v2 offset:1456
	v_add_f64_e32 v[16:17], v[18:19], v[16:17]
	v_add_f64_e32 v[18:19], v[24:25], v[30:31]
	v_fmac_f64_e32 v[26:27], v[22:23], v[8:9]
	v_fma_f64 v[8:9], v[20:21], v[8:9], -v[10:11]
	s_wait_loadcnt_dscnt 0x0
	v_mul_f64_e32 v[24:25], v[4:5], v[14:15]
	v_mul_f64_e32 v[14:15], v[6:7], v[14:15]
	v_add_f64_e32 v[10:11], v[16:17], v[126:127]
	v_add_f64_e32 v[16:17], v[18:19], v[28:29]
	s_delay_alu instid0(VALU_DEP_4) | instskip(NEXT) | instid1(VALU_DEP_4)
	v_fmac_f64_e32 v[24:25], v[6:7], v[12:13]
	v_fma_f64 v[4:5], v[4:5], v[12:13], -v[14:15]
	s_delay_alu instid0(VALU_DEP_4) | instskip(NEXT) | instid1(VALU_DEP_4)
	v_add_f64_e32 v[6:7], v[10:11], v[8:9]
	v_add_f64_e32 v[8:9], v[16:17], v[26:27]
	s_delay_alu instid0(VALU_DEP_2) | instskip(NEXT) | instid1(VALU_DEP_2)
	v_add_f64_e32 v[4:5], v[6:7], v[4:5]
	v_add_f64_e32 v[6:7], v[8:9], v[24:25]
	s_delay_alu instid0(VALU_DEP_2) | instskip(NEXT) | instid1(VALU_DEP_2)
	v_add_f64_e64 v[4:5], v[146:147], -v[4:5]
	v_add_f64_e64 v[6:7], v[148:149], -v[6:7]
	scratch_store_b128 off, v[4:7], off offset:480
	s_wait_xcnt 0x0
	v_cmpx_lt_u32_e32 29, v1
	s_cbranch_execz .LBB45_231
; %bb.230:
	scratch_load_b128 v[6:9], off, s21
	v_dual_mov_b32 v3, v2 :: v_dual_mov_b32 v4, v2
	v_mov_b32_e32 v5, v2
	scratch_store_b128 off, v[2:5], off offset:464
	s_wait_loadcnt 0x0
	ds_store_b128 v124, v[6:9]
.LBB45_231:
	s_wait_xcnt 0x0
	s_or_b32 exec_lo, exec_lo, s2
	s_wait_storecnt_dscnt 0x0
	s_barrier_signal -1
	s_barrier_wait -1
	s_clause 0x9
	scratch_load_b128 v[4:7], off, off offset:480
	scratch_load_b128 v[8:11], off, off offset:496
	;; [unrolled: 1-line block ×10, first 2 shown]
	ds_load_b128 v[138:141], v2 offset:1216
	ds_load_b128 v[146:149], v2 offset:1232
	s_clause 0x2
	scratch_load_b128 v[142:145], off, off offset:640
	scratch_load_b128 v[150:153], off, off offset:464
	scratch_load_b128 v[154:157], off, off offset:656
	s_mov_b32 s2, exec_lo
	s_wait_loadcnt_dscnt 0xc01
	v_mul_f64_e32 v[158:159], v[140:141], v[6:7]
	v_mul_f64_e32 v[162:163], v[138:139], v[6:7]
	s_wait_loadcnt_dscnt 0xb00
	v_mul_f64_e32 v[164:165], v[146:147], v[10:11]
	v_mul_f64_e32 v[10:11], v[148:149], v[10:11]
	s_delay_alu instid0(VALU_DEP_4) | instskip(NEXT) | instid1(VALU_DEP_4)
	v_fma_f64 v[166:167], v[138:139], v[4:5], -v[158:159]
	v_fmac_f64_e32 v[162:163], v[140:141], v[4:5]
	ds_load_b128 v[4:7], v2 offset:1248
	ds_load_b128 v[138:141], v2 offset:1264
	scratch_load_b128 v[158:161], off, off offset:672
	v_fmac_f64_e32 v[164:165], v[148:149], v[8:9]
	v_fma_f64 v[146:147], v[146:147], v[8:9], -v[10:11]
	scratch_load_b128 v[8:11], off, off offset:688
	s_wait_loadcnt_dscnt 0xc01
	v_mul_f64_e32 v[168:169], v[4:5], v[14:15]
	v_mul_f64_e32 v[14:15], v[6:7], v[14:15]
	v_add_f64_e32 v[148:149], 0, v[166:167]
	v_add_f64_e32 v[162:163], 0, v[162:163]
	s_wait_loadcnt_dscnt 0xb00
	v_mul_f64_e32 v[166:167], v[138:139], v[18:19]
	v_mul_f64_e32 v[18:19], v[140:141], v[18:19]
	v_fmac_f64_e32 v[168:169], v[6:7], v[12:13]
	v_fma_f64 v[170:171], v[4:5], v[12:13], -v[14:15]
	ds_load_b128 v[4:7], v2 offset:1280
	ds_load_b128 v[12:15], v2 offset:1296
	v_add_f64_e32 v[172:173], v[148:149], v[146:147]
	v_add_f64_e32 v[162:163], v[162:163], v[164:165]
	scratch_load_b128 v[146:149], off, off offset:704
	v_fmac_f64_e32 v[166:167], v[140:141], v[16:17]
	v_fma_f64 v[138:139], v[138:139], v[16:17], -v[18:19]
	scratch_load_b128 v[16:19], off, off offset:720
	s_wait_loadcnt_dscnt 0xc01
	v_mul_f64_e32 v[164:165], v[4:5], v[22:23]
	v_mul_f64_e32 v[22:23], v[6:7], v[22:23]
	v_add_f64_e32 v[140:141], v[172:173], v[170:171]
	v_add_f64_e32 v[162:163], v[162:163], v[168:169]
	s_wait_loadcnt_dscnt 0xb00
	v_mul_f64_e32 v[168:169], v[12:13], v[26:27]
	v_mul_f64_e32 v[26:27], v[14:15], v[26:27]
	v_fmac_f64_e32 v[164:165], v[6:7], v[20:21]
	v_fma_f64 v[170:171], v[4:5], v[20:21], -v[22:23]
	ds_load_b128 v[4:7], v2 offset:1312
	ds_load_b128 v[20:23], v2 offset:1328
	v_add_f64_e32 v[138:139], v[140:141], v[138:139]
	v_add_f64_e32 v[140:141], v[162:163], v[166:167]
	s_wait_loadcnt_dscnt 0xa01
	v_mul_f64_e32 v[162:163], v[4:5], v[30:31]
	v_mul_f64_e32 v[30:31], v[6:7], v[30:31]
	v_fmac_f64_e32 v[168:169], v[14:15], v[24:25]
	v_fma_f64 v[12:13], v[12:13], v[24:25], -v[26:27]
	s_wait_loadcnt_dscnt 0x900
	v_mul_f64_e32 v[26:27], v[20:21], v[128:129]
	v_mul_f64_e32 v[128:129], v[22:23], v[128:129]
	v_add_f64_e32 v[14:15], v[138:139], v[170:171]
	v_add_f64_e32 v[24:25], v[140:141], v[164:165]
	v_fmac_f64_e32 v[162:163], v[6:7], v[28:29]
	v_fma_f64 v[28:29], v[4:5], v[28:29], -v[30:31]
	v_fmac_f64_e32 v[26:27], v[22:23], v[126:127]
	v_fma_f64 v[20:21], v[20:21], v[126:127], -v[128:129]
	v_add_f64_e32 v[30:31], v[14:15], v[12:13]
	v_add_f64_e32 v[24:25], v[24:25], v[168:169]
	ds_load_b128 v[4:7], v2 offset:1344
	ds_load_b128 v[12:15], v2 offset:1360
	s_wait_loadcnt_dscnt 0x801
	v_mul_f64_e32 v[138:139], v[4:5], v[132:133]
	v_mul_f64_e32 v[132:133], v[6:7], v[132:133]
	v_add_f64_e32 v[22:23], v[30:31], v[28:29]
	v_add_f64_e32 v[24:25], v[24:25], v[162:163]
	s_wait_loadcnt_dscnt 0x700
	v_mul_f64_e32 v[28:29], v[12:13], v[136:137]
	v_mul_f64_e32 v[30:31], v[14:15], v[136:137]
	v_fmac_f64_e32 v[138:139], v[6:7], v[130:131]
	v_fma_f64 v[126:127], v[4:5], v[130:131], -v[132:133]
	v_add_f64_e32 v[128:129], v[22:23], v[20:21]
	v_add_f64_e32 v[24:25], v[24:25], v[26:27]
	ds_load_b128 v[4:7], v2 offset:1376
	ds_load_b128 v[20:23], v2 offset:1392
	v_fmac_f64_e32 v[28:29], v[14:15], v[134:135]
	v_fma_f64 v[12:13], v[12:13], v[134:135], -v[30:31]
	s_wait_loadcnt_dscnt 0x601
	v_mul_f64_e32 v[26:27], v[4:5], v[144:145]
	v_mul_f64_e32 v[130:131], v[6:7], v[144:145]
	s_wait_loadcnt_dscnt 0x400
	v_mul_f64_e32 v[30:31], v[20:21], v[156:157]
	v_add_f64_e32 v[14:15], v[128:129], v[126:127]
	v_add_f64_e32 v[24:25], v[24:25], v[138:139]
	v_mul_f64_e32 v[126:127], v[22:23], v[156:157]
	v_fmac_f64_e32 v[26:27], v[6:7], v[142:143]
	v_fma_f64 v[128:129], v[4:5], v[142:143], -v[130:131]
	v_fmac_f64_e32 v[30:31], v[22:23], v[154:155]
	v_add_f64_e32 v[130:131], v[14:15], v[12:13]
	v_add_f64_e32 v[24:25], v[24:25], v[28:29]
	ds_load_b128 v[4:7], v2 offset:1408
	ds_load_b128 v[12:15], v2 offset:1424
	v_fma_f64 v[20:21], v[20:21], v[154:155], -v[126:127]
	s_wait_loadcnt_dscnt 0x301
	v_mul_f64_e32 v[28:29], v[4:5], v[160:161]
	v_mul_f64_e32 v[132:133], v[6:7], v[160:161]
	v_add_f64_e32 v[22:23], v[130:131], v[128:129]
	v_add_f64_e32 v[24:25], v[24:25], v[26:27]
	s_wait_loadcnt_dscnt 0x200
	v_mul_f64_e32 v[26:27], v[12:13], v[10:11]
	v_mul_f64_e32 v[10:11], v[14:15], v[10:11]
	v_fmac_f64_e32 v[28:29], v[6:7], v[158:159]
	v_fma_f64 v[126:127], v[4:5], v[158:159], -v[132:133]
	v_add_f64_e32 v[128:129], v[22:23], v[20:21]
	v_add_f64_e32 v[24:25], v[24:25], v[30:31]
	ds_load_b128 v[4:7], v2 offset:1440
	ds_load_b128 v[20:23], v2 offset:1456
	v_fmac_f64_e32 v[26:27], v[14:15], v[8:9]
	v_fma_f64 v[8:9], v[12:13], v[8:9], -v[10:11]
	s_wait_loadcnt_dscnt 0x101
	v_mul_f64_e32 v[2:3], v[4:5], v[148:149]
	v_mul_f64_e32 v[30:31], v[6:7], v[148:149]
	s_wait_loadcnt_dscnt 0x0
	v_mul_f64_e32 v[14:15], v[20:21], v[18:19]
	v_mul_f64_e32 v[18:19], v[22:23], v[18:19]
	v_add_f64_e32 v[10:11], v[128:129], v[126:127]
	v_add_f64_e32 v[12:13], v[24:25], v[28:29]
	v_fmac_f64_e32 v[2:3], v[6:7], v[146:147]
	v_fma_f64 v[4:5], v[4:5], v[146:147], -v[30:31]
	v_fmac_f64_e32 v[14:15], v[22:23], v[16:17]
	v_add_f64_e32 v[6:7], v[10:11], v[8:9]
	v_add_f64_e32 v[8:9], v[12:13], v[26:27]
	v_fma_f64 v[10:11], v[20:21], v[16:17], -v[18:19]
	s_delay_alu instid0(VALU_DEP_3) | instskip(NEXT) | instid1(VALU_DEP_3)
	v_add_f64_e32 v[4:5], v[6:7], v[4:5]
	v_add_f64_e32 v[2:3], v[8:9], v[2:3]
	s_delay_alu instid0(VALU_DEP_2) | instskip(NEXT) | instid1(VALU_DEP_2)
	v_add_f64_e32 v[4:5], v[4:5], v[10:11]
	v_add_f64_e32 v[6:7], v[2:3], v[14:15]
	s_delay_alu instid0(VALU_DEP_2) | instskip(NEXT) | instid1(VALU_DEP_2)
	v_add_f64_e64 v[2:3], v[150:151], -v[4:5]
	v_add_f64_e64 v[4:5], v[152:153], -v[6:7]
	scratch_store_b128 off, v[2:5], off offset:464
	s_wait_xcnt 0x0
	v_cmpx_lt_u32_e32 28, v1
	s_cbranch_execz .LBB45_233
; %bb.232:
	scratch_load_b128 v[2:5], off, s27
	v_mov_b32_e32 v6, 0
	s_delay_alu instid0(VALU_DEP_1)
	v_dual_mov_b32 v7, v6 :: v_dual_mov_b32 v8, v6
	v_mov_b32_e32 v9, v6
	scratch_store_b128 off, v[6:9], off offset:448
	s_wait_loadcnt 0x0
	ds_store_b128 v124, v[2:5]
.LBB45_233:
	s_wait_xcnt 0x0
	s_or_b32 exec_lo, exec_lo, s2
	s_wait_storecnt_dscnt 0x0
	s_barrier_signal -1
	s_barrier_wait -1
	s_clause 0x9
	scratch_load_b128 v[4:7], off, off offset:464
	scratch_load_b128 v[8:11], off, off offset:480
	;; [unrolled: 1-line block ×10, first 2 shown]
	v_mov_b32_e32 v2, 0
	s_mov_b32 s2, exec_lo
	ds_load_b128 v[138:141], v2 offset:1200
	s_clause 0x2
	scratch_load_b128 v[142:145], off, off offset:624
	scratch_load_b128 v[146:149], off, off offset:448
	;; [unrolled: 1-line block ×3, first 2 shown]
	s_wait_loadcnt_dscnt 0xc00
	v_mul_f64_e32 v[158:159], v[140:141], v[6:7]
	v_mul_f64_e32 v[162:163], v[138:139], v[6:7]
	ds_load_b128 v[150:153], v2 offset:1216
	v_fma_f64 v[166:167], v[138:139], v[4:5], -v[158:159]
	v_fmac_f64_e32 v[162:163], v[140:141], v[4:5]
	ds_load_b128 v[4:7], v2 offset:1232
	s_wait_loadcnt_dscnt 0xb01
	v_mul_f64_e32 v[164:165], v[150:151], v[10:11]
	v_mul_f64_e32 v[10:11], v[152:153], v[10:11]
	scratch_load_b128 v[138:141], off, off offset:656
	ds_load_b128 v[158:161], v2 offset:1248
	s_wait_loadcnt_dscnt 0xb01
	v_mul_f64_e32 v[168:169], v[4:5], v[14:15]
	v_mul_f64_e32 v[14:15], v[6:7], v[14:15]
	v_add_f64_e32 v[162:163], 0, v[162:163]
	v_fmac_f64_e32 v[164:165], v[152:153], v[8:9]
	v_fma_f64 v[150:151], v[150:151], v[8:9], -v[10:11]
	v_add_f64_e32 v[152:153], 0, v[166:167]
	scratch_load_b128 v[8:11], off, off offset:672
	v_fmac_f64_e32 v[168:169], v[6:7], v[12:13]
	v_fma_f64 v[170:171], v[4:5], v[12:13], -v[14:15]
	ds_load_b128 v[4:7], v2 offset:1264
	s_wait_loadcnt_dscnt 0xb01
	v_mul_f64_e32 v[166:167], v[158:159], v[18:19]
	v_mul_f64_e32 v[18:19], v[160:161], v[18:19]
	scratch_load_b128 v[12:15], off, off offset:688
	v_add_f64_e32 v[162:163], v[162:163], v[164:165]
	v_add_f64_e32 v[172:173], v[152:153], v[150:151]
	ds_load_b128 v[150:153], v2 offset:1280
	s_wait_loadcnt_dscnt 0xb01
	v_mul_f64_e32 v[164:165], v[4:5], v[22:23]
	v_mul_f64_e32 v[22:23], v[6:7], v[22:23]
	v_fmac_f64_e32 v[166:167], v[160:161], v[16:17]
	v_fma_f64 v[158:159], v[158:159], v[16:17], -v[18:19]
	scratch_load_b128 v[16:19], off, off offset:704
	v_add_f64_e32 v[162:163], v[162:163], v[168:169]
	v_add_f64_e32 v[160:161], v[172:173], v[170:171]
	v_fmac_f64_e32 v[164:165], v[6:7], v[20:21]
	v_fma_f64 v[170:171], v[4:5], v[20:21], -v[22:23]
	ds_load_b128 v[4:7], v2 offset:1296
	s_wait_loadcnt_dscnt 0xb01
	v_mul_f64_e32 v[168:169], v[150:151], v[26:27]
	v_mul_f64_e32 v[26:27], v[152:153], v[26:27]
	scratch_load_b128 v[20:23], off, off offset:720
	v_add_f64_e32 v[162:163], v[162:163], v[166:167]
	s_wait_loadcnt_dscnt 0xb00
	v_mul_f64_e32 v[166:167], v[4:5], v[30:31]
	v_add_f64_e32 v[172:173], v[160:161], v[158:159]
	v_mul_f64_e32 v[30:31], v[6:7], v[30:31]
	ds_load_b128 v[158:161], v2 offset:1312
	v_fmac_f64_e32 v[168:169], v[152:153], v[24:25]
	v_fma_f64 v[24:25], v[150:151], v[24:25], -v[26:27]
	s_wait_loadcnt_dscnt 0xa00
	v_mul_f64_e32 v[152:153], v[158:159], v[128:129]
	v_mul_f64_e32 v[128:129], v[160:161], v[128:129]
	v_add_f64_e32 v[150:151], v[162:163], v[164:165]
	v_fmac_f64_e32 v[166:167], v[6:7], v[28:29]
	v_add_f64_e32 v[26:27], v[172:173], v[170:171]
	v_fma_f64 v[28:29], v[4:5], v[28:29], -v[30:31]
	v_fmac_f64_e32 v[152:153], v[160:161], v[126:127]
	v_fma_f64 v[126:127], v[158:159], v[126:127], -v[128:129]
	v_add_f64_e32 v[150:151], v[150:151], v[168:169]
	v_add_f64_e32 v[30:31], v[26:27], v[24:25]
	ds_load_b128 v[4:7], v2 offset:1328
	ds_load_b128 v[24:27], v2 offset:1344
	s_wait_loadcnt_dscnt 0x901
	v_mul_f64_e32 v[162:163], v[4:5], v[132:133]
	v_mul_f64_e32 v[132:133], v[6:7], v[132:133]
	s_wait_loadcnt_dscnt 0x800
	v_mul_f64_e32 v[128:129], v[24:25], v[136:137]
	v_mul_f64_e32 v[136:137], v[26:27], v[136:137]
	v_add_f64_e32 v[28:29], v[30:31], v[28:29]
	v_add_f64_e32 v[30:31], v[150:151], v[166:167]
	v_fmac_f64_e32 v[162:163], v[6:7], v[130:131]
	v_fma_f64 v[130:131], v[4:5], v[130:131], -v[132:133]
	v_fmac_f64_e32 v[128:129], v[26:27], v[134:135]
	v_fma_f64 v[24:25], v[24:25], v[134:135], -v[136:137]
	v_add_f64_e32 v[126:127], v[28:29], v[126:127]
	v_add_f64_e32 v[132:133], v[30:31], v[152:153]
	ds_load_b128 v[4:7], v2 offset:1360
	ds_load_b128 v[28:31], v2 offset:1376
	s_wait_loadcnt_dscnt 0x701
	v_mul_f64_e32 v[150:151], v[4:5], v[144:145]
	v_mul_f64_e32 v[144:145], v[6:7], v[144:145]
	v_add_f64_e32 v[26:27], v[126:127], v[130:131]
	v_add_f64_e32 v[126:127], v[132:133], v[162:163]
	s_wait_loadcnt_dscnt 0x500
	v_mul_f64_e32 v[130:131], v[28:29], v[156:157]
	v_mul_f64_e32 v[132:133], v[30:31], v[156:157]
	v_fmac_f64_e32 v[150:151], v[6:7], v[142:143]
	v_fma_f64 v[134:135], v[4:5], v[142:143], -v[144:145]
	v_add_f64_e32 v[136:137], v[26:27], v[24:25]
	v_add_f64_e32 v[126:127], v[126:127], v[128:129]
	ds_load_b128 v[4:7], v2 offset:1392
	ds_load_b128 v[24:27], v2 offset:1408
	v_fmac_f64_e32 v[130:131], v[30:31], v[154:155]
	v_fma_f64 v[28:29], v[28:29], v[154:155], -v[132:133]
	s_wait_loadcnt_dscnt 0x401
	v_mul_f64_e32 v[128:129], v[4:5], v[140:141]
	v_mul_f64_e32 v[140:141], v[6:7], v[140:141]
	v_add_f64_e32 v[30:31], v[136:137], v[134:135]
	v_add_f64_e32 v[126:127], v[126:127], v[150:151]
	s_wait_loadcnt_dscnt 0x300
	v_mul_f64_e32 v[132:133], v[24:25], v[10:11]
	v_mul_f64_e32 v[10:11], v[26:27], v[10:11]
	v_fmac_f64_e32 v[128:129], v[6:7], v[138:139]
	v_fma_f64 v[134:135], v[4:5], v[138:139], -v[140:141]
	v_add_f64_e32 v[136:137], v[30:31], v[28:29]
	v_add_f64_e32 v[126:127], v[126:127], v[130:131]
	ds_load_b128 v[4:7], v2 offset:1424
	ds_load_b128 v[28:31], v2 offset:1440
	v_fmac_f64_e32 v[132:133], v[26:27], v[8:9]
	v_fma_f64 v[8:9], v[24:25], v[8:9], -v[10:11]
	s_wait_loadcnt_dscnt 0x201
	v_mul_f64_e32 v[130:131], v[4:5], v[14:15]
	v_mul_f64_e32 v[14:15], v[6:7], v[14:15]
	s_wait_loadcnt_dscnt 0x100
	v_mul_f64_e32 v[26:27], v[28:29], v[18:19]
	v_mul_f64_e32 v[18:19], v[30:31], v[18:19]
	v_add_f64_e32 v[10:11], v[136:137], v[134:135]
	v_add_f64_e32 v[24:25], v[126:127], v[128:129]
	v_fmac_f64_e32 v[130:131], v[6:7], v[12:13]
	v_fma_f64 v[12:13], v[4:5], v[12:13], -v[14:15]
	ds_load_b128 v[4:7], v2 offset:1456
	v_fmac_f64_e32 v[26:27], v[30:31], v[16:17]
	v_fma_f64 v[16:17], v[28:29], v[16:17], -v[18:19]
	v_add_f64_e32 v[8:9], v[10:11], v[8:9]
	v_add_f64_e32 v[10:11], v[24:25], v[132:133]
	s_wait_loadcnt_dscnt 0x0
	v_mul_f64_e32 v[14:15], v[4:5], v[22:23]
	v_mul_f64_e32 v[22:23], v[6:7], v[22:23]
	s_delay_alu instid0(VALU_DEP_4) | instskip(NEXT) | instid1(VALU_DEP_4)
	v_add_f64_e32 v[8:9], v[8:9], v[12:13]
	v_add_f64_e32 v[10:11], v[10:11], v[130:131]
	s_delay_alu instid0(VALU_DEP_4) | instskip(NEXT) | instid1(VALU_DEP_4)
	v_fmac_f64_e32 v[14:15], v[6:7], v[20:21]
	v_fma_f64 v[4:5], v[4:5], v[20:21], -v[22:23]
	s_delay_alu instid0(VALU_DEP_4) | instskip(NEXT) | instid1(VALU_DEP_4)
	v_add_f64_e32 v[6:7], v[8:9], v[16:17]
	v_add_f64_e32 v[8:9], v[10:11], v[26:27]
	s_delay_alu instid0(VALU_DEP_2) | instskip(NEXT) | instid1(VALU_DEP_2)
	v_add_f64_e32 v[4:5], v[6:7], v[4:5]
	v_add_f64_e32 v[6:7], v[8:9], v[14:15]
	s_delay_alu instid0(VALU_DEP_2) | instskip(NEXT) | instid1(VALU_DEP_2)
	v_add_f64_e64 v[4:5], v[146:147], -v[4:5]
	v_add_f64_e64 v[6:7], v[148:149], -v[6:7]
	scratch_store_b128 off, v[4:7], off offset:448
	s_wait_xcnt 0x0
	v_cmpx_lt_u32_e32 27, v1
	s_cbranch_execz .LBB45_235
; %bb.234:
	scratch_load_b128 v[6:9], off, s26
	v_dual_mov_b32 v3, v2 :: v_dual_mov_b32 v4, v2
	v_mov_b32_e32 v5, v2
	scratch_store_b128 off, v[2:5], off offset:432
	s_wait_loadcnt 0x0
	ds_store_b128 v124, v[6:9]
.LBB45_235:
	s_wait_xcnt 0x0
	s_or_b32 exec_lo, exec_lo, s2
	s_wait_storecnt_dscnt 0x0
	s_barrier_signal -1
	s_barrier_wait -1
	s_clause 0x9
	scratch_load_b128 v[4:7], off, off offset:448
	scratch_load_b128 v[8:11], off, off offset:464
	;; [unrolled: 1-line block ×10, first 2 shown]
	ds_load_b128 v[138:141], v2 offset:1184
	ds_load_b128 v[146:149], v2 offset:1200
	s_clause 0x2
	scratch_load_b128 v[142:145], off, off offset:608
	scratch_load_b128 v[150:153], off, off offset:432
	;; [unrolled: 1-line block ×3, first 2 shown]
	s_mov_b32 s2, exec_lo
	s_wait_loadcnt_dscnt 0xc01
	v_mul_f64_e32 v[158:159], v[140:141], v[6:7]
	v_mul_f64_e32 v[162:163], v[138:139], v[6:7]
	s_wait_loadcnt_dscnt 0xb00
	v_mul_f64_e32 v[164:165], v[146:147], v[10:11]
	v_mul_f64_e32 v[10:11], v[148:149], v[10:11]
	s_delay_alu instid0(VALU_DEP_4) | instskip(NEXT) | instid1(VALU_DEP_4)
	v_fma_f64 v[166:167], v[138:139], v[4:5], -v[158:159]
	v_fmac_f64_e32 v[162:163], v[140:141], v[4:5]
	ds_load_b128 v[4:7], v2 offset:1216
	ds_load_b128 v[138:141], v2 offset:1232
	scratch_load_b128 v[158:161], off, off offset:640
	v_fmac_f64_e32 v[164:165], v[148:149], v[8:9]
	v_fma_f64 v[146:147], v[146:147], v[8:9], -v[10:11]
	scratch_load_b128 v[8:11], off, off offset:656
	s_wait_loadcnt_dscnt 0xc01
	v_mul_f64_e32 v[168:169], v[4:5], v[14:15]
	v_mul_f64_e32 v[14:15], v[6:7], v[14:15]
	v_add_f64_e32 v[148:149], 0, v[166:167]
	v_add_f64_e32 v[162:163], 0, v[162:163]
	s_wait_loadcnt_dscnt 0xb00
	v_mul_f64_e32 v[166:167], v[138:139], v[18:19]
	v_mul_f64_e32 v[18:19], v[140:141], v[18:19]
	v_fmac_f64_e32 v[168:169], v[6:7], v[12:13]
	v_fma_f64 v[170:171], v[4:5], v[12:13], -v[14:15]
	ds_load_b128 v[4:7], v2 offset:1248
	ds_load_b128 v[12:15], v2 offset:1264
	v_add_f64_e32 v[172:173], v[148:149], v[146:147]
	v_add_f64_e32 v[162:163], v[162:163], v[164:165]
	scratch_load_b128 v[146:149], off, off offset:672
	v_fmac_f64_e32 v[166:167], v[140:141], v[16:17]
	v_fma_f64 v[138:139], v[138:139], v[16:17], -v[18:19]
	scratch_load_b128 v[16:19], off, off offset:688
	s_wait_loadcnt_dscnt 0xc01
	v_mul_f64_e32 v[164:165], v[4:5], v[22:23]
	v_mul_f64_e32 v[22:23], v[6:7], v[22:23]
	v_add_f64_e32 v[140:141], v[172:173], v[170:171]
	v_add_f64_e32 v[162:163], v[162:163], v[168:169]
	s_wait_loadcnt_dscnt 0xb00
	v_mul_f64_e32 v[168:169], v[12:13], v[26:27]
	v_mul_f64_e32 v[26:27], v[14:15], v[26:27]
	v_fmac_f64_e32 v[164:165], v[6:7], v[20:21]
	v_fma_f64 v[170:171], v[4:5], v[20:21], -v[22:23]
	ds_load_b128 v[4:7], v2 offset:1280
	ds_load_b128 v[20:23], v2 offset:1296
	v_add_f64_e32 v[172:173], v[140:141], v[138:139]
	v_add_f64_e32 v[162:163], v[162:163], v[166:167]
	scratch_load_b128 v[138:141], off, off offset:704
	s_wait_loadcnt_dscnt 0xb01
	v_mul_f64_e32 v[166:167], v[4:5], v[30:31]
	v_mul_f64_e32 v[30:31], v[6:7], v[30:31]
	v_fmac_f64_e32 v[168:169], v[14:15], v[24:25]
	v_fma_f64 v[24:25], v[12:13], v[24:25], -v[26:27]
	scratch_load_b128 v[12:15], off, off offset:720
	v_add_f64_e32 v[26:27], v[172:173], v[170:171]
	v_add_f64_e32 v[162:163], v[162:163], v[164:165]
	s_wait_loadcnt_dscnt 0xb00
	v_mul_f64_e32 v[164:165], v[20:21], v[128:129]
	v_mul_f64_e32 v[128:129], v[22:23], v[128:129]
	v_fmac_f64_e32 v[166:167], v[6:7], v[28:29]
	v_fma_f64 v[28:29], v[4:5], v[28:29], -v[30:31]
	v_add_f64_e32 v[30:31], v[26:27], v[24:25]
	v_add_f64_e32 v[162:163], v[162:163], v[168:169]
	ds_load_b128 v[4:7], v2 offset:1312
	ds_load_b128 v[24:27], v2 offset:1328
	v_fmac_f64_e32 v[164:165], v[22:23], v[126:127]
	v_fma_f64 v[20:21], v[20:21], v[126:127], -v[128:129]
	s_wait_loadcnt_dscnt 0xa01
	v_mul_f64_e32 v[168:169], v[4:5], v[132:133]
	v_mul_f64_e32 v[132:133], v[6:7], v[132:133]
	s_wait_loadcnt_dscnt 0x900
	v_mul_f64_e32 v[126:127], v[26:27], v[136:137]
	v_add_f64_e32 v[22:23], v[30:31], v[28:29]
	v_add_f64_e32 v[28:29], v[162:163], v[166:167]
	v_mul_f64_e32 v[30:31], v[24:25], v[136:137]
	v_fmac_f64_e32 v[168:169], v[6:7], v[130:131]
	v_fma_f64 v[128:129], v[4:5], v[130:131], -v[132:133]
	v_fma_f64 v[24:25], v[24:25], v[134:135], -v[126:127]
	v_add_f64_e32 v[130:131], v[22:23], v[20:21]
	v_add_f64_e32 v[28:29], v[28:29], v[164:165]
	ds_load_b128 v[4:7], v2 offset:1344
	ds_load_b128 v[20:23], v2 offset:1360
	v_fmac_f64_e32 v[30:31], v[26:27], v[134:135]
	s_wait_loadcnt_dscnt 0x801
	v_mul_f64_e32 v[132:133], v[4:5], v[144:145]
	v_mul_f64_e32 v[136:137], v[6:7], v[144:145]
	s_wait_loadcnt_dscnt 0x600
	v_mul_f64_e32 v[126:127], v[20:21], v[156:157]
	v_add_f64_e32 v[26:27], v[130:131], v[128:129]
	v_add_f64_e32 v[28:29], v[28:29], v[168:169]
	v_mul_f64_e32 v[128:129], v[22:23], v[156:157]
	v_fmac_f64_e32 v[132:133], v[6:7], v[142:143]
	v_fma_f64 v[130:131], v[4:5], v[142:143], -v[136:137]
	v_fmac_f64_e32 v[126:127], v[22:23], v[154:155]
	v_add_f64_e32 v[134:135], v[26:27], v[24:25]
	v_add_f64_e32 v[28:29], v[28:29], v[30:31]
	ds_load_b128 v[4:7], v2 offset:1376
	ds_load_b128 v[24:27], v2 offset:1392
	v_fma_f64 v[20:21], v[20:21], v[154:155], -v[128:129]
	s_wait_loadcnt_dscnt 0x501
	v_mul_f64_e32 v[30:31], v[4:5], v[160:161]
	v_mul_f64_e32 v[136:137], v[6:7], v[160:161]
	s_wait_loadcnt_dscnt 0x400
	v_mul_f64_e32 v[128:129], v[24:25], v[10:11]
	v_mul_f64_e32 v[10:11], v[26:27], v[10:11]
	v_add_f64_e32 v[22:23], v[134:135], v[130:131]
	v_add_f64_e32 v[28:29], v[28:29], v[132:133]
	v_fmac_f64_e32 v[30:31], v[6:7], v[158:159]
	v_fma_f64 v[130:131], v[4:5], v[158:159], -v[136:137]
	v_fmac_f64_e32 v[128:129], v[26:27], v[8:9]
	v_fma_f64 v[8:9], v[24:25], v[8:9], -v[10:11]
	v_add_f64_e32 v[132:133], v[22:23], v[20:21]
	v_add_f64_e32 v[28:29], v[28:29], v[126:127]
	ds_load_b128 v[4:7], v2 offset:1408
	ds_load_b128 v[20:23], v2 offset:1424
	s_wait_loadcnt_dscnt 0x301
	v_mul_f64_e32 v[126:127], v[4:5], v[148:149]
	v_mul_f64_e32 v[134:135], v[6:7], v[148:149]
	s_wait_loadcnt_dscnt 0x200
	v_mul_f64_e32 v[26:27], v[20:21], v[18:19]
	v_mul_f64_e32 v[18:19], v[22:23], v[18:19]
	v_add_f64_e32 v[10:11], v[132:133], v[130:131]
	v_add_f64_e32 v[24:25], v[28:29], v[30:31]
	v_fmac_f64_e32 v[126:127], v[6:7], v[146:147]
	v_fma_f64 v[28:29], v[4:5], v[146:147], -v[134:135]
	v_fmac_f64_e32 v[26:27], v[22:23], v[16:17]
	v_fma_f64 v[16:17], v[20:21], v[16:17], -v[18:19]
	v_add_f64_e32 v[30:31], v[10:11], v[8:9]
	v_add_f64_e32 v[24:25], v[24:25], v[128:129]
	ds_load_b128 v[4:7], v2 offset:1440
	ds_load_b128 v[8:11], v2 offset:1456
	s_wait_loadcnt_dscnt 0x101
	v_mul_f64_e32 v[2:3], v[4:5], v[140:141]
	v_mul_f64_e32 v[128:129], v[6:7], v[140:141]
	s_wait_loadcnt_dscnt 0x0
	v_mul_f64_e32 v[22:23], v[8:9], v[14:15]
	v_mul_f64_e32 v[14:15], v[10:11], v[14:15]
	v_add_f64_e32 v[18:19], v[30:31], v[28:29]
	v_add_f64_e32 v[20:21], v[24:25], v[126:127]
	v_fmac_f64_e32 v[2:3], v[6:7], v[138:139]
	v_fma_f64 v[4:5], v[4:5], v[138:139], -v[128:129]
	v_fmac_f64_e32 v[22:23], v[10:11], v[12:13]
	v_fma_f64 v[8:9], v[8:9], v[12:13], -v[14:15]
	v_add_f64_e32 v[6:7], v[18:19], v[16:17]
	v_add_f64_e32 v[16:17], v[20:21], v[26:27]
	s_delay_alu instid0(VALU_DEP_2) | instskip(NEXT) | instid1(VALU_DEP_2)
	v_add_f64_e32 v[4:5], v[6:7], v[4:5]
	v_add_f64_e32 v[2:3], v[16:17], v[2:3]
	s_delay_alu instid0(VALU_DEP_2) | instskip(NEXT) | instid1(VALU_DEP_2)
	;; [unrolled: 3-line block ×3, first 2 shown]
	v_add_f64_e64 v[2:3], v[150:151], -v[4:5]
	v_add_f64_e64 v[4:5], v[152:153], -v[6:7]
	scratch_store_b128 off, v[2:5], off offset:432
	s_wait_xcnt 0x0
	v_cmpx_lt_u32_e32 26, v1
	s_cbranch_execz .LBB45_237
; %bb.236:
	scratch_load_b128 v[2:5], off, s31
	v_mov_b32_e32 v6, 0
	s_delay_alu instid0(VALU_DEP_1)
	v_dual_mov_b32 v7, v6 :: v_dual_mov_b32 v8, v6
	v_mov_b32_e32 v9, v6
	scratch_store_b128 off, v[6:9], off offset:416
	s_wait_loadcnt 0x0
	ds_store_b128 v124, v[2:5]
.LBB45_237:
	s_wait_xcnt 0x0
	s_or_b32 exec_lo, exec_lo, s2
	s_wait_storecnt_dscnt 0x0
	s_barrier_signal -1
	s_barrier_wait -1
	s_clause 0x9
	scratch_load_b128 v[4:7], off, off offset:432
	scratch_load_b128 v[8:11], off, off offset:448
	;; [unrolled: 1-line block ×10, first 2 shown]
	v_mov_b32_e32 v2, 0
	s_mov_b32 s2, exec_lo
	ds_load_b128 v[138:141], v2 offset:1168
	s_clause 0x2
	scratch_load_b128 v[142:145], off, off offset:592
	scratch_load_b128 v[146:149], off, off offset:416
	;; [unrolled: 1-line block ×3, first 2 shown]
	s_wait_loadcnt_dscnt 0xc00
	v_mul_f64_e32 v[158:159], v[140:141], v[6:7]
	v_mul_f64_e32 v[162:163], v[138:139], v[6:7]
	ds_load_b128 v[150:153], v2 offset:1184
	v_fma_f64 v[166:167], v[138:139], v[4:5], -v[158:159]
	v_fmac_f64_e32 v[162:163], v[140:141], v[4:5]
	ds_load_b128 v[4:7], v2 offset:1200
	s_wait_loadcnt_dscnt 0xb01
	v_mul_f64_e32 v[164:165], v[150:151], v[10:11]
	v_mul_f64_e32 v[10:11], v[152:153], v[10:11]
	scratch_load_b128 v[138:141], off, off offset:624
	ds_load_b128 v[158:161], v2 offset:1216
	s_wait_loadcnt_dscnt 0xb01
	v_mul_f64_e32 v[168:169], v[4:5], v[14:15]
	v_mul_f64_e32 v[14:15], v[6:7], v[14:15]
	v_add_f64_e32 v[162:163], 0, v[162:163]
	v_fmac_f64_e32 v[164:165], v[152:153], v[8:9]
	v_fma_f64 v[150:151], v[150:151], v[8:9], -v[10:11]
	v_add_f64_e32 v[152:153], 0, v[166:167]
	scratch_load_b128 v[8:11], off, off offset:640
	v_fmac_f64_e32 v[168:169], v[6:7], v[12:13]
	v_fma_f64 v[170:171], v[4:5], v[12:13], -v[14:15]
	ds_load_b128 v[4:7], v2 offset:1232
	s_wait_loadcnt_dscnt 0xb01
	v_mul_f64_e32 v[166:167], v[158:159], v[18:19]
	v_mul_f64_e32 v[18:19], v[160:161], v[18:19]
	scratch_load_b128 v[12:15], off, off offset:656
	v_add_f64_e32 v[162:163], v[162:163], v[164:165]
	v_add_f64_e32 v[172:173], v[152:153], v[150:151]
	ds_load_b128 v[150:153], v2 offset:1248
	s_wait_loadcnt_dscnt 0xb01
	v_mul_f64_e32 v[164:165], v[4:5], v[22:23]
	v_mul_f64_e32 v[22:23], v[6:7], v[22:23]
	v_fmac_f64_e32 v[166:167], v[160:161], v[16:17]
	v_fma_f64 v[158:159], v[158:159], v[16:17], -v[18:19]
	scratch_load_b128 v[16:19], off, off offset:672
	v_add_f64_e32 v[162:163], v[162:163], v[168:169]
	v_add_f64_e32 v[160:161], v[172:173], v[170:171]
	v_fmac_f64_e32 v[164:165], v[6:7], v[20:21]
	v_fma_f64 v[170:171], v[4:5], v[20:21], -v[22:23]
	ds_load_b128 v[4:7], v2 offset:1264
	s_wait_loadcnt_dscnt 0xb01
	v_mul_f64_e32 v[168:169], v[150:151], v[26:27]
	v_mul_f64_e32 v[26:27], v[152:153], v[26:27]
	scratch_load_b128 v[20:23], off, off offset:688
	v_add_f64_e32 v[162:163], v[162:163], v[166:167]
	s_wait_loadcnt_dscnt 0xb00
	v_mul_f64_e32 v[166:167], v[4:5], v[30:31]
	v_add_f64_e32 v[172:173], v[160:161], v[158:159]
	v_mul_f64_e32 v[30:31], v[6:7], v[30:31]
	ds_load_b128 v[158:161], v2 offset:1280
	v_fmac_f64_e32 v[168:169], v[152:153], v[24:25]
	v_fma_f64 v[150:151], v[150:151], v[24:25], -v[26:27]
	scratch_load_b128 v[24:27], off, off offset:704
	v_add_f64_e32 v[162:163], v[162:163], v[164:165]
	v_fmac_f64_e32 v[166:167], v[6:7], v[28:29]
	v_add_f64_e32 v[152:153], v[172:173], v[170:171]
	v_fma_f64 v[170:171], v[4:5], v[28:29], -v[30:31]
	ds_load_b128 v[4:7], v2 offset:1296
	s_wait_loadcnt_dscnt 0xb01
	v_mul_f64_e32 v[164:165], v[158:159], v[128:129]
	v_mul_f64_e32 v[128:129], v[160:161], v[128:129]
	scratch_load_b128 v[28:31], off, off offset:720
	v_add_f64_e32 v[162:163], v[162:163], v[168:169]
	s_wait_loadcnt_dscnt 0xb00
	v_mul_f64_e32 v[168:169], v[4:5], v[132:133]
	v_add_f64_e32 v[172:173], v[152:153], v[150:151]
	v_mul_f64_e32 v[132:133], v[6:7], v[132:133]
	ds_load_b128 v[150:153], v2 offset:1312
	v_fmac_f64_e32 v[164:165], v[160:161], v[126:127]
	v_fma_f64 v[126:127], v[158:159], v[126:127], -v[128:129]
	s_wait_loadcnt_dscnt 0xa00
	v_mul_f64_e32 v[160:161], v[150:151], v[136:137]
	v_mul_f64_e32 v[136:137], v[152:153], v[136:137]
	v_add_f64_e32 v[158:159], v[162:163], v[166:167]
	v_fmac_f64_e32 v[168:169], v[6:7], v[130:131]
	v_add_f64_e32 v[128:129], v[172:173], v[170:171]
	v_fma_f64 v[130:131], v[4:5], v[130:131], -v[132:133]
	v_fmac_f64_e32 v[160:161], v[152:153], v[134:135]
	v_fma_f64 v[134:135], v[150:151], v[134:135], -v[136:137]
	v_add_f64_e32 v[158:159], v[158:159], v[164:165]
	v_add_f64_e32 v[132:133], v[128:129], v[126:127]
	ds_load_b128 v[4:7], v2 offset:1328
	ds_load_b128 v[126:129], v2 offset:1344
	s_wait_loadcnt_dscnt 0x901
	v_mul_f64_e32 v[162:163], v[4:5], v[144:145]
	v_mul_f64_e32 v[144:145], v[6:7], v[144:145]
	s_wait_loadcnt_dscnt 0x700
	v_mul_f64_e32 v[136:137], v[126:127], v[156:157]
	v_mul_f64_e32 v[150:151], v[128:129], v[156:157]
	v_add_f64_e32 v[130:131], v[132:133], v[130:131]
	v_add_f64_e32 v[132:133], v[158:159], v[168:169]
	v_fmac_f64_e32 v[162:163], v[6:7], v[142:143]
	v_fma_f64 v[142:143], v[4:5], v[142:143], -v[144:145]
	v_fmac_f64_e32 v[136:137], v[128:129], v[154:155]
	v_fma_f64 v[126:127], v[126:127], v[154:155], -v[150:151]
	v_add_f64_e32 v[134:135], v[130:131], v[134:135]
	v_add_f64_e32 v[144:145], v[132:133], v[160:161]
	ds_load_b128 v[4:7], v2 offset:1360
	ds_load_b128 v[130:133], v2 offset:1376
	s_wait_loadcnt_dscnt 0x601
	v_mul_f64_e32 v[152:153], v[4:5], v[140:141]
	v_mul_f64_e32 v[140:141], v[6:7], v[140:141]
	v_add_f64_e32 v[128:129], v[134:135], v[142:143]
	v_add_f64_e32 v[134:135], v[144:145], v[162:163]
	s_wait_loadcnt_dscnt 0x500
	v_mul_f64_e32 v[142:143], v[130:131], v[10:11]
	v_mul_f64_e32 v[10:11], v[132:133], v[10:11]
	v_fmac_f64_e32 v[152:153], v[6:7], v[138:139]
	v_fma_f64 v[138:139], v[4:5], v[138:139], -v[140:141]
	v_add_f64_e32 v[140:141], v[128:129], v[126:127]
	v_add_f64_e32 v[134:135], v[134:135], v[136:137]
	ds_load_b128 v[4:7], v2 offset:1392
	ds_load_b128 v[126:129], v2 offset:1408
	v_fmac_f64_e32 v[142:143], v[132:133], v[8:9]
	v_fma_f64 v[8:9], v[130:131], v[8:9], -v[10:11]
	s_wait_loadcnt_dscnt 0x401
	v_mul_f64_e32 v[136:137], v[4:5], v[14:15]
	v_mul_f64_e32 v[14:15], v[6:7], v[14:15]
	s_wait_loadcnt_dscnt 0x300
	v_mul_f64_e32 v[132:133], v[126:127], v[18:19]
	v_mul_f64_e32 v[18:19], v[128:129], v[18:19]
	v_add_f64_e32 v[10:11], v[140:141], v[138:139]
	v_add_f64_e32 v[130:131], v[134:135], v[152:153]
	v_fmac_f64_e32 v[136:137], v[6:7], v[12:13]
	v_fma_f64 v[12:13], v[4:5], v[12:13], -v[14:15]
	v_fmac_f64_e32 v[132:133], v[128:129], v[16:17]
	v_fma_f64 v[16:17], v[126:127], v[16:17], -v[18:19]
	v_add_f64_e32 v[14:15], v[10:11], v[8:9]
	v_add_f64_e32 v[130:131], v[130:131], v[142:143]
	ds_load_b128 v[4:7], v2 offset:1424
	ds_load_b128 v[8:11], v2 offset:1440
	s_wait_loadcnt_dscnt 0x201
	v_mul_f64_e32 v[134:135], v[4:5], v[22:23]
	v_mul_f64_e32 v[22:23], v[6:7], v[22:23]
	s_wait_loadcnt_dscnt 0x100
	v_mul_f64_e32 v[18:19], v[8:9], v[26:27]
	v_mul_f64_e32 v[26:27], v[10:11], v[26:27]
	v_add_f64_e32 v[12:13], v[14:15], v[12:13]
	v_add_f64_e32 v[14:15], v[130:131], v[136:137]
	v_fmac_f64_e32 v[134:135], v[6:7], v[20:21]
	v_fma_f64 v[20:21], v[4:5], v[20:21], -v[22:23]
	ds_load_b128 v[4:7], v2 offset:1456
	v_fmac_f64_e32 v[18:19], v[10:11], v[24:25]
	v_fma_f64 v[8:9], v[8:9], v[24:25], -v[26:27]
	v_add_f64_e32 v[12:13], v[12:13], v[16:17]
	v_add_f64_e32 v[14:15], v[14:15], v[132:133]
	s_wait_loadcnt_dscnt 0x0
	v_mul_f64_e32 v[16:17], v[4:5], v[30:31]
	v_mul_f64_e32 v[22:23], v[6:7], v[30:31]
	s_delay_alu instid0(VALU_DEP_4) | instskip(NEXT) | instid1(VALU_DEP_4)
	v_add_f64_e32 v[10:11], v[12:13], v[20:21]
	v_add_f64_e32 v[12:13], v[14:15], v[134:135]
	s_delay_alu instid0(VALU_DEP_4) | instskip(NEXT) | instid1(VALU_DEP_4)
	v_fmac_f64_e32 v[16:17], v[6:7], v[28:29]
	v_fma_f64 v[4:5], v[4:5], v[28:29], -v[22:23]
	s_delay_alu instid0(VALU_DEP_4) | instskip(NEXT) | instid1(VALU_DEP_4)
	v_add_f64_e32 v[6:7], v[10:11], v[8:9]
	v_add_f64_e32 v[8:9], v[12:13], v[18:19]
	s_delay_alu instid0(VALU_DEP_2) | instskip(NEXT) | instid1(VALU_DEP_2)
	v_add_f64_e32 v[4:5], v[6:7], v[4:5]
	v_add_f64_e32 v[6:7], v[8:9], v[16:17]
	s_delay_alu instid0(VALU_DEP_2) | instskip(NEXT) | instid1(VALU_DEP_2)
	v_add_f64_e64 v[4:5], v[146:147], -v[4:5]
	v_add_f64_e64 v[6:7], v[148:149], -v[6:7]
	scratch_store_b128 off, v[4:7], off offset:416
	s_wait_xcnt 0x0
	v_cmpx_lt_u32_e32 25, v1
	s_cbranch_execz .LBB45_239
; %bb.238:
	scratch_load_b128 v[6:9], off, s30
	v_dual_mov_b32 v3, v2 :: v_dual_mov_b32 v4, v2
	v_mov_b32_e32 v5, v2
	scratch_store_b128 off, v[2:5], off offset:400
	s_wait_loadcnt 0x0
	ds_store_b128 v124, v[6:9]
.LBB45_239:
	s_wait_xcnt 0x0
	s_or_b32 exec_lo, exec_lo, s2
	s_wait_storecnt_dscnt 0x0
	s_barrier_signal -1
	s_barrier_wait -1
	s_clause 0x9
	scratch_load_b128 v[4:7], off, off offset:416
	scratch_load_b128 v[8:11], off, off offset:432
	;; [unrolled: 1-line block ×10, first 2 shown]
	ds_load_b128 v[138:141], v2 offset:1152
	ds_load_b128 v[146:149], v2 offset:1168
	s_clause 0x2
	scratch_load_b128 v[142:145], off, off offset:576
	scratch_load_b128 v[150:153], off, off offset:400
	;; [unrolled: 1-line block ×3, first 2 shown]
	s_mov_b32 s2, exec_lo
	s_wait_loadcnt_dscnt 0xc01
	v_mul_f64_e32 v[158:159], v[140:141], v[6:7]
	v_mul_f64_e32 v[162:163], v[138:139], v[6:7]
	s_wait_loadcnt_dscnt 0xb00
	v_mul_f64_e32 v[164:165], v[146:147], v[10:11]
	v_mul_f64_e32 v[10:11], v[148:149], v[10:11]
	s_delay_alu instid0(VALU_DEP_4) | instskip(NEXT) | instid1(VALU_DEP_4)
	v_fma_f64 v[166:167], v[138:139], v[4:5], -v[158:159]
	v_fmac_f64_e32 v[162:163], v[140:141], v[4:5]
	ds_load_b128 v[4:7], v2 offset:1184
	ds_load_b128 v[138:141], v2 offset:1200
	scratch_load_b128 v[158:161], off, off offset:608
	v_fmac_f64_e32 v[164:165], v[148:149], v[8:9]
	v_fma_f64 v[146:147], v[146:147], v[8:9], -v[10:11]
	scratch_load_b128 v[8:11], off, off offset:624
	s_wait_loadcnt_dscnt 0xc01
	v_mul_f64_e32 v[168:169], v[4:5], v[14:15]
	v_mul_f64_e32 v[14:15], v[6:7], v[14:15]
	v_add_f64_e32 v[148:149], 0, v[166:167]
	v_add_f64_e32 v[162:163], 0, v[162:163]
	s_wait_loadcnt_dscnt 0xb00
	v_mul_f64_e32 v[166:167], v[138:139], v[18:19]
	v_mul_f64_e32 v[18:19], v[140:141], v[18:19]
	v_fmac_f64_e32 v[168:169], v[6:7], v[12:13]
	v_fma_f64 v[170:171], v[4:5], v[12:13], -v[14:15]
	ds_load_b128 v[4:7], v2 offset:1216
	ds_load_b128 v[12:15], v2 offset:1232
	v_add_f64_e32 v[172:173], v[148:149], v[146:147]
	v_add_f64_e32 v[162:163], v[162:163], v[164:165]
	scratch_load_b128 v[146:149], off, off offset:640
	v_fmac_f64_e32 v[166:167], v[140:141], v[16:17]
	v_fma_f64 v[138:139], v[138:139], v[16:17], -v[18:19]
	scratch_load_b128 v[16:19], off, off offset:656
	s_wait_loadcnt_dscnt 0xc01
	v_mul_f64_e32 v[164:165], v[4:5], v[22:23]
	v_mul_f64_e32 v[22:23], v[6:7], v[22:23]
	v_add_f64_e32 v[140:141], v[172:173], v[170:171]
	v_add_f64_e32 v[162:163], v[162:163], v[168:169]
	s_wait_loadcnt_dscnt 0xb00
	v_mul_f64_e32 v[168:169], v[12:13], v[26:27]
	v_mul_f64_e32 v[26:27], v[14:15], v[26:27]
	v_fmac_f64_e32 v[164:165], v[6:7], v[20:21]
	v_fma_f64 v[170:171], v[4:5], v[20:21], -v[22:23]
	ds_load_b128 v[4:7], v2 offset:1248
	ds_load_b128 v[20:23], v2 offset:1264
	v_add_f64_e32 v[172:173], v[140:141], v[138:139]
	v_add_f64_e32 v[162:163], v[162:163], v[166:167]
	scratch_load_b128 v[138:141], off, off offset:672
	s_wait_loadcnt_dscnt 0xb01
	v_mul_f64_e32 v[166:167], v[4:5], v[30:31]
	v_mul_f64_e32 v[30:31], v[6:7], v[30:31]
	v_fmac_f64_e32 v[168:169], v[14:15], v[24:25]
	v_fma_f64 v[24:25], v[12:13], v[24:25], -v[26:27]
	scratch_load_b128 v[12:15], off, off offset:688
	v_add_f64_e32 v[26:27], v[172:173], v[170:171]
	v_add_f64_e32 v[162:163], v[162:163], v[164:165]
	s_wait_loadcnt_dscnt 0xb00
	v_mul_f64_e32 v[164:165], v[20:21], v[128:129]
	v_mul_f64_e32 v[128:129], v[22:23], v[128:129]
	v_fmac_f64_e32 v[166:167], v[6:7], v[28:29]
	v_fma_f64 v[170:171], v[4:5], v[28:29], -v[30:31]
	v_add_f64_e32 v[172:173], v[26:27], v[24:25]
	v_add_f64_e32 v[162:163], v[162:163], v[168:169]
	ds_load_b128 v[4:7], v2 offset:1280
	ds_load_b128 v[24:27], v2 offset:1296
	scratch_load_b128 v[28:31], off, off offset:704
	v_fmac_f64_e32 v[164:165], v[22:23], v[126:127]
	v_fma_f64 v[126:127], v[20:21], v[126:127], -v[128:129]
	scratch_load_b128 v[20:23], off, off offset:720
	s_wait_loadcnt_dscnt 0xc01
	v_mul_f64_e32 v[168:169], v[4:5], v[132:133]
	v_mul_f64_e32 v[132:133], v[6:7], v[132:133]
	v_add_f64_e32 v[128:129], v[172:173], v[170:171]
	v_add_f64_e32 v[162:163], v[162:163], v[166:167]
	s_wait_loadcnt_dscnt 0xb00
	v_mul_f64_e32 v[166:167], v[24:25], v[136:137]
	v_mul_f64_e32 v[136:137], v[26:27], v[136:137]
	v_fmac_f64_e32 v[168:169], v[6:7], v[130:131]
	v_fma_f64 v[130:131], v[4:5], v[130:131], -v[132:133]
	v_add_f64_e32 v[132:133], v[128:129], v[126:127]
	v_add_f64_e32 v[162:163], v[162:163], v[164:165]
	ds_load_b128 v[4:7], v2 offset:1312
	ds_load_b128 v[126:129], v2 offset:1328
	v_fmac_f64_e32 v[166:167], v[26:27], v[134:135]
	v_fma_f64 v[24:25], v[24:25], v[134:135], -v[136:137]
	s_wait_loadcnt_dscnt 0xa01
	v_mul_f64_e32 v[164:165], v[4:5], v[144:145]
	v_mul_f64_e32 v[144:145], v[6:7], v[144:145]
	s_wait_loadcnt_dscnt 0x800
	v_mul_f64_e32 v[134:135], v[128:129], v[156:157]
	v_add_f64_e32 v[26:27], v[132:133], v[130:131]
	v_add_f64_e32 v[130:131], v[162:163], v[168:169]
	v_mul_f64_e32 v[132:133], v[126:127], v[156:157]
	v_fmac_f64_e32 v[164:165], v[6:7], v[142:143]
	v_fma_f64 v[136:137], v[4:5], v[142:143], -v[144:145]
	v_fma_f64 v[126:127], v[126:127], v[154:155], -v[134:135]
	v_add_f64_e32 v[142:143], v[26:27], v[24:25]
	v_add_f64_e32 v[130:131], v[130:131], v[166:167]
	ds_load_b128 v[4:7], v2 offset:1344
	ds_load_b128 v[24:27], v2 offset:1360
	v_fmac_f64_e32 v[132:133], v[128:129], v[154:155]
	s_wait_loadcnt_dscnt 0x701
	v_mul_f64_e32 v[144:145], v[4:5], v[160:161]
	v_mul_f64_e32 v[156:157], v[6:7], v[160:161]
	s_wait_loadcnt_dscnt 0x600
	v_mul_f64_e32 v[134:135], v[24:25], v[10:11]
	v_mul_f64_e32 v[10:11], v[26:27], v[10:11]
	v_add_f64_e32 v[128:129], v[142:143], v[136:137]
	v_add_f64_e32 v[130:131], v[130:131], v[164:165]
	v_fmac_f64_e32 v[144:145], v[6:7], v[158:159]
	v_fma_f64 v[136:137], v[4:5], v[158:159], -v[156:157]
	v_fmac_f64_e32 v[134:135], v[26:27], v[8:9]
	v_fma_f64 v[8:9], v[24:25], v[8:9], -v[10:11]
	v_add_f64_e32 v[142:143], v[128:129], v[126:127]
	v_add_f64_e32 v[130:131], v[130:131], v[132:133]
	ds_load_b128 v[4:7], v2 offset:1376
	ds_load_b128 v[126:129], v2 offset:1392
	s_wait_loadcnt_dscnt 0x501
	v_mul_f64_e32 v[132:133], v[4:5], v[148:149]
	v_mul_f64_e32 v[148:149], v[6:7], v[148:149]
	s_wait_loadcnt_dscnt 0x400
	v_mul_f64_e32 v[26:27], v[126:127], v[18:19]
	v_mul_f64_e32 v[18:19], v[128:129], v[18:19]
	v_add_f64_e32 v[10:11], v[142:143], v[136:137]
	v_add_f64_e32 v[24:25], v[130:131], v[144:145]
	v_fmac_f64_e32 v[132:133], v[6:7], v[146:147]
	v_fma_f64 v[130:131], v[4:5], v[146:147], -v[148:149]
	v_fmac_f64_e32 v[26:27], v[128:129], v[16:17]
	v_fma_f64 v[16:17], v[126:127], v[16:17], -v[18:19]
	v_add_f64_e32 v[136:137], v[10:11], v[8:9]
	v_add_f64_e32 v[24:25], v[24:25], v[134:135]
	ds_load_b128 v[4:7], v2 offset:1408
	ds_load_b128 v[8:11], v2 offset:1424
	;; [unrolled: 16-line block ×3, first 2 shown]
	s_wait_loadcnt_dscnt 0x101
	v_mul_f64_e32 v[2:3], v[4:5], v[30:31]
	v_mul_f64_e32 v[26:27], v[6:7], v[30:31]
	v_add_f64_e32 v[10:11], v[18:19], v[130:131]
	v_add_f64_e32 v[12:13], v[24:25], v[134:135]
	s_wait_loadcnt_dscnt 0x0
	v_mul_f64_e32 v[18:19], v[14:15], v[22:23]
	v_mul_f64_e32 v[22:23], v[16:17], v[22:23]
	v_fmac_f64_e32 v[2:3], v[6:7], v[28:29]
	v_fma_f64 v[4:5], v[4:5], v[28:29], -v[26:27]
	v_add_f64_e32 v[6:7], v[10:11], v[8:9]
	v_add_f64_e32 v[8:9], v[12:13], v[126:127]
	v_fmac_f64_e32 v[18:19], v[16:17], v[20:21]
	v_fma_f64 v[10:11], v[14:15], v[20:21], -v[22:23]
	s_delay_alu instid0(VALU_DEP_4) | instskip(NEXT) | instid1(VALU_DEP_4)
	v_add_f64_e32 v[4:5], v[6:7], v[4:5]
	v_add_f64_e32 v[2:3], v[8:9], v[2:3]
	s_delay_alu instid0(VALU_DEP_2) | instskip(NEXT) | instid1(VALU_DEP_2)
	v_add_f64_e32 v[4:5], v[4:5], v[10:11]
	v_add_f64_e32 v[6:7], v[2:3], v[18:19]
	s_delay_alu instid0(VALU_DEP_2) | instskip(NEXT) | instid1(VALU_DEP_2)
	v_add_f64_e64 v[2:3], v[150:151], -v[4:5]
	v_add_f64_e64 v[4:5], v[152:153], -v[6:7]
	scratch_store_b128 off, v[2:5], off offset:400
	s_wait_xcnt 0x0
	v_cmpx_lt_u32_e32 24, v1
	s_cbranch_execz .LBB45_241
; %bb.240:
	scratch_load_b128 v[2:5], off, s35
	v_mov_b32_e32 v6, 0
	s_delay_alu instid0(VALU_DEP_1)
	v_dual_mov_b32 v7, v6 :: v_dual_mov_b32 v8, v6
	v_mov_b32_e32 v9, v6
	scratch_store_b128 off, v[6:9], off offset:384
	s_wait_loadcnt 0x0
	ds_store_b128 v124, v[2:5]
.LBB45_241:
	s_wait_xcnt 0x0
	s_or_b32 exec_lo, exec_lo, s2
	s_wait_storecnt_dscnt 0x0
	s_barrier_signal -1
	s_barrier_wait -1
	s_clause 0x9
	scratch_load_b128 v[4:7], off, off offset:400
	scratch_load_b128 v[8:11], off, off offset:416
	;; [unrolled: 1-line block ×10, first 2 shown]
	v_mov_b32_e32 v2, 0
	s_mov_b32 s2, exec_lo
	ds_load_b128 v[138:141], v2 offset:1136
	s_clause 0x2
	scratch_load_b128 v[142:145], off, off offset:560
	scratch_load_b128 v[146:149], off, off offset:384
	;; [unrolled: 1-line block ×3, first 2 shown]
	s_wait_loadcnt_dscnt 0xc00
	v_mul_f64_e32 v[158:159], v[140:141], v[6:7]
	v_mul_f64_e32 v[162:163], v[138:139], v[6:7]
	ds_load_b128 v[150:153], v2 offset:1152
	v_fma_f64 v[166:167], v[138:139], v[4:5], -v[158:159]
	v_fmac_f64_e32 v[162:163], v[140:141], v[4:5]
	ds_load_b128 v[4:7], v2 offset:1168
	s_wait_loadcnt_dscnt 0xb01
	v_mul_f64_e32 v[164:165], v[150:151], v[10:11]
	v_mul_f64_e32 v[10:11], v[152:153], v[10:11]
	scratch_load_b128 v[138:141], off, off offset:592
	ds_load_b128 v[158:161], v2 offset:1184
	s_wait_loadcnt_dscnt 0xb01
	v_mul_f64_e32 v[168:169], v[4:5], v[14:15]
	v_mul_f64_e32 v[14:15], v[6:7], v[14:15]
	v_add_f64_e32 v[162:163], 0, v[162:163]
	v_fmac_f64_e32 v[164:165], v[152:153], v[8:9]
	v_fma_f64 v[150:151], v[150:151], v[8:9], -v[10:11]
	v_add_f64_e32 v[152:153], 0, v[166:167]
	scratch_load_b128 v[8:11], off, off offset:608
	v_fmac_f64_e32 v[168:169], v[6:7], v[12:13]
	v_fma_f64 v[170:171], v[4:5], v[12:13], -v[14:15]
	ds_load_b128 v[4:7], v2 offset:1200
	s_wait_loadcnt_dscnt 0xb01
	v_mul_f64_e32 v[166:167], v[158:159], v[18:19]
	v_mul_f64_e32 v[18:19], v[160:161], v[18:19]
	scratch_load_b128 v[12:15], off, off offset:624
	v_add_f64_e32 v[162:163], v[162:163], v[164:165]
	v_add_f64_e32 v[172:173], v[152:153], v[150:151]
	ds_load_b128 v[150:153], v2 offset:1216
	s_wait_loadcnt_dscnt 0xb01
	v_mul_f64_e32 v[164:165], v[4:5], v[22:23]
	v_mul_f64_e32 v[22:23], v[6:7], v[22:23]
	v_fmac_f64_e32 v[166:167], v[160:161], v[16:17]
	v_fma_f64 v[158:159], v[158:159], v[16:17], -v[18:19]
	scratch_load_b128 v[16:19], off, off offset:640
	v_add_f64_e32 v[162:163], v[162:163], v[168:169]
	v_add_f64_e32 v[160:161], v[172:173], v[170:171]
	v_fmac_f64_e32 v[164:165], v[6:7], v[20:21]
	v_fma_f64 v[170:171], v[4:5], v[20:21], -v[22:23]
	ds_load_b128 v[4:7], v2 offset:1232
	s_wait_loadcnt_dscnt 0xb01
	v_mul_f64_e32 v[168:169], v[150:151], v[26:27]
	v_mul_f64_e32 v[26:27], v[152:153], v[26:27]
	scratch_load_b128 v[20:23], off, off offset:656
	v_add_f64_e32 v[162:163], v[162:163], v[166:167]
	s_wait_loadcnt_dscnt 0xb00
	v_mul_f64_e32 v[166:167], v[4:5], v[30:31]
	v_add_f64_e32 v[172:173], v[160:161], v[158:159]
	v_mul_f64_e32 v[30:31], v[6:7], v[30:31]
	ds_load_b128 v[158:161], v2 offset:1248
	v_fmac_f64_e32 v[168:169], v[152:153], v[24:25]
	v_fma_f64 v[150:151], v[150:151], v[24:25], -v[26:27]
	scratch_load_b128 v[24:27], off, off offset:672
	v_add_f64_e32 v[162:163], v[162:163], v[164:165]
	v_fmac_f64_e32 v[166:167], v[6:7], v[28:29]
	v_add_f64_e32 v[152:153], v[172:173], v[170:171]
	v_fma_f64 v[170:171], v[4:5], v[28:29], -v[30:31]
	ds_load_b128 v[4:7], v2 offset:1264
	s_wait_loadcnt_dscnt 0xb01
	v_mul_f64_e32 v[164:165], v[158:159], v[128:129]
	v_mul_f64_e32 v[128:129], v[160:161], v[128:129]
	scratch_load_b128 v[28:31], off, off offset:688
	v_add_f64_e32 v[162:163], v[162:163], v[168:169]
	s_wait_loadcnt_dscnt 0xb00
	v_mul_f64_e32 v[168:169], v[4:5], v[132:133]
	v_add_f64_e32 v[172:173], v[152:153], v[150:151]
	v_mul_f64_e32 v[132:133], v[6:7], v[132:133]
	ds_load_b128 v[150:153], v2 offset:1280
	v_fmac_f64_e32 v[164:165], v[160:161], v[126:127]
	v_fma_f64 v[158:159], v[158:159], v[126:127], -v[128:129]
	scratch_load_b128 v[126:129], off, off offset:704
	v_add_f64_e32 v[162:163], v[162:163], v[166:167]
	v_fmac_f64_e32 v[168:169], v[6:7], v[130:131]
	v_add_f64_e32 v[160:161], v[172:173], v[170:171]
	v_fma_f64 v[170:171], v[4:5], v[130:131], -v[132:133]
	ds_load_b128 v[4:7], v2 offset:1296
	s_wait_loadcnt_dscnt 0xb01
	v_mul_f64_e32 v[166:167], v[150:151], v[136:137]
	v_mul_f64_e32 v[136:137], v[152:153], v[136:137]
	scratch_load_b128 v[130:133], off, off offset:720
	v_add_f64_e32 v[162:163], v[162:163], v[164:165]
	s_wait_loadcnt_dscnt 0xb00
	v_mul_f64_e32 v[164:165], v[4:5], v[144:145]
	v_add_f64_e32 v[172:173], v[160:161], v[158:159]
	v_mul_f64_e32 v[144:145], v[6:7], v[144:145]
	ds_load_b128 v[158:161], v2 offset:1312
	v_fmac_f64_e32 v[166:167], v[152:153], v[134:135]
	v_fma_f64 v[134:135], v[150:151], v[134:135], -v[136:137]
	s_wait_loadcnt_dscnt 0x900
	v_mul_f64_e32 v[152:153], v[158:159], v[156:157]
	v_mul_f64_e32 v[156:157], v[160:161], v[156:157]
	v_add_f64_e32 v[150:151], v[162:163], v[168:169]
	v_fmac_f64_e32 v[164:165], v[6:7], v[142:143]
	v_add_f64_e32 v[136:137], v[172:173], v[170:171]
	v_fma_f64 v[142:143], v[4:5], v[142:143], -v[144:145]
	v_fmac_f64_e32 v[152:153], v[160:161], v[154:155]
	v_fma_f64 v[154:155], v[158:159], v[154:155], -v[156:157]
	v_add_f64_e32 v[150:151], v[150:151], v[166:167]
	v_add_f64_e32 v[144:145], v[136:137], v[134:135]
	ds_load_b128 v[4:7], v2 offset:1328
	ds_load_b128 v[134:137], v2 offset:1344
	s_wait_loadcnt_dscnt 0x801
	v_mul_f64_e32 v[162:163], v[4:5], v[140:141]
	v_mul_f64_e32 v[140:141], v[6:7], v[140:141]
	v_add_f64_e32 v[142:143], v[144:145], v[142:143]
	v_add_f64_e32 v[144:145], v[150:151], v[164:165]
	s_wait_loadcnt_dscnt 0x700
	v_mul_f64_e32 v[150:151], v[134:135], v[10:11]
	v_mul_f64_e32 v[10:11], v[136:137], v[10:11]
	v_fmac_f64_e32 v[162:163], v[6:7], v[138:139]
	v_fma_f64 v[156:157], v[4:5], v[138:139], -v[140:141]
	ds_load_b128 v[4:7], v2 offset:1360
	ds_load_b128 v[138:141], v2 offset:1376
	v_add_f64_e32 v[142:143], v[142:143], v[154:155]
	v_add_f64_e32 v[144:145], v[144:145], v[152:153]
	v_fmac_f64_e32 v[150:151], v[136:137], v[8:9]
	v_fma_f64 v[8:9], v[134:135], v[8:9], -v[10:11]
	s_wait_loadcnt_dscnt 0x601
	v_mul_f64_e32 v[152:153], v[4:5], v[14:15]
	v_mul_f64_e32 v[14:15], v[6:7], v[14:15]
	s_wait_loadcnt_dscnt 0x500
	v_mul_f64_e32 v[136:137], v[138:139], v[18:19]
	v_mul_f64_e32 v[18:19], v[140:141], v[18:19]
	v_add_f64_e32 v[10:11], v[142:143], v[156:157]
	v_add_f64_e32 v[134:135], v[144:145], v[162:163]
	v_fmac_f64_e32 v[152:153], v[6:7], v[12:13]
	v_fma_f64 v[12:13], v[4:5], v[12:13], -v[14:15]
	v_fmac_f64_e32 v[136:137], v[140:141], v[16:17]
	v_fma_f64 v[16:17], v[138:139], v[16:17], -v[18:19]
	v_add_f64_e32 v[14:15], v[10:11], v[8:9]
	v_add_f64_e32 v[134:135], v[134:135], v[150:151]
	ds_load_b128 v[4:7], v2 offset:1392
	ds_load_b128 v[8:11], v2 offset:1408
	s_wait_loadcnt_dscnt 0x401
	v_mul_f64_e32 v[142:143], v[4:5], v[22:23]
	v_mul_f64_e32 v[22:23], v[6:7], v[22:23]
	s_wait_loadcnt_dscnt 0x300
	v_mul_f64_e32 v[18:19], v[8:9], v[26:27]
	v_mul_f64_e32 v[26:27], v[10:11], v[26:27]
	v_add_f64_e32 v[12:13], v[14:15], v[12:13]
	v_add_f64_e32 v[14:15], v[134:135], v[152:153]
	v_fmac_f64_e32 v[142:143], v[6:7], v[20:21]
	v_fma_f64 v[20:21], v[4:5], v[20:21], -v[22:23]
	v_fmac_f64_e32 v[18:19], v[10:11], v[24:25]
	v_fma_f64 v[8:9], v[8:9], v[24:25], -v[26:27]
	v_add_f64_e32 v[16:17], v[12:13], v[16:17]
	v_add_f64_e32 v[22:23], v[14:15], v[136:137]
	ds_load_b128 v[4:7], v2 offset:1424
	ds_load_b128 v[12:15], v2 offset:1440
	s_wait_loadcnt_dscnt 0x201
	v_mul_f64_e32 v[134:135], v[4:5], v[30:31]
	v_mul_f64_e32 v[30:31], v[6:7], v[30:31]
	v_add_f64_e32 v[10:11], v[16:17], v[20:21]
	v_add_f64_e32 v[16:17], v[22:23], v[142:143]
	s_wait_loadcnt_dscnt 0x100
	v_mul_f64_e32 v[20:21], v[12:13], v[128:129]
	v_mul_f64_e32 v[22:23], v[14:15], v[128:129]
	v_fmac_f64_e32 v[134:135], v[6:7], v[28:29]
	v_fma_f64 v[24:25], v[4:5], v[28:29], -v[30:31]
	ds_load_b128 v[4:7], v2 offset:1456
	v_add_f64_e32 v[8:9], v[10:11], v[8:9]
	v_add_f64_e32 v[10:11], v[16:17], v[18:19]
	v_fmac_f64_e32 v[20:21], v[14:15], v[126:127]
	v_fma_f64 v[12:13], v[12:13], v[126:127], -v[22:23]
	s_wait_loadcnt_dscnt 0x0
	v_mul_f64_e32 v[16:17], v[4:5], v[132:133]
	v_mul_f64_e32 v[18:19], v[6:7], v[132:133]
	v_add_f64_e32 v[8:9], v[8:9], v[24:25]
	v_add_f64_e32 v[10:11], v[10:11], v[134:135]
	s_delay_alu instid0(VALU_DEP_4) | instskip(NEXT) | instid1(VALU_DEP_4)
	v_fmac_f64_e32 v[16:17], v[6:7], v[130:131]
	v_fma_f64 v[4:5], v[4:5], v[130:131], -v[18:19]
	s_delay_alu instid0(VALU_DEP_4) | instskip(NEXT) | instid1(VALU_DEP_4)
	v_add_f64_e32 v[6:7], v[8:9], v[12:13]
	v_add_f64_e32 v[8:9], v[10:11], v[20:21]
	s_delay_alu instid0(VALU_DEP_2) | instskip(NEXT) | instid1(VALU_DEP_2)
	v_add_f64_e32 v[4:5], v[6:7], v[4:5]
	v_add_f64_e32 v[6:7], v[8:9], v[16:17]
	s_delay_alu instid0(VALU_DEP_2) | instskip(NEXT) | instid1(VALU_DEP_2)
	v_add_f64_e64 v[4:5], v[146:147], -v[4:5]
	v_add_f64_e64 v[6:7], v[148:149], -v[6:7]
	scratch_store_b128 off, v[4:7], off offset:384
	s_wait_xcnt 0x0
	v_cmpx_lt_u32_e32 23, v1
	s_cbranch_execz .LBB45_243
; %bb.242:
	scratch_load_b128 v[6:9], off, s33
	v_dual_mov_b32 v3, v2 :: v_dual_mov_b32 v4, v2
	v_mov_b32_e32 v5, v2
	scratch_store_b128 off, v[2:5], off offset:368
	s_wait_loadcnt 0x0
	ds_store_b128 v124, v[6:9]
.LBB45_243:
	s_wait_xcnt 0x0
	s_or_b32 exec_lo, exec_lo, s2
	s_wait_storecnt_dscnt 0x0
	s_barrier_signal -1
	s_barrier_wait -1
	s_clause 0x9
	scratch_load_b128 v[4:7], off, off offset:384
	scratch_load_b128 v[8:11], off, off offset:400
	;; [unrolled: 1-line block ×10, first 2 shown]
	ds_load_b128 v[138:141], v2 offset:1120
	ds_load_b128 v[146:149], v2 offset:1136
	s_clause 0x2
	scratch_load_b128 v[142:145], off, off offset:544
	scratch_load_b128 v[150:153], off, off offset:368
	;; [unrolled: 1-line block ×3, first 2 shown]
	s_mov_b32 s2, exec_lo
	s_wait_loadcnt_dscnt 0xc01
	v_mul_f64_e32 v[158:159], v[140:141], v[6:7]
	v_mul_f64_e32 v[162:163], v[138:139], v[6:7]
	s_wait_loadcnt_dscnt 0xb00
	v_mul_f64_e32 v[164:165], v[146:147], v[10:11]
	v_mul_f64_e32 v[10:11], v[148:149], v[10:11]
	s_delay_alu instid0(VALU_DEP_4) | instskip(NEXT) | instid1(VALU_DEP_4)
	v_fma_f64 v[166:167], v[138:139], v[4:5], -v[158:159]
	v_fmac_f64_e32 v[162:163], v[140:141], v[4:5]
	ds_load_b128 v[4:7], v2 offset:1152
	ds_load_b128 v[138:141], v2 offset:1168
	scratch_load_b128 v[158:161], off, off offset:576
	v_fmac_f64_e32 v[164:165], v[148:149], v[8:9]
	v_fma_f64 v[146:147], v[146:147], v[8:9], -v[10:11]
	scratch_load_b128 v[8:11], off, off offset:592
	s_wait_loadcnt_dscnt 0xc01
	v_mul_f64_e32 v[168:169], v[4:5], v[14:15]
	v_mul_f64_e32 v[14:15], v[6:7], v[14:15]
	v_add_f64_e32 v[148:149], 0, v[166:167]
	v_add_f64_e32 v[162:163], 0, v[162:163]
	s_wait_loadcnt_dscnt 0xb00
	v_mul_f64_e32 v[166:167], v[138:139], v[18:19]
	v_mul_f64_e32 v[18:19], v[140:141], v[18:19]
	v_fmac_f64_e32 v[168:169], v[6:7], v[12:13]
	v_fma_f64 v[170:171], v[4:5], v[12:13], -v[14:15]
	ds_load_b128 v[4:7], v2 offset:1184
	ds_load_b128 v[12:15], v2 offset:1200
	v_add_f64_e32 v[172:173], v[148:149], v[146:147]
	v_add_f64_e32 v[162:163], v[162:163], v[164:165]
	scratch_load_b128 v[146:149], off, off offset:608
	v_fmac_f64_e32 v[166:167], v[140:141], v[16:17]
	v_fma_f64 v[138:139], v[138:139], v[16:17], -v[18:19]
	scratch_load_b128 v[16:19], off, off offset:624
	s_wait_loadcnt_dscnt 0xc01
	v_mul_f64_e32 v[164:165], v[4:5], v[22:23]
	v_mul_f64_e32 v[22:23], v[6:7], v[22:23]
	v_add_f64_e32 v[140:141], v[172:173], v[170:171]
	v_add_f64_e32 v[162:163], v[162:163], v[168:169]
	s_wait_loadcnt_dscnt 0xb00
	v_mul_f64_e32 v[168:169], v[12:13], v[26:27]
	v_mul_f64_e32 v[26:27], v[14:15], v[26:27]
	v_fmac_f64_e32 v[164:165], v[6:7], v[20:21]
	v_fma_f64 v[170:171], v[4:5], v[20:21], -v[22:23]
	ds_load_b128 v[4:7], v2 offset:1216
	ds_load_b128 v[20:23], v2 offset:1232
	v_add_f64_e32 v[172:173], v[140:141], v[138:139]
	v_add_f64_e32 v[162:163], v[162:163], v[166:167]
	scratch_load_b128 v[138:141], off, off offset:640
	s_wait_loadcnt_dscnt 0xb01
	v_mul_f64_e32 v[166:167], v[4:5], v[30:31]
	v_mul_f64_e32 v[30:31], v[6:7], v[30:31]
	v_fmac_f64_e32 v[168:169], v[14:15], v[24:25]
	v_fma_f64 v[24:25], v[12:13], v[24:25], -v[26:27]
	scratch_load_b128 v[12:15], off, off offset:656
	v_add_f64_e32 v[26:27], v[172:173], v[170:171]
	v_add_f64_e32 v[162:163], v[162:163], v[164:165]
	s_wait_loadcnt_dscnt 0xb00
	v_mul_f64_e32 v[164:165], v[20:21], v[128:129]
	v_mul_f64_e32 v[128:129], v[22:23], v[128:129]
	v_fmac_f64_e32 v[166:167], v[6:7], v[28:29]
	v_fma_f64 v[170:171], v[4:5], v[28:29], -v[30:31]
	v_add_f64_e32 v[172:173], v[26:27], v[24:25]
	v_add_f64_e32 v[162:163], v[162:163], v[168:169]
	ds_load_b128 v[4:7], v2 offset:1248
	ds_load_b128 v[24:27], v2 offset:1264
	scratch_load_b128 v[28:31], off, off offset:672
	v_fmac_f64_e32 v[164:165], v[22:23], v[126:127]
	v_fma_f64 v[126:127], v[20:21], v[126:127], -v[128:129]
	scratch_load_b128 v[20:23], off, off offset:688
	s_wait_loadcnt_dscnt 0xc01
	v_mul_f64_e32 v[168:169], v[4:5], v[132:133]
	v_mul_f64_e32 v[132:133], v[6:7], v[132:133]
	v_add_f64_e32 v[128:129], v[172:173], v[170:171]
	v_add_f64_e32 v[162:163], v[162:163], v[166:167]
	s_wait_loadcnt_dscnt 0xb00
	v_mul_f64_e32 v[166:167], v[24:25], v[136:137]
	v_mul_f64_e32 v[136:137], v[26:27], v[136:137]
	v_fmac_f64_e32 v[168:169], v[6:7], v[130:131]
	v_fma_f64 v[170:171], v[4:5], v[130:131], -v[132:133]
	v_add_f64_e32 v[172:173], v[128:129], v[126:127]
	v_add_f64_e32 v[162:163], v[162:163], v[164:165]
	ds_load_b128 v[4:7], v2 offset:1280
	ds_load_b128 v[126:129], v2 offset:1296
	scratch_load_b128 v[130:133], off, off offset:704
	v_fmac_f64_e32 v[166:167], v[26:27], v[134:135]
	v_fma_f64 v[134:135], v[24:25], v[134:135], -v[136:137]
	scratch_load_b128 v[24:27], off, off offset:720
	s_wait_loadcnt_dscnt 0xc01
	v_mul_f64_e32 v[164:165], v[4:5], v[144:145]
	v_mul_f64_e32 v[144:145], v[6:7], v[144:145]
	v_add_f64_e32 v[136:137], v[172:173], v[170:171]
	v_add_f64_e32 v[162:163], v[162:163], v[168:169]
	s_wait_loadcnt_dscnt 0xa00
	v_mul_f64_e32 v[168:169], v[126:127], v[156:157]
	v_mul_f64_e32 v[156:157], v[128:129], v[156:157]
	v_fmac_f64_e32 v[164:165], v[6:7], v[142:143]
	v_fma_f64 v[142:143], v[4:5], v[142:143], -v[144:145]
	v_add_f64_e32 v[144:145], v[136:137], v[134:135]
	v_add_f64_e32 v[162:163], v[162:163], v[166:167]
	ds_load_b128 v[4:7], v2 offset:1312
	ds_load_b128 v[134:137], v2 offset:1328
	v_fmac_f64_e32 v[168:169], v[128:129], v[154:155]
	v_fma_f64 v[126:127], v[126:127], v[154:155], -v[156:157]
	s_wait_loadcnt_dscnt 0x901
	v_mul_f64_e32 v[166:167], v[4:5], v[160:161]
	v_mul_f64_e32 v[160:161], v[6:7], v[160:161]
	v_add_f64_e32 v[128:129], v[144:145], v[142:143]
	v_add_f64_e32 v[142:143], v[162:163], v[164:165]
	s_wait_loadcnt_dscnt 0x800
	v_mul_f64_e32 v[144:145], v[134:135], v[10:11]
	v_mul_f64_e32 v[10:11], v[136:137], v[10:11]
	v_fmac_f64_e32 v[166:167], v[6:7], v[158:159]
	v_fma_f64 v[154:155], v[4:5], v[158:159], -v[160:161]
	v_add_f64_e32 v[156:157], v[128:129], v[126:127]
	v_add_f64_e32 v[142:143], v[142:143], v[168:169]
	ds_load_b128 v[4:7], v2 offset:1344
	ds_load_b128 v[126:129], v2 offset:1360
	v_fmac_f64_e32 v[144:145], v[136:137], v[8:9]
	v_fma_f64 v[8:9], v[134:135], v[8:9], -v[10:11]
	s_wait_loadcnt_dscnt 0x701
	v_mul_f64_e32 v[158:159], v[4:5], v[148:149]
	v_mul_f64_e32 v[148:149], v[6:7], v[148:149]
	s_wait_loadcnt_dscnt 0x600
	v_mul_f64_e32 v[136:137], v[126:127], v[18:19]
	v_mul_f64_e32 v[18:19], v[128:129], v[18:19]
	v_add_f64_e32 v[10:11], v[156:157], v[154:155]
	v_add_f64_e32 v[134:135], v[142:143], v[166:167]
	v_fmac_f64_e32 v[158:159], v[6:7], v[146:147]
	v_fma_f64 v[142:143], v[4:5], v[146:147], -v[148:149]
	v_fmac_f64_e32 v[136:137], v[128:129], v[16:17]
	v_fma_f64 v[16:17], v[126:127], v[16:17], -v[18:19]
	v_add_f64_e32 v[146:147], v[10:11], v[8:9]
	v_add_f64_e32 v[134:135], v[134:135], v[144:145]
	ds_load_b128 v[4:7], v2 offset:1376
	ds_load_b128 v[8:11], v2 offset:1392
	s_wait_loadcnt_dscnt 0x501
	v_mul_f64_e32 v[144:145], v[4:5], v[140:141]
	v_mul_f64_e32 v[140:141], v[6:7], v[140:141]
	s_wait_loadcnt_dscnt 0x400
	v_mul_f64_e32 v[128:129], v[8:9], v[14:15]
	v_add_f64_e32 v[18:19], v[146:147], v[142:143]
	v_add_f64_e32 v[126:127], v[134:135], v[158:159]
	v_mul_f64_e32 v[134:135], v[10:11], v[14:15]
	v_fmac_f64_e32 v[144:145], v[6:7], v[138:139]
	v_fma_f64 v[138:139], v[4:5], v[138:139], -v[140:141]
	v_fmac_f64_e32 v[128:129], v[10:11], v[12:13]
	v_add_f64_e32 v[18:19], v[18:19], v[16:17]
	v_add_f64_e32 v[126:127], v[126:127], v[136:137]
	ds_load_b128 v[4:7], v2 offset:1408
	ds_load_b128 v[14:17], v2 offset:1424
	v_fma_f64 v[8:9], v[8:9], v[12:13], -v[134:135]
	s_wait_loadcnt_dscnt 0x301
	v_mul_f64_e32 v[136:137], v[4:5], v[30:31]
	v_mul_f64_e32 v[30:31], v[6:7], v[30:31]
	v_add_f64_e32 v[10:11], v[18:19], v[138:139]
	v_add_f64_e32 v[12:13], v[126:127], v[144:145]
	s_wait_loadcnt_dscnt 0x200
	v_mul_f64_e32 v[18:19], v[14:15], v[22:23]
	v_mul_f64_e32 v[22:23], v[16:17], v[22:23]
	v_fmac_f64_e32 v[136:137], v[6:7], v[28:29]
	v_fma_f64 v[28:29], v[4:5], v[28:29], -v[30:31]
	v_add_f64_e32 v[30:31], v[10:11], v[8:9]
	v_add_f64_e32 v[12:13], v[12:13], v[128:129]
	ds_load_b128 v[4:7], v2 offset:1440
	ds_load_b128 v[8:11], v2 offset:1456
	v_fmac_f64_e32 v[18:19], v[16:17], v[20:21]
	v_fma_f64 v[14:15], v[14:15], v[20:21], -v[22:23]
	s_wait_loadcnt_dscnt 0x101
	v_mul_f64_e32 v[2:3], v[4:5], v[132:133]
	v_mul_f64_e32 v[126:127], v[6:7], v[132:133]
	s_wait_loadcnt_dscnt 0x0
	v_mul_f64_e32 v[20:21], v[8:9], v[26:27]
	v_mul_f64_e32 v[22:23], v[10:11], v[26:27]
	v_add_f64_e32 v[16:17], v[30:31], v[28:29]
	v_add_f64_e32 v[12:13], v[12:13], v[136:137]
	v_fmac_f64_e32 v[2:3], v[6:7], v[130:131]
	v_fma_f64 v[4:5], v[4:5], v[130:131], -v[126:127]
	v_fmac_f64_e32 v[20:21], v[10:11], v[24:25]
	v_fma_f64 v[8:9], v[8:9], v[24:25], -v[22:23]
	v_add_f64_e32 v[6:7], v[16:17], v[14:15]
	v_add_f64_e32 v[12:13], v[12:13], v[18:19]
	s_delay_alu instid0(VALU_DEP_2) | instskip(NEXT) | instid1(VALU_DEP_2)
	v_add_f64_e32 v[4:5], v[6:7], v[4:5]
	v_add_f64_e32 v[2:3], v[12:13], v[2:3]
	s_delay_alu instid0(VALU_DEP_2) | instskip(NEXT) | instid1(VALU_DEP_2)
	;; [unrolled: 3-line block ×3, first 2 shown]
	v_add_f64_e64 v[2:3], v[150:151], -v[4:5]
	v_add_f64_e64 v[4:5], v[152:153], -v[6:7]
	scratch_store_b128 off, v[2:5], off offset:368
	s_wait_xcnt 0x0
	v_cmpx_lt_u32_e32 22, v1
	s_cbranch_execz .LBB45_245
; %bb.244:
	scratch_load_b128 v[2:5], off, s39
	v_mov_b32_e32 v6, 0
	s_delay_alu instid0(VALU_DEP_1)
	v_dual_mov_b32 v7, v6 :: v_dual_mov_b32 v8, v6
	v_mov_b32_e32 v9, v6
	scratch_store_b128 off, v[6:9], off offset:352
	s_wait_loadcnt 0x0
	ds_store_b128 v124, v[2:5]
.LBB45_245:
	s_wait_xcnt 0x0
	s_or_b32 exec_lo, exec_lo, s2
	s_wait_storecnt_dscnt 0x0
	s_barrier_signal -1
	s_barrier_wait -1
	s_clause 0x9
	scratch_load_b128 v[4:7], off, off offset:368
	scratch_load_b128 v[8:11], off, off offset:384
	;; [unrolled: 1-line block ×10, first 2 shown]
	v_mov_b32_e32 v2, 0
	s_mov_b32 s2, exec_lo
	ds_load_b128 v[138:141], v2 offset:1104
	s_clause 0x2
	scratch_load_b128 v[142:145], off, off offset:528
	scratch_load_b128 v[146:149], off, off offset:352
	;; [unrolled: 1-line block ×3, first 2 shown]
	s_wait_loadcnt_dscnt 0xc00
	v_mul_f64_e32 v[158:159], v[140:141], v[6:7]
	v_mul_f64_e32 v[162:163], v[138:139], v[6:7]
	ds_load_b128 v[150:153], v2 offset:1120
	v_fma_f64 v[166:167], v[138:139], v[4:5], -v[158:159]
	v_fmac_f64_e32 v[162:163], v[140:141], v[4:5]
	ds_load_b128 v[4:7], v2 offset:1136
	s_wait_loadcnt_dscnt 0xb01
	v_mul_f64_e32 v[164:165], v[150:151], v[10:11]
	v_mul_f64_e32 v[10:11], v[152:153], v[10:11]
	scratch_load_b128 v[138:141], off, off offset:560
	ds_load_b128 v[158:161], v2 offset:1152
	s_wait_loadcnt_dscnt 0xb01
	v_mul_f64_e32 v[168:169], v[4:5], v[14:15]
	v_mul_f64_e32 v[14:15], v[6:7], v[14:15]
	v_add_f64_e32 v[162:163], 0, v[162:163]
	v_fmac_f64_e32 v[164:165], v[152:153], v[8:9]
	v_fma_f64 v[150:151], v[150:151], v[8:9], -v[10:11]
	v_add_f64_e32 v[152:153], 0, v[166:167]
	scratch_load_b128 v[8:11], off, off offset:576
	v_fmac_f64_e32 v[168:169], v[6:7], v[12:13]
	v_fma_f64 v[170:171], v[4:5], v[12:13], -v[14:15]
	ds_load_b128 v[4:7], v2 offset:1168
	s_wait_loadcnt_dscnt 0xb01
	v_mul_f64_e32 v[166:167], v[158:159], v[18:19]
	v_mul_f64_e32 v[18:19], v[160:161], v[18:19]
	scratch_load_b128 v[12:15], off, off offset:592
	v_add_f64_e32 v[162:163], v[162:163], v[164:165]
	v_add_f64_e32 v[172:173], v[152:153], v[150:151]
	ds_load_b128 v[150:153], v2 offset:1184
	s_wait_loadcnt_dscnt 0xb01
	v_mul_f64_e32 v[164:165], v[4:5], v[22:23]
	v_mul_f64_e32 v[22:23], v[6:7], v[22:23]
	v_fmac_f64_e32 v[166:167], v[160:161], v[16:17]
	v_fma_f64 v[158:159], v[158:159], v[16:17], -v[18:19]
	scratch_load_b128 v[16:19], off, off offset:608
	v_add_f64_e32 v[162:163], v[162:163], v[168:169]
	v_add_f64_e32 v[160:161], v[172:173], v[170:171]
	v_fmac_f64_e32 v[164:165], v[6:7], v[20:21]
	v_fma_f64 v[170:171], v[4:5], v[20:21], -v[22:23]
	ds_load_b128 v[4:7], v2 offset:1200
	s_wait_loadcnt_dscnt 0xb01
	v_mul_f64_e32 v[168:169], v[150:151], v[26:27]
	v_mul_f64_e32 v[26:27], v[152:153], v[26:27]
	scratch_load_b128 v[20:23], off, off offset:624
	v_add_f64_e32 v[162:163], v[162:163], v[166:167]
	s_wait_loadcnt_dscnt 0xb00
	v_mul_f64_e32 v[166:167], v[4:5], v[30:31]
	v_add_f64_e32 v[172:173], v[160:161], v[158:159]
	v_mul_f64_e32 v[30:31], v[6:7], v[30:31]
	ds_load_b128 v[158:161], v2 offset:1216
	v_fmac_f64_e32 v[168:169], v[152:153], v[24:25]
	v_fma_f64 v[150:151], v[150:151], v[24:25], -v[26:27]
	scratch_load_b128 v[24:27], off, off offset:640
	v_add_f64_e32 v[162:163], v[162:163], v[164:165]
	v_fmac_f64_e32 v[166:167], v[6:7], v[28:29]
	v_add_f64_e32 v[152:153], v[172:173], v[170:171]
	v_fma_f64 v[170:171], v[4:5], v[28:29], -v[30:31]
	ds_load_b128 v[4:7], v2 offset:1232
	s_wait_loadcnt_dscnt 0xb01
	v_mul_f64_e32 v[164:165], v[158:159], v[128:129]
	v_mul_f64_e32 v[128:129], v[160:161], v[128:129]
	scratch_load_b128 v[28:31], off, off offset:656
	v_add_f64_e32 v[162:163], v[162:163], v[168:169]
	s_wait_loadcnt_dscnt 0xb00
	v_mul_f64_e32 v[168:169], v[4:5], v[132:133]
	v_add_f64_e32 v[172:173], v[152:153], v[150:151]
	v_mul_f64_e32 v[132:133], v[6:7], v[132:133]
	ds_load_b128 v[150:153], v2 offset:1248
	v_fmac_f64_e32 v[164:165], v[160:161], v[126:127]
	v_fma_f64 v[158:159], v[158:159], v[126:127], -v[128:129]
	scratch_load_b128 v[126:129], off, off offset:672
	v_add_f64_e32 v[162:163], v[162:163], v[166:167]
	v_fmac_f64_e32 v[168:169], v[6:7], v[130:131]
	v_add_f64_e32 v[160:161], v[172:173], v[170:171]
	v_fma_f64 v[170:171], v[4:5], v[130:131], -v[132:133]
	ds_load_b128 v[4:7], v2 offset:1264
	s_wait_loadcnt_dscnt 0xb01
	v_mul_f64_e32 v[166:167], v[150:151], v[136:137]
	v_mul_f64_e32 v[136:137], v[152:153], v[136:137]
	scratch_load_b128 v[130:133], off, off offset:688
	v_add_f64_e32 v[162:163], v[162:163], v[164:165]
	s_wait_loadcnt_dscnt 0xb00
	v_mul_f64_e32 v[164:165], v[4:5], v[144:145]
	v_add_f64_e32 v[172:173], v[160:161], v[158:159]
	v_mul_f64_e32 v[144:145], v[6:7], v[144:145]
	ds_load_b128 v[158:161], v2 offset:1280
	v_fmac_f64_e32 v[166:167], v[152:153], v[134:135]
	v_fma_f64 v[150:151], v[150:151], v[134:135], -v[136:137]
	scratch_load_b128 v[134:137], off, off offset:704
	v_add_f64_e32 v[162:163], v[162:163], v[168:169]
	v_fmac_f64_e32 v[164:165], v[6:7], v[142:143]
	v_add_f64_e32 v[152:153], v[172:173], v[170:171]
	v_fma_f64 v[170:171], v[4:5], v[142:143], -v[144:145]
	ds_load_b128 v[4:7], v2 offset:1296
	s_wait_loadcnt_dscnt 0xa01
	v_mul_f64_e32 v[168:169], v[158:159], v[156:157]
	v_mul_f64_e32 v[156:157], v[160:161], v[156:157]
	scratch_load_b128 v[142:145], off, off offset:720
	v_add_f64_e32 v[162:163], v[162:163], v[166:167]
	v_add_f64_e32 v[172:173], v[152:153], v[150:151]
	s_wait_loadcnt_dscnt 0xa00
	v_mul_f64_e32 v[166:167], v[4:5], v[140:141]
	v_mul_f64_e32 v[140:141], v[6:7], v[140:141]
	v_fmac_f64_e32 v[168:169], v[160:161], v[154:155]
	v_fma_f64 v[154:155], v[158:159], v[154:155], -v[156:157]
	ds_load_b128 v[150:153], v2 offset:1312
	v_add_f64_e32 v[158:159], v[162:163], v[164:165]
	v_add_f64_e32 v[156:157], v[172:173], v[170:171]
	s_wait_loadcnt_dscnt 0x900
	v_mul_f64_e32 v[160:161], v[150:151], v[10:11]
	v_mul_f64_e32 v[10:11], v[152:153], v[10:11]
	v_fmac_f64_e32 v[166:167], v[6:7], v[138:139]
	v_fma_f64 v[162:163], v[4:5], v[138:139], -v[140:141]
	ds_load_b128 v[4:7], v2 offset:1328
	ds_load_b128 v[138:141], v2 offset:1344
	v_add_f64_e32 v[154:155], v[156:157], v[154:155]
	v_add_f64_e32 v[156:157], v[158:159], v[168:169]
	s_wait_loadcnt_dscnt 0x801
	v_mul_f64_e32 v[158:159], v[4:5], v[14:15]
	v_mul_f64_e32 v[14:15], v[6:7], v[14:15]
	v_fmac_f64_e32 v[160:161], v[152:153], v[8:9]
	v_fma_f64 v[8:9], v[150:151], v[8:9], -v[10:11]
	s_wait_loadcnt_dscnt 0x700
	v_mul_f64_e32 v[152:153], v[138:139], v[18:19]
	v_mul_f64_e32 v[18:19], v[140:141], v[18:19]
	v_add_f64_e32 v[10:11], v[154:155], v[162:163]
	v_add_f64_e32 v[150:151], v[156:157], v[166:167]
	v_fmac_f64_e32 v[158:159], v[6:7], v[12:13]
	v_fma_f64 v[12:13], v[4:5], v[12:13], -v[14:15]
	v_fmac_f64_e32 v[152:153], v[140:141], v[16:17]
	v_fma_f64 v[16:17], v[138:139], v[16:17], -v[18:19]
	v_add_f64_e32 v[14:15], v[10:11], v[8:9]
	v_add_f64_e32 v[150:151], v[150:151], v[160:161]
	ds_load_b128 v[4:7], v2 offset:1360
	ds_load_b128 v[8:11], v2 offset:1376
	s_wait_loadcnt_dscnt 0x601
	v_mul_f64_e32 v[154:155], v[4:5], v[22:23]
	v_mul_f64_e32 v[22:23], v[6:7], v[22:23]
	s_wait_loadcnt_dscnt 0x500
	v_mul_f64_e32 v[18:19], v[8:9], v[26:27]
	v_mul_f64_e32 v[26:27], v[10:11], v[26:27]
	v_add_f64_e32 v[12:13], v[14:15], v[12:13]
	v_add_f64_e32 v[14:15], v[150:151], v[158:159]
	v_fmac_f64_e32 v[154:155], v[6:7], v[20:21]
	v_fma_f64 v[20:21], v[4:5], v[20:21], -v[22:23]
	v_fmac_f64_e32 v[18:19], v[10:11], v[24:25]
	v_fma_f64 v[8:9], v[8:9], v[24:25], -v[26:27]
	v_add_f64_e32 v[16:17], v[12:13], v[16:17]
	v_add_f64_e32 v[22:23], v[14:15], v[152:153]
	ds_load_b128 v[4:7], v2 offset:1392
	ds_load_b128 v[12:15], v2 offset:1408
	s_wait_loadcnt_dscnt 0x401
	v_mul_f64_e32 v[138:139], v[4:5], v[30:31]
	v_mul_f64_e32 v[30:31], v[6:7], v[30:31]
	v_add_f64_e32 v[10:11], v[16:17], v[20:21]
	v_add_f64_e32 v[16:17], v[22:23], v[154:155]
	s_wait_loadcnt_dscnt 0x300
	v_mul_f64_e32 v[20:21], v[12:13], v[128:129]
	v_mul_f64_e32 v[22:23], v[14:15], v[128:129]
	v_fmac_f64_e32 v[138:139], v[6:7], v[28:29]
	v_fma_f64 v[24:25], v[4:5], v[28:29], -v[30:31]
	v_add_f64_e32 v[26:27], v[10:11], v[8:9]
	v_add_f64_e32 v[16:17], v[16:17], v[18:19]
	ds_load_b128 v[4:7], v2 offset:1424
	ds_load_b128 v[8:11], v2 offset:1440
	v_fmac_f64_e32 v[20:21], v[14:15], v[126:127]
	v_fma_f64 v[12:13], v[12:13], v[126:127], -v[22:23]
	s_wait_loadcnt_dscnt 0x201
	v_mul_f64_e32 v[18:19], v[4:5], v[132:133]
	v_mul_f64_e32 v[28:29], v[6:7], v[132:133]
	s_wait_loadcnt_dscnt 0x100
	v_mul_f64_e32 v[22:23], v[8:9], v[136:137]
	v_add_f64_e32 v[14:15], v[26:27], v[24:25]
	v_add_f64_e32 v[16:17], v[16:17], v[138:139]
	v_mul_f64_e32 v[24:25], v[10:11], v[136:137]
	v_fmac_f64_e32 v[18:19], v[6:7], v[130:131]
	v_fma_f64 v[26:27], v[4:5], v[130:131], -v[28:29]
	ds_load_b128 v[4:7], v2 offset:1456
	v_fmac_f64_e32 v[22:23], v[10:11], v[134:135]
	v_add_f64_e32 v[12:13], v[14:15], v[12:13]
	v_add_f64_e32 v[14:15], v[16:17], v[20:21]
	v_fma_f64 v[8:9], v[8:9], v[134:135], -v[24:25]
	s_wait_loadcnt_dscnt 0x0
	v_mul_f64_e32 v[16:17], v[4:5], v[144:145]
	v_mul_f64_e32 v[20:21], v[6:7], v[144:145]
	v_add_f64_e32 v[10:11], v[12:13], v[26:27]
	v_add_f64_e32 v[12:13], v[14:15], v[18:19]
	s_delay_alu instid0(VALU_DEP_4) | instskip(NEXT) | instid1(VALU_DEP_4)
	v_fmac_f64_e32 v[16:17], v[6:7], v[142:143]
	v_fma_f64 v[4:5], v[4:5], v[142:143], -v[20:21]
	s_delay_alu instid0(VALU_DEP_4) | instskip(NEXT) | instid1(VALU_DEP_4)
	v_add_f64_e32 v[6:7], v[10:11], v[8:9]
	v_add_f64_e32 v[8:9], v[12:13], v[22:23]
	s_delay_alu instid0(VALU_DEP_2) | instskip(NEXT) | instid1(VALU_DEP_2)
	v_add_f64_e32 v[4:5], v[6:7], v[4:5]
	v_add_f64_e32 v[6:7], v[8:9], v[16:17]
	s_delay_alu instid0(VALU_DEP_2) | instskip(NEXT) | instid1(VALU_DEP_2)
	v_add_f64_e64 v[4:5], v[146:147], -v[4:5]
	v_add_f64_e64 v[6:7], v[148:149], -v[6:7]
	scratch_store_b128 off, v[4:7], off offset:352
	s_wait_xcnt 0x0
	v_cmpx_lt_u32_e32 21, v1
	s_cbranch_execz .LBB45_247
; %bb.246:
	scratch_load_b128 v[6:9], off, s37
	v_dual_mov_b32 v3, v2 :: v_dual_mov_b32 v4, v2
	v_mov_b32_e32 v5, v2
	scratch_store_b128 off, v[2:5], off offset:336
	s_wait_loadcnt 0x0
	ds_store_b128 v124, v[6:9]
.LBB45_247:
	s_wait_xcnt 0x0
	s_or_b32 exec_lo, exec_lo, s2
	s_wait_storecnt_dscnt 0x0
	s_barrier_signal -1
	s_barrier_wait -1
	s_clause 0x9
	scratch_load_b128 v[4:7], off, off offset:352
	scratch_load_b128 v[8:11], off, off offset:368
	;; [unrolled: 1-line block ×10, first 2 shown]
	ds_load_b128 v[138:141], v2 offset:1088
	ds_load_b128 v[146:149], v2 offset:1104
	s_clause 0x2
	scratch_load_b128 v[142:145], off, off offset:512
	scratch_load_b128 v[150:153], off, off offset:336
	;; [unrolled: 1-line block ×3, first 2 shown]
	s_mov_b32 s2, exec_lo
	s_wait_loadcnt_dscnt 0xc01
	v_mul_f64_e32 v[158:159], v[140:141], v[6:7]
	v_mul_f64_e32 v[162:163], v[138:139], v[6:7]
	s_wait_loadcnt_dscnt 0xb00
	v_mul_f64_e32 v[164:165], v[146:147], v[10:11]
	v_mul_f64_e32 v[10:11], v[148:149], v[10:11]
	s_delay_alu instid0(VALU_DEP_4) | instskip(NEXT) | instid1(VALU_DEP_4)
	v_fma_f64 v[166:167], v[138:139], v[4:5], -v[158:159]
	v_fmac_f64_e32 v[162:163], v[140:141], v[4:5]
	ds_load_b128 v[4:7], v2 offset:1120
	ds_load_b128 v[138:141], v2 offset:1136
	scratch_load_b128 v[158:161], off, off offset:544
	v_fmac_f64_e32 v[164:165], v[148:149], v[8:9]
	v_fma_f64 v[146:147], v[146:147], v[8:9], -v[10:11]
	scratch_load_b128 v[8:11], off, off offset:560
	s_wait_loadcnt_dscnt 0xc01
	v_mul_f64_e32 v[168:169], v[4:5], v[14:15]
	v_mul_f64_e32 v[14:15], v[6:7], v[14:15]
	v_add_f64_e32 v[148:149], 0, v[166:167]
	v_add_f64_e32 v[162:163], 0, v[162:163]
	s_wait_loadcnt_dscnt 0xb00
	v_mul_f64_e32 v[166:167], v[138:139], v[18:19]
	v_mul_f64_e32 v[18:19], v[140:141], v[18:19]
	v_fmac_f64_e32 v[168:169], v[6:7], v[12:13]
	v_fma_f64 v[170:171], v[4:5], v[12:13], -v[14:15]
	ds_load_b128 v[4:7], v2 offset:1152
	ds_load_b128 v[12:15], v2 offset:1168
	v_add_f64_e32 v[172:173], v[148:149], v[146:147]
	v_add_f64_e32 v[162:163], v[162:163], v[164:165]
	scratch_load_b128 v[146:149], off, off offset:576
	v_fmac_f64_e32 v[166:167], v[140:141], v[16:17]
	v_fma_f64 v[138:139], v[138:139], v[16:17], -v[18:19]
	scratch_load_b128 v[16:19], off, off offset:592
	s_wait_loadcnt_dscnt 0xc01
	v_mul_f64_e32 v[164:165], v[4:5], v[22:23]
	v_mul_f64_e32 v[22:23], v[6:7], v[22:23]
	v_add_f64_e32 v[140:141], v[172:173], v[170:171]
	v_add_f64_e32 v[162:163], v[162:163], v[168:169]
	s_wait_loadcnt_dscnt 0xb00
	v_mul_f64_e32 v[168:169], v[12:13], v[26:27]
	v_mul_f64_e32 v[26:27], v[14:15], v[26:27]
	v_fmac_f64_e32 v[164:165], v[6:7], v[20:21]
	v_fma_f64 v[170:171], v[4:5], v[20:21], -v[22:23]
	ds_load_b128 v[4:7], v2 offset:1184
	ds_load_b128 v[20:23], v2 offset:1200
	v_add_f64_e32 v[172:173], v[140:141], v[138:139]
	v_add_f64_e32 v[162:163], v[162:163], v[166:167]
	scratch_load_b128 v[138:141], off, off offset:608
	s_wait_loadcnt_dscnt 0xb01
	v_mul_f64_e32 v[166:167], v[4:5], v[30:31]
	v_mul_f64_e32 v[30:31], v[6:7], v[30:31]
	v_fmac_f64_e32 v[168:169], v[14:15], v[24:25]
	v_fma_f64 v[24:25], v[12:13], v[24:25], -v[26:27]
	scratch_load_b128 v[12:15], off, off offset:624
	v_add_f64_e32 v[26:27], v[172:173], v[170:171]
	v_add_f64_e32 v[162:163], v[162:163], v[164:165]
	s_wait_loadcnt_dscnt 0xb00
	v_mul_f64_e32 v[164:165], v[20:21], v[128:129]
	v_mul_f64_e32 v[128:129], v[22:23], v[128:129]
	v_fmac_f64_e32 v[166:167], v[6:7], v[28:29]
	v_fma_f64 v[170:171], v[4:5], v[28:29], -v[30:31]
	v_add_f64_e32 v[172:173], v[26:27], v[24:25]
	v_add_f64_e32 v[162:163], v[162:163], v[168:169]
	ds_load_b128 v[4:7], v2 offset:1216
	ds_load_b128 v[24:27], v2 offset:1232
	scratch_load_b128 v[28:31], off, off offset:640
	v_fmac_f64_e32 v[164:165], v[22:23], v[126:127]
	v_fma_f64 v[126:127], v[20:21], v[126:127], -v[128:129]
	scratch_load_b128 v[20:23], off, off offset:656
	s_wait_loadcnt_dscnt 0xc01
	v_mul_f64_e32 v[168:169], v[4:5], v[132:133]
	v_mul_f64_e32 v[132:133], v[6:7], v[132:133]
	v_add_f64_e32 v[128:129], v[172:173], v[170:171]
	v_add_f64_e32 v[162:163], v[162:163], v[166:167]
	s_wait_loadcnt_dscnt 0xb00
	v_mul_f64_e32 v[166:167], v[24:25], v[136:137]
	v_mul_f64_e32 v[136:137], v[26:27], v[136:137]
	v_fmac_f64_e32 v[168:169], v[6:7], v[130:131]
	v_fma_f64 v[170:171], v[4:5], v[130:131], -v[132:133]
	v_add_f64_e32 v[172:173], v[128:129], v[126:127]
	v_add_f64_e32 v[162:163], v[162:163], v[164:165]
	ds_load_b128 v[4:7], v2 offset:1248
	ds_load_b128 v[126:129], v2 offset:1264
	scratch_load_b128 v[130:133], off, off offset:672
	v_fmac_f64_e32 v[166:167], v[26:27], v[134:135]
	v_fma_f64 v[134:135], v[24:25], v[134:135], -v[136:137]
	scratch_load_b128 v[24:27], off, off offset:688
	s_wait_loadcnt_dscnt 0xc01
	v_mul_f64_e32 v[164:165], v[4:5], v[144:145]
	v_mul_f64_e32 v[144:145], v[6:7], v[144:145]
	;; [unrolled: 18-line block ×3, first 2 shown]
	v_add_f64_e32 v[156:157], v[172:173], v[170:171]
	v_add_f64_e32 v[162:163], v[162:163], v[164:165]
	s_wait_loadcnt_dscnt 0xa00
	v_mul_f64_e32 v[164:165], v[134:135], v[10:11]
	v_mul_f64_e32 v[10:11], v[136:137], v[10:11]
	v_fmac_f64_e32 v[166:167], v[6:7], v[158:159]
	v_fma_f64 v[158:159], v[4:5], v[158:159], -v[160:161]
	v_add_f64_e32 v[160:161], v[156:157], v[154:155]
	v_add_f64_e32 v[162:163], v[162:163], v[168:169]
	ds_load_b128 v[4:7], v2 offset:1312
	ds_load_b128 v[154:157], v2 offset:1328
	v_fmac_f64_e32 v[164:165], v[136:137], v[8:9]
	v_fma_f64 v[8:9], v[134:135], v[8:9], -v[10:11]
	s_wait_loadcnt_dscnt 0x901
	v_mul_f64_e32 v[168:169], v[4:5], v[148:149]
	v_mul_f64_e32 v[148:149], v[6:7], v[148:149]
	s_wait_loadcnt_dscnt 0x800
	v_mul_f64_e32 v[136:137], v[154:155], v[18:19]
	v_mul_f64_e32 v[18:19], v[156:157], v[18:19]
	v_add_f64_e32 v[10:11], v[160:161], v[158:159]
	v_add_f64_e32 v[134:135], v[162:163], v[166:167]
	v_fmac_f64_e32 v[168:169], v[6:7], v[146:147]
	v_fma_f64 v[146:147], v[4:5], v[146:147], -v[148:149]
	v_fmac_f64_e32 v[136:137], v[156:157], v[16:17]
	v_fma_f64 v[16:17], v[154:155], v[16:17], -v[18:19]
	v_add_f64_e32 v[148:149], v[10:11], v[8:9]
	v_add_f64_e32 v[134:135], v[134:135], v[164:165]
	ds_load_b128 v[4:7], v2 offset:1344
	ds_load_b128 v[8:11], v2 offset:1360
	s_wait_loadcnt_dscnt 0x701
	v_mul_f64_e32 v[158:159], v[4:5], v[140:141]
	v_mul_f64_e32 v[140:141], v[6:7], v[140:141]
	v_add_f64_e32 v[18:19], v[148:149], v[146:147]
	v_add_f64_e32 v[134:135], v[134:135], v[168:169]
	s_wait_loadcnt_dscnt 0x600
	v_mul_f64_e32 v[146:147], v[8:9], v[14:15]
	v_mul_f64_e32 v[148:149], v[10:11], v[14:15]
	v_fmac_f64_e32 v[158:159], v[6:7], v[138:139]
	v_fma_f64 v[138:139], v[4:5], v[138:139], -v[140:141]
	v_add_f64_e32 v[18:19], v[18:19], v[16:17]
	v_add_f64_e32 v[134:135], v[134:135], v[136:137]
	ds_load_b128 v[4:7], v2 offset:1376
	ds_load_b128 v[14:17], v2 offset:1392
	v_fmac_f64_e32 v[146:147], v[10:11], v[12:13]
	v_fma_f64 v[8:9], v[8:9], v[12:13], -v[148:149]
	s_wait_loadcnt_dscnt 0x501
	v_mul_f64_e32 v[136:137], v[4:5], v[30:31]
	v_mul_f64_e32 v[30:31], v[6:7], v[30:31]
	v_add_f64_e32 v[10:11], v[18:19], v[138:139]
	v_add_f64_e32 v[12:13], v[134:135], v[158:159]
	s_wait_loadcnt_dscnt 0x400
	v_mul_f64_e32 v[18:19], v[14:15], v[22:23]
	v_mul_f64_e32 v[22:23], v[16:17], v[22:23]
	v_fmac_f64_e32 v[136:137], v[6:7], v[28:29]
	v_fma_f64 v[28:29], v[4:5], v[28:29], -v[30:31]
	v_add_f64_e32 v[30:31], v[10:11], v[8:9]
	v_add_f64_e32 v[12:13], v[12:13], v[146:147]
	ds_load_b128 v[4:7], v2 offset:1408
	ds_load_b128 v[8:11], v2 offset:1424
	v_fmac_f64_e32 v[18:19], v[16:17], v[20:21]
	v_fma_f64 v[14:15], v[14:15], v[20:21], -v[22:23]
	s_wait_loadcnt_dscnt 0x301
	v_mul_f64_e32 v[134:135], v[4:5], v[132:133]
	v_mul_f64_e32 v[132:133], v[6:7], v[132:133]
	s_wait_loadcnt_dscnt 0x200
	v_mul_f64_e32 v[20:21], v[8:9], v[26:27]
	v_mul_f64_e32 v[22:23], v[10:11], v[26:27]
	v_add_f64_e32 v[16:17], v[30:31], v[28:29]
	v_add_f64_e32 v[12:13], v[12:13], v[136:137]
	v_fmac_f64_e32 v[134:135], v[6:7], v[130:131]
	v_fma_f64 v[26:27], v[4:5], v[130:131], -v[132:133]
	v_fmac_f64_e32 v[20:21], v[10:11], v[24:25]
	v_fma_f64 v[8:9], v[8:9], v[24:25], -v[22:23]
	v_add_f64_e32 v[16:17], v[16:17], v[14:15]
	v_add_f64_e32 v[18:19], v[12:13], v[18:19]
	ds_load_b128 v[4:7], v2 offset:1440
	ds_load_b128 v[12:15], v2 offset:1456
	s_wait_loadcnt_dscnt 0x101
	v_mul_f64_e32 v[2:3], v[4:5], v[144:145]
	v_mul_f64_e32 v[28:29], v[6:7], v[144:145]
	s_wait_loadcnt_dscnt 0x0
	v_mul_f64_e32 v[22:23], v[14:15], v[128:129]
	v_add_f64_e32 v[10:11], v[16:17], v[26:27]
	v_add_f64_e32 v[16:17], v[18:19], v[134:135]
	v_mul_f64_e32 v[18:19], v[12:13], v[128:129]
	v_fmac_f64_e32 v[2:3], v[6:7], v[142:143]
	v_fma_f64 v[4:5], v[4:5], v[142:143], -v[28:29]
	v_add_f64_e32 v[6:7], v[10:11], v[8:9]
	v_add_f64_e32 v[8:9], v[16:17], v[20:21]
	v_fmac_f64_e32 v[18:19], v[14:15], v[126:127]
	v_fma_f64 v[10:11], v[12:13], v[126:127], -v[22:23]
	s_delay_alu instid0(VALU_DEP_4) | instskip(NEXT) | instid1(VALU_DEP_4)
	v_add_f64_e32 v[4:5], v[6:7], v[4:5]
	v_add_f64_e32 v[2:3], v[8:9], v[2:3]
	s_delay_alu instid0(VALU_DEP_2) | instskip(NEXT) | instid1(VALU_DEP_2)
	v_add_f64_e32 v[4:5], v[4:5], v[10:11]
	v_add_f64_e32 v[6:7], v[2:3], v[18:19]
	s_delay_alu instid0(VALU_DEP_2) | instskip(NEXT) | instid1(VALU_DEP_2)
	v_add_f64_e64 v[2:3], v[150:151], -v[4:5]
	v_add_f64_e64 v[4:5], v[152:153], -v[6:7]
	scratch_store_b128 off, v[2:5], off offset:336
	s_wait_xcnt 0x0
	v_cmpx_lt_u32_e32 20, v1
	s_cbranch_execz .LBB45_249
; %bb.248:
	scratch_load_b128 v[2:5], off, s41
	v_mov_b32_e32 v6, 0
	s_delay_alu instid0(VALU_DEP_1)
	v_dual_mov_b32 v7, v6 :: v_dual_mov_b32 v8, v6
	v_mov_b32_e32 v9, v6
	scratch_store_b128 off, v[6:9], off offset:320
	s_wait_loadcnt 0x0
	ds_store_b128 v124, v[2:5]
.LBB45_249:
	s_wait_xcnt 0x0
	s_or_b32 exec_lo, exec_lo, s2
	s_wait_storecnt_dscnt 0x0
	s_barrier_signal -1
	s_barrier_wait -1
	s_clause 0x9
	scratch_load_b128 v[4:7], off, off offset:336
	scratch_load_b128 v[8:11], off, off offset:352
	;; [unrolled: 1-line block ×10, first 2 shown]
	v_mov_b32_e32 v2, 0
	s_mov_b32 s2, exec_lo
	ds_load_b128 v[138:141], v2 offset:1072
	s_clause 0x2
	scratch_load_b128 v[142:145], off, off offset:496
	scratch_load_b128 v[146:149], off, off offset:320
	;; [unrolled: 1-line block ×3, first 2 shown]
	s_wait_loadcnt_dscnt 0xc00
	v_mul_f64_e32 v[158:159], v[140:141], v[6:7]
	v_mul_f64_e32 v[162:163], v[138:139], v[6:7]
	ds_load_b128 v[150:153], v2 offset:1088
	v_fma_f64 v[166:167], v[138:139], v[4:5], -v[158:159]
	v_fmac_f64_e32 v[162:163], v[140:141], v[4:5]
	ds_load_b128 v[4:7], v2 offset:1104
	s_wait_loadcnt_dscnt 0xb01
	v_mul_f64_e32 v[164:165], v[150:151], v[10:11]
	v_mul_f64_e32 v[10:11], v[152:153], v[10:11]
	scratch_load_b128 v[138:141], off, off offset:528
	ds_load_b128 v[158:161], v2 offset:1120
	s_wait_loadcnt_dscnt 0xb01
	v_mul_f64_e32 v[168:169], v[4:5], v[14:15]
	v_mul_f64_e32 v[14:15], v[6:7], v[14:15]
	v_add_f64_e32 v[162:163], 0, v[162:163]
	v_fmac_f64_e32 v[164:165], v[152:153], v[8:9]
	v_fma_f64 v[150:151], v[150:151], v[8:9], -v[10:11]
	v_add_f64_e32 v[152:153], 0, v[166:167]
	scratch_load_b128 v[8:11], off, off offset:544
	v_fmac_f64_e32 v[168:169], v[6:7], v[12:13]
	v_fma_f64 v[170:171], v[4:5], v[12:13], -v[14:15]
	ds_load_b128 v[4:7], v2 offset:1136
	s_wait_loadcnt_dscnt 0xb01
	v_mul_f64_e32 v[166:167], v[158:159], v[18:19]
	v_mul_f64_e32 v[18:19], v[160:161], v[18:19]
	scratch_load_b128 v[12:15], off, off offset:560
	v_add_f64_e32 v[162:163], v[162:163], v[164:165]
	v_add_f64_e32 v[172:173], v[152:153], v[150:151]
	ds_load_b128 v[150:153], v2 offset:1152
	s_wait_loadcnt_dscnt 0xb01
	v_mul_f64_e32 v[164:165], v[4:5], v[22:23]
	v_mul_f64_e32 v[22:23], v[6:7], v[22:23]
	v_fmac_f64_e32 v[166:167], v[160:161], v[16:17]
	v_fma_f64 v[158:159], v[158:159], v[16:17], -v[18:19]
	scratch_load_b128 v[16:19], off, off offset:576
	v_add_f64_e32 v[162:163], v[162:163], v[168:169]
	v_add_f64_e32 v[160:161], v[172:173], v[170:171]
	v_fmac_f64_e32 v[164:165], v[6:7], v[20:21]
	v_fma_f64 v[170:171], v[4:5], v[20:21], -v[22:23]
	ds_load_b128 v[4:7], v2 offset:1168
	s_wait_loadcnt_dscnt 0xb01
	v_mul_f64_e32 v[168:169], v[150:151], v[26:27]
	v_mul_f64_e32 v[26:27], v[152:153], v[26:27]
	scratch_load_b128 v[20:23], off, off offset:592
	v_add_f64_e32 v[162:163], v[162:163], v[166:167]
	s_wait_loadcnt_dscnt 0xb00
	v_mul_f64_e32 v[166:167], v[4:5], v[30:31]
	v_add_f64_e32 v[172:173], v[160:161], v[158:159]
	v_mul_f64_e32 v[30:31], v[6:7], v[30:31]
	ds_load_b128 v[158:161], v2 offset:1184
	v_fmac_f64_e32 v[168:169], v[152:153], v[24:25]
	v_fma_f64 v[150:151], v[150:151], v[24:25], -v[26:27]
	scratch_load_b128 v[24:27], off, off offset:608
	v_add_f64_e32 v[162:163], v[162:163], v[164:165]
	v_fmac_f64_e32 v[166:167], v[6:7], v[28:29]
	v_add_f64_e32 v[152:153], v[172:173], v[170:171]
	v_fma_f64 v[170:171], v[4:5], v[28:29], -v[30:31]
	ds_load_b128 v[4:7], v2 offset:1200
	s_wait_loadcnt_dscnt 0xb01
	v_mul_f64_e32 v[164:165], v[158:159], v[128:129]
	v_mul_f64_e32 v[128:129], v[160:161], v[128:129]
	scratch_load_b128 v[28:31], off, off offset:624
	v_add_f64_e32 v[162:163], v[162:163], v[168:169]
	s_wait_loadcnt_dscnt 0xb00
	v_mul_f64_e32 v[168:169], v[4:5], v[132:133]
	v_add_f64_e32 v[172:173], v[152:153], v[150:151]
	v_mul_f64_e32 v[132:133], v[6:7], v[132:133]
	ds_load_b128 v[150:153], v2 offset:1216
	v_fmac_f64_e32 v[164:165], v[160:161], v[126:127]
	v_fma_f64 v[158:159], v[158:159], v[126:127], -v[128:129]
	scratch_load_b128 v[126:129], off, off offset:640
	v_add_f64_e32 v[162:163], v[162:163], v[166:167]
	v_fmac_f64_e32 v[168:169], v[6:7], v[130:131]
	v_add_f64_e32 v[160:161], v[172:173], v[170:171]
	;; [unrolled: 18-line block ×3, first 2 shown]
	v_fma_f64 v[170:171], v[4:5], v[142:143], -v[144:145]
	ds_load_b128 v[4:7], v2 offset:1264
	s_wait_loadcnt_dscnt 0xa01
	v_mul_f64_e32 v[168:169], v[158:159], v[156:157]
	v_mul_f64_e32 v[156:157], v[160:161], v[156:157]
	scratch_load_b128 v[142:145], off, off offset:688
	v_add_f64_e32 v[162:163], v[162:163], v[166:167]
	v_add_f64_e32 v[172:173], v[152:153], v[150:151]
	s_wait_loadcnt_dscnt 0xa00
	v_mul_f64_e32 v[166:167], v[4:5], v[140:141]
	v_mul_f64_e32 v[140:141], v[6:7], v[140:141]
	v_fmac_f64_e32 v[168:169], v[160:161], v[154:155]
	v_fma_f64 v[158:159], v[158:159], v[154:155], -v[156:157]
	ds_load_b128 v[150:153], v2 offset:1280
	scratch_load_b128 v[154:157], off, off offset:704
	v_add_f64_e32 v[162:163], v[162:163], v[164:165]
	v_add_f64_e32 v[160:161], v[172:173], v[170:171]
	v_fmac_f64_e32 v[166:167], v[6:7], v[138:139]
	v_fma_f64 v[170:171], v[4:5], v[138:139], -v[140:141]
	ds_load_b128 v[4:7], v2 offset:1296
	s_wait_loadcnt_dscnt 0xa01
	v_mul_f64_e32 v[164:165], v[150:151], v[10:11]
	v_mul_f64_e32 v[10:11], v[152:153], v[10:11]
	scratch_load_b128 v[138:141], off, off offset:720
	v_add_f64_e32 v[162:163], v[162:163], v[168:169]
	s_wait_loadcnt_dscnt 0xa00
	v_mul_f64_e32 v[168:169], v[4:5], v[14:15]
	v_add_f64_e32 v[172:173], v[160:161], v[158:159]
	v_mul_f64_e32 v[14:15], v[6:7], v[14:15]
	ds_load_b128 v[158:161], v2 offset:1312
	v_fmac_f64_e32 v[164:165], v[152:153], v[8:9]
	v_fma_f64 v[8:9], v[150:151], v[8:9], -v[10:11]
	s_wait_loadcnt_dscnt 0x900
	v_mul_f64_e32 v[152:153], v[158:159], v[18:19]
	v_mul_f64_e32 v[18:19], v[160:161], v[18:19]
	v_add_f64_e32 v[150:151], v[162:163], v[166:167]
	v_fmac_f64_e32 v[168:169], v[6:7], v[12:13]
	v_add_f64_e32 v[10:11], v[172:173], v[170:171]
	v_fma_f64 v[12:13], v[4:5], v[12:13], -v[14:15]
	v_fmac_f64_e32 v[152:153], v[160:161], v[16:17]
	v_fma_f64 v[16:17], v[158:159], v[16:17], -v[18:19]
	v_add_f64_e32 v[150:151], v[150:151], v[164:165]
	v_add_f64_e32 v[14:15], v[10:11], v[8:9]
	ds_load_b128 v[4:7], v2 offset:1328
	ds_load_b128 v[8:11], v2 offset:1344
	s_wait_loadcnt_dscnt 0x801
	v_mul_f64_e32 v[162:163], v[4:5], v[22:23]
	v_mul_f64_e32 v[22:23], v[6:7], v[22:23]
	s_wait_loadcnt_dscnt 0x700
	v_mul_f64_e32 v[18:19], v[8:9], v[26:27]
	v_mul_f64_e32 v[26:27], v[10:11], v[26:27]
	v_add_f64_e32 v[12:13], v[14:15], v[12:13]
	v_add_f64_e32 v[14:15], v[150:151], v[168:169]
	v_fmac_f64_e32 v[162:163], v[6:7], v[20:21]
	v_fma_f64 v[20:21], v[4:5], v[20:21], -v[22:23]
	v_fmac_f64_e32 v[18:19], v[10:11], v[24:25]
	v_fma_f64 v[8:9], v[8:9], v[24:25], -v[26:27]
	v_add_f64_e32 v[16:17], v[12:13], v[16:17]
	v_add_f64_e32 v[22:23], v[14:15], v[152:153]
	ds_load_b128 v[4:7], v2 offset:1360
	ds_load_b128 v[12:15], v2 offset:1376
	s_wait_loadcnt_dscnt 0x601
	v_mul_f64_e32 v[150:151], v[4:5], v[30:31]
	v_mul_f64_e32 v[30:31], v[6:7], v[30:31]
	v_add_f64_e32 v[10:11], v[16:17], v[20:21]
	v_add_f64_e32 v[16:17], v[22:23], v[162:163]
	s_wait_loadcnt_dscnt 0x500
	v_mul_f64_e32 v[20:21], v[12:13], v[128:129]
	v_mul_f64_e32 v[22:23], v[14:15], v[128:129]
	v_fmac_f64_e32 v[150:151], v[6:7], v[28:29]
	v_fma_f64 v[24:25], v[4:5], v[28:29], -v[30:31]
	v_add_f64_e32 v[26:27], v[10:11], v[8:9]
	v_add_f64_e32 v[16:17], v[16:17], v[18:19]
	ds_load_b128 v[4:7], v2 offset:1392
	ds_load_b128 v[8:11], v2 offset:1408
	v_fmac_f64_e32 v[20:21], v[14:15], v[126:127]
	v_fma_f64 v[12:13], v[12:13], v[126:127], -v[22:23]
	s_wait_loadcnt_dscnt 0x401
	v_mul_f64_e32 v[18:19], v[4:5], v[132:133]
	v_mul_f64_e32 v[28:29], v[6:7], v[132:133]
	s_wait_loadcnt_dscnt 0x300
	v_mul_f64_e32 v[22:23], v[8:9], v[136:137]
	v_add_f64_e32 v[14:15], v[26:27], v[24:25]
	v_add_f64_e32 v[16:17], v[16:17], v[150:151]
	v_mul_f64_e32 v[24:25], v[10:11], v[136:137]
	v_fmac_f64_e32 v[18:19], v[6:7], v[130:131]
	v_fma_f64 v[26:27], v[4:5], v[130:131], -v[28:29]
	v_fmac_f64_e32 v[22:23], v[10:11], v[134:135]
	v_add_f64_e32 v[28:29], v[14:15], v[12:13]
	v_add_f64_e32 v[16:17], v[16:17], v[20:21]
	ds_load_b128 v[4:7], v2 offset:1424
	ds_load_b128 v[12:15], v2 offset:1440
	v_fma_f64 v[8:9], v[8:9], v[134:135], -v[24:25]
	s_wait_loadcnt_dscnt 0x201
	v_mul_f64_e32 v[20:21], v[4:5], v[144:145]
	v_mul_f64_e32 v[30:31], v[6:7], v[144:145]
	s_wait_loadcnt_dscnt 0x100
	v_mul_f64_e32 v[24:25], v[14:15], v[156:157]
	v_add_f64_e32 v[10:11], v[28:29], v[26:27]
	v_add_f64_e32 v[16:17], v[16:17], v[18:19]
	v_mul_f64_e32 v[18:19], v[12:13], v[156:157]
	v_fmac_f64_e32 v[20:21], v[6:7], v[142:143]
	v_fma_f64 v[26:27], v[4:5], v[142:143], -v[30:31]
	ds_load_b128 v[4:7], v2 offset:1456
	v_fma_f64 v[12:13], v[12:13], v[154:155], -v[24:25]
	v_add_f64_e32 v[8:9], v[10:11], v[8:9]
	v_add_f64_e32 v[10:11], v[16:17], v[22:23]
	v_fmac_f64_e32 v[18:19], v[14:15], v[154:155]
	s_wait_loadcnt_dscnt 0x0
	v_mul_f64_e32 v[16:17], v[4:5], v[140:141]
	v_mul_f64_e32 v[22:23], v[6:7], v[140:141]
	v_add_f64_e32 v[8:9], v[8:9], v[26:27]
	v_add_f64_e32 v[10:11], v[10:11], v[20:21]
	s_delay_alu instid0(VALU_DEP_4) | instskip(NEXT) | instid1(VALU_DEP_4)
	v_fmac_f64_e32 v[16:17], v[6:7], v[138:139]
	v_fma_f64 v[4:5], v[4:5], v[138:139], -v[22:23]
	s_delay_alu instid0(VALU_DEP_4) | instskip(NEXT) | instid1(VALU_DEP_4)
	v_add_f64_e32 v[6:7], v[8:9], v[12:13]
	v_add_f64_e32 v[8:9], v[10:11], v[18:19]
	s_delay_alu instid0(VALU_DEP_2) | instskip(NEXT) | instid1(VALU_DEP_2)
	v_add_f64_e32 v[4:5], v[6:7], v[4:5]
	v_add_f64_e32 v[6:7], v[8:9], v[16:17]
	s_delay_alu instid0(VALU_DEP_2) | instskip(NEXT) | instid1(VALU_DEP_2)
	v_add_f64_e64 v[4:5], v[146:147], -v[4:5]
	v_add_f64_e64 v[6:7], v[148:149], -v[6:7]
	scratch_store_b128 off, v[4:7], off offset:320
	s_wait_xcnt 0x0
	v_cmpx_lt_u32_e32 19, v1
	s_cbranch_execz .LBB45_251
; %bb.250:
	scratch_load_b128 v[6:9], off, s40
	v_dual_mov_b32 v3, v2 :: v_dual_mov_b32 v4, v2
	v_mov_b32_e32 v5, v2
	scratch_store_b128 off, v[2:5], off offset:304
	s_wait_loadcnt 0x0
	ds_store_b128 v124, v[6:9]
.LBB45_251:
	s_wait_xcnt 0x0
	s_or_b32 exec_lo, exec_lo, s2
	s_wait_storecnt_dscnt 0x0
	s_barrier_signal -1
	s_barrier_wait -1
	s_clause 0x9
	scratch_load_b128 v[4:7], off, off offset:320
	scratch_load_b128 v[8:11], off, off offset:336
	;; [unrolled: 1-line block ×10, first 2 shown]
	ds_load_b128 v[138:141], v2 offset:1056
	ds_load_b128 v[146:149], v2 offset:1072
	s_clause 0x2
	scratch_load_b128 v[142:145], off, off offset:480
	scratch_load_b128 v[150:153], off, off offset:304
	;; [unrolled: 1-line block ×3, first 2 shown]
	s_mov_b32 s2, exec_lo
	s_wait_loadcnt_dscnt 0xc01
	v_mul_f64_e32 v[158:159], v[140:141], v[6:7]
	v_mul_f64_e32 v[162:163], v[138:139], v[6:7]
	s_wait_loadcnt_dscnt 0xb00
	v_mul_f64_e32 v[164:165], v[146:147], v[10:11]
	v_mul_f64_e32 v[10:11], v[148:149], v[10:11]
	s_delay_alu instid0(VALU_DEP_4) | instskip(NEXT) | instid1(VALU_DEP_4)
	v_fma_f64 v[166:167], v[138:139], v[4:5], -v[158:159]
	v_fmac_f64_e32 v[162:163], v[140:141], v[4:5]
	ds_load_b128 v[4:7], v2 offset:1088
	ds_load_b128 v[138:141], v2 offset:1104
	scratch_load_b128 v[158:161], off, off offset:512
	v_fmac_f64_e32 v[164:165], v[148:149], v[8:9]
	v_fma_f64 v[146:147], v[146:147], v[8:9], -v[10:11]
	scratch_load_b128 v[8:11], off, off offset:528
	s_wait_loadcnt_dscnt 0xc01
	v_mul_f64_e32 v[168:169], v[4:5], v[14:15]
	v_mul_f64_e32 v[14:15], v[6:7], v[14:15]
	v_add_f64_e32 v[148:149], 0, v[166:167]
	v_add_f64_e32 v[162:163], 0, v[162:163]
	s_wait_loadcnt_dscnt 0xb00
	v_mul_f64_e32 v[166:167], v[138:139], v[18:19]
	v_mul_f64_e32 v[18:19], v[140:141], v[18:19]
	v_fmac_f64_e32 v[168:169], v[6:7], v[12:13]
	v_fma_f64 v[170:171], v[4:5], v[12:13], -v[14:15]
	ds_load_b128 v[4:7], v2 offset:1120
	ds_load_b128 v[12:15], v2 offset:1136
	v_add_f64_e32 v[172:173], v[148:149], v[146:147]
	v_add_f64_e32 v[162:163], v[162:163], v[164:165]
	scratch_load_b128 v[146:149], off, off offset:544
	v_fmac_f64_e32 v[166:167], v[140:141], v[16:17]
	v_fma_f64 v[138:139], v[138:139], v[16:17], -v[18:19]
	scratch_load_b128 v[16:19], off, off offset:560
	s_wait_loadcnt_dscnt 0xc01
	v_mul_f64_e32 v[164:165], v[4:5], v[22:23]
	v_mul_f64_e32 v[22:23], v[6:7], v[22:23]
	v_add_f64_e32 v[140:141], v[172:173], v[170:171]
	v_add_f64_e32 v[162:163], v[162:163], v[168:169]
	s_wait_loadcnt_dscnt 0xb00
	v_mul_f64_e32 v[168:169], v[12:13], v[26:27]
	v_mul_f64_e32 v[26:27], v[14:15], v[26:27]
	v_fmac_f64_e32 v[164:165], v[6:7], v[20:21]
	v_fma_f64 v[170:171], v[4:5], v[20:21], -v[22:23]
	ds_load_b128 v[4:7], v2 offset:1152
	ds_load_b128 v[20:23], v2 offset:1168
	v_add_f64_e32 v[172:173], v[140:141], v[138:139]
	v_add_f64_e32 v[162:163], v[162:163], v[166:167]
	scratch_load_b128 v[138:141], off, off offset:576
	s_wait_loadcnt_dscnt 0xb01
	v_mul_f64_e32 v[166:167], v[4:5], v[30:31]
	v_mul_f64_e32 v[30:31], v[6:7], v[30:31]
	v_fmac_f64_e32 v[168:169], v[14:15], v[24:25]
	v_fma_f64 v[24:25], v[12:13], v[24:25], -v[26:27]
	scratch_load_b128 v[12:15], off, off offset:592
	v_add_f64_e32 v[26:27], v[172:173], v[170:171]
	v_add_f64_e32 v[162:163], v[162:163], v[164:165]
	s_wait_loadcnt_dscnt 0xb00
	v_mul_f64_e32 v[164:165], v[20:21], v[128:129]
	v_mul_f64_e32 v[128:129], v[22:23], v[128:129]
	v_fmac_f64_e32 v[166:167], v[6:7], v[28:29]
	v_fma_f64 v[170:171], v[4:5], v[28:29], -v[30:31]
	v_add_f64_e32 v[172:173], v[26:27], v[24:25]
	v_add_f64_e32 v[162:163], v[162:163], v[168:169]
	ds_load_b128 v[4:7], v2 offset:1184
	ds_load_b128 v[24:27], v2 offset:1200
	scratch_load_b128 v[28:31], off, off offset:608
	v_fmac_f64_e32 v[164:165], v[22:23], v[126:127]
	v_fma_f64 v[126:127], v[20:21], v[126:127], -v[128:129]
	scratch_load_b128 v[20:23], off, off offset:624
	s_wait_loadcnt_dscnt 0xc01
	v_mul_f64_e32 v[168:169], v[4:5], v[132:133]
	v_mul_f64_e32 v[132:133], v[6:7], v[132:133]
	v_add_f64_e32 v[128:129], v[172:173], v[170:171]
	v_add_f64_e32 v[162:163], v[162:163], v[166:167]
	s_wait_loadcnt_dscnt 0xb00
	v_mul_f64_e32 v[166:167], v[24:25], v[136:137]
	v_mul_f64_e32 v[136:137], v[26:27], v[136:137]
	v_fmac_f64_e32 v[168:169], v[6:7], v[130:131]
	v_fma_f64 v[170:171], v[4:5], v[130:131], -v[132:133]
	v_add_f64_e32 v[172:173], v[128:129], v[126:127]
	v_add_f64_e32 v[162:163], v[162:163], v[164:165]
	ds_load_b128 v[4:7], v2 offset:1216
	ds_load_b128 v[126:129], v2 offset:1232
	scratch_load_b128 v[130:133], off, off offset:640
	v_fmac_f64_e32 v[166:167], v[26:27], v[134:135]
	v_fma_f64 v[134:135], v[24:25], v[134:135], -v[136:137]
	scratch_load_b128 v[24:27], off, off offset:656
	s_wait_loadcnt_dscnt 0xc01
	v_mul_f64_e32 v[164:165], v[4:5], v[144:145]
	v_mul_f64_e32 v[144:145], v[6:7], v[144:145]
	;; [unrolled: 18-line block ×4, first 2 shown]
	v_add_f64_e32 v[136:137], v[172:173], v[170:171]
	v_add_f64_e32 v[162:163], v[162:163], v[166:167]
	s_wait_loadcnt_dscnt 0xa00
	v_mul_f64_e32 v[166:167], v[154:155], v[18:19]
	v_mul_f64_e32 v[18:19], v[156:157], v[18:19]
	v_fmac_f64_e32 v[168:169], v[6:7], v[146:147]
	v_fma_f64 v[146:147], v[4:5], v[146:147], -v[148:149]
	v_add_f64_e32 v[148:149], v[136:137], v[134:135]
	v_add_f64_e32 v[162:163], v[162:163], v[164:165]
	ds_load_b128 v[4:7], v2 offset:1312
	ds_load_b128 v[134:137], v2 offset:1328
	v_fmac_f64_e32 v[166:167], v[156:157], v[16:17]
	v_fma_f64 v[16:17], v[154:155], v[16:17], -v[18:19]
	s_wait_loadcnt_dscnt 0x901
	v_mul_f64_e32 v[164:165], v[4:5], v[140:141]
	v_mul_f64_e32 v[140:141], v[6:7], v[140:141]
	s_wait_loadcnt_dscnt 0x800
	v_mul_f64_e32 v[154:155], v[136:137], v[14:15]
	v_add_f64_e32 v[18:19], v[148:149], v[146:147]
	v_add_f64_e32 v[146:147], v[162:163], v[168:169]
	v_mul_f64_e32 v[148:149], v[134:135], v[14:15]
	v_fmac_f64_e32 v[164:165], v[6:7], v[138:139]
	v_fma_f64 v[138:139], v[4:5], v[138:139], -v[140:141]
	v_add_f64_e32 v[18:19], v[18:19], v[16:17]
	v_add_f64_e32 v[140:141], v[146:147], v[166:167]
	ds_load_b128 v[4:7], v2 offset:1344
	ds_load_b128 v[14:17], v2 offset:1360
	v_fmac_f64_e32 v[148:149], v[136:137], v[12:13]
	v_fma_f64 v[12:13], v[134:135], v[12:13], -v[154:155]
	s_wait_loadcnt_dscnt 0x701
	v_mul_f64_e32 v[146:147], v[4:5], v[30:31]
	v_mul_f64_e32 v[30:31], v[6:7], v[30:31]
	s_wait_loadcnt_dscnt 0x600
	v_mul_f64_e32 v[136:137], v[14:15], v[22:23]
	v_mul_f64_e32 v[22:23], v[16:17], v[22:23]
	v_add_f64_e32 v[18:19], v[18:19], v[138:139]
	v_add_f64_e32 v[134:135], v[140:141], v[164:165]
	v_fmac_f64_e32 v[146:147], v[6:7], v[28:29]
	v_fma_f64 v[138:139], v[4:5], v[28:29], -v[30:31]
	ds_load_b128 v[4:7], v2 offset:1376
	ds_load_b128 v[28:31], v2 offset:1392
	v_fmac_f64_e32 v[136:137], v[16:17], v[20:21]
	v_fma_f64 v[14:15], v[14:15], v[20:21], -v[22:23]
	v_add_f64_e32 v[12:13], v[18:19], v[12:13]
	v_add_f64_e32 v[18:19], v[134:135], v[148:149]
	s_wait_loadcnt_dscnt 0x501
	v_mul_f64_e32 v[134:135], v[4:5], v[132:133]
	v_mul_f64_e32 v[132:133], v[6:7], v[132:133]
	s_wait_loadcnt_dscnt 0x400
	v_mul_f64_e32 v[20:21], v[30:31], v[26:27]
	v_add_f64_e32 v[12:13], v[12:13], v[138:139]
	v_add_f64_e32 v[16:17], v[18:19], v[146:147]
	v_mul_f64_e32 v[18:19], v[28:29], v[26:27]
	v_fmac_f64_e32 v[134:135], v[6:7], v[130:131]
	v_fma_f64 v[22:23], v[4:5], v[130:131], -v[132:133]
	v_fma_f64 v[20:21], v[28:29], v[24:25], -v[20:21]
	v_add_f64_e32 v[26:27], v[12:13], v[14:15]
	v_add_f64_e32 v[16:17], v[16:17], v[136:137]
	ds_load_b128 v[4:7], v2 offset:1408
	ds_load_b128 v[12:15], v2 offset:1424
	v_fmac_f64_e32 v[18:19], v[30:31], v[24:25]
	s_wait_loadcnt_dscnt 0x301
	v_mul_f64_e32 v[130:131], v[4:5], v[144:145]
	v_mul_f64_e32 v[132:133], v[6:7], v[144:145]
	s_wait_loadcnt_dscnt 0x200
	v_mul_f64_e32 v[24:25], v[12:13], v[128:129]
	v_add_f64_e32 v[22:23], v[26:27], v[22:23]
	v_add_f64_e32 v[16:17], v[16:17], v[134:135]
	v_mul_f64_e32 v[26:27], v[14:15], v[128:129]
	v_fmac_f64_e32 v[130:131], v[6:7], v[142:143]
	v_fma_f64 v[28:29], v[4:5], v[142:143], -v[132:133]
	v_fmac_f64_e32 v[24:25], v[14:15], v[126:127]
	v_add_f64_e32 v[20:21], v[22:23], v[20:21]
	v_add_f64_e32 v[22:23], v[16:17], v[18:19]
	ds_load_b128 v[4:7], v2 offset:1440
	ds_load_b128 v[16:19], v2 offset:1456
	v_fma_f64 v[12:13], v[12:13], v[126:127], -v[26:27]
	s_wait_loadcnt_dscnt 0x101
	v_mul_f64_e32 v[2:3], v[4:5], v[160:161]
	v_mul_f64_e32 v[30:31], v[6:7], v[160:161]
	v_add_f64_e32 v[14:15], v[20:21], v[28:29]
	v_add_f64_e32 v[20:21], v[22:23], v[130:131]
	s_wait_loadcnt_dscnt 0x0
	v_mul_f64_e32 v[22:23], v[16:17], v[10:11]
	v_mul_f64_e32 v[10:11], v[18:19], v[10:11]
	v_fmac_f64_e32 v[2:3], v[6:7], v[158:159]
	v_fma_f64 v[4:5], v[4:5], v[158:159], -v[30:31]
	v_add_f64_e32 v[6:7], v[14:15], v[12:13]
	v_add_f64_e32 v[12:13], v[20:21], v[24:25]
	v_fmac_f64_e32 v[22:23], v[18:19], v[8:9]
	v_fma_f64 v[8:9], v[16:17], v[8:9], -v[10:11]
	s_delay_alu instid0(VALU_DEP_4) | instskip(NEXT) | instid1(VALU_DEP_4)
	v_add_f64_e32 v[4:5], v[6:7], v[4:5]
	v_add_f64_e32 v[2:3], v[12:13], v[2:3]
	s_delay_alu instid0(VALU_DEP_2) | instskip(NEXT) | instid1(VALU_DEP_2)
	v_add_f64_e32 v[4:5], v[4:5], v[8:9]
	v_add_f64_e32 v[6:7], v[2:3], v[22:23]
	s_delay_alu instid0(VALU_DEP_2) | instskip(NEXT) | instid1(VALU_DEP_2)
	v_add_f64_e64 v[2:3], v[150:151], -v[4:5]
	v_add_f64_e64 v[4:5], v[152:153], -v[6:7]
	scratch_store_b128 off, v[2:5], off offset:304
	s_wait_xcnt 0x0
	v_cmpx_lt_u32_e32 18, v1
	s_cbranch_execz .LBB45_253
; %bb.252:
	scratch_load_b128 v[2:5], off, s38
	v_mov_b32_e32 v6, 0
	s_delay_alu instid0(VALU_DEP_1)
	v_dual_mov_b32 v7, v6 :: v_dual_mov_b32 v8, v6
	v_mov_b32_e32 v9, v6
	scratch_store_b128 off, v[6:9], off offset:288
	s_wait_loadcnt 0x0
	ds_store_b128 v124, v[2:5]
.LBB45_253:
	s_wait_xcnt 0x0
	s_or_b32 exec_lo, exec_lo, s2
	s_wait_storecnt_dscnt 0x0
	s_barrier_signal -1
	s_barrier_wait -1
	s_clause 0x9
	scratch_load_b128 v[4:7], off, off offset:304
	scratch_load_b128 v[8:11], off, off offset:320
	;; [unrolled: 1-line block ×10, first 2 shown]
	v_mov_b32_e32 v2, 0
	s_mov_b32 s2, exec_lo
	ds_load_b128 v[138:141], v2 offset:1040
	s_clause 0x2
	scratch_load_b128 v[142:145], off, off offset:464
	scratch_load_b128 v[146:149], off, off offset:288
	;; [unrolled: 1-line block ×3, first 2 shown]
	s_wait_loadcnt_dscnt 0xc00
	v_mul_f64_e32 v[158:159], v[140:141], v[6:7]
	v_mul_f64_e32 v[162:163], v[138:139], v[6:7]
	ds_load_b128 v[150:153], v2 offset:1056
	v_fma_f64 v[166:167], v[138:139], v[4:5], -v[158:159]
	v_fmac_f64_e32 v[162:163], v[140:141], v[4:5]
	ds_load_b128 v[4:7], v2 offset:1072
	s_wait_loadcnt_dscnt 0xb01
	v_mul_f64_e32 v[164:165], v[150:151], v[10:11]
	v_mul_f64_e32 v[10:11], v[152:153], v[10:11]
	scratch_load_b128 v[138:141], off, off offset:496
	ds_load_b128 v[158:161], v2 offset:1088
	s_wait_loadcnt_dscnt 0xb01
	v_mul_f64_e32 v[168:169], v[4:5], v[14:15]
	v_mul_f64_e32 v[14:15], v[6:7], v[14:15]
	v_add_f64_e32 v[162:163], 0, v[162:163]
	v_fmac_f64_e32 v[164:165], v[152:153], v[8:9]
	v_fma_f64 v[150:151], v[150:151], v[8:9], -v[10:11]
	v_add_f64_e32 v[152:153], 0, v[166:167]
	scratch_load_b128 v[8:11], off, off offset:512
	v_fmac_f64_e32 v[168:169], v[6:7], v[12:13]
	v_fma_f64 v[170:171], v[4:5], v[12:13], -v[14:15]
	ds_load_b128 v[4:7], v2 offset:1104
	s_wait_loadcnt_dscnt 0xb01
	v_mul_f64_e32 v[166:167], v[158:159], v[18:19]
	v_mul_f64_e32 v[18:19], v[160:161], v[18:19]
	scratch_load_b128 v[12:15], off, off offset:528
	v_add_f64_e32 v[162:163], v[162:163], v[164:165]
	v_add_f64_e32 v[172:173], v[152:153], v[150:151]
	ds_load_b128 v[150:153], v2 offset:1120
	s_wait_loadcnt_dscnt 0xb01
	v_mul_f64_e32 v[164:165], v[4:5], v[22:23]
	v_mul_f64_e32 v[22:23], v[6:7], v[22:23]
	v_fmac_f64_e32 v[166:167], v[160:161], v[16:17]
	v_fma_f64 v[158:159], v[158:159], v[16:17], -v[18:19]
	scratch_load_b128 v[16:19], off, off offset:544
	v_add_f64_e32 v[162:163], v[162:163], v[168:169]
	v_add_f64_e32 v[160:161], v[172:173], v[170:171]
	v_fmac_f64_e32 v[164:165], v[6:7], v[20:21]
	v_fma_f64 v[170:171], v[4:5], v[20:21], -v[22:23]
	ds_load_b128 v[4:7], v2 offset:1136
	s_wait_loadcnt_dscnt 0xb01
	v_mul_f64_e32 v[168:169], v[150:151], v[26:27]
	v_mul_f64_e32 v[26:27], v[152:153], v[26:27]
	scratch_load_b128 v[20:23], off, off offset:560
	v_add_f64_e32 v[162:163], v[162:163], v[166:167]
	s_wait_loadcnt_dscnt 0xb00
	v_mul_f64_e32 v[166:167], v[4:5], v[30:31]
	v_add_f64_e32 v[172:173], v[160:161], v[158:159]
	v_mul_f64_e32 v[30:31], v[6:7], v[30:31]
	ds_load_b128 v[158:161], v2 offset:1152
	v_fmac_f64_e32 v[168:169], v[152:153], v[24:25]
	v_fma_f64 v[150:151], v[150:151], v[24:25], -v[26:27]
	scratch_load_b128 v[24:27], off, off offset:576
	v_add_f64_e32 v[162:163], v[162:163], v[164:165]
	v_fmac_f64_e32 v[166:167], v[6:7], v[28:29]
	v_add_f64_e32 v[152:153], v[172:173], v[170:171]
	v_fma_f64 v[170:171], v[4:5], v[28:29], -v[30:31]
	ds_load_b128 v[4:7], v2 offset:1168
	s_wait_loadcnt_dscnt 0xb01
	v_mul_f64_e32 v[164:165], v[158:159], v[128:129]
	v_mul_f64_e32 v[128:129], v[160:161], v[128:129]
	scratch_load_b128 v[28:31], off, off offset:592
	v_add_f64_e32 v[162:163], v[162:163], v[168:169]
	s_wait_loadcnt_dscnt 0xb00
	v_mul_f64_e32 v[168:169], v[4:5], v[132:133]
	v_add_f64_e32 v[172:173], v[152:153], v[150:151]
	v_mul_f64_e32 v[132:133], v[6:7], v[132:133]
	ds_load_b128 v[150:153], v2 offset:1184
	v_fmac_f64_e32 v[164:165], v[160:161], v[126:127]
	v_fma_f64 v[158:159], v[158:159], v[126:127], -v[128:129]
	scratch_load_b128 v[126:129], off, off offset:608
	v_add_f64_e32 v[162:163], v[162:163], v[166:167]
	v_fmac_f64_e32 v[168:169], v[6:7], v[130:131]
	v_add_f64_e32 v[160:161], v[172:173], v[170:171]
	;; [unrolled: 18-line block ×3, first 2 shown]
	v_fma_f64 v[170:171], v[4:5], v[142:143], -v[144:145]
	ds_load_b128 v[4:7], v2 offset:1232
	s_wait_loadcnt_dscnt 0xa01
	v_mul_f64_e32 v[168:169], v[158:159], v[156:157]
	v_mul_f64_e32 v[156:157], v[160:161], v[156:157]
	scratch_load_b128 v[142:145], off, off offset:656
	v_add_f64_e32 v[162:163], v[162:163], v[166:167]
	v_add_f64_e32 v[172:173], v[152:153], v[150:151]
	s_wait_loadcnt_dscnt 0xa00
	v_mul_f64_e32 v[166:167], v[4:5], v[140:141]
	v_mul_f64_e32 v[140:141], v[6:7], v[140:141]
	v_fmac_f64_e32 v[168:169], v[160:161], v[154:155]
	v_fma_f64 v[158:159], v[158:159], v[154:155], -v[156:157]
	ds_load_b128 v[150:153], v2 offset:1248
	scratch_load_b128 v[154:157], off, off offset:672
	v_add_f64_e32 v[162:163], v[162:163], v[164:165]
	v_add_f64_e32 v[160:161], v[172:173], v[170:171]
	v_fmac_f64_e32 v[166:167], v[6:7], v[138:139]
	v_fma_f64 v[170:171], v[4:5], v[138:139], -v[140:141]
	ds_load_b128 v[4:7], v2 offset:1264
	s_wait_loadcnt_dscnt 0xa01
	v_mul_f64_e32 v[164:165], v[150:151], v[10:11]
	v_mul_f64_e32 v[10:11], v[152:153], v[10:11]
	scratch_load_b128 v[138:141], off, off offset:688
	v_add_f64_e32 v[162:163], v[162:163], v[168:169]
	s_wait_loadcnt_dscnt 0xa00
	v_mul_f64_e32 v[168:169], v[4:5], v[14:15]
	v_add_f64_e32 v[172:173], v[160:161], v[158:159]
	v_mul_f64_e32 v[14:15], v[6:7], v[14:15]
	ds_load_b128 v[158:161], v2 offset:1280
	v_fmac_f64_e32 v[164:165], v[152:153], v[8:9]
	v_fma_f64 v[150:151], v[150:151], v[8:9], -v[10:11]
	scratch_load_b128 v[8:11], off, off offset:704
	v_add_f64_e32 v[162:163], v[162:163], v[166:167]
	v_fmac_f64_e32 v[168:169], v[6:7], v[12:13]
	v_add_f64_e32 v[152:153], v[172:173], v[170:171]
	v_fma_f64 v[170:171], v[4:5], v[12:13], -v[14:15]
	ds_load_b128 v[4:7], v2 offset:1296
	s_wait_loadcnt_dscnt 0xa01
	v_mul_f64_e32 v[166:167], v[158:159], v[18:19]
	v_mul_f64_e32 v[18:19], v[160:161], v[18:19]
	scratch_load_b128 v[12:15], off, off offset:720
	v_add_f64_e32 v[162:163], v[162:163], v[164:165]
	s_wait_loadcnt_dscnt 0xa00
	v_mul_f64_e32 v[164:165], v[4:5], v[22:23]
	v_add_f64_e32 v[172:173], v[152:153], v[150:151]
	v_mul_f64_e32 v[22:23], v[6:7], v[22:23]
	ds_load_b128 v[150:153], v2 offset:1312
	v_fmac_f64_e32 v[166:167], v[160:161], v[16:17]
	v_fma_f64 v[16:17], v[158:159], v[16:17], -v[18:19]
	s_wait_loadcnt_dscnt 0x900
	v_mul_f64_e32 v[160:161], v[150:151], v[26:27]
	v_mul_f64_e32 v[26:27], v[152:153], v[26:27]
	v_add_f64_e32 v[158:159], v[162:163], v[168:169]
	v_fmac_f64_e32 v[164:165], v[6:7], v[20:21]
	v_add_f64_e32 v[18:19], v[172:173], v[170:171]
	v_fma_f64 v[20:21], v[4:5], v[20:21], -v[22:23]
	v_fmac_f64_e32 v[160:161], v[152:153], v[24:25]
	v_fma_f64 v[24:25], v[150:151], v[24:25], -v[26:27]
	v_add_f64_e32 v[158:159], v[158:159], v[166:167]
	v_add_f64_e32 v[22:23], v[18:19], v[16:17]
	ds_load_b128 v[4:7], v2 offset:1328
	ds_load_b128 v[16:19], v2 offset:1344
	s_wait_loadcnt_dscnt 0x801
	v_mul_f64_e32 v[162:163], v[4:5], v[30:31]
	v_mul_f64_e32 v[30:31], v[6:7], v[30:31]
	s_wait_loadcnt_dscnt 0x700
	v_mul_f64_e32 v[26:27], v[16:17], v[128:129]
	v_mul_f64_e32 v[128:129], v[18:19], v[128:129]
	v_add_f64_e32 v[20:21], v[22:23], v[20:21]
	v_add_f64_e32 v[22:23], v[158:159], v[164:165]
	v_fmac_f64_e32 v[162:163], v[6:7], v[28:29]
	v_fma_f64 v[28:29], v[4:5], v[28:29], -v[30:31]
	v_fmac_f64_e32 v[26:27], v[18:19], v[126:127]
	v_fma_f64 v[16:17], v[16:17], v[126:127], -v[128:129]
	v_add_f64_e32 v[24:25], v[20:21], v[24:25]
	v_add_f64_e32 v[30:31], v[22:23], v[160:161]
	ds_load_b128 v[4:7], v2 offset:1360
	ds_load_b128 v[20:23], v2 offset:1376
	s_wait_loadcnt_dscnt 0x601
	v_mul_f64_e32 v[150:151], v[4:5], v[132:133]
	v_mul_f64_e32 v[132:133], v[6:7], v[132:133]
	v_add_f64_e32 v[18:19], v[24:25], v[28:29]
	v_add_f64_e32 v[24:25], v[30:31], v[162:163]
	s_wait_loadcnt_dscnt 0x500
	v_mul_f64_e32 v[28:29], v[20:21], v[136:137]
	v_mul_f64_e32 v[30:31], v[22:23], v[136:137]
	v_fmac_f64_e32 v[150:151], v[6:7], v[130:131]
	v_fma_f64 v[126:127], v[4:5], v[130:131], -v[132:133]
	v_add_f64_e32 v[128:129], v[18:19], v[16:17]
	v_add_f64_e32 v[24:25], v[24:25], v[26:27]
	ds_load_b128 v[4:7], v2 offset:1392
	ds_load_b128 v[16:19], v2 offset:1408
	v_fmac_f64_e32 v[28:29], v[22:23], v[134:135]
	v_fma_f64 v[20:21], v[20:21], v[134:135], -v[30:31]
	s_wait_loadcnt_dscnt 0x401
	v_mul_f64_e32 v[26:27], v[4:5], v[144:145]
	v_mul_f64_e32 v[130:131], v[6:7], v[144:145]
	s_wait_loadcnt_dscnt 0x300
	v_mul_f64_e32 v[30:31], v[16:17], v[156:157]
	v_add_f64_e32 v[22:23], v[128:129], v[126:127]
	v_add_f64_e32 v[24:25], v[24:25], v[150:151]
	v_mul_f64_e32 v[126:127], v[18:19], v[156:157]
	v_fmac_f64_e32 v[26:27], v[6:7], v[142:143]
	v_fma_f64 v[128:129], v[4:5], v[142:143], -v[130:131]
	v_fmac_f64_e32 v[30:31], v[18:19], v[154:155]
	v_add_f64_e32 v[130:131], v[22:23], v[20:21]
	v_add_f64_e32 v[24:25], v[24:25], v[28:29]
	ds_load_b128 v[4:7], v2 offset:1424
	ds_load_b128 v[20:23], v2 offset:1440
	v_fma_f64 v[16:17], v[16:17], v[154:155], -v[126:127]
	s_wait_loadcnt_dscnt 0x201
	v_mul_f64_e32 v[28:29], v[4:5], v[140:141]
	v_mul_f64_e32 v[132:133], v[6:7], v[140:141]
	v_add_f64_e32 v[18:19], v[130:131], v[128:129]
	v_add_f64_e32 v[24:25], v[24:25], v[26:27]
	s_wait_loadcnt_dscnt 0x100
	v_mul_f64_e32 v[26:27], v[20:21], v[10:11]
	v_mul_f64_e32 v[10:11], v[22:23], v[10:11]
	v_fmac_f64_e32 v[28:29], v[6:7], v[138:139]
	v_fma_f64 v[126:127], v[4:5], v[138:139], -v[132:133]
	ds_load_b128 v[4:7], v2 offset:1456
	v_add_f64_e32 v[16:17], v[18:19], v[16:17]
	v_add_f64_e32 v[18:19], v[24:25], v[30:31]
	v_fmac_f64_e32 v[26:27], v[22:23], v[8:9]
	v_fma_f64 v[8:9], v[20:21], v[8:9], -v[10:11]
	s_wait_loadcnt_dscnt 0x0
	v_mul_f64_e32 v[24:25], v[4:5], v[14:15]
	v_mul_f64_e32 v[14:15], v[6:7], v[14:15]
	v_add_f64_e32 v[10:11], v[16:17], v[126:127]
	v_add_f64_e32 v[16:17], v[18:19], v[28:29]
	s_delay_alu instid0(VALU_DEP_4) | instskip(NEXT) | instid1(VALU_DEP_4)
	v_fmac_f64_e32 v[24:25], v[6:7], v[12:13]
	v_fma_f64 v[4:5], v[4:5], v[12:13], -v[14:15]
	s_delay_alu instid0(VALU_DEP_4) | instskip(NEXT) | instid1(VALU_DEP_4)
	v_add_f64_e32 v[6:7], v[10:11], v[8:9]
	v_add_f64_e32 v[8:9], v[16:17], v[26:27]
	s_delay_alu instid0(VALU_DEP_2) | instskip(NEXT) | instid1(VALU_DEP_2)
	v_add_f64_e32 v[4:5], v[6:7], v[4:5]
	v_add_f64_e32 v[6:7], v[8:9], v[24:25]
	s_delay_alu instid0(VALU_DEP_2) | instskip(NEXT) | instid1(VALU_DEP_2)
	v_add_f64_e64 v[4:5], v[146:147], -v[4:5]
	v_add_f64_e64 v[6:7], v[148:149], -v[6:7]
	scratch_store_b128 off, v[4:7], off offset:288
	s_wait_xcnt 0x0
	v_cmpx_lt_u32_e32 17, v1
	s_cbranch_execz .LBB45_255
; %bb.254:
	scratch_load_b128 v[6:9], off, s36
	v_dual_mov_b32 v3, v2 :: v_dual_mov_b32 v4, v2
	v_mov_b32_e32 v5, v2
	scratch_store_b128 off, v[2:5], off offset:272
	s_wait_loadcnt 0x0
	ds_store_b128 v124, v[6:9]
.LBB45_255:
	s_wait_xcnt 0x0
	s_or_b32 exec_lo, exec_lo, s2
	s_wait_storecnt_dscnt 0x0
	s_barrier_signal -1
	s_barrier_wait -1
	s_clause 0x9
	scratch_load_b128 v[4:7], off, off offset:288
	scratch_load_b128 v[8:11], off, off offset:304
	;; [unrolled: 1-line block ×10, first 2 shown]
	ds_load_b128 v[138:141], v2 offset:1024
	ds_load_b128 v[146:149], v2 offset:1040
	s_clause 0x2
	scratch_load_b128 v[142:145], off, off offset:448
	scratch_load_b128 v[150:153], off, off offset:272
	;; [unrolled: 1-line block ×3, first 2 shown]
	s_mov_b32 s2, exec_lo
	s_wait_loadcnt_dscnt 0xc01
	v_mul_f64_e32 v[158:159], v[140:141], v[6:7]
	v_mul_f64_e32 v[162:163], v[138:139], v[6:7]
	s_wait_loadcnt_dscnt 0xb00
	v_mul_f64_e32 v[164:165], v[146:147], v[10:11]
	v_mul_f64_e32 v[10:11], v[148:149], v[10:11]
	s_delay_alu instid0(VALU_DEP_4) | instskip(NEXT) | instid1(VALU_DEP_4)
	v_fma_f64 v[166:167], v[138:139], v[4:5], -v[158:159]
	v_fmac_f64_e32 v[162:163], v[140:141], v[4:5]
	ds_load_b128 v[4:7], v2 offset:1056
	ds_load_b128 v[138:141], v2 offset:1072
	scratch_load_b128 v[158:161], off, off offset:480
	v_fmac_f64_e32 v[164:165], v[148:149], v[8:9]
	v_fma_f64 v[146:147], v[146:147], v[8:9], -v[10:11]
	scratch_load_b128 v[8:11], off, off offset:496
	s_wait_loadcnt_dscnt 0xc01
	v_mul_f64_e32 v[168:169], v[4:5], v[14:15]
	v_mul_f64_e32 v[14:15], v[6:7], v[14:15]
	v_add_f64_e32 v[148:149], 0, v[166:167]
	v_add_f64_e32 v[162:163], 0, v[162:163]
	s_wait_loadcnt_dscnt 0xb00
	v_mul_f64_e32 v[166:167], v[138:139], v[18:19]
	v_mul_f64_e32 v[18:19], v[140:141], v[18:19]
	v_fmac_f64_e32 v[168:169], v[6:7], v[12:13]
	v_fma_f64 v[170:171], v[4:5], v[12:13], -v[14:15]
	ds_load_b128 v[4:7], v2 offset:1088
	ds_load_b128 v[12:15], v2 offset:1104
	v_add_f64_e32 v[172:173], v[148:149], v[146:147]
	v_add_f64_e32 v[162:163], v[162:163], v[164:165]
	scratch_load_b128 v[146:149], off, off offset:512
	v_fmac_f64_e32 v[166:167], v[140:141], v[16:17]
	v_fma_f64 v[138:139], v[138:139], v[16:17], -v[18:19]
	scratch_load_b128 v[16:19], off, off offset:528
	s_wait_loadcnt_dscnt 0xc01
	v_mul_f64_e32 v[164:165], v[4:5], v[22:23]
	v_mul_f64_e32 v[22:23], v[6:7], v[22:23]
	v_add_f64_e32 v[140:141], v[172:173], v[170:171]
	v_add_f64_e32 v[162:163], v[162:163], v[168:169]
	s_wait_loadcnt_dscnt 0xb00
	v_mul_f64_e32 v[168:169], v[12:13], v[26:27]
	v_mul_f64_e32 v[26:27], v[14:15], v[26:27]
	v_fmac_f64_e32 v[164:165], v[6:7], v[20:21]
	v_fma_f64 v[170:171], v[4:5], v[20:21], -v[22:23]
	ds_load_b128 v[4:7], v2 offset:1120
	ds_load_b128 v[20:23], v2 offset:1136
	v_add_f64_e32 v[172:173], v[140:141], v[138:139]
	v_add_f64_e32 v[162:163], v[162:163], v[166:167]
	scratch_load_b128 v[138:141], off, off offset:544
	s_wait_loadcnt_dscnt 0xb01
	v_mul_f64_e32 v[166:167], v[4:5], v[30:31]
	v_mul_f64_e32 v[30:31], v[6:7], v[30:31]
	v_fmac_f64_e32 v[168:169], v[14:15], v[24:25]
	v_fma_f64 v[24:25], v[12:13], v[24:25], -v[26:27]
	scratch_load_b128 v[12:15], off, off offset:560
	v_add_f64_e32 v[26:27], v[172:173], v[170:171]
	v_add_f64_e32 v[162:163], v[162:163], v[164:165]
	s_wait_loadcnt_dscnt 0xb00
	v_mul_f64_e32 v[164:165], v[20:21], v[128:129]
	v_mul_f64_e32 v[128:129], v[22:23], v[128:129]
	v_fmac_f64_e32 v[166:167], v[6:7], v[28:29]
	v_fma_f64 v[170:171], v[4:5], v[28:29], -v[30:31]
	v_add_f64_e32 v[172:173], v[26:27], v[24:25]
	v_add_f64_e32 v[162:163], v[162:163], v[168:169]
	ds_load_b128 v[4:7], v2 offset:1152
	ds_load_b128 v[24:27], v2 offset:1168
	scratch_load_b128 v[28:31], off, off offset:576
	v_fmac_f64_e32 v[164:165], v[22:23], v[126:127]
	v_fma_f64 v[126:127], v[20:21], v[126:127], -v[128:129]
	scratch_load_b128 v[20:23], off, off offset:592
	s_wait_loadcnt_dscnt 0xc01
	v_mul_f64_e32 v[168:169], v[4:5], v[132:133]
	v_mul_f64_e32 v[132:133], v[6:7], v[132:133]
	v_add_f64_e32 v[128:129], v[172:173], v[170:171]
	v_add_f64_e32 v[162:163], v[162:163], v[166:167]
	s_wait_loadcnt_dscnt 0xb00
	v_mul_f64_e32 v[166:167], v[24:25], v[136:137]
	v_mul_f64_e32 v[136:137], v[26:27], v[136:137]
	v_fmac_f64_e32 v[168:169], v[6:7], v[130:131]
	v_fma_f64 v[170:171], v[4:5], v[130:131], -v[132:133]
	v_add_f64_e32 v[172:173], v[128:129], v[126:127]
	v_add_f64_e32 v[162:163], v[162:163], v[164:165]
	ds_load_b128 v[4:7], v2 offset:1184
	ds_load_b128 v[126:129], v2 offset:1200
	scratch_load_b128 v[130:133], off, off offset:608
	v_fmac_f64_e32 v[166:167], v[26:27], v[134:135]
	v_fma_f64 v[134:135], v[24:25], v[134:135], -v[136:137]
	scratch_load_b128 v[24:27], off, off offset:624
	s_wait_loadcnt_dscnt 0xc01
	v_mul_f64_e32 v[164:165], v[4:5], v[144:145]
	v_mul_f64_e32 v[144:145], v[6:7], v[144:145]
	v_add_f64_e32 v[136:137], v[172:173], v[170:171]
	v_add_f64_e32 v[162:163], v[162:163], v[168:169]
	s_wait_loadcnt_dscnt 0xa00
	v_mul_f64_e32 v[168:169], v[126:127], v[156:157]
	v_mul_f64_e32 v[156:157], v[128:129], v[156:157]
	v_fmac_f64_e32 v[164:165], v[6:7], v[142:143]
	v_fma_f64 v[170:171], v[4:5], v[142:143], -v[144:145]
	v_add_f64_e32 v[172:173], v[136:137], v[134:135]
	v_add_f64_e32 v[162:163], v[162:163], v[166:167]
	ds_load_b128 v[4:7], v2 offset:1216
	ds_load_b128 v[134:137], v2 offset:1232
	scratch_load_b128 v[142:145], off, off offset:640
	v_fmac_f64_e32 v[168:169], v[128:129], v[154:155]
	v_fma_f64 v[154:155], v[126:127], v[154:155], -v[156:157]
	scratch_load_b128 v[126:129], off, off offset:656
	s_wait_loadcnt_dscnt 0xb01
	v_mul_f64_e32 v[166:167], v[4:5], v[160:161]
	v_mul_f64_e32 v[160:161], v[6:7], v[160:161]
	v_add_f64_e32 v[156:157], v[172:173], v[170:171]
	v_add_f64_e32 v[162:163], v[162:163], v[164:165]
	s_wait_loadcnt_dscnt 0xa00
	v_mul_f64_e32 v[164:165], v[134:135], v[10:11]
	v_mul_f64_e32 v[10:11], v[136:137], v[10:11]
	v_fmac_f64_e32 v[166:167], v[6:7], v[158:159]
	v_fma_f64 v[170:171], v[4:5], v[158:159], -v[160:161]
	v_add_f64_e32 v[172:173], v[156:157], v[154:155]
	v_add_f64_e32 v[162:163], v[162:163], v[168:169]
	ds_load_b128 v[4:7], v2 offset:1248
	ds_load_b128 v[154:157], v2 offset:1264
	scratch_load_b128 v[158:161], off, off offset:672
	v_fmac_f64_e32 v[164:165], v[136:137], v[8:9]
	v_fma_f64 v[134:135], v[134:135], v[8:9], -v[10:11]
	scratch_load_b128 v[8:11], off, off offset:688
	s_wait_loadcnt_dscnt 0xb01
	v_mul_f64_e32 v[168:169], v[4:5], v[148:149]
	v_mul_f64_e32 v[148:149], v[6:7], v[148:149]
	v_add_f64_e32 v[136:137], v[172:173], v[170:171]
	v_add_f64_e32 v[162:163], v[162:163], v[166:167]
	s_wait_loadcnt_dscnt 0xa00
	v_mul_f64_e32 v[166:167], v[154:155], v[18:19]
	v_mul_f64_e32 v[18:19], v[156:157], v[18:19]
	v_fmac_f64_e32 v[168:169], v[6:7], v[146:147]
	v_fma_f64 v[170:171], v[4:5], v[146:147], -v[148:149]
	v_add_f64_e32 v[172:173], v[136:137], v[134:135]
	v_add_f64_e32 v[162:163], v[162:163], v[164:165]
	ds_load_b128 v[4:7], v2 offset:1280
	ds_load_b128 v[134:137], v2 offset:1296
	scratch_load_b128 v[146:149], off, off offset:704
	v_fmac_f64_e32 v[166:167], v[156:157], v[16:17]
	v_fma_f64 v[154:155], v[154:155], v[16:17], -v[18:19]
	scratch_load_b128 v[16:19], off, off offset:720
	s_wait_loadcnt_dscnt 0xb01
	v_mul_f64_e32 v[164:165], v[4:5], v[140:141]
	v_mul_f64_e32 v[140:141], v[6:7], v[140:141]
	v_add_f64_e32 v[156:157], v[172:173], v[170:171]
	v_add_f64_e32 v[162:163], v[162:163], v[168:169]
	s_wait_loadcnt_dscnt 0xa00
	v_mul_f64_e32 v[168:169], v[134:135], v[14:15]
	v_mul_f64_e32 v[14:15], v[136:137], v[14:15]
	v_fmac_f64_e32 v[164:165], v[6:7], v[138:139]
	v_fma_f64 v[170:171], v[4:5], v[138:139], -v[140:141]
	ds_load_b128 v[4:7], v2 offset:1312
	ds_load_b128 v[138:141], v2 offset:1328
	v_add_f64_e32 v[154:155], v[156:157], v[154:155]
	v_add_f64_e32 v[156:157], v[162:163], v[166:167]
	v_fmac_f64_e32 v[168:169], v[136:137], v[12:13]
	v_fma_f64 v[12:13], v[134:135], v[12:13], -v[14:15]
	s_wait_loadcnt_dscnt 0x901
	v_mul_f64_e32 v[162:163], v[4:5], v[30:31]
	v_mul_f64_e32 v[30:31], v[6:7], v[30:31]
	s_wait_loadcnt_dscnt 0x800
	v_mul_f64_e32 v[136:137], v[138:139], v[22:23]
	v_mul_f64_e32 v[22:23], v[140:141], v[22:23]
	v_add_f64_e32 v[14:15], v[154:155], v[170:171]
	v_add_f64_e32 v[134:135], v[156:157], v[164:165]
	v_fmac_f64_e32 v[162:163], v[6:7], v[28:29]
	v_fma_f64 v[28:29], v[4:5], v[28:29], -v[30:31]
	v_fmac_f64_e32 v[136:137], v[140:141], v[20:21]
	v_fma_f64 v[20:21], v[138:139], v[20:21], -v[22:23]
	v_add_f64_e32 v[30:31], v[14:15], v[12:13]
	v_add_f64_e32 v[134:135], v[134:135], v[168:169]
	ds_load_b128 v[4:7], v2 offset:1344
	ds_load_b128 v[12:15], v2 offset:1360
	s_wait_loadcnt_dscnt 0x701
	v_mul_f64_e32 v[154:155], v[4:5], v[132:133]
	v_mul_f64_e32 v[132:133], v[6:7], v[132:133]
	v_add_f64_e32 v[22:23], v[30:31], v[28:29]
	v_add_f64_e32 v[28:29], v[134:135], v[162:163]
	s_wait_loadcnt_dscnt 0x600
	v_mul_f64_e32 v[30:31], v[12:13], v[26:27]
	v_mul_f64_e32 v[26:27], v[14:15], v[26:27]
	v_fmac_f64_e32 v[154:155], v[6:7], v[130:131]
	v_fma_f64 v[130:131], v[4:5], v[130:131], -v[132:133]
	v_add_f64_e32 v[132:133], v[22:23], v[20:21]
	v_add_f64_e32 v[28:29], v[28:29], v[136:137]
	ds_load_b128 v[4:7], v2 offset:1376
	ds_load_b128 v[20:23], v2 offset:1392
	v_fmac_f64_e32 v[30:31], v[14:15], v[24:25]
	v_fma_f64 v[12:13], v[12:13], v[24:25], -v[26:27]
	s_wait_loadcnt_dscnt 0x501
	v_mul_f64_e32 v[134:135], v[4:5], v[144:145]
	v_mul_f64_e32 v[136:137], v[6:7], v[144:145]
	s_wait_loadcnt_dscnt 0x400
	v_mul_f64_e32 v[26:27], v[20:21], v[128:129]
	v_add_f64_e32 v[14:15], v[132:133], v[130:131]
	v_add_f64_e32 v[24:25], v[28:29], v[154:155]
	v_mul_f64_e32 v[28:29], v[22:23], v[128:129]
	v_fmac_f64_e32 v[134:135], v[6:7], v[142:143]
	v_fma_f64 v[128:129], v[4:5], v[142:143], -v[136:137]
	v_fmac_f64_e32 v[26:27], v[22:23], v[126:127]
	v_add_f64_e32 v[130:131], v[14:15], v[12:13]
	v_add_f64_e32 v[24:25], v[24:25], v[30:31]
	ds_load_b128 v[4:7], v2 offset:1408
	ds_load_b128 v[12:15], v2 offset:1424
	v_fma_f64 v[20:21], v[20:21], v[126:127], -v[28:29]
	s_wait_loadcnt_dscnt 0x301
	v_mul_f64_e32 v[30:31], v[4:5], v[160:161]
	v_mul_f64_e32 v[132:133], v[6:7], v[160:161]
	s_wait_loadcnt_dscnt 0x200
	v_mul_f64_e32 v[28:29], v[12:13], v[10:11]
	v_mul_f64_e32 v[10:11], v[14:15], v[10:11]
	v_add_f64_e32 v[22:23], v[130:131], v[128:129]
	v_add_f64_e32 v[24:25], v[24:25], v[134:135]
	v_fmac_f64_e32 v[30:31], v[6:7], v[158:159]
	v_fma_f64 v[126:127], v[4:5], v[158:159], -v[132:133]
	v_fmac_f64_e32 v[28:29], v[14:15], v[8:9]
	v_fma_f64 v[8:9], v[12:13], v[8:9], -v[10:11]
	v_add_f64_e32 v[128:129], v[22:23], v[20:21]
	v_add_f64_e32 v[24:25], v[24:25], v[26:27]
	ds_load_b128 v[4:7], v2 offset:1440
	ds_load_b128 v[20:23], v2 offset:1456
	s_wait_loadcnt_dscnt 0x101
	v_mul_f64_e32 v[2:3], v[4:5], v[148:149]
	v_mul_f64_e32 v[26:27], v[6:7], v[148:149]
	s_wait_loadcnt_dscnt 0x0
	v_mul_f64_e32 v[14:15], v[20:21], v[18:19]
	v_mul_f64_e32 v[18:19], v[22:23], v[18:19]
	v_add_f64_e32 v[10:11], v[128:129], v[126:127]
	v_add_f64_e32 v[12:13], v[24:25], v[30:31]
	v_fmac_f64_e32 v[2:3], v[6:7], v[146:147]
	v_fma_f64 v[4:5], v[4:5], v[146:147], -v[26:27]
	v_fmac_f64_e32 v[14:15], v[22:23], v[16:17]
	v_add_f64_e32 v[6:7], v[10:11], v[8:9]
	v_add_f64_e32 v[8:9], v[12:13], v[28:29]
	v_fma_f64 v[10:11], v[20:21], v[16:17], -v[18:19]
	s_delay_alu instid0(VALU_DEP_3) | instskip(NEXT) | instid1(VALU_DEP_3)
	v_add_f64_e32 v[4:5], v[6:7], v[4:5]
	v_add_f64_e32 v[2:3], v[8:9], v[2:3]
	s_delay_alu instid0(VALU_DEP_2) | instskip(NEXT) | instid1(VALU_DEP_2)
	v_add_f64_e32 v[4:5], v[4:5], v[10:11]
	v_add_f64_e32 v[6:7], v[2:3], v[14:15]
	s_delay_alu instid0(VALU_DEP_2) | instskip(NEXT) | instid1(VALU_DEP_2)
	v_add_f64_e64 v[2:3], v[150:151], -v[4:5]
	v_add_f64_e64 v[4:5], v[152:153], -v[6:7]
	scratch_store_b128 off, v[2:5], off offset:272
	s_wait_xcnt 0x0
	v_cmpx_lt_u32_e32 16, v1
	s_cbranch_execz .LBB45_257
; %bb.256:
	scratch_load_b128 v[2:5], off, s34
	v_mov_b32_e32 v6, 0
	s_delay_alu instid0(VALU_DEP_1)
	v_dual_mov_b32 v7, v6 :: v_dual_mov_b32 v8, v6
	v_mov_b32_e32 v9, v6
	scratch_store_b128 off, v[6:9], off offset:256
	s_wait_loadcnt 0x0
	ds_store_b128 v124, v[2:5]
.LBB45_257:
	s_wait_xcnt 0x0
	s_or_b32 exec_lo, exec_lo, s2
	s_wait_storecnt_dscnt 0x0
	s_barrier_signal -1
	s_barrier_wait -1
	s_clause 0x9
	scratch_load_b128 v[4:7], off, off offset:272
	scratch_load_b128 v[8:11], off, off offset:288
	;; [unrolled: 1-line block ×10, first 2 shown]
	v_mov_b32_e32 v2, 0
	s_mov_b32 s2, exec_lo
	ds_load_b128 v[138:141], v2 offset:1008
	s_clause 0x2
	scratch_load_b128 v[142:145], off, off offset:432
	scratch_load_b128 v[146:149], off, off offset:256
	;; [unrolled: 1-line block ×3, first 2 shown]
	s_wait_loadcnt_dscnt 0xc00
	v_mul_f64_e32 v[158:159], v[140:141], v[6:7]
	v_mul_f64_e32 v[162:163], v[138:139], v[6:7]
	ds_load_b128 v[150:153], v2 offset:1024
	v_fma_f64 v[166:167], v[138:139], v[4:5], -v[158:159]
	v_fmac_f64_e32 v[162:163], v[140:141], v[4:5]
	ds_load_b128 v[4:7], v2 offset:1040
	s_wait_loadcnt_dscnt 0xb01
	v_mul_f64_e32 v[164:165], v[150:151], v[10:11]
	v_mul_f64_e32 v[10:11], v[152:153], v[10:11]
	scratch_load_b128 v[138:141], off, off offset:464
	ds_load_b128 v[158:161], v2 offset:1056
	s_wait_loadcnt_dscnt 0xb01
	v_mul_f64_e32 v[168:169], v[4:5], v[14:15]
	v_mul_f64_e32 v[14:15], v[6:7], v[14:15]
	v_add_f64_e32 v[162:163], 0, v[162:163]
	v_fmac_f64_e32 v[164:165], v[152:153], v[8:9]
	v_fma_f64 v[150:151], v[150:151], v[8:9], -v[10:11]
	v_add_f64_e32 v[152:153], 0, v[166:167]
	scratch_load_b128 v[8:11], off, off offset:480
	v_fmac_f64_e32 v[168:169], v[6:7], v[12:13]
	v_fma_f64 v[170:171], v[4:5], v[12:13], -v[14:15]
	ds_load_b128 v[4:7], v2 offset:1072
	s_wait_loadcnt_dscnt 0xb01
	v_mul_f64_e32 v[166:167], v[158:159], v[18:19]
	v_mul_f64_e32 v[18:19], v[160:161], v[18:19]
	scratch_load_b128 v[12:15], off, off offset:496
	v_add_f64_e32 v[162:163], v[162:163], v[164:165]
	v_add_f64_e32 v[172:173], v[152:153], v[150:151]
	ds_load_b128 v[150:153], v2 offset:1088
	s_wait_loadcnt_dscnt 0xb01
	v_mul_f64_e32 v[164:165], v[4:5], v[22:23]
	v_mul_f64_e32 v[22:23], v[6:7], v[22:23]
	v_fmac_f64_e32 v[166:167], v[160:161], v[16:17]
	v_fma_f64 v[158:159], v[158:159], v[16:17], -v[18:19]
	scratch_load_b128 v[16:19], off, off offset:512
	v_add_f64_e32 v[162:163], v[162:163], v[168:169]
	v_add_f64_e32 v[160:161], v[172:173], v[170:171]
	v_fmac_f64_e32 v[164:165], v[6:7], v[20:21]
	v_fma_f64 v[170:171], v[4:5], v[20:21], -v[22:23]
	ds_load_b128 v[4:7], v2 offset:1104
	s_wait_loadcnt_dscnt 0xb01
	v_mul_f64_e32 v[168:169], v[150:151], v[26:27]
	v_mul_f64_e32 v[26:27], v[152:153], v[26:27]
	scratch_load_b128 v[20:23], off, off offset:528
	v_add_f64_e32 v[162:163], v[162:163], v[166:167]
	s_wait_loadcnt_dscnt 0xb00
	v_mul_f64_e32 v[166:167], v[4:5], v[30:31]
	v_add_f64_e32 v[172:173], v[160:161], v[158:159]
	v_mul_f64_e32 v[30:31], v[6:7], v[30:31]
	ds_load_b128 v[158:161], v2 offset:1120
	v_fmac_f64_e32 v[168:169], v[152:153], v[24:25]
	v_fma_f64 v[150:151], v[150:151], v[24:25], -v[26:27]
	scratch_load_b128 v[24:27], off, off offset:544
	v_add_f64_e32 v[162:163], v[162:163], v[164:165]
	v_fmac_f64_e32 v[166:167], v[6:7], v[28:29]
	v_add_f64_e32 v[152:153], v[172:173], v[170:171]
	v_fma_f64 v[170:171], v[4:5], v[28:29], -v[30:31]
	ds_load_b128 v[4:7], v2 offset:1136
	s_wait_loadcnt_dscnt 0xb01
	v_mul_f64_e32 v[164:165], v[158:159], v[128:129]
	v_mul_f64_e32 v[128:129], v[160:161], v[128:129]
	scratch_load_b128 v[28:31], off, off offset:560
	v_add_f64_e32 v[162:163], v[162:163], v[168:169]
	s_wait_loadcnt_dscnt 0xb00
	v_mul_f64_e32 v[168:169], v[4:5], v[132:133]
	v_add_f64_e32 v[172:173], v[152:153], v[150:151]
	v_mul_f64_e32 v[132:133], v[6:7], v[132:133]
	ds_load_b128 v[150:153], v2 offset:1152
	v_fmac_f64_e32 v[164:165], v[160:161], v[126:127]
	v_fma_f64 v[158:159], v[158:159], v[126:127], -v[128:129]
	scratch_load_b128 v[126:129], off, off offset:576
	v_add_f64_e32 v[162:163], v[162:163], v[166:167]
	v_fmac_f64_e32 v[168:169], v[6:7], v[130:131]
	v_add_f64_e32 v[160:161], v[172:173], v[170:171]
	;; [unrolled: 18-line block ×3, first 2 shown]
	v_fma_f64 v[170:171], v[4:5], v[142:143], -v[144:145]
	ds_load_b128 v[4:7], v2 offset:1200
	s_wait_loadcnt_dscnt 0xa01
	v_mul_f64_e32 v[168:169], v[158:159], v[156:157]
	v_mul_f64_e32 v[156:157], v[160:161], v[156:157]
	scratch_load_b128 v[142:145], off, off offset:624
	v_add_f64_e32 v[162:163], v[162:163], v[166:167]
	v_add_f64_e32 v[172:173], v[152:153], v[150:151]
	s_wait_loadcnt_dscnt 0xa00
	v_mul_f64_e32 v[166:167], v[4:5], v[140:141]
	v_mul_f64_e32 v[140:141], v[6:7], v[140:141]
	v_fmac_f64_e32 v[168:169], v[160:161], v[154:155]
	v_fma_f64 v[158:159], v[158:159], v[154:155], -v[156:157]
	ds_load_b128 v[150:153], v2 offset:1216
	scratch_load_b128 v[154:157], off, off offset:640
	v_add_f64_e32 v[162:163], v[162:163], v[164:165]
	v_add_f64_e32 v[160:161], v[172:173], v[170:171]
	v_fmac_f64_e32 v[166:167], v[6:7], v[138:139]
	v_fma_f64 v[170:171], v[4:5], v[138:139], -v[140:141]
	ds_load_b128 v[4:7], v2 offset:1232
	s_wait_loadcnt_dscnt 0xa01
	v_mul_f64_e32 v[164:165], v[150:151], v[10:11]
	v_mul_f64_e32 v[10:11], v[152:153], v[10:11]
	scratch_load_b128 v[138:141], off, off offset:656
	v_add_f64_e32 v[162:163], v[162:163], v[168:169]
	s_wait_loadcnt_dscnt 0xa00
	v_mul_f64_e32 v[168:169], v[4:5], v[14:15]
	v_add_f64_e32 v[172:173], v[160:161], v[158:159]
	v_mul_f64_e32 v[14:15], v[6:7], v[14:15]
	ds_load_b128 v[158:161], v2 offset:1248
	v_fmac_f64_e32 v[164:165], v[152:153], v[8:9]
	v_fma_f64 v[150:151], v[150:151], v[8:9], -v[10:11]
	scratch_load_b128 v[8:11], off, off offset:672
	v_add_f64_e32 v[162:163], v[162:163], v[166:167]
	v_fmac_f64_e32 v[168:169], v[6:7], v[12:13]
	v_add_f64_e32 v[152:153], v[172:173], v[170:171]
	v_fma_f64 v[170:171], v[4:5], v[12:13], -v[14:15]
	ds_load_b128 v[4:7], v2 offset:1264
	s_wait_loadcnt_dscnt 0xa01
	v_mul_f64_e32 v[166:167], v[158:159], v[18:19]
	v_mul_f64_e32 v[18:19], v[160:161], v[18:19]
	scratch_load_b128 v[12:15], off, off offset:688
	v_add_f64_e32 v[162:163], v[162:163], v[164:165]
	s_wait_loadcnt_dscnt 0xa00
	v_mul_f64_e32 v[164:165], v[4:5], v[22:23]
	v_add_f64_e32 v[172:173], v[152:153], v[150:151]
	v_mul_f64_e32 v[22:23], v[6:7], v[22:23]
	ds_load_b128 v[150:153], v2 offset:1280
	v_fmac_f64_e32 v[166:167], v[160:161], v[16:17]
	v_fma_f64 v[158:159], v[158:159], v[16:17], -v[18:19]
	scratch_load_b128 v[16:19], off, off offset:704
	v_add_f64_e32 v[162:163], v[162:163], v[168:169]
	v_fmac_f64_e32 v[164:165], v[6:7], v[20:21]
	v_add_f64_e32 v[160:161], v[172:173], v[170:171]
	v_fma_f64 v[170:171], v[4:5], v[20:21], -v[22:23]
	ds_load_b128 v[4:7], v2 offset:1296
	s_wait_loadcnt_dscnt 0xa01
	v_mul_f64_e32 v[168:169], v[150:151], v[26:27]
	v_mul_f64_e32 v[26:27], v[152:153], v[26:27]
	scratch_load_b128 v[20:23], off, off offset:720
	v_add_f64_e32 v[162:163], v[162:163], v[166:167]
	s_wait_loadcnt_dscnt 0xa00
	v_mul_f64_e32 v[166:167], v[4:5], v[30:31]
	v_add_f64_e32 v[172:173], v[160:161], v[158:159]
	v_mul_f64_e32 v[30:31], v[6:7], v[30:31]
	ds_load_b128 v[158:161], v2 offset:1312
	v_fmac_f64_e32 v[168:169], v[152:153], v[24:25]
	v_fma_f64 v[24:25], v[150:151], v[24:25], -v[26:27]
	s_wait_loadcnt_dscnt 0x900
	v_mul_f64_e32 v[152:153], v[158:159], v[128:129]
	v_mul_f64_e32 v[128:129], v[160:161], v[128:129]
	v_add_f64_e32 v[150:151], v[162:163], v[164:165]
	v_fmac_f64_e32 v[166:167], v[6:7], v[28:29]
	v_add_f64_e32 v[26:27], v[172:173], v[170:171]
	v_fma_f64 v[28:29], v[4:5], v[28:29], -v[30:31]
	v_fmac_f64_e32 v[152:153], v[160:161], v[126:127]
	v_fma_f64 v[126:127], v[158:159], v[126:127], -v[128:129]
	v_add_f64_e32 v[150:151], v[150:151], v[168:169]
	v_add_f64_e32 v[30:31], v[26:27], v[24:25]
	ds_load_b128 v[4:7], v2 offset:1328
	ds_load_b128 v[24:27], v2 offset:1344
	s_wait_loadcnt_dscnt 0x801
	v_mul_f64_e32 v[162:163], v[4:5], v[132:133]
	v_mul_f64_e32 v[132:133], v[6:7], v[132:133]
	s_wait_loadcnt_dscnt 0x700
	v_mul_f64_e32 v[128:129], v[24:25], v[136:137]
	v_mul_f64_e32 v[136:137], v[26:27], v[136:137]
	v_add_f64_e32 v[28:29], v[30:31], v[28:29]
	v_add_f64_e32 v[30:31], v[150:151], v[166:167]
	v_fmac_f64_e32 v[162:163], v[6:7], v[130:131]
	v_fma_f64 v[130:131], v[4:5], v[130:131], -v[132:133]
	v_fmac_f64_e32 v[128:129], v[26:27], v[134:135]
	v_fma_f64 v[24:25], v[24:25], v[134:135], -v[136:137]
	v_add_f64_e32 v[126:127], v[28:29], v[126:127]
	v_add_f64_e32 v[132:133], v[30:31], v[152:153]
	ds_load_b128 v[4:7], v2 offset:1360
	ds_load_b128 v[28:31], v2 offset:1376
	s_wait_loadcnt_dscnt 0x601
	v_mul_f64_e32 v[150:151], v[4:5], v[144:145]
	v_mul_f64_e32 v[144:145], v[6:7], v[144:145]
	v_add_f64_e32 v[26:27], v[126:127], v[130:131]
	v_add_f64_e32 v[126:127], v[132:133], v[162:163]
	s_wait_loadcnt_dscnt 0x500
	v_mul_f64_e32 v[130:131], v[28:29], v[156:157]
	v_mul_f64_e32 v[132:133], v[30:31], v[156:157]
	v_fmac_f64_e32 v[150:151], v[6:7], v[142:143]
	v_fma_f64 v[134:135], v[4:5], v[142:143], -v[144:145]
	v_add_f64_e32 v[136:137], v[26:27], v[24:25]
	v_add_f64_e32 v[126:127], v[126:127], v[128:129]
	ds_load_b128 v[4:7], v2 offset:1392
	ds_load_b128 v[24:27], v2 offset:1408
	v_fmac_f64_e32 v[130:131], v[30:31], v[154:155]
	v_fma_f64 v[28:29], v[28:29], v[154:155], -v[132:133]
	s_wait_loadcnt_dscnt 0x401
	v_mul_f64_e32 v[128:129], v[4:5], v[140:141]
	v_mul_f64_e32 v[140:141], v[6:7], v[140:141]
	s_wait_loadcnt_dscnt 0x300
	v_mul_f64_e32 v[132:133], v[24:25], v[10:11]
	v_mul_f64_e32 v[10:11], v[26:27], v[10:11]
	v_add_f64_e32 v[30:31], v[136:137], v[134:135]
	v_add_f64_e32 v[126:127], v[126:127], v[150:151]
	v_fmac_f64_e32 v[128:129], v[6:7], v[138:139]
	v_fma_f64 v[134:135], v[4:5], v[138:139], -v[140:141]
	v_fmac_f64_e32 v[132:133], v[26:27], v[8:9]
	v_fma_f64 v[8:9], v[24:25], v[8:9], -v[10:11]
	v_add_f64_e32 v[136:137], v[30:31], v[28:29]
	v_add_f64_e32 v[126:127], v[126:127], v[130:131]
	ds_load_b128 v[4:7], v2 offset:1424
	ds_load_b128 v[28:31], v2 offset:1440
	s_wait_loadcnt_dscnt 0x201
	v_mul_f64_e32 v[130:131], v[4:5], v[14:15]
	v_mul_f64_e32 v[14:15], v[6:7], v[14:15]
	s_wait_loadcnt_dscnt 0x100
	v_mul_f64_e32 v[26:27], v[28:29], v[18:19]
	v_mul_f64_e32 v[18:19], v[30:31], v[18:19]
	v_add_f64_e32 v[10:11], v[136:137], v[134:135]
	v_add_f64_e32 v[24:25], v[126:127], v[128:129]
	v_fmac_f64_e32 v[130:131], v[6:7], v[12:13]
	v_fma_f64 v[12:13], v[4:5], v[12:13], -v[14:15]
	ds_load_b128 v[4:7], v2 offset:1456
	v_fmac_f64_e32 v[26:27], v[30:31], v[16:17]
	v_fma_f64 v[16:17], v[28:29], v[16:17], -v[18:19]
	v_add_f64_e32 v[8:9], v[10:11], v[8:9]
	v_add_f64_e32 v[10:11], v[24:25], v[132:133]
	s_wait_loadcnt_dscnt 0x0
	v_mul_f64_e32 v[14:15], v[4:5], v[22:23]
	v_mul_f64_e32 v[22:23], v[6:7], v[22:23]
	s_delay_alu instid0(VALU_DEP_4) | instskip(NEXT) | instid1(VALU_DEP_4)
	v_add_f64_e32 v[8:9], v[8:9], v[12:13]
	v_add_f64_e32 v[10:11], v[10:11], v[130:131]
	s_delay_alu instid0(VALU_DEP_4) | instskip(NEXT) | instid1(VALU_DEP_4)
	v_fmac_f64_e32 v[14:15], v[6:7], v[20:21]
	v_fma_f64 v[4:5], v[4:5], v[20:21], -v[22:23]
	s_delay_alu instid0(VALU_DEP_4) | instskip(NEXT) | instid1(VALU_DEP_4)
	v_add_f64_e32 v[6:7], v[8:9], v[16:17]
	v_add_f64_e32 v[8:9], v[10:11], v[26:27]
	s_delay_alu instid0(VALU_DEP_2) | instskip(NEXT) | instid1(VALU_DEP_2)
	v_add_f64_e32 v[4:5], v[6:7], v[4:5]
	v_add_f64_e32 v[6:7], v[8:9], v[14:15]
	s_delay_alu instid0(VALU_DEP_2) | instskip(NEXT) | instid1(VALU_DEP_2)
	v_add_f64_e64 v[4:5], v[146:147], -v[4:5]
	v_add_f64_e64 v[6:7], v[148:149], -v[6:7]
	scratch_store_b128 off, v[4:7], off offset:256
	s_wait_xcnt 0x0
	v_cmpx_lt_u32_e32 15, v1
	s_cbranch_execz .LBB45_259
; %bb.258:
	scratch_load_b128 v[6:9], off, s52
	v_dual_mov_b32 v3, v2 :: v_dual_mov_b32 v4, v2
	v_mov_b32_e32 v5, v2
	scratch_store_b128 off, v[2:5], off offset:240
	s_wait_loadcnt 0x0
	ds_store_b128 v124, v[6:9]
.LBB45_259:
	s_wait_xcnt 0x0
	s_or_b32 exec_lo, exec_lo, s2
	s_wait_storecnt_dscnt 0x0
	s_barrier_signal -1
	s_barrier_wait -1
	s_clause 0x9
	scratch_load_b128 v[4:7], off, off offset:256
	scratch_load_b128 v[8:11], off, off offset:272
	;; [unrolled: 1-line block ×10, first 2 shown]
	ds_load_b128 v[138:141], v2 offset:992
	ds_load_b128 v[146:149], v2 offset:1008
	s_clause 0x2
	scratch_load_b128 v[142:145], off, off offset:416
	scratch_load_b128 v[150:153], off, off offset:240
	;; [unrolled: 1-line block ×3, first 2 shown]
	s_mov_b32 s2, exec_lo
	s_wait_loadcnt_dscnt 0xc01
	v_mul_f64_e32 v[158:159], v[140:141], v[6:7]
	v_mul_f64_e32 v[162:163], v[138:139], v[6:7]
	s_wait_loadcnt_dscnt 0xb00
	v_mul_f64_e32 v[164:165], v[146:147], v[10:11]
	v_mul_f64_e32 v[10:11], v[148:149], v[10:11]
	s_delay_alu instid0(VALU_DEP_4) | instskip(NEXT) | instid1(VALU_DEP_4)
	v_fma_f64 v[166:167], v[138:139], v[4:5], -v[158:159]
	v_fmac_f64_e32 v[162:163], v[140:141], v[4:5]
	ds_load_b128 v[4:7], v2 offset:1024
	ds_load_b128 v[138:141], v2 offset:1040
	scratch_load_b128 v[158:161], off, off offset:448
	v_fmac_f64_e32 v[164:165], v[148:149], v[8:9]
	v_fma_f64 v[146:147], v[146:147], v[8:9], -v[10:11]
	scratch_load_b128 v[8:11], off, off offset:464
	s_wait_loadcnt_dscnt 0xc01
	v_mul_f64_e32 v[168:169], v[4:5], v[14:15]
	v_mul_f64_e32 v[14:15], v[6:7], v[14:15]
	v_add_f64_e32 v[148:149], 0, v[166:167]
	v_add_f64_e32 v[162:163], 0, v[162:163]
	s_wait_loadcnt_dscnt 0xb00
	v_mul_f64_e32 v[166:167], v[138:139], v[18:19]
	v_mul_f64_e32 v[18:19], v[140:141], v[18:19]
	v_fmac_f64_e32 v[168:169], v[6:7], v[12:13]
	v_fma_f64 v[170:171], v[4:5], v[12:13], -v[14:15]
	ds_load_b128 v[4:7], v2 offset:1056
	ds_load_b128 v[12:15], v2 offset:1072
	v_add_f64_e32 v[172:173], v[148:149], v[146:147]
	v_add_f64_e32 v[162:163], v[162:163], v[164:165]
	scratch_load_b128 v[146:149], off, off offset:480
	v_fmac_f64_e32 v[166:167], v[140:141], v[16:17]
	v_fma_f64 v[138:139], v[138:139], v[16:17], -v[18:19]
	scratch_load_b128 v[16:19], off, off offset:496
	s_wait_loadcnt_dscnt 0xc01
	v_mul_f64_e32 v[164:165], v[4:5], v[22:23]
	v_mul_f64_e32 v[22:23], v[6:7], v[22:23]
	v_add_f64_e32 v[140:141], v[172:173], v[170:171]
	v_add_f64_e32 v[162:163], v[162:163], v[168:169]
	s_wait_loadcnt_dscnt 0xb00
	v_mul_f64_e32 v[168:169], v[12:13], v[26:27]
	v_mul_f64_e32 v[26:27], v[14:15], v[26:27]
	v_fmac_f64_e32 v[164:165], v[6:7], v[20:21]
	v_fma_f64 v[170:171], v[4:5], v[20:21], -v[22:23]
	ds_load_b128 v[4:7], v2 offset:1088
	ds_load_b128 v[20:23], v2 offset:1104
	v_add_f64_e32 v[172:173], v[140:141], v[138:139]
	v_add_f64_e32 v[162:163], v[162:163], v[166:167]
	scratch_load_b128 v[138:141], off, off offset:512
	s_wait_loadcnt_dscnt 0xb01
	v_mul_f64_e32 v[166:167], v[4:5], v[30:31]
	v_mul_f64_e32 v[30:31], v[6:7], v[30:31]
	v_fmac_f64_e32 v[168:169], v[14:15], v[24:25]
	v_fma_f64 v[24:25], v[12:13], v[24:25], -v[26:27]
	scratch_load_b128 v[12:15], off, off offset:528
	v_add_f64_e32 v[26:27], v[172:173], v[170:171]
	v_add_f64_e32 v[162:163], v[162:163], v[164:165]
	s_wait_loadcnt_dscnt 0xb00
	v_mul_f64_e32 v[164:165], v[20:21], v[128:129]
	v_mul_f64_e32 v[128:129], v[22:23], v[128:129]
	v_fmac_f64_e32 v[166:167], v[6:7], v[28:29]
	v_fma_f64 v[170:171], v[4:5], v[28:29], -v[30:31]
	v_add_f64_e32 v[172:173], v[26:27], v[24:25]
	v_add_f64_e32 v[162:163], v[162:163], v[168:169]
	ds_load_b128 v[4:7], v2 offset:1120
	ds_load_b128 v[24:27], v2 offset:1136
	scratch_load_b128 v[28:31], off, off offset:544
	v_fmac_f64_e32 v[164:165], v[22:23], v[126:127]
	v_fma_f64 v[126:127], v[20:21], v[126:127], -v[128:129]
	scratch_load_b128 v[20:23], off, off offset:560
	s_wait_loadcnt_dscnt 0xc01
	v_mul_f64_e32 v[168:169], v[4:5], v[132:133]
	v_mul_f64_e32 v[132:133], v[6:7], v[132:133]
	v_add_f64_e32 v[128:129], v[172:173], v[170:171]
	v_add_f64_e32 v[162:163], v[162:163], v[166:167]
	s_wait_loadcnt_dscnt 0xb00
	v_mul_f64_e32 v[166:167], v[24:25], v[136:137]
	v_mul_f64_e32 v[136:137], v[26:27], v[136:137]
	v_fmac_f64_e32 v[168:169], v[6:7], v[130:131]
	v_fma_f64 v[170:171], v[4:5], v[130:131], -v[132:133]
	v_add_f64_e32 v[172:173], v[128:129], v[126:127]
	v_add_f64_e32 v[162:163], v[162:163], v[164:165]
	ds_load_b128 v[4:7], v2 offset:1152
	ds_load_b128 v[126:129], v2 offset:1168
	scratch_load_b128 v[130:133], off, off offset:576
	v_fmac_f64_e32 v[166:167], v[26:27], v[134:135]
	v_fma_f64 v[134:135], v[24:25], v[134:135], -v[136:137]
	scratch_load_b128 v[24:27], off, off offset:592
	s_wait_loadcnt_dscnt 0xc01
	v_mul_f64_e32 v[164:165], v[4:5], v[144:145]
	v_mul_f64_e32 v[144:145], v[6:7], v[144:145]
	;; [unrolled: 18-line block ×5, first 2 shown]
	v_add_f64_e32 v[156:157], v[172:173], v[170:171]
	v_add_f64_e32 v[162:163], v[162:163], v[168:169]
	s_wait_loadcnt_dscnt 0xa00
	v_mul_f64_e32 v[168:169], v[134:135], v[14:15]
	v_mul_f64_e32 v[14:15], v[136:137], v[14:15]
	v_fmac_f64_e32 v[164:165], v[6:7], v[138:139]
	v_fma_f64 v[170:171], v[4:5], v[138:139], -v[140:141]
	ds_load_b128 v[4:7], v2 offset:1280
	ds_load_b128 v[138:141], v2 offset:1296
	v_add_f64_e32 v[172:173], v[156:157], v[154:155]
	v_add_f64_e32 v[162:163], v[162:163], v[166:167]
	scratch_load_b128 v[154:157], off, off offset:704
	v_fmac_f64_e32 v[168:169], v[136:137], v[12:13]
	v_fma_f64 v[134:135], v[134:135], v[12:13], -v[14:15]
	scratch_load_b128 v[12:15], off, off offset:720
	s_wait_loadcnt_dscnt 0xb01
	v_mul_f64_e32 v[166:167], v[4:5], v[30:31]
	v_mul_f64_e32 v[30:31], v[6:7], v[30:31]
	v_add_f64_e32 v[136:137], v[172:173], v[170:171]
	v_add_f64_e32 v[162:163], v[162:163], v[164:165]
	s_wait_loadcnt_dscnt 0xa00
	v_mul_f64_e32 v[164:165], v[138:139], v[22:23]
	v_mul_f64_e32 v[22:23], v[140:141], v[22:23]
	v_fmac_f64_e32 v[166:167], v[6:7], v[28:29]
	v_fma_f64 v[170:171], v[4:5], v[28:29], -v[30:31]
	ds_load_b128 v[4:7], v2 offset:1312
	ds_load_b128 v[28:31], v2 offset:1328
	v_add_f64_e32 v[134:135], v[136:137], v[134:135]
	v_add_f64_e32 v[136:137], v[162:163], v[168:169]
	v_fmac_f64_e32 v[164:165], v[140:141], v[20:21]
	s_wait_loadcnt_dscnt 0x901
	v_mul_f64_e32 v[162:163], v[4:5], v[132:133]
	v_mul_f64_e32 v[132:133], v[6:7], v[132:133]
	v_fma_f64 v[20:21], v[138:139], v[20:21], -v[22:23]
	v_add_f64_e32 v[22:23], v[134:135], v[170:171]
	v_add_f64_e32 v[134:135], v[136:137], v[166:167]
	s_wait_loadcnt_dscnt 0x800
	v_mul_f64_e32 v[136:137], v[28:29], v[26:27]
	v_mul_f64_e32 v[26:27], v[30:31], v[26:27]
	v_fmac_f64_e32 v[162:163], v[6:7], v[130:131]
	v_fma_f64 v[130:131], v[4:5], v[130:131], -v[132:133]
	v_add_f64_e32 v[132:133], v[22:23], v[20:21]
	v_add_f64_e32 v[134:135], v[134:135], v[164:165]
	ds_load_b128 v[4:7], v2 offset:1344
	ds_load_b128 v[20:23], v2 offset:1360
	v_fmac_f64_e32 v[136:137], v[30:31], v[24:25]
	v_fma_f64 v[24:25], v[28:29], v[24:25], -v[26:27]
	s_wait_loadcnt_dscnt 0x701
	v_mul_f64_e32 v[138:139], v[4:5], v[144:145]
	v_mul_f64_e32 v[140:141], v[6:7], v[144:145]
	s_wait_loadcnt_dscnt 0x600
	v_mul_f64_e32 v[30:31], v[20:21], v[128:129]
	v_mul_f64_e32 v[128:129], v[22:23], v[128:129]
	v_add_f64_e32 v[26:27], v[132:133], v[130:131]
	v_add_f64_e32 v[28:29], v[134:135], v[162:163]
	v_fmac_f64_e32 v[138:139], v[6:7], v[142:143]
	v_fma_f64 v[130:131], v[4:5], v[142:143], -v[140:141]
	v_fmac_f64_e32 v[30:31], v[22:23], v[126:127]
	v_fma_f64 v[20:21], v[20:21], v[126:127], -v[128:129]
	v_add_f64_e32 v[132:133], v[26:27], v[24:25]
	v_add_f64_e32 v[28:29], v[28:29], v[136:137]
	ds_load_b128 v[4:7], v2 offset:1376
	ds_load_b128 v[24:27], v2 offset:1392
	s_wait_loadcnt_dscnt 0x501
	v_mul_f64_e32 v[134:135], v[4:5], v[160:161]
	v_mul_f64_e32 v[136:137], v[6:7], v[160:161]
	s_wait_loadcnt_dscnt 0x400
	v_mul_f64_e32 v[126:127], v[24:25], v[10:11]
	v_mul_f64_e32 v[10:11], v[26:27], v[10:11]
	v_add_f64_e32 v[22:23], v[132:133], v[130:131]
	v_add_f64_e32 v[28:29], v[28:29], v[138:139]
	v_fmac_f64_e32 v[134:135], v[6:7], v[158:159]
	v_fma_f64 v[128:129], v[4:5], v[158:159], -v[136:137]
	v_fmac_f64_e32 v[126:127], v[26:27], v[8:9]
	v_fma_f64 v[8:9], v[24:25], v[8:9], -v[10:11]
	v_add_f64_e32 v[130:131], v[22:23], v[20:21]
	v_add_f64_e32 v[28:29], v[28:29], v[30:31]
	ds_load_b128 v[4:7], v2 offset:1408
	ds_load_b128 v[20:23], v2 offset:1424
	s_wait_loadcnt_dscnt 0x301
	v_mul_f64_e32 v[30:31], v[4:5], v[148:149]
	v_mul_f64_e32 v[132:133], v[6:7], v[148:149]
	s_wait_loadcnt_dscnt 0x200
	v_mul_f64_e32 v[26:27], v[20:21], v[18:19]
	v_mul_f64_e32 v[18:19], v[22:23], v[18:19]
	v_add_f64_e32 v[10:11], v[130:131], v[128:129]
	v_add_f64_e32 v[24:25], v[28:29], v[134:135]
	v_fmac_f64_e32 v[30:31], v[6:7], v[146:147]
	v_fma_f64 v[28:29], v[4:5], v[146:147], -v[132:133]
	v_fmac_f64_e32 v[26:27], v[22:23], v[16:17]
	v_fma_f64 v[16:17], v[20:21], v[16:17], -v[18:19]
	v_add_f64_e32 v[128:129], v[10:11], v[8:9]
	v_add_f64_e32 v[24:25], v[24:25], v[126:127]
	ds_load_b128 v[4:7], v2 offset:1440
	ds_load_b128 v[8:11], v2 offset:1456
	s_wait_loadcnt_dscnt 0x101
	v_mul_f64_e32 v[2:3], v[4:5], v[156:157]
	v_mul_f64_e32 v[126:127], v[6:7], v[156:157]
	s_wait_loadcnt_dscnt 0x0
	v_mul_f64_e32 v[22:23], v[8:9], v[14:15]
	v_mul_f64_e32 v[14:15], v[10:11], v[14:15]
	v_add_f64_e32 v[18:19], v[128:129], v[28:29]
	v_add_f64_e32 v[20:21], v[24:25], v[30:31]
	v_fmac_f64_e32 v[2:3], v[6:7], v[154:155]
	v_fma_f64 v[4:5], v[4:5], v[154:155], -v[126:127]
	v_fmac_f64_e32 v[22:23], v[10:11], v[12:13]
	v_fma_f64 v[8:9], v[8:9], v[12:13], -v[14:15]
	v_add_f64_e32 v[6:7], v[18:19], v[16:17]
	v_add_f64_e32 v[16:17], v[20:21], v[26:27]
	s_delay_alu instid0(VALU_DEP_2) | instskip(NEXT) | instid1(VALU_DEP_2)
	v_add_f64_e32 v[4:5], v[6:7], v[4:5]
	v_add_f64_e32 v[2:3], v[16:17], v[2:3]
	s_delay_alu instid0(VALU_DEP_2) | instskip(NEXT) | instid1(VALU_DEP_2)
	;; [unrolled: 3-line block ×3, first 2 shown]
	v_add_f64_e64 v[2:3], v[150:151], -v[4:5]
	v_add_f64_e64 v[4:5], v[152:153], -v[6:7]
	scratch_store_b128 off, v[2:5], off offset:240
	s_wait_xcnt 0x0
	v_cmpx_lt_u32_e32 14, v1
	s_cbranch_execz .LBB45_261
; %bb.260:
	scratch_load_b128 v[2:5], off, s57
	v_mov_b32_e32 v6, 0
	s_delay_alu instid0(VALU_DEP_1)
	v_dual_mov_b32 v7, v6 :: v_dual_mov_b32 v8, v6
	v_mov_b32_e32 v9, v6
	scratch_store_b128 off, v[6:9], off offset:224
	s_wait_loadcnt 0x0
	ds_store_b128 v124, v[2:5]
.LBB45_261:
	s_wait_xcnt 0x0
	s_or_b32 exec_lo, exec_lo, s2
	s_wait_storecnt_dscnt 0x0
	s_barrier_signal -1
	s_barrier_wait -1
	s_clause 0x9
	scratch_load_b128 v[4:7], off, off offset:240
	scratch_load_b128 v[8:11], off, off offset:256
	;; [unrolled: 1-line block ×10, first 2 shown]
	v_mov_b32_e32 v2, 0
	s_mov_b32 s2, exec_lo
	ds_load_b128 v[138:141], v2 offset:976
	s_clause 0x2
	scratch_load_b128 v[142:145], off, off offset:400
	scratch_load_b128 v[146:149], off, off offset:224
	;; [unrolled: 1-line block ×3, first 2 shown]
	s_wait_loadcnt_dscnt 0xc00
	v_mul_f64_e32 v[158:159], v[140:141], v[6:7]
	v_mul_f64_e32 v[162:163], v[138:139], v[6:7]
	ds_load_b128 v[150:153], v2 offset:992
	v_fma_f64 v[166:167], v[138:139], v[4:5], -v[158:159]
	v_fmac_f64_e32 v[162:163], v[140:141], v[4:5]
	ds_load_b128 v[4:7], v2 offset:1008
	s_wait_loadcnt_dscnt 0xb01
	v_mul_f64_e32 v[164:165], v[150:151], v[10:11]
	v_mul_f64_e32 v[10:11], v[152:153], v[10:11]
	scratch_load_b128 v[138:141], off, off offset:432
	ds_load_b128 v[158:161], v2 offset:1024
	s_wait_loadcnt_dscnt 0xb01
	v_mul_f64_e32 v[168:169], v[4:5], v[14:15]
	v_mul_f64_e32 v[14:15], v[6:7], v[14:15]
	v_add_f64_e32 v[162:163], 0, v[162:163]
	v_fmac_f64_e32 v[164:165], v[152:153], v[8:9]
	v_fma_f64 v[150:151], v[150:151], v[8:9], -v[10:11]
	v_add_f64_e32 v[152:153], 0, v[166:167]
	scratch_load_b128 v[8:11], off, off offset:448
	v_fmac_f64_e32 v[168:169], v[6:7], v[12:13]
	v_fma_f64 v[170:171], v[4:5], v[12:13], -v[14:15]
	ds_load_b128 v[4:7], v2 offset:1040
	s_wait_loadcnt_dscnt 0xb01
	v_mul_f64_e32 v[166:167], v[158:159], v[18:19]
	v_mul_f64_e32 v[18:19], v[160:161], v[18:19]
	scratch_load_b128 v[12:15], off, off offset:464
	v_add_f64_e32 v[162:163], v[162:163], v[164:165]
	v_add_f64_e32 v[172:173], v[152:153], v[150:151]
	ds_load_b128 v[150:153], v2 offset:1056
	s_wait_loadcnt_dscnt 0xb01
	v_mul_f64_e32 v[164:165], v[4:5], v[22:23]
	v_mul_f64_e32 v[22:23], v[6:7], v[22:23]
	v_fmac_f64_e32 v[166:167], v[160:161], v[16:17]
	v_fma_f64 v[158:159], v[158:159], v[16:17], -v[18:19]
	scratch_load_b128 v[16:19], off, off offset:480
	v_add_f64_e32 v[162:163], v[162:163], v[168:169]
	v_add_f64_e32 v[160:161], v[172:173], v[170:171]
	v_fmac_f64_e32 v[164:165], v[6:7], v[20:21]
	v_fma_f64 v[170:171], v[4:5], v[20:21], -v[22:23]
	ds_load_b128 v[4:7], v2 offset:1072
	s_wait_loadcnt_dscnt 0xb01
	v_mul_f64_e32 v[168:169], v[150:151], v[26:27]
	v_mul_f64_e32 v[26:27], v[152:153], v[26:27]
	scratch_load_b128 v[20:23], off, off offset:496
	v_add_f64_e32 v[162:163], v[162:163], v[166:167]
	s_wait_loadcnt_dscnt 0xb00
	v_mul_f64_e32 v[166:167], v[4:5], v[30:31]
	v_add_f64_e32 v[172:173], v[160:161], v[158:159]
	v_mul_f64_e32 v[30:31], v[6:7], v[30:31]
	ds_load_b128 v[158:161], v2 offset:1088
	v_fmac_f64_e32 v[168:169], v[152:153], v[24:25]
	v_fma_f64 v[150:151], v[150:151], v[24:25], -v[26:27]
	scratch_load_b128 v[24:27], off, off offset:512
	v_add_f64_e32 v[162:163], v[162:163], v[164:165]
	v_fmac_f64_e32 v[166:167], v[6:7], v[28:29]
	v_add_f64_e32 v[152:153], v[172:173], v[170:171]
	v_fma_f64 v[170:171], v[4:5], v[28:29], -v[30:31]
	ds_load_b128 v[4:7], v2 offset:1104
	s_wait_loadcnt_dscnt 0xb01
	v_mul_f64_e32 v[164:165], v[158:159], v[128:129]
	v_mul_f64_e32 v[128:129], v[160:161], v[128:129]
	scratch_load_b128 v[28:31], off, off offset:528
	v_add_f64_e32 v[162:163], v[162:163], v[168:169]
	s_wait_loadcnt_dscnt 0xb00
	v_mul_f64_e32 v[168:169], v[4:5], v[132:133]
	v_add_f64_e32 v[172:173], v[152:153], v[150:151]
	v_mul_f64_e32 v[132:133], v[6:7], v[132:133]
	ds_load_b128 v[150:153], v2 offset:1120
	v_fmac_f64_e32 v[164:165], v[160:161], v[126:127]
	v_fma_f64 v[158:159], v[158:159], v[126:127], -v[128:129]
	scratch_load_b128 v[126:129], off, off offset:544
	v_add_f64_e32 v[162:163], v[162:163], v[166:167]
	v_fmac_f64_e32 v[168:169], v[6:7], v[130:131]
	v_add_f64_e32 v[160:161], v[172:173], v[170:171]
	;; [unrolled: 18-line block ×3, first 2 shown]
	v_fma_f64 v[170:171], v[4:5], v[142:143], -v[144:145]
	ds_load_b128 v[4:7], v2 offset:1168
	s_wait_loadcnt_dscnt 0xa01
	v_mul_f64_e32 v[168:169], v[158:159], v[156:157]
	v_mul_f64_e32 v[156:157], v[160:161], v[156:157]
	scratch_load_b128 v[142:145], off, off offset:592
	v_add_f64_e32 v[162:163], v[162:163], v[166:167]
	v_add_f64_e32 v[172:173], v[152:153], v[150:151]
	s_wait_loadcnt_dscnt 0xa00
	v_mul_f64_e32 v[166:167], v[4:5], v[140:141]
	v_mul_f64_e32 v[140:141], v[6:7], v[140:141]
	v_fmac_f64_e32 v[168:169], v[160:161], v[154:155]
	v_fma_f64 v[158:159], v[158:159], v[154:155], -v[156:157]
	ds_load_b128 v[150:153], v2 offset:1184
	scratch_load_b128 v[154:157], off, off offset:608
	v_add_f64_e32 v[162:163], v[162:163], v[164:165]
	v_add_f64_e32 v[160:161], v[172:173], v[170:171]
	v_fmac_f64_e32 v[166:167], v[6:7], v[138:139]
	v_fma_f64 v[170:171], v[4:5], v[138:139], -v[140:141]
	ds_load_b128 v[4:7], v2 offset:1200
	s_wait_loadcnt_dscnt 0xa01
	v_mul_f64_e32 v[164:165], v[150:151], v[10:11]
	v_mul_f64_e32 v[10:11], v[152:153], v[10:11]
	scratch_load_b128 v[138:141], off, off offset:624
	v_add_f64_e32 v[162:163], v[162:163], v[168:169]
	s_wait_loadcnt_dscnt 0xa00
	v_mul_f64_e32 v[168:169], v[4:5], v[14:15]
	v_add_f64_e32 v[172:173], v[160:161], v[158:159]
	v_mul_f64_e32 v[14:15], v[6:7], v[14:15]
	ds_load_b128 v[158:161], v2 offset:1216
	v_fmac_f64_e32 v[164:165], v[152:153], v[8:9]
	v_fma_f64 v[150:151], v[150:151], v[8:9], -v[10:11]
	scratch_load_b128 v[8:11], off, off offset:640
	v_add_f64_e32 v[162:163], v[162:163], v[166:167]
	v_fmac_f64_e32 v[168:169], v[6:7], v[12:13]
	v_add_f64_e32 v[152:153], v[172:173], v[170:171]
	v_fma_f64 v[170:171], v[4:5], v[12:13], -v[14:15]
	ds_load_b128 v[4:7], v2 offset:1232
	s_wait_loadcnt_dscnt 0xa01
	v_mul_f64_e32 v[166:167], v[158:159], v[18:19]
	v_mul_f64_e32 v[18:19], v[160:161], v[18:19]
	scratch_load_b128 v[12:15], off, off offset:656
	v_add_f64_e32 v[162:163], v[162:163], v[164:165]
	s_wait_loadcnt_dscnt 0xa00
	v_mul_f64_e32 v[164:165], v[4:5], v[22:23]
	v_add_f64_e32 v[172:173], v[152:153], v[150:151]
	v_mul_f64_e32 v[22:23], v[6:7], v[22:23]
	ds_load_b128 v[150:153], v2 offset:1248
	v_fmac_f64_e32 v[166:167], v[160:161], v[16:17]
	v_fma_f64 v[158:159], v[158:159], v[16:17], -v[18:19]
	scratch_load_b128 v[16:19], off, off offset:672
	v_add_f64_e32 v[162:163], v[162:163], v[168:169]
	v_fmac_f64_e32 v[164:165], v[6:7], v[20:21]
	v_add_f64_e32 v[160:161], v[172:173], v[170:171]
	;; [unrolled: 18-line block ×3, first 2 shown]
	v_fma_f64 v[170:171], v[4:5], v[28:29], -v[30:31]
	ds_load_b128 v[4:7], v2 offset:1296
	s_wait_loadcnt_dscnt 0xa01
	v_mul_f64_e32 v[164:165], v[158:159], v[128:129]
	v_mul_f64_e32 v[128:129], v[160:161], v[128:129]
	scratch_load_b128 v[28:31], off, off offset:720
	v_add_f64_e32 v[162:163], v[162:163], v[168:169]
	s_wait_loadcnt_dscnt 0xa00
	v_mul_f64_e32 v[168:169], v[4:5], v[132:133]
	v_add_f64_e32 v[172:173], v[152:153], v[150:151]
	v_mul_f64_e32 v[132:133], v[6:7], v[132:133]
	ds_load_b128 v[150:153], v2 offset:1312
	v_fmac_f64_e32 v[164:165], v[160:161], v[126:127]
	v_fma_f64 v[126:127], v[158:159], v[126:127], -v[128:129]
	s_wait_loadcnt_dscnt 0x900
	v_mul_f64_e32 v[160:161], v[150:151], v[136:137]
	v_mul_f64_e32 v[136:137], v[152:153], v[136:137]
	v_add_f64_e32 v[158:159], v[162:163], v[166:167]
	v_fmac_f64_e32 v[168:169], v[6:7], v[130:131]
	v_add_f64_e32 v[128:129], v[172:173], v[170:171]
	v_fma_f64 v[130:131], v[4:5], v[130:131], -v[132:133]
	v_fmac_f64_e32 v[160:161], v[152:153], v[134:135]
	v_fma_f64 v[134:135], v[150:151], v[134:135], -v[136:137]
	v_add_f64_e32 v[158:159], v[158:159], v[164:165]
	v_add_f64_e32 v[132:133], v[128:129], v[126:127]
	ds_load_b128 v[4:7], v2 offset:1328
	ds_load_b128 v[126:129], v2 offset:1344
	s_wait_loadcnt_dscnt 0x801
	v_mul_f64_e32 v[162:163], v[4:5], v[144:145]
	v_mul_f64_e32 v[144:145], v[6:7], v[144:145]
	s_wait_loadcnt_dscnt 0x700
	v_mul_f64_e32 v[136:137], v[126:127], v[156:157]
	v_mul_f64_e32 v[150:151], v[128:129], v[156:157]
	v_add_f64_e32 v[130:131], v[132:133], v[130:131]
	v_add_f64_e32 v[132:133], v[158:159], v[168:169]
	v_fmac_f64_e32 v[162:163], v[6:7], v[142:143]
	v_fma_f64 v[142:143], v[4:5], v[142:143], -v[144:145]
	v_fmac_f64_e32 v[136:137], v[128:129], v[154:155]
	v_fma_f64 v[126:127], v[126:127], v[154:155], -v[150:151]
	v_add_f64_e32 v[134:135], v[130:131], v[134:135]
	v_add_f64_e32 v[144:145], v[132:133], v[160:161]
	ds_load_b128 v[4:7], v2 offset:1360
	ds_load_b128 v[130:133], v2 offset:1376
	s_wait_loadcnt_dscnt 0x601
	v_mul_f64_e32 v[152:153], v[4:5], v[140:141]
	v_mul_f64_e32 v[140:141], v[6:7], v[140:141]
	v_add_f64_e32 v[128:129], v[134:135], v[142:143]
	v_add_f64_e32 v[134:135], v[144:145], v[162:163]
	s_wait_loadcnt_dscnt 0x500
	v_mul_f64_e32 v[142:143], v[130:131], v[10:11]
	v_mul_f64_e32 v[10:11], v[132:133], v[10:11]
	v_fmac_f64_e32 v[152:153], v[6:7], v[138:139]
	v_fma_f64 v[138:139], v[4:5], v[138:139], -v[140:141]
	v_add_f64_e32 v[140:141], v[128:129], v[126:127]
	v_add_f64_e32 v[134:135], v[134:135], v[136:137]
	ds_load_b128 v[4:7], v2 offset:1392
	ds_load_b128 v[126:129], v2 offset:1408
	v_fmac_f64_e32 v[142:143], v[132:133], v[8:9]
	v_fma_f64 v[8:9], v[130:131], v[8:9], -v[10:11]
	s_wait_loadcnt_dscnt 0x401
	v_mul_f64_e32 v[136:137], v[4:5], v[14:15]
	v_mul_f64_e32 v[14:15], v[6:7], v[14:15]
	s_wait_loadcnt_dscnt 0x300
	v_mul_f64_e32 v[132:133], v[126:127], v[18:19]
	v_mul_f64_e32 v[18:19], v[128:129], v[18:19]
	v_add_f64_e32 v[10:11], v[140:141], v[138:139]
	v_add_f64_e32 v[130:131], v[134:135], v[152:153]
	v_fmac_f64_e32 v[136:137], v[6:7], v[12:13]
	v_fma_f64 v[12:13], v[4:5], v[12:13], -v[14:15]
	v_fmac_f64_e32 v[132:133], v[128:129], v[16:17]
	v_fma_f64 v[16:17], v[126:127], v[16:17], -v[18:19]
	v_add_f64_e32 v[14:15], v[10:11], v[8:9]
	v_add_f64_e32 v[130:131], v[130:131], v[142:143]
	ds_load_b128 v[4:7], v2 offset:1424
	ds_load_b128 v[8:11], v2 offset:1440
	s_wait_loadcnt_dscnt 0x201
	v_mul_f64_e32 v[134:135], v[4:5], v[22:23]
	v_mul_f64_e32 v[22:23], v[6:7], v[22:23]
	s_wait_loadcnt_dscnt 0x100
	v_mul_f64_e32 v[18:19], v[8:9], v[26:27]
	v_mul_f64_e32 v[26:27], v[10:11], v[26:27]
	v_add_f64_e32 v[12:13], v[14:15], v[12:13]
	v_add_f64_e32 v[14:15], v[130:131], v[136:137]
	v_fmac_f64_e32 v[134:135], v[6:7], v[20:21]
	v_fma_f64 v[20:21], v[4:5], v[20:21], -v[22:23]
	ds_load_b128 v[4:7], v2 offset:1456
	v_fmac_f64_e32 v[18:19], v[10:11], v[24:25]
	v_fma_f64 v[8:9], v[8:9], v[24:25], -v[26:27]
	v_add_f64_e32 v[12:13], v[12:13], v[16:17]
	v_add_f64_e32 v[14:15], v[14:15], v[132:133]
	s_wait_loadcnt_dscnt 0x0
	v_mul_f64_e32 v[16:17], v[4:5], v[30:31]
	v_mul_f64_e32 v[22:23], v[6:7], v[30:31]
	s_delay_alu instid0(VALU_DEP_4) | instskip(NEXT) | instid1(VALU_DEP_4)
	v_add_f64_e32 v[10:11], v[12:13], v[20:21]
	v_add_f64_e32 v[12:13], v[14:15], v[134:135]
	s_delay_alu instid0(VALU_DEP_4) | instskip(NEXT) | instid1(VALU_DEP_4)
	v_fmac_f64_e32 v[16:17], v[6:7], v[28:29]
	v_fma_f64 v[4:5], v[4:5], v[28:29], -v[22:23]
	s_delay_alu instid0(VALU_DEP_4) | instskip(NEXT) | instid1(VALU_DEP_4)
	v_add_f64_e32 v[6:7], v[10:11], v[8:9]
	v_add_f64_e32 v[8:9], v[12:13], v[18:19]
	s_delay_alu instid0(VALU_DEP_2) | instskip(NEXT) | instid1(VALU_DEP_2)
	v_add_f64_e32 v[4:5], v[6:7], v[4:5]
	v_add_f64_e32 v[6:7], v[8:9], v[16:17]
	s_delay_alu instid0(VALU_DEP_2) | instskip(NEXT) | instid1(VALU_DEP_2)
	v_add_f64_e64 v[4:5], v[146:147], -v[4:5]
	v_add_f64_e64 v[6:7], v[148:149], -v[6:7]
	scratch_store_b128 off, v[4:7], off offset:224
	s_wait_xcnt 0x0
	v_cmpx_lt_u32_e32 13, v1
	s_cbranch_execz .LBB45_263
; %bb.262:
	scratch_load_b128 v[6:9], off, s56
	v_dual_mov_b32 v3, v2 :: v_dual_mov_b32 v4, v2
	v_mov_b32_e32 v5, v2
	scratch_store_b128 off, v[2:5], off offset:208
	s_wait_loadcnt 0x0
	ds_store_b128 v124, v[6:9]
.LBB45_263:
	s_wait_xcnt 0x0
	s_or_b32 exec_lo, exec_lo, s2
	s_wait_storecnt_dscnt 0x0
	s_barrier_signal -1
	s_barrier_wait -1
	s_clause 0x9
	scratch_load_b128 v[4:7], off, off offset:224
	scratch_load_b128 v[8:11], off, off offset:240
	;; [unrolled: 1-line block ×10, first 2 shown]
	ds_load_b128 v[138:141], v2 offset:960
	ds_load_b128 v[146:149], v2 offset:976
	s_clause 0x2
	scratch_load_b128 v[142:145], off, off offset:384
	scratch_load_b128 v[150:153], off, off offset:208
	;; [unrolled: 1-line block ×3, first 2 shown]
	s_mov_b32 s2, exec_lo
	s_wait_loadcnt_dscnt 0xc01
	v_mul_f64_e32 v[158:159], v[140:141], v[6:7]
	v_mul_f64_e32 v[162:163], v[138:139], v[6:7]
	s_wait_loadcnt_dscnt 0xb00
	v_mul_f64_e32 v[164:165], v[146:147], v[10:11]
	v_mul_f64_e32 v[10:11], v[148:149], v[10:11]
	s_delay_alu instid0(VALU_DEP_4) | instskip(NEXT) | instid1(VALU_DEP_4)
	v_fma_f64 v[166:167], v[138:139], v[4:5], -v[158:159]
	v_fmac_f64_e32 v[162:163], v[140:141], v[4:5]
	ds_load_b128 v[4:7], v2 offset:992
	ds_load_b128 v[138:141], v2 offset:1008
	scratch_load_b128 v[158:161], off, off offset:416
	v_fmac_f64_e32 v[164:165], v[148:149], v[8:9]
	v_fma_f64 v[146:147], v[146:147], v[8:9], -v[10:11]
	scratch_load_b128 v[8:11], off, off offset:432
	s_wait_loadcnt_dscnt 0xc01
	v_mul_f64_e32 v[168:169], v[4:5], v[14:15]
	v_mul_f64_e32 v[14:15], v[6:7], v[14:15]
	v_add_f64_e32 v[148:149], 0, v[166:167]
	v_add_f64_e32 v[162:163], 0, v[162:163]
	s_wait_loadcnt_dscnt 0xb00
	v_mul_f64_e32 v[166:167], v[138:139], v[18:19]
	v_mul_f64_e32 v[18:19], v[140:141], v[18:19]
	v_fmac_f64_e32 v[168:169], v[6:7], v[12:13]
	v_fma_f64 v[170:171], v[4:5], v[12:13], -v[14:15]
	ds_load_b128 v[4:7], v2 offset:1024
	ds_load_b128 v[12:15], v2 offset:1040
	v_add_f64_e32 v[172:173], v[148:149], v[146:147]
	v_add_f64_e32 v[162:163], v[162:163], v[164:165]
	scratch_load_b128 v[146:149], off, off offset:448
	v_fmac_f64_e32 v[166:167], v[140:141], v[16:17]
	v_fma_f64 v[138:139], v[138:139], v[16:17], -v[18:19]
	scratch_load_b128 v[16:19], off, off offset:464
	s_wait_loadcnt_dscnt 0xc01
	v_mul_f64_e32 v[164:165], v[4:5], v[22:23]
	v_mul_f64_e32 v[22:23], v[6:7], v[22:23]
	v_add_f64_e32 v[140:141], v[172:173], v[170:171]
	v_add_f64_e32 v[162:163], v[162:163], v[168:169]
	s_wait_loadcnt_dscnt 0xb00
	v_mul_f64_e32 v[168:169], v[12:13], v[26:27]
	v_mul_f64_e32 v[26:27], v[14:15], v[26:27]
	v_fmac_f64_e32 v[164:165], v[6:7], v[20:21]
	v_fma_f64 v[170:171], v[4:5], v[20:21], -v[22:23]
	ds_load_b128 v[4:7], v2 offset:1056
	ds_load_b128 v[20:23], v2 offset:1072
	v_add_f64_e32 v[172:173], v[140:141], v[138:139]
	v_add_f64_e32 v[162:163], v[162:163], v[166:167]
	scratch_load_b128 v[138:141], off, off offset:480
	s_wait_loadcnt_dscnt 0xb01
	v_mul_f64_e32 v[166:167], v[4:5], v[30:31]
	v_mul_f64_e32 v[30:31], v[6:7], v[30:31]
	v_fmac_f64_e32 v[168:169], v[14:15], v[24:25]
	v_fma_f64 v[24:25], v[12:13], v[24:25], -v[26:27]
	scratch_load_b128 v[12:15], off, off offset:496
	v_add_f64_e32 v[26:27], v[172:173], v[170:171]
	v_add_f64_e32 v[162:163], v[162:163], v[164:165]
	s_wait_loadcnt_dscnt 0xb00
	v_mul_f64_e32 v[164:165], v[20:21], v[128:129]
	v_mul_f64_e32 v[128:129], v[22:23], v[128:129]
	v_fmac_f64_e32 v[166:167], v[6:7], v[28:29]
	v_fma_f64 v[170:171], v[4:5], v[28:29], -v[30:31]
	v_add_f64_e32 v[172:173], v[26:27], v[24:25]
	v_add_f64_e32 v[162:163], v[162:163], v[168:169]
	ds_load_b128 v[4:7], v2 offset:1088
	ds_load_b128 v[24:27], v2 offset:1104
	scratch_load_b128 v[28:31], off, off offset:512
	v_fmac_f64_e32 v[164:165], v[22:23], v[126:127]
	v_fma_f64 v[126:127], v[20:21], v[126:127], -v[128:129]
	scratch_load_b128 v[20:23], off, off offset:528
	s_wait_loadcnt_dscnt 0xc01
	v_mul_f64_e32 v[168:169], v[4:5], v[132:133]
	v_mul_f64_e32 v[132:133], v[6:7], v[132:133]
	v_add_f64_e32 v[128:129], v[172:173], v[170:171]
	v_add_f64_e32 v[162:163], v[162:163], v[166:167]
	s_wait_loadcnt_dscnt 0xb00
	v_mul_f64_e32 v[166:167], v[24:25], v[136:137]
	v_mul_f64_e32 v[136:137], v[26:27], v[136:137]
	v_fmac_f64_e32 v[168:169], v[6:7], v[130:131]
	v_fma_f64 v[170:171], v[4:5], v[130:131], -v[132:133]
	v_add_f64_e32 v[172:173], v[128:129], v[126:127]
	v_add_f64_e32 v[162:163], v[162:163], v[164:165]
	ds_load_b128 v[4:7], v2 offset:1120
	ds_load_b128 v[126:129], v2 offset:1136
	scratch_load_b128 v[130:133], off, off offset:544
	v_fmac_f64_e32 v[166:167], v[26:27], v[134:135]
	v_fma_f64 v[134:135], v[24:25], v[134:135], -v[136:137]
	scratch_load_b128 v[24:27], off, off offset:560
	s_wait_loadcnt_dscnt 0xc01
	v_mul_f64_e32 v[164:165], v[4:5], v[144:145]
	v_mul_f64_e32 v[144:145], v[6:7], v[144:145]
	;; [unrolled: 18-line block ×5, first 2 shown]
	v_add_f64_e32 v[156:157], v[172:173], v[170:171]
	v_add_f64_e32 v[162:163], v[162:163], v[168:169]
	s_wait_loadcnt_dscnt 0xa00
	v_mul_f64_e32 v[168:169], v[134:135], v[14:15]
	v_mul_f64_e32 v[14:15], v[136:137], v[14:15]
	v_fmac_f64_e32 v[164:165], v[6:7], v[138:139]
	v_fma_f64 v[170:171], v[4:5], v[138:139], -v[140:141]
	ds_load_b128 v[4:7], v2 offset:1248
	ds_load_b128 v[138:141], v2 offset:1264
	v_add_f64_e32 v[172:173], v[156:157], v[154:155]
	v_add_f64_e32 v[162:163], v[162:163], v[166:167]
	scratch_load_b128 v[154:157], off, off offset:672
	v_fmac_f64_e32 v[168:169], v[136:137], v[12:13]
	v_fma_f64 v[134:135], v[134:135], v[12:13], -v[14:15]
	scratch_load_b128 v[12:15], off, off offset:688
	s_wait_loadcnt_dscnt 0xb01
	v_mul_f64_e32 v[166:167], v[4:5], v[30:31]
	v_mul_f64_e32 v[30:31], v[6:7], v[30:31]
	v_add_f64_e32 v[136:137], v[172:173], v[170:171]
	v_add_f64_e32 v[162:163], v[162:163], v[164:165]
	s_wait_loadcnt_dscnt 0xa00
	v_mul_f64_e32 v[164:165], v[138:139], v[22:23]
	v_mul_f64_e32 v[22:23], v[140:141], v[22:23]
	v_fmac_f64_e32 v[166:167], v[6:7], v[28:29]
	v_fma_f64 v[170:171], v[4:5], v[28:29], -v[30:31]
	ds_load_b128 v[4:7], v2 offset:1280
	ds_load_b128 v[28:31], v2 offset:1296
	v_add_f64_e32 v[172:173], v[136:137], v[134:135]
	v_add_f64_e32 v[162:163], v[162:163], v[168:169]
	scratch_load_b128 v[134:137], off, off offset:704
	s_wait_loadcnt_dscnt 0xa01
	v_mul_f64_e32 v[168:169], v[4:5], v[132:133]
	v_mul_f64_e32 v[132:133], v[6:7], v[132:133]
	v_fmac_f64_e32 v[164:165], v[140:141], v[20:21]
	v_fma_f64 v[138:139], v[138:139], v[20:21], -v[22:23]
	scratch_load_b128 v[20:23], off, off offset:720
	v_add_f64_e32 v[140:141], v[172:173], v[170:171]
	v_add_f64_e32 v[162:163], v[162:163], v[166:167]
	s_wait_loadcnt_dscnt 0xa00
	v_mul_f64_e32 v[166:167], v[28:29], v[26:27]
	v_mul_f64_e32 v[26:27], v[30:31], v[26:27]
	v_fmac_f64_e32 v[168:169], v[6:7], v[130:131]
	v_fma_f64 v[170:171], v[4:5], v[130:131], -v[132:133]
	ds_load_b128 v[4:7], v2 offset:1312
	ds_load_b128 v[130:133], v2 offset:1328
	v_add_f64_e32 v[138:139], v[140:141], v[138:139]
	v_add_f64_e32 v[140:141], v[162:163], v[164:165]
	v_fmac_f64_e32 v[166:167], v[30:31], v[24:25]
	s_wait_loadcnt_dscnt 0x901
	v_mul_f64_e32 v[162:163], v[4:5], v[144:145]
	v_mul_f64_e32 v[144:145], v[6:7], v[144:145]
	v_fma_f64 v[24:25], v[28:29], v[24:25], -v[26:27]
	s_wait_loadcnt_dscnt 0x800
	v_mul_f64_e32 v[30:31], v[130:131], v[128:129]
	v_mul_f64_e32 v[128:129], v[132:133], v[128:129]
	v_add_f64_e32 v[26:27], v[138:139], v[170:171]
	v_add_f64_e32 v[28:29], v[140:141], v[168:169]
	v_fmac_f64_e32 v[162:163], v[6:7], v[142:143]
	v_fma_f64 v[138:139], v[4:5], v[142:143], -v[144:145]
	v_fmac_f64_e32 v[30:31], v[132:133], v[126:127]
	v_fma_f64 v[126:127], v[130:131], v[126:127], -v[128:129]
	v_add_f64_e32 v[140:141], v[26:27], v[24:25]
	v_add_f64_e32 v[28:29], v[28:29], v[166:167]
	ds_load_b128 v[4:7], v2 offset:1344
	ds_load_b128 v[24:27], v2 offset:1360
	s_wait_loadcnt_dscnt 0x701
	v_mul_f64_e32 v[142:143], v[4:5], v[160:161]
	v_mul_f64_e32 v[144:145], v[6:7], v[160:161]
	s_wait_loadcnt_dscnt 0x600
	v_mul_f64_e32 v[130:131], v[24:25], v[10:11]
	v_mul_f64_e32 v[10:11], v[26:27], v[10:11]
	v_add_f64_e32 v[128:129], v[140:141], v[138:139]
	v_add_f64_e32 v[28:29], v[28:29], v[162:163]
	v_fmac_f64_e32 v[142:143], v[6:7], v[158:159]
	v_fma_f64 v[132:133], v[4:5], v[158:159], -v[144:145]
	v_fmac_f64_e32 v[130:131], v[26:27], v[8:9]
	v_fma_f64 v[8:9], v[24:25], v[8:9], -v[10:11]
	v_add_f64_e32 v[126:127], v[128:129], v[126:127]
	v_add_f64_e32 v[128:129], v[28:29], v[30:31]
	ds_load_b128 v[4:7], v2 offset:1376
	ds_load_b128 v[28:31], v2 offset:1392
	s_wait_loadcnt_dscnt 0x501
	v_mul_f64_e32 v[138:139], v[4:5], v[148:149]
	v_mul_f64_e32 v[140:141], v[6:7], v[148:149]
	;; [unrolled: 16-line block ×4, first 2 shown]
	v_add_f64_e32 v[10:11], v[18:19], v[126:127]
	v_add_f64_e32 v[12:13], v[24:25], v[130:131]
	s_wait_loadcnt_dscnt 0x0
	v_mul_f64_e32 v[18:19], v[14:15], v[22:23]
	v_mul_f64_e32 v[22:23], v[16:17], v[22:23]
	v_fmac_f64_e32 v[2:3], v[6:7], v[134:135]
	v_fma_f64 v[4:5], v[4:5], v[134:135], -v[26:27]
	v_add_f64_e32 v[6:7], v[10:11], v[8:9]
	v_add_f64_e32 v[8:9], v[12:13], v[28:29]
	v_fmac_f64_e32 v[18:19], v[16:17], v[20:21]
	v_fma_f64 v[10:11], v[14:15], v[20:21], -v[22:23]
	s_delay_alu instid0(VALU_DEP_4) | instskip(NEXT) | instid1(VALU_DEP_4)
	v_add_f64_e32 v[4:5], v[6:7], v[4:5]
	v_add_f64_e32 v[2:3], v[8:9], v[2:3]
	s_delay_alu instid0(VALU_DEP_2) | instskip(NEXT) | instid1(VALU_DEP_2)
	v_add_f64_e32 v[4:5], v[4:5], v[10:11]
	v_add_f64_e32 v[6:7], v[2:3], v[18:19]
	s_delay_alu instid0(VALU_DEP_2) | instskip(NEXT) | instid1(VALU_DEP_2)
	v_add_f64_e64 v[2:3], v[150:151], -v[4:5]
	v_add_f64_e64 v[4:5], v[152:153], -v[6:7]
	scratch_store_b128 off, v[2:5], off offset:208
	s_wait_xcnt 0x0
	v_cmpx_lt_u32_e32 12, v1
	s_cbranch_execz .LBB45_265
; %bb.264:
	scratch_load_b128 v[2:5], off, s55
	v_mov_b32_e32 v6, 0
	s_delay_alu instid0(VALU_DEP_1)
	v_dual_mov_b32 v7, v6 :: v_dual_mov_b32 v8, v6
	v_mov_b32_e32 v9, v6
	scratch_store_b128 off, v[6:9], off offset:192
	s_wait_loadcnt 0x0
	ds_store_b128 v124, v[2:5]
.LBB45_265:
	s_wait_xcnt 0x0
	s_or_b32 exec_lo, exec_lo, s2
	s_wait_storecnt_dscnt 0x0
	s_barrier_signal -1
	s_barrier_wait -1
	s_clause 0x9
	scratch_load_b128 v[4:7], off, off offset:208
	scratch_load_b128 v[8:11], off, off offset:224
	scratch_load_b128 v[12:15], off, off offset:240
	scratch_load_b128 v[16:19], off, off offset:256
	scratch_load_b128 v[20:23], off, off offset:272
	scratch_load_b128 v[24:27], off, off offset:288
	scratch_load_b128 v[28:31], off, off offset:304
	scratch_load_b128 v[126:129], off, off offset:320
	scratch_load_b128 v[130:133], off, off offset:336
	scratch_load_b128 v[134:137], off, off offset:352
	v_mov_b32_e32 v2, 0
	s_mov_b32 s2, exec_lo
	ds_load_b128 v[138:141], v2 offset:944
	s_clause 0x2
	scratch_load_b128 v[142:145], off, off offset:368
	scratch_load_b128 v[146:149], off, off offset:192
	;; [unrolled: 1-line block ×3, first 2 shown]
	s_wait_loadcnt_dscnt 0xc00
	v_mul_f64_e32 v[158:159], v[140:141], v[6:7]
	v_mul_f64_e32 v[162:163], v[138:139], v[6:7]
	ds_load_b128 v[150:153], v2 offset:960
	v_fma_f64 v[166:167], v[138:139], v[4:5], -v[158:159]
	v_fmac_f64_e32 v[162:163], v[140:141], v[4:5]
	ds_load_b128 v[4:7], v2 offset:976
	s_wait_loadcnt_dscnt 0xb01
	v_mul_f64_e32 v[164:165], v[150:151], v[10:11]
	v_mul_f64_e32 v[10:11], v[152:153], v[10:11]
	scratch_load_b128 v[138:141], off, off offset:400
	ds_load_b128 v[158:161], v2 offset:992
	s_wait_loadcnt_dscnt 0xb01
	v_mul_f64_e32 v[168:169], v[4:5], v[14:15]
	v_mul_f64_e32 v[14:15], v[6:7], v[14:15]
	v_add_f64_e32 v[162:163], 0, v[162:163]
	v_fmac_f64_e32 v[164:165], v[152:153], v[8:9]
	v_fma_f64 v[150:151], v[150:151], v[8:9], -v[10:11]
	v_add_f64_e32 v[152:153], 0, v[166:167]
	scratch_load_b128 v[8:11], off, off offset:416
	v_fmac_f64_e32 v[168:169], v[6:7], v[12:13]
	v_fma_f64 v[170:171], v[4:5], v[12:13], -v[14:15]
	ds_load_b128 v[4:7], v2 offset:1008
	s_wait_loadcnt_dscnt 0xb01
	v_mul_f64_e32 v[166:167], v[158:159], v[18:19]
	v_mul_f64_e32 v[18:19], v[160:161], v[18:19]
	scratch_load_b128 v[12:15], off, off offset:432
	v_add_f64_e32 v[162:163], v[162:163], v[164:165]
	v_add_f64_e32 v[172:173], v[152:153], v[150:151]
	ds_load_b128 v[150:153], v2 offset:1024
	s_wait_loadcnt_dscnt 0xb01
	v_mul_f64_e32 v[164:165], v[4:5], v[22:23]
	v_mul_f64_e32 v[22:23], v[6:7], v[22:23]
	v_fmac_f64_e32 v[166:167], v[160:161], v[16:17]
	v_fma_f64 v[158:159], v[158:159], v[16:17], -v[18:19]
	scratch_load_b128 v[16:19], off, off offset:448
	v_add_f64_e32 v[162:163], v[162:163], v[168:169]
	v_add_f64_e32 v[160:161], v[172:173], v[170:171]
	v_fmac_f64_e32 v[164:165], v[6:7], v[20:21]
	v_fma_f64 v[170:171], v[4:5], v[20:21], -v[22:23]
	ds_load_b128 v[4:7], v2 offset:1040
	s_wait_loadcnt_dscnt 0xb01
	v_mul_f64_e32 v[168:169], v[150:151], v[26:27]
	v_mul_f64_e32 v[26:27], v[152:153], v[26:27]
	scratch_load_b128 v[20:23], off, off offset:464
	v_add_f64_e32 v[162:163], v[162:163], v[166:167]
	s_wait_loadcnt_dscnt 0xb00
	v_mul_f64_e32 v[166:167], v[4:5], v[30:31]
	v_add_f64_e32 v[172:173], v[160:161], v[158:159]
	v_mul_f64_e32 v[30:31], v[6:7], v[30:31]
	ds_load_b128 v[158:161], v2 offset:1056
	v_fmac_f64_e32 v[168:169], v[152:153], v[24:25]
	v_fma_f64 v[150:151], v[150:151], v[24:25], -v[26:27]
	scratch_load_b128 v[24:27], off, off offset:480
	v_add_f64_e32 v[162:163], v[162:163], v[164:165]
	v_fmac_f64_e32 v[166:167], v[6:7], v[28:29]
	v_add_f64_e32 v[152:153], v[172:173], v[170:171]
	v_fma_f64 v[170:171], v[4:5], v[28:29], -v[30:31]
	ds_load_b128 v[4:7], v2 offset:1072
	s_wait_loadcnt_dscnt 0xb01
	v_mul_f64_e32 v[164:165], v[158:159], v[128:129]
	v_mul_f64_e32 v[128:129], v[160:161], v[128:129]
	scratch_load_b128 v[28:31], off, off offset:496
	v_add_f64_e32 v[162:163], v[162:163], v[168:169]
	s_wait_loadcnt_dscnt 0xb00
	v_mul_f64_e32 v[168:169], v[4:5], v[132:133]
	v_add_f64_e32 v[172:173], v[152:153], v[150:151]
	v_mul_f64_e32 v[132:133], v[6:7], v[132:133]
	ds_load_b128 v[150:153], v2 offset:1088
	v_fmac_f64_e32 v[164:165], v[160:161], v[126:127]
	v_fma_f64 v[158:159], v[158:159], v[126:127], -v[128:129]
	scratch_load_b128 v[126:129], off, off offset:512
	v_add_f64_e32 v[162:163], v[162:163], v[166:167]
	v_fmac_f64_e32 v[168:169], v[6:7], v[130:131]
	v_add_f64_e32 v[160:161], v[172:173], v[170:171]
	;; [unrolled: 18-line block ×3, first 2 shown]
	v_fma_f64 v[170:171], v[4:5], v[142:143], -v[144:145]
	ds_load_b128 v[4:7], v2 offset:1136
	s_wait_loadcnt_dscnt 0xa01
	v_mul_f64_e32 v[168:169], v[158:159], v[156:157]
	v_mul_f64_e32 v[156:157], v[160:161], v[156:157]
	scratch_load_b128 v[142:145], off, off offset:560
	v_add_f64_e32 v[162:163], v[162:163], v[166:167]
	v_add_f64_e32 v[172:173], v[152:153], v[150:151]
	s_wait_loadcnt_dscnt 0xa00
	v_mul_f64_e32 v[166:167], v[4:5], v[140:141]
	v_mul_f64_e32 v[140:141], v[6:7], v[140:141]
	v_fmac_f64_e32 v[168:169], v[160:161], v[154:155]
	v_fma_f64 v[158:159], v[158:159], v[154:155], -v[156:157]
	ds_load_b128 v[150:153], v2 offset:1152
	scratch_load_b128 v[154:157], off, off offset:576
	v_add_f64_e32 v[162:163], v[162:163], v[164:165]
	v_add_f64_e32 v[160:161], v[172:173], v[170:171]
	v_fmac_f64_e32 v[166:167], v[6:7], v[138:139]
	v_fma_f64 v[170:171], v[4:5], v[138:139], -v[140:141]
	ds_load_b128 v[4:7], v2 offset:1168
	s_wait_loadcnt_dscnt 0xa01
	v_mul_f64_e32 v[164:165], v[150:151], v[10:11]
	v_mul_f64_e32 v[10:11], v[152:153], v[10:11]
	scratch_load_b128 v[138:141], off, off offset:592
	v_add_f64_e32 v[162:163], v[162:163], v[168:169]
	s_wait_loadcnt_dscnt 0xa00
	v_mul_f64_e32 v[168:169], v[4:5], v[14:15]
	v_add_f64_e32 v[172:173], v[160:161], v[158:159]
	v_mul_f64_e32 v[14:15], v[6:7], v[14:15]
	ds_load_b128 v[158:161], v2 offset:1184
	v_fmac_f64_e32 v[164:165], v[152:153], v[8:9]
	v_fma_f64 v[150:151], v[150:151], v[8:9], -v[10:11]
	scratch_load_b128 v[8:11], off, off offset:608
	v_add_f64_e32 v[162:163], v[162:163], v[166:167]
	v_fmac_f64_e32 v[168:169], v[6:7], v[12:13]
	v_add_f64_e32 v[152:153], v[172:173], v[170:171]
	v_fma_f64 v[170:171], v[4:5], v[12:13], -v[14:15]
	ds_load_b128 v[4:7], v2 offset:1200
	s_wait_loadcnt_dscnt 0xa01
	v_mul_f64_e32 v[166:167], v[158:159], v[18:19]
	v_mul_f64_e32 v[18:19], v[160:161], v[18:19]
	scratch_load_b128 v[12:15], off, off offset:624
	v_add_f64_e32 v[162:163], v[162:163], v[164:165]
	s_wait_loadcnt_dscnt 0xa00
	v_mul_f64_e32 v[164:165], v[4:5], v[22:23]
	v_add_f64_e32 v[172:173], v[152:153], v[150:151]
	v_mul_f64_e32 v[22:23], v[6:7], v[22:23]
	ds_load_b128 v[150:153], v2 offset:1216
	v_fmac_f64_e32 v[166:167], v[160:161], v[16:17]
	v_fma_f64 v[158:159], v[158:159], v[16:17], -v[18:19]
	scratch_load_b128 v[16:19], off, off offset:640
	v_add_f64_e32 v[162:163], v[162:163], v[168:169]
	v_fmac_f64_e32 v[164:165], v[6:7], v[20:21]
	v_add_f64_e32 v[160:161], v[172:173], v[170:171]
	;; [unrolled: 18-line block ×4, first 2 shown]
	v_fma_f64 v[170:171], v[4:5], v[130:131], -v[132:133]
	ds_load_b128 v[4:7], v2 offset:1296
	s_wait_loadcnt_dscnt 0xa01
	v_mul_f64_e32 v[166:167], v[150:151], v[136:137]
	v_mul_f64_e32 v[136:137], v[152:153], v[136:137]
	scratch_load_b128 v[130:133], off, off offset:720
	v_add_f64_e32 v[162:163], v[162:163], v[164:165]
	s_wait_loadcnt_dscnt 0xa00
	v_mul_f64_e32 v[164:165], v[4:5], v[144:145]
	v_add_f64_e32 v[172:173], v[160:161], v[158:159]
	v_mul_f64_e32 v[144:145], v[6:7], v[144:145]
	ds_load_b128 v[158:161], v2 offset:1312
	v_fmac_f64_e32 v[166:167], v[152:153], v[134:135]
	v_fma_f64 v[134:135], v[150:151], v[134:135], -v[136:137]
	s_wait_loadcnt_dscnt 0x900
	v_mul_f64_e32 v[152:153], v[158:159], v[156:157]
	v_mul_f64_e32 v[156:157], v[160:161], v[156:157]
	v_add_f64_e32 v[150:151], v[162:163], v[168:169]
	v_fmac_f64_e32 v[164:165], v[6:7], v[142:143]
	v_add_f64_e32 v[136:137], v[172:173], v[170:171]
	v_fma_f64 v[142:143], v[4:5], v[142:143], -v[144:145]
	v_fmac_f64_e32 v[152:153], v[160:161], v[154:155]
	v_fma_f64 v[154:155], v[158:159], v[154:155], -v[156:157]
	v_add_f64_e32 v[150:151], v[150:151], v[166:167]
	v_add_f64_e32 v[144:145], v[136:137], v[134:135]
	ds_load_b128 v[4:7], v2 offset:1328
	ds_load_b128 v[134:137], v2 offset:1344
	s_wait_loadcnt_dscnt 0x801
	v_mul_f64_e32 v[162:163], v[4:5], v[140:141]
	v_mul_f64_e32 v[140:141], v[6:7], v[140:141]
	v_add_f64_e32 v[142:143], v[144:145], v[142:143]
	v_add_f64_e32 v[144:145], v[150:151], v[164:165]
	s_wait_loadcnt_dscnt 0x700
	v_mul_f64_e32 v[150:151], v[134:135], v[10:11]
	v_mul_f64_e32 v[10:11], v[136:137], v[10:11]
	v_fmac_f64_e32 v[162:163], v[6:7], v[138:139]
	v_fma_f64 v[156:157], v[4:5], v[138:139], -v[140:141]
	ds_load_b128 v[4:7], v2 offset:1360
	ds_load_b128 v[138:141], v2 offset:1376
	v_add_f64_e32 v[142:143], v[142:143], v[154:155]
	v_add_f64_e32 v[144:145], v[144:145], v[152:153]
	v_fmac_f64_e32 v[150:151], v[136:137], v[8:9]
	v_fma_f64 v[8:9], v[134:135], v[8:9], -v[10:11]
	s_wait_loadcnt_dscnt 0x601
	v_mul_f64_e32 v[152:153], v[4:5], v[14:15]
	v_mul_f64_e32 v[14:15], v[6:7], v[14:15]
	s_wait_loadcnt_dscnt 0x500
	v_mul_f64_e32 v[136:137], v[138:139], v[18:19]
	v_mul_f64_e32 v[18:19], v[140:141], v[18:19]
	v_add_f64_e32 v[10:11], v[142:143], v[156:157]
	v_add_f64_e32 v[134:135], v[144:145], v[162:163]
	v_fmac_f64_e32 v[152:153], v[6:7], v[12:13]
	v_fma_f64 v[12:13], v[4:5], v[12:13], -v[14:15]
	v_fmac_f64_e32 v[136:137], v[140:141], v[16:17]
	v_fma_f64 v[16:17], v[138:139], v[16:17], -v[18:19]
	v_add_f64_e32 v[14:15], v[10:11], v[8:9]
	v_add_f64_e32 v[134:135], v[134:135], v[150:151]
	ds_load_b128 v[4:7], v2 offset:1392
	ds_load_b128 v[8:11], v2 offset:1408
	s_wait_loadcnt_dscnt 0x401
	v_mul_f64_e32 v[142:143], v[4:5], v[22:23]
	v_mul_f64_e32 v[22:23], v[6:7], v[22:23]
	s_wait_loadcnt_dscnt 0x300
	v_mul_f64_e32 v[18:19], v[8:9], v[26:27]
	v_mul_f64_e32 v[26:27], v[10:11], v[26:27]
	v_add_f64_e32 v[12:13], v[14:15], v[12:13]
	v_add_f64_e32 v[14:15], v[134:135], v[152:153]
	v_fmac_f64_e32 v[142:143], v[6:7], v[20:21]
	v_fma_f64 v[20:21], v[4:5], v[20:21], -v[22:23]
	v_fmac_f64_e32 v[18:19], v[10:11], v[24:25]
	v_fma_f64 v[8:9], v[8:9], v[24:25], -v[26:27]
	v_add_f64_e32 v[16:17], v[12:13], v[16:17]
	v_add_f64_e32 v[22:23], v[14:15], v[136:137]
	ds_load_b128 v[4:7], v2 offset:1424
	ds_load_b128 v[12:15], v2 offset:1440
	s_wait_loadcnt_dscnt 0x201
	v_mul_f64_e32 v[134:135], v[4:5], v[30:31]
	v_mul_f64_e32 v[30:31], v[6:7], v[30:31]
	v_add_f64_e32 v[10:11], v[16:17], v[20:21]
	v_add_f64_e32 v[16:17], v[22:23], v[142:143]
	s_wait_loadcnt_dscnt 0x100
	v_mul_f64_e32 v[20:21], v[12:13], v[128:129]
	v_mul_f64_e32 v[22:23], v[14:15], v[128:129]
	v_fmac_f64_e32 v[134:135], v[6:7], v[28:29]
	v_fma_f64 v[24:25], v[4:5], v[28:29], -v[30:31]
	ds_load_b128 v[4:7], v2 offset:1456
	v_add_f64_e32 v[8:9], v[10:11], v[8:9]
	v_add_f64_e32 v[10:11], v[16:17], v[18:19]
	v_fmac_f64_e32 v[20:21], v[14:15], v[126:127]
	v_fma_f64 v[12:13], v[12:13], v[126:127], -v[22:23]
	s_wait_loadcnt_dscnt 0x0
	v_mul_f64_e32 v[16:17], v[4:5], v[132:133]
	v_mul_f64_e32 v[18:19], v[6:7], v[132:133]
	v_add_f64_e32 v[8:9], v[8:9], v[24:25]
	v_add_f64_e32 v[10:11], v[10:11], v[134:135]
	s_delay_alu instid0(VALU_DEP_4) | instskip(NEXT) | instid1(VALU_DEP_4)
	v_fmac_f64_e32 v[16:17], v[6:7], v[130:131]
	v_fma_f64 v[4:5], v[4:5], v[130:131], -v[18:19]
	s_delay_alu instid0(VALU_DEP_4) | instskip(NEXT) | instid1(VALU_DEP_4)
	v_add_f64_e32 v[6:7], v[8:9], v[12:13]
	v_add_f64_e32 v[8:9], v[10:11], v[20:21]
	s_delay_alu instid0(VALU_DEP_2) | instskip(NEXT) | instid1(VALU_DEP_2)
	v_add_f64_e32 v[4:5], v[6:7], v[4:5]
	v_add_f64_e32 v[6:7], v[8:9], v[16:17]
	s_delay_alu instid0(VALU_DEP_2) | instskip(NEXT) | instid1(VALU_DEP_2)
	v_add_f64_e64 v[4:5], v[146:147], -v[4:5]
	v_add_f64_e64 v[6:7], v[148:149], -v[6:7]
	scratch_store_b128 off, v[4:7], off offset:192
	s_wait_xcnt 0x0
	v_cmpx_lt_u32_e32 11, v1
	s_cbranch_execz .LBB45_267
; %bb.266:
	scratch_load_b128 v[6:9], off, s53
	v_dual_mov_b32 v3, v2 :: v_dual_mov_b32 v4, v2
	v_mov_b32_e32 v5, v2
	scratch_store_b128 off, v[2:5], off offset:176
	s_wait_loadcnt 0x0
	ds_store_b128 v124, v[6:9]
.LBB45_267:
	s_wait_xcnt 0x0
	s_or_b32 exec_lo, exec_lo, s2
	s_wait_storecnt_dscnt 0x0
	s_barrier_signal -1
	s_barrier_wait -1
	s_clause 0x9
	scratch_load_b128 v[4:7], off, off offset:192
	scratch_load_b128 v[8:11], off, off offset:208
	;; [unrolled: 1-line block ×10, first 2 shown]
	ds_load_b128 v[138:141], v2 offset:928
	ds_load_b128 v[146:149], v2 offset:944
	s_clause 0x2
	scratch_load_b128 v[142:145], off, off offset:352
	scratch_load_b128 v[150:153], off, off offset:176
	;; [unrolled: 1-line block ×3, first 2 shown]
	s_mov_b32 s2, exec_lo
	s_wait_loadcnt_dscnt 0xc01
	v_mul_f64_e32 v[158:159], v[140:141], v[6:7]
	v_mul_f64_e32 v[162:163], v[138:139], v[6:7]
	s_wait_loadcnt_dscnt 0xb00
	v_mul_f64_e32 v[164:165], v[146:147], v[10:11]
	v_mul_f64_e32 v[10:11], v[148:149], v[10:11]
	s_delay_alu instid0(VALU_DEP_4) | instskip(NEXT) | instid1(VALU_DEP_4)
	v_fma_f64 v[166:167], v[138:139], v[4:5], -v[158:159]
	v_fmac_f64_e32 v[162:163], v[140:141], v[4:5]
	ds_load_b128 v[4:7], v2 offset:960
	ds_load_b128 v[138:141], v2 offset:976
	scratch_load_b128 v[158:161], off, off offset:384
	v_fmac_f64_e32 v[164:165], v[148:149], v[8:9]
	v_fma_f64 v[146:147], v[146:147], v[8:9], -v[10:11]
	scratch_load_b128 v[8:11], off, off offset:400
	s_wait_loadcnt_dscnt 0xc01
	v_mul_f64_e32 v[168:169], v[4:5], v[14:15]
	v_mul_f64_e32 v[14:15], v[6:7], v[14:15]
	v_add_f64_e32 v[148:149], 0, v[166:167]
	v_add_f64_e32 v[162:163], 0, v[162:163]
	s_wait_loadcnt_dscnt 0xb00
	v_mul_f64_e32 v[166:167], v[138:139], v[18:19]
	v_mul_f64_e32 v[18:19], v[140:141], v[18:19]
	v_fmac_f64_e32 v[168:169], v[6:7], v[12:13]
	v_fma_f64 v[170:171], v[4:5], v[12:13], -v[14:15]
	ds_load_b128 v[4:7], v2 offset:992
	ds_load_b128 v[12:15], v2 offset:1008
	v_add_f64_e32 v[172:173], v[148:149], v[146:147]
	v_add_f64_e32 v[162:163], v[162:163], v[164:165]
	scratch_load_b128 v[146:149], off, off offset:416
	v_fmac_f64_e32 v[166:167], v[140:141], v[16:17]
	v_fma_f64 v[138:139], v[138:139], v[16:17], -v[18:19]
	scratch_load_b128 v[16:19], off, off offset:432
	s_wait_loadcnt_dscnt 0xc01
	v_mul_f64_e32 v[164:165], v[4:5], v[22:23]
	v_mul_f64_e32 v[22:23], v[6:7], v[22:23]
	v_add_f64_e32 v[140:141], v[172:173], v[170:171]
	v_add_f64_e32 v[162:163], v[162:163], v[168:169]
	s_wait_loadcnt_dscnt 0xb00
	v_mul_f64_e32 v[168:169], v[12:13], v[26:27]
	v_mul_f64_e32 v[26:27], v[14:15], v[26:27]
	v_fmac_f64_e32 v[164:165], v[6:7], v[20:21]
	v_fma_f64 v[170:171], v[4:5], v[20:21], -v[22:23]
	ds_load_b128 v[4:7], v2 offset:1024
	ds_load_b128 v[20:23], v2 offset:1040
	v_add_f64_e32 v[172:173], v[140:141], v[138:139]
	v_add_f64_e32 v[162:163], v[162:163], v[166:167]
	scratch_load_b128 v[138:141], off, off offset:448
	s_wait_loadcnt_dscnt 0xb01
	v_mul_f64_e32 v[166:167], v[4:5], v[30:31]
	v_mul_f64_e32 v[30:31], v[6:7], v[30:31]
	v_fmac_f64_e32 v[168:169], v[14:15], v[24:25]
	v_fma_f64 v[24:25], v[12:13], v[24:25], -v[26:27]
	scratch_load_b128 v[12:15], off, off offset:464
	v_add_f64_e32 v[26:27], v[172:173], v[170:171]
	v_add_f64_e32 v[162:163], v[162:163], v[164:165]
	s_wait_loadcnt_dscnt 0xb00
	v_mul_f64_e32 v[164:165], v[20:21], v[128:129]
	v_mul_f64_e32 v[128:129], v[22:23], v[128:129]
	v_fmac_f64_e32 v[166:167], v[6:7], v[28:29]
	v_fma_f64 v[170:171], v[4:5], v[28:29], -v[30:31]
	v_add_f64_e32 v[172:173], v[26:27], v[24:25]
	v_add_f64_e32 v[162:163], v[162:163], v[168:169]
	ds_load_b128 v[4:7], v2 offset:1056
	ds_load_b128 v[24:27], v2 offset:1072
	scratch_load_b128 v[28:31], off, off offset:480
	v_fmac_f64_e32 v[164:165], v[22:23], v[126:127]
	v_fma_f64 v[126:127], v[20:21], v[126:127], -v[128:129]
	scratch_load_b128 v[20:23], off, off offset:496
	s_wait_loadcnt_dscnt 0xc01
	v_mul_f64_e32 v[168:169], v[4:5], v[132:133]
	v_mul_f64_e32 v[132:133], v[6:7], v[132:133]
	v_add_f64_e32 v[128:129], v[172:173], v[170:171]
	v_add_f64_e32 v[162:163], v[162:163], v[166:167]
	s_wait_loadcnt_dscnt 0xb00
	v_mul_f64_e32 v[166:167], v[24:25], v[136:137]
	v_mul_f64_e32 v[136:137], v[26:27], v[136:137]
	v_fmac_f64_e32 v[168:169], v[6:7], v[130:131]
	v_fma_f64 v[170:171], v[4:5], v[130:131], -v[132:133]
	v_add_f64_e32 v[172:173], v[128:129], v[126:127]
	v_add_f64_e32 v[162:163], v[162:163], v[164:165]
	ds_load_b128 v[4:7], v2 offset:1088
	ds_load_b128 v[126:129], v2 offset:1104
	scratch_load_b128 v[130:133], off, off offset:512
	v_fmac_f64_e32 v[166:167], v[26:27], v[134:135]
	v_fma_f64 v[134:135], v[24:25], v[134:135], -v[136:137]
	scratch_load_b128 v[24:27], off, off offset:528
	s_wait_loadcnt_dscnt 0xc01
	v_mul_f64_e32 v[164:165], v[4:5], v[144:145]
	v_mul_f64_e32 v[144:145], v[6:7], v[144:145]
	;; [unrolled: 18-line block ×5, first 2 shown]
	v_add_f64_e32 v[156:157], v[172:173], v[170:171]
	v_add_f64_e32 v[162:163], v[162:163], v[168:169]
	s_wait_loadcnt_dscnt 0xa00
	v_mul_f64_e32 v[168:169], v[134:135], v[14:15]
	v_mul_f64_e32 v[14:15], v[136:137], v[14:15]
	v_fmac_f64_e32 v[164:165], v[6:7], v[138:139]
	v_fma_f64 v[170:171], v[4:5], v[138:139], -v[140:141]
	ds_load_b128 v[4:7], v2 offset:1216
	ds_load_b128 v[138:141], v2 offset:1232
	v_add_f64_e32 v[172:173], v[156:157], v[154:155]
	v_add_f64_e32 v[162:163], v[162:163], v[166:167]
	scratch_load_b128 v[154:157], off, off offset:640
	v_fmac_f64_e32 v[168:169], v[136:137], v[12:13]
	v_fma_f64 v[134:135], v[134:135], v[12:13], -v[14:15]
	scratch_load_b128 v[12:15], off, off offset:656
	s_wait_loadcnt_dscnt 0xb01
	v_mul_f64_e32 v[166:167], v[4:5], v[30:31]
	v_mul_f64_e32 v[30:31], v[6:7], v[30:31]
	v_add_f64_e32 v[136:137], v[172:173], v[170:171]
	v_add_f64_e32 v[162:163], v[162:163], v[164:165]
	s_wait_loadcnt_dscnt 0xa00
	v_mul_f64_e32 v[164:165], v[138:139], v[22:23]
	v_mul_f64_e32 v[22:23], v[140:141], v[22:23]
	v_fmac_f64_e32 v[166:167], v[6:7], v[28:29]
	v_fma_f64 v[170:171], v[4:5], v[28:29], -v[30:31]
	ds_load_b128 v[4:7], v2 offset:1248
	ds_load_b128 v[28:31], v2 offset:1264
	v_add_f64_e32 v[172:173], v[136:137], v[134:135]
	v_add_f64_e32 v[162:163], v[162:163], v[168:169]
	scratch_load_b128 v[134:137], off, off offset:672
	s_wait_loadcnt_dscnt 0xa01
	v_mul_f64_e32 v[168:169], v[4:5], v[132:133]
	v_mul_f64_e32 v[132:133], v[6:7], v[132:133]
	v_fmac_f64_e32 v[164:165], v[140:141], v[20:21]
	v_fma_f64 v[138:139], v[138:139], v[20:21], -v[22:23]
	scratch_load_b128 v[20:23], off, off offset:688
	v_add_f64_e32 v[140:141], v[172:173], v[170:171]
	v_add_f64_e32 v[162:163], v[162:163], v[166:167]
	s_wait_loadcnt_dscnt 0xa00
	v_mul_f64_e32 v[166:167], v[28:29], v[26:27]
	v_mul_f64_e32 v[26:27], v[30:31], v[26:27]
	v_fmac_f64_e32 v[168:169], v[6:7], v[130:131]
	v_fma_f64 v[170:171], v[4:5], v[130:131], -v[132:133]
	ds_load_b128 v[4:7], v2 offset:1280
	ds_load_b128 v[130:133], v2 offset:1296
	v_add_f64_e32 v[172:173], v[140:141], v[138:139]
	v_add_f64_e32 v[162:163], v[162:163], v[164:165]
	scratch_load_b128 v[138:141], off, off offset:704
	s_wait_loadcnt_dscnt 0xa01
	v_mul_f64_e32 v[164:165], v[4:5], v[144:145]
	v_mul_f64_e32 v[144:145], v[6:7], v[144:145]
	v_fmac_f64_e32 v[166:167], v[30:31], v[24:25]
	v_fma_f64 v[28:29], v[28:29], v[24:25], -v[26:27]
	scratch_load_b128 v[24:27], off, off offset:720
	v_add_f64_e32 v[30:31], v[172:173], v[170:171]
	v_add_f64_e32 v[162:163], v[162:163], v[168:169]
	s_wait_loadcnt_dscnt 0xa00
	v_mul_f64_e32 v[168:169], v[130:131], v[128:129]
	v_mul_f64_e32 v[128:129], v[132:133], v[128:129]
	v_fmac_f64_e32 v[164:165], v[6:7], v[142:143]
	v_fma_f64 v[142:143], v[4:5], v[142:143], -v[144:145]
	v_add_f64_e32 v[144:145], v[30:31], v[28:29]
	v_add_f64_e32 v[162:163], v[162:163], v[166:167]
	ds_load_b128 v[4:7], v2 offset:1312
	ds_load_b128 v[28:31], v2 offset:1328
	v_fmac_f64_e32 v[168:169], v[132:133], v[126:127]
	v_fma_f64 v[126:127], v[130:131], v[126:127], -v[128:129]
	s_wait_loadcnt_dscnt 0x901
	v_mul_f64_e32 v[166:167], v[4:5], v[160:161]
	v_mul_f64_e32 v[160:161], v[6:7], v[160:161]
	s_wait_loadcnt_dscnt 0x800
	v_mul_f64_e32 v[132:133], v[28:29], v[10:11]
	v_mul_f64_e32 v[10:11], v[30:31], v[10:11]
	v_add_f64_e32 v[128:129], v[144:145], v[142:143]
	v_add_f64_e32 v[130:131], v[162:163], v[164:165]
	v_fmac_f64_e32 v[166:167], v[6:7], v[158:159]
	v_fma_f64 v[142:143], v[4:5], v[158:159], -v[160:161]
	v_fmac_f64_e32 v[132:133], v[30:31], v[8:9]
	v_fma_f64 v[8:9], v[28:29], v[8:9], -v[10:11]
	v_add_f64_e32 v[144:145], v[128:129], v[126:127]
	v_add_f64_e32 v[130:131], v[130:131], v[168:169]
	ds_load_b128 v[4:7], v2 offset:1344
	ds_load_b128 v[126:129], v2 offset:1360
	s_wait_loadcnt_dscnt 0x701
	v_mul_f64_e32 v[158:159], v[4:5], v[148:149]
	v_mul_f64_e32 v[148:149], v[6:7], v[148:149]
	s_wait_loadcnt_dscnt 0x600
	v_mul_f64_e32 v[30:31], v[126:127], v[18:19]
	v_mul_f64_e32 v[18:19], v[128:129], v[18:19]
	v_add_f64_e32 v[10:11], v[144:145], v[142:143]
	v_add_f64_e32 v[28:29], v[130:131], v[166:167]
	v_fmac_f64_e32 v[158:159], v[6:7], v[146:147]
	v_fma_f64 v[130:131], v[4:5], v[146:147], -v[148:149]
	v_fmac_f64_e32 v[30:31], v[128:129], v[16:17]
	v_fma_f64 v[16:17], v[126:127], v[16:17], -v[18:19]
	v_add_f64_e32 v[142:143], v[10:11], v[8:9]
	v_add_f64_e32 v[28:29], v[28:29], v[132:133]
	ds_load_b128 v[4:7], v2 offset:1376
	ds_load_b128 v[8:11], v2 offset:1392
	;; [unrolled: 16-line block ×3, first 2 shown]
	s_wait_loadcnt_dscnt 0x301
	v_mul_f64_e32 v[30:31], v[4:5], v[136:137]
	v_mul_f64_e32 v[136:137], v[6:7], v[136:137]
	v_add_f64_e32 v[10:11], v[18:19], v[130:131]
	v_add_f64_e32 v[12:13], v[28:29], v[132:133]
	s_wait_loadcnt_dscnt 0x200
	v_mul_f64_e32 v[18:19], v[14:15], v[22:23]
	v_mul_f64_e32 v[22:23], v[16:17], v[22:23]
	v_fmac_f64_e32 v[30:31], v[6:7], v[134:135]
	v_fma_f64 v[28:29], v[4:5], v[134:135], -v[136:137]
	v_add_f64_e32 v[128:129], v[10:11], v[8:9]
	v_add_f64_e32 v[12:13], v[12:13], v[126:127]
	ds_load_b128 v[4:7], v2 offset:1440
	ds_load_b128 v[8:11], v2 offset:1456
	v_fmac_f64_e32 v[18:19], v[16:17], v[20:21]
	v_fma_f64 v[14:15], v[14:15], v[20:21], -v[22:23]
	s_wait_loadcnt_dscnt 0x101
	v_mul_f64_e32 v[2:3], v[4:5], v[140:141]
	v_mul_f64_e32 v[126:127], v[6:7], v[140:141]
	s_wait_loadcnt_dscnt 0x0
	v_mul_f64_e32 v[20:21], v[8:9], v[26:27]
	v_mul_f64_e32 v[22:23], v[10:11], v[26:27]
	v_add_f64_e32 v[16:17], v[128:129], v[28:29]
	v_add_f64_e32 v[12:13], v[12:13], v[30:31]
	v_fmac_f64_e32 v[2:3], v[6:7], v[138:139]
	v_fma_f64 v[4:5], v[4:5], v[138:139], -v[126:127]
	v_fmac_f64_e32 v[20:21], v[10:11], v[24:25]
	v_fma_f64 v[8:9], v[8:9], v[24:25], -v[22:23]
	v_add_f64_e32 v[6:7], v[16:17], v[14:15]
	v_add_f64_e32 v[12:13], v[12:13], v[18:19]
	s_delay_alu instid0(VALU_DEP_2) | instskip(NEXT) | instid1(VALU_DEP_2)
	v_add_f64_e32 v[4:5], v[6:7], v[4:5]
	v_add_f64_e32 v[2:3], v[12:13], v[2:3]
	s_delay_alu instid0(VALU_DEP_2) | instskip(NEXT) | instid1(VALU_DEP_2)
	;; [unrolled: 3-line block ×3, first 2 shown]
	v_add_f64_e64 v[2:3], v[150:151], -v[4:5]
	v_add_f64_e64 v[4:5], v[152:153], -v[6:7]
	scratch_store_b128 off, v[2:5], off offset:176
	s_wait_xcnt 0x0
	v_cmpx_lt_u32_e32 10, v1
	s_cbranch_execz .LBB45_269
; %bb.268:
	scratch_load_b128 v[2:5], off, s50
	v_mov_b32_e32 v6, 0
	s_delay_alu instid0(VALU_DEP_1)
	v_dual_mov_b32 v7, v6 :: v_dual_mov_b32 v8, v6
	v_mov_b32_e32 v9, v6
	scratch_store_b128 off, v[6:9], off offset:160
	s_wait_loadcnt 0x0
	ds_store_b128 v124, v[2:5]
.LBB45_269:
	s_wait_xcnt 0x0
	s_or_b32 exec_lo, exec_lo, s2
	s_wait_storecnt_dscnt 0x0
	s_barrier_signal -1
	s_barrier_wait -1
	s_clause 0x9
	scratch_load_b128 v[4:7], off, off offset:176
	scratch_load_b128 v[8:11], off, off offset:192
	;; [unrolled: 1-line block ×10, first 2 shown]
	v_mov_b32_e32 v2, 0
	s_mov_b32 s2, exec_lo
	ds_load_b128 v[138:141], v2 offset:912
	s_clause 0x2
	scratch_load_b128 v[142:145], off, off offset:336
	scratch_load_b128 v[146:149], off, off offset:160
	scratch_load_b128 v[154:157], off, off offset:352
	s_wait_loadcnt_dscnt 0xc00
	v_mul_f64_e32 v[158:159], v[140:141], v[6:7]
	v_mul_f64_e32 v[162:163], v[138:139], v[6:7]
	ds_load_b128 v[150:153], v2 offset:928
	v_fma_f64 v[166:167], v[138:139], v[4:5], -v[158:159]
	v_fmac_f64_e32 v[162:163], v[140:141], v[4:5]
	ds_load_b128 v[4:7], v2 offset:944
	s_wait_loadcnt_dscnt 0xb01
	v_mul_f64_e32 v[164:165], v[150:151], v[10:11]
	v_mul_f64_e32 v[10:11], v[152:153], v[10:11]
	scratch_load_b128 v[138:141], off, off offset:368
	ds_load_b128 v[158:161], v2 offset:960
	s_wait_loadcnt_dscnt 0xb01
	v_mul_f64_e32 v[168:169], v[4:5], v[14:15]
	v_mul_f64_e32 v[14:15], v[6:7], v[14:15]
	v_add_f64_e32 v[162:163], 0, v[162:163]
	v_fmac_f64_e32 v[164:165], v[152:153], v[8:9]
	v_fma_f64 v[150:151], v[150:151], v[8:9], -v[10:11]
	v_add_f64_e32 v[152:153], 0, v[166:167]
	scratch_load_b128 v[8:11], off, off offset:384
	v_fmac_f64_e32 v[168:169], v[6:7], v[12:13]
	v_fma_f64 v[170:171], v[4:5], v[12:13], -v[14:15]
	ds_load_b128 v[4:7], v2 offset:976
	s_wait_loadcnt_dscnt 0xb01
	v_mul_f64_e32 v[166:167], v[158:159], v[18:19]
	v_mul_f64_e32 v[18:19], v[160:161], v[18:19]
	scratch_load_b128 v[12:15], off, off offset:400
	v_add_f64_e32 v[162:163], v[162:163], v[164:165]
	v_add_f64_e32 v[172:173], v[152:153], v[150:151]
	ds_load_b128 v[150:153], v2 offset:992
	s_wait_loadcnt_dscnt 0xb01
	v_mul_f64_e32 v[164:165], v[4:5], v[22:23]
	v_mul_f64_e32 v[22:23], v[6:7], v[22:23]
	v_fmac_f64_e32 v[166:167], v[160:161], v[16:17]
	v_fma_f64 v[158:159], v[158:159], v[16:17], -v[18:19]
	scratch_load_b128 v[16:19], off, off offset:416
	v_add_f64_e32 v[162:163], v[162:163], v[168:169]
	v_add_f64_e32 v[160:161], v[172:173], v[170:171]
	v_fmac_f64_e32 v[164:165], v[6:7], v[20:21]
	v_fma_f64 v[170:171], v[4:5], v[20:21], -v[22:23]
	ds_load_b128 v[4:7], v2 offset:1008
	s_wait_loadcnt_dscnt 0xb01
	v_mul_f64_e32 v[168:169], v[150:151], v[26:27]
	v_mul_f64_e32 v[26:27], v[152:153], v[26:27]
	scratch_load_b128 v[20:23], off, off offset:432
	v_add_f64_e32 v[162:163], v[162:163], v[166:167]
	s_wait_loadcnt_dscnt 0xb00
	v_mul_f64_e32 v[166:167], v[4:5], v[30:31]
	v_add_f64_e32 v[172:173], v[160:161], v[158:159]
	v_mul_f64_e32 v[30:31], v[6:7], v[30:31]
	ds_load_b128 v[158:161], v2 offset:1024
	v_fmac_f64_e32 v[168:169], v[152:153], v[24:25]
	v_fma_f64 v[150:151], v[150:151], v[24:25], -v[26:27]
	scratch_load_b128 v[24:27], off, off offset:448
	v_add_f64_e32 v[162:163], v[162:163], v[164:165]
	v_fmac_f64_e32 v[166:167], v[6:7], v[28:29]
	v_add_f64_e32 v[152:153], v[172:173], v[170:171]
	v_fma_f64 v[170:171], v[4:5], v[28:29], -v[30:31]
	ds_load_b128 v[4:7], v2 offset:1040
	s_wait_loadcnt_dscnt 0xb01
	v_mul_f64_e32 v[164:165], v[158:159], v[128:129]
	v_mul_f64_e32 v[128:129], v[160:161], v[128:129]
	scratch_load_b128 v[28:31], off, off offset:464
	v_add_f64_e32 v[162:163], v[162:163], v[168:169]
	s_wait_loadcnt_dscnt 0xb00
	v_mul_f64_e32 v[168:169], v[4:5], v[132:133]
	v_add_f64_e32 v[172:173], v[152:153], v[150:151]
	v_mul_f64_e32 v[132:133], v[6:7], v[132:133]
	ds_load_b128 v[150:153], v2 offset:1056
	v_fmac_f64_e32 v[164:165], v[160:161], v[126:127]
	v_fma_f64 v[158:159], v[158:159], v[126:127], -v[128:129]
	scratch_load_b128 v[126:129], off, off offset:480
	v_add_f64_e32 v[162:163], v[162:163], v[166:167]
	v_fmac_f64_e32 v[168:169], v[6:7], v[130:131]
	v_add_f64_e32 v[160:161], v[172:173], v[170:171]
	;; [unrolled: 18-line block ×3, first 2 shown]
	v_fma_f64 v[170:171], v[4:5], v[142:143], -v[144:145]
	ds_load_b128 v[4:7], v2 offset:1104
	s_wait_loadcnt_dscnt 0xa01
	v_mul_f64_e32 v[168:169], v[158:159], v[156:157]
	v_mul_f64_e32 v[156:157], v[160:161], v[156:157]
	scratch_load_b128 v[142:145], off, off offset:528
	v_add_f64_e32 v[162:163], v[162:163], v[166:167]
	v_add_f64_e32 v[172:173], v[152:153], v[150:151]
	s_wait_loadcnt_dscnt 0xa00
	v_mul_f64_e32 v[166:167], v[4:5], v[140:141]
	v_mul_f64_e32 v[140:141], v[6:7], v[140:141]
	v_fmac_f64_e32 v[168:169], v[160:161], v[154:155]
	v_fma_f64 v[158:159], v[158:159], v[154:155], -v[156:157]
	ds_load_b128 v[150:153], v2 offset:1120
	scratch_load_b128 v[154:157], off, off offset:544
	v_add_f64_e32 v[162:163], v[162:163], v[164:165]
	v_add_f64_e32 v[160:161], v[172:173], v[170:171]
	v_fmac_f64_e32 v[166:167], v[6:7], v[138:139]
	v_fma_f64 v[170:171], v[4:5], v[138:139], -v[140:141]
	ds_load_b128 v[4:7], v2 offset:1136
	s_wait_loadcnt_dscnt 0xa01
	v_mul_f64_e32 v[164:165], v[150:151], v[10:11]
	v_mul_f64_e32 v[10:11], v[152:153], v[10:11]
	scratch_load_b128 v[138:141], off, off offset:560
	v_add_f64_e32 v[162:163], v[162:163], v[168:169]
	s_wait_loadcnt_dscnt 0xa00
	v_mul_f64_e32 v[168:169], v[4:5], v[14:15]
	v_add_f64_e32 v[172:173], v[160:161], v[158:159]
	v_mul_f64_e32 v[14:15], v[6:7], v[14:15]
	ds_load_b128 v[158:161], v2 offset:1152
	v_fmac_f64_e32 v[164:165], v[152:153], v[8:9]
	v_fma_f64 v[150:151], v[150:151], v[8:9], -v[10:11]
	scratch_load_b128 v[8:11], off, off offset:576
	v_add_f64_e32 v[162:163], v[162:163], v[166:167]
	v_fmac_f64_e32 v[168:169], v[6:7], v[12:13]
	v_add_f64_e32 v[152:153], v[172:173], v[170:171]
	v_fma_f64 v[170:171], v[4:5], v[12:13], -v[14:15]
	ds_load_b128 v[4:7], v2 offset:1168
	s_wait_loadcnt_dscnt 0xa01
	v_mul_f64_e32 v[166:167], v[158:159], v[18:19]
	v_mul_f64_e32 v[18:19], v[160:161], v[18:19]
	scratch_load_b128 v[12:15], off, off offset:592
	v_add_f64_e32 v[162:163], v[162:163], v[164:165]
	s_wait_loadcnt_dscnt 0xa00
	v_mul_f64_e32 v[164:165], v[4:5], v[22:23]
	v_add_f64_e32 v[172:173], v[152:153], v[150:151]
	v_mul_f64_e32 v[22:23], v[6:7], v[22:23]
	ds_load_b128 v[150:153], v2 offset:1184
	v_fmac_f64_e32 v[166:167], v[160:161], v[16:17]
	v_fma_f64 v[158:159], v[158:159], v[16:17], -v[18:19]
	scratch_load_b128 v[16:19], off, off offset:608
	v_add_f64_e32 v[162:163], v[162:163], v[168:169]
	v_fmac_f64_e32 v[164:165], v[6:7], v[20:21]
	v_add_f64_e32 v[160:161], v[172:173], v[170:171]
	;; [unrolled: 18-line block ×5, first 2 shown]
	v_fma_f64 v[170:171], v[4:5], v[142:143], -v[144:145]
	ds_load_b128 v[4:7], v2 offset:1296
	s_wait_loadcnt_dscnt 0xa01
	v_mul_f64_e32 v[168:169], v[158:159], v[156:157]
	v_mul_f64_e32 v[156:157], v[160:161], v[156:157]
	scratch_load_b128 v[142:145], off, off offset:720
	v_add_f64_e32 v[162:163], v[162:163], v[166:167]
	s_wait_loadcnt_dscnt 0xa00
	v_mul_f64_e32 v[166:167], v[4:5], v[140:141]
	v_add_f64_e32 v[172:173], v[152:153], v[150:151]
	v_mul_f64_e32 v[140:141], v[6:7], v[140:141]
	ds_load_b128 v[150:153], v2 offset:1312
	v_fmac_f64_e32 v[168:169], v[160:161], v[154:155]
	v_fma_f64 v[154:155], v[158:159], v[154:155], -v[156:157]
	s_wait_loadcnt_dscnt 0x900
	v_mul_f64_e32 v[160:161], v[150:151], v[10:11]
	v_mul_f64_e32 v[10:11], v[152:153], v[10:11]
	v_add_f64_e32 v[158:159], v[162:163], v[164:165]
	v_fmac_f64_e32 v[166:167], v[6:7], v[138:139]
	v_add_f64_e32 v[156:157], v[172:173], v[170:171]
	v_fma_f64 v[162:163], v[4:5], v[138:139], -v[140:141]
	ds_load_b128 v[4:7], v2 offset:1328
	ds_load_b128 v[138:141], v2 offset:1344
	v_fmac_f64_e32 v[160:161], v[152:153], v[8:9]
	v_fma_f64 v[8:9], v[150:151], v[8:9], -v[10:11]
	v_add_f64_e32 v[154:155], v[156:157], v[154:155]
	v_add_f64_e32 v[156:157], v[158:159], v[168:169]
	s_wait_loadcnt_dscnt 0x801
	v_mul_f64_e32 v[158:159], v[4:5], v[14:15]
	v_mul_f64_e32 v[14:15], v[6:7], v[14:15]
	s_wait_loadcnt_dscnt 0x700
	v_mul_f64_e32 v[152:153], v[138:139], v[18:19]
	v_mul_f64_e32 v[18:19], v[140:141], v[18:19]
	v_add_f64_e32 v[10:11], v[154:155], v[162:163]
	v_add_f64_e32 v[150:151], v[156:157], v[166:167]
	v_fmac_f64_e32 v[158:159], v[6:7], v[12:13]
	v_fma_f64 v[12:13], v[4:5], v[12:13], -v[14:15]
	v_fmac_f64_e32 v[152:153], v[140:141], v[16:17]
	v_fma_f64 v[16:17], v[138:139], v[16:17], -v[18:19]
	v_add_f64_e32 v[14:15], v[10:11], v[8:9]
	v_add_f64_e32 v[150:151], v[150:151], v[160:161]
	ds_load_b128 v[4:7], v2 offset:1360
	ds_load_b128 v[8:11], v2 offset:1376
	s_wait_loadcnt_dscnt 0x601
	v_mul_f64_e32 v[154:155], v[4:5], v[22:23]
	v_mul_f64_e32 v[22:23], v[6:7], v[22:23]
	s_wait_loadcnt_dscnt 0x500
	v_mul_f64_e32 v[18:19], v[8:9], v[26:27]
	v_mul_f64_e32 v[26:27], v[10:11], v[26:27]
	v_add_f64_e32 v[12:13], v[14:15], v[12:13]
	v_add_f64_e32 v[14:15], v[150:151], v[158:159]
	v_fmac_f64_e32 v[154:155], v[6:7], v[20:21]
	v_fma_f64 v[20:21], v[4:5], v[20:21], -v[22:23]
	v_fmac_f64_e32 v[18:19], v[10:11], v[24:25]
	v_fma_f64 v[8:9], v[8:9], v[24:25], -v[26:27]
	v_add_f64_e32 v[16:17], v[12:13], v[16:17]
	v_add_f64_e32 v[22:23], v[14:15], v[152:153]
	ds_load_b128 v[4:7], v2 offset:1392
	ds_load_b128 v[12:15], v2 offset:1408
	s_wait_loadcnt_dscnt 0x401
	v_mul_f64_e32 v[138:139], v[4:5], v[30:31]
	v_mul_f64_e32 v[30:31], v[6:7], v[30:31]
	v_add_f64_e32 v[10:11], v[16:17], v[20:21]
	v_add_f64_e32 v[16:17], v[22:23], v[154:155]
	s_wait_loadcnt_dscnt 0x300
	v_mul_f64_e32 v[20:21], v[12:13], v[128:129]
	v_mul_f64_e32 v[22:23], v[14:15], v[128:129]
	v_fmac_f64_e32 v[138:139], v[6:7], v[28:29]
	v_fma_f64 v[24:25], v[4:5], v[28:29], -v[30:31]
	v_add_f64_e32 v[26:27], v[10:11], v[8:9]
	v_add_f64_e32 v[16:17], v[16:17], v[18:19]
	ds_load_b128 v[4:7], v2 offset:1424
	ds_load_b128 v[8:11], v2 offset:1440
	v_fmac_f64_e32 v[20:21], v[14:15], v[126:127]
	v_fma_f64 v[12:13], v[12:13], v[126:127], -v[22:23]
	s_wait_loadcnt_dscnt 0x201
	v_mul_f64_e32 v[18:19], v[4:5], v[132:133]
	v_mul_f64_e32 v[28:29], v[6:7], v[132:133]
	s_wait_loadcnt_dscnt 0x100
	v_mul_f64_e32 v[22:23], v[8:9], v[136:137]
	v_add_f64_e32 v[14:15], v[26:27], v[24:25]
	v_add_f64_e32 v[16:17], v[16:17], v[138:139]
	v_mul_f64_e32 v[24:25], v[10:11], v[136:137]
	v_fmac_f64_e32 v[18:19], v[6:7], v[130:131]
	v_fma_f64 v[26:27], v[4:5], v[130:131], -v[28:29]
	ds_load_b128 v[4:7], v2 offset:1456
	v_fmac_f64_e32 v[22:23], v[10:11], v[134:135]
	v_add_f64_e32 v[12:13], v[14:15], v[12:13]
	v_add_f64_e32 v[14:15], v[16:17], v[20:21]
	v_fma_f64 v[8:9], v[8:9], v[134:135], -v[24:25]
	s_wait_loadcnt_dscnt 0x0
	v_mul_f64_e32 v[16:17], v[4:5], v[144:145]
	v_mul_f64_e32 v[20:21], v[6:7], v[144:145]
	v_add_f64_e32 v[10:11], v[12:13], v[26:27]
	v_add_f64_e32 v[12:13], v[14:15], v[18:19]
	s_delay_alu instid0(VALU_DEP_4) | instskip(NEXT) | instid1(VALU_DEP_4)
	v_fmac_f64_e32 v[16:17], v[6:7], v[142:143]
	v_fma_f64 v[4:5], v[4:5], v[142:143], -v[20:21]
	s_delay_alu instid0(VALU_DEP_4) | instskip(NEXT) | instid1(VALU_DEP_4)
	v_add_f64_e32 v[6:7], v[10:11], v[8:9]
	v_add_f64_e32 v[8:9], v[12:13], v[22:23]
	s_delay_alu instid0(VALU_DEP_2) | instskip(NEXT) | instid1(VALU_DEP_2)
	v_add_f64_e32 v[4:5], v[6:7], v[4:5]
	v_add_f64_e32 v[6:7], v[8:9], v[16:17]
	s_delay_alu instid0(VALU_DEP_2) | instskip(NEXT) | instid1(VALU_DEP_2)
	v_add_f64_e64 v[4:5], v[146:147], -v[4:5]
	v_add_f64_e64 v[6:7], v[148:149], -v[6:7]
	scratch_store_b128 off, v[4:7], off offset:160
	s_wait_xcnt 0x0
	v_cmpx_lt_u32_e32 9, v1
	s_cbranch_execz .LBB45_271
; %bb.270:
	scratch_load_b128 v[6:9], off, s48
	v_dual_mov_b32 v3, v2 :: v_dual_mov_b32 v4, v2
	v_mov_b32_e32 v5, v2
	scratch_store_b128 off, v[2:5], off offset:144
	s_wait_loadcnt 0x0
	ds_store_b128 v124, v[6:9]
.LBB45_271:
	s_wait_xcnt 0x0
	s_or_b32 exec_lo, exec_lo, s2
	s_wait_storecnt_dscnt 0x0
	s_barrier_signal -1
	s_barrier_wait -1
	s_clause 0x9
	scratch_load_b128 v[4:7], off, off offset:160
	scratch_load_b128 v[8:11], off, off offset:176
	;; [unrolled: 1-line block ×10, first 2 shown]
	ds_load_b128 v[138:141], v2 offset:896
	ds_load_b128 v[146:149], v2 offset:912
	s_clause 0x2
	scratch_load_b128 v[142:145], off, off offset:320
	scratch_load_b128 v[150:153], off, off offset:144
	;; [unrolled: 1-line block ×3, first 2 shown]
	s_mov_b32 s2, exec_lo
	s_wait_loadcnt_dscnt 0xc01
	v_mul_f64_e32 v[158:159], v[140:141], v[6:7]
	v_mul_f64_e32 v[162:163], v[138:139], v[6:7]
	s_wait_loadcnt_dscnt 0xb00
	v_mul_f64_e32 v[164:165], v[146:147], v[10:11]
	v_mul_f64_e32 v[10:11], v[148:149], v[10:11]
	s_delay_alu instid0(VALU_DEP_4) | instskip(NEXT) | instid1(VALU_DEP_4)
	v_fma_f64 v[166:167], v[138:139], v[4:5], -v[158:159]
	v_fmac_f64_e32 v[162:163], v[140:141], v[4:5]
	ds_load_b128 v[4:7], v2 offset:928
	ds_load_b128 v[138:141], v2 offset:944
	scratch_load_b128 v[158:161], off, off offset:352
	v_fmac_f64_e32 v[164:165], v[148:149], v[8:9]
	v_fma_f64 v[146:147], v[146:147], v[8:9], -v[10:11]
	scratch_load_b128 v[8:11], off, off offset:368
	s_wait_loadcnt_dscnt 0xc01
	v_mul_f64_e32 v[168:169], v[4:5], v[14:15]
	v_mul_f64_e32 v[14:15], v[6:7], v[14:15]
	v_add_f64_e32 v[148:149], 0, v[166:167]
	v_add_f64_e32 v[162:163], 0, v[162:163]
	s_wait_loadcnt_dscnt 0xb00
	v_mul_f64_e32 v[166:167], v[138:139], v[18:19]
	v_mul_f64_e32 v[18:19], v[140:141], v[18:19]
	v_fmac_f64_e32 v[168:169], v[6:7], v[12:13]
	v_fma_f64 v[170:171], v[4:5], v[12:13], -v[14:15]
	ds_load_b128 v[4:7], v2 offset:960
	ds_load_b128 v[12:15], v2 offset:976
	v_add_f64_e32 v[172:173], v[148:149], v[146:147]
	v_add_f64_e32 v[162:163], v[162:163], v[164:165]
	scratch_load_b128 v[146:149], off, off offset:384
	v_fmac_f64_e32 v[166:167], v[140:141], v[16:17]
	v_fma_f64 v[138:139], v[138:139], v[16:17], -v[18:19]
	scratch_load_b128 v[16:19], off, off offset:400
	s_wait_loadcnt_dscnt 0xc01
	v_mul_f64_e32 v[164:165], v[4:5], v[22:23]
	v_mul_f64_e32 v[22:23], v[6:7], v[22:23]
	v_add_f64_e32 v[140:141], v[172:173], v[170:171]
	v_add_f64_e32 v[162:163], v[162:163], v[168:169]
	s_wait_loadcnt_dscnt 0xb00
	v_mul_f64_e32 v[168:169], v[12:13], v[26:27]
	v_mul_f64_e32 v[26:27], v[14:15], v[26:27]
	v_fmac_f64_e32 v[164:165], v[6:7], v[20:21]
	v_fma_f64 v[170:171], v[4:5], v[20:21], -v[22:23]
	ds_load_b128 v[4:7], v2 offset:992
	ds_load_b128 v[20:23], v2 offset:1008
	v_add_f64_e32 v[172:173], v[140:141], v[138:139]
	v_add_f64_e32 v[162:163], v[162:163], v[166:167]
	scratch_load_b128 v[138:141], off, off offset:416
	s_wait_loadcnt_dscnt 0xb01
	v_mul_f64_e32 v[166:167], v[4:5], v[30:31]
	v_mul_f64_e32 v[30:31], v[6:7], v[30:31]
	v_fmac_f64_e32 v[168:169], v[14:15], v[24:25]
	v_fma_f64 v[24:25], v[12:13], v[24:25], -v[26:27]
	scratch_load_b128 v[12:15], off, off offset:432
	v_add_f64_e32 v[26:27], v[172:173], v[170:171]
	v_add_f64_e32 v[162:163], v[162:163], v[164:165]
	s_wait_loadcnt_dscnt 0xb00
	v_mul_f64_e32 v[164:165], v[20:21], v[128:129]
	v_mul_f64_e32 v[128:129], v[22:23], v[128:129]
	v_fmac_f64_e32 v[166:167], v[6:7], v[28:29]
	v_fma_f64 v[170:171], v[4:5], v[28:29], -v[30:31]
	v_add_f64_e32 v[172:173], v[26:27], v[24:25]
	v_add_f64_e32 v[162:163], v[162:163], v[168:169]
	ds_load_b128 v[4:7], v2 offset:1024
	ds_load_b128 v[24:27], v2 offset:1040
	scratch_load_b128 v[28:31], off, off offset:448
	v_fmac_f64_e32 v[164:165], v[22:23], v[126:127]
	v_fma_f64 v[126:127], v[20:21], v[126:127], -v[128:129]
	scratch_load_b128 v[20:23], off, off offset:464
	s_wait_loadcnt_dscnt 0xc01
	v_mul_f64_e32 v[168:169], v[4:5], v[132:133]
	v_mul_f64_e32 v[132:133], v[6:7], v[132:133]
	v_add_f64_e32 v[128:129], v[172:173], v[170:171]
	v_add_f64_e32 v[162:163], v[162:163], v[166:167]
	s_wait_loadcnt_dscnt 0xb00
	v_mul_f64_e32 v[166:167], v[24:25], v[136:137]
	v_mul_f64_e32 v[136:137], v[26:27], v[136:137]
	v_fmac_f64_e32 v[168:169], v[6:7], v[130:131]
	v_fma_f64 v[170:171], v[4:5], v[130:131], -v[132:133]
	v_add_f64_e32 v[172:173], v[128:129], v[126:127]
	v_add_f64_e32 v[162:163], v[162:163], v[164:165]
	ds_load_b128 v[4:7], v2 offset:1056
	ds_load_b128 v[126:129], v2 offset:1072
	scratch_load_b128 v[130:133], off, off offset:480
	v_fmac_f64_e32 v[166:167], v[26:27], v[134:135]
	v_fma_f64 v[134:135], v[24:25], v[134:135], -v[136:137]
	scratch_load_b128 v[24:27], off, off offset:496
	s_wait_loadcnt_dscnt 0xc01
	v_mul_f64_e32 v[164:165], v[4:5], v[144:145]
	v_mul_f64_e32 v[144:145], v[6:7], v[144:145]
	;; [unrolled: 18-line block ×5, first 2 shown]
	v_add_f64_e32 v[156:157], v[172:173], v[170:171]
	v_add_f64_e32 v[162:163], v[162:163], v[168:169]
	s_wait_loadcnt_dscnt 0xa00
	v_mul_f64_e32 v[168:169], v[134:135], v[14:15]
	v_mul_f64_e32 v[14:15], v[136:137], v[14:15]
	v_fmac_f64_e32 v[164:165], v[6:7], v[138:139]
	v_fma_f64 v[170:171], v[4:5], v[138:139], -v[140:141]
	ds_load_b128 v[4:7], v2 offset:1184
	ds_load_b128 v[138:141], v2 offset:1200
	v_add_f64_e32 v[172:173], v[156:157], v[154:155]
	v_add_f64_e32 v[162:163], v[162:163], v[166:167]
	scratch_load_b128 v[154:157], off, off offset:608
	v_fmac_f64_e32 v[168:169], v[136:137], v[12:13]
	v_fma_f64 v[134:135], v[134:135], v[12:13], -v[14:15]
	scratch_load_b128 v[12:15], off, off offset:624
	s_wait_loadcnt_dscnt 0xb01
	v_mul_f64_e32 v[166:167], v[4:5], v[30:31]
	v_mul_f64_e32 v[30:31], v[6:7], v[30:31]
	v_add_f64_e32 v[136:137], v[172:173], v[170:171]
	v_add_f64_e32 v[162:163], v[162:163], v[164:165]
	s_wait_loadcnt_dscnt 0xa00
	v_mul_f64_e32 v[164:165], v[138:139], v[22:23]
	v_mul_f64_e32 v[22:23], v[140:141], v[22:23]
	v_fmac_f64_e32 v[166:167], v[6:7], v[28:29]
	v_fma_f64 v[170:171], v[4:5], v[28:29], -v[30:31]
	ds_load_b128 v[4:7], v2 offset:1216
	ds_load_b128 v[28:31], v2 offset:1232
	v_add_f64_e32 v[172:173], v[136:137], v[134:135]
	v_add_f64_e32 v[162:163], v[162:163], v[168:169]
	scratch_load_b128 v[134:137], off, off offset:640
	s_wait_loadcnt_dscnt 0xa01
	v_mul_f64_e32 v[168:169], v[4:5], v[132:133]
	v_mul_f64_e32 v[132:133], v[6:7], v[132:133]
	v_fmac_f64_e32 v[164:165], v[140:141], v[20:21]
	v_fma_f64 v[138:139], v[138:139], v[20:21], -v[22:23]
	scratch_load_b128 v[20:23], off, off offset:656
	v_add_f64_e32 v[140:141], v[172:173], v[170:171]
	v_add_f64_e32 v[162:163], v[162:163], v[166:167]
	s_wait_loadcnt_dscnt 0xa00
	v_mul_f64_e32 v[166:167], v[28:29], v[26:27]
	v_mul_f64_e32 v[26:27], v[30:31], v[26:27]
	v_fmac_f64_e32 v[168:169], v[6:7], v[130:131]
	v_fma_f64 v[170:171], v[4:5], v[130:131], -v[132:133]
	ds_load_b128 v[4:7], v2 offset:1248
	ds_load_b128 v[130:133], v2 offset:1264
	v_add_f64_e32 v[172:173], v[140:141], v[138:139]
	v_add_f64_e32 v[162:163], v[162:163], v[164:165]
	scratch_load_b128 v[138:141], off, off offset:672
	s_wait_loadcnt_dscnt 0xa01
	v_mul_f64_e32 v[164:165], v[4:5], v[144:145]
	v_mul_f64_e32 v[144:145], v[6:7], v[144:145]
	v_fmac_f64_e32 v[166:167], v[30:31], v[24:25]
	v_fma_f64 v[28:29], v[28:29], v[24:25], -v[26:27]
	scratch_load_b128 v[24:27], off, off offset:688
	v_add_f64_e32 v[30:31], v[172:173], v[170:171]
	v_add_f64_e32 v[162:163], v[162:163], v[168:169]
	s_wait_loadcnt_dscnt 0xa00
	v_mul_f64_e32 v[168:169], v[130:131], v[128:129]
	v_mul_f64_e32 v[128:129], v[132:133], v[128:129]
	v_fmac_f64_e32 v[164:165], v[6:7], v[142:143]
	v_fma_f64 v[170:171], v[4:5], v[142:143], -v[144:145]
	v_add_f64_e32 v[172:173], v[30:31], v[28:29]
	v_add_f64_e32 v[162:163], v[162:163], v[166:167]
	ds_load_b128 v[4:7], v2 offset:1280
	ds_load_b128 v[28:31], v2 offset:1296
	scratch_load_b128 v[142:145], off, off offset:704
	v_fmac_f64_e32 v[168:169], v[132:133], v[126:127]
	v_fma_f64 v[130:131], v[130:131], v[126:127], -v[128:129]
	scratch_load_b128 v[126:129], off, off offset:720
	s_wait_loadcnt_dscnt 0xb01
	v_mul_f64_e32 v[166:167], v[4:5], v[160:161]
	v_mul_f64_e32 v[160:161], v[6:7], v[160:161]
	v_add_f64_e32 v[132:133], v[172:173], v[170:171]
	v_add_f64_e32 v[162:163], v[162:163], v[164:165]
	s_wait_loadcnt_dscnt 0xa00
	v_mul_f64_e32 v[164:165], v[28:29], v[10:11]
	v_mul_f64_e32 v[10:11], v[30:31], v[10:11]
	v_fmac_f64_e32 v[166:167], v[6:7], v[158:159]
	v_fma_f64 v[158:159], v[4:5], v[158:159], -v[160:161]
	v_add_f64_e32 v[160:161], v[132:133], v[130:131]
	v_add_f64_e32 v[162:163], v[162:163], v[168:169]
	ds_load_b128 v[4:7], v2 offset:1312
	ds_load_b128 v[130:133], v2 offset:1328
	v_fmac_f64_e32 v[164:165], v[30:31], v[8:9]
	v_fma_f64 v[8:9], v[28:29], v[8:9], -v[10:11]
	s_wait_loadcnt_dscnt 0x901
	v_mul_f64_e32 v[168:169], v[4:5], v[148:149]
	v_mul_f64_e32 v[148:149], v[6:7], v[148:149]
	s_wait_loadcnt_dscnt 0x800
	v_mul_f64_e32 v[30:31], v[130:131], v[18:19]
	v_mul_f64_e32 v[18:19], v[132:133], v[18:19]
	v_add_f64_e32 v[10:11], v[160:161], v[158:159]
	v_add_f64_e32 v[28:29], v[162:163], v[166:167]
	v_fmac_f64_e32 v[168:169], v[6:7], v[146:147]
	v_fma_f64 v[146:147], v[4:5], v[146:147], -v[148:149]
	v_fmac_f64_e32 v[30:31], v[132:133], v[16:17]
	v_fma_f64 v[16:17], v[130:131], v[16:17], -v[18:19]
	v_add_f64_e32 v[148:149], v[10:11], v[8:9]
	v_add_f64_e32 v[28:29], v[28:29], v[164:165]
	ds_load_b128 v[4:7], v2 offset:1344
	ds_load_b128 v[8:11], v2 offset:1360
	s_wait_loadcnt_dscnt 0x701
	v_mul_f64_e32 v[158:159], v[4:5], v[156:157]
	v_mul_f64_e32 v[156:157], v[6:7], v[156:157]
	s_wait_loadcnt_dscnt 0x600
	v_mul_f64_e32 v[130:131], v[8:9], v[14:15]
	v_mul_f64_e32 v[132:133], v[10:11], v[14:15]
	v_add_f64_e32 v[18:19], v[148:149], v[146:147]
	v_add_f64_e32 v[28:29], v[28:29], v[168:169]
	v_fmac_f64_e32 v[158:159], v[6:7], v[154:155]
	v_fma_f64 v[146:147], v[4:5], v[154:155], -v[156:157]
	v_fmac_f64_e32 v[130:131], v[10:11], v[12:13]
	v_fma_f64 v[8:9], v[8:9], v[12:13], -v[132:133]
	v_add_f64_e32 v[18:19], v[18:19], v[16:17]
	v_add_f64_e32 v[28:29], v[28:29], v[30:31]
	ds_load_b128 v[4:7], v2 offset:1376
	ds_load_b128 v[14:17], v2 offset:1392
	s_wait_loadcnt_dscnt 0x501
	v_mul_f64_e32 v[30:31], v[4:5], v[136:137]
	v_mul_f64_e32 v[136:137], v[6:7], v[136:137]
	v_add_f64_e32 v[10:11], v[18:19], v[146:147]
	v_add_f64_e32 v[12:13], v[28:29], v[158:159]
	s_wait_loadcnt_dscnt 0x400
	v_mul_f64_e32 v[18:19], v[14:15], v[22:23]
	v_mul_f64_e32 v[22:23], v[16:17], v[22:23]
	v_fmac_f64_e32 v[30:31], v[6:7], v[134:135]
	v_fma_f64 v[28:29], v[4:5], v[134:135], -v[136:137]
	v_add_f64_e32 v[132:133], v[10:11], v[8:9]
	v_add_f64_e32 v[12:13], v[12:13], v[130:131]
	ds_load_b128 v[4:7], v2 offset:1408
	ds_load_b128 v[8:11], v2 offset:1424
	v_fmac_f64_e32 v[18:19], v[16:17], v[20:21]
	v_fma_f64 v[14:15], v[14:15], v[20:21], -v[22:23]
	s_wait_loadcnt_dscnt 0x301
	v_mul_f64_e32 v[130:131], v[4:5], v[140:141]
	v_mul_f64_e32 v[134:135], v[6:7], v[140:141]
	s_wait_loadcnt_dscnt 0x200
	v_mul_f64_e32 v[20:21], v[8:9], v[26:27]
	v_mul_f64_e32 v[22:23], v[10:11], v[26:27]
	v_add_f64_e32 v[16:17], v[132:133], v[28:29]
	v_add_f64_e32 v[12:13], v[12:13], v[30:31]
	v_fmac_f64_e32 v[130:131], v[6:7], v[138:139]
	v_fma_f64 v[26:27], v[4:5], v[138:139], -v[134:135]
	v_fmac_f64_e32 v[20:21], v[10:11], v[24:25]
	v_fma_f64 v[8:9], v[8:9], v[24:25], -v[22:23]
	v_add_f64_e32 v[16:17], v[16:17], v[14:15]
	v_add_f64_e32 v[18:19], v[12:13], v[18:19]
	ds_load_b128 v[4:7], v2 offset:1440
	ds_load_b128 v[12:15], v2 offset:1456
	s_wait_loadcnt_dscnt 0x101
	v_mul_f64_e32 v[2:3], v[4:5], v[144:145]
	v_mul_f64_e32 v[28:29], v[6:7], v[144:145]
	s_wait_loadcnt_dscnt 0x0
	v_mul_f64_e32 v[22:23], v[14:15], v[128:129]
	v_add_f64_e32 v[10:11], v[16:17], v[26:27]
	v_add_f64_e32 v[16:17], v[18:19], v[130:131]
	v_mul_f64_e32 v[18:19], v[12:13], v[128:129]
	v_fmac_f64_e32 v[2:3], v[6:7], v[142:143]
	v_fma_f64 v[4:5], v[4:5], v[142:143], -v[28:29]
	v_add_f64_e32 v[6:7], v[10:11], v[8:9]
	v_add_f64_e32 v[8:9], v[16:17], v[20:21]
	v_fmac_f64_e32 v[18:19], v[14:15], v[126:127]
	v_fma_f64 v[10:11], v[12:13], v[126:127], -v[22:23]
	s_delay_alu instid0(VALU_DEP_4) | instskip(NEXT) | instid1(VALU_DEP_4)
	v_add_f64_e32 v[4:5], v[6:7], v[4:5]
	v_add_f64_e32 v[2:3], v[8:9], v[2:3]
	s_delay_alu instid0(VALU_DEP_2) | instskip(NEXT) | instid1(VALU_DEP_2)
	v_add_f64_e32 v[4:5], v[4:5], v[10:11]
	v_add_f64_e32 v[6:7], v[2:3], v[18:19]
	s_delay_alu instid0(VALU_DEP_2) | instskip(NEXT) | instid1(VALU_DEP_2)
	v_add_f64_e64 v[2:3], v[150:151], -v[4:5]
	v_add_f64_e64 v[4:5], v[152:153], -v[6:7]
	scratch_store_b128 off, v[2:5], off offset:144
	s_wait_xcnt 0x0
	v_cmpx_lt_u32_e32 8, v1
	s_cbranch_execz .LBB45_273
; %bb.272:
	scratch_load_b128 v[2:5], off, s47
	v_mov_b32_e32 v6, 0
	s_delay_alu instid0(VALU_DEP_1)
	v_dual_mov_b32 v7, v6 :: v_dual_mov_b32 v8, v6
	v_mov_b32_e32 v9, v6
	scratch_store_b128 off, v[6:9], off offset:128
	s_wait_loadcnt 0x0
	ds_store_b128 v124, v[2:5]
.LBB45_273:
	s_wait_xcnt 0x0
	s_or_b32 exec_lo, exec_lo, s2
	s_wait_storecnt_dscnt 0x0
	s_barrier_signal -1
	s_barrier_wait -1
	s_clause 0x9
	scratch_load_b128 v[4:7], off, off offset:144
	scratch_load_b128 v[8:11], off, off offset:160
	;; [unrolled: 1-line block ×10, first 2 shown]
	v_mov_b32_e32 v2, 0
	s_mov_b32 s2, exec_lo
	ds_load_b128 v[138:141], v2 offset:880
	s_clause 0x2
	scratch_load_b128 v[142:145], off, off offset:304
	scratch_load_b128 v[146:149], off, off offset:128
	;; [unrolled: 1-line block ×3, first 2 shown]
	s_wait_loadcnt_dscnt 0xc00
	v_mul_f64_e32 v[158:159], v[140:141], v[6:7]
	v_mul_f64_e32 v[162:163], v[138:139], v[6:7]
	ds_load_b128 v[150:153], v2 offset:896
	v_fma_f64 v[166:167], v[138:139], v[4:5], -v[158:159]
	v_fmac_f64_e32 v[162:163], v[140:141], v[4:5]
	ds_load_b128 v[4:7], v2 offset:912
	s_wait_loadcnt_dscnt 0xb01
	v_mul_f64_e32 v[164:165], v[150:151], v[10:11]
	v_mul_f64_e32 v[10:11], v[152:153], v[10:11]
	scratch_load_b128 v[138:141], off, off offset:336
	ds_load_b128 v[158:161], v2 offset:928
	s_wait_loadcnt_dscnt 0xb01
	v_mul_f64_e32 v[168:169], v[4:5], v[14:15]
	v_mul_f64_e32 v[14:15], v[6:7], v[14:15]
	v_add_f64_e32 v[162:163], 0, v[162:163]
	v_fmac_f64_e32 v[164:165], v[152:153], v[8:9]
	v_fma_f64 v[150:151], v[150:151], v[8:9], -v[10:11]
	v_add_f64_e32 v[152:153], 0, v[166:167]
	scratch_load_b128 v[8:11], off, off offset:352
	v_fmac_f64_e32 v[168:169], v[6:7], v[12:13]
	v_fma_f64 v[170:171], v[4:5], v[12:13], -v[14:15]
	ds_load_b128 v[4:7], v2 offset:944
	s_wait_loadcnt_dscnt 0xb01
	v_mul_f64_e32 v[166:167], v[158:159], v[18:19]
	v_mul_f64_e32 v[18:19], v[160:161], v[18:19]
	scratch_load_b128 v[12:15], off, off offset:368
	v_add_f64_e32 v[162:163], v[162:163], v[164:165]
	v_add_f64_e32 v[172:173], v[152:153], v[150:151]
	ds_load_b128 v[150:153], v2 offset:960
	s_wait_loadcnt_dscnt 0xb01
	v_mul_f64_e32 v[164:165], v[4:5], v[22:23]
	v_mul_f64_e32 v[22:23], v[6:7], v[22:23]
	v_fmac_f64_e32 v[166:167], v[160:161], v[16:17]
	v_fma_f64 v[158:159], v[158:159], v[16:17], -v[18:19]
	scratch_load_b128 v[16:19], off, off offset:384
	v_add_f64_e32 v[162:163], v[162:163], v[168:169]
	v_add_f64_e32 v[160:161], v[172:173], v[170:171]
	v_fmac_f64_e32 v[164:165], v[6:7], v[20:21]
	v_fma_f64 v[170:171], v[4:5], v[20:21], -v[22:23]
	ds_load_b128 v[4:7], v2 offset:976
	s_wait_loadcnt_dscnt 0xb01
	v_mul_f64_e32 v[168:169], v[150:151], v[26:27]
	v_mul_f64_e32 v[26:27], v[152:153], v[26:27]
	scratch_load_b128 v[20:23], off, off offset:400
	v_add_f64_e32 v[162:163], v[162:163], v[166:167]
	s_wait_loadcnt_dscnt 0xb00
	v_mul_f64_e32 v[166:167], v[4:5], v[30:31]
	v_add_f64_e32 v[172:173], v[160:161], v[158:159]
	v_mul_f64_e32 v[30:31], v[6:7], v[30:31]
	ds_load_b128 v[158:161], v2 offset:992
	v_fmac_f64_e32 v[168:169], v[152:153], v[24:25]
	v_fma_f64 v[150:151], v[150:151], v[24:25], -v[26:27]
	scratch_load_b128 v[24:27], off, off offset:416
	v_add_f64_e32 v[162:163], v[162:163], v[164:165]
	v_fmac_f64_e32 v[166:167], v[6:7], v[28:29]
	v_add_f64_e32 v[152:153], v[172:173], v[170:171]
	v_fma_f64 v[170:171], v[4:5], v[28:29], -v[30:31]
	ds_load_b128 v[4:7], v2 offset:1008
	s_wait_loadcnt_dscnt 0xb01
	v_mul_f64_e32 v[164:165], v[158:159], v[128:129]
	v_mul_f64_e32 v[128:129], v[160:161], v[128:129]
	scratch_load_b128 v[28:31], off, off offset:432
	v_add_f64_e32 v[162:163], v[162:163], v[168:169]
	s_wait_loadcnt_dscnt 0xb00
	v_mul_f64_e32 v[168:169], v[4:5], v[132:133]
	v_add_f64_e32 v[172:173], v[152:153], v[150:151]
	v_mul_f64_e32 v[132:133], v[6:7], v[132:133]
	ds_load_b128 v[150:153], v2 offset:1024
	v_fmac_f64_e32 v[164:165], v[160:161], v[126:127]
	v_fma_f64 v[158:159], v[158:159], v[126:127], -v[128:129]
	scratch_load_b128 v[126:129], off, off offset:448
	v_add_f64_e32 v[162:163], v[162:163], v[166:167]
	v_fmac_f64_e32 v[168:169], v[6:7], v[130:131]
	v_add_f64_e32 v[160:161], v[172:173], v[170:171]
	;; [unrolled: 18-line block ×3, first 2 shown]
	v_fma_f64 v[170:171], v[4:5], v[142:143], -v[144:145]
	ds_load_b128 v[4:7], v2 offset:1072
	s_wait_loadcnt_dscnt 0xa01
	v_mul_f64_e32 v[168:169], v[158:159], v[156:157]
	v_mul_f64_e32 v[156:157], v[160:161], v[156:157]
	scratch_load_b128 v[142:145], off, off offset:496
	v_add_f64_e32 v[162:163], v[162:163], v[166:167]
	v_add_f64_e32 v[172:173], v[152:153], v[150:151]
	s_wait_loadcnt_dscnt 0xa00
	v_mul_f64_e32 v[166:167], v[4:5], v[140:141]
	v_mul_f64_e32 v[140:141], v[6:7], v[140:141]
	v_fmac_f64_e32 v[168:169], v[160:161], v[154:155]
	v_fma_f64 v[158:159], v[158:159], v[154:155], -v[156:157]
	ds_load_b128 v[150:153], v2 offset:1088
	scratch_load_b128 v[154:157], off, off offset:512
	v_add_f64_e32 v[162:163], v[162:163], v[164:165]
	v_add_f64_e32 v[160:161], v[172:173], v[170:171]
	v_fmac_f64_e32 v[166:167], v[6:7], v[138:139]
	v_fma_f64 v[170:171], v[4:5], v[138:139], -v[140:141]
	ds_load_b128 v[4:7], v2 offset:1104
	s_wait_loadcnt_dscnt 0xa01
	v_mul_f64_e32 v[164:165], v[150:151], v[10:11]
	v_mul_f64_e32 v[10:11], v[152:153], v[10:11]
	scratch_load_b128 v[138:141], off, off offset:528
	v_add_f64_e32 v[162:163], v[162:163], v[168:169]
	s_wait_loadcnt_dscnt 0xa00
	v_mul_f64_e32 v[168:169], v[4:5], v[14:15]
	v_add_f64_e32 v[172:173], v[160:161], v[158:159]
	v_mul_f64_e32 v[14:15], v[6:7], v[14:15]
	ds_load_b128 v[158:161], v2 offset:1120
	v_fmac_f64_e32 v[164:165], v[152:153], v[8:9]
	v_fma_f64 v[150:151], v[150:151], v[8:9], -v[10:11]
	scratch_load_b128 v[8:11], off, off offset:544
	v_add_f64_e32 v[162:163], v[162:163], v[166:167]
	v_fmac_f64_e32 v[168:169], v[6:7], v[12:13]
	v_add_f64_e32 v[152:153], v[172:173], v[170:171]
	v_fma_f64 v[170:171], v[4:5], v[12:13], -v[14:15]
	ds_load_b128 v[4:7], v2 offset:1136
	s_wait_loadcnt_dscnt 0xa01
	v_mul_f64_e32 v[166:167], v[158:159], v[18:19]
	v_mul_f64_e32 v[18:19], v[160:161], v[18:19]
	scratch_load_b128 v[12:15], off, off offset:560
	v_add_f64_e32 v[162:163], v[162:163], v[164:165]
	s_wait_loadcnt_dscnt 0xa00
	v_mul_f64_e32 v[164:165], v[4:5], v[22:23]
	v_add_f64_e32 v[172:173], v[152:153], v[150:151]
	v_mul_f64_e32 v[22:23], v[6:7], v[22:23]
	ds_load_b128 v[150:153], v2 offset:1152
	v_fmac_f64_e32 v[166:167], v[160:161], v[16:17]
	v_fma_f64 v[158:159], v[158:159], v[16:17], -v[18:19]
	scratch_load_b128 v[16:19], off, off offset:576
	v_add_f64_e32 v[162:163], v[162:163], v[168:169]
	v_fmac_f64_e32 v[164:165], v[6:7], v[20:21]
	v_add_f64_e32 v[160:161], v[172:173], v[170:171]
	;; [unrolled: 18-line block ×6, first 2 shown]
	v_fma_f64 v[170:171], v[4:5], v[138:139], -v[140:141]
	ds_load_b128 v[4:7], v2 offset:1296
	s_wait_loadcnt_dscnt 0xa01
	v_mul_f64_e32 v[164:165], v[150:151], v[10:11]
	v_mul_f64_e32 v[10:11], v[152:153], v[10:11]
	scratch_load_b128 v[138:141], off, off offset:720
	v_add_f64_e32 v[162:163], v[162:163], v[168:169]
	s_wait_loadcnt_dscnt 0xa00
	v_mul_f64_e32 v[168:169], v[4:5], v[14:15]
	v_add_f64_e32 v[172:173], v[160:161], v[158:159]
	v_mul_f64_e32 v[14:15], v[6:7], v[14:15]
	ds_load_b128 v[158:161], v2 offset:1312
	v_fmac_f64_e32 v[164:165], v[152:153], v[8:9]
	v_fma_f64 v[8:9], v[150:151], v[8:9], -v[10:11]
	s_wait_loadcnt_dscnt 0x900
	v_mul_f64_e32 v[152:153], v[158:159], v[18:19]
	v_mul_f64_e32 v[18:19], v[160:161], v[18:19]
	v_add_f64_e32 v[150:151], v[162:163], v[166:167]
	v_fmac_f64_e32 v[168:169], v[6:7], v[12:13]
	v_add_f64_e32 v[10:11], v[172:173], v[170:171]
	v_fma_f64 v[12:13], v[4:5], v[12:13], -v[14:15]
	v_fmac_f64_e32 v[152:153], v[160:161], v[16:17]
	v_fma_f64 v[16:17], v[158:159], v[16:17], -v[18:19]
	v_add_f64_e32 v[150:151], v[150:151], v[164:165]
	v_add_f64_e32 v[14:15], v[10:11], v[8:9]
	ds_load_b128 v[4:7], v2 offset:1328
	ds_load_b128 v[8:11], v2 offset:1344
	s_wait_loadcnt_dscnt 0x801
	v_mul_f64_e32 v[162:163], v[4:5], v[22:23]
	v_mul_f64_e32 v[22:23], v[6:7], v[22:23]
	s_wait_loadcnt_dscnt 0x700
	v_mul_f64_e32 v[18:19], v[8:9], v[26:27]
	v_mul_f64_e32 v[26:27], v[10:11], v[26:27]
	v_add_f64_e32 v[12:13], v[14:15], v[12:13]
	v_add_f64_e32 v[14:15], v[150:151], v[168:169]
	v_fmac_f64_e32 v[162:163], v[6:7], v[20:21]
	v_fma_f64 v[20:21], v[4:5], v[20:21], -v[22:23]
	v_fmac_f64_e32 v[18:19], v[10:11], v[24:25]
	v_fma_f64 v[8:9], v[8:9], v[24:25], -v[26:27]
	v_add_f64_e32 v[16:17], v[12:13], v[16:17]
	v_add_f64_e32 v[22:23], v[14:15], v[152:153]
	ds_load_b128 v[4:7], v2 offset:1360
	ds_load_b128 v[12:15], v2 offset:1376
	s_wait_loadcnt_dscnt 0x601
	v_mul_f64_e32 v[150:151], v[4:5], v[30:31]
	v_mul_f64_e32 v[30:31], v[6:7], v[30:31]
	v_add_f64_e32 v[10:11], v[16:17], v[20:21]
	v_add_f64_e32 v[16:17], v[22:23], v[162:163]
	s_wait_loadcnt_dscnt 0x500
	v_mul_f64_e32 v[20:21], v[12:13], v[128:129]
	v_mul_f64_e32 v[22:23], v[14:15], v[128:129]
	v_fmac_f64_e32 v[150:151], v[6:7], v[28:29]
	v_fma_f64 v[24:25], v[4:5], v[28:29], -v[30:31]
	v_add_f64_e32 v[26:27], v[10:11], v[8:9]
	v_add_f64_e32 v[16:17], v[16:17], v[18:19]
	ds_load_b128 v[4:7], v2 offset:1392
	ds_load_b128 v[8:11], v2 offset:1408
	v_fmac_f64_e32 v[20:21], v[14:15], v[126:127]
	v_fma_f64 v[12:13], v[12:13], v[126:127], -v[22:23]
	s_wait_loadcnt_dscnt 0x401
	v_mul_f64_e32 v[18:19], v[4:5], v[132:133]
	v_mul_f64_e32 v[28:29], v[6:7], v[132:133]
	s_wait_loadcnt_dscnt 0x300
	v_mul_f64_e32 v[22:23], v[8:9], v[136:137]
	v_add_f64_e32 v[14:15], v[26:27], v[24:25]
	v_add_f64_e32 v[16:17], v[16:17], v[150:151]
	v_mul_f64_e32 v[24:25], v[10:11], v[136:137]
	v_fmac_f64_e32 v[18:19], v[6:7], v[130:131]
	v_fma_f64 v[26:27], v[4:5], v[130:131], -v[28:29]
	v_fmac_f64_e32 v[22:23], v[10:11], v[134:135]
	v_add_f64_e32 v[28:29], v[14:15], v[12:13]
	v_add_f64_e32 v[16:17], v[16:17], v[20:21]
	ds_load_b128 v[4:7], v2 offset:1424
	ds_load_b128 v[12:15], v2 offset:1440
	v_fma_f64 v[8:9], v[8:9], v[134:135], -v[24:25]
	s_wait_loadcnt_dscnt 0x201
	v_mul_f64_e32 v[20:21], v[4:5], v[144:145]
	v_mul_f64_e32 v[30:31], v[6:7], v[144:145]
	s_wait_loadcnt_dscnt 0x100
	v_mul_f64_e32 v[24:25], v[14:15], v[156:157]
	v_add_f64_e32 v[10:11], v[28:29], v[26:27]
	v_add_f64_e32 v[16:17], v[16:17], v[18:19]
	v_mul_f64_e32 v[18:19], v[12:13], v[156:157]
	v_fmac_f64_e32 v[20:21], v[6:7], v[142:143]
	v_fma_f64 v[26:27], v[4:5], v[142:143], -v[30:31]
	ds_load_b128 v[4:7], v2 offset:1456
	v_fma_f64 v[12:13], v[12:13], v[154:155], -v[24:25]
	v_add_f64_e32 v[8:9], v[10:11], v[8:9]
	v_add_f64_e32 v[10:11], v[16:17], v[22:23]
	v_fmac_f64_e32 v[18:19], v[14:15], v[154:155]
	s_wait_loadcnt_dscnt 0x0
	v_mul_f64_e32 v[16:17], v[4:5], v[140:141]
	v_mul_f64_e32 v[22:23], v[6:7], v[140:141]
	v_add_f64_e32 v[8:9], v[8:9], v[26:27]
	v_add_f64_e32 v[10:11], v[10:11], v[20:21]
	s_delay_alu instid0(VALU_DEP_4) | instskip(NEXT) | instid1(VALU_DEP_4)
	v_fmac_f64_e32 v[16:17], v[6:7], v[138:139]
	v_fma_f64 v[4:5], v[4:5], v[138:139], -v[22:23]
	s_delay_alu instid0(VALU_DEP_4) | instskip(NEXT) | instid1(VALU_DEP_4)
	v_add_f64_e32 v[6:7], v[8:9], v[12:13]
	v_add_f64_e32 v[8:9], v[10:11], v[18:19]
	s_delay_alu instid0(VALU_DEP_2) | instskip(NEXT) | instid1(VALU_DEP_2)
	v_add_f64_e32 v[4:5], v[6:7], v[4:5]
	v_add_f64_e32 v[6:7], v[8:9], v[16:17]
	s_delay_alu instid0(VALU_DEP_2) | instskip(NEXT) | instid1(VALU_DEP_2)
	v_add_f64_e64 v[4:5], v[146:147], -v[4:5]
	v_add_f64_e64 v[6:7], v[148:149], -v[6:7]
	scratch_store_b128 off, v[4:7], off offset:128
	s_wait_xcnt 0x0
	v_cmpx_lt_u32_e32 7, v1
	s_cbranch_execz .LBB45_275
; %bb.274:
	scratch_load_b128 v[6:9], off, s54
	v_dual_mov_b32 v3, v2 :: v_dual_mov_b32 v4, v2
	v_mov_b32_e32 v5, v2
	scratch_store_b128 off, v[2:5], off offset:112
	s_wait_loadcnt 0x0
	ds_store_b128 v124, v[6:9]
.LBB45_275:
	s_wait_xcnt 0x0
	s_or_b32 exec_lo, exec_lo, s2
	s_wait_storecnt_dscnt 0x0
	s_barrier_signal -1
	s_barrier_wait -1
	s_clause 0x9
	scratch_load_b128 v[4:7], off, off offset:128
	scratch_load_b128 v[8:11], off, off offset:144
	;; [unrolled: 1-line block ×10, first 2 shown]
	ds_load_b128 v[138:141], v2 offset:864
	ds_load_b128 v[146:149], v2 offset:880
	s_clause 0x2
	scratch_load_b128 v[142:145], off, off offset:288
	scratch_load_b128 v[150:153], off, off offset:112
	;; [unrolled: 1-line block ×3, first 2 shown]
	s_mov_b32 s2, exec_lo
	s_wait_loadcnt_dscnt 0xc01
	v_mul_f64_e32 v[158:159], v[140:141], v[6:7]
	v_mul_f64_e32 v[162:163], v[138:139], v[6:7]
	s_wait_loadcnt_dscnt 0xb00
	v_mul_f64_e32 v[164:165], v[146:147], v[10:11]
	v_mul_f64_e32 v[10:11], v[148:149], v[10:11]
	s_delay_alu instid0(VALU_DEP_4) | instskip(NEXT) | instid1(VALU_DEP_4)
	v_fma_f64 v[166:167], v[138:139], v[4:5], -v[158:159]
	v_fmac_f64_e32 v[162:163], v[140:141], v[4:5]
	ds_load_b128 v[4:7], v2 offset:896
	ds_load_b128 v[138:141], v2 offset:912
	scratch_load_b128 v[158:161], off, off offset:320
	v_fmac_f64_e32 v[164:165], v[148:149], v[8:9]
	v_fma_f64 v[146:147], v[146:147], v[8:9], -v[10:11]
	scratch_load_b128 v[8:11], off, off offset:336
	s_wait_loadcnt_dscnt 0xc01
	v_mul_f64_e32 v[168:169], v[4:5], v[14:15]
	v_mul_f64_e32 v[14:15], v[6:7], v[14:15]
	v_add_f64_e32 v[148:149], 0, v[166:167]
	v_add_f64_e32 v[162:163], 0, v[162:163]
	s_wait_loadcnt_dscnt 0xb00
	v_mul_f64_e32 v[166:167], v[138:139], v[18:19]
	v_mul_f64_e32 v[18:19], v[140:141], v[18:19]
	v_fmac_f64_e32 v[168:169], v[6:7], v[12:13]
	v_fma_f64 v[170:171], v[4:5], v[12:13], -v[14:15]
	ds_load_b128 v[4:7], v2 offset:928
	ds_load_b128 v[12:15], v2 offset:944
	v_add_f64_e32 v[172:173], v[148:149], v[146:147]
	v_add_f64_e32 v[162:163], v[162:163], v[164:165]
	scratch_load_b128 v[146:149], off, off offset:352
	v_fmac_f64_e32 v[166:167], v[140:141], v[16:17]
	v_fma_f64 v[138:139], v[138:139], v[16:17], -v[18:19]
	scratch_load_b128 v[16:19], off, off offset:368
	s_wait_loadcnt_dscnt 0xc01
	v_mul_f64_e32 v[164:165], v[4:5], v[22:23]
	v_mul_f64_e32 v[22:23], v[6:7], v[22:23]
	v_add_f64_e32 v[140:141], v[172:173], v[170:171]
	v_add_f64_e32 v[162:163], v[162:163], v[168:169]
	s_wait_loadcnt_dscnt 0xb00
	v_mul_f64_e32 v[168:169], v[12:13], v[26:27]
	v_mul_f64_e32 v[26:27], v[14:15], v[26:27]
	v_fmac_f64_e32 v[164:165], v[6:7], v[20:21]
	v_fma_f64 v[170:171], v[4:5], v[20:21], -v[22:23]
	ds_load_b128 v[4:7], v2 offset:960
	ds_load_b128 v[20:23], v2 offset:976
	v_add_f64_e32 v[172:173], v[140:141], v[138:139]
	v_add_f64_e32 v[162:163], v[162:163], v[166:167]
	scratch_load_b128 v[138:141], off, off offset:384
	s_wait_loadcnt_dscnt 0xb01
	v_mul_f64_e32 v[166:167], v[4:5], v[30:31]
	v_mul_f64_e32 v[30:31], v[6:7], v[30:31]
	v_fmac_f64_e32 v[168:169], v[14:15], v[24:25]
	v_fma_f64 v[24:25], v[12:13], v[24:25], -v[26:27]
	scratch_load_b128 v[12:15], off, off offset:400
	v_add_f64_e32 v[26:27], v[172:173], v[170:171]
	v_add_f64_e32 v[162:163], v[162:163], v[164:165]
	s_wait_loadcnt_dscnt 0xb00
	v_mul_f64_e32 v[164:165], v[20:21], v[128:129]
	v_mul_f64_e32 v[128:129], v[22:23], v[128:129]
	v_fmac_f64_e32 v[166:167], v[6:7], v[28:29]
	v_fma_f64 v[170:171], v[4:5], v[28:29], -v[30:31]
	v_add_f64_e32 v[172:173], v[26:27], v[24:25]
	v_add_f64_e32 v[162:163], v[162:163], v[168:169]
	ds_load_b128 v[4:7], v2 offset:992
	ds_load_b128 v[24:27], v2 offset:1008
	scratch_load_b128 v[28:31], off, off offset:416
	v_fmac_f64_e32 v[164:165], v[22:23], v[126:127]
	v_fma_f64 v[126:127], v[20:21], v[126:127], -v[128:129]
	scratch_load_b128 v[20:23], off, off offset:432
	s_wait_loadcnt_dscnt 0xc01
	v_mul_f64_e32 v[168:169], v[4:5], v[132:133]
	v_mul_f64_e32 v[132:133], v[6:7], v[132:133]
	v_add_f64_e32 v[128:129], v[172:173], v[170:171]
	v_add_f64_e32 v[162:163], v[162:163], v[166:167]
	s_wait_loadcnt_dscnt 0xb00
	v_mul_f64_e32 v[166:167], v[24:25], v[136:137]
	v_mul_f64_e32 v[136:137], v[26:27], v[136:137]
	v_fmac_f64_e32 v[168:169], v[6:7], v[130:131]
	v_fma_f64 v[170:171], v[4:5], v[130:131], -v[132:133]
	v_add_f64_e32 v[172:173], v[128:129], v[126:127]
	v_add_f64_e32 v[162:163], v[162:163], v[164:165]
	ds_load_b128 v[4:7], v2 offset:1024
	ds_load_b128 v[126:129], v2 offset:1040
	scratch_load_b128 v[130:133], off, off offset:448
	v_fmac_f64_e32 v[166:167], v[26:27], v[134:135]
	v_fma_f64 v[134:135], v[24:25], v[134:135], -v[136:137]
	scratch_load_b128 v[24:27], off, off offset:464
	s_wait_loadcnt_dscnt 0xc01
	v_mul_f64_e32 v[164:165], v[4:5], v[144:145]
	v_mul_f64_e32 v[144:145], v[6:7], v[144:145]
	;; [unrolled: 18-line block ×5, first 2 shown]
	v_add_f64_e32 v[156:157], v[172:173], v[170:171]
	v_add_f64_e32 v[162:163], v[162:163], v[168:169]
	s_wait_loadcnt_dscnt 0xa00
	v_mul_f64_e32 v[168:169], v[134:135], v[14:15]
	v_mul_f64_e32 v[14:15], v[136:137], v[14:15]
	v_fmac_f64_e32 v[164:165], v[6:7], v[138:139]
	v_fma_f64 v[170:171], v[4:5], v[138:139], -v[140:141]
	ds_load_b128 v[4:7], v2 offset:1152
	ds_load_b128 v[138:141], v2 offset:1168
	v_add_f64_e32 v[172:173], v[156:157], v[154:155]
	v_add_f64_e32 v[162:163], v[162:163], v[166:167]
	scratch_load_b128 v[154:157], off, off offset:576
	v_fmac_f64_e32 v[168:169], v[136:137], v[12:13]
	v_fma_f64 v[134:135], v[134:135], v[12:13], -v[14:15]
	scratch_load_b128 v[12:15], off, off offset:592
	s_wait_loadcnt_dscnt 0xb01
	v_mul_f64_e32 v[166:167], v[4:5], v[30:31]
	v_mul_f64_e32 v[30:31], v[6:7], v[30:31]
	v_add_f64_e32 v[136:137], v[172:173], v[170:171]
	v_add_f64_e32 v[162:163], v[162:163], v[164:165]
	s_wait_loadcnt_dscnt 0xa00
	v_mul_f64_e32 v[164:165], v[138:139], v[22:23]
	v_mul_f64_e32 v[22:23], v[140:141], v[22:23]
	v_fmac_f64_e32 v[166:167], v[6:7], v[28:29]
	v_fma_f64 v[170:171], v[4:5], v[28:29], -v[30:31]
	ds_load_b128 v[4:7], v2 offset:1184
	ds_load_b128 v[28:31], v2 offset:1200
	v_add_f64_e32 v[172:173], v[136:137], v[134:135]
	v_add_f64_e32 v[162:163], v[162:163], v[168:169]
	scratch_load_b128 v[134:137], off, off offset:608
	s_wait_loadcnt_dscnt 0xa01
	v_mul_f64_e32 v[168:169], v[4:5], v[132:133]
	v_mul_f64_e32 v[132:133], v[6:7], v[132:133]
	v_fmac_f64_e32 v[164:165], v[140:141], v[20:21]
	v_fma_f64 v[138:139], v[138:139], v[20:21], -v[22:23]
	scratch_load_b128 v[20:23], off, off offset:624
	v_add_f64_e32 v[140:141], v[172:173], v[170:171]
	v_add_f64_e32 v[162:163], v[162:163], v[166:167]
	s_wait_loadcnt_dscnt 0xa00
	v_mul_f64_e32 v[166:167], v[28:29], v[26:27]
	v_mul_f64_e32 v[26:27], v[30:31], v[26:27]
	v_fmac_f64_e32 v[168:169], v[6:7], v[130:131]
	v_fma_f64 v[170:171], v[4:5], v[130:131], -v[132:133]
	ds_load_b128 v[4:7], v2 offset:1216
	ds_load_b128 v[130:133], v2 offset:1232
	v_add_f64_e32 v[172:173], v[140:141], v[138:139]
	v_add_f64_e32 v[162:163], v[162:163], v[164:165]
	scratch_load_b128 v[138:141], off, off offset:640
	s_wait_loadcnt_dscnt 0xa01
	v_mul_f64_e32 v[164:165], v[4:5], v[144:145]
	v_mul_f64_e32 v[144:145], v[6:7], v[144:145]
	v_fmac_f64_e32 v[166:167], v[30:31], v[24:25]
	v_fma_f64 v[28:29], v[28:29], v[24:25], -v[26:27]
	scratch_load_b128 v[24:27], off, off offset:656
	v_add_f64_e32 v[30:31], v[172:173], v[170:171]
	v_add_f64_e32 v[162:163], v[162:163], v[168:169]
	s_wait_loadcnt_dscnt 0xa00
	v_mul_f64_e32 v[168:169], v[130:131], v[128:129]
	v_mul_f64_e32 v[128:129], v[132:133], v[128:129]
	v_fmac_f64_e32 v[164:165], v[6:7], v[142:143]
	v_fma_f64 v[170:171], v[4:5], v[142:143], -v[144:145]
	v_add_f64_e32 v[172:173], v[30:31], v[28:29]
	v_add_f64_e32 v[162:163], v[162:163], v[166:167]
	ds_load_b128 v[4:7], v2 offset:1248
	ds_load_b128 v[28:31], v2 offset:1264
	scratch_load_b128 v[142:145], off, off offset:672
	v_fmac_f64_e32 v[168:169], v[132:133], v[126:127]
	v_fma_f64 v[130:131], v[130:131], v[126:127], -v[128:129]
	scratch_load_b128 v[126:129], off, off offset:688
	s_wait_loadcnt_dscnt 0xb01
	v_mul_f64_e32 v[166:167], v[4:5], v[160:161]
	v_mul_f64_e32 v[160:161], v[6:7], v[160:161]
	v_add_f64_e32 v[132:133], v[172:173], v[170:171]
	v_add_f64_e32 v[162:163], v[162:163], v[164:165]
	s_wait_loadcnt_dscnt 0xa00
	v_mul_f64_e32 v[164:165], v[28:29], v[10:11]
	v_mul_f64_e32 v[10:11], v[30:31], v[10:11]
	v_fmac_f64_e32 v[166:167], v[6:7], v[158:159]
	v_fma_f64 v[170:171], v[4:5], v[158:159], -v[160:161]
	v_add_f64_e32 v[172:173], v[132:133], v[130:131]
	v_add_f64_e32 v[162:163], v[162:163], v[168:169]
	ds_load_b128 v[4:7], v2 offset:1280
	ds_load_b128 v[130:133], v2 offset:1296
	scratch_load_b128 v[158:161], off, off offset:704
	v_fmac_f64_e32 v[164:165], v[30:31], v[8:9]
	v_fma_f64 v[28:29], v[28:29], v[8:9], -v[10:11]
	scratch_load_b128 v[8:11], off, off offset:720
	s_wait_loadcnt_dscnt 0xb01
	v_mul_f64_e32 v[168:169], v[4:5], v[148:149]
	v_mul_f64_e32 v[148:149], v[6:7], v[148:149]
	v_add_f64_e32 v[30:31], v[172:173], v[170:171]
	v_add_f64_e32 v[162:163], v[162:163], v[166:167]
	s_wait_loadcnt_dscnt 0xa00
	v_mul_f64_e32 v[166:167], v[130:131], v[18:19]
	v_mul_f64_e32 v[18:19], v[132:133], v[18:19]
	v_fmac_f64_e32 v[168:169], v[6:7], v[146:147]
	v_fma_f64 v[146:147], v[4:5], v[146:147], -v[148:149]
	v_add_f64_e32 v[148:149], v[30:31], v[28:29]
	v_add_f64_e32 v[162:163], v[162:163], v[164:165]
	ds_load_b128 v[4:7], v2 offset:1312
	ds_load_b128 v[28:31], v2 offset:1328
	v_fmac_f64_e32 v[166:167], v[132:133], v[16:17]
	v_fma_f64 v[16:17], v[130:131], v[16:17], -v[18:19]
	s_wait_loadcnt_dscnt 0x901
	v_mul_f64_e32 v[164:165], v[4:5], v[156:157]
	v_mul_f64_e32 v[156:157], v[6:7], v[156:157]
	s_wait_loadcnt_dscnt 0x800
	v_mul_f64_e32 v[132:133], v[28:29], v[14:15]
	v_add_f64_e32 v[18:19], v[148:149], v[146:147]
	v_add_f64_e32 v[130:131], v[162:163], v[168:169]
	v_mul_f64_e32 v[146:147], v[30:31], v[14:15]
	v_fmac_f64_e32 v[164:165], v[6:7], v[154:155]
	v_fma_f64 v[148:149], v[4:5], v[154:155], -v[156:157]
	v_fmac_f64_e32 v[132:133], v[30:31], v[12:13]
	v_add_f64_e32 v[18:19], v[18:19], v[16:17]
	v_add_f64_e32 v[130:131], v[130:131], v[166:167]
	ds_load_b128 v[4:7], v2 offset:1344
	ds_load_b128 v[14:17], v2 offset:1360
	v_fma_f64 v[12:13], v[28:29], v[12:13], -v[146:147]
	s_wait_loadcnt_dscnt 0x701
	v_mul_f64_e32 v[154:155], v[4:5], v[136:137]
	v_mul_f64_e32 v[136:137], v[6:7], v[136:137]
	v_add_f64_e32 v[18:19], v[18:19], v[148:149]
	v_add_f64_e32 v[28:29], v[130:131], v[164:165]
	s_wait_loadcnt_dscnt 0x600
	v_mul_f64_e32 v[130:131], v[14:15], v[22:23]
	v_mul_f64_e32 v[22:23], v[16:17], v[22:23]
	v_fmac_f64_e32 v[154:155], v[6:7], v[134:135]
	v_fma_f64 v[134:135], v[4:5], v[134:135], -v[136:137]
	v_add_f64_e32 v[12:13], v[18:19], v[12:13]
	v_add_f64_e32 v[18:19], v[28:29], v[132:133]
	ds_load_b128 v[4:7], v2 offset:1376
	ds_load_b128 v[28:31], v2 offset:1392
	v_fmac_f64_e32 v[130:131], v[16:17], v[20:21]
	v_fma_f64 v[14:15], v[14:15], v[20:21], -v[22:23]
	s_wait_loadcnt_dscnt 0x501
	v_mul_f64_e32 v[132:133], v[4:5], v[140:141]
	v_mul_f64_e32 v[136:137], v[6:7], v[140:141]
	s_wait_loadcnt_dscnt 0x400
	v_mul_f64_e32 v[20:21], v[30:31], v[26:27]
	v_add_f64_e32 v[12:13], v[12:13], v[134:135]
	v_add_f64_e32 v[16:17], v[18:19], v[154:155]
	v_mul_f64_e32 v[18:19], v[28:29], v[26:27]
	v_fmac_f64_e32 v[132:133], v[6:7], v[138:139]
	v_fma_f64 v[22:23], v[4:5], v[138:139], -v[136:137]
	v_fma_f64 v[20:21], v[28:29], v[24:25], -v[20:21]
	v_add_f64_e32 v[26:27], v[12:13], v[14:15]
	v_add_f64_e32 v[16:17], v[16:17], v[130:131]
	ds_load_b128 v[4:7], v2 offset:1408
	ds_load_b128 v[12:15], v2 offset:1424
	v_fmac_f64_e32 v[18:19], v[30:31], v[24:25]
	s_wait_loadcnt_dscnt 0x301
	v_mul_f64_e32 v[130:131], v[4:5], v[144:145]
	v_mul_f64_e32 v[134:135], v[6:7], v[144:145]
	s_wait_loadcnt_dscnt 0x200
	v_mul_f64_e32 v[24:25], v[12:13], v[128:129]
	v_add_f64_e32 v[22:23], v[26:27], v[22:23]
	v_add_f64_e32 v[16:17], v[16:17], v[132:133]
	v_mul_f64_e32 v[26:27], v[14:15], v[128:129]
	v_fmac_f64_e32 v[130:131], v[6:7], v[142:143]
	v_fma_f64 v[28:29], v[4:5], v[142:143], -v[134:135]
	v_fmac_f64_e32 v[24:25], v[14:15], v[126:127]
	v_add_f64_e32 v[20:21], v[22:23], v[20:21]
	v_add_f64_e32 v[22:23], v[16:17], v[18:19]
	ds_load_b128 v[4:7], v2 offset:1440
	ds_load_b128 v[16:19], v2 offset:1456
	v_fma_f64 v[12:13], v[12:13], v[126:127], -v[26:27]
	s_wait_loadcnt_dscnt 0x101
	v_mul_f64_e32 v[2:3], v[4:5], v[160:161]
	v_mul_f64_e32 v[30:31], v[6:7], v[160:161]
	v_add_f64_e32 v[14:15], v[20:21], v[28:29]
	v_add_f64_e32 v[20:21], v[22:23], v[130:131]
	s_wait_loadcnt_dscnt 0x0
	v_mul_f64_e32 v[22:23], v[16:17], v[10:11]
	v_mul_f64_e32 v[10:11], v[18:19], v[10:11]
	v_fmac_f64_e32 v[2:3], v[6:7], v[158:159]
	v_fma_f64 v[4:5], v[4:5], v[158:159], -v[30:31]
	v_add_f64_e32 v[6:7], v[14:15], v[12:13]
	v_add_f64_e32 v[12:13], v[20:21], v[24:25]
	v_fmac_f64_e32 v[22:23], v[18:19], v[8:9]
	v_fma_f64 v[8:9], v[16:17], v[8:9], -v[10:11]
	s_delay_alu instid0(VALU_DEP_4) | instskip(NEXT) | instid1(VALU_DEP_4)
	v_add_f64_e32 v[4:5], v[6:7], v[4:5]
	v_add_f64_e32 v[2:3], v[12:13], v[2:3]
	s_delay_alu instid0(VALU_DEP_2) | instskip(NEXT) | instid1(VALU_DEP_2)
	v_add_f64_e32 v[4:5], v[4:5], v[8:9]
	v_add_f64_e32 v[6:7], v[2:3], v[22:23]
	s_delay_alu instid0(VALU_DEP_2) | instskip(NEXT) | instid1(VALU_DEP_2)
	v_add_f64_e64 v[2:3], v[150:151], -v[4:5]
	v_add_f64_e64 v[4:5], v[152:153], -v[6:7]
	scratch_store_b128 off, v[2:5], off offset:112
	s_wait_xcnt 0x0
	v_cmpx_lt_u32_e32 6, v1
	s_cbranch_execz .LBB45_277
; %bb.276:
	scratch_load_b128 v[2:5], off, s51
	v_mov_b32_e32 v6, 0
	s_delay_alu instid0(VALU_DEP_1)
	v_dual_mov_b32 v7, v6 :: v_dual_mov_b32 v8, v6
	v_mov_b32_e32 v9, v6
	scratch_store_b128 off, v[6:9], off offset:96
	s_wait_loadcnt 0x0
	ds_store_b128 v124, v[2:5]
.LBB45_277:
	s_wait_xcnt 0x0
	s_or_b32 exec_lo, exec_lo, s2
	s_wait_storecnt_dscnt 0x0
	s_barrier_signal -1
	s_barrier_wait -1
	s_clause 0x9
	scratch_load_b128 v[4:7], off, off offset:112
	scratch_load_b128 v[8:11], off, off offset:128
	;; [unrolled: 1-line block ×10, first 2 shown]
	v_mov_b32_e32 v2, 0
	s_mov_b32 s2, exec_lo
	ds_load_b128 v[138:141], v2 offset:848
	s_clause 0x2
	scratch_load_b128 v[142:145], off, off offset:272
	scratch_load_b128 v[146:149], off, off offset:96
	scratch_load_b128 v[154:157], off, off offset:288
	s_wait_loadcnt_dscnt 0xc00
	v_mul_f64_e32 v[158:159], v[140:141], v[6:7]
	v_mul_f64_e32 v[162:163], v[138:139], v[6:7]
	ds_load_b128 v[150:153], v2 offset:864
	v_fma_f64 v[166:167], v[138:139], v[4:5], -v[158:159]
	v_fmac_f64_e32 v[162:163], v[140:141], v[4:5]
	ds_load_b128 v[4:7], v2 offset:880
	s_wait_loadcnt_dscnt 0xb01
	v_mul_f64_e32 v[164:165], v[150:151], v[10:11]
	v_mul_f64_e32 v[10:11], v[152:153], v[10:11]
	scratch_load_b128 v[138:141], off, off offset:304
	ds_load_b128 v[158:161], v2 offset:896
	s_wait_loadcnt_dscnt 0xb01
	v_mul_f64_e32 v[168:169], v[4:5], v[14:15]
	v_mul_f64_e32 v[14:15], v[6:7], v[14:15]
	v_add_f64_e32 v[162:163], 0, v[162:163]
	v_fmac_f64_e32 v[164:165], v[152:153], v[8:9]
	v_fma_f64 v[150:151], v[150:151], v[8:9], -v[10:11]
	v_add_f64_e32 v[152:153], 0, v[166:167]
	scratch_load_b128 v[8:11], off, off offset:320
	v_fmac_f64_e32 v[168:169], v[6:7], v[12:13]
	v_fma_f64 v[170:171], v[4:5], v[12:13], -v[14:15]
	ds_load_b128 v[4:7], v2 offset:912
	s_wait_loadcnt_dscnt 0xb01
	v_mul_f64_e32 v[166:167], v[158:159], v[18:19]
	v_mul_f64_e32 v[18:19], v[160:161], v[18:19]
	scratch_load_b128 v[12:15], off, off offset:336
	v_add_f64_e32 v[162:163], v[162:163], v[164:165]
	v_add_f64_e32 v[172:173], v[152:153], v[150:151]
	ds_load_b128 v[150:153], v2 offset:928
	s_wait_loadcnt_dscnt 0xb01
	v_mul_f64_e32 v[164:165], v[4:5], v[22:23]
	v_mul_f64_e32 v[22:23], v[6:7], v[22:23]
	v_fmac_f64_e32 v[166:167], v[160:161], v[16:17]
	v_fma_f64 v[158:159], v[158:159], v[16:17], -v[18:19]
	scratch_load_b128 v[16:19], off, off offset:352
	v_add_f64_e32 v[162:163], v[162:163], v[168:169]
	v_add_f64_e32 v[160:161], v[172:173], v[170:171]
	v_fmac_f64_e32 v[164:165], v[6:7], v[20:21]
	v_fma_f64 v[170:171], v[4:5], v[20:21], -v[22:23]
	ds_load_b128 v[4:7], v2 offset:944
	s_wait_loadcnt_dscnt 0xb01
	v_mul_f64_e32 v[168:169], v[150:151], v[26:27]
	v_mul_f64_e32 v[26:27], v[152:153], v[26:27]
	scratch_load_b128 v[20:23], off, off offset:368
	v_add_f64_e32 v[162:163], v[162:163], v[166:167]
	s_wait_loadcnt_dscnt 0xb00
	v_mul_f64_e32 v[166:167], v[4:5], v[30:31]
	v_add_f64_e32 v[172:173], v[160:161], v[158:159]
	v_mul_f64_e32 v[30:31], v[6:7], v[30:31]
	ds_load_b128 v[158:161], v2 offset:960
	v_fmac_f64_e32 v[168:169], v[152:153], v[24:25]
	v_fma_f64 v[150:151], v[150:151], v[24:25], -v[26:27]
	scratch_load_b128 v[24:27], off, off offset:384
	v_add_f64_e32 v[162:163], v[162:163], v[164:165]
	v_fmac_f64_e32 v[166:167], v[6:7], v[28:29]
	v_add_f64_e32 v[152:153], v[172:173], v[170:171]
	v_fma_f64 v[170:171], v[4:5], v[28:29], -v[30:31]
	ds_load_b128 v[4:7], v2 offset:976
	s_wait_loadcnt_dscnt 0xb01
	v_mul_f64_e32 v[164:165], v[158:159], v[128:129]
	v_mul_f64_e32 v[128:129], v[160:161], v[128:129]
	scratch_load_b128 v[28:31], off, off offset:400
	v_add_f64_e32 v[162:163], v[162:163], v[168:169]
	s_wait_loadcnt_dscnt 0xb00
	v_mul_f64_e32 v[168:169], v[4:5], v[132:133]
	v_add_f64_e32 v[172:173], v[152:153], v[150:151]
	v_mul_f64_e32 v[132:133], v[6:7], v[132:133]
	ds_load_b128 v[150:153], v2 offset:992
	v_fmac_f64_e32 v[164:165], v[160:161], v[126:127]
	v_fma_f64 v[158:159], v[158:159], v[126:127], -v[128:129]
	scratch_load_b128 v[126:129], off, off offset:416
	v_add_f64_e32 v[162:163], v[162:163], v[166:167]
	v_fmac_f64_e32 v[168:169], v[6:7], v[130:131]
	v_add_f64_e32 v[160:161], v[172:173], v[170:171]
	;; [unrolled: 18-line block ×3, first 2 shown]
	v_fma_f64 v[170:171], v[4:5], v[142:143], -v[144:145]
	ds_load_b128 v[4:7], v2 offset:1040
	s_wait_loadcnt_dscnt 0xa01
	v_mul_f64_e32 v[168:169], v[158:159], v[156:157]
	v_mul_f64_e32 v[156:157], v[160:161], v[156:157]
	scratch_load_b128 v[142:145], off, off offset:464
	v_add_f64_e32 v[162:163], v[162:163], v[166:167]
	v_add_f64_e32 v[172:173], v[152:153], v[150:151]
	s_wait_loadcnt_dscnt 0xa00
	v_mul_f64_e32 v[166:167], v[4:5], v[140:141]
	v_mul_f64_e32 v[140:141], v[6:7], v[140:141]
	v_fmac_f64_e32 v[168:169], v[160:161], v[154:155]
	v_fma_f64 v[158:159], v[158:159], v[154:155], -v[156:157]
	ds_load_b128 v[150:153], v2 offset:1056
	scratch_load_b128 v[154:157], off, off offset:480
	v_add_f64_e32 v[162:163], v[162:163], v[164:165]
	v_add_f64_e32 v[160:161], v[172:173], v[170:171]
	v_fmac_f64_e32 v[166:167], v[6:7], v[138:139]
	v_fma_f64 v[170:171], v[4:5], v[138:139], -v[140:141]
	ds_load_b128 v[4:7], v2 offset:1072
	s_wait_loadcnt_dscnt 0xa01
	v_mul_f64_e32 v[164:165], v[150:151], v[10:11]
	v_mul_f64_e32 v[10:11], v[152:153], v[10:11]
	scratch_load_b128 v[138:141], off, off offset:496
	v_add_f64_e32 v[162:163], v[162:163], v[168:169]
	s_wait_loadcnt_dscnt 0xa00
	v_mul_f64_e32 v[168:169], v[4:5], v[14:15]
	v_add_f64_e32 v[172:173], v[160:161], v[158:159]
	v_mul_f64_e32 v[14:15], v[6:7], v[14:15]
	ds_load_b128 v[158:161], v2 offset:1088
	v_fmac_f64_e32 v[164:165], v[152:153], v[8:9]
	v_fma_f64 v[150:151], v[150:151], v[8:9], -v[10:11]
	scratch_load_b128 v[8:11], off, off offset:512
	v_add_f64_e32 v[162:163], v[162:163], v[166:167]
	v_fmac_f64_e32 v[168:169], v[6:7], v[12:13]
	v_add_f64_e32 v[152:153], v[172:173], v[170:171]
	v_fma_f64 v[170:171], v[4:5], v[12:13], -v[14:15]
	ds_load_b128 v[4:7], v2 offset:1104
	s_wait_loadcnt_dscnt 0xa01
	v_mul_f64_e32 v[166:167], v[158:159], v[18:19]
	v_mul_f64_e32 v[18:19], v[160:161], v[18:19]
	scratch_load_b128 v[12:15], off, off offset:528
	v_add_f64_e32 v[162:163], v[162:163], v[164:165]
	s_wait_loadcnt_dscnt 0xa00
	v_mul_f64_e32 v[164:165], v[4:5], v[22:23]
	v_add_f64_e32 v[172:173], v[152:153], v[150:151]
	v_mul_f64_e32 v[22:23], v[6:7], v[22:23]
	ds_load_b128 v[150:153], v2 offset:1120
	v_fmac_f64_e32 v[166:167], v[160:161], v[16:17]
	v_fma_f64 v[158:159], v[158:159], v[16:17], -v[18:19]
	scratch_load_b128 v[16:19], off, off offset:544
	v_add_f64_e32 v[162:163], v[162:163], v[168:169]
	v_fmac_f64_e32 v[164:165], v[6:7], v[20:21]
	v_add_f64_e32 v[160:161], v[172:173], v[170:171]
	;; [unrolled: 18-line block ×7, first 2 shown]
	v_fma_f64 v[170:171], v[4:5], v[12:13], -v[14:15]
	ds_load_b128 v[4:7], v2 offset:1296
	s_wait_loadcnt_dscnt 0xa01
	v_mul_f64_e32 v[166:167], v[158:159], v[18:19]
	v_mul_f64_e32 v[18:19], v[160:161], v[18:19]
	scratch_load_b128 v[12:15], off, off offset:720
	v_add_f64_e32 v[162:163], v[162:163], v[164:165]
	s_wait_loadcnt_dscnt 0xa00
	v_mul_f64_e32 v[164:165], v[4:5], v[22:23]
	v_add_f64_e32 v[172:173], v[152:153], v[150:151]
	v_mul_f64_e32 v[22:23], v[6:7], v[22:23]
	ds_load_b128 v[150:153], v2 offset:1312
	v_fmac_f64_e32 v[166:167], v[160:161], v[16:17]
	v_fma_f64 v[16:17], v[158:159], v[16:17], -v[18:19]
	s_wait_loadcnt_dscnt 0x900
	v_mul_f64_e32 v[160:161], v[150:151], v[26:27]
	v_mul_f64_e32 v[26:27], v[152:153], v[26:27]
	v_add_f64_e32 v[158:159], v[162:163], v[168:169]
	v_fmac_f64_e32 v[164:165], v[6:7], v[20:21]
	v_add_f64_e32 v[18:19], v[172:173], v[170:171]
	v_fma_f64 v[20:21], v[4:5], v[20:21], -v[22:23]
	v_fmac_f64_e32 v[160:161], v[152:153], v[24:25]
	v_fma_f64 v[24:25], v[150:151], v[24:25], -v[26:27]
	v_add_f64_e32 v[158:159], v[158:159], v[166:167]
	v_add_f64_e32 v[22:23], v[18:19], v[16:17]
	ds_load_b128 v[4:7], v2 offset:1328
	ds_load_b128 v[16:19], v2 offset:1344
	s_wait_loadcnt_dscnt 0x801
	v_mul_f64_e32 v[162:163], v[4:5], v[30:31]
	v_mul_f64_e32 v[30:31], v[6:7], v[30:31]
	s_wait_loadcnt_dscnt 0x700
	v_mul_f64_e32 v[26:27], v[16:17], v[128:129]
	v_mul_f64_e32 v[128:129], v[18:19], v[128:129]
	v_add_f64_e32 v[20:21], v[22:23], v[20:21]
	v_add_f64_e32 v[22:23], v[158:159], v[164:165]
	v_fmac_f64_e32 v[162:163], v[6:7], v[28:29]
	v_fma_f64 v[28:29], v[4:5], v[28:29], -v[30:31]
	v_fmac_f64_e32 v[26:27], v[18:19], v[126:127]
	v_fma_f64 v[16:17], v[16:17], v[126:127], -v[128:129]
	v_add_f64_e32 v[24:25], v[20:21], v[24:25]
	v_add_f64_e32 v[30:31], v[22:23], v[160:161]
	ds_load_b128 v[4:7], v2 offset:1360
	ds_load_b128 v[20:23], v2 offset:1376
	s_wait_loadcnt_dscnt 0x601
	v_mul_f64_e32 v[150:151], v[4:5], v[132:133]
	v_mul_f64_e32 v[132:133], v[6:7], v[132:133]
	v_add_f64_e32 v[18:19], v[24:25], v[28:29]
	v_add_f64_e32 v[24:25], v[30:31], v[162:163]
	s_wait_loadcnt_dscnt 0x500
	v_mul_f64_e32 v[28:29], v[20:21], v[136:137]
	v_mul_f64_e32 v[30:31], v[22:23], v[136:137]
	v_fmac_f64_e32 v[150:151], v[6:7], v[130:131]
	v_fma_f64 v[126:127], v[4:5], v[130:131], -v[132:133]
	v_add_f64_e32 v[128:129], v[18:19], v[16:17]
	v_add_f64_e32 v[24:25], v[24:25], v[26:27]
	ds_load_b128 v[4:7], v2 offset:1392
	ds_load_b128 v[16:19], v2 offset:1408
	v_fmac_f64_e32 v[28:29], v[22:23], v[134:135]
	v_fma_f64 v[20:21], v[20:21], v[134:135], -v[30:31]
	s_wait_loadcnt_dscnt 0x401
	v_mul_f64_e32 v[26:27], v[4:5], v[144:145]
	v_mul_f64_e32 v[130:131], v[6:7], v[144:145]
	s_wait_loadcnt_dscnt 0x300
	v_mul_f64_e32 v[30:31], v[16:17], v[156:157]
	v_add_f64_e32 v[22:23], v[128:129], v[126:127]
	v_add_f64_e32 v[24:25], v[24:25], v[150:151]
	v_mul_f64_e32 v[126:127], v[18:19], v[156:157]
	v_fmac_f64_e32 v[26:27], v[6:7], v[142:143]
	v_fma_f64 v[128:129], v[4:5], v[142:143], -v[130:131]
	v_fmac_f64_e32 v[30:31], v[18:19], v[154:155]
	v_add_f64_e32 v[130:131], v[22:23], v[20:21]
	v_add_f64_e32 v[24:25], v[24:25], v[28:29]
	ds_load_b128 v[4:7], v2 offset:1424
	ds_load_b128 v[20:23], v2 offset:1440
	v_fma_f64 v[16:17], v[16:17], v[154:155], -v[126:127]
	s_wait_loadcnt_dscnt 0x201
	v_mul_f64_e32 v[28:29], v[4:5], v[140:141]
	v_mul_f64_e32 v[132:133], v[6:7], v[140:141]
	v_add_f64_e32 v[18:19], v[130:131], v[128:129]
	v_add_f64_e32 v[24:25], v[24:25], v[26:27]
	s_wait_loadcnt_dscnt 0x100
	v_mul_f64_e32 v[26:27], v[20:21], v[10:11]
	v_mul_f64_e32 v[10:11], v[22:23], v[10:11]
	v_fmac_f64_e32 v[28:29], v[6:7], v[138:139]
	v_fma_f64 v[126:127], v[4:5], v[138:139], -v[132:133]
	ds_load_b128 v[4:7], v2 offset:1456
	v_add_f64_e32 v[16:17], v[18:19], v[16:17]
	v_add_f64_e32 v[18:19], v[24:25], v[30:31]
	v_fmac_f64_e32 v[26:27], v[22:23], v[8:9]
	v_fma_f64 v[8:9], v[20:21], v[8:9], -v[10:11]
	s_wait_loadcnt_dscnt 0x0
	v_mul_f64_e32 v[24:25], v[4:5], v[14:15]
	v_mul_f64_e32 v[14:15], v[6:7], v[14:15]
	v_add_f64_e32 v[10:11], v[16:17], v[126:127]
	v_add_f64_e32 v[16:17], v[18:19], v[28:29]
	s_delay_alu instid0(VALU_DEP_4) | instskip(NEXT) | instid1(VALU_DEP_4)
	v_fmac_f64_e32 v[24:25], v[6:7], v[12:13]
	v_fma_f64 v[4:5], v[4:5], v[12:13], -v[14:15]
	s_delay_alu instid0(VALU_DEP_4) | instskip(NEXT) | instid1(VALU_DEP_4)
	v_add_f64_e32 v[6:7], v[10:11], v[8:9]
	v_add_f64_e32 v[8:9], v[16:17], v[26:27]
	s_delay_alu instid0(VALU_DEP_2) | instskip(NEXT) | instid1(VALU_DEP_2)
	v_add_f64_e32 v[4:5], v[6:7], v[4:5]
	v_add_f64_e32 v[6:7], v[8:9], v[24:25]
	s_delay_alu instid0(VALU_DEP_2) | instskip(NEXT) | instid1(VALU_DEP_2)
	v_add_f64_e64 v[4:5], v[146:147], -v[4:5]
	v_add_f64_e64 v[6:7], v[148:149], -v[6:7]
	scratch_store_b128 off, v[4:7], off offset:96
	s_wait_xcnt 0x0
	v_cmpx_lt_u32_e32 5, v1
	s_cbranch_execz .LBB45_279
; %bb.278:
	scratch_load_b128 v[6:9], off, s49
	v_dual_mov_b32 v3, v2 :: v_dual_mov_b32 v4, v2
	v_mov_b32_e32 v5, v2
	scratch_store_b128 off, v[2:5], off offset:80
	s_wait_loadcnt 0x0
	ds_store_b128 v124, v[6:9]
.LBB45_279:
	s_wait_xcnt 0x0
	s_or_b32 exec_lo, exec_lo, s2
	s_wait_storecnt_dscnt 0x0
	s_barrier_signal -1
	s_barrier_wait -1
	s_clause 0x9
	scratch_load_b128 v[4:7], off, off offset:96
	scratch_load_b128 v[8:11], off, off offset:112
	;; [unrolled: 1-line block ×10, first 2 shown]
	ds_load_b128 v[138:141], v2 offset:832
	ds_load_b128 v[146:149], v2 offset:848
	s_clause 0x2
	scratch_load_b128 v[142:145], off, off offset:256
	scratch_load_b128 v[150:153], off, off offset:80
	;; [unrolled: 1-line block ×3, first 2 shown]
	s_mov_b32 s2, exec_lo
	s_wait_loadcnt_dscnt 0xc01
	v_mul_f64_e32 v[158:159], v[140:141], v[6:7]
	v_mul_f64_e32 v[162:163], v[138:139], v[6:7]
	s_wait_loadcnt_dscnt 0xb00
	v_mul_f64_e32 v[164:165], v[146:147], v[10:11]
	v_mul_f64_e32 v[10:11], v[148:149], v[10:11]
	s_delay_alu instid0(VALU_DEP_4) | instskip(NEXT) | instid1(VALU_DEP_4)
	v_fma_f64 v[166:167], v[138:139], v[4:5], -v[158:159]
	v_fmac_f64_e32 v[162:163], v[140:141], v[4:5]
	ds_load_b128 v[4:7], v2 offset:864
	ds_load_b128 v[138:141], v2 offset:880
	scratch_load_b128 v[158:161], off, off offset:288
	v_fmac_f64_e32 v[164:165], v[148:149], v[8:9]
	v_fma_f64 v[146:147], v[146:147], v[8:9], -v[10:11]
	scratch_load_b128 v[8:11], off, off offset:304
	s_wait_loadcnt_dscnt 0xc01
	v_mul_f64_e32 v[168:169], v[4:5], v[14:15]
	v_mul_f64_e32 v[14:15], v[6:7], v[14:15]
	v_add_f64_e32 v[148:149], 0, v[166:167]
	v_add_f64_e32 v[162:163], 0, v[162:163]
	s_wait_loadcnt_dscnt 0xb00
	v_mul_f64_e32 v[166:167], v[138:139], v[18:19]
	v_mul_f64_e32 v[18:19], v[140:141], v[18:19]
	v_fmac_f64_e32 v[168:169], v[6:7], v[12:13]
	v_fma_f64 v[170:171], v[4:5], v[12:13], -v[14:15]
	ds_load_b128 v[4:7], v2 offset:896
	ds_load_b128 v[12:15], v2 offset:912
	v_add_f64_e32 v[172:173], v[148:149], v[146:147]
	v_add_f64_e32 v[162:163], v[162:163], v[164:165]
	scratch_load_b128 v[146:149], off, off offset:320
	v_fmac_f64_e32 v[166:167], v[140:141], v[16:17]
	v_fma_f64 v[138:139], v[138:139], v[16:17], -v[18:19]
	scratch_load_b128 v[16:19], off, off offset:336
	s_wait_loadcnt_dscnt 0xc01
	v_mul_f64_e32 v[164:165], v[4:5], v[22:23]
	v_mul_f64_e32 v[22:23], v[6:7], v[22:23]
	v_add_f64_e32 v[140:141], v[172:173], v[170:171]
	v_add_f64_e32 v[162:163], v[162:163], v[168:169]
	s_wait_loadcnt_dscnt 0xb00
	v_mul_f64_e32 v[168:169], v[12:13], v[26:27]
	v_mul_f64_e32 v[26:27], v[14:15], v[26:27]
	v_fmac_f64_e32 v[164:165], v[6:7], v[20:21]
	v_fma_f64 v[170:171], v[4:5], v[20:21], -v[22:23]
	ds_load_b128 v[4:7], v2 offset:928
	ds_load_b128 v[20:23], v2 offset:944
	v_add_f64_e32 v[172:173], v[140:141], v[138:139]
	v_add_f64_e32 v[162:163], v[162:163], v[166:167]
	scratch_load_b128 v[138:141], off, off offset:352
	s_wait_loadcnt_dscnt 0xb01
	v_mul_f64_e32 v[166:167], v[4:5], v[30:31]
	v_mul_f64_e32 v[30:31], v[6:7], v[30:31]
	v_fmac_f64_e32 v[168:169], v[14:15], v[24:25]
	v_fma_f64 v[24:25], v[12:13], v[24:25], -v[26:27]
	scratch_load_b128 v[12:15], off, off offset:368
	v_add_f64_e32 v[26:27], v[172:173], v[170:171]
	v_add_f64_e32 v[162:163], v[162:163], v[164:165]
	s_wait_loadcnt_dscnt 0xb00
	v_mul_f64_e32 v[164:165], v[20:21], v[128:129]
	v_mul_f64_e32 v[128:129], v[22:23], v[128:129]
	v_fmac_f64_e32 v[166:167], v[6:7], v[28:29]
	v_fma_f64 v[170:171], v[4:5], v[28:29], -v[30:31]
	v_add_f64_e32 v[172:173], v[26:27], v[24:25]
	v_add_f64_e32 v[162:163], v[162:163], v[168:169]
	ds_load_b128 v[4:7], v2 offset:960
	ds_load_b128 v[24:27], v2 offset:976
	scratch_load_b128 v[28:31], off, off offset:384
	v_fmac_f64_e32 v[164:165], v[22:23], v[126:127]
	v_fma_f64 v[126:127], v[20:21], v[126:127], -v[128:129]
	scratch_load_b128 v[20:23], off, off offset:400
	s_wait_loadcnt_dscnt 0xc01
	v_mul_f64_e32 v[168:169], v[4:5], v[132:133]
	v_mul_f64_e32 v[132:133], v[6:7], v[132:133]
	v_add_f64_e32 v[128:129], v[172:173], v[170:171]
	v_add_f64_e32 v[162:163], v[162:163], v[166:167]
	s_wait_loadcnt_dscnt 0xb00
	v_mul_f64_e32 v[166:167], v[24:25], v[136:137]
	v_mul_f64_e32 v[136:137], v[26:27], v[136:137]
	v_fmac_f64_e32 v[168:169], v[6:7], v[130:131]
	v_fma_f64 v[170:171], v[4:5], v[130:131], -v[132:133]
	v_add_f64_e32 v[172:173], v[128:129], v[126:127]
	v_add_f64_e32 v[162:163], v[162:163], v[164:165]
	ds_load_b128 v[4:7], v2 offset:992
	ds_load_b128 v[126:129], v2 offset:1008
	scratch_load_b128 v[130:133], off, off offset:416
	v_fmac_f64_e32 v[166:167], v[26:27], v[134:135]
	v_fma_f64 v[134:135], v[24:25], v[134:135], -v[136:137]
	scratch_load_b128 v[24:27], off, off offset:432
	s_wait_loadcnt_dscnt 0xc01
	v_mul_f64_e32 v[164:165], v[4:5], v[144:145]
	v_mul_f64_e32 v[144:145], v[6:7], v[144:145]
	;; [unrolled: 18-line block ×5, first 2 shown]
	v_add_f64_e32 v[156:157], v[172:173], v[170:171]
	v_add_f64_e32 v[162:163], v[162:163], v[168:169]
	s_wait_loadcnt_dscnt 0xa00
	v_mul_f64_e32 v[168:169], v[134:135], v[14:15]
	v_mul_f64_e32 v[14:15], v[136:137], v[14:15]
	v_fmac_f64_e32 v[164:165], v[6:7], v[138:139]
	v_fma_f64 v[170:171], v[4:5], v[138:139], -v[140:141]
	ds_load_b128 v[4:7], v2 offset:1120
	ds_load_b128 v[138:141], v2 offset:1136
	v_add_f64_e32 v[172:173], v[156:157], v[154:155]
	v_add_f64_e32 v[162:163], v[162:163], v[166:167]
	scratch_load_b128 v[154:157], off, off offset:544
	v_fmac_f64_e32 v[168:169], v[136:137], v[12:13]
	v_fma_f64 v[134:135], v[134:135], v[12:13], -v[14:15]
	scratch_load_b128 v[12:15], off, off offset:560
	s_wait_loadcnt_dscnt 0xb01
	v_mul_f64_e32 v[166:167], v[4:5], v[30:31]
	v_mul_f64_e32 v[30:31], v[6:7], v[30:31]
	v_add_f64_e32 v[136:137], v[172:173], v[170:171]
	v_add_f64_e32 v[162:163], v[162:163], v[164:165]
	s_wait_loadcnt_dscnt 0xa00
	v_mul_f64_e32 v[164:165], v[138:139], v[22:23]
	v_mul_f64_e32 v[22:23], v[140:141], v[22:23]
	v_fmac_f64_e32 v[166:167], v[6:7], v[28:29]
	v_fma_f64 v[170:171], v[4:5], v[28:29], -v[30:31]
	ds_load_b128 v[4:7], v2 offset:1152
	ds_load_b128 v[28:31], v2 offset:1168
	v_add_f64_e32 v[172:173], v[136:137], v[134:135]
	v_add_f64_e32 v[162:163], v[162:163], v[168:169]
	scratch_load_b128 v[134:137], off, off offset:576
	s_wait_loadcnt_dscnt 0xa01
	v_mul_f64_e32 v[168:169], v[4:5], v[132:133]
	v_mul_f64_e32 v[132:133], v[6:7], v[132:133]
	v_fmac_f64_e32 v[164:165], v[140:141], v[20:21]
	v_fma_f64 v[138:139], v[138:139], v[20:21], -v[22:23]
	scratch_load_b128 v[20:23], off, off offset:592
	v_add_f64_e32 v[140:141], v[172:173], v[170:171]
	v_add_f64_e32 v[162:163], v[162:163], v[166:167]
	s_wait_loadcnt_dscnt 0xa00
	v_mul_f64_e32 v[166:167], v[28:29], v[26:27]
	v_mul_f64_e32 v[26:27], v[30:31], v[26:27]
	v_fmac_f64_e32 v[168:169], v[6:7], v[130:131]
	v_fma_f64 v[170:171], v[4:5], v[130:131], -v[132:133]
	ds_load_b128 v[4:7], v2 offset:1184
	ds_load_b128 v[130:133], v2 offset:1200
	v_add_f64_e32 v[172:173], v[140:141], v[138:139]
	v_add_f64_e32 v[162:163], v[162:163], v[164:165]
	scratch_load_b128 v[138:141], off, off offset:608
	s_wait_loadcnt_dscnt 0xa01
	v_mul_f64_e32 v[164:165], v[4:5], v[144:145]
	v_mul_f64_e32 v[144:145], v[6:7], v[144:145]
	v_fmac_f64_e32 v[166:167], v[30:31], v[24:25]
	v_fma_f64 v[28:29], v[28:29], v[24:25], -v[26:27]
	scratch_load_b128 v[24:27], off, off offset:624
	v_add_f64_e32 v[30:31], v[172:173], v[170:171]
	v_add_f64_e32 v[162:163], v[162:163], v[168:169]
	s_wait_loadcnt_dscnt 0xa00
	v_mul_f64_e32 v[168:169], v[130:131], v[128:129]
	v_mul_f64_e32 v[128:129], v[132:133], v[128:129]
	v_fmac_f64_e32 v[164:165], v[6:7], v[142:143]
	v_fma_f64 v[170:171], v[4:5], v[142:143], -v[144:145]
	v_add_f64_e32 v[172:173], v[30:31], v[28:29]
	v_add_f64_e32 v[162:163], v[162:163], v[166:167]
	ds_load_b128 v[4:7], v2 offset:1216
	ds_load_b128 v[28:31], v2 offset:1232
	scratch_load_b128 v[142:145], off, off offset:640
	v_fmac_f64_e32 v[168:169], v[132:133], v[126:127]
	v_fma_f64 v[130:131], v[130:131], v[126:127], -v[128:129]
	scratch_load_b128 v[126:129], off, off offset:656
	s_wait_loadcnt_dscnt 0xb01
	v_mul_f64_e32 v[166:167], v[4:5], v[160:161]
	v_mul_f64_e32 v[160:161], v[6:7], v[160:161]
	v_add_f64_e32 v[132:133], v[172:173], v[170:171]
	v_add_f64_e32 v[162:163], v[162:163], v[164:165]
	s_wait_loadcnt_dscnt 0xa00
	v_mul_f64_e32 v[164:165], v[28:29], v[10:11]
	v_mul_f64_e32 v[10:11], v[30:31], v[10:11]
	v_fmac_f64_e32 v[166:167], v[6:7], v[158:159]
	v_fma_f64 v[170:171], v[4:5], v[158:159], -v[160:161]
	v_add_f64_e32 v[172:173], v[132:133], v[130:131]
	v_add_f64_e32 v[162:163], v[162:163], v[168:169]
	ds_load_b128 v[4:7], v2 offset:1248
	ds_load_b128 v[130:133], v2 offset:1264
	scratch_load_b128 v[158:161], off, off offset:672
	v_fmac_f64_e32 v[164:165], v[30:31], v[8:9]
	v_fma_f64 v[28:29], v[28:29], v[8:9], -v[10:11]
	scratch_load_b128 v[8:11], off, off offset:688
	s_wait_loadcnt_dscnt 0xb01
	v_mul_f64_e32 v[168:169], v[4:5], v[148:149]
	v_mul_f64_e32 v[148:149], v[6:7], v[148:149]
	;; [unrolled: 18-line block ×3, first 2 shown]
	v_add_f64_e32 v[132:133], v[172:173], v[170:171]
	v_add_f64_e32 v[162:163], v[162:163], v[168:169]
	s_wait_loadcnt_dscnt 0xa00
	v_mul_f64_e32 v[168:169], v[28:29], v[14:15]
	v_mul_f64_e32 v[14:15], v[30:31], v[14:15]
	v_fmac_f64_e32 v[164:165], v[6:7], v[154:155]
	v_fma_f64 v[154:155], v[4:5], v[154:155], -v[156:157]
	v_add_f64_e32 v[156:157], v[132:133], v[130:131]
	v_add_f64_e32 v[162:163], v[162:163], v[166:167]
	ds_load_b128 v[4:7], v2 offset:1312
	ds_load_b128 v[130:133], v2 offset:1328
	v_fmac_f64_e32 v[168:169], v[30:31], v[12:13]
	v_fma_f64 v[12:13], v[28:29], v[12:13], -v[14:15]
	s_wait_loadcnt_dscnt 0x901
	v_mul_f64_e32 v[166:167], v[4:5], v[136:137]
	v_mul_f64_e32 v[136:137], v[6:7], v[136:137]
	s_wait_loadcnt_dscnt 0x800
	v_mul_f64_e32 v[30:31], v[130:131], v[22:23]
	v_mul_f64_e32 v[22:23], v[132:133], v[22:23]
	v_add_f64_e32 v[14:15], v[156:157], v[154:155]
	v_add_f64_e32 v[28:29], v[162:163], v[164:165]
	v_fmac_f64_e32 v[166:167], v[6:7], v[134:135]
	v_fma_f64 v[134:135], v[4:5], v[134:135], -v[136:137]
	v_fmac_f64_e32 v[30:31], v[132:133], v[20:21]
	v_fma_f64 v[20:21], v[130:131], v[20:21], -v[22:23]
	v_add_f64_e32 v[136:137], v[14:15], v[12:13]
	v_add_f64_e32 v[28:29], v[28:29], v[168:169]
	ds_load_b128 v[4:7], v2 offset:1344
	ds_load_b128 v[12:15], v2 offset:1360
	s_wait_loadcnt_dscnt 0x701
	v_mul_f64_e32 v[154:155], v[4:5], v[140:141]
	v_mul_f64_e32 v[140:141], v[6:7], v[140:141]
	s_wait_loadcnt_dscnt 0x600
	v_mul_f64_e32 v[130:131], v[12:13], v[26:27]
	v_mul_f64_e32 v[26:27], v[14:15], v[26:27]
	v_add_f64_e32 v[22:23], v[136:137], v[134:135]
	v_add_f64_e32 v[28:29], v[28:29], v[166:167]
	v_fmac_f64_e32 v[154:155], v[6:7], v[138:139]
	v_fma_f64 v[132:133], v[4:5], v[138:139], -v[140:141]
	v_fmac_f64_e32 v[130:131], v[14:15], v[24:25]
	v_fma_f64 v[12:13], v[12:13], v[24:25], -v[26:27]
	v_add_f64_e32 v[134:135], v[22:23], v[20:21]
	v_add_f64_e32 v[28:29], v[28:29], v[30:31]
	ds_load_b128 v[4:7], v2 offset:1376
	ds_load_b128 v[20:23], v2 offset:1392
	s_wait_loadcnt_dscnt 0x501
	v_mul_f64_e32 v[30:31], v[4:5], v[144:145]
	v_mul_f64_e32 v[136:137], v[6:7], v[144:145]
	s_wait_loadcnt_dscnt 0x400
	v_mul_f64_e32 v[26:27], v[20:21], v[128:129]
	v_add_f64_e32 v[14:15], v[134:135], v[132:133]
	v_add_f64_e32 v[24:25], v[28:29], v[154:155]
	v_mul_f64_e32 v[28:29], v[22:23], v[128:129]
	v_fmac_f64_e32 v[30:31], v[6:7], v[142:143]
	v_fma_f64 v[128:129], v[4:5], v[142:143], -v[136:137]
	v_fmac_f64_e32 v[26:27], v[22:23], v[126:127]
	v_add_f64_e32 v[132:133], v[14:15], v[12:13]
	v_add_f64_e32 v[24:25], v[24:25], v[130:131]
	ds_load_b128 v[4:7], v2 offset:1408
	ds_load_b128 v[12:15], v2 offset:1424
	v_fma_f64 v[20:21], v[20:21], v[126:127], -v[28:29]
	s_wait_loadcnt_dscnt 0x301
	v_mul_f64_e32 v[130:131], v[4:5], v[160:161]
	v_mul_f64_e32 v[134:135], v[6:7], v[160:161]
	s_wait_loadcnt_dscnt 0x200
	v_mul_f64_e32 v[28:29], v[12:13], v[10:11]
	v_mul_f64_e32 v[10:11], v[14:15], v[10:11]
	v_add_f64_e32 v[22:23], v[132:133], v[128:129]
	v_add_f64_e32 v[24:25], v[24:25], v[30:31]
	v_fmac_f64_e32 v[130:131], v[6:7], v[158:159]
	v_fma_f64 v[30:31], v[4:5], v[158:159], -v[134:135]
	v_fmac_f64_e32 v[28:29], v[14:15], v[8:9]
	v_fma_f64 v[8:9], v[12:13], v[8:9], -v[10:11]
	v_add_f64_e32 v[126:127], v[22:23], v[20:21]
	v_add_f64_e32 v[24:25], v[24:25], v[26:27]
	ds_load_b128 v[4:7], v2 offset:1440
	ds_load_b128 v[20:23], v2 offset:1456
	s_wait_loadcnt_dscnt 0x101
	v_mul_f64_e32 v[2:3], v[4:5], v[148:149]
	v_mul_f64_e32 v[26:27], v[6:7], v[148:149]
	s_wait_loadcnt_dscnt 0x0
	v_mul_f64_e32 v[14:15], v[20:21], v[18:19]
	v_mul_f64_e32 v[18:19], v[22:23], v[18:19]
	v_add_f64_e32 v[10:11], v[126:127], v[30:31]
	v_add_f64_e32 v[12:13], v[24:25], v[130:131]
	v_fmac_f64_e32 v[2:3], v[6:7], v[146:147]
	v_fma_f64 v[4:5], v[4:5], v[146:147], -v[26:27]
	v_fmac_f64_e32 v[14:15], v[22:23], v[16:17]
	v_add_f64_e32 v[6:7], v[10:11], v[8:9]
	v_add_f64_e32 v[8:9], v[12:13], v[28:29]
	v_fma_f64 v[10:11], v[20:21], v[16:17], -v[18:19]
	s_delay_alu instid0(VALU_DEP_3) | instskip(NEXT) | instid1(VALU_DEP_3)
	v_add_f64_e32 v[4:5], v[6:7], v[4:5]
	v_add_f64_e32 v[2:3], v[8:9], v[2:3]
	s_delay_alu instid0(VALU_DEP_2) | instskip(NEXT) | instid1(VALU_DEP_2)
	v_add_f64_e32 v[4:5], v[4:5], v[10:11]
	v_add_f64_e32 v[6:7], v[2:3], v[14:15]
	s_delay_alu instid0(VALU_DEP_2) | instskip(NEXT) | instid1(VALU_DEP_2)
	v_add_f64_e64 v[2:3], v[150:151], -v[4:5]
	v_add_f64_e64 v[4:5], v[152:153], -v[6:7]
	scratch_store_b128 off, v[2:5], off offset:80
	s_wait_xcnt 0x0
	v_cmpx_lt_u32_e32 4, v1
	s_cbranch_execz .LBB45_281
; %bb.280:
	scratch_load_b128 v[2:5], off, s45
	v_mov_b32_e32 v6, 0
	s_delay_alu instid0(VALU_DEP_1)
	v_dual_mov_b32 v7, v6 :: v_dual_mov_b32 v8, v6
	v_mov_b32_e32 v9, v6
	scratch_store_b128 off, v[6:9], off offset:64
	s_wait_loadcnt 0x0
	ds_store_b128 v124, v[2:5]
.LBB45_281:
	s_wait_xcnt 0x0
	s_or_b32 exec_lo, exec_lo, s2
	s_wait_storecnt_dscnt 0x0
	s_barrier_signal -1
	s_barrier_wait -1
	s_clause 0x9
	scratch_load_b128 v[4:7], off, off offset:80
	scratch_load_b128 v[8:11], off, off offset:96
	;; [unrolled: 1-line block ×10, first 2 shown]
	v_mov_b32_e32 v2, 0
	s_mov_b32 s2, exec_lo
	ds_load_b128 v[138:141], v2 offset:816
	s_clause 0x2
	scratch_load_b128 v[142:145], off, off offset:240
	scratch_load_b128 v[146:149], off, off offset:64
	;; [unrolled: 1-line block ×3, first 2 shown]
	s_wait_loadcnt_dscnt 0xc00
	v_mul_f64_e32 v[158:159], v[140:141], v[6:7]
	v_mul_f64_e32 v[162:163], v[138:139], v[6:7]
	ds_load_b128 v[150:153], v2 offset:832
	v_fma_f64 v[166:167], v[138:139], v[4:5], -v[158:159]
	v_fmac_f64_e32 v[162:163], v[140:141], v[4:5]
	ds_load_b128 v[4:7], v2 offset:848
	s_wait_loadcnt_dscnt 0xb01
	v_mul_f64_e32 v[164:165], v[150:151], v[10:11]
	v_mul_f64_e32 v[10:11], v[152:153], v[10:11]
	scratch_load_b128 v[138:141], off, off offset:272
	ds_load_b128 v[158:161], v2 offset:864
	s_wait_loadcnt_dscnt 0xb01
	v_mul_f64_e32 v[168:169], v[4:5], v[14:15]
	v_mul_f64_e32 v[14:15], v[6:7], v[14:15]
	v_add_f64_e32 v[162:163], 0, v[162:163]
	v_fmac_f64_e32 v[164:165], v[152:153], v[8:9]
	v_fma_f64 v[150:151], v[150:151], v[8:9], -v[10:11]
	v_add_f64_e32 v[152:153], 0, v[166:167]
	scratch_load_b128 v[8:11], off, off offset:288
	v_fmac_f64_e32 v[168:169], v[6:7], v[12:13]
	v_fma_f64 v[170:171], v[4:5], v[12:13], -v[14:15]
	ds_load_b128 v[4:7], v2 offset:880
	s_wait_loadcnt_dscnt 0xb01
	v_mul_f64_e32 v[166:167], v[158:159], v[18:19]
	v_mul_f64_e32 v[18:19], v[160:161], v[18:19]
	scratch_load_b128 v[12:15], off, off offset:304
	v_add_f64_e32 v[162:163], v[162:163], v[164:165]
	v_add_f64_e32 v[172:173], v[152:153], v[150:151]
	ds_load_b128 v[150:153], v2 offset:896
	s_wait_loadcnt_dscnt 0xb01
	v_mul_f64_e32 v[164:165], v[4:5], v[22:23]
	v_mul_f64_e32 v[22:23], v[6:7], v[22:23]
	v_fmac_f64_e32 v[166:167], v[160:161], v[16:17]
	v_fma_f64 v[158:159], v[158:159], v[16:17], -v[18:19]
	scratch_load_b128 v[16:19], off, off offset:320
	v_add_f64_e32 v[162:163], v[162:163], v[168:169]
	v_add_f64_e32 v[160:161], v[172:173], v[170:171]
	v_fmac_f64_e32 v[164:165], v[6:7], v[20:21]
	v_fma_f64 v[170:171], v[4:5], v[20:21], -v[22:23]
	ds_load_b128 v[4:7], v2 offset:912
	s_wait_loadcnt_dscnt 0xb01
	v_mul_f64_e32 v[168:169], v[150:151], v[26:27]
	v_mul_f64_e32 v[26:27], v[152:153], v[26:27]
	scratch_load_b128 v[20:23], off, off offset:336
	v_add_f64_e32 v[162:163], v[162:163], v[166:167]
	s_wait_loadcnt_dscnt 0xb00
	v_mul_f64_e32 v[166:167], v[4:5], v[30:31]
	v_add_f64_e32 v[172:173], v[160:161], v[158:159]
	v_mul_f64_e32 v[30:31], v[6:7], v[30:31]
	ds_load_b128 v[158:161], v2 offset:928
	v_fmac_f64_e32 v[168:169], v[152:153], v[24:25]
	v_fma_f64 v[150:151], v[150:151], v[24:25], -v[26:27]
	scratch_load_b128 v[24:27], off, off offset:352
	v_add_f64_e32 v[162:163], v[162:163], v[164:165]
	v_fmac_f64_e32 v[166:167], v[6:7], v[28:29]
	v_add_f64_e32 v[152:153], v[172:173], v[170:171]
	v_fma_f64 v[170:171], v[4:5], v[28:29], -v[30:31]
	ds_load_b128 v[4:7], v2 offset:944
	s_wait_loadcnt_dscnt 0xb01
	v_mul_f64_e32 v[164:165], v[158:159], v[128:129]
	v_mul_f64_e32 v[128:129], v[160:161], v[128:129]
	scratch_load_b128 v[28:31], off, off offset:368
	v_add_f64_e32 v[162:163], v[162:163], v[168:169]
	s_wait_loadcnt_dscnt 0xb00
	v_mul_f64_e32 v[168:169], v[4:5], v[132:133]
	v_add_f64_e32 v[172:173], v[152:153], v[150:151]
	v_mul_f64_e32 v[132:133], v[6:7], v[132:133]
	ds_load_b128 v[150:153], v2 offset:960
	v_fmac_f64_e32 v[164:165], v[160:161], v[126:127]
	v_fma_f64 v[158:159], v[158:159], v[126:127], -v[128:129]
	scratch_load_b128 v[126:129], off, off offset:384
	v_add_f64_e32 v[162:163], v[162:163], v[166:167]
	v_fmac_f64_e32 v[168:169], v[6:7], v[130:131]
	v_add_f64_e32 v[160:161], v[172:173], v[170:171]
	;; [unrolled: 18-line block ×3, first 2 shown]
	v_fma_f64 v[170:171], v[4:5], v[142:143], -v[144:145]
	ds_load_b128 v[4:7], v2 offset:1008
	s_wait_loadcnt_dscnt 0xa01
	v_mul_f64_e32 v[168:169], v[158:159], v[156:157]
	v_mul_f64_e32 v[156:157], v[160:161], v[156:157]
	scratch_load_b128 v[142:145], off, off offset:432
	v_add_f64_e32 v[162:163], v[162:163], v[166:167]
	v_add_f64_e32 v[172:173], v[152:153], v[150:151]
	s_wait_loadcnt_dscnt 0xa00
	v_mul_f64_e32 v[166:167], v[4:5], v[140:141]
	v_mul_f64_e32 v[140:141], v[6:7], v[140:141]
	v_fmac_f64_e32 v[168:169], v[160:161], v[154:155]
	v_fma_f64 v[158:159], v[158:159], v[154:155], -v[156:157]
	ds_load_b128 v[150:153], v2 offset:1024
	scratch_load_b128 v[154:157], off, off offset:448
	v_add_f64_e32 v[162:163], v[162:163], v[164:165]
	v_add_f64_e32 v[160:161], v[172:173], v[170:171]
	v_fmac_f64_e32 v[166:167], v[6:7], v[138:139]
	v_fma_f64 v[170:171], v[4:5], v[138:139], -v[140:141]
	ds_load_b128 v[4:7], v2 offset:1040
	s_wait_loadcnt_dscnt 0xa01
	v_mul_f64_e32 v[164:165], v[150:151], v[10:11]
	v_mul_f64_e32 v[10:11], v[152:153], v[10:11]
	scratch_load_b128 v[138:141], off, off offset:464
	v_add_f64_e32 v[162:163], v[162:163], v[168:169]
	s_wait_loadcnt_dscnt 0xa00
	v_mul_f64_e32 v[168:169], v[4:5], v[14:15]
	v_add_f64_e32 v[172:173], v[160:161], v[158:159]
	v_mul_f64_e32 v[14:15], v[6:7], v[14:15]
	ds_load_b128 v[158:161], v2 offset:1056
	v_fmac_f64_e32 v[164:165], v[152:153], v[8:9]
	v_fma_f64 v[150:151], v[150:151], v[8:9], -v[10:11]
	scratch_load_b128 v[8:11], off, off offset:480
	v_add_f64_e32 v[162:163], v[162:163], v[166:167]
	v_fmac_f64_e32 v[168:169], v[6:7], v[12:13]
	v_add_f64_e32 v[152:153], v[172:173], v[170:171]
	v_fma_f64 v[170:171], v[4:5], v[12:13], -v[14:15]
	ds_load_b128 v[4:7], v2 offset:1072
	s_wait_loadcnt_dscnt 0xa01
	v_mul_f64_e32 v[166:167], v[158:159], v[18:19]
	v_mul_f64_e32 v[18:19], v[160:161], v[18:19]
	scratch_load_b128 v[12:15], off, off offset:496
	v_add_f64_e32 v[162:163], v[162:163], v[164:165]
	s_wait_loadcnt_dscnt 0xa00
	v_mul_f64_e32 v[164:165], v[4:5], v[22:23]
	v_add_f64_e32 v[172:173], v[152:153], v[150:151]
	v_mul_f64_e32 v[22:23], v[6:7], v[22:23]
	ds_load_b128 v[150:153], v2 offset:1088
	v_fmac_f64_e32 v[166:167], v[160:161], v[16:17]
	v_fma_f64 v[158:159], v[158:159], v[16:17], -v[18:19]
	scratch_load_b128 v[16:19], off, off offset:512
	v_add_f64_e32 v[162:163], v[162:163], v[168:169]
	v_fmac_f64_e32 v[164:165], v[6:7], v[20:21]
	v_add_f64_e32 v[160:161], v[172:173], v[170:171]
	;; [unrolled: 18-line block ×8, first 2 shown]
	v_fma_f64 v[170:171], v[4:5], v[20:21], -v[22:23]
	ds_load_b128 v[4:7], v2 offset:1296
	s_wait_loadcnt_dscnt 0xa01
	v_mul_f64_e32 v[168:169], v[150:151], v[26:27]
	v_mul_f64_e32 v[26:27], v[152:153], v[26:27]
	scratch_load_b128 v[20:23], off, off offset:720
	v_add_f64_e32 v[162:163], v[162:163], v[166:167]
	s_wait_loadcnt_dscnt 0xa00
	v_mul_f64_e32 v[166:167], v[4:5], v[30:31]
	v_add_f64_e32 v[172:173], v[160:161], v[158:159]
	v_mul_f64_e32 v[30:31], v[6:7], v[30:31]
	ds_load_b128 v[158:161], v2 offset:1312
	v_fmac_f64_e32 v[168:169], v[152:153], v[24:25]
	v_fma_f64 v[24:25], v[150:151], v[24:25], -v[26:27]
	s_wait_loadcnt_dscnt 0x900
	v_mul_f64_e32 v[152:153], v[158:159], v[128:129]
	v_mul_f64_e32 v[128:129], v[160:161], v[128:129]
	v_add_f64_e32 v[150:151], v[162:163], v[164:165]
	v_fmac_f64_e32 v[166:167], v[6:7], v[28:29]
	v_add_f64_e32 v[26:27], v[172:173], v[170:171]
	v_fma_f64 v[28:29], v[4:5], v[28:29], -v[30:31]
	v_fmac_f64_e32 v[152:153], v[160:161], v[126:127]
	v_fma_f64 v[126:127], v[158:159], v[126:127], -v[128:129]
	v_add_f64_e32 v[150:151], v[150:151], v[168:169]
	v_add_f64_e32 v[30:31], v[26:27], v[24:25]
	ds_load_b128 v[4:7], v2 offset:1328
	ds_load_b128 v[24:27], v2 offset:1344
	s_wait_loadcnt_dscnt 0x801
	v_mul_f64_e32 v[162:163], v[4:5], v[132:133]
	v_mul_f64_e32 v[132:133], v[6:7], v[132:133]
	s_wait_loadcnt_dscnt 0x700
	v_mul_f64_e32 v[128:129], v[24:25], v[136:137]
	v_mul_f64_e32 v[136:137], v[26:27], v[136:137]
	v_add_f64_e32 v[28:29], v[30:31], v[28:29]
	v_add_f64_e32 v[30:31], v[150:151], v[166:167]
	v_fmac_f64_e32 v[162:163], v[6:7], v[130:131]
	v_fma_f64 v[130:131], v[4:5], v[130:131], -v[132:133]
	v_fmac_f64_e32 v[128:129], v[26:27], v[134:135]
	v_fma_f64 v[24:25], v[24:25], v[134:135], -v[136:137]
	v_add_f64_e32 v[126:127], v[28:29], v[126:127]
	v_add_f64_e32 v[132:133], v[30:31], v[152:153]
	ds_load_b128 v[4:7], v2 offset:1360
	ds_load_b128 v[28:31], v2 offset:1376
	s_wait_loadcnt_dscnt 0x601
	v_mul_f64_e32 v[150:151], v[4:5], v[144:145]
	v_mul_f64_e32 v[144:145], v[6:7], v[144:145]
	v_add_f64_e32 v[26:27], v[126:127], v[130:131]
	v_add_f64_e32 v[126:127], v[132:133], v[162:163]
	s_wait_loadcnt_dscnt 0x500
	v_mul_f64_e32 v[130:131], v[28:29], v[156:157]
	v_mul_f64_e32 v[132:133], v[30:31], v[156:157]
	v_fmac_f64_e32 v[150:151], v[6:7], v[142:143]
	v_fma_f64 v[134:135], v[4:5], v[142:143], -v[144:145]
	v_add_f64_e32 v[136:137], v[26:27], v[24:25]
	v_add_f64_e32 v[126:127], v[126:127], v[128:129]
	ds_load_b128 v[4:7], v2 offset:1392
	ds_load_b128 v[24:27], v2 offset:1408
	v_fmac_f64_e32 v[130:131], v[30:31], v[154:155]
	v_fma_f64 v[28:29], v[28:29], v[154:155], -v[132:133]
	s_wait_loadcnt_dscnt 0x401
	v_mul_f64_e32 v[128:129], v[4:5], v[140:141]
	v_mul_f64_e32 v[140:141], v[6:7], v[140:141]
	s_wait_loadcnt_dscnt 0x300
	v_mul_f64_e32 v[132:133], v[24:25], v[10:11]
	v_mul_f64_e32 v[10:11], v[26:27], v[10:11]
	v_add_f64_e32 v[30:31], v[136:137], v[134:135]
	v_add_f64_e32 v[126:127], v[126:127], v[150:151]
	v_fmac_f64_e32 v[128:129], v[6:7], v[138:139]
	v_fma_f64 v[134:135], v[4:5], v[138:139], -v[140:141]
	v_fmac_f64_e32 v[132:133], v[26:27], v[8:9]
	v_fma_f64 v[8:9], v[24:25], v[8:9], -v[10:11]
	v_add_f64_e32 v[136:137], v[30:31], v[28:29]
	v_add_f64_e32 v[126:127], v[126:127], v[130:131]
	ds_load_b128 v[4:7], v2 offset:1424
	ds_load_b128 v[28:31], v2 offset:1440
	s_wait_loadcnt_dscnt 0x201
	v_mul_f64_e32 v[130:131], v[4:5], v[14:15]
	v_mul_f64_e32 v[14:15], v[6:7], v[14:15]
	s_wait_loadcnt_dscnt 0x100
	v_mul_f64_e32 v[26:27], v[28:29], v[18:19]
	v_mul_f64_e32 v[18:19], v[30:31], v[18:19]
	v_add_f64_e32 v[10:11], v[136:137], v[134:135]
	v_add_f64_e32 v[24:25], v[126:127], v[128:129]
	v_fmac_f64_e32 v[130:131], v[6:7], v[12:13]
	v_fma_f64 v[12:13], v[4:5], v[12:13], -v[14:15]
	ds_load_b128 v[4:7], v2 offset:1456
	v_fmac_f64_e32 v[26:27], v[30:31], v[16:17]
	v_fma_f64 v[16:17], v[28:29], v[16:17], -v[18:19]
	v_add_f64_e32 v[8:9], v[10:11], v[8:9]
	v_add_f64_e32 v[10:11], v[24:25], v[132:133]
	s_wait_loadcnt_dscnt 0x0
	v_mul_f64_e32 v[14:15], v[4:5], v[22:23]
	v_mul_f64_e32 v[22:23], v[6:7], v[22:23]
	s_delay_alu instid0(VALU_DEP_4) | instskip(NEXT) | instid1(VALU_DEP_4)
	v_add_f64_e32 v[8:9], v[8:9], v[12:13]
	v_add_f64_e32 v[10:11], v[10:11], v[130:131]
	s_delay_alu instid0(VALU_DEP_4) | instskip(NEXT) | instid1(VALU_DEP_4)
	v_fmac_f64_e32 v[14:15], v[6:7], v[20:21]
	v_fma_f64 v[4:5], v[4:5], v[20:21], -v[22:23]
	s_delay_alu instid0(VALU_DEP_4) | instskip(NEXT) | instid1(VALU_DEP_4)
	v_add_f64_e32 v[6:7], v[8:9], v[16:17]
	v_add_f64_e32 v[8:9], v[10:11], v[26:27]
	s_delay_alu instid0(VALU_DEP_2) | instskip(NEXT) | instid1(VALU_DEP_2)
	v_add_f64_e32 v[4:5], v[6:7], v[4:5]
	v_add_f64_e32 v[6:7], v[8:9], v[14:15]
	s_delay_alu instid0(VALU_DEP_2) | instskip(NEXT) | instid1(VALU_DEP_2)
	v_add_f64_e64 v[4:5], v[146:147], -v[4:5]
	v_add_f64_e64 v[6:7], v[148:149], -v[6:7]
	scratch_store_b128 off, v[4:7], off offset:64
	s_wait_xcnt 0x0
	v_cmpx_lt_u32_e32 3, v1
	s_cbranch_execz .LBB45_283
; %bb.282:
	scratch_load_b128 v[6:9], off, s44
	v_dual_mov_b32 v3, v2 :: v_dual_mov_b32 v4, v2
	v_mov_b32_e32 v5, v2
	scratch_store_b128 off, v[2:5], off offset:48
	s_wait_loadcnt 0x0
	ds_store_b128 v124, v[6:9]
.LBB45_283:
	s_wait_xcnt 0x0
	s_or_b32 exec_lo, exec_lo, s2
	s_wait_storecnt_dscnt 0x0
	s_barrier_signal -1
	s_barrier_wait -1
	s_clause 0x9
	scratch_load_b128 v[4:7], off, off offset:64
	scratch_load_b128 v[8:11], off, off offset:80
	;; [unrolled: 1-line block ×10, first 2 shown]
	ds_load_b128 v[138:141], v2 offset:800
	ds_load_b128 v[146:149], v2 offset:816
	s_clause 0x2
	scratch_load_b128 v[142:145], off, off offset:224
	scratch_load_b128 v[150:153], off, off offset:48
	;; [unrolled: 1-line block ×3, first 2 shown]
	s_mov_b32 s2, exec_lo
	s_wait_loadcnt_dscnt 0xc01
	v_mul_f64_e32 v[158:159], v[140:141], v[6:7]
	v_mul_f64_e32 v[162:163], v[138:139], v[6:7]
	s_wait_loadcnt_dscnt 0xb00
	v_mul_f64_e32 v[164:165], v[146:147], v[10:11]
	v_mul_f64_e32 v[10:11], v[148:149], v[10:11]
	s_delay_alu instid0(VALU_DEP_4) | instskip(NEXT) | instid1(VALU_DEP_4)
	v_fma_f64 v[166:167], v[138:139], v[4:5], -v[158:159]
	v_fmac_f64_e32 v[162:163], v[140:141], v[4:5]
	ds_load_b128 v[4:7], v2 offset:832
	ds_load_b128 v[138:141], v2 offset:848
	scratch_load_b128 v[158:161], off, off offset:256
	v_fmac_f64_e32 v[164:165], v[148:149], v[8:9]
	v_fma_f64 v[146:147], v[146:147], v[8:9], -v[10:11]
	scratch_load_b128 v[8:11], off, off offset:272
	s_wait_loadcnt_dscnt 0xc01
	v_mul_f64_e32 v[168:169], v[4:5], v[14:15]
	v_mul_f64_e32 v[14:15], v[6:7], v[14:15]
	v_add_f64_e32 v[148:149], 0, v[166:167]
	v_add_f64_e32 v[162:163], 0, v[162:163]
	s_wait_loadcnt_dscnt 0xb00
	v_mul_f64_e32 v[166:167], v[138:139], v[18:19]
	v_mul_f64_e32 v[18:19], v[140:141], v[18:19]
	v_fmac_f64_e32 v[168:169], v[6:7], v[12:13]
	v_fma_f64 v[170:171], v[4:5], v[12:13], -v[14:15]
	ds_load_b128 v[4:7], v2 offset:864
	ds_load_b128 v[12:15], v2 offset:880
	v_add_f64_e32 v[172:173], v[148:149], v[146:147]
	v_add_f64_e32 v[162:163], v[162:163], v[164:165]
	scratch_load_b128 v[146:149], off, off offset:288
	v_fmac_f64_e32 v[166:167], v[140:141], v[16:17]
	v_fma_f64 v[138:139], v[138:139], v[16:17], -v[18:19]
	scratch_load_b128 v[16:19], off, off offset:304
	s_wait_loadcnt_dscnt 0xc01
	v_mul_f64_e32 v[164:165], v[4:5], v[22:23]
	v_mul_f64_e32 v[22:23], v[6:7], v[22:23]
	v_add_f64_e32 v[140:141], v[172:173], v[170:171]
	v_add_f64_e32 v[162:163], v[162:163], v[168:169]
	s_wait_loadcnt_dscnt 0xb00
	v_mul_f64_e32 v[168:169], v[12:13], v[26:27]
	v_mul_f64_e32 v[26:27], v[14:15], v[26:27]
	v_fmac_f64_e32 v[164:165], v[6:7], v[20:21]
	v_fma_f64 v[170:171], v[4:5], v[20:21], -v[22:23]
	ds_load_b128 v[4:7], v2 offset:896
	ds_load_b128 v[20:23], v2 offset:912
	v_add_f64_e32 v[172:173], v[140:141], v[138:139]
	v_add_f64_e32 v[162:163], v[162:163], v[166:167]
	scratch_load_b128 v[138:141], off, off offset:320
	s_wait_loadcnt_dscnt 0xb01
	v_mul_f64_e32 v[166:167], v[4:5], v[30:31]
	v_mul_f64_e32 v[30:31], v[6:7], v[30:31]
	v_fmac_f64_e32 v[168:169], v[14:15], v[24:25]
	v_fma_f64 v[24:25], v[12:13], v[24:25], -v[26:27]
	scratch_load_b128 v[12:15], off, off offset:336
	v_add_f64_e32 v[26:27], v[172:173], v[170:171]
	v_add_f64_e32 v[162:163], v[162:163], v[164:165]
	s_wait_loadcnt_dscnt 0xb00
	v_mul_f64_e32 v[164:165], v[20:21], v[128:129]
	v_mul_f64_e32 v[128:129], v[22:23], v[128:129]
	v_fmac_f64_e32 v[166:167], v[6:7], v[28:29]
	v_fma_f64 v[170:171], v[4:5], v[28:29], -v[30:31]
	v_add_f64_e32 v[172:173], v[26:27], v[24:25]
	v_add_f64_e32 v[162:163], v[162:163], v[168:169]
	ds_load_b128 v[4:7], v2 offset:928
	ds_load_b128 v[24:27], v2 offset:944
	scratch_load_b128 v[28:31], off, off offset:352
	v_fmac_f64_e32 v[164:165], v[22:23], v[126:127]
	v_fma_f64 v[126:127], v[20:21], v[126:127], -v[128:129]
	scratch_load_b128 v[20:23], off, off offset:368
	s_wait_loadcnt_dscnt 0xc01
	v_mul_f64_e32 v[168:169], v[4:5], v[132:133]
	v_mul_f64_e32 v[132:133], v[6:7], v[132:133]
	v_add_f64_e32 v[128:129], v[172:173], v[170:171]
	v_add_f64_e32 v[162:163], v[162:163], v[166:167]
	s_wait_loadcnt_dscnt 0xb00
	v_mul_f64_e32 v[166:167], v[24:25], v[136:137]
	v_mul_f64_e32 v[136:137], v[26:27], v[136:137]
	v_fmac_f64_e32 v[168:169], v[6:7], v[130:131]
	v_fma_f64 v[170:171], v[4:5], v[130:131], -v[132:133]
	v_add_f64_e32 v[172:173], v[128:129], v[126:127]
	v_add_f64_e32 v[162:163], v[162:163], v[164:165]
	ds_load_b128 v[4:7], v2 offset:960
	ds_load_b128 v[126:129], v2 offset:976
	scratch_load_b128 v[130:133], off, off offset:384
	v_fmac_f64_e32 v[166:167], v[26:27], v[134:135]
	v_fma_f64 v[134:135], v[24:25], v[134:135], -v[136:137]
	scratch_load_b128 v[24:27], off, off offset:400
	s_wait_loadcnt_dscnt 0xc01
	v_mul_f64_e32 v[164:165], v[4:5], v[144:145]
	v_mul_f64_e32 v[144:145], v[6:7], v[144:145]
	;; [unrolled: 18-line block ×5, first 2 shown]
	v_add_f64_e32 v[156:157], v[172:173], v[170:171]
	v_add_f64_e32 v[162:163], v[162:163], v[168:169]
	s_wait_loadcnt_dscnt 0xa00
	v_mul_f64_e32 v[168:169], v[134:135], v[14:15]
	v_mul_f64_e32 v[14:15], v[136:137], v[14:15]
	v_fmac_f64_e32 v[164:165], v[6:7], v[138:139]
	v_fma_f64 v[170:171], v[4:5], v[138:139], -v[140:141]
	ds_load_b128 v[4:7], v2 offset:1088
	ds_load_b128 v[138:141], v2 offset:1104
	v_add_f64_e32 v[172:173], v[156:157], v[154:155]
	v_add_f64_e32 v[162:163], v[162:163], v[166:167]
	scratch_load_b128 v[154:157], off, off offset:512
	v_fmac_f64_e32 v[168:169], v[136:137], v[12:13]
	v_fma_f64 v[134:135], v[134:135], v[12:13], -v[14:15]
	scratch_load_b128 v[12:15], off, off offset:528
	s_wait_loadcnt_dscnt 0xb01
	v_mul_f64_e32 v[166:167], v[4:5], v[30:31]
	v_mul_f64_e32 v[30:31], v[6:7], v[30:31]
	v_add_f64_e32 v[136:137], v[172:173], v[170:171]
	v_add_f64_e32 v[162:163], v[162:163], v[164:165]
	s_wait_loadcnt_dscnt 0xa00
	v_mul_f64_e32 v[164:165], v[138:139], v[22:23]
	v_mul_f64_e32 v[22:23], v[140:141], v[22:23]
	v_fmac_f64_e32 v[166:167], v[6:7], v[28:29]
	v_fma_f64 v[170:171], v[4:5], v[28:29], -v[30:31]
	ds_load_b128 v[4:7], v2 offset:1120
	ds_load_b128 v[28:31], v2 offset:1136
	v_add_f64_e32 v[172:173], v[136:137], v[134:135]
	v_add_f64_e32 v[162:163], v[162:163], v[168:169]
	scratch_load_b128 v[134:137], off, off offset:544
	s_wait_loadcnt_dscnt 0xa01
	v_mul_f64_e32 v[168:169], v[4:5], v[132:133]
	v_mul_f64_e32 v[132:133], v[6:7], v[132:133]
	v_fmac_f64_e32 v[164:165], v[140:141], v[20:21]
	v_fma_f64 v[138:139], v[138:139], v[20:21], -v[22:23]
	scratch_load_b128 v[20:23], off, off offset:560
	v_add_f64_e32 v[140:141], v[172:173], v[170:171]
	v_add_f64_e32 v[162:163], v[162:163], v[166:167]
	s_wait_loadcnt_dscnt 0xa00
	v_mul_f64_e32 v[166:167], v[28:29], v[26:27]
	v_mul_f64_e32 v[26:27], v[30:31], v[26:27]
	v_fmac_f64_e32 v[168:169], v[6:7], v[130:131]
	v_fma_f64 v[170:171], v[4:5], v[130:131], -v[132:133]
	ds_load_b128 v[4:7], v2 offset:1152
	ds_load_b128 v[130:133], v2 offset:1168
	v_add_f64_e32 v[172:173], v[140:141], v[138:139]
	v_add_f64_e32 v[162:163], v[162:163], v[164:165]
	scratch_load_b128 v[138:141], off, off offset:576
	s_wait_loadcnt_dscnt 0xa01
	v_mul_f64_e32 v[164:165], v[4:5], v[144:145]
	v_mul_f64_e32 v[144:145], v[6:7], v[144:145]
	v_fmac_f64_e32 v[166:167], v[30:31], v[24:25]
	v_fma_f64 v[28:29], v[28:29], v[24:25], -v[26:27]
	scratch_load_b128 v[24:27], off, off offset:592
	v_add_f64_e32 v[30:31], v[172:173], v[170:171]
	v_add_f64_e32 v[162:163], v[162:163], v[168:169]
	s_wait_loadcnt_dscnt 0xa00
	v_mul_f64_e32 v[168:169], v[130:131], v[128:129]
	v_mul_f64_e32 v[128:129], v[132:133], v[128:129]
	v_fmac_f64_e32 v[164:165], v[6:7], v[142:143]
	v_fma_f64 v[170:171], v[4:5], v[142:143], -v[144:145]
	v_add_f64_e32 v[172:173], v[30:31], v[28:29]
	v_add_f64_e32 v[162:163], v[162:163], v[166:167]
	ds_load_b128 v[4:7], v2 offset:1184
	ds_load_b128 v[28:31], v2 offset:1200
	scratch_load_b128 v[142:145], off, off offset:608
	v_fmac_f64_e32 v[168:169], v[132:133], v[126:127]
	v_fma_f64 v[130:131], v[130:131], v[126:127], -v[128:129]
	scratch_load_b128 v[126:129], off, off offset:624
	s_wait_loadcnt_dscnt 0xb01
	v_mul_f64_e32 v[166:167], v[4:5], v[160:161]
	v_mul_f64_e32 v[160:161], v[6:7], v[160:161]
	v_add_f64_e32 v[132:133], v[172:173], v[170:171]
	v_add_f64_e32 v[162:163], v[162:163], v[164:165]
	s_wait_loadcnt_dscnt 0xa00
	v_mul_f64_e32 v[164:165], v[28:29], v[10:11]
	v_mul_f64_e32 v[10:11], v[30:31], v[10:11]
	v_fmac_f64_e32 v[166:167], v[6:7], v[158:159]
	v_fma_f64 v[170:171], v[4:5], v[158:159], -v[160:161]
	v_add_f64_e32 v[172:173], v[132:133], v[130:131]
	v_add_f64_e32 v[162:163], v[162:163], v[168:169]
	ds_load_b128 v[4:7], v2 offset:1216
	ds_load_b128 v[130:133], v2 offset:1232
	scratch_load_b128 v[158:161], off, off offset:640
	v_fmac_f64_e32 v[164:165], v[30:31], v[8:9]
	v_fma_f64 v[28:29], v[28:29], v[8:9], -v[10:11]
	scratch_load_b128 v[8:11], off, off offset:656
	s_wait_loadcnt_dscnt 0xb01
	v_mul_f64_e32 v[168:169], v[4:5], v[148:149]
	v_mul_f64_e32 v[148:149], v[6:7], v[148:149]
	;; [unrolled: 18-line block ×4, first 2 shown]
	v_add_f64_e32 v[30:31], v[172:173], v[170:171]
	v_add_f64_e32 v[162:163], v[162:163], v[164:165]
	s_wait_loadcnt_dscnt 0xa00
	v_mul_f64_e32 v[164:165], v[130:131], v[22:23]
	v_mul_f64_e32 v[22:23], v[132:133], v[22:23]
	v_fmac_f64_e32 v[166:167], v[6:7], v[134:135]
	v_fma_f64 v[134:135], v[4:5], v[134:135], -v[136:137]
	v_add_f64_e32 v[136:137], v[30:31], v[28:29]
	v_add_f64_e32 v[162:163], v[162:163], v[168:169]
	ds_load_b128 v[4:7], v2 offset:1312
	ds_load_b128 v[28:31], v2 offset:1328
	v_fmac_f64_e32 v[164:165], v[132:133], v[20:21]
	v_fma_f64 v[20:21], v[130:131], v[20:21], -v[22:23]
	s_wait_loadcnt_dscnt 0x901
	v_mul_f64_e32 v[168:169], v[4:5], v[140:141]
	v_mul_f64_e32 v[140:141], v[6:7], v[140:141]
	s_wait_loadcnt_dscnt 0x800
	v_mul_f64_e32 v[132:133], v[28:29], v[26:27]
	v_mul_f64_e32 v[26:27], v[30:31], v[26:27]
	v_add_f64_e32 v[22:23], v[136:137], v[134:135]
	v_add_f64_e32 v[130:131], v[162:163], v[166:167]
	v_fmac_f64_e32 v[168:169], v[6:7], v[138:139]
	v_fma_f64 v[134:135], v[4:5], v[138:139], -v[140:141]
	v_fmac_f64_e32 v[132:133], v[30:31], v[24:25]
	v_fma_f64 v[24:25], v[28:29], v[24:25], -v[26:27]
	v_add_f64_e32 v[136:137], v[22:23], v[20:21]
	v_add_f64_e32 v[130:131], v[130:131], v[164:165]
	ds_load_b128 v[4:7], v2 offset:1344
	ds_load_b128 v[20:23], v2 offset:1360
	s_wait_loadcnt_dscnt 0x701
	v_mul_f64_e32 v[138:139], v[4:5], v[144:145]
	v_mul_f64_e32 v[140:141], v[6:7], v[144:145]
	s_wait_loadcnt_dscnt 0x600
	v_mul_f64_e32 v[30:31], v[20:21], v[128:129]
	v_mul_f64_e32 v[128:129], v[22:23], v[128:129]
	v_add_f64_e32 v[26:27], v[136:137], v[134:135]
	v_add_f64_e32 v[28:29], v[130:131], v[168:169]
	v_fmac_f64_e32 v[138:139], v[6:7], v[142:143]
	v_fma_f64 v[130:131], v[4:5], v[142:143], -v[140:141]
	v_fmac_f64_e32 v[30:31], v[22:23], v[126:127]
	v_fma_f64 v[20:21], v[20:21], v[126:127], -v[128:129]
	v_add_f64_e32 v[134:135], v[26:27], v[24:25]
	v_add_f64_e32 v[28:29], v[28:29], v[132:133]
	ds_load_b128 v[4:7], v2 offset:1376
	ds_load_b128 v[24:27], v2 offset:1392
	;; [unrolled: 16-line block ×4, first 2 shown]
	s_wait_loadcnt_dscnt 0x101
	v_mul_f64_e32 v[2:3], v[4:5], v[156:157]
	v_mul_f64_e32 v[126:127], v[6:7], v[156:157]
	s_wait_loadcnt_dscnt 0x0
	v_mul_f64_e32 v[22:23], v[8:9], v[14:15]
	v_mul_f64_e32 v[14:15], v[10:11], v[14:15]
	v_add_f64_e32 v[18:19], v[128:129], v[28:29]
	v_add_f64_e32 v[20:21], v[24:25], v[30:31]
	v_fmac_f64_e32 v[2:3], v[6:7], v[154:155]
	v_fma_f64 v[4:5], v[4:5], v[154:155], -v[126:127]
	v_fmac_f64_e32 v[22:23], v[10:11], v[12:13]
	v_fma_f64 v[8:9], v[8:9], v[12:13], -v[14:15]
	v_add_f64_e32 v[6:7], v[18:19], v[16:17]
	v_add_f64_e32 v[16:17], v[20:21], v[26:27]
	s_delay_alu instid0(VALU_DEP_2) | instskip(NEXT) | instid1(VALU_DEP_2)
	v_add_f64_e32 v[4:5], v[6:7], v[4:5]
	v_add_f64_e32 v[2:3], v[16:17], v[2:3]
	s_delay_alu instid0(VALU_DEP_2) | instskip(NEXT) | instid1(VALU_DEP_2)
	;; [unrolled: 3-line block ×3, first 2 shown]
	v_add_f64_e64 v[2:3], v[150:151], -v[4:5]
	v_add_f64_e64 v[4:5], v[152:153], -v[6:7]
	scratch_store_b128 off, v[2:5], off offset:48
	s_wait_xcnt 0x0
	v_cmpx_lt_u32_e32 2, v1
	s_cbranch_execz .LBB45_285
; %bb.284:
	scratch_load_b128 v[2:5], off, s43
	v_mov_b32_e32 v6, 0
	s_delay_alu instid0(VALU_DEP_1)
	v_dual_mov_b32 v7, v6 :: v_dual_mov_b32 v8, v6
	v_mov_b32_e32 v9, v6
	scratch_store_b128 off, v[6:9], off offset:32
	s_wait_loadcnt 0x0
	ds_store_b128 v124, v[2:5]
.LBB45_285:
	s_wait_xcnt 0x0
	s_or_b32 exec_lo, exec_lo, s2
	s_wait_storecnt_dscnt 0x0
	s_barrier_signal -1
	s_barrier_wait -1
	s_clause 0x9
	scratch_load_b128 v[4:7], off, off offset:48
	scratch_load_b128 v[8:11], off, off offset:64
	;; [unrolled: 1-line block ×10, first 2 shown]
	v_mov_b32_e32 v2, 0
	s_mov_b32 s2, exec_lo
	v_dual_ashrrev_i32 v37, 31, v36 :: v_dual_ashrrev_i32 v39, 31, v38
	v_ashrrev_i32_e32 v41, 31, v40
	ds_load_b128 v[138:141], v2 offset:784
	s_clause 0x2
	scratch_load_b128 v[142:145], off, off offset:208
	scratch_load_b128 v[146:149], off, off offset:32
	;; [unrolled: 1-line block ×3, first 2 shown]
	v_ashrrev_i32_e32 v45, 31, v44
	v_ashrrev_i32_e32 v49, 31, v48
	v_dual_ashrrev_i32 v53, 31, v52 :: v_dual_ashrrev_i32 v43, 31, v42
	v_ashrrev_i32_e32 v57, 31, v56
	v_dual_ashrrev_i32 v61, 31, v60 :: v_dual_ashrrev_i32 v47, 31, v46
	;; [unrolled: 2-line block ×3, first 2 shown]
	v_ashrrev_i32_e32 v73, 31, v72
	v_ashrrev_i32_e32 v77, 31, v76
	v_dual_ashrrev_i32 v81, 31, v80 :: v_dual_ashrrev_i32 v55, 31, v54
	v_dual_ashrrev_i32 v59, 31, v58 :: v_dual_ashrrev_i32 v85, 31, v84
	;; [unrolled: 1-line block ×3, first 2 shown]
	v_ashrrev_i32_e32 v93, 31, v92
	v_ashrrev_i32_e32 v97, 31, v96
	;; [unrolled: 1-line block ×4, first 2 shown]
	v_dual_ashrrev_i32 v109, 31, v108 :: v_dual_ashrrev_i32 v67, 31, v66
	v_dual_ashrrev_i32 v71, 31, v70 :: v_dual_ashrrev_i32 v113, 31, v112
	v_ashrrev_i32_e32 v75, 31, v74
	v_ashrrev_i32_e32 v79, 31, v78
	;; [unrolled: 1-line block ×3, first 2 shown]
	v_dual_ashrrev_i32 v87, 31, v86 :: v_dual_ashrrev_i32 v117, 31, v116
	v_ashrrev_i32_e32 v91, 31, v90
	v_dual_ashrrev_i32 v95, 31, v94 :: v_dual_ashrrev_i32 v121, 31, v120
	v_ashrrev_i32_e32 v99, 31, v98
	v_ashrrev_i32_e32 v103, 31, v102
	;; [unrolled: 1-line block ×7, first 2 shown]
	s_wait_loadcnt_dscnt 0xc00
	v_mul_f64_e32 v[158:159], v[140:141], v[6:7]
	v_mul_f64_e32 v[162:163], v[138:139], v[6:7]
	ds_load_b128 v[150:153], v2 offset:800
	v_fma_f64 v[166:167], v[138:139], v[4:5], -v[158:159]
	v_fmac_f64_e32 v[162:163], v[140:141], v[4:5]
	ds_load_b128 v[4:7], v2 offset:816
	s_wait_loadcnt_dscnt 0xb01
	v_mul_f64_e32 v[164:165], v[150:151], v[10:11]
	v_mul_f64_e32 v[10:11], v[152:153], v[10:11]
	scratch_load_b128 v[138:141], off, off offset:240
	ds_load_b128 v[158:161], v2 offset:832
	s_wait_loadcnt_dscnt 0xb01
	v_mul_f64_e32 v[168:169], v[4:5], v[14:15]
	v_mul_f64_e32 v[14:15], v[6:7], v[14:15]
	v_add_f64_e32 v[162:163], 0, v[162:163]
	v_fmac_f64_e32 v[164:165], v[152:153], v[8:9]
	v_fma_f64 v[150:151], v[150:151], v[8:9], -v[10:11]
	v_add_f64_e32 v[152:153], 0, v[166:167]
	scratch_load_b128 v[8:11], off, off offset:256
	v_fmac_f64_e32 v[168:169], v[6:7], v[12:13]
	v_fma_f64 v[170:171], v[4:5], v[12:13], -v[14:15]
	ds_load_b128 v[4:7], v2 offset:848
	s_wait_loadcnt_dscnt 0xb01
	v_mul_f64_e32 v[166:167], v[158:159], v[18:19]
	v_mul_f64_e32 v[18:19], v[160:161], v[18:19]
	scratch_load_b128 v[12:15], off, off offset:272
	v_add_f64_e32 v[162:163], v[162:163], v[164:165]
	v_add_f64_e32 v[172:173], v[152:153], v[150:151]
	ds_load_b128 v[150:153], v2 offset:864
	s_wait_loadcnt_dscnt 0xb01
	v_mul_f64_e32 v[164:165], v[4:5], v[22:23]
	v_mul_f64_e32 v[22:23], v[6:7], v[22:23]
	v_fmac_f64_e32 v[166:167], v[160:161], v[16:17]
	v_fma_f64 v[158:159], v[158:159], v[16:17], -v[18:19]
	scratch_load_b128 v[16:19], off, off offset:288
	v_add_f64_e32 v[162:163], v[162:163], v[168:169]
	v_add_f64_e32 v[160:161], v[172:173], v[170:171]
	v_fmac_f64_e32 v[164:165], v[6:7], v[20:21]
	v_fma_f64 v[170:171], v[4:5], v[20:21], -v[22:23]
	ds_load_b128 v[4:7], v2 offset:880
	s_wait_loadcnt_dscnt 0xb01
	v_mul_f64_e32 v[168:169], v[150:151], v[26:27]
	v_mul_f64_e32 v[26:27], v[152:153], v[26:27]
	scratch_load_b128 v[20:23], off, off offset:304
	v_add_f64_e32 v[162:163], v[162:163], v[166:167]
	s_wait_loadcnt_dscnt 0xb00
	v_mul_f64_e32 v[166:167], v[4:5], v[30:31]
	v_add_f64_e32 v[172:173], v[160:161], v[158:159]
	v_mul_f64_e32 v[30:31], v[6:7], v[30:31]
	ds_load_b128 v[158:161], v2 offset:896
	v_fmac_f64_e32 v[168:169], v[152:153], v[24:25]
	v_fma_f64 v[150:151], v[150:151], v[24:25], -v[26:27]
	scratch_load_b128 v[24:27], off, off offset:320
	v_add_f64_e32 v[162:163], v[162:163], v[164:165]
	v_fmac_f64_e32 v[166:167], v[6:7], v[28:29]
	v_add_f64_e32 v[152:153], v[172:173], v[170:171]
	v_fma_f64 v[170:171], v[4:5], v[28:29], -v[30:31]
	ds_load_b128 v[4:7], v2 offset:912
	s_wait_loadcnt_dscnt 0xb01
	v_mul_f64_e32 v[164:165], v[158:159], v[128:129]
	v_mul_f64_e32 v[128:129], v[160:161], v[128:129]
	scratch_load_b128 v[28:31], off, off offset:336
	v_add_f64_e32 v[162:163], v[162:163], v[168:169]
	s_wait_loadcnt_dscnt 0xb00
	v_mul_f64_e32 v[168:169], v[4:5], v[132:133]
	v_add_f64_e32 v[172:173], v[152:153], v[150:151]
	v_mul_f64_e32 v[132:133], v[6:7], v[132:133]
	ds_load_b128 v[150:153], v2 offset:928
	v_fmac_f64_e32 v[164:165], v[160:161], v[126:127]
	v_fma_f64 v[158:159], v[158:159], v[126:127], -v[128:129]
	scratch_load_b128 v[126:129], off, off offset:352
	v_add_f64_e32 v[162:163], v[162:163], v[166:167]
	v_fmac_f64_e32 v[168:169], v[6:7], v[130:131]
	v_add_f64_e32 v[160:161], v[172:173], v[170:171]
	;; [unrolled: 18-line block ×3, first 2 shown]
	v_fma_f64 v[170:171], v[4:5], v[142:143], -v[144:145]
	ds_load_b128 v[4:7], v2 offset:976
	s_wait_loadcnt_dscnt 0xa01
	v_mul_f64_e32 v[168:169], v[158:159], v[156:157]
	v_mul_f64_e32 v[156:157], v[160:161], v[156:157]
	scratch_load_b128 v[142:145], off, off offset:400
	v_add_f64_e32 v[162:163], v[162:163], v[166:167]
	v_add_f64_e32 v[172:173], v[152:153], v[150:151]
	s_wait_loadcnt_dscnt 0xa00
	v_mul_f64_e32 v[166:167], v[4:5], v[140:141]
	v_mul_f64_e32 v[140:141], v[6:7], v[140:141]
	v_fmac_f64_e32 v[168:169], v[160:161], v[154:155]
	v_fma_f64 v[158:159], v[158:159], v[154:155], -v[156:157]
	ds_load_b128 v[150:153], v2 offset:992
	scratch_load_b128 v[154:157], off, off offset:416
	v_add_f64_e32 v[162:163], v[162:163], v[164:165]
	v_add_f64_e32 v[160:161], v[172:173], v[170:171]
	v_fmac_f64_e32 v[166:167], v[6:7], v[138:139]
	v_fma_f64 v[170:171], v[4:5], v[138:139], -v[140:141]
	ds_load_b128 v[4:7], v2 offset:1008
	s_wait_loadcnt_dscnt 0xa01
	v_mul_f64_e32 v[164:165], v[150:151], v[10:11]
	v_mul_f64_e32 v[10:11], v[152:153], v[10:11]
	scratch_load_b128 v[138:141], off, off offset:432
	v_add_f64_e32 v[162:163], v[162:163], v[168:169]
	s_wait_loadcnt_dscnt 0xa00
	v_mul_f64_e32 v[168:169], v[4:5], v[14:15]
	v_add_f64_e32 v[172:173], v[160:161], v[158:159]
	v_mul_f64_e32 v[14:15], v[6:7], v[14:15]
	ds_load_b128 v[158:161], v2 offset:1024
	v_fmac_f64_e32 v[164:165], v[152:153], v[8:9]
	v_fma_f64 v[150:151], v[150:151], v[8:9], -v[10:11]
	scratch_load_b128 v[8:11], off, off offset:448
	v_add_f64_e32 v[162:163], v[162:163], v[166:167]
	v_fmac_f64_e32 v[168:169], v[6:7], v[12:13]
	v_add_f64_e32 v[152:153], v[172:173], v[170:171]
	v_fma_f64 v[170:171], v[4:5], v[12:13], -v[14:15]
	ds_load_b128 v[4:7], v2 offset:1040
	s_wait_loadcnt_dscnt 0xa01
	v_mul_f64_e32 v[166:167], v[158:159], v[18:19]
	v_mul_f64_e32 v[18:19], v[160:161], v[18:19]
	scratch_load_b128 v[12:15], off, off offset:464
	v_add_f64_e32 v[162:163], v[162:163], v[164:165]
	s_wait_loadcnt_dscnt 0xa00
	v_mul_f64_e32 v[164:165], v[4:5], v[22:23]
	v_add_f64_e32 v[172:173], v[152:153], v[150:151]
	v_mul_f64_e32 v[22:23], v[6:7], v[22:23]
	ds_load_b128 v[150:153], v2 offset:1056
	v_fmac_f64_e32 v[166:167], v[160:161], v[16:17]
	v_fma_f64 v[158:159], v[158:159], v[16:17], -v[18:19]
	scratch_load_b128 v[16:19], off, off offset:480
	v_add_f64_e32 v[162:163], v[162:163], v[168:169]
	v_fmac_f64_e32 v[164:165], v[6:7], v[20:21]
	v_add_f64_e32 v[160:161], v[172:173], v[170:171]
	;; [unrolled: 18-line block ×9, first 2 shown]
	v_fma_f64 v[170:171], v[4:5], v[28:29], -v[30:31]
	ds_load_b128 v[4:7], v2 offset:1296
	s_wait_loadcnt_dscnt 0xa01
	v_mul_f64_e32 v[164:165], v[158:159], v[128:129]
	v_mul_f64_e32 v[128:129], v[160:161], v[128:129]
	scratch_load_b128 v[28:31], off, off offset:720
	v_add_f64_e32 v[162:163], v[162:163], v[168:169]
	s_wait_loadcnt_dscnt 0xa00
	v_mul_f64_e32 v[168:169], v[4:5], v[132:133]
	v_add_f64_e32 v[172:173], v[152:153], v[150:151]
	v_mul_f64_e32 v[132:133], v[6:7], v[132:133]
	ds_load_b128 v[150:153], v2 offset:1312
	v_fmac_f64_e32 v[164:165], v[160:161], v[126:127]
	v_fma_f64 v[126:127], v[158:159], v[126:127], -v[128:129]
	s_wait_loadcnt_dscnt 0x900
	v_mul_f64_e32 v[160:161], v[150:151], v[136:137]
	v_mul_f64_e32 v[136:137], v[152:153], v[136:137]
	v_add_f64_e32 v[158:159], v[162:163], v[166:167]
	v_fmac_f64_e32 v[168:169], v[6:7], v[130:131]
	v_add_f64_e32 v[128:129], v[172:173], v[170:171]
	v_fma_f64 v[130:131], v[4:5], v[130:131], -v[132:133]
	v_fmac_f64_e32 v[160:161], v[152:153], v[134:135]
	v_fma_f64 v[134:135], v[150:151], v[134:135], -v[136:137]
	v_add_f64_e32 v[158:159], v[158:159], v[164:165]
	v_add_f64_e32 v[132:133], v[128:129], v[126:127]
	ds_load_b128 v[4:7], v2 offset:1328
	ds_load_b128 v[126:129], v2 offset:1344
	s_wait_loadcnt_dscnt 0x801
	v_mul_f64_e32 v[162:163], v[4:5], v[144:145]
	v_mul_f64_e32 v[144:145], v[6:7], v[144:145]
	s_wait_loadcnt_dscnt 0x700
	v_mul_f64_e32 v[136:137], v[126:127], v[156:157]
	v_mul_f64_e32 v[150:151], v[128:129], v[156:157]
	v_add_f64_e32 v[130:131], v[132:133], v[130:131]
	v_add_f64_e32 v[132:133], v[158:159], v[168:169]
	v_fmac_f64_e32 v[162:163], v[6:7], v[142:143]
	v_fma_f64 v[142:143], v[4:5], v[142:143], -v[144:145]
	v_fmac_f64_e32 v[136:137], v[128:129], v[154:155]
	v_fma_f64 v[126:127], v[126:127], v[154:155], -v[150:151]
	v_add_f64_e32 v[134:135], v[130:131], v[134:135]
	v_add_f64_e32 v[144:145], v[132:133], v[160:161]
	ds_load_b128 v[4:7], v2 offset:1360
	ds_load_b128 v[130:133], v2 offset:1376
	s_wait_loadcnt_dscnt 0x601
	v_mul_f64_e32 v[152:153], v[4:5], v[140:141]
	v_mul_f64_e32 v[140:141], v[6:7], v[140:141]
	v_add_f64_e32 v[128:129], v[134:135], v[142:143]
	v_add_f64_e32 v[134:135], v[144:145], v[162:163]
	s_wait_loadcnt_dscnt 0x500
	v_mul_f64_e32 v[142:143], v[130:131], v[10:11]
	v_mul_f64_e32 v[10:11], v[132:133], v[10:11]
	v_fmac_f64_e32 v[152:153], v[6:7], v[138:139]
	v_fma_f64 v[138:139], v[4:5], v[138:139], -v[140:141]
	v_add_f64_e32 v[140:141], v[128:129], v[126:127]
	v_add_f64_e32 v[134:135], v[134:135], v[136:137]
	ds_load_b128 v[4:7], v2 offset:1392
	ds_load_b128 v[126:129], v2 offset:1408
	v_fmac_f64_e32 v[142:143], v[132:133], v[8:9]
	v_fma_f64 v[8:9], v[130:131], v[8:9], -v[10:11]
	s_wait_loadcnt_dscnt 0x401
	v_mul_f64_e32 v[136:137], v[4:5], v[14:15]
	v_mul_f64_e32 v[14:15], v[6:7], v[14:15]
	s_wait_loadcnt_dscnt 0x300
	v_mul_f64_e32 v[132:133], v[126:127], v[18:19]
	v_mul_f64_e32 v[18:19], v[128:129], v[18:19]
	v_add_f64_e32 v[10:11], v[140:141], v[138:139]
	v_add_f64_e32 v[130:131], v[134:135], v[152:153]
	v_fmac_f64_e32 v[136:137], v[6:7], v[12:13]
	v_fma_f64 v[12:13], v[4:5], v[12:13], -v[14:15]
	v_fmac_f64_e32 v[132:133], v[128:129], v[16:17]
	v_fma_f64 v[16:17], v[126:127], v[16:17], -v[18:19]
	v_add_f64_e32 v[14:15], v[10:11], v[8:9]
	v_add_f64_e32 v[130:131], v[130:131], v[142:143]
	ds_load_b128 v[4:7], v2 offset:1424
	ds_load_b128 v[8:11], v2 offset:1440
	s_wait_loadcnt_dscnt 0x201
	v_mul_f64_e32 v[134:135], v[4:5], v[22:23]
	v_mul_f64_e32 v[22:23], v[6:7], v[22:23]
	s_wait_loadcnt_dscnt 0x100
	v_mul_f64_e32 v[18:19], v[8:9], v[26:27]
	v_mul_f64_e32 v[26:27], v[10:11], v[26:27]
	v_add_f64_e32 v[12:13], v[14:15], v[12:13]
	v_add_f64_e32 v[14:15], v[130:131], v[136:137]
	v_fmac_f64_e32 v[134:135], v[6:7], v[20:21]
	v_fma_f64 v[20:21], v[4:5], v[20:21], -v[22:23]
	ds_load_b128 v[4:7], v2 offset:1456
	v_fmac_f64_e32 v[18:19], v[10:11], v[24:25]
	v_fma_f64 v[8:9], v[8:9], v[24:25], -v[26:27]
	v_add_f64_e32 v[12:13], v[12:13], v[16:17]
	v_add_f64_e32 v[14:15], v[14:15], v[132:133]
	s_wait_loadcnt_dscnt 0x0
	v_mul_f64_e32 v[16:17], v[4:5], v[30:31]
	v_mul_f64_e32 v[22:23], v[6:7], v[30:31]
	s_delay_alu instid0(VALU_DEP_4) | instskip(NEXT) | instid1(VALU_DEP_4)
	v_add_f64_e32 v[10:11], v[12:13], v[20:21]
	v_add_f64_e32 v[12:13], v[14:15], v[134:135]
	s_delay_alu instid0(VALU_DEP_4) | instskip(NEXT) | instid1(VALU_DEP_4)
	v_fmac_f64_e32 v[16:17], v[6:7], v[28:29]
	v_fma_f64 v[4:5], v[4:5], v[28:29], -v[22:23]
	s_delay_alu instid0(VALU_DEP_4) | instskip(NEXT) | instid1(VALU_DEP_4)
	v_add_f64_e32 v[6:7], v[10:11], v[8:9]
	v_add_f64_e32 v[8:9], v[12:13], v[18:19]
	s_delay_alu instid0(VALU_DEP_2) | instskip(NEXT) | instid1(VALU_DEP_2)
	v_add_f64_e32 v[4:5], v[6:7], v[4:5]
	v_add_f64_e32 v[6:7], v[8:9], v[16:17]
	s_delay_alu instid0(VALU_DEP_2) | instskip(NEXT) | instid1(VALU_DEP_2)
	v_add_f64_e64 v[4:5], v[146:147], -v[4:5]
	v_add_f64_e64 v[6:7], v[148:149], -v[6:7]
	scratch_store_b128 off, v[4:7], off offset:32
	s_wait_xcnt 0x0
	v_cmpx_lt_u32_e32 1, v1
	s_cbranch_execz .LBB45_287
; %bb.286:
	scratch_load_b128 v[6:9], off, s46
	v_dual_mov_b32 v3, v2 :: v_dual_mov_b32 v4, v2
	v_mov_b32_e32 v5, v2
	scratch_store_b128 off, v[2:5], off offset:16
	s_wait_loadcnt 0x0
	ds_store_b128 v124, v[6:9]
.LBB45_287:
	s_wait_xcnt 0x0
	s_or_b32 exec_lo, exec_lo, s2
	s_wait_storecnt_dscnt 0x0
	s_barrier_signal -1
	s_barrier_wait -1
	s_clause 0x9
	scratch_load_b128 v[4:7], off, off offset:32
	scratch_load_b128 v[8:11], off, off offset:48
	;; [unrolled: 1-line block ×10, first 2 shown]
	ds_load_b128 v[138:141], v2 offset:768
	ds_load_b128 v[146:149], v2 offset:784
	s_clause 0x2
	scratch_load_b128 v[142:145], off, off offset:192
	scratch_load_b128 v[150:153], off, off offset:16
	;; [unrolled: 1-line block ×3, first 2 shown]
	s_mov_b32 s2, exec_lo
	s_wait_loadcnt_dscnt 0xc01
	v_mul_f64_e32 v[158:159], v[140:141], v[6:7]
	v_mul_f64_e32 v[162:163], v[138:139], v[6:7]
	s_wait_loadcnt_dscnt 0xb00
	v_mul_f64_e32 v[164:165], v[146:147], v[10:11]
	v_mul_f64_e32 v[10:11], v[148:149], v[10:11]
	s_delay_alu instid0(VALU_DEP_4) | instskip(NEXT) | instid1(VALU_DEP_4)
	v_fma_f64 v[166:167], v[138:139], v[4:5], -v[158:159]
	v_fmac_f64_e32 v[162:163], v[140:141], v[4:5]
	ds_load_b128 v[4:7], v2 offset:800
	ds_load_b128 v[138:141], v2 offset:816
	scratch_load_b128 v[158:161], off, off offset:224
	v_fmac_f64_e32 v[164:165], v[148:149], v[8:9]
	v_fma_f64 v[146:147], v[146:147], v[8:9], -v[10:11]
	scratch_load_b128 v[8:11], off, off offset:240
	s_wait_loadcnt_dscnt 0xc01
	v_mul_f64_e32 v[168:169], v[4:5], v[14:15]
	v_mul_f64_e32 v[14:15], v[6:7], v[14:15]
	v_add_f64_e32 v[148:149], 0, v[166:167]
	v_add_f64_e32 v[162:163], 0, v[162:163]
	s_wait_loadcnt_dscnt 0xb00
	v_mul_f64_e32 v[166:167], v[138:139], v[18:19]
	v_mul_f64_e32 v[18:19], v[140:141], v[18:19]
	v_fmac_f64_e32 v[168:169], v[6:7], v[12:13]
	v_fma_f64 v[170:171], v[4:5], v[12:13], -v[14:15]
	ds_load_b128 v[4:7], v2 offset:832
	ds_load_b128 v[12:15], v2 offset:848
	v_add_f64_e32 v[172:173], v[148:149], v[146:147]
	v_add_f64_e32 v[162:163], v[162:163], v[164:165]
	scratch_load_b128 v[146:149], off, off offset:256
	v_fmac_f64_e32 v[166:167], v[140:141], v[16:17]
	v_fma_f64 v[138:139], v[138:139], v[16:17], -v[18:19]
	scratch_load_b128 v[16:19], off, off offset:272
	s_wait_loadcnt_dscnt 0xc01
	v_mul_f64_e32 v[164:165], v[4:5], v[22:23]
	v_mul_f64_e32 v[22:23], v[6:7], v[22:23]
	v_add_f64_e32 v[140:141], v[172:173], v[170:171]
	v_add_f64_e32 v[162:163], v[162:163], v[168:169]
	s_wait_loadcnt_dscnt 0xb00
	v_mul_f64_e32 v[168:169], v[12:13], v[26:27]
	v_mul_f64_e32 v[26:27], v[14:15], v[26:27]
	v_fmac_f64_e32 v[164:165], v[6:7], v[20:21]
	v_fma_f64 v[170:171], v[4:5], v[20:21], -v[22:23]
	ds_load_b128 v[4:7], v2 offset:864
	ds_load_b128 v[20:23], v2 offset:880
	v_add_f64_e32 v[172:173], v[140:141], v[138:139]
	v_add_f64_e32 v[162:163], v[162:163], v[166:167]
	scratch_load_b128 v[138:141], off, off offset:288
	s_wait_loadcnt_dscnt 0xb01
	v_mul_f64_e32 v[166:167], v[4:5], v[30:31]
	v_mul_f64_e32 v[30:31], v[6:7], v[30:31]
	v_fmac_f64_e32 v[168:169], v[14:15], v[24:25]
	v_fma_f64 v[24:25], v[12:13], v[24:25], -v[26:27]
	scratch_load_b128 v[12:15], off, off offset:304
	v_add_f64_e32 v[26:27], v[172:173], v[170:171]
	v_add_f64_e32 v[162:163], v[162:163], v[164:165]
	s_wait_loadcnt_dscnt 0xb00
	v_mul_f64_e32 v[164:165], v[20:21], v[128:129]
	v_mul_f64_e32 v[128:129], v[22:23], v[128:129]
	v_fmac_f64_e32 v[166:167], v[6:7], v[28:29]
	v_fma_f64 v[170:171], v[4:5], v[28:29], -v[30:31]
	v_add_f64_e32 v[172:173], v[26:27], v[24:25]
	v_add_f64_e32 v[162:163], v[162:163], v[168:169]
	ds_load_b128 v[4:7], v2 offset:896
	ds_load_b128 v[24:27], v2 offset:912
	scratch_load_b128 v[28:31], off, off offset:320
	v_fmac_f64_e32 v[164:165], v[22:23], v[126:127]
	v_fma_f64 v[126:127], v[20:21], v[126:127], -v[128:129]
	scratch_load_b128 v[20:23], off, off offset:336
	s_wait_loadcnt_dscnt 0xc01
	v_mul_f64_e32 v[168:169], v[4:5], v[132:133]
	v_mul_f64_e32 v[132:133], v[6:7], v[132:133]
	v_add_f64_e32 v[128:129], v[172:173], v[170:171]
	v_add_f64_e32 v[162:163], v[162:163], v[166:167]
	s_wait_loadcnt_dscnt 0xb00
	v_mul_f64_e32 v[166:167], v[24:25], v[136:137]
	v_mul_f64_e32 v[136:137], v[26:27], v[136:137]
	v_fmac_f64_e32 v[168:169], v[6:7], v[130:131]
	v_fma_f64 v[170:171], v[4:5], v[130:131], -v[132:133]
	v_add_f64_e32 v[172:173], v[128:129], v[126:127]
	v_add_f64_e32 v[162:163], v[162:163], v[164:165]
	ds_load_b128 v[4:7], v2 offset:928
	ds_load_b128 v[126:129], v2 offset:944
	scratch_load_b128 v[130:133], off, off offset:352
	v_fmac_f64_e32 v[166:167], v[26:27], v[134:135]
	v_fma_f64 v[134:135], v[24:25], v[134:135], -v[136:137]
	scratch_load_b128 v[24:27], off, off offset:368
	s_wait_loadcnt_dscnt 0xc01
	v_mul_f64_e32 v[164:165], v[4:5], v[144:145]
	v_mul_f64_e32 v[144:145], v[6:7], v[144:145]
	;; [unrolled: 18-line block ×5, first 2 shown]
	v_add_f64_e32 v[156:157], v[172:173], v[170:171]
	v_add_f64_e32 v[162:163], v[162:163], v[168:169]
	s_wait_loadcnt_dscnt 0xa00
	v_mul_f64_e32 v[168:169], v[134:135], v[14:15]
	v_mul_f64_e32 v[14:15], v[136:137], v[14:15]
	v_fmac_f64_e32 v[164:165], v[6:7], v[138:139]
	v_fma_f64 v[170:171], v[4:5], v[138:139], -v[140:141]
	ds_load_b128 v[4:7], v2 offset:1056
	ds_load_b128 v[138:141], v2 offset:1072
	v_add_f64_e32 v[172:173], v[156:157], v[154:155]
	v_add_f64_e32 v[162:163], v[162:163], v[166:167]
	scratch_load_b128 v[154:157], off, off offset:480
	v_fmac_f64_e32 v[168:169], v[136:137], v[12:13]
	v_fma_f64 v[134:135], v[134:135], v[12:13], -v[14:15]
	scratch_load_b128 v[12:15], off, off offset:496
	s_wait_loadcnt_dscnt 0xb01
	v_mul_f64_e32 v[166:167], v[4:5], v[30:31]
	v_mul_f64_e32 v[30:31], v[6:7], v[30:31]
	v_add_f64_e32 v[136:137], v[172:173], v[170:171]
	v_add_f64_e32 v[162:163], v[162:163], v[164:165]
	s_wait_loadcnt_dscnt 0xa00
	v_mul_f64_e32 v[164:165], v[138:139], v[22:23]
	v_mul_f64_e32 v[22:23], v[140:141], v[22:23]
	v_fmac_f64_e32 v[166:167], v[6:7], v[28:29]
	v_fma_f64 v[170:171], v[4:5], v[28:29], -v[30:31]
	ds_load_b128 v[4:7], v2 offset:1088
	ds_load_b128 v[28:31], v2 offset:1104
	v_add_f64_e32 v[172:173], v[136:137], v[134:135]
	v_add_f64_e32 v[162:163], v[162:163], v[168:169]
	scratch_load_b128 v[134:137], off, off offset:512
	s_wait_loadcnt_dscnt 0xa01
	v_mul_f64_e32 v[168:169], v[4:5], v[132:133]
	v_mul_f64_e32 v[132:133], v[6:7], v[132:133]
	v_fmac_f64_e32 v[164:165], v[140:141], v[20:21]
	v_fma_f64 v[138:139], v[138:139], v[20:21], -v[22:23]
	scratch_load_b128 v[20:23], off, off offset:528
	v_add_f64_e32 v[140:141], v[172:173], v[170:171]
	v_add_f64_e32 v[162:163], v[162:163], v[166:167]
	s_wait_loadcnt_dscnt 0xa00
	v_mul_f64_e32 v[166:167], v[28:29], v[26:27]
	v_mul_f64_e32 v[26:27], v[30:31], v[26:27]
	v_fmac_f64_e32 v[168:169], v[6:7], v[130:131]
	v_fma_f64 v[170:171], v[4:5], v[130:131], -v[132:133]
	ds_load_b128 v[4:7], v2 offset:1120
	ds_load_b128 v[130:133], v2 offset:1136
	v_add_f64_e32 v[172:173], v[140:141], v[138:139]
	v_add_f64_e32 v[162:163], v[162:163], v[164:165]
	scratch_load_b128 v[138:141], off, off offset:544
	s_wait_loadcnt_dscnt 0xa01
	v_mul_f64_e32 v[164:165], v[4:5], v[144:145]
	v_mul_f64_e32 v[144:145], v[6:7], v[144:145]
	v_fmac_f64_e32 v[166:167], v[30:31], v[24:25]
	v_fma_f64 v[28:29], v[28:29], v[24:25], -v[26:27]
	scratch_load_b128 v[24:27], off, off offset:560
	v_add_f64_e32 v[30:31], v[172:173], v[170:171]
	v_add_f64_e32 v[162:163], v[162:163], v[168:169]
	s_wait_loadcnt_dscnt 0xa00
	v_mul_f64_e32 v[168:169], v[130:131], v[128:129]
	v_mul_f64_e32 v[128:129], v[132:133], v[128:129]
	v_fmac_f64_e32 v[164:165], v[6:7], v[142:143]
	v_fma_f64 v[170:171], v[4:5], v[142:143], -v[144:145]
	v_add_f64_e32 v[172:173], v[30:31], v[28:29]
	v_add_f64_e32 v[162:163], v[162:163], v[166:167]
	ds_load_b128 v[4:7], v2 offset:1152
	ds_load_b128 v[28:31], v2 offset:1168
	scratch_load_b128 v[142:145], off, off offset:576
	v_fmac_f64_e32 v[168:169], v[132:133], v[126:127]
	v_fma_f64 v[130:131], v[130:131], v[126:127], -v[128:129]
	scratch_load_b128 v[126:129], off, off offset:592
	s_wait_loadcnt_dscnt 0xb01
	v_mul_f64_e32 v[166:167], v[4:5], v[160:161]
	v_mul_f64_e32 v[160:161], v[6:7], v[160:161]
	v_add_f64_e32 v[132:133], v[172:173], v[170:171]
	v_add_f64_e32 v[162:163], v[162:163], v[164:165]
	s_wait_loadcnt_dscnt 0xa00
	v_mul_f64_e32 v[164:165], v[28:29], v[10:11]
	v_mul_f64_e32 v[10:11], v[30:31], v[10:11]
	v_fmac_f64_e32 v[166:167], v[6:7], v[158:159]
	v_fma_f64 v[170:171], v[4:5], v[158:159], -v[160:161]
	v_add_f64_e32 v[172:173], v[132:133], v[130:131]
	v_add_f64_e32 v[162:163], v[162:163], v[168:169]
	ds_load_b128 v[4:7], v2 offset:1184
	ds_load_b128 v[130:133], v2 offset:1200
	scratch_load_b128 v[158:161], off, off offset:608
	v_fmac_f64_e32 v[164:165], v[30:31], v[8:9]
	v_fma_f64 v[28:29], v[28:29], v[8:9], -v[10:11]
	scratch_load_b128 v[8:11], off, off offset:624
	s_wait_loadcnt_dscnt 0xb01
	v_mul_f64_e32 v[168:169], v[4:5], v[148:149]
	v_mul_f64_e32 v[148:149], v[6:7], v[148:149]
	;; [unrolled: 18-line block ×5, first 2 shown]
	v_add_f64_e32 v[132:133], v[172:173], v[170:171]
	v_add_f64_e32 v[162:163], v[162:163], v[166:167]
	s_wait_loadcnt_dscnt 0xa00
	v_mul_f64_e32 v[166:167], v[28:29], v[26:27]
	v_mul_f64_e32 v[26:27], v[30:31], v[26:27]
	v_fmac_f64_e32 v[168:169], v[6:7], v[138:139]
	v_fma_f64 v[138:139], v[4:5], v[138:139], -v[140:141]
	v_add_f64_e32 v[140:141], v[132:133], v[130:131]
	v_add_f64_e32 v[162:163], v[162:163], v[164:165]
	ds_load_b128 v[4:7], v2 offset:1312
	ds_load_b128 v[130:133], v2 offset:1328
	v_fmac_f64_e32 v[166:167], v[30:31], v[24:25]
	v_fma_f64 v[24:25], v[28:29], v[24:25], -v[26:27]
	s_wait_loadcnt_dscnt 0x901
	v_mul_f64_e32 v[164:165], v[4:5], v[144:145]
	v_mul_f64_e32 v[144:145], v[6:7], v[144:145]
	s_wait_loadcnt_dscnt 0x800
	v_mul_f64_e32 v[30:31], v[130:131], v[128:129]
	v_mul_f64_e32 v[128:129], v[132:133], v[128:129]
	v_add_f64_e32 v[26:27], v[140:141], v[138:139]
	v_add_f64_e32 v[28:29], v[162:163], v[168:169]
	v_fmac_f64_e32 v[164:165], v[6:7], v[142:143]
	v_fma_f64 v[138:139], v[4:5], v[142:143], -v[144:145]
	v_fmac_f64_e32 v[30:31], v[132:133], v[126:127]
	v_fma_f64 v[126:127], v[130:131], v[126:127], -v[128:129]
	v_add_f64_e32 v[140:141], v[26:27], v[24:25]
	v_add_f64_e32 v[28:29], v[28:29], v[166:167]
	ds_load_b128 v[4:7], v2 offset:1344
	ds_load_b128 v[24:27], v2 offset:1360
	s_wait_loadcnt_dscnt 0x701
	v_mul_f64_e32 v[142:143], v[4:5], v[160:161]
	v_mul_f64_e32 v[144:145], v[6:7], v[160:161]
	s_wait_loadcnt_dscnt 0x600
	v_mul_f64_e32 v[130:131], v[24:25], v[10:11]
	v_mul_f64_e32 v[10:11], v[26:27], v[10:11]
	v_add_f64_e32 v[128:129], v[140:141], v[138:139]
	v_add_f64_e32 v[28:29], v[28:29], v[164:165]
	v_fmac_f64_e32 v[142:143], v[6:7], v[158:159]
	v_fma_f64 v[132:133], v[4:5], v[158:159], -v[144:145]
	v_fmac_f64_e32 v[130:131], v[26:27], v[8:9]
	v_fma_f64 v[8:9], v[24:25], v[8:9], -v[10:11]
	v_add_f64_e32 v[126:127], v[128:129], v[126:127]
	v_add_f64_e32 v[128:129], v[28:29], v[30:31]
	ds_load_b128 v[4:7], v2 offset:1376
	ds_load_b128 v[28:31], v2 offset:1392
	;; [unrolled: 16-line block ×4, first 2 shown]
	s_wait_loadcnt_dscnt 0x101
	v_mul_f64_e32 v[2:3], v[4:5], v[136:137]
	v_mul_f64_e32 v[26:27], v[6:7], v[136:137]
	v_add_f64_e32 v[10:11], v[18:19], v[126:127]
	v_add_f64_e32 v[12:13], v[24:25], v[130:131]
	s_wait_loadcnt_dscnt 0x0
	v_mul_f64_e32 v[18:19], v[14:15], v[22:23]
	v_mul_f64_e32 v[22:23], v[16:17], v[22:23]
	v_fmac_f64_e32 v[2:3], v[6:7], v[134:135]
	v_fma_f64 v[4:5], v[4:5], v[134:135], -v[26:27]
	v_add_f64_e32 v[6:7], v[10:11], v[8:9]
	v_add_f64_e32 v[8:9], v[12:13], v[28:29]
	v_fmac_f64_e32 v[18:19], v[16:17], v[20:21]
	v_fma_f64 v[10:11], v[14:15], v[20:21], -v[22:23]
	s_delay_alu instid0(VALU_DEP_4) | instskip(NEXT) | instid1(VALU_DEP_4)
	v_add_f64_e32 v[4:5], v[6:7], v[4:5]
	v_add_f64_e32 v[2:3], v[8:9], v[2:3]
	s_delay_alu instid0(VALU_DEP_2) | instskip(NEXT) | instid1(VALU_DEP_2)
	v_add_f64_e32 v[4:5], v[4:5], v[10:11]
	v_add_f64_e32 v[6:7], v[2:3], v[18:19]
	s_delay_alu instid0(VALU_DEP_2) | instskip(NEXT) | instid1(VALU_DEP_2)
	v_add_f64_e64 v[2:3], v[150:151], -v[4:5]
	v_add_f64_e64 v[4:5], v[152:153], -v[6:7]
	scratch_store_b128 off, v[2:5], off offset:16
	s_wait_xcnt 0x0
	v_cmpx_ne_u32_e32 0, v1
	s_cbranch_execz .LBB45_289
; %bb.288:
	scratch_load_b128 v[2:5], off, off
	v_mov_b32_e32 v6, 0
	s_delay_alu instid0(VALU_DEP_1)
	v_dual_mov_b32 v7, v6 :: v_dual_mov_b32 v8, v6
	v_mov_b32_e32 v9, v6
	scratch_store_b128 off, v[6:9], off
	s_wait_loadcnt 0x0
	ds_store_b128 v124, v[2:5]
.LBB45_289:
	s_wait_xcnt 0x0
	s_or_b32 exec_lo, exec_lo, s2
	s_wait_storecnt_dscnt 0x0
	s_barrier_signal -1
	s_barrier_wait -1
	s_clause 0x9
	scratch_load_b128 v[2:5], off, off offset:16
	scratch_load_b128 v[6:9], off, off offset:32
	;; [unrolled: 1-line block ×10, first 2 shown]
	v_mov_b32_e32 v148, 0
	s_and_b32 vcc_lo, exec_lo, s58
	ds_load_b128 v[136:139], v148 offset:752
	s_clause 0x2
	scratch_load_b128 v[140:143], off, off offset:176
	scratch_load_b128 v[150:153], off, off
	scratch_load_b128 v[154:157], off, off offset:192
	s_wait_loadcnt_dscnt 0xc00
	v_mul_f64_e32 v[30:31], v[138:139], v[4:5]
	v_mul_f64_e32 v[162:163], v[136:137], v[4:5]
	ds_load_b128 v[144:147], v148 offset:768
	ds_load_b128 v[158:161], v148 offset:800
	v_fma_f64 v[30:31], v[136:137], v[2:3], -v[30:31]
	v_fmac_f64_e32 v[162:163], v[138:139], v[2:3]
	ds_load_b128 v[2:5], v148 offset:784
	s_wait_loadcnt_dscnt 0xb02
	v_mul_f64_e32 v[164:165], v[144:145], v[8:9]
	v_mul_f64_e32 v[8:9], v[146:147], v[8:9]
	scratch_load_b128 v[136:139], off, off offset:208
	s_wait_loadcnt_dscnt 0xb00
	v_mul_f64_e32 v[166:167], v[2:3], v[12:13]
	v_mul_f64_e32 v[12:13], v[4:5], v[12:13]
	v_add_f64_e32 v[30:31], 0, v[30:31]
	v_fmac_f64_e32 v[164:165], v[146:147], v[6:7]
	v_fma_f64 v[144:145], v[144:145], v[6:7], -v[8:9]
	v_add_f64_e32 v[146:147], 0, v[162:163]
	scratch_load_b128 v[6:9], off, off offset:224
	v_fmac_f64_e32 v[166:167], v[4:5], v[10:11]
	v_fma_f64 v[168:169], v[2:3], v[10:11], -v[12:13]
	ds_load_b128 v[2:5], v148 offset:816
	s_wait_loadcnt 0xb
	v_mul_f64_e32 v[162:163], v[158:159], v[16:17]
	v_mul_f64_e32 v[16:17], v[160:161], v[16:17]
	scratch_load_b128 v[10:13], off, off offset:240
	v_add_f64_e32 v[30:31], v[30:31], v[144:145]
	v_add_f64_e32 v[164:165], v[146:147], v[164:165]
	ds_load_b128 v[144:147], v148 offset:832
	s_wait_loadcnt_dscnt 0xb01
	v_mul_f64_e32 v[170:171], v[2:3], v[20:21]
	v_mul_f64_e32 v[20:21], v[4:5], v[20:21]
	v_fmac_f64_e32 v[162:163], v[160:161], v[14:15]
	v_fma_f64 v[158:159], v[158:159], v[14:15], -v[16:17]
	scratch_load_b128 v[14:17], off, off offset:256
	v_add_f64_e32 v[30:31], v[30:31], v[168:169]
	v_add_f64_e32 v[160:161], v[164:165], v[166:167]
	v_fmac_f64_e32 v[170:171], v[4:5], v[18:19]
	v_fma_f64 v[166:167], v[2:3], v[18:19], -v[20:21]
	ds_load_b128 v[2:5], v148 offset:848
	s_wait_loadcnt_dscnt 0xb01
	v_mul_f64_e32 v[164:165], v[144:145], v[24:25]
	v_mul_f64_e32 v[24:25], v[146:147], v[24:25]
	scratch_load_b128 v[18:21], off, off offset:272
	s_wait_loadcnt_dscnt 0xb00
	v_mul_f64_e32 v[168:169], v[2:3], v[28:29]
	v_mul_f64_e32 v[28:29], v[4:5], v[28:29]
	v_add_f64_e32 v[30:31], v[30:31], v[158:159]
	v_add_f64_e32 v[162:163], v[160:161], v[162:163]
	ds_load_b128 v[158:161], v148 offset:864
	v_fmac_f64_e32 v[164:165], v[146:147], v[22:23]
	v_fma_f64 v[144:145], v[144:145], v[22:23], -v[24:25]
	scratch_load_b128 v[22:25], off, off offset:288
	v_fmac_f64_e32 v[168:169], v[4:5], v[26:27]
	v_add_f64_e32 v[30:31], v[30:31], v[166:167]
	v_add_f64_e32 v[146:147], v[162:163], v[170:171]
	v_fma_f64 v[166:167], v[2:3], v[26:27], -v[28:29]
	ds_load_b128 v[2:5], v148 offset:880
	s_wait_loadcnt_dscnt 0xb01
	v_mul_f64_e32 v[162:163], v[158:159], v[126:127]
	v_mul_f64_e32 v[126:127], v[160:161], v[126:127]
	scratch_load_b128 v[26:29], off, off offset:304
	s_wait_loadcnt_dscnt 0xb00
	v_mul_f64_e32 v[170:171], v[2:3], v[130:131]
	v_mul_f64_e32 v[130:131], v[4:5], v[130:131]
	v_add_f64_e32 v[30:31], v[30:31], v[144:145]
	v_add_f64_e32 v[164:165], v[146:147], v[164:165]
	ds_load_b128 v[144:147], v148 offset:896
	v_fmac_f64_e32 v[162:163], v[160:161], v[124:125]
	v_fma_f64 v[158:159], v[158:159], v[124:125], -v[126:127]
	scratch_load_b128 v[124:127], off, off offset:320
	v_fmac_f64_e32 v[170:171], v[4:5], v[128:129]
	v_add_f64_e32 v[30:31], v[30:31], v[166:167]
	v_add_f64_e32 v[160:161], v[164:165], v[168:169]
	;; [unrolled: 18-line block ×3, first 2 shown]
	v_fma_f64 v[166:167], v[2:3], v[140:141], -v[142:143]
	ds_load_b128 v[2:5], v148 offset:944
	s_wait_loadcnt_dscnt 0xa01
	v_mul_f64_e32 v[162:163], v[158:159], v[156:157]
	v_mul_f64_e32 v[156:157], v[160:161], v[156:157]
	scratch_load_b128 v[140:143], off, off offset:368
	v_add_f64_e32 v[30:31], v[30:31], v[144:145]
	v_add_f64_e32 v[164:165], v[146:147], v[164:165]
	s_wait_loadcnt_dscnt 0xa00
	v_mul_f64_e32 v[170:171], v[2:3], v[138:139]
	v_mul_f64_e32 v[138:139], v[4:5], v[138:139]
	v_fmac_f64_e32 v[162:163], v[160:161], v[154:155]
	v_fma_f64 v[158:159], v[158:159], v[154:155], -v[156:157]
	ds_load_b128 v[144:147], v148 offset:960
	scratch_load_b128 v[154:157], off, off offset:384
	v_add_f64_e32 v[30:31], v[30:31], v[166:167]
	v_add_f64_e32 v[160:161], v[164:165], v[168:169]
	v_fmac_f64_e32 v[170:171], v[4:5], v[136:137]
	v_fma_f64 v[166:167], v[2:3], v[136:137], -v[138:139]
	ds_load_b128 v[2:5], v148 offset:976
	s_wait_loadcnt_dscnt 0xa01
	v_mul_f64_e32 v[164:165], v[144:145], v[8:9]
	v_mul_f64_e32 v[8:9], v[146:147], v[8:9]
	scratch_load_b128 v[136:139], off, off offset:400
	s_wait_loadcnt_dscnt 0xa00
	v_mul_f64_e32 v[168:169], v[2:3], v[12:13]
	v_mul_f64_e32 v[12:13], v[4:5], v[12:13]
	v_add_f64_e32 v[30:31], v[30:31], v[158:159]
	v_add_f64_e32 v[162:163], v[160:161], v[162:163]
	ds_load_b128 v[158:161], v148 offset:992
	v_fmac_f64_e32 v[164:165], v[146:147], v[6:7]
	v_fma_f64 v[144:145], v[144:145], v[6:7], -v[8:9]
	scratch_load_b128 v[6:9], off, off offset:416
	v_fmac_f64_e32 v[168:169], v[4:5], v[10:11]
	v_add_f64_e32 v[30:31], v[30:31], v[166:167]
	v_add_f64_e32 v[146:147], v[162:163], v[170:171]
	v_fma_f64 v[166:167], v[2:3], v[10:11], -v[12:13]
	ds_load_b128 v[2:5], v148 offset:1008
	s_wait_loadcnt_dscnt 0xa01
	v_mul_f64_e32 v[162:163], v[158:159], v[16:17]
	v_mul_f64_e32 v[16:17], v[160:161], v[16:17]
	scratch_load_b128 v[10:13], off, off offset:432
	s_wait_loadcnt_dscnt 0xa00
	v_mul_f64_e32 v[170:171], v[2:3], v[20:21]
	v_mul_f64_e32 v[20:21], v[4:5], v[20:21]
	v_add_f64_e32 v[30:31], v[30:31], v[144:145]
	v_add_f64_e32 v[164:165], v[146:147], v[164:165]
	ds_load_b128 v[144:147], v148 offset:1024
	v_fmac_f64_e32 v[162:163], v[160:161], v[14:15]
	v_fma_f64 v[158:159], v[158:159], v[14:15], -v[16:17]
	scratch_load_b128 v[14:17], off, off offset:448
	v_fmac_f64_e32 v[170:171], v[4:5], v[18:19]
	v_add_f64_e32 v[30:31], v[30:31], v[166:167]
	v_add_f64_e32 v[160:161], v[164:165], v[168:169]
	;; [unrolled: 18-line block ×10, first 2 shown]
	v_fma_f64 v[166:167], v[2:3], v[128:129], -v[130:131]
	ds_load_b128 v[2:5], v148 offset:1296
	s_wait_loadcnt_dscnt 0xa01
	v_mul_f64_e32 v[164:165], v[144:145], v[134:135]
	v_mul_f64_e32 v[134:135], v[146:147], v[134:135]
	scratch_load_b128 v[128:131], off, off offset:720
	s_wait_loadcnt_dscnt 0xa00
	v_mul_f64_e32 v[168:169], v[2:3], v[142:143]
	v_mul_f64_e32 v[142:143], v[4:5], v[142:143]
	v_add_f64_e32 v[30:31], v[30:31], v[158:159]
	v_add_f64_e32 v[162:163], v[160:161], v[162:163]
	ds_load_b128 v[158:161], v148 offset:1312
	v_fmac_f64_e32 v[164:165], v[146:147], v[132:133]
	v_fma_f64 v[132:133], v[144:145], v[132:133], -v[134:135]
	s_wait_loadcnt_dscnt 0x900
	v_mul_f64_e32 v[144:145], v[158:159], v[156:157]
	v_mul_f64_e32 v[146:147], v[160:161], v[156:157]
	v_fmac_f64_e32 v[168:169], v[4:5], v[140:141]
	v_fma_f64 v[140:141], v[2:3], v[140:141], -v[142:143]
	v_add_f64_e32 v[30:31], v[30:31], v[166:167]
	v_add_f64_e32 v[134:135], v[162:163], v[170:171]
	v_fmac_f64_e32 v[144:145], v[160:161], v[154:155]
	v_fma_f64 v[146:147], v[158:159], v[154:155], -v[146:147]
	s_delay_alu instid0(VALU_DEP_4) | instskip(NEXT) | instid1(VALU_DEP_4)
	v_add_f64_e32 v[30:31], v[30:31], v[132:133]
	v_add_f64_e32 v[142:143], v[134:135], v[164:165]
	ds_load_b128 v[2:5], v148 offset:1328
	ds_load_b128 v[132:135], v148 offset:1344
	s_wait_loadcnt_dscnt 0x801
	v_mul_f64_e32 v[156:157], v[2:3], v[138:139]
	v_mul_f64_e32 v[138:139], v[4:5], v[138:139]
	v_add_f64_e32 v[30:31], v[30:31], v[140:141]
	v_add_f64_e32 v[140:141], v[142:143], v[168:169]
	s_wait_loadcnt_dscnt 0x700
	v_mul_f64_e32 v[142:143], v[132:133], v[8:9]
	v_mul_f64_e32 v[8:9], v[134:135], v[8:9]
	v_fmac_f64_e32 v[156:157], v[4:5], v[136:137]
	v_fma_f64 v[154:155], v[2:3], v[136:137], -v[138:139]
	ds_load_b128 v[2:5], v148 offset:1360
	ds_load_b128 v[136:139], v148 offset:1376
	v_add_f64_e32 v[30:31], v[30:31], v[146:147]
	v_add_f64_e32 v[140:141], v[140:141], v[144:145]
	v_fmac_f64_e32 v[142:143], v[134:135], v[6:7]
	v_fma_f64 v[6:7], v[132:133], v[6:7], -v[8:9]
	v_lshl_add_u64 v[146:147], v[36:37], 4, s[4:5]
	v_lshl_add_u64 v[36:37], v[90:91], 4, s[4:5]
	s_wait_loadcnt_dscnt 0x601
	v_mul_f64_e32 v[144:145], v[2:3], v[12:13]
	v_mul_f64_e32 v[12:13], v[4:5], v[12:13]
	s_wait_loadcnt_dscnt 0x500
	v_mul_f64_e32 v[132:133], v[136:137], v[16:17]
	v_mul_f64_e32 v[16:17], v[138:139], v[16:17]
	v_add_f64_e32 v[8:9], v[30:31], v[154:155]
	v_add_f64_e32 v[30:31], v[140:141], v[156:157]
	v_lshl_add_u64 v[140:141], v[40:41], 4, s[4:5]
	v_lshl_add_u64 v[40:41], v[94:95], 4, s[4:5]
	v_fmac_f64_e32 v[144:145], v[4:5], v[10:11]
	v_fma_f64 v[10:11], v[2:3], v[10:11], -v[12:13]
	v_fmac_f64_e32 v[132:133], v[138:139], v[14:15]
	v_fma_f64 v[14:15], v[136:137], v[14:15], -v[16:17]
	v_lshl_add_u64 v[138:139], v[44:45], 4, s[4:5]
	v_lshl_add_u64 v[136:137], v[46:47], 4, s[4:5]
	;; [unrolled: 1-line block ×4, first 2 shown]
	v_add_f64_e32 v[12:13], v[8:9], v[6:7]
	v_add_f64_e32 v[30:31], v[30:31], v[142:143]
	ds_load_b128 v[2:5], v148 offset:1392
	ds_load_b128 v[6:9], v148 offset:1408
	v_lshl_add_u64 v[142:143], v[42:43], 4, s[4:5]
	v_lshl_add_u64 v[42:43], v[96:97], 4, s[4:5]
	s_wait_loadcnt_dscnt 0x401
	v_mul_f64_e32 v[134:135], v[2:3], v[20:21]
	v_mul_f64_e32 v[20:21], v[4:5], v[20:21]
	s_wait_loadcnt_dscnt 0x300
	v_mul_f64_e32 v[16:17], v[6:7], v[24:25]
	v_mul_f64_e32 v[24:25], v[8:9], v[24:25]
	v_add_f64_e32 v[10:11], v[12:13], v[10:11]
	v_add_f64_e32 v[12:13], v[30:31], v[144:145]
	v_lshl_add_u64 v[144:145], v[38:39], 4, s[4:5]
	v_lshl_add_u64 v[38:39], v[92:93], 4, s[4:5]
	v_fmac_f64_e32 v[134:135], v[4:5], v[18:19]
	v_fma_f64 v[18:19], v[2:3], v[18:19], -v[20:21]
	v_fmac_f64_e32 v[16:17], v[8:9], v[22:23]
	v_fma_f64 v[6:7], v[6:7], v[22:23], -v[24:25]
	v_lshl_add_u64 v[24:25], v[82:83], 4, s[4:5]
	v_add_f64_e32 v[14:15], v[10:11], v[14:15]
	v_add_f64_e32 v[20:21], v[12:13], v[132:133]
	ds_load_b128 v[2:5], v148 offset:1424
	ds_load_b128 v[10:13], v148 offset:1440
	v_lshl_add_u64 v[132:133], v[48:49], 4, s[4:5]
	v_lshl_add_u64 v[48:49], v[102:103], 4, s[4:5]
	s_wait_loadcnt_dscnt 0x201
	v_mul_f64_e32 v[30:31], v[2:3], v[28:29]
	v_mul_f64_e32 v[28:29], v[4:5], v[28:29]
	v_add_f64_e32 v[8:9], v[14:15], v[18:19]
	v_add_f64_e32 v[14:15], v[20:21], v[134:135]
	s_wait_loadcnt_dscnt 0x100
	v_mul_f64_e32 v[18:19], v[10:11], v[126:127]
	v_mul_f64_e32 v[20:21], v[12:13], v[126:127]
	v_lshl_add_u64 v[134:135], v[50:51], 4, s[4:5]
	v_lshl_add_u64 v[126:127], v[58:59], 4, s[4:5]
	;; [unrolled: 1-line block ×4, first 2 shown]
	v_fmac_f64_e32 v[30:31], v[4:5], v[26:27]
	v_fma_f64 v[22:23], v[2:3], v[26:27], -v[28:29]
	ds_load_b128 v[2:5], v148 offset:1456
	v_lshl_add_u64 v[26:27], v[84:85], 4, s[4:5]
	v_lshl_add_u64 v[28:29], v[86:87], 4, s[4:5]
	v_add_f64_e32 v[6:7], v[8:9], v[6:7]
	v_add_f64_e32 v[8:9], v[14:15], v[16:17]
	v_fmac_f64_e32 v[18:19], v[12:13], v[124:125]
	v_fma_f64 v[10:11], v[10:11], v[124:125], -v[20:21]
	v_lshl_add_u64 v[124:125], v[56:57], 4, s[4:5]
	v_lshl_add_u64 v[12:13], v[70:71], 4, s[4:5]
	;; [unrolled: 1-line block ×4, first 2 shown]
	s_wait_loadcnt_dscnt 0x0
	v_mul_f64_e32 v[14:15], v[2:3], v[130:131]
	v_mul_f64_e32 v[16:17], v[4:5], v[130:131]
	v_lshl_add_u64 v[130:131], v[52:53], 4, s[4:5]
	v_lshl_add_u64 v[52:53], v[106:107], 4, s[4:5]
	v_add_f64_e32 v[6:7], v[6:7], v[22:23]
	v_add_f64_e32 v[8:9], v[8:9], v[30:31]
	v_lshl_add_u64 v[22:23], v[80:81], 4, s[4:5]
	v_lshl_add_u64 v[30:31], v[88:89], 4, s[4:5]
	v_fmac_f64_e32 v[14:15], v[4:5], v[128:129]
	v_fma_f64 v[2:3], v[2:3], v[128:129], -v[16:17]
	v_lshl_add_u64 v[128:129], v[54:55], 4, s[4:5]
	v_lshl_add_u64 v[16:17], v[74:75], 4, s[4:5]
	;; [unrolled: 1-line block ×3, first 2 shown]
	v_add_f64_e32 v[4:5], v[6:7], v[10:11]
	v_add_f64_e32 v[6:7], v[8:9], v[18:19]
	v_lshl_add_u64 v[10:11], v[68:69], 4, s[4:5]
	v_lshl_add_u64 v[18:19], v[76:77], 4, s[4:5]
	;; [unrolled: 1-line block ×3, first 2 shown]
	v_add_f64_e32 v[8:9], v[4:5], v[2:3]
	v_add_f64_e32 v[6:7], v[6:7], v[14:15]
	v_lshl_add_u64 v[4:5], v[60:61], 4, s[4:5]
	v_lshl_add_u64 v[2:3], v[62:63], 4, s[4:5]
	;; [unrolled: 1-line block ×5, first 2 shown]
	v_add_f64_e64 v[150:151], v[150:151], -v[8:9]
	v_add_f64_e64 v[152:153], v[152:153], -v[6:7]
	v_lshl_add_u64 v[6:7], v[64:65], 4, s[4:5]
	v_lshl_add_u64 v[8:9], v[66:67], 4, s[4:5]
	;; [unrolled: 1-line block ×4, first 2 shown]
	scratch_store_b128 off, v[150:153], off
	s_cbranch_vccz .LBB45_380
; %bb.290:
	global_load_b32 v70, v148, s[16:17] offset:176
	s_load_b64 s[2:3], s[0:1], 0x4
	v_bfe_u32 v71, v0, 10, 10
	v_bfe_u32 v0, v0, 20, 10
	s_wait_kmcnt 0x0
	s_lshr_b32 s0, s2, 16
	s_delay_alu instid0(VALU_DEP_2) | instskip(SKIP_1) | instid1(SALU_CYCLE_1)
	v_mul_u32_u24_e32 v71, s3, v71
	s_mul_i32 s0, s0, s3
	v_mul_u32_u24_e32 v1, s0, v1
	s_delay_alu instid0(VALU_DEP_1) | instskip(NEXT) | instid1(VALU_DEP_1)
	v_add3_u32 v0, v1, v71, v0
	v_lshl_add_u32 v0, v0, 4, 0x5c8
	s_wait_loadcnt 0x0
	v_cmp_ne_u32_e32 vcc_lo, 45, v70
	s_cbranch_vccz .LBB45_292
; %bb.291:
	v_lshlrev_b32_e32 v1, 4, v70
	s_clause 0x1
	scratch_load_b128 v[70:73], off, s22
	scratch_load_b128 v[74:77], v1, off offset:-16
	s_wait_loadcnt 0x1
	ds_store_2addr_b64 v0, v[70:71], v[72:73] offset1:1
	s_wait_loadcnt 0x0
	s_clause 0x1
	scratch_store_b128 off, v[74:77], s22
	scratch_store_b128 v1, v[70:73], off offset:-16
.LBB45_292:
	s_wait_xcnt 0x0
	v_mov_b32_e32 v1, 0
	global_load_b32 v70, v1, s[16:17] offset:172
	s_wait_loadcnt 0x0
	v_cmp_eq_u32_e32 vcc_lo, 44, v70
	s_cbranch_vccnz .LBB45_294
; %bb.293:
	v_lshlrev_b32_e32 v70, 4, v70
	s_delay_alu instid0(VALU_DEP_1)
	v_mov_b32_e32 v78, v70
	s_clause 0x1
	scratch_load_b128 v[70:73], off, s15
	scratch_load_b128 v[74:77], v78, off offset:-16
	s_wait_loadcnt 0x1
	ds_store_2addr_b64 v0, v[70:71], v[72:73] offset1:1
	s_wait_loadcnt 0x0
	s_clause 0x1
	scratch_store_b128 off, v[74:77], s15
	scratch_store_b128 v78, v[70:73], off offset:-16
.LBB45_294:
	global_load_b32 v1, v1, s[16:17] offset:168
	s_wait_loadcnt 0x0
	v_cmp_eq_u32_e32 vcc_lo, 43, v1
	s_cbranch_vccnz .LBB45_296
; %bb.295:
	s_wait_xcnt 0x0
	v_lshlrev_b32_e32 v1, 4, v1
	s_clause 0x1
	scratch_load_b128 v[70:73], off, s25
	scratch_load_b128 v[74:77], v1, off offset:-16
	s_wait_loadcnt 0x1
	ds_store_2addr_b64 v0, v[70:71], v[72:73] offset1:1
	s_wait_loadcnt 0x0
	s_clause 0x1
	scratch_store_b128 off, v[74:77], s25
	scratch_store_b128 v1, v[70:73], off offset:-16
.LBB45_296:
	s_wait_xcnt 0x0
	v_mov_b32_e32 v1, 0
	global_load_b32 v70, v1, s[16:17] offset:164
	s_wait_loadcnt 0x0
	v_cmp_eq_u32_e32 vcc_lo, 42, v70
	s_cbranch_vccnz .LBB45_298
; %bb.297:
	v_lshlrev_b32_e32 v70, 4, v70
	s_delay_alu instid0(VALU_DEP_1)
	v_mov_b32_e32 v78, v70
	s_clause 0x1
	scratch_load_b128 v[70:73], off, s23
	scratch_load_b128 v[74:77], v78, off offset:-16
	s_wait_loadcnt 0x1
	ds_store_2addr_b64 v0, v[70:71], v[72:73] offset1:1
	s_wait_loadcnt 0x0
	s_clause 0x1
	scratch_store_b128 off, v[74:77], s23
	scratch_store_b128 v78, v[70:73], off offset:-16
.LBB45_298:
	global_load_b32 v1, v1, s[16:17] offset:160
	s_wait_loadcnt 0x0
	v_cmp_eq_u32_e32 vcc_lo, 41, v1
	s_cbranch_vccnz .LBB45_300
; %bb.299:
	s_wait_xcnt 0x0
	v_lshlrev_b32_e32 v1, 4, v1
	s_clause 0x1
	scratch_load_b128 v[70:73], off, s29
	scratch_load_b128 v[74:77], v1, off offset:-16
	s_wait_loadcnt 0x1
	ds_store_2addr_b64 v0, v[70:71], v[72:73] offset1:1
	s_wait_loadcnt 0x0
	s_clause 0x1
	scratch_store_b128 off, v[74:77], s29
	scratch_store_b128 v1, v[70:73], off offset:-16
.LBB45_300:
	;; [unrolled: 37-line block ×21, first 2 shown]
	s_wait_xcnt 0x0
	v_mov_b32_e32 v1, 0
	global_load_b32 v70, v1, s[16:17] offset:4
	s_wait_loadcnt 0x0
	v_cmp_eq_u32_e32 vcc_lo, 2, v70
	s_cbranch_vccnz .LBB45_378
; %bb.377:
	v_lshlrev_b32_e32 v70, 4, v70
	s_delay_alu instid0(VALU_DEP_1)
	v_mov_b32_e32 v78, v70
	s_clause 0x1
	scratch_load_b128 v[70:73], off, s46
	scratch_load_b128 v[74:77], v78, off offset:-16
	s_wait_loadcnt 0x1
	ds_store_2addr_b64 v0, v[70:71], v[72:73] offset1:1
	s_wait_loadcnt 0x0
	s_clause 0x1
	scratch_store_b128 off, v[74:77], s46
	scratch_store_b128 v78, v[70:73], off offset:-16
.LBB45_378:
	global_load_b32 v1, v1, s[16:17]
	s_wait_loadcnt 0x0
	v_cmp_eq_u32_e32 vcc_lo, 1, v1
	s_cbranch_vccnz .LBB45_380
; %bb.379:
	s_wait_xcnt 0x0
	v_lshlrev_b32_e32 v1, 4, v1
	scratch_load_b128 v[70:73], off, off
	scratch_load_b128 v[74:77], v1, off offset:-16
	s_wait_loadcnt 0x1
	ds_store_2addr_b64 v0, v[70:71], v[72:73] offset1:1
	s_wait_loadcnt 0x0
	scratch_store_b128 off, v[74:77], off
	scratch_store_b128 v1, v[70:73], off offset:-16
.LBB45_380:
	scratch_load_b128 v[70:73], off, off
	s_clause 0x16
	scratch_load_b128 v[74:77], off, s46
	scratch_load_b128 v[78:81], off, s43
	;; [unrolled: 1-line block ×15, first 2 shown]
	; meta instruction
	; meta instruction
	; meta instruction
	; meta instruction
	; meta instruction
	; meta instruction
	; meta instruction
	; meta instruction
	; meta instruction
	; meta instruction
	; meta instruction
	; meta instruction
	; meta instruction
	; meta instruction
	; meta instruction
	scratch_load_b128 v[160:163], off, s34
	scratch_load_b128 v[164:167], off, s36
	;; [unrolled: 1-line block ×8, first 2 shown]
	s_wait_loadcnt 0x17
	global_store_b128 v[32:33], v[70:73], off
	s_wait_loadcnt 0x16
	global_store_b128 v[34:35], v[74:77], off
	s_clause 0x1
	scratch_load_b128 v[32:35], off, s33
	scratch_load_b128 v[70:73], off, s35
	s_wait_loadcnt 0x17
	global_store_b128 v[146:147], v[78:81], off
	s_clause 0x1
	scratch_load_b128 v[74:77], off, s30
	scratch_load_b128 v[78:81], off, s31
	s_wait_loadcnt 0x18
	global_store_b128 v[144:145], v[82:85], off
	s_clause 0x1
	scratch_load_b128 v[82:85], off, s26
	scratch_load_b128 v[144:147], off, s27
	s_wait_loadcnt 0x19
	global_store_b128 v[140:141], v[86:89], off
	s_wait_loadcnt 0x18
	global_store_b128 v[142:143], v[90:93], off
	s_clause 0x1
	scratch_load_b128 v[86:89], off, s21
	scratch_load_b128 v[90:93], off, s24
	s_wait_loadcnt 0x19
	global_store_b128 v[138:139], v[94:97], off
	s_clause 0x1
	scratch_load_b128 v[94:97], off, s14
	scratch_load_b128 v[138:141], off, s20
	s_wait_loadcnt 0x1a
	global_store_b128 v[136:137], v[98:101], off
	s_clause 0x1
	scratch_load_b128 v[98:101], off, s12
	scratch_load_b128 v[192:195], off, s13
	s_wait_loadcnt 0x1b
	global_store_b128 v[132:133], v[102:105], off
	s_wait_loadcnt 0x1a
	global_store_b128 v[134:135], v[106:109], off
	s_clause 0x1
	scratch_load_b128 v[102:105], off, s10
	scratch_load_b128 v[106:109], off, s11
	s_wait_loadcnt 0x1b
	global_store_b128 v[130:131], v[110:113], off
	s_clause 0x1
	scratch_load_b128 v[110:113], off, s8
	scratch_load_b128 v[130:133], off, s9
	s_wait_loadcnt 0x1c
	global_store_b128 v[128:129], v[114:117], off
	s_clause 0x1
	scratch_load_b128 v[114:117], off, s28
	scratch_load_b128 v[134:137], off, s29
	s_wait_loadcnt 0x1d
	global_store_b128 v[124:125], v[118:121], off
	s_wait_loadcnt 0x1c
	global_store_b128 v[126:127], v[148:151], off
	s_clause 0x1
	scratch_load_b128 v[118:121], off, s23
	scratch_load_b128 v[122:125], off, s25
	s_wait_loadcnt 0x1d
	global_store_b128 v[4:5], v[152:155], off
	s_clause 0x1
	scratch_load_b128 v[126:129], off, s15
	scratch_load_b128 v[148:151], off, s22
	s_wait_loadcnt 0x1e
	global_store_b128 v[2:3], v[156:159], off
	s_wait_loadcnt 0x1d
	global_store_b128 v[6:7], v[160:163], off
	;; [unrolled: 2-line block ×29, first 2 shown]
	s_wait_loadcnt 0x0
	s_clause 0x1
	global_store_b128 v[66:67], v[148:151], off
	global_store_b128 v[68:69], v[188:191], off
	s_sendmsg sendmsg(MSG_DEALLOC_VGPRS)
	s_endpgm
	.section	.rodata,"a",@progbits
	.p2align	6, 0x0
	.amdhsa_kernel _ZN9rocsolver6v33100L18getri_kernel_smallILi46E19rocblas_complex_numIdEPS3_EEvT1_iilPiilS6_bb
		.amdhsa_group_segment_fixed_size 2504
		.amdhsa_private_segment_fixed_size 752
		.amdhsa_kernarg_size 60
		.amdhsa_user_sgpr_count 4
		.amdhsa_user_sgpr_dispatch_ptr 1
		.amdhsa_user_sgpr_queue_ptr 0
		.amdhsa_user_sgpr_kernarg_segment_ptr 1
		.amdhsa_user_sgpr_dispatch_id 0
		.amdhsa_user_sgpr_kernarg_preload_length 0
		.amdhsa_user_sgpr_kernarg_preload_offset 0
		.amdhsa_user_sgpr_private_segment_size 0
		.amdhsa_wavefront_size32 1
		.amdhsa_uses_dynamic_stack 0
		.amdhsa_enable_private_segment 1
		.amdhsa_system_sgpr_workgroup_id_x 1
		.amdhsa_system_sgpr_workgroup_id_y 0
		.amdhsa_system_sgpr_workgroup_id_z 0
		.amdhsa_system_sgpr_workgroup_info 0
		.amdhsa_system_vgpr_workitem_id 2
		.amdhsa_next_free_vgpr 196
		.amdhsa_next_free_sgpr 78
		.amdhsa_named_barrier_count 0
		.amdhsa_reserve_vcc 1
		.amdhsa_float_round_mode_32 0
		.amdhsa_float_round_mode_16_64 0
		.amdhsa_float_denorm_mode_32 3
		.amdhsa_float_denorm_mode_16_64 3
		.amdhsa_fp16_overflow 0
		.amdhsa_memory_ordered 1
		.amdhsa_forward_progress 1
		.amdhsa_inst_pref_size 255
		.amdhsa_round_robin_scheduling 0
		.amdhsa_exception_fp_ieee_invalid_op 0
		.amdhsa_exception_fp_denorm_src 0
		.amdhsa_exception_fp_ieee_div_zero 0
		.amdhsa_exception_fp_ieee_overflow 0
		.amdhsa_exception_fp_ieee_underflow 0
		.amdhsa_exception_fp_ieee_inexact 0
		.amdhsa_exception_int_div_zero 0
	.end_amdhsa_kernel
	.section	.text._ZN9rocsolver6v33100L18getri_kernel_smallILi46E19rocblas_complex_numIdEPS3_EEvT1_iilPiilS6_bb,"axG",@progbits,_ZN9rocsolver6v33100L18getri_kernel_smallILi46E19rocblas_complex_numIdEPS3_EEvT1_iilPiilS6_bb,comdat
.Lfunc_end45:
	.size	_ZN9rocsolver6v33100L18getri_kernel_smallILi46E19rocblas_complex_numIdEPS3_EEvT1_iilPiilS6_bb, .Lfunc_end45-_ZN9rocsolver6v33100L18getri_kernel_smallILi46E19rocblas_complex_numIdEPS3_EEvT1_iilPiilS6_bb
                                        ; -- End function
	.set _ZN9rocsolver6v33100L18getri_kernel_smallILi46E19rocblas_complex_numIdEPS3_EEvT1_iilPiilS6_bb.num_vgpr, 196
	.set _ZN9rocsolver6v33100L18getri_kernel_smallILi46E19rocblas_complex_numIdEPS3_EEvT1_iilPiilS6_bb.num_agpr, 0
	.set _ZN9rocsolver6v33100L18getri_kernel_smallILi46E19rocblas_complex_numIdEPS3_EEvT1_iilPiilS6_bb.numbered_sgpr, 78
	.set _ZN9rocsolver6v33100L18getri_kernel_smallILi46E19rocblas_complex_numIdEPS3_EEvT1_iilPiilS6_bb.num_named_barrier, 0
	.set _ZN9rocsolver6v33100L18getri_kernel_smallILi46E19rocblas_complex_numIdEPS3_EEvT1_iilPiilS6_bb.private_seg_size, 752
	.set _ZN9rocsolver6v33100L18getri_kernel_smallILi46E19rocblas_complex_numIdEPS3_EEvT1_iilPiilS6_bb.uses_vcc, 1
	.set _ZN9rocsolver6v33100L18getri_kernel_smallILi46E19rocblas_complex_numIdEPS3_EEvT1_iilPiilS6_bb.uses_flat_scratch, 1
	.set _ZN9rocsolver6v33100L18getri_kernel_smallILi46E19rocblas_complex_numIdEPS3_EEvT1_iilPiilS6_bb.has_dyn_sized_stack, 0
	.set _ZN9rocsolver6v33100L18getri_kernel_smallILi46E19rocblas_complex_numIdEPS3_EEvT1_iilPiilS6_bb.has_recursion, 0
	.set _ZN9rocsolver6v33100L18getri_kernel_smallILi46E19rocblas_complex_numIdEPS3_EEvT1_iilPiilS6_bb.has_indirect_call, 0
	.section	.AMDGPU.csdata,"",@progbits
; Kernel info:
; codeLenInByte = 82532
; TotalNumSgprs: 80
; NumVgprs: 196
; ScratchSize: 752
; MemoryBound: 0
; FloatMode: 240
; IeeeMode: 1
; LDSByteSize: 2504 bytes/workgroup (compile time only)
; SGPRBlocks: 0
; VGPRBlocks: 12
; NumSGPRsForWavesPerEU: 80
; NumVGPRsForWavesPerEU: 196
; NamedBarCnt: 0
; Occupancy: 4
; WaveLimiterHint : 1
; COMPUTE_PGM_RSRC2:SCRATCH_EN: 1
; COMPUTE_PGM_RSRC2:USER_SGPR: 4
; COMPUTE_PGM_RSRC2:TRAP_HANDLER: 0
; COMPUTE_PGM_RSRC2:TGID_X_EN: 1
; COMPUTE_PGM_RSRC2:TGID_Y_EN: 0
; COMPUTE_PGM_RSRC2:TGID_Z_EN: 0
; COMPUTE_PGM_RSRC2:TIDIG_COMP_CNT: 2
	.section	.text._ZN9rocsolver6v33100L18getri_kernel_smallILi47E19rocblas_complex_numIdEPS3_EEvT1_iilPiilS6_bb,"axG",@progbits,_ZN9rocsolver6v33100L18getri_kernel_smallILi47E19rocblas_complex_numIdEPS3_EEvT1_iilPiilS6_bb,comdat
	.globl	_ZN9rocsolver6v33100L18getri_kernel_smallILi47E19rocblas_complex_numIdEPS3_EEvT1_iilPiilS6_bb ; -- Begin function _ZN9rocsolver6v33100L18getri_kernel_smallILi47E19rocblas_complex_numIdEPS3_EEvT1_iilPiilS6_bb
	.p2align	8
	.type	_ZN9rocsolver6v33100L18getri_kernel_smallILi47E19rocblas_complex_numIdEPS3_EEvT1_iilPiilS6_bb,@function
_ZN9rocsolver6v33100L18getri_kernel_smallILi47E19rocblas_complex_numIdEPS3_EEvT1_iilPiilS6_bb: ; @_ZN9rocsolver6v33100L18getri_kernel_smallILi47E19rocblas_complex_numIdEPS3_EEvT1_iilPiilS6_bb
; %bb.0:
	v_and_b32_e32 v1, 0x3ff, v0
	s_mov_b32 s4, exec_lo
	s_delay_alu instid0(VALU_DEP_1)
	v_cmpx_gt_u32_e32 47, v1
	s_cbranch_execz .LBB46_202
; %bb.1:
	s_clause 0x2
	s_load_b32 s8, s[2:3], 0x38
	s_load_b128 s[12:15], s[2:3], 0x10
	s_load_b128 s[4:7], s[2:3], 0x28
	s_getreg_b32 s11, hwreg(HW_REG_IB_STS2, 6, 4)
                                        ; implicit-def: $sgpr16_sgpr17
	s_wait_kmcnt 0x0
	s_bitcmp1_b32 s8, 8
	s_cselect_b32 s59, -1, 0
	s_bfe_u32 s9, ttmp6, 0x4000c
	s_and_b32 s10, ttmp6, 15
	s_add_co_i32 s9, s9, 1
	s_delay_alu instid0(SALU_CYCLE_1) | instskip(NEXT) | instid1(SALU_CYCLE_1)
	s_mul_i32 s9, ttmp9, s9
	s_add_co_i32 s10, s10, s9
	s_cmp_eq_u32 s11, 0
	s_cselect_b32 s18, ttmp9, s10
	s_bfe_u32 s8, s8, 0x10008
	s_ashr_i32 s19, s18, 31
	s_cmp_eq_u32 s8, 0
	s_cbranch_scc1 .LBB46_3
; %bb.2:
	s_load_b32 s8, s[2:3], 0x20
	s_mul_u64 s[4:5], s[4:5], s[18:19]
	s_delay_alu instid0(SALU_CYCLE_1) | instskip(NEXT) | instid1(SALU_CYCLE_1)
	s_lshl_b64 s[4:5], s[4:5], 2
	s_add_nc_u64 s[4:5], s[14:15], s[4:5]
	s_wait_kmcnt 0x0
	s_ashr_i32 s9, s8, 31
	s_delay_alu instid0(SALU_CYCLE_1) | instskip(NEXT) | instid1(SALU_CYCLE_1)
	s_lshl_b64 s[8:9], s[8:9], 2
	s_add_nc_u64 s[16:17], s[4:5], s[8:9]
.LBB46_3:
	s_clause 0x1
	s_load_b128 s[8:11], s[2:3], 0x0
	s_load_b32 s60, s[2:3], 0x38
	s_wait_xcnt 0x0
	s_mul_u64 s[2:3], s[12:13], s[18:19]
	s_movk_i32 s61, 0x1b0
	s_lshl_b64 s[2:3], s[2:3], 4
	s_movk_i32 s62, 0x1c0
	s_movk_i32 s63, 0x1d0
	;; [unrolled: 1-line block ×15, first 2 shown]
	s_wait_kmcnt 0x0
	v_add3_u32 v36, s11, s11, v1
	s_ashr_i32 s5, s10, 31
	s_mov_b32 s4, s10
	s_add_nc_u64 s[2:3], s[8:9], s[2:3]
	s_lshl_b64 s[4:5], s[4:5], 4
	v_add_nc_u32_e32 v38, s11, v36
	s_add_nc_u64 s[4:5], s[2:3], s[4:5]
	s_ashr_i32 s3, s11, 31
	s_mov_b32 s2, s11
	global_load_b128 v[2:5], v36, s[4:5] scale_offset
	v_add_nc_u32_e32 v40, s11, v38
	s_movk_i32 s77, 0x2b0
	s_movk_i32 s78, 0x2c0
	;; [unrolled: 1-line block ×4, first 2 shown]
	v_add_nc_u32_e32 v42, s11, v40
	s_mov_b32 s47, 16
	s_mov_b32 s37, 32
	s_mov_b32 s40, 48
	s_mov_b32 s44, 64
	v_add_nc_u32_e32 v44, s11, v42
	global_load_b128 v[6:9], v38, s[4:5] scale_offset
	s_movk_i32 s50, 0x50
	s_movk_i32 s52, 0x60
	;; [unrolled: 1-line block ×3, first 2 shown]
	v_add_nc_u32_e32 v46, s11, v44
	s_movk_i32 s48, 0x80
	s_movk_i32 s49, 0x90
	;; [unrolled: 1-line block ×4, first 2 shown]
	v_add_nc_u32_e32 v48, s11, v46
	s_movk_i32 s56, 0xc0
	s_movk_i32 s57, 0xd0
	;; [unrolled: 1-line block ×4, first 2 shown]
	v_dual_add_nc_u32 v50, s11, v48 :: v_dual_lshlrev_b32 v14, 4, v1
	s_movk_i32 s38, 0x100
	s_movk_i32 s39, 0x110
	;; [unrolled: 1-line block ×3, first 2 shown]
	s_delay_alu instid0(VALU_DEP_1) | instskip(SKIP_3) | instid1(VALU_DEP_1)
	v_dual_mov_b32 v15, 0 :: v_dual_add_nc_u32 v52, s11, v50
	s_movk_i32 s45, 0x130
	s_movk_i32 s46, 0x140
	;; [unrolled: 1-line block ×3, first 2 shown]
	v_add_nc_u32_e32 v54, s11, v52
	v_add_nc_u64_e32 v[32:33], s[4:5], v[14:15]
	s_movk_i32 s43, 0x160
	s_movk_i32 s35, 0x170
	;; [unrolled: 1-line block ×3, first 2 shown]
	v_add_nc_u32_e32 v56, s11, v54
	s_movk_i32 s33, 0x190
	s_movk_i32 s34, 0x1a0
	v_lshl_add_u64 v[34:35], s[2:3], 4, v[32:33]
	s_mov_b32 s30, s61
	v_add_nc_u32_e32 v58, s11, v56
	s_clause 0x6
	global_load_b128 v[10:13], v1, s[4:5] scale_offset
	global_load_b128 v[16:19], v[34:35], off
	global_load_b128 v[20:23], v40, s[4:5] scale_offset
	global_load_b128 v[24:27], v42, s[4:5] scale_offset
	;; [unrolled: 1-line block ×5, first 2 shown]
	v_add_nc_u32_e32 v60, s11, v58
	s_clause 0x2
	global_load_b128 v[122:125], v50, s[4:5] scale_offset
	global_load_b128 v[126:129], v52, s[4:5] scale_offset
	;; [unrolled: 1-line block ×3, first 2 shown]
	s_mov_b32 s31, s62
	s_mov_b32 s28, s63
	;; [unrolled: 1-line block ×3, first 2 shown]
	v_add_nc_u32_e32 v62, s11, v60
	s_mov_b32 s26, s65
	s_mov_b32 s27, s66
	;; [unrolled: 1-line block ×4, first 2 shown]
	v_add_nc_u32_e32 v64, s11, v62
	s_clause 0x3
	global_load_b128 v[134:137], v56, s[4:5] scale_offset
	global_load_b128 v[138:141], v58, s[4:5] scale_offset
	;; [unrolled: 1-line block ×4, first 2 shown]
	s_mov_b32 s20, s69
	s_mov_b32 s22, s70
	v_add_nc_u32_e32 v66, s11, v64
	s_mov_b32 s13, s71
	s_mov_b32 s14, s72
	;; [unrolled: 1-line block ×4, first 2 shown]
	v_add_nc_u32_e32 v68, s11, v66
	s_mov_b32 s10, s76
	s_mov_b32 s8, s77
	;; [unrolled: 1-line block ×4, first 2 shown]
	v_add_nc_u32_e32 v70, s11, v68
	s_mov_b32 s21, s80
	s_bitcmp0_b32 s60, 0
	s_mov_b32 s3, -1
	s_delay_alu instid0(VALU_DEP_1) | instskip(NEXT) | instid1(VALU_DEP_1)
	v_add_nc_u32_e32 v72, s11, v70
	v_add_nc_u32_e32 v74, s11, v72
	s_clause 0x2
	global_load_b128 v[150:153], v64, s[4:5] scale_offset
	global_load_b128 v[154:157], v66, s[4:5] scale_offset
	global_load_b128 v[158:161], v68, s[4:5] scale_offset
	v_add_nc_u32_e32 v76, s11, v74
	s_clause 0x1
	global_load_b128 v[162:165], v70, s[4:5] scale_offset
	global_load_b128 v[166:169], v72, s[4:5] scale_offset
	v_add_nc_u32_e32 v78, s11, v76
	s_delay_alu instid0(VALU_DEP_1) | instskip(NEXT) | instid1(VALU_DEP_1)
	v_add_nc_u32_e32 v80, s11, v78
	v_add_nc_u32_e32 v82, s11, v80
	s_delay_alu instid0(VALU_DEP_1)
	v_add_nc_u32_e32 v84, s11, v82
	s_clause 0x2
	global_load_b128 v[170:173], v74, s[4:5] scale_offset
	global_load_b128 v[174:177], v76, s[4:5] scale_offset
	;; [unrolled: 1-line block ×3, first 2 shown]
	v_add_nc_u32_e32 v86, s11, v84
	global_load_b128 v[182:185], v80, s[4:5] scale_offset
	v_add_nc_u32_e32 v88, s11, v86
	global_load_b128 v[186:189], v82, s[4:5] scale_offset
	v_add_nc_u32_e32 v90, s11, v88
	s_delay_alu instid0(VALU_DEP_1) | instskip(NEXT) | instid1(VALU_DEP_1)
	v_add_nc_u32_e32 v92, s11, v90
	v_add_nc_u32_e32 v94, s11, v92
	s_delay_alu instid0(VALU_DEP_1) | instskip(NEXT) | instid1(VALU_DEP_1)
	v_add_nc_u32_e32 v96, s11, v94
	;; [unrolled: 3-line block ×5, first 2 shown]
	v_add_nc_u32_e32 v110, s11, v108
	s_delay_alu instid0(VALU_DEP_1)
	v_add_nc_u32_e32 v112, s11, v110
	s_wait_loadcnt 0x19
	scratch_store_b128 off, v[2:5], off offset:32
	s_clause 0x1
	global_load_b128 v[2:5], v84, s[4:5] scale_offset
	global_load_b128 v[190:193], v86, s[4:5] scale_offset
	s_wait_loadcnt 0x1a
	scratch_store_b128 off, v[6:9], off offset:48
	s_wait_loadcnt 0x19
	scratch_store_b128 off, v[10:13], off
	s_wait_loadcnt 0x18
	scratch_store_b128 off, v[16:19], off offset:16
	s_clause 0x1
	global_load_b128 v[6:9], v88, s[4:5] scale_offset
	global_load_b128 v[10:13], v90, s[4:5] scale_offset
	s_wait_loadcnt 0x19
	scratch_store_b128 off, v[20:23], off offset:64
	s_wait_loadcnt 0x18
	scratch_store_b128 off, v[24:27], off offset:80
	s_clause 0x1
	global_load_b128 v[16:19], v92, s[4:5] scale_offset
	global_load_b128 v[20:23], v94, s[4:5] scale_offset
	s_wait_loadcnt 0x19
	scratch_store_b128 off, v[28:31], off offset:96
	s_wait_loadcnt 0x18
	scratch_store_b128 off, v[114:117], off offset:112
	;; [unrolled: 2-line block ×3, first 2 shown]
	s_wait_xcnt 0x1
	v_add_nc_u32_e32 v114, s11, v112
	s_clause 0x1
	global_load_b128 v[24:27], v96, s[4:5] scale_offset
	global_load_b128 v[28:31], v98, s[4:5] scale_offset
	s_wait_loadcnt 0x18
	scratch_store_b128 off, v[122:125], off offset:144
	s_wait_loadcnt 0x17
	scratch_store_b128 off, v[126:129], off offset:160
	s_clause 0x1
	global_load_b128 v[126:129], v100, s[4:5] scale_offset
	global_load_b128 v[194:197], v102, s[4:5] scale_offset
	s_wait_loadcnt 0x18
	scratch_store_b128 off, v[130:133], off offset:176
	v_add_nc_u32_e32 v116, s11, v114
	s_wait_loadcnt 0x17
	scratch_store_b128 off, v[134:137], off offset:192
	s_wait_loadcnt 0x16
	scratch_store_b128 off, v[138:141], off offset:208
	s_clause 0x1
	global_load_b128 v[130:133], v104, s[4:5] scale_offset
	global_load_b128 v[134:137], v106, s[4:5] scale_offset
	v_add_nc_u32_e32 v118, s11, v116
	s_wait_loadcnt 0x17
	scratch_store_b128 off, v[142:145], off offset:224
	s_wait_loadcnt 0x16
	scratch_store_b128 off, v[146:149], off offset:240
	s_clause 0x1
	global_load_b128 v[138:141], v108, s[4:5] scale_offset
	global_load_b128 v[142:145], v110, s[4:5] scale_offset
	v_add_nc_u32_e32 v120, s11, v118
	s_delay_alu instid0(VALU_DEP_1) | instskip(NEXT) | instid1(VALU_DEP_1)
	v_add_nc_u32_e32 v122, s11, v120
	v_add_nc_u32_e32 v124, s11, v122
	s_mov_b32 s11, s73
	s_wait_loadcnt 0x17
	scratch_store_b128 off, v[150:153], off offset:256
	s_wait_loadcnt 0x16
	scratch_store_b128 off, v[154:157], off offset:272
	;; [unrolled: 2-line block ×3, first 2 shown]
	s_clause 0x1
	global_load_b128 v[146:149], v112, s[4:5] scale_offset
	global_load_b128 v[150:153], v114, s[4:5] scale_offset
	s_wait_loadcnt 0x16
	scratch_store_b128 off, v[162:165], off offset:304
	s_wait_loadcnt 0x15
	scratch_store_b128 off, v[166:169], off offset:320
	s_clause 0x1
	global_load_b128 v[154:157], v116, s[4:5] scale_offset
	global_load_b128 v[158:161], v118, s[4:5] scale_offset
	s_wait_loadcnt 0x16
	scratch_store_b128 off, v[170:173], off offset:336
	s_wait_loadcnt 0x15
	scratch_store_b128 off, v[174:177], off offset:352
	s_clause 0x2
	global_load_b128 v[162:165], v120, s[4:5] scale_offset
	global_load_b128 v[166:169], v122, s[4:5] scale_offset
	;; [unrolled: 1-line block ×3, first 2 shown]
	s_wait_loadcnt 0x17
	scratch_store_b128 off, v[178:181], off offset:368
	s_wait_loadcnt 0x16
	scratch_store_b128 off, v[182:185], off offset:384
	;; [unrolled: 2-line block ×24, first 2 shown]
	s_cbranch_scc1 .LBB46_200
; %bb.4:
	v_cmp_eq_u32_e64 s2, 0, v1
	s_wait_xcnt 0x0
	s_and_saveexec_b32 s3, s2
; %bb.5:
	v_mov_b32_e32 v2, 0
	ds_store_b32 v2, v2 offset:1504
; %bb.6:
	s_or_b32 exec_lo, exec_lo, s3
	s_wait_storecnt_dscnt 0x0
	s_barrier_signal -1
	s_barrier_wait -1
	scratch_load_b128 v[2:5], v1, off scale_offset
	s_wait_loadcnt 0x0
	v_cmp_eq_f64_e32 vcc_lo, 0, v[2:3]
	v_cmp_eq_f64_e64 s3, 0, v[4:5]
	s_and_b32 s3, vcc_lo, s3
	s_delay_alu instid0(SALU_CYCLE_1)
	s_and_saveexec_b32 s60, s3
	s_cbranch_execz .LBB46_10
; %bb.7:
	v_mov_b32_e32 v2, 0
	s_mov_b32 s61, 0
	ds_load_b32 v3, v2 offset:1504
	s_wait_dscnt 0x0
	v_readfirstlane_b32 s3, v3
	v_add_nc_u32_e32 v3, 1, v1
	s_cmp_eq_u32 s3, 0
	s_delay_alu instid0(VALU_DEP_1) | instskip(SKIP_1) | instid1(SALU_CYCLE_1)
	v_cmp_gt_i32_e32 vcc_lo, s3, v3
	s_cselect_b32 s62, -1, 0
	s_or_b32 s62, s62, vcc_lo
	s_delay_alu instid0(SALU_CYCLE_1)
	s_and_b32 exec_lo, exec_lo, s62
	s_cbranch_execz .LBB46_10
; %bb.8:
	v_mov_b32_e32 v4, s3
.LBB46_9:                               ; =>This Inner Loop Header: Depth=1
	ds_cmpstore_rtn_b32 v4, v2, v3, v4 offset:1504
	s_wait_dscnt 0x0
	v_cmp_ne_u32_e32 vcc_lo, 0, v4
	v_cmp_le_i32_e64 s3, v4, v3
	s_and_b32 s3, vcc_lo, s3
	s_delay_alu instid0(SALU_CYCLE_1) | instskip(NEXT) | instid1(SALU_CYCLE_1)
	s_and_b32 s3, exec_lo, s3
	s_or_b32 s61, s3, s61
	s_delay_alu instid0(SALU_CYCLE_1)
	s_and_not1_b32 exec_lo, exec_lo, s61
	s_cbranch_execnz .LBB46_9
.LBB46_10:
	s_or_b32 exec_lo, exec_lo, s60
	v_mov_b32_e32 v2, 0
	s_barrier_signal -1
	s_barrier_wait -1
	ds_load_b32 v3, v2 offset:1504
	s_and_saveexec_b32 s3, s2
	s_cbranch_execz .LBB46_12
; %bb.11:
	s_lshl_b64 s[60:61], s[18:19], 2
	s_delay_alu instid0(SALU_CYCLE_1)
	s_add_nc_u64 s[60:61], s[6:7], s[60:61]
	s_wait_dscnt 0x0
	global_store_b32 v2, v3, s[60:61]
.LBB46_12:
	s_wait_xcnt 0x0
	s_or_b32 exec_lo, exec_lo, s3
	s_wait_dscnt 0x0
	v_cmp_ne_u32_e32 vcc_lo, 0, v3
	s_mov_b32 s3, 0
	s_cbranch_vccnz .LBB46_200
; %bb.13:
	v_lshl_add_u32 v15, v1, 4, 0
                                        ; implicit-def: $vgpr6_vgpr7
                                        ; implicit-def: $vgpr10_vgpr11
	scratch_load_b128 v[2:5], v15, off
	s_wait_loadcnt 0x0
	v_cmp_ngt_f64_e64 s3, |v[2:3]|, |v[4:5]|
	s_wait_xcnt 0x0
	s_and_saveexec_b32 s60, s3
	s_delay_alu instid0(SALU_CYCLE_1)
	s_xor_b32 s3, exec_lo, s60
	s_cbranch_execz .LBB46_15
; %bb.14:
	v_div_scale_f64 v[6:7], null, v[4:5], v[4:5], v[2:3]
	v_div_scale_f64 v[12:13], vcc_lo, v[2:3], v[4:5], v[2:3]
	s_delay_alu instid0(VALU_DEP_2) | instskip(SKIP_1) | instid1(TRANS32_DEP_1)
	v_rcp_f64_e32 v[8:9], v[6:7]
	v_nop
	v_fma_f64 v[10:11], -v[6:7], v[8:9], 1.0
	s_delay_alu instid0(VALU_DEP_1) | instskip(NEXT) | instid1(VALU_DEP_1)
	v_fmac_f64_e32 v[8:9], v[8:9], v[10:11]
	v_fma_f64 v[10:11], -v[6:7], v[8:9], 1.0
	s_delay_alu instid0(VALU_DEP_1) | instskip(NEXT) | instid1(VALU_DEP_1)
	v_fmac_f64_e32 v[8:9], v[8:9], v[10:11]
	v_mul_f64_e32 v[10:11], v[12:13], v[8:9]
	s_delay_alu instid0(VALU_DEP_1) | instskip(NEXT) | instid1(VALU_DEP_1)
	v_fma_f64 v[6:7], -v[6:7], v[10:11], v[12:13]
	v_div_fmas_f64 v[6:7], v[6:7], v[8:9], v[10:11]
	s_delay_alu instid0(VALU_DEP_1) | instskip(NEXT) | instid1(VALU_DEP_1)
	v_div_fixup_f64 v[6:7], v[6:7], v[4:5], v[2:3]
	v_fmac_f64_e32 v[4:5], v[2:3], v[6:7]
	s_delay_alu instid0(VALU_DEP_1) | instskip(SKIP_1) | instid1(VALU_DEP_2)
	v_div_scale_f64 v[2:3], null, v[4:5], v[4:5], 1.0
	v_div_scale_f64 v[12:13], vcc_lo, 1.0, v[4:5], 1.0
	v_rcp_f64_e32 v[8:9], v[2:3]
	v_nop
	s_delay_alu instid0(TRANS32_DEP_1) | instskip(NEXT) | instid1(VALU_DEP_1)
	v_fma_f64 v[10:11], -v[2:3], v[8:9], 1.0
	v_fmac_f64_e32 v[8:9], v[8:9], v[10:11]
	s_delay_alu instid0(VALU_DEP_1) | instskip(NEXT) | instid1(VALU_DEP_1)
	v_fma_f64 v[10:11], -v[2:3], v[8:9], 1.0
	v_fmac_f64_e32 v[8:9], v[8:9], v[10:11]
	s_delay_alu instid0(VALU_DEP_1) | instskip(NEXT) | instid1(VALU_DEP_1)
	v_mul_f64_e32 v[10:11], v[12:13], v[8:9]
	v_fma_f64 v[2:3], -v[2:3], v[10:11], v[12:13]
	s_delay_alu instid0(VALU_DEP_1) | instskip(NEXT) | instid1(VALU_DEP_1)
	v_div_fmas_f64 v[2:3], v[2:3], v[8:9], v[10:11]
	v_div_fixup_f64 v[8:9], v[2:3], v[4:5], 1.0
                                        ; implicit-def: $vgpr2_vgpr3
	s_delay_alu instid0(VALU_DEP_1) | instskip(SKIP_1) | instid1(VALU_DEP_2)
	v_mul_f64_e32 v[6:7], v[6:7], v[8:9]
	v_xor_b32_e32 v9, 0x80000000, v9
	v_xor_b32_e32 v11, 0x80000000, v7
	s_delay_alu instid0(VALU_DEP_3)
	v_mov_b32_e32 v10, v6
.LBB46_15:
	s_and_not1_saveexec_b32 s3, s3
	s_cbranch_execz .LBB46_17
; %bb.16:
	v_div_scale_f64 v[6:7], null, v[2:3], v[2:3], v[4:5]
	v_div_scale_f64 v[12:13], vcc_lo, v[4:5], v[2:3], v[4:5]
	s_delay_alu instid0(VALU_DEP_2) | instskip(SKIP_1) | instid1(TRANS32_DEP_1)
	v_rcp_f64_e32 v[8:9], v[6:7]
	v_nop
	v_fma_f64 v[10:11], -v[6:7], v[8:9], 1.0
	s_delay_alu instid0(VALU_DEP_1) | instskip(NEXT) | instid1(VALU_DEP_1)
	v_fmac_f64_e32 v[8:9], v[8:9], v[10:11]
	v_fma_f64 v[10:11], -v[6:7], v[8:9], 1.0
	s_delay_alu instid0(VALU_DEP_1) | instskip(NEXT) | instid1(VALU_DEP_1)
	v_fmac_f64_e32 v[8:9], v[8:9], v[10:11]
	v_mul_f64_e32 v[10:11], v[12:13], v[8:9]
	s_delay_alu instid0(VALU_DEP_1) | instskip(NEXT) | instid1(VALU_DEP_1)
	v_fma_f64 v[6:7], -v[6:7], v[10:11], v[12:13]
	v_div_fmas_f64 v[6:7], v[6:7], v[8:9], v[10:11]
	s_delay_alu instid0(VALU_DEP_1) | instskip(NEXT) | instid1(VALU_DEP_1)
	v_div_fixup_f64 v[8:9], v[6:7], v[2:3], v[4:5]
	v_fmac_f64_e32 v[2:3], v[4:5], v[8:9]
	s_delay_alu instid0(VALU_DEP_1) | instskip(NEXT) | instid1(VALU_DEP_1)
	v_div_scale_f64 v[4:5], null, v[2:3], v[2:3], 1.0
	v_rcp_f64_e32 v[6:7], v[4:5]
	v_nop
	s_delay_alu instid0(TRANS32_DEP_1) | instskip(NEXT) | instid1(VALU_DEP_1)
	v_fma_f64 v[10:11], -v[4:5], v[6:7], 1.0
	v_fmac_f64_e32 v[6:7], v[6:7], v[10:11]
	s_delay_alu instid0(VALU_DEP_1) | instskip(NEXT) | instid1(VALU_DEP_1)
	v_fma_f64 v[10:11], -v[4:5], v[6:7], 1.0
	v_fmac_f64_e32 v[6:7], v[6:7], v[10:11]
	v_div_scale_f64 v[10:11], vcc_lo, 1.0, v[2:3], 1.0
	s_delay_alu instid0(VALU_DEP_1) | instskip(NEXT) | instid1(VALU_DEP_1)
	v_mul_f64_e32 v[12:13], v[10:11], v[6:7]
	v_fma_f64 v[4:5], -v[4:5], v[12:13], v[10:11]
	s_delay_alu instid0(VALU_DEP_1) | instskip(NEXT) | instid1(VALU_DEP_1)
	v_div_fmas_f64 v[4:5], v[4:5], v[6:7], v[12:13]
	v_div_fixup_f64 v[6:7], v[4:5], v[2:3], 1.0
	s_delay_alu instid0(VALU_DEP_1)
	v_mul_f64_e64 v[8:9], v[8:9], -v[6:7]
	v_xor_b32_e32 v11, 0x80000000, v7
	v_mov_b32_e32 v10, v6
.LBB46_17:
	s_or_b32 exec_lo, exec_lo, s3
	s_clause 0x1
	scratch_store_b128 v15, v[6:9], off
	scratch_load_b128 v[2:5], off, s47
	v_xor_b32_e32 v13, 0x80000000, v9
	v_mov_b32_e32 v12, v8
	s_wait_xcnt 0x1
	v_add_nc_u32_e32 v6, 0x2f0, v14
	ds_store_b128 v14, v[10:13]
	s_wait_loadcnt 0x0
	ds_store_b128 v14, v[2:5] offset:752
	s_wait_storecnt_dscnt 0x0
	s_barrier_signal -1
	s_barrier_wait -1
	s_wait_xcnt 0x0
	s_and_saveexec_b32 s3, s2
	s_cbranch_execz .LBB46_19
; %bb.18:
	scratch_load_b128 v[2:5], v15, off
	ds_load_b128 v[8:11], v6
	v_mov_b32_e32 v7, 0
	ds_load_b128 v[16:19], v7 offset:16
	s_wait_loadcnt_dscnt 0x1
	v_mul_f64_e32 v[12:13], v[8:9], v[4:5]
	v_mul_f64_e32 v[4:5], v[10:11], v[4:5]
	s_delay_alu instid0(VALU_DEP_2) | instskip(NEXT) | instid1(VALU_DEP_2)
	v_fmac_f64_e32 v[12:13], v[10:11], v[2:3]
	v_fma_f64 v[2:3], v[8:9], v[2:3], -v[4:5]
	s_delay_alu instid0(VALU_DEP_2) | instskip(NEXT) | instid1(VALU_DEP_2)
	v_add_f64_e32 v[8:9], 0, v[12:13]
	v_add_f64_e32 v[2:3], 0, v[2:3]
	s_wait_dscnt 0x0
	s_delay_alu instid0(VALU_DEP_2) | instskip(NEXT) | instid1(VALU_DEP_2)
	v_mul_f64_e32 v[10:11], v[8:9], v[18:19]
	v_mul_f64_e32 v[4:5], v[2:3], v[18:19]
	s_delay_alu instid0(VALU_DEP_2) | instskip(NEXT) | instid1(VALU_DEP_2)
	v_fma_f64 v[2:3], v[2:3], v[16:17], -v[10:11]
	v_fmac_f64_e32 v[4:5], v[8:9], v[16:17]
	scratch_store_b128 off, v[2:5], off offset:16
.LBB46_19:
	s_wait_xcnt 0x0
	s_or_b32 exec_lo, exec_lo, s3
	s_wait_storecnt 0x0
	s_barrier_signal -1
	s_barrier_wait -1
	scratch_load_b128 v[2:5], off, s37
	s_mov_b32 s3, exec_lo
	s_wait_loadcnt 0x0
	ds_store_b128 v6, v[2:5]
	s_wait_dscnt 0x0
	s_barrier_signal -1
	s_barrier_wait -1
	v_cmpx_gt_u32_e32 2, v1
	s_cbranch_execz .LBB46_23
; %bb.20:
	scratch_load_b128 v[2:5], v15, off
	ds_load_b128 v[8:11], v6
	s_wait_loadcnt_dscnt 0x0
	v_mul_f64_e32 v[12:13], v[10:11], v[4:5]
	v_mul_f64_e32 v[16:17], v[8:9], v[4:5]
	s_delay_alu instid0(VALU_DEP_2) | instskip(NEXT) | instid1(VALU_DEP_2)
	v_fma_f64 v[4:5], v[8:9], v[2:3], -v[12:13]
	v_fmac_f64_e32 v[16:17], v[10:11], v[2:3]
	s_delay_alu instid0(VALU_DEP_2) | instskip(NEXT) | instid1(VALU_DEP_2)
	v_add_f64_e32 v[4:5], 0, v[4:5]
	v_add_f64_e32 v[2:3], 0, v[16:17]
	s_and_saveexec_b32 s60, s2
	s_cbranch_execz .LBB46_22
; %bb.21:
	scratch_load_b128 v[8:11], off, off offset:16
	v_mov_b32_e32 v7, 0
	ds_load_b128 v[16:19], v7 offset:768
	s_wait_loadcnt_dscnt 0x0
	v_mul_f64_e32 v[12:13], v[16:17], v[10:11]
	v_mul_f64_e32 v[10:11], v[18:19], v[10:11]
	s_delay_alu instid0(VALU_DEP_2) | instskip(NEXT) | instid1(VALU_DEP_2)
	v_fmac_f64_e32 v[12:13], v[18:19], v[8:9]
	v_fma_f64 v[8:9], v[16:17], v[8:9], -v[10:11]
	s_delay_alu instid0(VALU_DEP_2) | instskip(NEXT) | instid1(VALU_DEP_2)
	v_add_f64_e32 v[2:3], v[2:3], v[12:13]
	v_add_f64_e32 v[4:5], v[4:5], v[8:9]
.LBB46_22:
	s_or_b32 exec_lo, exec_lo, s60
	v_mov_b32_e32 v7, 0
	ds_load_b128 v[8:11], v7 offset:32
	s_wait_dscnt 0x0
	v_mul_f64_e32 v[16:17], v[2:3], v[10:11]
	v_mul_f64_e32 v[12:13], v[4:5], v[10:11]
	s_delay_alu instid0(VALU_DEP_2) | instskip(NEXT) | instid1(VALU_DEP_2)
	v_fma_f64 v[10:11], v[4:5], v[8:9], -v[16:17]
	v_fmac_f64_e32 v[12:13], v[2:3], v[8:9]
	scratch_store_b128 off, v[10:13], off offset:32
.LBB46_23:
	s_wait_xcnt 0x0
	s_or_b32 exec_lo, exec_lo, s3
	s_wait_storecnt 0x0
	s_barrier_signal -1
	s_barrier_wait -1
	scratch_load_b128 v[2:5], off, s40
	v_add_nc_u32_e32 v7, -1, v1
	s_mov_b32 s2, exec_lo
	s_wait_loadcnt 0x0
	ds_store_b128 v6, v[2:5]
	s_wait_dscnt 0x0
	s_barrier_signal -1
	s_barrier_wait -1
	v_cmpx_gt_u32_e32 3, v1
	s_cbranch_execz .LBB46_27
; %bb.24:
	v_dual_mov_b32 v10, v14 :: v_dual_add_nc_u32 v8, -1, v1
	v_mov_b64_e32 v[2:3], 0
	v_mov_b64_e32 v[4:5], 0
	v_add_nc_u32_e32 v9, 0x2f0, v14
	s_delay_alu instid0(VALU_DEP_4)
	v_or_b32_e32 v10, 8, v10
	s_mov_b32 s3, 0
.LBB46_25:                              ; =>This Inner Loop Header: Depth=1
	scratch_load_b128 v[16:19], v10, off offset:-8
	ds_load_b128 v[20:23], v9
	v_dual_add_nc_u32 v8, 1, v8 :: v_dual_add_nc_u32 v9, 16, v9
	s_wait_xcnt 0x0
	v_add_nc_u32_e32 v10, 16, v10
	s_delay_alu instid0(VALU_DEP_2) | instskip(SKIP_4) | instid1(VALU_DEP_2)
	v_cmp_lt_u32_e32 vcc_lo, 1, v8
	s_or_b32 s3, vcc_lo, s3
	s_wait_loadcnt_dscnt 0x0
	v_mul_f64_e32 v[12:13], v[22:23], v[18:19]
	v_mul_f64_e32 v[18:19], v[20:21], v[18:19]
	v_fma_f64 v[12:13], v[20:21], v[16:17], -v[12:13]
	s_delay_alu instid0(VALU_DEP_2) | instskip(NEXT) | instid1(VALU_DEP_2)
	v_fmac_f64_e32 v[18:19], v[22:23], v[16:17]
	v_add_f64_e32 v[4:5], v[4:5], v[12:13]
	s_delay_alu instid0(VALU_DEP_2)
	v_add_f64_e32 v[2:3], v[2:3], v[18:19]
	s_and_not1_b32 exec_lo, exec_lo, s3
	s_cbranch_execnz .LBB46_25
; %bb.26:
	s_or_b32 exec_lo, exec_lo, s3
	v_mov_b32_e32 v8, 0
	ds_load_b128 v[8:11], v8 offset:48
	s_wait_dscnt 0x0
	v_mul_f64_e32 v[16:17], v[2:3], v[10:11]
	v_mul_f64_e32 v[12:13], v[4:5], v[10:11]
	s_delay_alu instid0(VALU_DEP_2) | instskip(NEXT) | instid1(VALU_DEP_2)
	v_fma_f64 v[10:11], v[4:5], v[8:9], -v[16:17]
	v_fmac_f64_e32 v[12:13], v[2:3], v[8:9]
	scratch_store_b128 off, v[10:13], off offset:48
.LBB46_27:
	s_wait_xcnt 0x0
	s_or_b32 exec_lo, exec_lo, s2
	s_wait_storecnt 0x0
	s_barrier_signal -1
	s_barrier_wait -1
	scratch_load_b128 v[2:5], off, s44
	s_mov_b32 s2, exec_lo
	s_wait_loadcnt 0x0
	ds_store_b128 v6, v[2:5]
	s_wait_dscnt 0x0
	s_barrier_signal -1
	s_barrier_wait -1
	v_cmpx_gt_u32_e32 4, v1
	s_cbranch_execz .LBB46_31
; %bb.28:
	v_dual_mov_b32 v10, v14 :: v_dual_add_nc_u32 v8, -1, v1
	v_mov_b64_e32 v[2:3], 0
	v_mov_b64_e32 v[4:5], 0
	v_add_nc_u32_e32 v9, 0x2f0, v14
	s_delay_alu instid0(VALU_DEP_4)
	v_or_b32_e32 v10, 8, v10
	s_mov_b32 s3, 0
.LBB46_29:                              ; =>This Inner Loop Header: Depth=1
	scratch_load_b128 v[16:19], v10, off offset:-8
	ds_load_b128 v[20:23], v9
	v_dual_add_nc_u32 v8, 1, v8 :: v_dual_add_nc_u32 v9, 16, v9
	s_wait_xcnt 0x0
	v_add_nc_u32_e32 v10, 16, v10
	s_delay_alu instid0(VALU_DEP_2) | instskip(SKIP_4) | instid1(VALU_DEP_2)
	v_cmp_lt_u32_e32 vcc_lo, 2, v8
	s_or_b32 s3, vcc_lo, s3
	s_wait_loadcnt_dscnt 0x0
	v_mul_f64_e32 v[12:13], v[22:23], v[18:19]
	v_mul_f64_e32 v[18:19], v[20:21], v[18:19]
	v_fma_f64 v[12:13], v[20:21], v[16:17], -v[12:13]
	s_delay_alu instid0(VALU_DEP_2) | instskip(NEXT) | instid1(VALU_DEP_2)
	v_fmac_f64_e32 v[18:19], v[22:23], v[16:17]
	v_add_f64_e32 v[4:5], v[4:5], v[12:13]
	s_delay_alu instid0(VALU_DEP_2)
	v_add_f64_e32 v[2:3], v[2:3], v[18:19]
	s_and_not1_b32 exec_lo, exec_lo, s3
	s_cbranch_execnz .LBB46_29
; %bb.30:
	s_or_b32 exec_lo, exec_lo, s3
	v_mov_b32_e32 v8, 0
	ds_load_b128 v[8:11], v8 offset:64
	s_wait_dscnt 0x0
	v_mul_f64_e32 v[16:17], v[2:3], v[10:11]
	v_mul_f64_e32 v[12:13], v[4:5], v[10:11]
	s_delay_alu instid0(VALU_DEP_2) | instskip(NEXT) | instid1(VALU_DEP_2)
	v_fma_f64 v[10:11], v[4:5], v[8:9], -v[16:17]
	v_fmac_f64_e32 v[12:13], v[2:3], v[8:9]
	scratch_store_b128 off, v[10:13], off offset:64
.LBB46_31:
	s_wait_xcnt 0x0
	s_or_b32 exec_lo, exec_lo, s2
	s_wait_storecnt 0x0
	s_barrier_signal -1
	s_barrier_wait -1
	scratch_load_b128 v[2:5], off, s50
	;; [unrolled: 54-line block ×19, first 2 shown]
	s_mov_b32 s2, exec_lo
	s_wait_loadcnt 0x0
	ds_store_b128 v6, v[2:5]
	s_wait_dscnt 0x0
	s_barrier_signal -1
	s_barrier_wait -1
	v_cmpx_gt_u32_e32 22, v1
	s_cbranch_execz .LBB46_103
; %bb.100:
	v_dual_mov_b32 v10, v14 :: v_dual_add_nc_u32 v8, -1, v1
	v_mov_b64_e32 v[2:3], 0
	v_mov_b64_e32 v[4:5], 0
	v_add_nc_u32_e32 v9, 0x2f0, v14
	s_delay_alu instid0(VALU_DEP_4)
	v_or_b32_e32 v10, 8, v10
	s_mov_b32 s3, 0
.LBB46_101:                             ; =>This Inner Loop Header: Depth=1
	scratch_load_b128 v[16:19], v10, off offset:-8
	ds_load_b128 v[20:23], v9
	v_dual_add_nc_u32 v8, 1, v8 :: v_dual_add_nc_u32 v9, 16, v9
	s_wait_xcnt 0x0
	v_add_nc_u32_e32 v10, 16, v10
	s_delay_alu instid0(VALU_DEP_2) | instskip(SKIP_4) | instid1(VALU_DEP_2)
	v_cmp_lt_u32_e32 vcc_lo, 20, v8
	s_or_b32 s3, vcc_lo, s3
	s_wait_loadcnt_dscnt 0x0
	v_mul_f64_e32 v[12:13], v[22:23], v[18:19]
	v_mul_f64_e32 v[18:19], v[20:21], v[18:19]
	v_fma_f64 v[12:13], v[20:21], v[16:17], -v[12:13]
	s_delay_alu instid0(VALU_DEP_2) | instskip(NEXT) | instid1(VALU_DEP_2)
	v_fmac_f64_e32 v[18:19], v[22:23], v[16:17]
	v_add_f64_e32 v[4:5], v[4:5], v[12:13]
	s_delay_alu instid0(VALU_DEP_2)
	v_add_f64_e32 v[2:3], v[2:3], v[18:19]
	s_and_not1_b32 exec_lo, exec_lo, s3
	s_cbranch_execnz .LBB46_101
; %bb.102:
	s_or_b32 exec_lo, exec_lo, s3
	v_mov_b32_e32 v8, 0
	ds_load_b128 v[8:11], v8 offset:352
	s_wait_dscnt 0x0
	v_mul_f64_e32 v[16:17], v[2:3], v[10:11]
	v_mul_f64_e32 v[12:13], v[4:5], v[10:11]
	s_delay_alu instid0(VALU_DEP_2) | instskip(NEXT) | instid1(VALU_DEP_2)
	v_fma_f64 v[10:11], v[4:5], v[8:9], -v[16:17]
	v_fmac_f64_e32 v[12:13], v[2:3], v[8:9]
	scratch_store_b128 off, v[10:13], off offset:352
.LBB46_103:
	s_wait_xcnt 0x0
	s_or_b32 exec_lo, exec_lo, s2
	s_wait_storecnt 0x0
	s_barrier_signal -1
	s_barrier_wait -1
	scratch_load_b128 v[2:5], off, s35
	s_mov_b32 s2, exec_lo
	s_wait_loadcnt 0x0
	ds_store_b128 v6, v[2:5]
	s_wait_dscnt 0x0
	s_barrier_signal -1
	s_barrier_wait -1
	v_cmpx_gt_u32_e32 23, v1
	s_cbranch_execz .LBB46_107
; %bb.104:
	v_dual_mov_b32 v10, v14 :: v_dual_add_nc_u32 v8, -1, v1
	v_mov_b64_e32 v[2:3], 0
	v_mov_b64_e32 v[4:5], 0
	v_add_nc_u32_e32 v9, 0x2f0, v14
	s_delay_alu instid0(VALU_DEP_4)
	v_or_b32_e32 v10, 8, v10
	s_mov_b32 s3, 0
.LBB46_105:                             ; =>This Inner Loop Header: Depth=1
	scratch_load_b128 v[16:19], v10, off offset:-8
	ds_load_b128 v[20:23], v9
	v_dual_add_nc_u32 v8, 1, v8 :: v_dual_add_nc_u32 v9, 16, v9
	s_wait_xcnt 0x0
	v_add_nc_u32_e32 v10, 16, v10
	s_delay_alu instid0(VALU_DEP_2) | instskip(SKIP_4) | instid1(VALU_DEP_2)
	v_cmp_lt_u32_e32 vcc_lo, 21, v8
	s_or_b32 s3, vcc_lo, s3
	s_wait_loadcnt_dscnt 0x0
	v_mul_f64_e32 v[12:13], v[22:23], v[18:19]
	v_mul_f64_e32 v[18:19], v[20:21], v[18:19]
	v_fma_f64 v[12:13], v[20:21], v[16:17], -v[12:13]
	s_delay_alu instid0(VALU_DEP_2) | instskip(NEXT) | instid1(VALU_DEP_2)
	v_fmac_f64_e32 v[18:19], v[22:23], v[16:17]
	v_add_f64_e32 v[4:5], v[4:5], v[12:13]
	s_delay_alu instid0(VALU_DEP_2)
	v_add_f64_e32 v[2:3], v[2:3], v[18:19]
	s_and_not1_b32 exec_lo, exec_lo, s3
	s_cbranch_execnz .LBB46_105
; %bb.106:
	s_or_b32 exec_lo, exec_lo, s3
	v_mov_b32_e32 v8, 0
	ds_load_b128 v[8:11], v8 offset:368
	s_wait_dscnt 0x0
	v_mul_f64_e32 v[16:17], v[2:3], v[10:11]
	v_mul_f64_e32 v[12:13], v[4:5], v[10:11]
	s_delay_alu instid0(VALU_DEP_2) | instskip(NEXT) | instid1(VALU_DEP_2)
	v_fma_f64 v[10:11], v[4:5], v[8:9], -v[16:17]
	v_fmac_f64_e32 v[12:13], v[2:3], v[8:9]
	scratch_store_b128 off, v[10:13], off offset:368
.LBB46_107:
	s_wait_xcnt 0x0
	s_or_b32 exec_lo, exec_lo, s2
	s_wait_storecnt 0x0
	s_barrier_signal -1
	s_barrier_wait -1
	scratch_load_b128 v[2:5], off, s36
	;; [unrolled: 54-line block ×24, first 2 shown]
	s_mov_b32 s2, exec_lo
	s_wait_loadcnt 0x0
	ds_store_b128 v6, v[2:5]
	s_wait_dscnt 0x0
	s_barrier_signal -1
	s_barrier_wait -1
	v_cmpx_ne_u32_e32 46, v1
	s_cbranch_execz .LBB46_199
; %bb.196:
	v_mov_b32_e32 v8, v14
	v_mov_b64_e32 v[2:3], 0
	v_mov_b64_e32 v[4:5], 0
	s_mov_b32 s3, 0
	s_delay_alu instid0(VALU_DEP_3)
	v_or_b32_e32 v8, 8, v8
.LBB46_197:                             ; =>This Inner Loop Header: Depth=1
	scratch_load_b128 v[10:13], v8, off offset:-8
	ds_load_b128 v[14:17], v6
	v_dual_add_nc_u32 v7, 1, v7 :: v_dual_add_nc_u32 v6, 16, v6
	s_wait_xcnt 0x0
	v_add_nc_u32_e32 v8, 16, v8
	s_delay_alu instid0(VALU_DEP_2) | instskip(SKIP_4) | instid1(VALU_DEP_2)
	v_cmp_lt_u32_e32 vcc_lo, 44, v7
	s_or_b32 s3, vcc_lo, s3
	s_wait_loadcnt_dscnt 0x0
	v_mul_f64_e32 v[18:19], v[16:17], v[12:13]
	v_mul_f64_e32 v[12:13], v[14:15], v[12:13]
	v_fma_f64 v[14:15], v[14:15], v[10:11], -v[18:19]
	s_delay_alu instid0(VALU_DEP_2) | instskip(NEXT) | instid1(VALU_DEP_2)
	v_fmac_f64_e32 v[12:13], v[16:17], v[10:11]
	v_add_f64_e32 v[4:5], v[4:5], v[14:15]
	s_delay_alu instid0(VALU_DEP_2)
	v_add_f64_e32 v[2:3], v[2:3], v[12:13]
	s_and_not1_b32 exec_lo, exec_lo, s3
	s_cbranch_execnz .LBB46_197
; %bb.198:
	s_or_b32 exec_lo, exec_lo, s3
	v_mov_b32_e32 v6, 0
	ds_load_b128 v[6:9], v6 offset:736
	s_wait_dscnt 0x0
	v_mul_f64_e32 v[12:13], v[2:3], v[8:9]
	v_mul_f64_e32 v[10:11], v[4:5], v[8:9]
	s_delay_alu instid0(VALU_DEP_2) | instskip(NEXT) | instid1(VALU_DEP_2)
	v_fma_f64 v[8:9], v[4:5], v[6:7], -v[12:13]
	v_fmac_f64_e32 v[10:11], v[2:3], v[6:7]
	scratch_store_b128 off, v[8:11], off offset:736
.LBB46_199:
	s_wait_xcnt 0x0
	s_or_b32 exec_lo, exec_lo, s2
	s_mov_b32 s3, -1
	s_wait_storecnt 0x0
	s_barrier_signal -1
	s_barrier_wait -1
.LBB46_200:
	s_and_b32 vcc_lo, exec_lo, s3
	s_cbranch_vccz .LBB46_202
; %bb.201:
	s_wait_xcnt 0x14
	v_mov_b32_e32 v2, 0
	s_lshl_b64 s[2:3], s[18:19], 2
	s_delay_alu instid0(SALU_CYCLE_1)
	s_add_nc_u64 s[2:3], s[6:7], s[2:3]
	global_load_b32 v2, v2, s[2:3]
	s_wait_loadcnt 0x0
	v_cmp_ne_u32_e32 vcc_lo, 0, v2
	s_cbranch_vccz .LBB46_203
.LBB46_202:
	s_sendmsg sendmsg(MSG_DEALLOC_VGPRS)
	s_endpgm
.LBB46_203:
	s_wait_xcnt 0xd
	v_lshl_add_u32 v126, v1, 4, 0x2f0
	s_wait_xcnt 0x0
	s_mov_b32 s2, exec_lo
	v_cmpx_eq_u32_e32 46, v1
	s_cbranch_execz .LBB46_205
; %bb.204:
	scratch_load_b128 v[2:5], off, s15
	v_mov_b32_e32 v6, 0
	s_delay_alu instid0(VALU_DEP_1)
	v_dual_mov_b32 v7, v6 :: v_dual_mov_b32 v8, v6
	v_mov_b32_e32 v9, v6
	scratch_store_b128 off, v[6:9], off offset:720
	s_wait_loadcnt 0x0
	ds_store_b128 v126, v[2:5]
.LBB46_205:
	s_wait_xcnt 0x0
	s_or_b32 exec_lo, exec_lo, s2
	s_wait_storecnt_dscnt 0x0
	s_barrier_signal -1
	s_barrier_wait -1
	s_clause 0x1
	scratch_load_b128 v[4:7], off, off offset:736
	scratch_load_b128 v[8:11], off, off offset:720
	v_mov_b32_e32 v2, 0
	s_mov_b32 s2, exec_lo
	ds_load_b128 v[12:15], v2 offset:1488
	s_wait_loadcnt_dscnt 0x100
	v_mul_f64_e32 v[16:17], v[14:15], v[6:7]
	v_mul_f64_e32 v[6:7], v[12:13], v[6:7]
	s_delay_alu instid0(VALU_DEP_2) | instskip(NEXT) | instid1(VALU_DEP_2)
	v_fma_f64 v[12:13], v[12:13], v[4:5], -v[16:17]
	v_fmac_f64_e32 v[6:7], v[14:15], v[4:5]
	s_delay_alu instid0(VALU_DEP_2) | instskip(NEXT) | instid1(VALU_DEP_2)
	v_add_f64_e32 v[4:5], 0, v[12:13]
	v_add_f64_e32 v[6:7], 0, v[6:7]
	s_wait_loadcnt 0x0
	s_delay_alu instid0(VALU_DEP_2) | instskip(NEXT) | instid1(VALU_DEP_2)
	v_add_f64_e64 v[4:5], v[8:9], -v[4:5]
	v_add_f64_e64 v[6:7], v[10:11], -v[6:7]
	scratch_store_b128 off, v[4:7], off offset:720
	s_wait_xcnt 0x0
	v_cmpx_lt_u32_e32 44, v1
	s_cbranch_execz .LBB46_207
; %bb.206:
	scratch_load_b128 v[6:9], off, s23
	v_dual_mov_b32 v3, v2 :: v_dual_mov_b32 v4, v2
	v_mov_b32_e32 v5, v2
	scratch_store_b128 off, v[2:5], off offset:704
	s_wait_loadcnt 0x0
	ds_store_b128 v126, v[6:9]
.LBB46_207:
	s_wait_xcnt 0x0
	s_or_b32 exec_lo, exec_lo, s2
	s_wait_storecnt_dscnt 0x0
	s_barrier_signal -1
	s_barrier_wait -1
	s_clause 0x2
	scratch_load_b128 v[4:7], off, off offset:720
	scratch_load_b128 v[8:11], off, off offset:736
	;; [unrolled: 1-line block ×3, first 2 shown]
	ds_load_b128 v[16:19], v2 offset:1472
	ds_load_b128 v[20:23], v2 offset:1488
	s_mov_b32 s2, exec_lo
	s_wait_loadcnt_dscnt 0x201
	v_mul_f64_e32 v[2:3], v[18:19], v[6:7]
	v_mul_f64_e32 v[6:7], v[16:17], v[6:7]
	s_wait_loadcnt_dscnt 0x100
	v_mul_f64_e32 v[24:25], v[20:21], v[10:11]
	v_mul_f64_e32 v[10:11], v[22:23], v[10:11]
	s_delay_alu instid0(VALU_DEP_4) | instskip(NEXT) | instid1(VALU_DEP_4)
	v_fma_f64 v[2:3], v[16:17], v[4:5], -v[2:3]
	v_fmac_f64_e32 v[6:7], v[18:19], v[4:5]
	s_delay_alu instid0(VALU_DEP_4) | instskip(NEXT) | instid1(VALU_DEP_4)
	v_fmac_f64_e32 v[24:25], v[22:23], v[8:9]
	v_fma_f64 v[4:5], v[20:21], v[8:9], -v[10:11]
	s_delay_alu instid0(VALU_DEP_4) | instskip(NEXT) | instid1(VALU_DEP_4)
	v_add_f64_e32 v[2:3], 0, v[2:3]
	v_add_f64_e32 v[6:7], 0, v[6:7]
	s_delay_alu instid0(VALU_DEP_2) | instskip(NEXT) | instid1(VALU_DEP_2)
	v_add_f64_e32 v[2:3], v[2:3], v[4:5]
	v_add_f64_e32 v[4:5], v[6:7], v[24:25]
	s_wait_loadcnt 0x0
	s_delay_alu instid0(VALU_DEP_2) | instskip(NEXT) | instid1(VALU_DEP_2)
	v_add_f64_e64 v[2:3], v[12:13], -v[2:3]
	v_add_f64_e64 v[4:5], v[14:15], -v[4:5]
	scratch_store_b128 off, v[2:5], off offset:704
	s_wait_xcnt 0x0
	v_cmpx_lt_u32_e32 43, v1
	s_cbranch_execz .LBB46_209
; %bb.208:
	scratch_load_b128 v[2:5], off, s8
	v_mov_b32_e32 v6, 0
	s_delay_alu instid0(VALU_DEP_1)
	v_dual_mov_b32 v7, v6 :: v_dual_mov_b32 v8, v6
	v_mov_b32_e32 v9, v6
	scratch_store_b128 off, v[6:9], off offset:688
	s_wait_loadcnt 0x0
	ds_store_b128 v126, v[2:5]
.LBB46_209:
	s_wait_xcnt 0x0
	s_or_b32 exec_lo, exec_lo, s2
	s_wait_storecnt_dscnt 0x0
	s_barrier_signal -1
	s_barrier_wait -1
	s_clause 0x3
	scratch_load_b128 v[4:7], off, off offset:704
	scratch_load_b128 v[8:11], off, off offset:720
	;; [unrolled: 1-line block ×4, first 2 shown]
	v_mov_b32_e32 v2, 0
	ds_load_b128 v[20:23], v2 offset:1456
	ds_load_b128 v[24:27], v2 offset:1472
	s_mov_b32 s2, exec_lo
	s_wait_loadcnt_dscnt 0x301
	v_mul_f64_e32 v[28:29], v[22:23], v[6:7]
	v_mul_f64_e32 v[30:31], v[20:21], v[6:7]
	s_wait_loadcnt_dscnt 0x200
	v_mul_f64_e32 v[128:129], v[24:25], v[10:11]
	v_mul_f64_e32 v[10:11], v[26:27], v[10:11]
	s_delay_alu instid0(VALU_DEP_4) | instskip(NEXT) | instid1(VALU_DEP_4)
	v_fma_f64 v[20:21], v[20:21], v[4:5], -v[28:29]
	v_fmac_f64_e32 v[30:31], v[22:23], v[4:5]
	ds_load_b128 v[4:7], v2 offset:1488
	v_fmac_f64_e32 v[128:129], v[26:27], v[8:9]
	v_fma_f64 v[8:9], v[24:25], v[8:9], -v[10:11]
	s_wait_loadcnt_dscnt 0x100
	v_mul_f64_e32 v[22:23], v[4:5], v[14:15]
	v_mul_f64_e32 v[14:15], v[6:7], v[14:15]
	v_add_f64_e32 v[10:11], 0, v[20:21]
	v_add_f64_e32 v[20:21], 0, v[30:31]
	s_delay_alu instid0(VALU_DEP_4) | instskip(NEXT) | instid1(VALU_DEP_4)
	v_fmac_f64_e32 v[22:23], v[6:7], v[12:13]
	v_fma_f64 v[4:5], v[4:5], v[12:13], -v[14:15]
	s_delay_alu instid0(VALU_DEP_4) | instskip(NEXT) | instid1(VALU_DEP_4)
	v_add_f64_e32 v[6:7], v[10:11], v[8:9]
	v_add_f64_e32 v[8:9], v[20:21], v[128:129]
	s_delay_alu instid0(VALU_DEP_2) | instskip(NEXT) | instid1(VALU_DEP_2)
	v_add_f64_e32 v[4:5], v[6:7], v[4:5]
	v_add_f64_e32 v[6:7], v[8:9], v[22:23]
	s_wait_loadcnt 0x0
	s_delay_alu instid0(VALU_DEP_2) | instskip(NEXT) | instid1(VALU_DEP_2)
	v_add_f64_e64 v[4:5], v[16:17], -v[4:5]
	v_add_f64_e64 v[6:7], v[18:19], -v[6:7]
	scratch_store_b128 off, v[4:7], off offset:688
	s_wait_xcnt 0x0
	v_cmpx_lt_u32_e32 42, v1
	s_cbranch_execz .LBB46_211
; %bb.210:
	scratch_load_b128 v[6:9], off, s10
	v_dual_mov_b32 v3, v2 :: v_dual_mov_b32 v4, v2
	v_mov_b32_e32 v5, v2
	scratch_store_b128 off, v[2:5], off offset:672
	s_wait_loadcnt 0x0
	ds_store_b128 v126, v[6:9]
.LBB46_211:
	s_wait_xcnt 0x0
	s_or_b32 exec_lo, exec_lo, s2
	s_wait_storecnt_dscnt 0x0
	s_barrier_signal -1
	s_barrier_wait -1
	s_clause 0x4
	scratch_load_b128 v[4:7], off, off offset:688
	scratch_load_b128 v[8:11], off, off offset:704
	scratch_load_b128 v[12:15], off, off offset:720
	scratch_load_b128 v[16:19], off, off offset:736
	scratch_load_b128 v[20:23], off, off offset:672
	ds_load_b128 v[24:27], v2 offset:1440
	ds_load_b128 v[28:31], v2 offset:1456
	s_mov_b32 s2, exec_lo
	s_wait_loadcnt_dscnt 0x401
	v_mul_f64_e32 v[128:129], v[26:27], v[6:7]
	v_mul_f64_e32 v[130:131], v[24:25], v[6:7]
	s_wait_loadcnt_dscnt 0x300
	v_mul_f64_e32 v[132:133], v[28:29], v[10:11]
	v_mul_f64_e32 v[10:11], v[30:31], v[10:11]
	s_delay_alu instid0(VALU_DEP_4) | instskip(NEXT) | instid1(VALU_DEP_4)
	v_fma_f64 v[128:129], v[24:25], v[4:5], -v[128:129]
	v_fmac_f64_e32 v[130:131], v[26:27], v[4:5]
	ds_load_b128 v[4:7], v2 offset:1472
	ds_load_b128 v[24:27], v2 offset:1488
	v_fmac_f64_e32 v[132:133], v[30:31], v[8:9]
	v_fma_f64 v[8:9], v[28:29], v[8:9], -v[10:11]
	s_wait_loadcnt_dscnt 0x201
	v_mul_f64_e32 v[2:3], v[4:5], v[14:15]
	v_mul_f64_e32 v[14:15], v[6:7], v[14:15]
	s_wait_loadcnt_dscnt 0x100
	v_mul_f64_e32 v[30:31], v[24:25], v[18:19]
	v_mul_f64_e32 v[18:19], v[26:27], v[18:19]
	v_add_f64_e32 v[10:11], 0, v[128:129]
	v_add_f64_e32 v[28:29], 0, v[130:131]
	v_fmac_f64_e32 v[2:3], v[6:7], v[12:13]
	v_fma_f64 v[4:5], v[4:5], v[12:13], -v[14:15]
	v_fmac_f64_e32 v[30:31], v[26:27], v[16:17]
	v_add_f64_e32 v[6:7], v[10:11], v[8:9]
	v_add_f64_e32 v[8:9], v[28:29], v[132:133]
	v_fma_f64 v[10:11], v[24:25], v[16:17], -v[18:19]
	s_delay_alu instid0(VALU_DEP_3) | instskip(NEXT) | instid1(VALU_DEP_3)
	v_add_f64_e32 v[4:5], v[6:7], v[4:5]
	v_add_f64_e32 v[2:3], v[8:9], v[2:3]
	s_delay_alu instid0(VALU_DEP_2) | instskip(NEXT) | instid1(VALU_DEP_2)
	v_add_f64_e32 v[4:5], v[4:5], v[10:11]
	v_add_f64_e32 v[6:7], v[2:3], v[30:31]
	s_wait_loadcnt 0x0
	s_delay_alu instid0(VALU_DEP_2) | instskip(NEXT) | instid1(VALU_DEP_2)
	v_add_f64_e64 v[2:3], v[20:21], -v[4:5]
	v_add_f64_e64 v[4:5], v[22:23], -v[6:7]
	scratch_store_b128 off, v[2:5], off offset:672
	s_wait_xcnt 0x0
	v_cmpx_lt_u32_e32 41, v1
	s_cbranch_execz .LBB46_213
; %bb.212:
	scratch_load_b128 v[2:5], off, s9
	v_mov_b32_e32 v6, 0
	s_delay_alu instid0(VALU_DEP_1)
	v_dual_mov_b32 v7, v6 :: v_dual_mov_b32 v8, v6
	v_mov_b32_e32 v9, v6
	scratch_store_b128 off, v[6:9], off offset:656
	s_wait_loadcnt 0x0
	ds_store_b128 v126, v[2:5]
.LBB46_213:
	s_wait_xcnt 0x0
	s_or_b32 exec_lo, exec_lo, s2
	s_wait_storecnt_dscnt 0x0
	s_barrier_signal -1
	s_barrier_wait -1
	s_clause 0x5
	scratch_load_b128 v[4:7], off, off offset:672
	scratch_load_b128 v[8:11], off, off offset:688
	;; [unrolled: 1-line block ×6, first 2 shown]
	v_mov_b32_e32 v2, 0
	ds_load_b128 v[28:31], v2 offset:1424
	ds_load_b128 v[128:131], v2 offset:1440
	s_mov_b32 s2, exec_lo
	s_wait_loadcnt_dscnt 0x501
	v_mul_f64_e32 v[132:133], v[30:31], v[6:7]
	v_mul_f64_e32 v[134:135], v[28:29], v[6:7]
	s_wait_loadcnt_dscnt 0x400
	v_mul_f64_e32 v[136:137], v[128:129], v[10:11]
	v_mul_f64_e32 v[10:11], v[130:131], v[10:11]
	s_delay_alu instid0(VALU_DEP_4) | instskip(NEXT) | instid1(VALU_DEP_4)
	v_fma_f64 v[132:133], v[28:29], v[4:5], -v[132:133]
	v_fmac_f64_e32 v[134:135], v[30:31], v[4:5]
	ds_load_b128 v[4:7], v2 offset:1456
	ds_load_b128 v[28:31], v2 offset:1472
	v_fmac_f64_e32 v[136:137], v[130:131], v[8:9]
	v_fma_f64 v[8:9], v[128:129], v[8:9], -v[10:11]
	s_wait_loadcnt_dscnt 0x301
	v_mul_f64_e32 v[138:139], v[4:5], v[14:15]
	v_mul_f64_e32 v[14:15], v[6:7], v[14:15]
	s_wait_loadcnt_dscnt 0x200
	v_mul_f64_e32 v[130:131], v[28:29], v[18:19]
	v_mul_f64_e32 v[18:19], v[30:31], v[18:19]
	v_add_f64_e32 v[10:11], 0, v[132:133]
	v_add_f64_e32 v[128:129], 0, v[134:135]
	v_fmac_f64_e32 v[138:139], v[6:7], v[12:13]
	v_fma_f64 v[12:13], v[4:5], v[12:13], -v[14:15]
	ds_load_b128 v[4:7], v2 offset:1488
	v_fmac_f64_e32 v[130:131], v[30:31], v[16:17]
	v_fma_f64 v[16:17], v[28:29], v[16:17], -v[18:19]
	v_add_f64_e32 v[8:9], v[10:11], v[8:9]
	v_add_f64_e32 v[10:11], v[128:129], v[136:137]
	s_wait_loadcnt_dscnt 0x100
	v_mul_f64_e32 v[14:15], v[4:5], v[22:23]
	v_mul_f64_e32 v[22:23], v[6:7], v[22:23]
	s_delay_alu instid0(VALU_DEP_4) | instskip(NEXT) | instid1(VALU_DEP_4)
	v_add_f64_e32 v[8:9], v[8:9], v[12:13]
	v_add_f64_e32 v[10:11], v[10:11], v[138:139]
	s_delay_alu instid0(VALU_DEP_4) | instskip(NEXT) | instid1(VALU_DEP_4)
	v_fmac_f64_e32 v[14:15], v[6:7], v[20:21]
	v_fma_f64 v[4:5], v[4:5], v[20:21], -v[22:23]
	s_delay_alu instid0(VALU_DEP_4) | instskip(NEXT) | instid1(VALU_DEP_4)
	v_add_f64_e32 v[6:7], v[8:9], v[16:17]
	v_add_f64_e32 v[8:9], v[10:11], v[130:131]
	s_delay_alu instid0(VALU_DEP_2) | instskip(NEXT) | instid1(VALU_DEP_2)
	v_add_f64_e32 v[4:5], v[6:7], v[4:5]
	v_add_f64_e32 v[6:7], v[8:9], v[14:15]
	s_wait_loadcnt 0x0
	s_delay_alu instid0(VALU_DEP_2) | instskip(NEXT) | instid1(VALU_DEP_2)
	v_add_f64_e64 v[4:5], v[24:25], -v[4:5]
	v_add_f64_e64 v[6:7], v[26:27], -v[6:7]
	scratch_store_b128 off, v[4:7], off offset:656
	s_wait_xcnt 0x0
	v_cmpx_lt_u32_e32 40, v1
	s_cbranch_execz .LBB46_215
; %bb.214:
	scratch_load_b128 v[6:9], off, s12
	v_dual_mov_b32 v3, v2 :: v_dual_mov_b32 v4, v2
	v_mov_b32_e32 v5, v2
	scratch_store_b128 off, v[2:5], off offset:640
	s_wait_loadcnt 0x0
	ds_store_b128 v126, v[6:9]
.LBB46_215:
	s_wait_xcnt 0x0
	s_or_b32 exec_lo, exec_lo, s2
	s_wait_storecnt_dscnt 0x0
	s_barrier_signal -1
	s_barrier_wait -1
	s_clause 0x6
	scratch_load_b128 v[4:7], off, off offset:656
	scratch_load_b128 v[8:11], off, off offset:672
	;; [unrolled: 1-line block ×7, first 2 shown]
	ds_load_b128 v[128:131], v2 offset:1408
	ds_load_b128 v[132:135], v2 offset:1424
	s_mov_b32 s2, exec_lo
	s_wait_loadcnt_dscnt 0x601
	v_mul_f64_e32 v[136:137], v[130:131], v[6:7]
	v_mul_f64_e32 v[138:139], v[128:129], v[6:7]
	s_wait_loadcnt_dscnt 0x500
	v_mul_f64_e32 v[140:141], v[132:133], v[10:11]
	v_mul_f64_e32 v[10:11], v[134:135], v[10:11]
	s_delay_alu instid0(VALU_DEP_4) | instskip(NEXT) | instid1(VALU_DEP_4)
	v_fma_f64 v[136:137], v[128:129], v[4:5], -v[136:137]
	v_fmac_f64_e32 v[138:139], v[130:131], v[4:5]
	ds_load_b128 v[4:7], v2 offset:1440
	ds_load_b128 v[128:131], v2 offset:1456
	v_fmac_f64_e32 v[140:141], v[134:135], v[8:9]
	v_fma_f64 v[8:9], v[132:133], v[8:9], -v[10:11]
	s_wait_loadcnt_dscnt 0x401
	v_mul_f64_e32 v[142:143], v[4:5], v[14:15]
	v_mul_f64_e32 v[14:15], v[6:7], v[14:15]
	s_wait_loadcnt_dscnt 0x300
	v_mul_f64_e32 v[134:135], v[128:129], v[18:19]
	v_mul_f64_e32 v[18:19], v[130:131], v[18:19]
	v_add_f64_e32 v[10:11], 0, v[136:137]
	v_add_f64_e32 v[132:133], 0, v[138:139]
	v_fmac_f64_e32 v[142:143], v[6:7], v[12:13]
	v_fma_f64 v[12:13], v[4:5], v[12:13], -v[14:15]
	v_fmac_f64_e32 v[134:135], v[130:131], v[16:17]
	v_fma_f64 v[16:17], v[128:129], v[16:17], -v[18:19]
	v_add_f64_e32 v[14:15], v[10:11], v[8:9]
	v_add_f64_e32 v[132:133], v[132:133], v[140:141]
	ds_load_b128 v[4:7], v2 offset:1472
	ds_load_b128 v[8:11], v2 offset:1488
	s_wait_loadcnt_dscnt 0x201
	v_mul_f64_e32 v[2:3], v[4:5], v[22:23]
	v_mul_f64_e32 v[22:23], v[6:7], v[22:23]
	s_wait_loadcnt_dscnt 0x100
	v_mul_f64_e32 v[18:19], v[8:9], v[26:27]
	v_mul_f64_e32 v[26:27], v[10:11], v[26:27]
	v_add_f64_e32 v[12:13], v[14:15], v[12:13]
	v_add_f64_e32 v[14:15], v[132:133], v[142:143]
	v_fmac_f64_e32 v[2:3], v[6:7], v[20:21]
	v_fma_f64 v[4:5], v[4:5], v[20:21], -v[22:23]
	v_fmac_f64_e32 v[18:19], v[10:11], v[24:25]
	v_fma_f64 v[8:9], v[8:9], v[24:25], -v[26:27]
	v_add_f64_e32 v[6:7], v[12:13], v[16:17]
	v_add_f64_e32 v[12:13], v[14:15], v[134:135]
	s_delay_alu instid0(VALU_DEP_2) | instskip(NEXT) | instid1(VALU_DEP_2)
	v_add_f64_e32 v[4:5], v[6:7], v[4:5]
	v_add_f64_e32 v[2:3], v[12:13], v[2:3]
	s_delay_alu instid0(VALU_DEP_2) | instskip(NEXT) | instid1(VALU_DEP_2)
	v_add_f64_e32 v[4:5], v[4:5], v[8:9]
	v_add_f64_e32 v[6:7], v[2:3], v[18:19]
	s_wait_loadcnt 0x0
	s_delay_alu instid0(VALU_DEP_2) | instskip(NEXT) | instid1(VALU_DEP_2)
	v_add_f64_e64 v[2:3], v[28:29], -v[4:5]
	v_add_f64_e64 v[4:5], v[30:31], -v[6:7]
	scratch_store_b128 off, v[2:5], off offset:640
	s_wait_xcnt 0x0
	v_cmpx_lt_u32_e32 39, v1
	s_cbranch_execz .LBB46_217
; %bb.216:
	scratch_load_b128 v[2:5], off, s11
	v_mov_b32_e32 v6, 0
	s_delay_alu instid0(VALU_DEP_1)
	v_dual_mov_b32 v7, v6 :: v_dual_mov_b32 v8, v6
	v_mov_b32_e32 v9, v6
	scratch_store_b128 off, v[6:9], off offset:624
	s_wait_loadcnt 0x0
	ds_store_b128 v126, v[2:5]
.LBB46_217:
	s_wait_xcnt 0x0
	s_or_b32 exec_lo, exec_lo, s2
	s_wait_storecnt_dscnt 0x0
	s_barrier_signal -1
	s_barrier_wait -1
	s_clause 0x7
	scratch_load_b128 v[4:7], off, off offset:640
	scratch_load_b128 v[8:11], off, off offset:656
	;; [unrolled: 1-line block ×8, first 2 shown]
	v_mov_b32_e32 v2, 0
	ds_load_b128 v[132:135], v2 offset:1392
	ds_load_b128 v[136:139], v2 offset:1408
	s_mov_b32 s2, exec_lo
	s_wait_loadcnt_dscnt 0x701
	v_mul_f64_e32 v[140:141], v[134:135], v[6:7]
	v_mul_f64_e32 v[142:143], v[132:133], v[6:7]
	s_wait_loadcnt_dscnt 0x600
	v_mul_f64_e32 v[144:145], v[136:137], v[10:11]
	v_mul_f64_e32 v[10:11], v[138:139], v[10:11]
	s_delay_alu instid0(VALU_DEP_4) | instskip(NEXT) | instid1(VALU_DEP_4)
	v_fma_f64 v[140:141], v[132:133], v[4:5], -v[140:141]
	v_fmac_f64_e32 v[142:143], v[134:135], v[4:5]
	ds_load_b128 v[4:7], v2 offset:1424
	ds_load_b128 v[132:135], v2 offset:1440
	v_fmac_f64_e32 v[144:145], v[138:139], v[8:9]
	v_fma_f64 v[8:9], v[136:137], v[8:9], -v[10:11]
	s_wait_loadcnt_dscnt 0x501
	v_mul_f64_e32 v[146:147], v[4:5], v[14:15]
	v_mul_f64_e32 v[14:15], v[6:7], v[14:15]
	s_wait_loadcnt_dscnt 0x400
	v_mul_f64_e32 v[138:139], v[132:133], v[18:19]
	v_mul_f64_e32 v[18:19], v[134:135], v[18:19]
	v_add_f64_e32 v[10:11], 0, v[140:141]
	v_add_f64_e32 v[136:137], 0, v[142:143]
	v_fmac_f64_e32 v[146:147], v[6:7], v[12:13]
	v_fma_f64 v[12:13], v[4:5], v[12:13], -v[14:15]
	v_fmac_f64_e32 v[138:139], v[134:135], v[16:17]
	v_fma_f64 v[16:17], v[132:133], v[16:17], -v[18:19]
	v_add_f64_e32 v[14:15], v[10:11], v[8:9]
	v_add_f64_e32 v[136:137], v[136:137], v[144:145]
	ds_load_b128 v[4:7], v2 offset:1456
	ds_load_b128 v[8:11], v2 offset:1472
	s_wait_loadcnt_dscnt 0x301
	v_mul_f64_e32 v[140:141], v[4:5], v[22:23]
	v_mul_f64_e32 v[22:23], v[6:7], v[22:23]
	s_wait_loadcnt_dscnt 0x200
	v_mul_f64_e32 v[18:19], v[8:9], v[26:27]
	v_mul_f64_e32 v[26:27], v[10:11], v[26:27]
	v_add_f64_e32 v[12:13], v[14:15], v[12:13]
	v_add_f64_e32 v[14:15], v[136:137], v[146:147]
	v_fmac_f64_e32 v[140:141], v[6:7], v[20:21]
	v_fma_f64 v[20:21], v[4:5], v[20:21], -v[22:23]
	ds_load_b128 v[4:7], v2 offset:1488
	v_fmac_f64_e32 v[18:19], v[10:11], v[24:25]
	v_fma_f64 v[8:9], v[8:9], v[24:25], -v[26:27]
	v_add_f64_e32 v[12:13], v[12:13], v[16:17]
	v_add_f64_e32 v[14:15], v[14:15], v[138:139]
	s_wait_loadcnt_dscnt 0x100
	v_mul_f64_e32 v[16:17], v[4:5], v[30:31]
	v_mul_f64_e32 v[22:23], v[6:7], v[30:31]
	s_delay_alu instid0(VALU_DEP_4) | instskip(NEXT) | instid1(VALU_DEP_4)
	v_add_f64_e32 v[10:11], v[12:13], v[20:21]
	v_add_f64_e32 v[12:13], v[14:15], v[140:141]
	s_delay_alu instid0(VALU_DEP_4) | instskip(NEXT) | instid1(VALU_DEP_4)
	v_fmac_f64_e32 v[16:17], v[6:7], v[28:29]
	v_fma_f64 v[4:5], v[4:5], v[28:29], -v[22:23]
	s_delay_alu instid0(VALU_DEP_4) | instskip(NEXT) | instid1(VALU_DEP_4)
	v_add_f64_e32 v[6:7], v[10:11], v[8:9]
	v_add_f64_e32 v[8:9], v[12:13], v[18:19]
	s_delay_alu instid0(VALU_DEP_2) | instskip(NEXT) | instid1(VALU_DEP_2)
	v_add_f64_e32 v[4:5], v[6:7], v[4:5]
	v_add_f64_e32 v[6:7], v[8:9], v[16:17]
	s_wait_loadcnt 0x0
	s_delay_alu instid0(VALU_DEP_2) | instskip(NEXT) | instid1(VALU_DEP_2)
	v_add_f64_e64 v[4:5], v[128:129], -v[4:5]
	v_add_f64_e64 v[6:7], v[130:131], -v[6:7]
	scratch_store_b128 off, v[4:7], off offset:624
	s_wait_xcnt 0x0
	v_cmpx_lt_u32_e32 38, v1
	s_cbranch_execz .LBB46_219
; %bb.218:
	scratch_load_b128 v[6:9], off, s14
	v_dual_mov_b32 v3, v2 :: v_dual_mov_b32 v4, v2
	v_mov_b32_e32 v5, v2
	scratch_store_b128 off, v[2:5], off offset:608
	s_wait_loadcnt 0x0
	ds_store_b128 v126, v[6:9]
.LBB46_219:
	s_wait_xcnt 0x0
	s_or_b32 exec_lo, exec_lo, s2
	s_wait_storecnt_dscnt 0x0
	s_barrier_signal -1
	s_barrier_wait -1
	s_clause 0x7
	scratch_load_b128 v[4:7], off, off offset:624
	scratch_load_b128 v[8:11], off, off offset:640
	;; [unrolled: 1-line block ×8, first 2 shown]
	ds_load_b128 v[132:135], v2 offset:1376
	ds_load_b128 v[136:139], v2 offset:1392
	scratch_load_b128 v[140:143], off, off offset:608
	s_mov_b32 s2, exec_lo
	s_wait_loadcnt_dscnt 0x801
	v_mul_f64_e32 v[144:145], v[134:135], v[6:7]
	v_mul_f64_e32 v[146:147], v[132:133], v[6:7]
	s_wait_loadcnt_dscnt 0x700
	v_mul_f64_e32 v[148:149], v[136:137], v[10:11]
	v_mul_f64_e32 v[10:11], v[138:139], v[10:11]
	s_delay_alu instid0(VALU_DEP_4) | instskip(NEXT) | instid1(VALU_DEP_4)
	v_fma_f64 v[144:145], v[132:133], v[4:5], -v[144:145]
	v_fmac_f64_e32 v[146:147], v[134:135], v[4:5]
	ds_load_b128 v[4:7], v2 offset:1408
	ds_load_b128 v[132:135], v2 offset:1424
	v_fmac_f64_e32 v[148:149], v[138:139], v[8:9]
	v_fma_f64 v[8:9], v[136:137], v[8:9], -v[10:11]
	s_wait_loadcnt_dscnt 0x601
	v_mul_f64_e32 v[150:151], v[4:5], v[14:15]
	v_mul_f64_e32 v[14:15], v[6:7], v[14:15]
	s_wait_loadcnt_dscnt 0x500
	v_mul_f64_e32 v[138:139], v[132:133], v[18:19]
	v_mul_f64_e32 v[18:19], v[134:135], v[18:19]
	v_add_f64_e32 v[10:11], 0, v[144:145]
	v_add_f64_e32 v[136:137], 0, v[146:147]
	v_fmac_f64_e32 v[150:151], v[6:7], v[12:13]
	v_fma_f64 v[12:13], v[4:5], v[12:13], -v[14:15]
	v_fmac_f64_e32 v[138:139], v[134:135], v[16:17]
	v_fma_f64 v[16:17], v[132:133], v[16:17], -v[18:19]
	v_add_f64_e32 v[14:15], v[10:11], v[8:9]
	v_add_f64_e32 v[136:137], v[136:137], v[148:149]
	ds_load_b128 v[4:7], v2 offset:1440
	ds_load_b128 v[8:11], v2 offset:1456
	s_wait_loadcnt_dscnt 0x401
	v_mul_f64_e32 v[144:145], v[4:5], v[22:23]
	v_mul_f64_e32 v[22:23], v[6:7], v[22:23]
	s_wait_loadcnt_dscnt 0x300
	v_mul_f64_e32 v[18:19], v[8:9], v[26:27]
	v_mul_f64_e32 v[26:27], v[10:11], v[26:27]
	v_add_f64_e32 v[12:13], v[14:15], v[12:13]
	v_add_f64_e32 v[14:15], v[136:137], v[150:151]
	v_fmac_f64_e32 v[144:145], v[6:7], v[20:21]
	v_fma_f64 v[20:21], v[4:5], v[20:21], -v[22:23]
	v_fmac_f64_e32 v[18:19], v[10:11], v[24:25]
	v_fma_f64 v[8:9], v[8:9], v[24:25], -v[26:27]
	v_add_f64_e32 v[16:17], v[12:13], v[16:17]
	v_add_f64_e32 v[22:23], v[14:15], v[138:139]
	ds_load_b128 v[4:7], v2 offset:1472
	ds_load_b128 v[12:15], v2 offset:1488
	s_wait_loadcnt_dscnt 0x201
	v_mul_f64_e32 v[2:3], v[4:5], v[30:31]
	v_mul_f64_e32 v[30:31], v[6:7], v[30:31]
	v_add_f64_e32 v[10:11], v[16:17], v[20:21]
	v_add_f64_e32 v[16:17], v[22:23], v[144:145]
	s_wait_loadcnt_dscnt 0x100
	v_mul_f64_e32 v[20:21], v[12:13], v[130:131]
	v_mul_f64_e32 v[22:23], v[14:15], v[130:131]
	v_fmac_f64_e32 v[2:3], v[6:7], v[28:29]
	v_fma_f64 v[4:5], v[4:5], v[28:29], -v[30:31]
	v_add_f64_e32 v[6:7], v[10:11], v[8:9]
	v_add_f64_e32 v[8:9], v[16:17], v[18:19]
	v_fmac_f64_e32 v[20:21], v[14:15], v[128:129]
	v_fma_f64 v[10:11], v[12:13], v[128:129], -v[22:23]
	s_delay_alu instid0(VALU_DEP_4) | instskip(NEXT) | instid1(VALU_DEP_4)
	v_add_f64_e32 v[4:5], v[6:7], v[4:5]
	v_add_f64_e32 v[2:3], v[8:9], v[2:3]
	s_delay_alu instid0(VALU_DEP_2) | instskip(NEXT) | instid1(VALU_DEP_2)
	v_add_f64_e32 v[4:5], v[4:5], v[10:11]
	v_add_f64_e32 v[6:7], v[2:3], v[20:21]
	s_wait_loadcnt 0x0
	s_delay_alu instid0(VALU_DEP_2) | instskip(NEXT) | instid1(VALU_DEP_2)
	v_add_f64_e64 v[2:3], v[140:141], -v[4:5]
	v_add_f64_e64 v[4:5], v[142:143], -v[6:7]
	scratch_store_b128 off, v[2:5], off offset:608
	s_wait_xcnt 0x0
	v_cmpx_lt_u32_e32 37, v1
	s_cbranch_execz .LBB46_221
; %bb.220:
	scratch_load_b128 v[2:5], off, s13
	v_mov_b32_e32 v6, 0
	s_delay_alu instid0(VALU_DEP_1)
	v_dual_mov_b32 v7, v6 :: v_dual_mov_b32 v8, v6
	v_mov_b32_e32 v9, v6
	scratch_store_b128 off, v[6:9], off offset:592
	s_wait_loadcnt 0x0
	ds_store_b128 v126, v[2:5]
.LBB46_221:
	s_wait_xcnt 0x0
	s_or_b32 exec_lo, exec_lo, s2
	s_wait_storecnt_dscnt 0x0
	s_barrier_signal -1
	s_barrier_wait -1
	s_clause 0x8
	scratch_load_b128 v[4:7], off, off offset:608
	scratch_load_b128 v[8:11], off, off offset:624
	;; [unrolled: 1-line block ×9, first 2 shown]
	v_mov_b32_e32 v2, 0
	scratch_load_b128 v[140:143], off, off offset:592
	s_mov_b32 s2, exec_lo
	ds_load_b128 v[136:139], v2 offset:1360
	ds_load_b128 v[144:147], v2 offset:1376
	s_wait_loadcnt_dscnt 0x901
	v_mul_f64_e32 v[148:149], v[138:139], v[6:7]
	v_mul_f64_e32 v[150:151], v[136:137], v[6:7]
	s_wait_loadcnt_dscnt 0x800
	v_mul_f64_e32 v[152:153], v[144:145], v[10:11]
	v_mul_f64_e32 v[10:11], v[146:147], v[10:11]
	s_delay_alu instid0(VALU_DEP_4) | instskip(NEXT) | instid1(VALU_DEP_4)
	v_fma_f64 v[148:149], v[136:137], v[4:5], -v[148:149]
	v_fmac_f64_e32 v[150:151], v[138:139], v[4:5]
	ds_load_b128 v[4:7], v2 offset:1392
	ds_load_b128 v[136:139], v2 offset:1408
	v_fmac_f64_e32 v[152:153], v[146:147], v[8:9]
	v_fma_f64 v[8:9], v[144:145], v[8:9], -v[10:11]
	s_wait_loadcnt_dscnt 0x701
	v_mul_f64_e32 v[154:155], v[4:5], v[14:15]
	v_mul_f64_e32 v[14:15], v[6:7], v[14:15]
	s_wait_loadcnt_dscnt 0x600
	v_mul_f64_e32 v[146:147], v[136:137], v[18:19]
	v_mul_f64_e32 v[18:19], v[138:139], v[18:19]
	v_add_f64_e32 v[10:11], 0, v[148:149]
	v_add_f64_e32 v[144:145], 0, v[150:151]
	v_fmac_f64_e32 v[154:155], v[6:7], v[12:13]
	v_fma_f64 v[12:13], v[4:5], v[12:13], -v[14:15]
	v_fmac_f64_e32 v[146:147], v[138:139], v[16:17]
	v_fma_f64 v[16:17], v[136:137], v[16:17], -v[18:19]
	v_add_f64_e32 v[14:15], v[10:11], v[8:9]
	v_add_f64_e32 v[144:145], v[144:145], v[152:153]
	ds_load_b128 v[4:7], v2 offset:1424
	ds_load_b128 v[8:11], v2 offset:1440
	s_wait_loadcnt_dscnt 0x501
	v_mul_f64_e32 v[148:149], v[4:5], v[22:23]
	v_mul_f64_e32 v[22:23], v[6:7], v[22:23]
	s_wait_loadcnt_dscnt 0x400
	v_mul_f64_e32 v[18:19], v[8:9], v[26:27]
	v_mul_f64_e32 v[26:27], v[10:11], v[26:27]
	v_add_f64_e32 v[12:13], v[14:15], v[12:13]
	v_add_f64_e32 v[14:15], v[144:145], v[154:155]
	v_fmac_f64_e32 v[148:149], v[6:7], v[20:21]
	v_fma_f64 v[20:21], v[4:5], v[20:21], -v[22:23]
	v_fmac_f64_e32 v[18:19], v[10:11], v[24:25]
	v_fma_f64 v[8:9], v[8:9], v[24:25], -v[26:27]
	v_add_f64_e32 v[16:17], v[12:13], v[16:17]
	v_add_f64_e32 v[22:23], v[14:15], v[146:147]
	ds_load_b128 v[4:7], v2 offset:1456
	ds_load_b128 v[12:15], v2 offset:1472
	s_wait_loadcnt_dscnt 0x301
	v_mul_f64_e32 v[136:137], v[4:5], v[30:31]
	v_mul_f64_e32 v[30:31], v[6:7], v[30:31]
	v_add_f64_e32 v[10:11], v[16:17], v[20:21]
	v_add_f64_e32 v[16:17], v[22:23], v[148:149]
	s_wait_loadcnt_dscnt 0x200
	v_mul_f64_e32 v[20:21], v[12:13], v[130:131]
	v_mul_f64_e32 v[22:23], v[14:15], v[130:131]
	v_fmac_f64_e32 v[136:137], v[6:7], v[28:29]
	v_fma_f64 v[24:25], v[4:5], v[28:29], -v[30:31]
	ds_load_b128 v[4:7], v2 offset:1488
	v_add_f64_e32 v[8:9], v[10:11], v[8:9]
	v_add_f64_e32 v[10:11], v[16:17], v[18:19]
	v_fmac_f64_e32 v[20:21], v[14:15], v[128:129]
	v_fma_f64 v[12:13], v[12:13], v[128:129], -v[22:23]
	s_wait_loadcnt_dscnt 0x100
	v_mul_f64_e32 v[16:17], v[4:5], v[134:135]
	v_mul_f64_e32 v[18:19], v[6:7], v[134:135]
	v_add_f64_e32 v[8:9], v[8:9], v[24:25]
	v_add_f64_e32 v[10:11], v[10:11], v[136:137]
	s_delay_alu instid0(VALU_DEP_4) | instskip(NEXT) | instid1(VALU_DEP_4)
	v_fmac_f64_e32 v[16:17], v[6:7], v[132:133]
	v_fma_f64 v[4:5], v[4:5], v[132:133], -v[18:19]
	s_delay_alu instid0(VALU_DEP_4) | instskip(NEXT) | instid1(VALU_DEP_4)
	v_add_f64_e32 v[6:7], v[8:9], v[12:13]
	v_add_f64_e32 v[8:9], v[10:11], v[20:21]
	s_delay_alu instid0(VALU_DEP_2) | instskip(NEXT) | instid1(VALU_DEP_2)
	v_add_f64_e32 v[4:5], v[6:7], v[4:5]
	v_add_f64_e32 v[6:7], v[8:9], v[16:17]
	s_wait_loadcnt 0x0
	s_delay_alu instid0(VALU_DEP_2) | instskip(NEXT) | instid1(VALU_DEP_2)
	v_add_f64_e64 v[4:5], v[140:141], -v[4:5]
	v_add_f64_e64 v[6:7], v[142:143], -v[6:7]
	scratch_store_b128 off, v[4:7], off offset:592
	s_wait_xcnt 0x0
	v_cmpx_lt_u32_e32 36, v1
	s_cbranch_execz .LBB46_223
; %bb.222:
	scratch_load_b128 v[6:9], off, s22
	v_dual_mov_b32 v3, v2 :: v_dual_mov_b32 v4, v2
	v_mov_b32_e32 v5, v2
	scratch_store_b128 off, v[2:5], off offset:576
	s_wait_loadcnt 0x0
	ds_store_b128 v126, v[6:9]
.LBB46_223:
	s_wait_xcnt 0x0
	s_or_b32 exec_lo, exec_lo, s2
	s_wait_storecnt_dscnt 0x0
	s_barrier_signal -1
	s_barrier_wait -1
	s_clause 0x9
	scratch_load_b128 v[4:7], off, off offset:592
	scratch_load_b128 v[8:11], off, off offset:608
	;; [unrolled: 1-line block ×10, first 2 shown]
	ds_load_b128 v[140:143], v2 offset:1344
	ds_load_b128 v[144:147], v2 offset:1360
	scratch_load_b128 v[148:151], off, off offset:576
	s_mov_b32 s2, exec_lo
	s_wait_loadcnt_dscnt 0xa01
	v_mul_f64_e32 v[152:153], v[142:143], v[6:7]
	v_mul_f64_e32 v[154:155], v[140:141], v[6:7]
	s_wait_loadcnt_dscnt 0x900
	v_mul_f64_e32 v[156:157], v[144:145], v[10:11]
	v_mul_f64_e32 v[10:11], v[146:147], v[10:11]
	s_delay_alu instid0(VALU_DEP_4) | instskip(NEXT) | instid1(VALU_DEP_4)
	v_fma_f64 v[152:153], v[140:141], v[4:5], -v[152:153]
	v_fmac_f64_e32 v[154:155], v[142:143], v[4:5]
	ds_load_b128 v[4:7], v2 offset:1376
	ds_load_b128 v[140:143], v2 offset:1392
	v_fmac_f64_e32 v[156:157], v[146:147], v[8:9]
	v_fma_f64 v[8:9], v[144:145], v[8:9], -v[10:11]
	s_wait_loadcnt_dscnt 0x801
	v_mul_f64_e32 v[158:159], v[4:5], v[14:15]
	v_mul_f64_e32 v[14:15], v[6:7], v[14:15]
	s_wait_loadcnt_dscnt 0x700
	v_mul_f64_e32 v[146:147], v[140:141], v[18:19]
	v_mul_f64_e32 v[18:19], v[142:143], v[18:19]
	v_add_f64_e32 v[10:11], 0, v[152:153]
	v_add_f64_e32 v[144:145], 0, v[154:155]
	v_fmac_f64_e32 v[158:159], v[6:7], v[12:13]
	v_fma_f64 v[12:13], v[4:5], v[12:13], -v[14:15]
	v_fmac_f64_e32 v[146:147], v[142:143], v[16:17]
	v_fma_f64 v[16:17], v[140:141], v[16:17], -v[18:19]
	v_add_f64_e32 v[14:15], v[10:11], v[8:9]
	v_add_f64_e32 v[144:145], v[144:145], v[156:157]
	ds_load_b128 v[4:7], v2 offset:1408
	ds_load_b128 v[8:11], v2 offset:1424
	s_wait_loadcnt_dscnt 0x601
	v_mul_f64_e32 v[152:153], v[4:5], v[22:23]
	v_mul_f64_e32 v[22:23], v[6:7], v[22:23]
	s_wait_loadcnt_dscnt 0x500
	v_mul_f64_e32 v[18:19], v[8:9], v[26:27]
	v_mul_f64_e32 v[26:27], v[10:11], v[26:27]
	v_add_f64_e32 v[12:13], v[14:15], v[12:13]
	v_add_f64_e32 v[14:15], v[144:145], v[158:159]
	v_fmac_f64_e32 v[152:153], v[6:7], v[20:21]
	v_fma_f64 v[20:21], v[4:5], v[20:21], -v[22:23]
	v_fmac_f64_e32 v[18:19], v[10:11], v[24:25]
	v_fma_f64 v[8:9], v[8:9], v[24:25], -v[26:27]
	v_add_f64_e32 v[16:17], v[12:13], v[16:17]
	v_add_f64_e32 v[22:23], v[14:15], v[146:147]
	ds_load_b128 v[4:7], v2 offset:1440
	ds_load_b128 v[12:15], v2 offset:1456
	s_wait_loadcnt_dscnt 0x401
	v_mul_f64_e32 v[140:141], v[4:5], v[30:31]
	v_mul_f64_e32 v[30:31], v[6:7], v[30:31]
	v_add_f64_e32 v[10:11], v[16:17], v[20:21]
	v_add_f64_e32 v[16:17], v[22:23], v[152:153]
	s_wait_loadcnt_dscnt 0x300
	v_mul_f64_e32 v[20:21], v[12:13], v[130:131]
	v_mul_f64_e32 v[22:23], v[14:15], v[130:131]
	v_fmac_f64_e32 v[140:141], v[6:7], v[28:29]
	v_fma_f64 v[24:25], v[4:5], v[28:29], -v[30:31]
	v_add_f64_e32 v[26:27], v[10:11], v[8:9]
	v_add_f64_e32 v[16:17], v[16:17], v[18:19]
	ds_load_b128 v[4:7], v2 offset:1472
	ds_load_b128 v[8:11], v2 offset:1488
	v_fmac_f64_e32 v[20:21], v[14:15], v[128:129]
	v_fma_f64 v[12:13], v[12:13], v[128:129], -v[22:23]
	s_wait_loadcnt_dscnt 0x201
	v_mul_f64_e32 v[2:3], v[4:5], v[134:135]
	v_mul_f64_e32 v[18:19], v[6:7], v[134:135]
	s_wait_loadcnt_dscnt 0x100
	v_mul_f64_e32 v[22:23], v[8:9], v[138:139]
	v_add_f64_e32 v[14:15], v[26:27], v[24:25]
	v_add_f64_e32 v[16:17], v[16:17], v[140:141]
	v_mul_f64_e32 v[24:25], v[10:11], v[138:139]
	v_fmac_f64_e32 v[2:3], v[6:7], v[132:133]
	v_fma_f64 v[4:5], v[4:5], v[132:133], -v[18:19]
	v_fmac_f64_e32 v[22:23], v[10:11], v[136:137]
	v_add_f64_e32 v[6:7], v[14:15], v[12:13]
	v_add_f64_e32 v[12:13], v[16:17], v[20:21]
	v_fma_f64 v[8:9], v[8:9], v[136:137], -v[24:25]
	s_delay_alu instid0(VALU_DEP_3) | instskip(NEXT) | instid1(VALU_DEP_3)
	v_add_f64_e32 v[4:5], v[6:7], v[4:5]
	v_add_f64_e32 v[2:3], v[12:13], v[2:3]
	s_delay_alu instid0(VALU_DEP_2) | instskip(NEXT) | instid1(VALU_DEP_2)
	v_add_f64_e32 v[4:5], v[4:5], v[8:9]
	v_add_f64_e32 v[6:7], v[2:3], v[22:23]
	s_wait_loadcnt 0x0
	s_delay_alu instid0(VALU_DEP_2) | instskip(NEXT) | instid1(VALU_DEP_2)
	v_add_f64_e64 v[2:3], v[148:149], -v[4:5]
	v_add_f64_e64 v[4:5], v[150:151], -v[6:7]
	scratch_store_b128 off, v[2:5], off offset:576
	s_wait_xcnt 0x0
	v_cmpx_lt_u32_e32 35, v1
	s_cbranch_execz .LBB46_225
; %bb.224:
	scratch_load_b128 v[2:5], off, s20
	v_mov_b32_e32 v6, 0
	s_delay_alu instid0(VALU_DEP_1)
	v_dual_mov_b32 v7, v6 :: v_dual_mov_b32 v8, v6
	v_mov_b32_e32 v9, v6
	scratch_store_b128 off, v[6:9], off offset:560
	s_wait_loadcnt 0x0
	ds_store_b128 v126, v[2:5]
.LBB46_225:
	s_wait_xcnt 0x0
	s_or_b32 exec_lo, exec_lo, s2
	s_wait_storecnt_dscnt 0x0
	s_barrier_signal -1
	s_barrier_wait -1
	s_clause 0x9
	scratch_load_b128 v[4:7], off, off offset:576
	scratch_load_b128 v[8:11], off, off offset:592
	;; [unrolled: 1-line block ×10, first 2 shown]
	v_mov_b32_e32 v2, 0
	s_mov_b32 s2, exec_lo
	ds_load_b128 v[140:143], v2 offset:1328
	s_clause 0x1
	scratch_load_b128 v[144:147], off, off offset:736
	scratch_load_b128 v[148:151], off, off offset:560
	s_wait_loadcnt_dscnt 0xb00
	v_mul_f64_e32 v[156:157], v[142:143], v[6:7]
	v_mul_f64_e32 v[158:159], v[140:141], v[6:7]
	ds_load_b128 v[152:155], v2 offset:1344
	s_wait_loadcnt_dscnt 0xa00
	v_mul_f64_e32 v[160:161], v[152:153], v[10:11]
	v_mul_f64_e32 v[10:11], v[154:155], v[10:11]
	v_fma_f64 v[156:157], v[140:141], v[4:5], -v[156:157]
	v_fmac_f64_e32 v[158:159], v[142:143], v[4:5]
	ds_load_b128 v[4:7], v2 offset:1360
	ds_load_b128 v[140:143], v2 offset:1376
	s_wait_loadcnt_dscnt 0x901
	v_mul_f64_e32 v[162:163], v[4:5], v[14:15]
	v_mul_f64_e32 v[14:15], v[6:7], v[14:15]
	v_fmac_f64_e32 v[160:161], v[154:155], v[8:9]
	v_fma_f64 v[8:9], v[152:153], v[8:9], -v[10:11]
	s_wait_loadcnt_dscnt 0x800
	v_mul_f64_e32 v[154:155], v[140:141], v[18:19]
	v_mul_f64_e32 v[18:19], v[142:143], v[18:19]
	v_add_f64_e32 v[10:11], 0, v[156:157]
	v_add_f64_e32 v[152:153], 0, v[158:159]
	v_fmac_f64_e32 v[162:163], v[6:7], v[12:13]
	v_fma_f64 v[12:13], v[4:5], v[12:13], -v[14:15]
	v_fmac_f64_e32 v[154:155], v[142:143], v[16:17]
	v_fma_f64 v[16:17], v[140:141], v[16:17], -v[18:19]
	v_add_f64_e32 v[14:15], v[10:11], v[8:9]
	v_add_f64_e32 v[152:153], v[152:153], v[160:161]
	ds_load_b128 v[4:7], v2 offset:1392
	ds_load_b128 v[8:11], v2 offset:1408
	s_wait_loadcnt_dscnt 0x701
	v_mul_f64_e32 v[156:157], v[4:5], v[22:23]
	v_mul_f64_e32 v[22:23], v[6:7], v[22:23]
	s_wait_loadcnt_dscnt 0x600
	v_mul_f64_e32 v[18:19], v[8:9], v[26:27]
	v_mul_f64_e32 v[26:27], v[10:11], v[26:27]
	v_add_f64_e32 v[12:13], v[14:15], v[12:13]
	v_add_f64_e32 v[14:15], v[152:153], v[162:163]
	v_fmac_f64_e32 v[156:157], v[6:7], v[20:21]
	v_fma_f64 v[20:21], v[4:5], v[20:21], -v[22:23]
	v_fmac_f64_e32 v[18:19], v[10:11], v[24:25]
	v_fma_f64 v[8:9], v[8:9], v[24:25], -v[26:27]
	v_add_f64_e32 v[16:17], v[12:13], v[16:17]
	v_add_f64_e32 v[22:23], v[14:15], v[154:155]
	ds_load_b128 v[4:7], v2 offset:1424
	ds_load_b128 v[12:15], v2 offset:1440
	s_wait_loadcnt_dscnt 0x501
	v_mul_f64_e32 v[140:141], v[4:5], v[30:31]
	v_mul_f64_e32 v[30:31], v[6:7], v[30:31]
	v_add_f64_e32 v[10:11], v[16:17], v[20:21]
	v_add_f64_e32 v[16:17], v[22:23], v[156:157]
	s_wait_loadcnt_dscnt 0x400
	v_mul_f64_e32 v[20:21], v[12:13], v[130:131]
	v_mul_f64_e32 v[22:23], v[14:15], v[130:131]
	v_fmac_f64_e32 v[140:141], v[6:7], v[28:29]
	v_fma_f64 v[24:25], v[4:5], v[28:29], -v[30:31]
	v_add_f64_e32 v[26:27], v[10:11], v[8:9]
	v_add_f64_e32 v[16:17], v[16:17], v[18:19]
	ds_load_b128 v[4:7], v2 offset:1456
	ds_load_b128 v[8:11], v2 offset:1472
	v_fmac_f64_e32 v[20:21], v[14:15], v[128:129]
	v_fma_f64 v[12:13], v[12:13], v[128:129], -v[22:23]
	s_wait_loadcnt_dscnt 0x301
	v_mul_f64_e32 v[18:19], v[4:5], v[134:135]
	v_mul_f64_e32 v[28:29], v[6:7], v[134:135]
	s_wait_loadcnt_dscnt 0x200
	v_mul_f64_e32 v[22:23], v[8:9], v[138:139]
	v_add_f64_e32 v[14:15], v[26:27], v[24:25]
	v_add_f64_e32 v[16:17], v[16:17], v[140:141]
	v_mul_f64_e32 v[24:25], v[10:11], v[138:139]
	v_fmac_f64_e32 v[18:19], v[6:7], v[132:133]
	v_fma_f64 v[26:27], v[4:5], v[132:133], -v[28:29]
	ds_load_b128 v[4:7], v2 offset:1488
	v_fmac_f64_e32 v[22:23], v[10:11], v[136:137]
	v_add_f64_e32 v[12:13], v[14:15], v[12:13]
	v_add_f64_e32 v[14:15], v[16:17], v[20:21]
	v_fma_f64 v[8:9], v[8:9], v[136:137], -v[24:25]
	s_wait_loadcnt_dscnt 0x100
	v_mul_f64_e32 v[16:17], v[4:5], v[146:147]
	v_mul_f64_e32 v[20:21], v[6:7], v[146:147]
	v_add_f64_e32 v[10:11], v[12:13], v[26:27]
	v_add_f64_e32 v[12:13], v[14:15], v[18:19]
	s_delay_alu instid0(VALU_DEP_4) | instskip(NEXT) | instid1(VALU_DEP_4)
	v_fmac_f64_e32 v[16:17], v[6:7], v[144:145]
	v_fma_f64 v[4:5], v[4:5], v[144:145], -v[20:21]
	s_delay_alu instid0(VALU_DEP_4) | instskip(NEXT) | instid1(VALU_DEP_4)
	v_add_f64_e32 v[6:7], v[10:11], v[8:9]
	v_add_f64_e32 v[8:9], v[12:13], v[22:23]
	s_delay_alu instid0(VALU_DEP_2) | instskip(NEXT) | instid1(VALU_DEP_2)
	v_add_f64_e32 v[4:5], v[6:7], v[4:5]
	v_add_f64_e32 v[6:7], v[8:9], v[16:17]
	s_wait_loadcnt 0x0
	s_delay_alu instid0(VALU_DEP_2) | instskip(NEXT) | instid1(VALU_DEP_2)
	v_add_f64_e64 v[4:5], v[148:149], -v[4:5]
	v_add_f64_e64 v[6:7], v[150:151], -v[6:7]
	scratch_store_b128 off, v[4:7], off offset:560
	s_wait_xcnt 0x0
	v_cmpx_lt_u32_e32 34, v1
	s_cbranch_execz .LBB46_227
; %bb.226:
	scratch_load_b128 v[6:9], off, s25
	v_dual_mov_b32 v3, v2 :: v_dual_mov_b32 v4, v2
	v_mov_b32_e32 v5, v2
	scratch_store_b128 off, v[2:5], off offset:544
	s_wait_loadcnt 0x0
	ds_store_b128 v126, v[6:9]
.LBB46_227:
	s_wait_xcnt 0x0
	s_or_b32 exec_lo, exec_lo, s2
	s_wait_storecnt_dscnt 0x0
	s_barrier_signal -1
	s_barrier_wait -1
	s_clause 0x9
	scratch_load_b128 v[4:7], off, off offset:560
	scratch_load_b128 v[8:11], off, off offset:576
	scratch_load_b128 v[12:15], off, off offset:592
	scratch_load_b128 v[16:19], off, off offset:608
	scratch_load_b128 v[20:23], off, off offset:624
	scratch_load_b128 v[24:27], off, off offset:640
	scratch_load_b128 v[28:31], off, off offset:656
	scratch_load_b128 v[128:131], off, off offset:672
	scratch_load_b128 v[132:135], off, off offset:688
	scratch_load_b128 v[136:139], off, off offset:704
	ds_load_b128 v[140:143], v2 offset:1312
	ds_load_b128 v[148:151], v2 offset:1328
	s_clause 0x2
	scratch_load_b128 v[144:147], off, off offset:720
	scratch_load_b128 v[152:155], off, off offset:544
	;; [unrolled: 1-line block ×3, first 2 shown]
	s_mov_b32 s2, exec_lo
	s_wait_loadcnt_dscnt 0xc01
	v_mul_f64_e32 v[160:161], v[142:143], v[6:7]
	v_mul_f64_e32 v[162:163], v[140:141], v[6:7]
	s_wait_loadcnt_dscnt 0xb00
	v_mul_f64_e32 v[164:165], v[148:149], v[10:11]
	v_mul_f64_e32 v[10:11], v[150:151], v[10:11]
	s_delay_alu instid0(VALU_DEP_4) | instskip(NEXT) | instid1(VALU_DEP_4)
	v_fma_f64 v[160:161], v[140:141], v[4:5], -v[160:161]
	v_fmac_f64_e32 v[162:163], v[142:143], v[4:5]
	ds_load_b128 v[4:7], v2 offset:1344
	ds_load_b128 v[140:143], v2 offset:1360
	v_fmac_f64_e32 v[164:165], v[150:151], v[8:9]
	v_fma_f64 v[8:9], v[148:149], v[8:9], -v[10:11]
	s_wait_loadcnt_dscnt 0xa01
	v_mul_f64_e32 v[166:167], v[4:5], v[14:15]
	v_mul_f64_e32 v[14:15], v[6:7], v[14:15]
	s_wait_loadcnt_dscnt 0x900
	v_mul_f64_e32 v[150:151], v[140:141], v[18:19]
	v_mul_f64_e32 v[18:19], v[142:143], v[18:19]
	v_add_f64_e32 v[10:11], 0, v[160:161]
	v_add_f64_e32 v[148:149], 0, v[162:163]
	v_fmac_f64_e32 v[166:167], v[6:7], v[12:13]
	v_fma_f64 v[12:13], v[4:5], v[12:13], -v[14:15]
	v_fmac_f64_e32 v[150:151], v[142:143], v[16:17]
	v_fma_f64 v[16:17], v[140:141], v[16:17], -v[18:19]
	v_add_f64_e32 v[14:15], v[10:11], v[8:9]
	v_add_f64_e32 v[148:149], v[148:149], v[164:165]
	ds_load_b128 v[4:7], v2 offset:1376
	ds_load_b128 v[8:11], v2 offset:1392
	s_wait_loadcnt_dscnt 0x801
	v_mul_f64_e32 v[160:161], v[4:5], v[22:23]
	v_mul_f64_e32 v[22:23], v[6:7], v[22:23]
	s_wait_loadcnt_dscnt 0x700
	v_mul_f64_e32 v[18:19], v[8:9], v[26:27]
	v_mul_f64_e32 v[26:27], v[10:11], v[26:27]
	v_add_f64_e32 v[12:13], v[14:15], v[12:13]
	v_add_f64_e32 v[14:15], v[148:149], v[166:167]
	v_fmac_f64_e32 v[160:161], v[6:7], v[20:21]
	v_fma_f64 v[20:21], v[4:5], v[20:21], -v[22:23]
	v_fmac_f64_e32 v[18:19], v[10:11], v[24:25]
	v_fma_f64 v[8:9], v[8:9], v[24:25], -v[26:27]
	v_add_f64_e32 v[16:17], v[12:13], v[16:17]
	v_add_f64_e32 v[22:23], v[14:15], v[150:151]
	ds_load_b128 v[4:7], v2 offset:1408
	ds_load_b128 v[12:15], v2 offset:1424
	s_wait_loadcnt_dscnt 0x601
	v_mul_f64_e32 v[140:141], v[4:5], v[30:31]
	v_mul_f64_e32 v[30:31], v[6:7], v[30:31]
	v_add_f64_e32 v[10:11], v[16:17], v[20:21]
	v_add_f64_e32 v[16:17], v[22:23], v[160:161]
	s_wait_loadcnt_dscnt 0x500
	v_mul_f64_e32 v[20:21], v[12:13], v[130:131]
	v_mul_f64_e32 v[22:23], v[14:15], v[130:131]
	v_fmac_f64_e32 v[140:141], v[6:7], v[28:29]
	v_fma_f64 v[24:25], v[4:5], v[28:29], -v[30:31]
	v_add_f64_e32 v[26:27], v[10:11], v[8:9]
	v_add_f64_e32 v[16:17], v[16:17], v[18:19]
	ds_load_b128 v[4:7], v2 offset:1440
	ds_load_b128 v[8:11], v2 offset:1456
	v_fmac_f64_e32 v[20:21], v[14:15], v[128:129]
	v_fma_f64 v[12:13], v[12:13], v[128:129], -v[22:23]
	s_wait_loadcnt_dscnt 0x401
	v_mul_f64_e32 v[18:19], v[4:5], v[134:135]
	v_mul_f64_e32 v[28:29], v[6:7], v[134:135]
	s_wait_loadcnt_dscnt 0x300
	v_mul_f64_e32 v[22:23], v[8:9], v[138:139]
	v_add_f64_e32 v[14:15], v[26:27], v[24:25]
	v_add_f64_e32 v[16:17], v[16:17], v[140:141]
	v_mul_f64_e32 v[24:25], v[10:11], v[138:139]
	v_fmac_f64_e32 v[18:19], v[6:7], v[132:133]
	v_fma_f64 v[26:27], v[4:5], v[132:133], -v[28:29]
	v_fmac_f64_e32 v[22:23], v[10:11], v[136:137]
	v_add_f64_e32 v[28:29], v[14:15], v[12:13]
	v_add_f64_e32 v[16:17], v[16:17], v[20:21]
	ds_load_b128 v[4:7], v2 offset:1472
	ds_load_b128 v[12:15], v2 offset:1488
	v_fma_f64 v[8:9], v[8:9], v[136:137], -v[24:25]
	s_wait_loadcnt_dscnt 0x201
	v_mul_f64_e32 v[2:3], v[4:5], v[146:147]
	v_mul_f64_e32 v[20:21], v[6:7], v[146:147]
	s_wait_loadcnt_dscnt 0x0
	v_mul_f64_e32 v[24:25], v[14:15], v[158:159]
	v_add_f64_e32 v[10:11], v[28:29], v[26:27]
	v_add_f64_e32 v[16:17], v[16:17], v[18:19]
	v_mul_f64_e32 v[18:19], v[12:13], v[158:159]
	v_fmac_f64_e32 v[2:3], v[6:7], v[144:145]
	v_fma_f64 v[4:5], v[4:5], v[144:145], -v[20:21]
	v_add_f64_e32 v[6:7], v[10:11], v[8:9]
	v_add_f64_e32 v[8:9], v[16:17], v[22:23]
	v_fmac_f64_e32 v[18:19], v[14:15], v[156:157]
	v_fma_f64 v[10:11], v[12:13], v[156:157], -v[24:25]
	s_delay_alu instid0(VALU_DEP_4) | instskip(NEXT) | instid1(VALU_DEP_4)
	v_add_f64_e32 v[4:5], v[6:7], v[4:5]
	v_add_f64_e32 v[2:3], v[8:9], v[2:3]
	s_delay_alu instid0(VALU_DEP_2) | instskip(NEXT) | instid1(VALU_DEP_2)
	v_add_f64_e32 v[4:5], v[4:5], v[10:11]
	v_add_f64_e32 v[6:7], v[2:3], v[18:19]
	s_delay_alu instid0(VALU_DEP_2) | instskip(NEXT) | instid1(VALU_DEP_2)
	v_add_f64_e64 v[2:3], v[152:153], -v[4:5]
	v_add_f64_e64 v[4:5], v[154:155], -v[6:7]
	scratch_store_b128 off, v[2:5], off offset:544
	s_wait_xcnt 0x0
	v_cmpx_lt_u32_e32 33, v1
	s_cbranch_execz .LBB46_229
; %bb.228:
	scratch_load_b128 v[2:5], off, s24
	v_mov_b32_e32 v6, 0
	s_delay_alu instid0(VALU_DEP_1)
	v_dual_mov_b32 v7, v6 :: v_dual_mov_b32 v8, v6
	v_mov_b32_e32 v9, v6
	scratch_store_b128 off, v[6:9], off offset:528
	s_wait_loadcnt 0x0
	ds_store_b128 v126, v[2:5]
.LBB46_229:
	s_wait_xcnt 0x0
	s_or_b32 exec_lo, exec_lo, s2
	s_wait_storecnt_dscnt 0x0
	s_barrier_signal -1
	s_barrier_wait -1
	s_clause 0x9
	scratch_load_b128 v[4:7], off, off offset:544
	scratch_load_b128 v[8:11], off, off offset:560
	;; [unrolled: 1-line block ×10, first 2 shown]
	v_mov_b32_e32 v2, 0
	s_mov_b32 s2, exec_lo
	ds_load_b128 v[140:143], v2 offset:1296
	s_clause 0x2
	scratch_load_b128 v[144:147], off, off offset:704
	scratch_load_b128 v[148:151], off, off offset:528
	;; [unrolled: 1-line block ×3, first 2 shown]
	s_wait_loadcnt_dscnt 0xc00
	v_mul_f64_e32 v[160:161], v[142:143], v[6:7]
	v_mul_f64_e32 v[164:165], v[140:141], v[6:7]
	ds_load_b128 v[152:155], v2 offset:1312
	v_fma_f64 v[168:169], v[140:141], v[4:5], -v[160:161]
	v_fmac_f64_e32 v[164:165], v[142:143], v[4:5]
	ds_load_b128 v[4:7], v2 offset:1328
	s_wait_loadcnt_dscnt 0xb01
	v_mul_f64_e32 v[166:167], v[152:153], v[10:11]
	v_mul_f64_e32 v[10:11], v[154:155], v[10:11]
	scratch_load_b128 v[140:143], off, off offset:736
	ds_load_b128 v[160:163], v2 offset:1344
	s_wait_loadcnt_dscnt 0xb01
	v_mul_f64_e32 v[170:171], v[4:5], v[14:15]
	v_mul_f64_e32 v[14:15], v[6:7], v[14:15]
	v_fmac_f64_e32 v[166:167], v[154:155], v[8:9]
	v_fma_f64 v[8:9], v[152:153], v[8:9], -v[10:11]
	v_add_f64_e32 v[10:11], 0, v[168:169]
	v_add_f64_e32 v[152:153], 0, v[164:165]
	s_wait_loadcnt_dscnt 0xa00
	v_mul_f64_e32 v[154:155], v[160:161], v[18:19]
	v_mul_f64_e32 v[18:19], v[162:163], v[18:19]
	v_fmac_f64_e32 v[170:171], v[6:7], v[12:13]
	v_fma_f64 v[12:13], v[4:5], v[12:13], -v[14:15]
	v_add_f64_e32 v[14:15], v[10:11], v[8:9]
	v_add_f64_e32 v[152:153], v[152:153], v[166:167]
	ds_load_b128 v[4:7], v2 offset:1360
	ds_load_b128 v[8:11], v2 offset:1376
	v_fmac_f64_e32 v[154:155], v[162:163], v[16:17]
	v_fma_f64 v[16:17], v[160:161], v[16:17], -v[18:19]
	s_wait_loadcnt_dscnt 0x901
	v_mul_f64_e32 v[164:165], v[4:5], v[22:23]
	v_mul_f64_e32 v[22:23], v[6:7], v[22:23]
	s_wait_loadcnt_dscnt 0x800
	v_mul_f64_e32 v[18:19], v[8:9], v[26:27]
	v_mul_f64_e32 v[26:27], v[10:11], v[26:27]
	v_add_f64_e32 v[12:13], v[14:15], v[12:13]
	v_add_f64_e32 v[14:15], v[152:153], v[170:171]
	v_fmac_f64_e32 v[164:165], v[6:7], v[20:21]
	v_fma_f64 v[20:21], v[4:5], v[20:21], -v[22:23]
	v_fmac_f64_e32 v[18:19], v[10:11], v[24:25]
	v_fma_f64 v[8:9], v[8:9], v[24:25], -v[26:27]
	v_add_f64_e32 v[16:17], v[12:13], v[16:17]
	v_add_f64_e32 v[22:23], v[14:15], v[154:155]
	ds_load_b128 v[4:7], v2 offset:1392
	ds_load_b128 v[12:15], v2 offset:1408
	s_wait_loadcnt_dscnt 0x701
	v_mul_f64_e32 v[152:153], v[4:5], v[30:31]
	v_mul_f64_e32 v[30:31], v[6:7], v[30:31]
	v_add_f64_e32 v[10:11], v[16:17], v[20:21]
	v_add_f64_e32 v[16:17], v[22:23], v[164:165]
	s_wait_loadcnt_dscnt 0x600
	v_mul_f64_e32 v[20:21], v[12:13], v[130:131]
	v_mul_f64_e32 v[22:23], v[14:15], v[130:131]
	v_fmac_f64_e32 v[152:153], v[6:7], v[28:29]
	v_fma_f64 v[24:25], v[4:5], v[28:29], -v[30:31]
	v_add_f64_e32 v[26:27], v[10:11], v[8:9]
	v_add_f64_e32 v[16:17], v[16:17], v[18:19]
	ds_load_b128 v[4:7], v2 offset:1424
	ds_load_b128 v[8:11], v2 offset:1440
	v_fmac_f64_e32 v[20:21], v[14:15], v[128:129]
	v_fma_f64 v[12:13], v[12:13], v[128:129], -v[22:23]
	s_wait_loadcnt_dscnt 0x501
	v_mul_f64_e32 v[18:19], v[4:5], v[134:135]
	v_mul_f64_e32 v[28:29], v[6:7], v[134:135]
	s_wait_loadcnt_dscnt 0x400
	v_mul_f64_e32 v[22:23], v[8:9], v[138:139]
	v_add_f64_e32 v[14:15], v[26:27], v[24:25]
	v_add_f64_e32 v[16:17], v[16:17], v[152:153]
	v_mul_f64_e32 v[24:25], v[10:11], v[138:139]
	v_fmac_f64_e32 v[18:19], v[6:7], v[132:133]
	v_fma_f64 v[26:27], v[4:5], v[132:133], -v[28:29]
	v_fmac_f64_e32 v[22:23], v[10:11], v[136:137]
	v_add_f64_e32 v[28:29], v[14:15], v[12:13]
	v_add_f64_e32 v[16:17], v[16:17], v[20:21]
	ds_load_b128 v[4:7], v2 offset:1456
	ds_load_b128 v[12:15], v2 offset:1472
	v_fma_f64 v[8:9], v[8:9], v[136:137], -v[24:25]
	s_wait_loadcnt_dscnt 0x301
	v_mul_f64_e32 v[20:21], v[4:5], v[146:147]
	v_mul_f64_e32 v[30:31], v[6:7], v[146:147]
	s_wait_loadcnt_dscnt 0x100
	v_mul_f64_e32 v[24:25], v[14:15], v[158:159]
	v_add_f64_e32 v[10:11], v[28:29], v[26:27]
	v_add_f64_e32 v[16:17], v[16:17], v[18:19]
	v_mul_f64_e32 v[18:19], v[12:13], v[158:159]
	v_fmac_f64_e32 v[20:21], v[6:7], v[144:145]
	v_fma_f64 v[26:27], v[4:5], v[144:145], -v[30:31]
	ds_load_b128 v[4:7], v2 offset:1488
	v_fma_f64 v[12:13], v[12:13], v[156:157], -v[24:25]
	v_add_f64_e32 v[8:9], v[10:11], v[8:9]
	v_add_f64_e32 v[10:11], v[16:17], v[22:23]
	v_fmac_f64_e32 v[18:19], v[14:15], v[156:157]
	s_wait_loadcnt_dscnt 0x0
	v_mul_f64_e32 v[16:17], v[4:5], v[142:143]
	v_mul_f64_e32 v[22:23], v[6:7], v[142:143]
	v_add_f64_e32 v[8:9], v[8:9], v[26:27]
	v_add_f64_e32 v[10:11], v[10:11], v[20:21]
	s_delay_alu instid0(VALU_DEP_4) | instskip(NEXT) | instid1(VALU_DEP_4)
	v_fmac_f64_e32 v[16:17], v[6:7], v[140:141]
	v_fma_f64 v[4:5], v[4:5], v[140:141], -v[22:23]
	s_delay_alu instid0(VALU_DEP_4) | instskip(NEXT) | instid1(VALU_DEP_4)
	v_add_f64_e32 v[6:7], v[8:9], v[12:13]
	v_add_f64_e32 v[8:9], v[10:11], v[18:19]
	s_delay_alu instid0(VALU_DEP_2) | instskip(NEXT) | instid1(VALU_DEP_2)
	v_add_f64_e32 v[4:5], v[6:7], v[4:5]
	v_add_f64_e32 v[6:7], v[8:9], v[16:17]
	s_delay_alu instid0(VALU_DEP_2) | instskip(NEXT) | instid1(VALU_DEP_2)
	v_add_f64_e64 v[4:5], v[148:149], -v[4:5]
	v_add_f64_e64 v[6:7], v[150:151], -v[6:7]
	scratch_store_b128 off, v[4:7], off offset:528
	s_wait_xcnt 0x0
	v_cmpx_lt_u32_e32 32, v1
	s_cbranch_execz .LBB46_231
; %bb.230:
	scratch_load_b128 v[6:9], off, s27
	v_dual_mov_b32 v3, v2 :: v_dual_mov_b32 v4, v2
	v_mov_b32_e32 v5, v2
	scratch_store_b128 off, v[2:5], off offset:512
	s_wait_loadcnt 0x0
	ds_store_b128 v126, v[6:9]
.LBB46_231:
	s_wait_xcnt 0x0
	s_or_b32 exec_lo, exec_lo, s2
	s_wait_storecnt_dscnt 0x0
	s_barrier_signal -1
	s_barrier_wait -1
	s_clause 0x9
	scratch_load_b128 v[4:7], off, off offset:528
	scratch_load_b128 v[8:11], off, off offset:544
	scratch_load_b128 v[12:15], off, off offset:560
	scratch_load_b128 v[16:19], off, off offset:576
	scratch_load_b128 v[20:23], off, off offset:592
	scratch_load_b128 v[24:27], off, off offset:608
	scratch_load_b128 v[28:31], off, off offset:624
	scratch_load_b128 v[128:131], off, off offset:640
	scratch_load_b128 v[132:135], off, off offset:656
	scratch_load_b128 v[136:139], off, off offset:672
	ds_load_b128 v[140:143], v2 offset:1280
	ds_load_b128 v[148:151], v2 offset:1296
	s_clause 0x2
	scratch_load_b128 v[144:147], off, off offset:688
	scratch_load_b128 v[152:155], off, off offset:512
	;; [unrolled: 1-line block ×3, first 2 shown]
	s_mov_b32 s2, exec_lo
	s_wait_loadcnt_dscnt 0xc01
	v_mul_f64_e32 v[160:161], v[142:143], v[6:7]
	v_mul_f64_e32 v[164:165], v[140:141], v[6:7]
	s_wait_loadcnt_dscnt 0xb00
	v_mul_f64_e32 v[166:167], v[148:149], v[10:11]
	v_mul_f64_e32 v[10:11], v[150:151], v[10:11]
	s_delay_alu instid0(VALU_DEP_4) | instskip(NEXT) | instid1(VALU_DEP_4)
	v_fma_f64 v[168:169], v[140:141], v[4:5], -v[160:161]
	v_fmac_f64_e32 v[164:165], v[142:143], v[4:5]
	ds_load_b128 v[4:7], v2 offset:1312
	ds_load_b128 v[140:143], v2 offset:1328
	scratch_load_b128 v[160:163], off, off offset:720
	v_fmac_f64_e32 v[166:167], v[150:151], v[8:9]
	v_fma_f64 v[148:149], v[148:149], v[8:9], -v[10:11]
	scratch_load_b128 v[8:11], off, off offset:736
	s_wait_loadcnt_dscnt 0xc01
	v_mul_f64_e32 v[170:171], v[4:5], v[14:15]
	v_mul_f64_e32 v[14:15], v[6:7], v[14:15]
	v_add_f64_e32 v[150:151], 0, v[168:169]
	v_add_f64_e32 v[164:165], 0, v[164:165]
	s_wait_loadcnt_dscnt 0xb00
	v_mul_f64_e32 v[168:169], v[140:141], v[18:19]
	v_mul_f64_e32 v[18:19], v[142:143], v[18:19]
	v_fmac_f64_e32 v[170:171], v[6:7], v[12:13]
	v_fma_f64 v[172:173], v[4:5], v[12:13], -v[14:15]
	ds_load_b128 v[4:7], v2 offset:1344
	ds_load_b128 v[12:15], v2 offset:1360
	v_add_f64_e32 v[148:149], v[150:151], v[148:149]
	v_add_f64_e32 v[150:151], v[164:165], v[166:167]
	v_fmac_f64_e32 v[168:169], v[142:143], v[16:17]
	v_fma_f64 v[16:17], v[140:141], v[16:17], -v[18:19]
	s_wait_loadcnt_dscnt 0xa01
	v_mul_f64_e32 v[164:165], v[4:5], v[22:23]
	v_mul_f64_e32 v[22:23], v[6:7], v[22:23]
	s_wait_loadcnt_dscnt 0x900
	v_mul_f64_e32 v[142:143], v[12:13], v[26:27]
	v_mul_f64_e32 v[26:27], v[14:15], v[26:27]
	v_add_f64_e32 v[18:19], v[148:149], v[172:173]
	v_add_f64_e32 v[140:141], v[150:151], v[170:171]
	v_fmac_f64_e32 v[164:165], v[6:7], v[20:21]
	v_fma_f64 v[20:21], v[4:5], v[20:21], -v[22:23]
	v_fmac_f64_e32 v[142:143], v[14:15], v[24:25]
	v_fma_f64 v[12:13], v[12:13], v[24:25], -v[26:27]
	v_add_f64_e32 v[22:23], v[18:19], v[16:17]
	v_add_f64_e32 v[140:141], v[140:141], v[168:169]
	ds_load_b128 v[4:7], v2 offset:1376
	ds_load_b128 v[16:19], v2 offset:1392
	s_wait_loadcnt_dscnt 0x801
	v_mul_f64_e32 v[148:149], v[4:5], v[30:31]
	v_mul_f64_e32 v[30:31], v[6:7], v[30:31]
	s_wait_loadcnt_dscnt 0x700
	v_mul_f64_e32 v[24:25], v[18:19], v[130:131]
	v_add_f64_e32 v[14:15], v[22:23], v[20:21]
	v_add_f64_e32 v[20:21], v[140:141], v[164:165]
	v_mul_f64_e32 v[22:23], v[16:17], v[130:131]
	v_fmac_f64_e32 v[148:149], v[6:7], v[28:29]
	v_fma_f64 v[26:27], v[4:5], v[28:29], -v[30:31]
	v_fma_f64 v[16:17], v[16:17], v[128:129], -v[24:25]
	v_add_f64_e32 v[28:29], v[14:15], v[12:13]
	v_add_f64_e32 v[20:21], v[20:21], v[142:143]
	ds_load_b128 v[4:7], v2 offset:1408
	ds_load_b128 v[12:15], v2 offset:1424
	v_fmac_f64_e32 v[22:23], v[18:19], v[128:129]
	s_wait_loadcnt_dscnt 0x601
	v_mul_f64_e32 v[30:31], v[4:5], v[134:135]
	v_mul_f64_e32 v[130:131], v[6:7], v[134:135]
	s_wait_loadcnt_dscnt 0x500
	v_mul_f64_e32 v[24:25], v[12:13], v[138:139]
	v_add_f64_e32 v[18:19], v[28:29], v[26:27]
	v_add_f64_e32 v[20:21], v[20:21], v[148:149]
	v_mul_f64_e32 v[26:27], v[14:15], v[138:139]
	v_fmac_f64_e32 v[30:31], v[6:7], v[132:133]
	v_fma_f64 v[28:29], v[4:5], v[132:133], -v[130:131]
	v_fmac_f64_e32 v[24:25], v[14:15], v[136:137]
	v_add_f64_e32 v[128:129], v[18:19], v[16:17]
	v_add_f64_e32 v[20:21], v[20:21], v[22:23]
	ds_load_b128 v[4:7], v2 offset:1440
	ds_load_b128 v[16:19], v2 offset:1456
	v_fma_f64 v[12:13], v[12:13], v[136:137], -v[26:27]
	s_wait_loadcnt_dscnt 0x401
	v_mul_f64_e32 v[22:23], v[4:5], v[146:147]
	v_mul_f64_e32 v[130:131], v[6:7], v[146:147]
	s_wait_loadcnt_dscnt 0x200
	v_mul_f64_e32 v[26:27], v[16:17], v[158:159]
	v_add_f64_e32 v[14:15], v[128:129], v[28:29]
	v_add_f64_e32 v[20:21], v[20:21], v[30:31]
	v_mul_f64_e32 v[28:29], v[18:19], v[158:159]
	v_fmac_f64_e32 v[22:23], v[6:7], v[144:145]
	v_fma_f64 v[30:31], v[4:5], v[144:145], -v[130:131]
	v_fmac_f64_e32 v[26:27], v[18:19], v[156:157]
	v_add_f64_e32 v[128:129], v[14:15], v[12:13]
	v_add_f64_e32 v[20:21], v[20:21], v[24:25]
	ds_load_b128 v[4:7], v2 offset:1472
	ds_load_b128 v[12:15], v2 offset:1488
	v_fma_f64 v[16:17], v[16:17], v[156:157], -v[28:29]
	s_wait_loadcnt_dscnt 0x101
	v_mul_f64_e32 v[2:3], v[4:5], v[162:163]
	v_mul_f64_e32 v[24:25], v[6:7], v[162:163]
	v_add_f64_e32 v[18:19], v[128:129], v[30:31]
	v_add_f64_e32 v[20:21], v[20:21], v[22:23]
	s_wait_loadcnt_dscnt 0x0
	v_mul_f64_e32 v[22:23], v[12:13], v[10:11]
	v_mul_f64_e32 v[10:11], v[14:15], v[10:11]
	v_fmac_f64_e32 v[2:3], v[6:7], v[160:161]
	v_fma_f64 v[4:5], v[4:5], v[160:161], -v[24:25]
	v_add_f64_e32 v[6:7], v[18:19], v[16:17]
	v_add_f64_e32 v[16:17], v[20:21], v[26:27]
	v_fmac_f64_e32 v[22:23], v[14:15], v[8:9]
	v_fma_f64 v[8:9], v[12:13], v[8:9], -v[10:11]
	s_delay_alu instid0(VALU_DEP_4) | instskip(NEXT) | instid1(VALU_DEP_4)
	v_add_f64_e32 v[4:5], v[6:7], v[4:5]
	v_add_f64_e32 v[2:3], v[16:17], v[2:3]
	s_delay_alu instid0(VALU_DEP_2) | instskip(NEXT) | instid1(VALU_DEP_2)
	v_add_f64_e32 v[4:5], v[4:5], v[8:9]
	v_add_f64_e32 v[6:7], v[2:3], v[22:23]
	s_delay_alu instid0(VALU_DEP_2) | instskip(NEXT) | instid1(VALU_DEP_2)
	v_add_f64_e64 v[2:3], v[152:153], -v[4:5]
	v_add_f64_e64 v[4:5], v[154:155], -v[6:7]
	scratch_store_b128 off, v[2:5], off offset:512
	s_wait_xcnt 0x0
	v_cmpx_lt_u32_e32 31, v1
	s_cbranch_execz .LBB46_233
; %bb.232:
	scratch_load_b128 v[2:5], off, s26
	v_mov_b32_e32 v6, 0
	s_delay_alu instid0(VALU_DEP_1)
	v_dual_mov_b32 v7, v6 :: v_dual_mov_b32 v8, v6
	v_mov_b32_e32 v9, v6
	scratch_store_b128 off, v[6:9], off offset:496
	s_wait_loadcnt 0x0
	ds_store_b128 v126, v[2:5]
.LBB46_233:
	s_wait_xcnt 0x0
	s_or_b32 exec_lo, exec_lo, s2
	s_wait_storecnt_dscnt 0x0
	s_barrier_signal -1
	s_barrier_wait -1
	s_clause 0x9
	scratch_load_b128 v[4:7], off, off offset:512
	scratch_load_b128 v[8:11], off, off offset:528
	;; [unrolled: 1-line block ×10, first 2 shown]
	v_mov_b32_e32 v2, 0
	s_mov_b32 s2, exec_lo
	ds_load_b128 v[140:143], v2 offset:1264
	s_clause 0x2
	scratch_load_b128 v[144:147], off, off offset:672
	scratch_load_b128 v[148:151], off, off offset:496
	;; [unrolled: 1-line block ×3, first 2 shown]
	s_wait_loadcnt_dscnt 0xc00
	v_mul_f64_e32 v[160:161], v[142:143], v[6:7]
	v_mul_f64_e32 v[164:165], v[140:141], v[6:7]
	ds_load_b128 v[152:155], v2 offset:1280
	v_fma_f64 v[168:169], v[140:141], v[4:5], -v[160:161]
	v_fmac_f64_e32 v[164:165], v[142:143], v[4:5]
	ds_load_b128 v[4:7], v2 offset:1296
	s_wait_loadcnt_dscnt 0xb01
	v_mul_f64_e32 v[166:167], v[152:153], v[10:11]
	v_mul_f64_e32 v[10:11], v[154:155], v[10:11]
	scratch_load_b128 v[140:143], off, off offset:704
	ds_load_b128 v[160:163], v2 offset:1312
	s_wait_loadcnt_dscnt 0xb01
	v_mul_f64_e32 v[170:171], v[4:5], v[14:15]
	v_mul_f64_e32 v[14:15], v[6:7], v[14:15]
	v_add_f64_e32 v[164:165], 0, v[164:165]
	v_fmac_f64_e32 v[166:167], v[154:155], v[8:9]
	v_fma_f64 v[152:153], v[152:153], v[8:9], -v[10:11]
	v_add_f64_e32 v[154:155], 0, v[168:169]
	scratch_load_b128 v[8:11], off, off offset:720
	v_fmac_f64_e32 v[170:171], v[6:7], v[12:13]
	v_fma_f64 v[172:173], v[4:5], v[12:13], -v[14:15]
	ds_load_b128 v[4:7], v2 offset:1328
	s_wait_loadcnt_dscnt 0xb01
	v_mul_f64_e32 v[168:169], v[160:161], v[18:19]
	v_mul_f64_e32 v[18:19], v[162:163], v[18:19]
	scratch_load_b128 v[12:15], off, off offset:736
	v_add_f64_e32 v[164:165], v[164:165], v[166:167]
	v_add_f64_e32 v[174:175], v[154:155], v[152:153]
	ds_load_b128 v[152:155], v2 offset:1344
	s_wait_loadcnt_dscnt 0xb01
	v_mul_f64_e32 v[166:167], v[4:5], v[22:23]
	v_mul_f64_e32 v[22:23], v[6:7], v[22:23]
	v_fmac_f64_e32 v[168:169], v[162:163], v[16:17]
	v_fma_f64 v[16:17], v[160:161], v[16:17], -v[18:19]
	s_wait_loadcnt_dscnt 0xa00
	v_mul_f64_e32 v[162:163], v[152:153], v[26:27]
	v_mul_f64_e32 v[26:27], v[154:155], v[26:27]
	v_add_f64_e32 v[160:161], v[164:165], v[170:171]
	v_add_f64_e32 v[18:19], v[174:175], v[172:173]
	v_fmac_f64_e32 v[166:167], v[6:7], v[20:21]
	v_fma_f64 v[20:21], v[4:5], v[20:21], -v[22:23]
	v_fmac_f64_e32 v[162:163], v[154:155], v[24:25]
	v_fma_f64 v[24:25], v[152:153], v[24:25], -v[26:27]
	v_add_f64_e32 v[160:161], v[160:161], v[168:169]
	v_add_f64_e32 v[22:23], v[18:19], v[16:17]
	ds_load_b128 v[4:7], v2 offset:1360
	ds_load_b128 v[16:19], v2 offset:1376
	s_wait_loadcnt_dscnt 0x901
	v_mul_f64_e32 v[164:165], v[4:5], v[30:31]
	v_mul_f64_e32 v[30:31], v[6:7], v[30:31]
	s_wait_loadcnt_dscnt 0x800
	v_mul_f64_e32 v[26:27], v[16:17], v[130:131]
	v_mul_f64_e32 v[130:131], v[18:19], v[130:131]
	v_add_f64_e32 v[20:21], v[22:23], v[20:21]
	v_add_f64_e32 v[22:23], v[160:161], v[166:167]
	v_fmac_f64_e32 v[164:165], v[6:7], v[28:29]
	v_fma_f64 v[28:29], v[4:5], v[28:29], -v[30:31]
	v_fmac_f64_e32 v[26:27], v[18:19], v[128:129]
	v_fma_f64 v[16:17], v[16:17], v[128:129], -v[130:131]
	v_add_f64_e32 v[24:25], v[20:21], v[24:25]
	v_add_f64_e32 v[30:31], v[22:23], v[162:163]
	ds_load_b128 v[4:7], v2 offset:1392
	ds_load_b128 v[20:23], v2 offset:1408
	s_wait_loadcnt_dscnt 0x701
	v_mul_f64_e32 v[152:153], v[4:5], v[134:135]
	v_mul_f64_e32 v[134:135], v[6:7], v[134:135]
	v_add_f64_e32 v[18:19], v[24:25], v[28:29]
	v_add_f64_e32 v[24:25], v[30:31], v[164:165]
	s_wait_loadcnt_dscnt 0x600
	v_mul_f64_e32 v[28:29], v[20:21], v[138:139]
	v_mul_f64_e32 v[30:31], v[22:23], v[138:139]
	v_fmac_f64_e32 v[152:153], v[6:7], v[132:133]
	v_fma_f64 v[128:129], v[4:5], v[132:133], -v[134:135]
	v_add_f64_e32 v[130:131], v[18:19], v[16:17]
	v_add_f64_e32 v[24:25], v[24:25], v[26:27]
	ds_load_b128 v[4:7], v2 offset:1424
	ds_load_b128 v[16:19], v2 offset:1440
	v_fmac_f64_e32 v[28:29], v[22:23], v[136:137]
	v_fma_f64 v[20:21], v[20:21], v[136:137], -v[30:31]
	s_wait_loadcnt_dscnt 0x501
	v_mul_f64_e32 v[26:27], v[4:5], v[146:147]
	v_mul_f64_e32 v[132:133], v[6:7], v[146:147]
	s_wait_loadcnt_dscnt 0x300
	v_mul_f64_e32 v[30:31], v[16:17], v[158:159]
	v_add_f64_e32 v[22:23], v[130:131], v[128:129]
	v_add_f64_e32 v[24:25], v[24:25], v[152:153]
	v_mul_f64_e32 v[128:129], v[18:19], v[158:159]
	v_fmac_f64_e32 v[26:27], v[6:7], v[144:145]
	v_fma_f64 v[130:131], v[4:5], v[144:145], -v[132:133]
	v_fmac_f64_e32 v[30:31], v[18:19], v[156:157]
	v_add_f64_e32 v[132:133], v[22:23], v[20:21]
	v_add_f64_e32 v[24:25], v[24:25], v[28:29]
	ds_load_b128 v[4:7], v2 offset:1456
	ds_load_b128 v[20:23], v2 offset:1472
	v_fma_f64 v[16:17], v[16:17], v[156:157], -v[128:129]
	s_wait_loadcnt_dscnt 0x201
	v_mul_f64_e32 v[28:29], v[4:5], v[142:143]
	v_mul_f64_e32 v[134:135], v[6:7], v[142:143]
	v_add_f64_e32 v[18:19], v[132:133], v[130:131]
	v_add_f64_e32 v[24:25], v[24:25], v[26:27]
	s_wait_loadcnt_dscnt 0x100
	v_mul_f64_e32 v[26:27], v[20:21], v[10:11]
	v_mul_f64_e32 v[10:11], v[22:23], v[10:11]
	v_fmac_f64_e32 v[28:29], v[6:7], v[140:141]
	v_fma_f64 v[128:129], v[4:5], v[140:141], -v[134:135]
	ds_load_b128 v[4:7], v2 offset:1488
	v_add_f64_e32 v[16:17], v[18:19], v[16:17]
	v_add_f64_e32 v[18:19], v[24:25], v[30:31]
	v_fmac_f64_e32 v[26:27], v[22:23], v[8:9]
	v_fma_f64 v[8:9], v[20:21], v[8:9], -v[10:11]
	s_wait_loadcnt_dscnt 0x0
	v_mul_f64_e32 v[24:25], v[4:5], v[14:15]
	v_mul_f64_e32 v[14:15], v[6:7], v[14:15]
	v_add_f64_e32 v[10:11], v[16:17], v[128:129]
	v_add_f64_e32 v[16:17], v[18:19], v[28:29]
	s_delay_alu instid0(VALU_DEP_4) | instskip(NEXT) | instid1(VALU_DEP_4)
	v_fmac_f64_e32 v[24:25], v[6:7], v[12:13]
	v_fma_f64 v[4:5], v[4:5], v[12:13], -v[14:15]
	s_delay_alu instid0(VALU_DEP_4) | instskip(NEXT) | instid1(VALU_DEP_4)
	v_add_f64_e32 v[6:7], v[10:11], v[8:9]
	v_add_f64_e32 v[8:9], v[16:17], v[26:27]
	s_delay_alu instid0(VALU_DEP_2) | instskip(NEXT) | instid1(VALU_DEP_2)
	v_add_f64_e32 v[4:5], v[6:7], v[4:5]
	v_add_f64_e32 v[6:7], v[8:9], v[24:25]
	s_delay_alu instid0(VALU_DEP_2) | instskip(NEXT) | instid1(VALU_DEP_2)
	v_add_f64_e64 v[4:5], v[148:149], -v[4:5]
	v_add_f64_e64 v[6:7], v[150:151], -v[6:7]
	scratch_store_b128 off, v[4:7], off offset:496
	s_wait_xcnt 0x0
	v_cmpx_lt_u32_e32 30, v1
	s_cbranch_execz .LBB46_235
; %bb.234:
	scratch_load_b128 v[6:9], off, s29
	v_dual_mov_b32 v3, v2 :: v_dual_mov_b32 v4, v2
	v_mov_b32_e32 v5, v2
	scratch_store_b128 off, v[2:5], off offset:480
	s_wait_loadcnt 0x0
	ds_store_b128 v126, v[6:9]
.LBB46_235:
	s_wait_xcnt 0x0
	s_or_b32 exec_lo, exec_lo, s2
	s_wait_storecnt_dscnt 0x0
	s_barrier_signal -1
	s_barrier_wait -1
	s_clause 0x9
	scratch_load_b128 v[4:7], off, off offset:496
	scratch_load_b128 v[8:11], off, off offset:512
	;; [unrolled: 1-line block ×10, first 2 shown]
	ds_load_b128 v[140:143], v2 offset:1248
	ds_load_b128 v[148:151], v2 offset:1264
	s_clause 0x2
	scratch_load_b128 v[144:147], off, off offset:656
	scratch_load_b128 v[152:155], off, off offset:480
	;; [unrolled: 1-line block ×3, first 2 shown]
	s_mov_b32 s2, exec_lo
	s_wait_loadcnt_dscnt 0xc01
	v_mul_f64_e32 v[160:161], v[142:143], v[6:7]
	v_mul_f64_e32 v[164:165], v[140:141], v[6:7]
	s_wait_loadcnt_dscnt 0xb00
	v_mul_f64_e32 v[166:167], v[148:149], v[10:11]
	v_mul_f64_e32 v[10:11], v[150:151], v[10:11]
	s_delay_alu instid0(VALU_DEP_4) | instskip(NEXT) | instid1(VALU_DEP_4)
	v_fma_f64 v[168:169], v[140:141], v[4:5], -v[160:161]
	v_fmac_f64_e32 v[164:165], v[142:143], v[4:5]
	ds_load_b128 v[4:7], v2 offset:1280
	ds_load_b128 v[140:143], v2 offset:1296
	scratch_load_b128 v[160:163], off, off offset:688
	v_fmac_f64_e32 v[166:167], v[150:151], v[8:9]
	v_fma_f64 v[148:149], v[148:149], v[8:9], -v[10:11]
	scratch_load_b128 v[8:11], off, off offset:704
	s_wait_loadcnt_dscnt 0xc01
	v_mul_f64_e32 v[170:171], v[4:5], v[14:15]
	v_mul_f64_e32 v[14:15], v[6:7], v[14:15]
	v_add_f64_e32 v[150:151], 0, v[168:169]
	v_add_f64_e32 v[164:165], 0, v[164:165]
	s_wait_loadcnt_dscnt 0xb00
	v_mul_f64_e32 v[168:169], v[140:141], v[18:19]
	v_mul_f64_e32 v[18:19], v[142:143], v[18:19]
	v_fmac_f64_e32 v[170:171], v[6:7], v[12:13]
	v_fma_f64 v[172:173], v[4:5], v[12:13], -v[14:15]
	ds_load_b128 v[4:7], v2 offset:1312
	ds_load_b128 v[12:15], v2 offset:1328
	v_add_f64_e32 v[174:175], v[150:151], v[148:149]
	v_add_f64_e32 v[164:165], v[164:165], v[166:167]
	scratch_load_b128 v[148:151], off, off offset:720
	v_fmac_f64_e32 v[168:169], v[142:143], v[16:17]
	v_fma_f64 v[140:141], v[140:141], v[16:17], -v[18:19]
	scratch_load_b128 v[16:19], off, off offset:736
	s_wait_loadcnt_dscnt 0xc01
	v_mul_f64_e32 v[166:167], v[4:5], v[22:23]
	v_mul_f64_e32 v[22:23], v[6:7], v[22:23]
	v_add_f64_e32 v[142:143], v[174:175], v[172:173]
	v_add_f64_e32 v[164:165], v[164:165], v[170:171]
	s_wait_loadcnt_dscnt 0xb00
	v_mul_f64_e32 v[170:171], v[12:13], v[26:27]
	v_mul_f64_e32 v[26:27], v[14:15], v[26:27]
	v_fmac_f64_e32 v[166:167], v[6:7], v[20:21]
	v_fma_f64 v[172:173], v[4:5], v[20:21], -v[22:23]
	ds_load_b128 v[4:7], v2 offset:1344
	ds_load_b128 v[20:23], v2 offset:1360
	v_add_f64_e32 v[140:141], v[142:143], v[140:141]
	v_add_f64_e32 v[142:143], v[164:165], v[168:169]
	s_wait_loadcnt_dscnt 0xa01
	v_mul_f64_e32 v[164:165], v[4:5], v[30:31]
	v_mul_f64_e32 v[30:31], v[6:7], v[30:31]
	v_fmac_f64_e32 v[170:171], v[14:15], v[24:25]
	v_fma_f64 v[12:13], v[12:13], v[24:25], -v[26:27]
	s_wait_loadcnt_dscnt 0x900
	v_mul_f64_e32 v[26:27], v[20:21], v[130:131]
	v_mul_f64_e32 v[130:131], v[22:23], v[130:131]
	v_add_f64_e32 v[14:15], v[140:141], v[172:173]
	v_add_f64_e32 v[24:25], v[142:143], v[166:167]
	v_fmac_f64_e32 v[164:165], v[6:7], v[28:29]
	v_fma_f64 v[28:29], v[4:5], v[28:29], -v[30:31]
	v_fmac_f64_e32 v[26:27], v[22:23], v[128:129]
	v_fma_f64 v[20:21], v[20:21], v[128:129], -v[130:131]
	v_add_f64_e32 v[30:31], v[14:15], v[12:13]
	v_add_f64_e32 v[24:25], v[24:25], v[170:171]
	ds_load_b128 v[4:7], v2 offset:1376
	ds_load_b128 v[12:15], v2 offset:1392
	s_wait_loadcnt_dscnt 0x801
	v_mul_f64_e32 v[140:141], v[4:5], v[134:135]
	v_mul_f64_e32 v[134:135], v[6:7], v[134:135]
	v_add_f64_e32 v[22:23], v[30:31], v[28:29]
	v_add_f64_e32 v[24:25], v[24:25], v[164:165]
	s_wait_loadcnt_dscnt 0x700
	v_mul_f64_e32 v[28:29], v[12:13], v[138:139]
	v_mul_f64_e32 v[30:31], v[14:15], v[138:139]
	v_fmac_f64_e32 v[140:141], v[6:7], v[132:133]
	v_fma_f64 v[128:129], v[4:5], v[132:133], -v[134:135]
	v_add_f64_e32 v[130:131], v[22:23], v[20:21]
	v_add_f64_e32 v[24:25], v[24:25], v[26:27]
	ds_load_b128 v[4:7], v2 offset:1408
	ds_load_b128 v[20:23], v2 offset:1424
	v_fmac_f64_e32 v[28:29], v[14:15], v[136:137]
	v_fma_f64 v[12:13], v[12:13], v[136:137], -v[30:31]
	s_wait_loadcnt_dscnt 0x601
	v_mul_f64_e32 v[26:27], v[4:5], v[146:147]
	v_mul_f64_e32 v[132:133], v[6:7], v[146:147]
	s_wait_loadcnt_dscnt 0x400
	v_mul_f64_e32 v[30:31], v[20:21], v[158:159]
	v_add_f64_e32 v[14:15], v[130:131], v[128:129]
	v_add_f64_e32 v[24:25], v[24:25], v[140:141]
	v_mul_f64_e32 v[128:129], v[22:23], v[158:159]
	v_fmac_f64_e32 v[26:27], v[6:7], v[144:145]
	v_fma_f64 v[130:131], v[4:5], v[144:145], -v[132:133]
	v_fmac_f64_e32 v[30:31], v[22:23], v[156:157]
	v_add_f64_e32 v[132:133], v[14:15], v[12:13]
	v_add_f64_e32 v[24:25], v[24:25], v[28:29]
	ds_load_b128 v[4:7], v2 offset:1440
	ds_load_b128 v[12:15], v2 offset:1456
	v_fma_f64 v[20:21], v[20:21], v[156:157], -v[128:129]
	s_wait_loadcnt_dscnt 0x301
	v_mul_f64_e32 v[28:29], v[4:5], v[162:163]
	v_mul_f64_e32 v[134:135], v[6:7], v[162:163]
	v_add_f64_e32 v[22:23], v[132:133], v[130:131]
	v_add_f64_e32 v[24:25], v[24:25], v[26:27]
	s_wait_loadcnt_dscnt 0x200
	v_mul_f64_e32 v[26:27], v[12:13], v[10:11]
	v_mul_f64_e32 v[10:11], v[14:15], v[10:11]
	v_fmac_f64_e32 v[28:29], v[6:7], v[160:161]
	v_fma_f64 v[128:129], v[4:5], v[160:161], -v[134:135]
	v_add_f64_e32 v[130:131], v[22:23], v[20:21]
	v_add_f64_e32 v[24:25], v[24:25], v[30:31]
	ds_load_b128 v[4:7], v2 offset:1472
	ds_load_b128 v[20:23], v2 offset:1488
	v_fmac_f64_e32 v[26:27], v[14:15], v[8:9]
	v_fma_f64 v[8:9], v[12:13], v[8:9], -v[10:11]
	s_wait_loadcnt_dscnt 0x101
	v_mul_f64_e32 v[2:3], v[4:5], v[150:151]
	v_mul_f64_e32 v[30:31], v[6:7], v[150:151]
	s_wait_loadcnt_dscnt 0x0
	v_mul_f64_e32 v[14:15], v[20:21], v[18:19]
	v_mul_f64_e32 v[18:19], v[22:23], v[18:19]
	v_add_f64_e32 v[10:11], v[130:131], v[128:129]
	v_add_f64_e32 v[12:13], v[24:25], v[28:29]
	v_fmac_f64_e32 v[2:3], v[6:7], v[148:149]
	v_fma_f64 v[4:5], v[4:5], v[148:149], -v[30:31]
	v_fmac_f64_e32 v[14:15], v[22:23], v[16:17]
	v_add_f64_e32 v[6:7], v[10:11], v[8:9]
	v_add_f64_e32 v[8:9], v[12:13], v[26:27]
	v_fma_f64 v[10:11], v[20:21], v[16:17], -v[18:19]
	s_delay_alu instid0(VALU_DEP_3) | instskip(NEXT) | instid1(VALU_DEP_3)
	v_add_f64_e32 v[4:5], v[6:7], v[4:5]
	v_add_f64_e32 v[2:3], v[8:9], v[2:3]
	s_delay_alu instid0(VALU_DEP_2) | instskip(NEXT) | instid1(VALU_DEP_2)
	v_add_f64_e32 v[4:5], v[4:5], v[10:11]
	v_add_f64_e32 v[6:7], v[2:3], v[14:15]
	s_delay_alu instid0(VALU_DEP_2) | instskip(NEXT) | instid1(VALU_DEP_2)
	v_add_f64_e64 v[2:3], v[152:153], -v[4:5]
	v_add_f64_e64 v[4:5], v[154:155], -v[6:7]
	scratch_store_b128 off, v[2:5], off offset:480
	s_wait_xcnt 0x0
	v_cmpx_lt_u32_e32 29, v1
	s_cbranch_execz .LBB46_237
; %bb.236:
	scratch_load_b128 v[2:5], off, s28
	v_mov_b32_e32 v6, 0
	s_delay_alu instid0(VALU_DEP_1)
	v_dual_mov_b32 v7, v6 :: v_dual_mov_b32 v8, v6
	v_mov_b32_e32 v9, v6
	scratch_store_b128 off, v[6:9], off offset:464
	s_wait_loadcnt 0x0
	ds_store_b128 v126, v[2:5]
.LBB46_237:
	s_wait_xcnt 0x0
	s_or_b32 exec_lo, exec_lo, s2
	s_wait_storecnt_dscnt 0x0
	s_barrier_signal -1
	s_barrier_wait -1
	s_clause 0x9
	scratch_load_b128 v[4:7], off, off offset:480
	scratch_load_b128 v[8:11], off, off offset:496
	;; [unrolled: 1-line block ×10, first 2 shown]
	v_mov_b32_e32 v2, 0
	s_mov_b32 s2, exec_lo
	ds_load_b128 v[140:143], v2 offset:1232
	s_clause 0x2
	scratch_load_b128 v[144:147], off, off offset:640
	scratch_load_b128 v[148:151], off, off offset:464
	;; [unrolled: 1-line block ×3, first 2 shown]
	s_wait_loadcnt_dscnt 0xc00
	v_mul_f64_e32 v[160:161], v[142:143], v[6:7]
	v_mul_f64_e32 v[164:165], v[140:141], v[6:7]
	ds_load_b128 v[152:155], v2 offset:1248
	v_fma_f64 v[168:169], v[140:141], v[4:5], -v[160:161]
	v_fmac_f64_e32 v[164:165], v[142:143], v[4:5]
	ds_load_b128 v[4:7], v2 offset:1264
	s_wait_loadcnt_dscnt 0xb01
	v_mul_f64_e32 v[166:167], v[152:153], v[10:11]
	v_mul_f64_e32 v[10:11], v[154:155], v[10:11]
	scratch_load_b128 v[140:143], off, off offset:672
	ds_load_b128 v[160:163], v2 offset:1280
	s_wait_loadcnt_dscnt 0xb01
	v_mul_f64_e32 v[170:171], v[4:5], v[14:15]
	v_mul_f64_e32 v[14:15], v[6:7], v[14:15]
	v_add_f64_e32 v[164:165], 0, v[164:165]
	v_fmac_f64_e32 v[166:167], v[154:155], v[8:9]
	v_fma_f64 v[152:153], v[152:153], v[8:9], -v[10:11]
	v_add_f64_e32 v[154:155], 0, v[168:169]
	scratch_load_b128 v[8:11], off, off offset:688
	v_fmac_f64_e32 v[170:171], v[6:7], v[12:13]
	v_fma_f64 v[172:173], v[4:5], v[12:13], -v[14:15]
	ds_load_b128 v[4:7], v2 offset:1296
	s_wait_loadcnt_dscnt 0xb01
	v_mul_f64_e32 v[168:169], v[160:161], v[18:19]
	v_mul_f64_e32 v[18:19], v[162:163], v[18:19]
	scratch_load_b128 v[12:15], off, off offset:704
	v_add_f64_e32 v[164:165], v[164:165], v[166:167]
	v_add_f64_e32 v[174:175], v[154:155], v[152:153]
	ds_load_b128 v[152:155], v2 offset:1312
	s_wait_loadcnt_dscnt 0xb01
	v_mul_f64_e32 v[166:167], v[4:5], v[22:23]
	v_mul_f64_e32 v[22:23], v[6:7], v[22:23]
	v_fmac_f64_e32 v[168:169], v[162:163], v[16:17]
	v_fma_f64 v[160:161], v[160:161], v[16:17], -v[18:19]
	scratch_load_b128 v[16:19], off, off offset:720
	v_add_f64_e32 v[164:165], v[164:165], v[170:171]
	v_add_f64_e32 v[162:163], v[174:175], v[172:173]
	v_fmac_f64_e32 v[166:167], v[6:7], v[20:21]
	v_fma_f64 v[172:173], v[4:5], v[20:21], -v[22:23]
	ds_load_b128 v[4:7], v2 offset:1328
	s_wait_loadcnt_dscnt 0xb01
	v_mul_f64_e32 v[170:171], v[152:153], v[26:27]
	v_mul_f64_e32 v[26:27], v[154:155], v[26:27]
	scratch_load_b128 v[20:23], off, off offset:736
	v_add_f64_e32 v[164:165], v[164:165], v[168:169]
	s_wait_loadcnt_dscnt 0xb00
	v_mul_f64_e32 v[168:169], v[4:5], v[30:31]
	v_add_f64_e32 v[174:175], v[162:163], v[160:161]
	v_mul_f64_e32 v[30:31], v[6:7], v[30:31]
	ds_load_b128 v[160:163], v2 offset:1344
	v_fmac_f64_e32 v[170:171], v[154:155], v[24:25]
	v_fma_f64 v[24:25], v[152:153], v[24:25], -v[26:27]
	s_wait_loadcnt_dscnt 0xa00
	v_mul_f64_e32 v[154:155], v[160:161], v[130:131]
	v_mul_f64_e32 v[130:131], v[162:163], v[130:131]
	v_add_f64_e32 v[152:153], v[164:165], v[166:167]
	v_fmac_f64_e32 v[168:169], v[6:7], v[28:29]
	v_add_f64_e32 v[26:27], v[174:175], v[172:173]
	v_fma_f64 v[28:29], v[4:5], v[28:29], -v[30:31]
	v_fmac_f64_e32 v[154:155], v[162:163], v[128:129]
	v_fma_f64 v[128:129], v[160:161], v[128:129], -v[130:131]
	v_add_f64_e32 v[152:153], v[152:153], v[170:171]
	v_add_f64_e32 v[30:31], v[26:27], v[24:25]
	ds_load_b128 v[4:7], v2 offset:1360
	ds_load_b128 v[24:27], v2 offset:1376
	s_wait_loadcnt_dscnt 0x901
	v_mul_f64_e32 v[164:165], v[4:5], v[134:135]
	v_mul_f64_e32 v[134:135], v[6:7], v[134:135]
	s_wait_loadcnt_dscnt 0x800
	v_mul_f64_e32 v[130:131], v[24:25], v[138:139]
	v_mul_f64_e32 v[138:139], v[26:27], v[138:139]
	v_add_f64_e32 v[28:29], v[30:31], v[28:29]
	v_add_f64_e32 v[30:31], v[152:153], v[168:169]
	v_fmac_f64_e32 v[164:165], v[6:7], v[132:133]
	v_fma_f64 v[132:133], v[4:5], v[132:133], -v[134:135]
	v_fmac_f64_e32 v[130:131], v[26:27], v[136:137]
	v_fma_f64 v[24:25], v[24:25], v[136:137], -v[138:139]
	v_add_f64_e32 v[128:129], v[28:29], v[128:129]
	v_add_f64_e32 v[134:135], v[30:31], v[154:155]
	ds_load_b128 v[4:7], v2 offset:1392
	ds_load_b128 v[28:31], v2 offset:1408
	s_wait_loadcnt_dscnt 0x701
	v_mul_f64_e32 v[152:153], v[4:5], v[146:147]
	v_mul_f64_e32 v[146:147], v[6:7], v[146:147]
	v_add_f64_e32 v[26:27], v[128:129], v[132:133]
	v_add_f64_e32 v[128:129], v[134:135], v[164:165]
	s_wait_loadcnt_dscnt 0x500
	v_mul_f64_e32 v[132:133], v[28:29], v[158:159]
	v_mul_f64_e32 v[134:135], v[30:31], v[158:159]
	v_fmac_f64_e32 v[152:153], v[6:7], v[144:145]
	v_fma_f64 v[136:137], v[4:5], v[144:145], -v[146:147]
	v_add_f64_e32 v[138:139], v[26:27], v[24:25]
	v_add_f64_e32 v[128:129], v[128:129], v[130:131]
	ds_load_b128 v[4:7], v2 offset:1424
	ds_load_b128 v[24:27], v2 offset:1440
	v_fmac_f64_e32 v[132:133], v[30:31], v[156:157]
	v_fma_f64 v[28:29], v[28:29], v[156:157], -v[134:135]
	s_wait_loadcnt_dscnt 0x401
	v_mul_f64_e32 v[130:131], v[4:5], v[142:143]
	v_mul_f64_e32 v[142:143], v[6:7], v[142:143]
	v_add_f64_e32 v[30:31], v[138:139], v[136:137]
	v_add_f64_e32 v[128:129], v[128:129], v[152:153]
	s_wait_loadcnt_dscnt 0x300
	v_mul_f64_e32 v[134:135], v[24:25], v[10:11]
	v_mul_f64_e32 v[10:11], v[26:27], v[10:11]
	v_fmac_f64_e32 v[130:131], v[6:7], v[140:141]
	v_fma_f64 v[136:137], v[4:5], v[140:141], -v[142:143]
	v_add_f64_e32 v[138:139], v[30:31], v[28:29]
	v_add_f64_e32 v[128:129], v[128:129], v[132:133]
	ds_load_b128 v[4:7], v2 offset:1456
	ds_load_b128 v[28:31], v2 offset:1472
	v_fmac_f64_e32 v[134:135], v[26:27], v[8:9]
	v_fma_f64 v[8:9], v[24:25], v[8:9], -v[10:11]
	s_wait_loadcnt_dscnt 0x201
	v_mul_f64_e32 v[132:133], v[4:5], v[14:15]
	v_mul_f64_e32 v[14:15], v[6:7], v[14:15]
	s_wait_loadcnt_dscnt 0x100
	v_mul_f64_e32 v[26:27], v[28:29], v[18:19]
	v_mul_f64_e32 v[18:19], v[30:31], v[18:19]
	v_add_f64_e32 v[10:11], v[138:139], v[136:137]
	v_add_f64_e32 v[24:25], v[128:129], v[130:131]
	v_fmac_f64_e32 v[132:133], v[6:7], v[12:13]
	v_fma_f64 v[12:13], v[4:5], v[12:13], -v[14:15]
	ds_load_b128 v[4:7], v2 offset:1488
	v_fmac_f64_e32 v[26:27], v[30:31], v[16:17]
	v_fma_f64 v[16:17], v[28:29], v[16:17], -v[18:19]
	v_add_f64_e32 v[8:9], v[10:11], v[8:9]
	v_add_f64_e32 v[10:11], v[24:25], v[134:135]
	s_wait_loadcnt_dscnt 0x0
	v_mul_f64_e32 v[14:15], v[4:5], v[22:23]
	v_mul_f64_e32 v[22:23], v[6:7], v[22:23]
	s_delay_alu instid0(VALU_DEP_4) | instskip(NEXT) | instid1(VALU_DEP_4)
	v_add_f64_e32 v[8:9], v[8:9], v[12:13]
	v_add_f64_e32 v[10:11], v[10:11], v[132:133]
	s_delay_alu instid0(VALU_DEP_4) | instskip(NEXT) | instid1(VALU_DEP_4)
	v_fmac_f64_e32 v[14:15], v[6:7], v[20:21]
	v_fma_f64 v[4:5], v[4:5], v[20:21], -v[22:23]
	s_delay_alu instid0(VALU_DEP_4) | instskip(NEXT) | instid1(VALU_DEP_4)
	v_add_f64_e32 v[6:7], v[8:9], v[16:17]
	v_add_f64_e32 v[8:9], v[10:11], v[26:27]
	s_delay_alu instid0(VALU_DEP_2) | instskip(NEXT) | instid1(VALU_DEP_2)
	v_add_f64_e32 v[4:5], v[6:7], v[4:5]
	v_add_f64_e32 v[6:7], v[8:9], v[14:15]
	s_delay_alu instid0(VALU_DEP_2) | instskip(NEXT) | instid1(VALU_DEP_2)
	v_add_f64_e64 v[4:5], v[148:149], -v[4:5]
	v_add_f64_e64 v[6:7], v[150:151], -v[6:7]
	scratch_store_b128 off, v[4:7], off offset:464
	s_wait_xcnt 0x0
	v_cmpx_lt_u32_e32 28, v1
	s_cbranch_execz .LBB46_239
; %bb.238:
	scratch_load_b128 v[6:9], off, s31
	v_dual_mov_b32 v3, v2 :: v_dual_mov_b32 v4, v2
	v_mov_b32_e32 v5, v2
	scratch_store_b128 off, v[2:5], off offset:448
	s_wait_loadcnt 0x0
	ds_store_b128 v126, v[6:9]
.LBB46_239:
	s_wait_xcnt 0x0
	s_or_b32 exec_lo, exec_lo, s2
	s_wait_storecnt_dscnt 0x0
	s_barrier_signal -1
	s_barrier_wait -1
	s_clause 0x9
	scratch_load_b128 v[4:7], off, off offset:464
	scratch_load_b128 v[8:11], off, off offset:480
	;; [unrolled: 1-line block ×10, first 2 shown]
	ds_load_b128 v[140:143], v2 offset:1216
	ds_load_b128 v[148:151], v2 offset:1232
	s_clause 0x2
	scratch_load_b128 v[144:147], off, off offset:624
	scratch_load_b128 v[152:155], off, off offset:448
	;; [unrolled: 1-line block ×3, first 2 shown]
	s_mov_b32 s2, exec_lo
	s_wait_loadcnt_dscnt 0xc01
	v_mul_f64_e32 v[160:161], v[142:143], v[6:7]
	v_mul_f64_e32 v[164:165], v[140:141], v[6:7]
	s_wait_loadcnt_dscnt 0xb00
	v_mul_f64_e32 v[166:167], v[148:149], v[10:11]
	v_mul_f64_e32 v[10:11], v[150:151], v[10:11]
	s_delay_alu instid0(VALU_DEP_4) | instskip(NEXT) | instid1(VALU_DEP_4)
	v_fma_f64 v[168:169], v[140:141], v[4:5], -v[160:161]
	v_fmac_f64_e32 v[164:165], v[142:143], v[4:5]
	ds_load_b128 v[4:7], v2 offset:1248
	ds_load_b128 v[140:143], v2 offset:1264
	scratch_load_b128 v[160:163], off, off offset:656
	v_fmac_f64_e32 v[166:167], v[150:151], v[8:9]
	v_fma_f64 v[148:149], v[148:149], v[8:9], -v[10:11]
	scratch_load_b128 v[8:11], off, off offset:672
	s_wait_loadcnt_dscnt 0xc01
	v_mul_f64_e32 v[170:171], v[4:5], v[14:15]
	v_mul_f64_e32 v[14:15], v[6:7], v[14:15]
	v_add_f64_e32 v[150:151], 0, v[168:169]
	v_add_f64_e32 v[164:165], 0, v[164:165]
	s_wait_loadcnt_dscnt 0xb00
	v_mul_f64_e32 v[168:169], v[140:141], v[18:19]
	v_mul_f64_e32 v[18:19], v[142:143], v[18:19]
	v_fmac_f64_e32 v[170:171], v[6:7], v[12:13]
	v_fma_f64 v[172:173], v[4:5], v[12:13], -v[14:15]
	ds_load_b128 v[4:7], v2 offset:1280
	ds_load_b128 v[12:15], v2 offset:1296
	v_add_f64_e32 v[174:175], v[150:151], v[148:149]
	v_add_f64_e32 v[164:165], v[164:165], v[166:167]
	scratch_load_b128 v[148:151], off, off offset:688
	v_fmac_f64_e32 v[168:169], v[142:143], v[16:17]
	v_fma_f64 v[140:141], v[140:141], v[16:17], -v[18:19]
	scratch_load_b128 v[16:19], off, off offset:704
	s_wait_loadcnt_dscnt 0xc01
	v_mul_f64_e32 v[166:167], v[4:5], v[22:23]
	v_mul_f64_e32 v[22:23], v[6:7], v[22:23]
	v_add_f64_e32 v[142:143], v[174:175], v[172:173]
	v_add_f64_e32 v[164:165], v[164:165], v[170:171]
	s_wait_loadcnt_dscnt 0xb00
	v_mul_f64_e32 v[170:171], v[12:13], v[26:27]
	v_mul_f64_e32 v[26:27], v[14:15], v[26:27]
	v_fmac_f64_e32 v[166:167], v[6:7], v[20:21]
	v_fma_f64 v[172:173], v[4:5], v[20:21], -v[22:23]
	ds_load_b128 v[4:7], v2 offset:1312
	ds_load_b128 v[20:23], v2 offset:1328
	v_add_f64_e32 v[174:175], v[142:143], v[140:141]
	v_add_f64_e32 v[164:165], v[164:165], v[168:169]
	scratch_load_b128 v[140:143], off, off offset:720
	s_wait_loadcnt_dscnt 0xb01
	v_mul_f64_e32 v[168:169], v[4:5], v[30:31]
	v_mul_f64_e32 v[30:31], v[6:7], v[30:31]
	v_fmac_f64_e32 v[170:171], v[14:15], v[24:25]
	v_fma_f64 v[24:25], v[12:13], v[24:25], -v[26:27]
	scratch_load_b128 v[12:15], off, off offset:736
	v_add_f64_e32 v[26:27], v[174:175], v[172:173]
	v_add_f64_e32 v[164:165], v[164:165], v[166:167]
	s_wait_loadcnt_dscnt 0xb00
	v_mul_f64_e32 v[166:167], v[20:21], v[130:131]
	v_mul_f64_e32 v[130:131], v[22:23], v[130:131]
	v_fmac_f64_e32 v[168:169], v[6:7], v[28:29]
	v_fma_f64 v[28:29], v[4:5], v[28:29], -v[30:31]
	v_add_f64_e32 v[30:31], v[26:27], v[24:25]
	v_add_f64_e32 v[164:165], v[164:165], v[170:171]
	ds_load_b128 v[4:7], v2 offset:1344
	ds_load_b128 v[24:27], v2 offset:1360
	v_fmac_f64_e32 v[166:167], v[22:23], v[128:129]
	v_fma_f64 v[20:21], v[20:21], v[128:129], -v[130:131]
	s_wait_loadcnt_dscnt 0xa01
	v_mul_f64_e32 v[170:171], v[4:5], v[134:135]
	v_mul_f64_e32 v[134:135], v[6:7], v[134:135]
	s_wait_loadcnt_dscnt 0x900
	v_mul_f64_e32 v[128:129], v[26:27], v[138:139]
	v_add_f64_e32 v[22:23], v[30:31], v[28:29]
	v_add_f64_e32 v[28:29], v[164:165], v[168:169]
	v_mul_f64_e32 v[30:31], v[24:25], v[138:139]
	v_fmac_f64_e32 v[170:171], v[6:7], v[132:133]
	v_fma_f64 v[130:131], v[4:5], v[132:133], -v[134:135]
	v_fma_f64 v[24:25], v[24:25], v[136:137], -v[128:129]
	v_add_f64_e32 v[132:133], v[22:23], v[20:21]
	v_add_f64_e32 v[28:29], v[28:29], v[166:167]
	ds_load_b128 v[4:7], v2 offset:1376
	ds_load_b128 v[20:23], v2 offset:1392
	v_fmac_f64_e32 v[30:31], v[26:27], v[136:137]
	s_wait_loadcnt_dscnt 0x801
	v_mul_f64_e32 v[134:135], v[4:5], v[146:147]
	v_mul_f64_e32 v[138:139], v[6:7], v[146:147]
	s_wait_loadcnt_dscnt 0x600
	v_mul_f64_e32 v[128:129], v[20:21], v[158:159]
	v_add_f64_e32 v[26:27], v[132:133], v[130:131]
	v_add_f64_e32 v[28:29], v[28:29], v[170:171]
	v_mul_f64_e32 v[130:131], v[22:23], v[158:159]
	v_fmac_f64_e32 v[134:135], v[6:7], v[144:145]
	v_fma_f64 v[132:133], v[4:5], v[144:145], -v[138:139]
	v_fmac_f64_e32 v[128:129], v[22:23], v[156:157]
	v_add_f64_e32 v[136:137], v[26:27], v[24:25]
	v_add_f64_e32 v[28:29], v[28:29], v[30:31]
	ds_load_b128 v[4:7], v2 offset:1408
	ds_load_b128 v[24:27], v2 offset:1424
	v_fma_f64 v[20:21], v[20:21], v[156:157], -v[130:131]
	s_wait_loadcnt_dscnt 0x501
	v_mul_f64_e32 v[30:31], v[4:5], v[162:163]
	v_mul_f64_e32 v[138:139], v[6:7], v[162:163]
	s_wait_loadcnt_dscnt 0x400
	v_mul_f64_e32 v[130:131], v[24:25], v[10:11]
	v_mul_f64_e32 v[10:11], v[26:27], v[10:11]
	v_add_f64_e32 v[22:23], v[136:137], v[132:133]
	v_add_f64_e32 v[28:29], v[28:29], v[134:135]
	v_fmac_f64_e32 v[30:31], v[6:7], v[160:161]
	v_fma_f64 v[132:133], v[4:5], v[160:161], -v[138:139]
	v_fmac_f64_e32 v[130:131], v[26:27], v[8:9]
	v_fma_f64 v[8:9], v[24:25], v[8:9], -v[10:11]
	v_add_f64_e32 v[134:135], v[22:23], v[20:21]
	v_add_f64_e32 v[28:29], v[28:29], v[128:129]
	ds_load_b128 v[4:7], v2 offset:1440
	ds_load_b128 v[20:23], v2 offset:1456
	s_wait_loadcnt_dscnt 0x301
	v_mul_f64_e32 v[128:129], v[4:5], v[150:151]
	v_mul_f64_e32 v[136:137], v[6:7], v[150:151]
	s_wait_loadcnt_dscnt 0x200
	v_mul_f64_e32 v[26:27], v[20:21], v[18:19]
	v_mul_f64_e32 v[18:19], v[22:23], v[18:19]
	v_add_f64_e32 v[10:11], v[134:135], v[132:133]
	v_add_f64_e32 v[24:25], v[28:29], v[30:31]
	v_fmac_f64_e32 v[128:129], v[6:7], v[148:149]
	v_fma_f64 v[28:29], v[4:5], v[148:149], -v[136:137]
	v_fmac_f64_e32 v[26:27], v[22:23], v[16:17]
	v_fma_f64 v[16:17], v[20:21], v[16:17], -v[18:19]
	v_add_f64_e32 v[30:31], v[10:11], v[8:9]
	v_add_f64_e32 v[24:25], v[24:25], v[130:131]
	ds_load_b128 v[4:7], v2 offset:1472
	ds_load_b128 v[8:11], v2 offset:1488
	s_wait_loadcnt_dscnt 0x101
	v_mul_f64_e32 v[2:3], v[4:5], v[142:143]
	v_mul_f64_e32 v[130:131], v[6:7], v[142:143]
	s_wait_loadcnt_dscnt 0x0
	v_mul_f64_e32 v[22:23], v[8:9], v[14:15]
	v_mul_f64_e32 v[14:15], v[10:11], v[14:15]
	v_add_f64_e32 v[18:19], v[30:31], v[28:29]
	v_add_f64_e32 v[20:21], v[24:25], v[128:129]
	v_fmac_f64_e32 v[2:3], v[6:7], v[140:141]
	v_fma_f64 v[4:5], v[4:5], v[140:141], -v[130:131]
	v_fmac_f64_e32 v[22:23], v[10:11], v[12:13]
	v_fma_f64 v[8:9], v[8:9], v[12:13], -v[14:15]
	v_add_f64_e32 v[6:7], v[18:19], v[16:17]
	v_add_f64_e32 v[16:17], v[20:21], v[26:27]
	s_delay_alu instid0(VALU_DEP_2) | instskip(NEXT) | instid1(VALU_DEP_2)
	v_add_f64_e32 v[4:5], v[6:7], v[4:5]
	v_add_f64_e32 v[2:3], v[16:17], v[2:3]
	s_delay_alu instid0(VALU_DEP_2) | instskip(NEXT) | instid1(VALU_DEP_2)
	;; [unrolled: 3-line block ×3, first 2 shown]
	v_add_f64_e64 v[2:3], v[152:153], -v[4:5]
	v_add_f64_e64 v[4:5], v[154:155], -v[6:7]
	scratch_store_b128 off, v[2:5], off offset:448
	s_wait_xcnt 0x0
	v_cmpx_lt_u32_e32 27, v1
	s_cbranch_execz .LBB46_241
; %bb.240:
	scratch_load_b128 v[2:5], off, s30
	v_mov_b32_e32 v6, 0
	s_delay_alu instid0(VALU_DEP_1)
	v_dual_mov_b32 v7, v6 :: v_dual_mov_b32 v8, v6
	v_mov_b32_e32 v9, v6
	scratch_store_b128 off, v[6:9], off offset:432
	s_wait_loadcnt 0x0
	ds_store_b128 v126, v[2:5]
.LBB46_241:
	s_wait_xcnt 0x0
	s_or_b32 exec_lo, exec_lo, s2
	s_wait_storecnt_dscnt 0x0
	s_barrier_signal -1
	s_barrier_wait -1
	s_clause 0x9
	scratch_load_b128 v[4:7], off, off offset:448
	scratch_load_b128 v[8:11], off, off offset:464
	scratch_load_b128 v[12:15], off, off offset:480
	scratch_load_b128 v[16:19], off, off offset:496
	scratch_load_b128 v[20:23], off, off offset:512
	scratch_load_b128 v[24:27], off, off offset:528
	scratch_load_b128 v[28:31], off, off offset:544
	scratch_load_b128 v[128:131], off, off offset:560
	scratch_load_b128 v[132:135], off, off offset:576
	scratch_load_b128 v[136:139], off, off offset:592
	v_mov_b32_e32 v2, 0
	s_mov_b32 s2, exec_lo
	ds_load_b128 v[140:143], v2 offset:1200
	s_clause 0x2
	scratch_load_b128 v[144:147], off, off offset:608
	scratch_load_b128 v[148:151], off, off offset:432
	;; [unrolled: 1-line block ×3, first 2 shown]
	s_wait_loadcnt_dscnt 0xc00
	v_mul_f64_e32 v[160:161], v[142:143], v[6:7]
	v_mul_f64_e32 v[164:165], v[140:141], v[6:7]
	ds_load_b128 v[152:155], v2 offset:1216
	v_fma_f64 v[168:169], v[140:141], v[4:5], -v[160:161]
	v_fmac_f64_e32 v[164:165], v[142:143], v[4:5]
	ds_load_b128 v[4:7], v2 offset:1232
	s_wait_loadcnt_dscnt 0xb01
	v_mul_f64_e32 v[166:167], v[152:153], v[10:11]
	v_mul_f64_e32 v[10:11], v[154:155], v[10:11]
	scratch_load_b128 v[140:143], off, off offset:640
	ds_load_b128 v[160:163], v2 offset:1248
	s_wait_loadcnt_dscnt 0xb01
	v_mul_f64_e32 v[170:171], v[4:5], v[14:15]
	v_mul_f64_e32 v[14:15], v[6:7], v[14:15]
	v_add_f64_e32 v[164:165], 0, v[164:165]
	v_fmac_f64_e32 v[166:167], v[154:155], v[8:9]
	v_fma_f64 v[152:153], v[152:153], v[8:9], -v[10:11]
	v_add_f64_e32 v[154:155], 0, v[168:169]
	scratch_load_b128 v[8:11], off, off offset:656
	v_fmac_f64_e32 v[170:171], v[6:7], v[12:13]
	v_fma_f64 v[172:173], v[4:5], v[12:13], -v[14:15]
	ds_load_b128 v[4:7], v2 offset:1264
	s_wait_loadcnt_dscnt 0xb01
	v_mul_f64_e32 v[168:169], v[160:161], v[18:19]
	v_mul_f64_e32 v[18:19], v[162:163], v[18:19]
	scratch_load_b128 v[12:15], off, off offset:672
	v_add_f64_e32 v[164:165], v[164:165], v[166:167]
	v_add_f64_e32 v[174:175], v[154:155], v[152:153]
	ds_load_b128 v[152:155], v2 offset:1280
	s_wait_loadcnt_dscnt 0xb01
	v_mul_f64_e32 v[166:167], v[4:5], v[22:23]
	v_mul_f64_e32 v[22:23], v[6:7], v[22:23]
	v_fmac_f64_e32 v[168:169], v[162:163], v[16:17]
	v_fma_f64 v[160:161], v[160:161], v[16:17], -v[18:19]
	scratch_load_b128 v[16:19], off, off offset:688
	v_add_f64_e32 v[164:165], v[164:165], v[170:171]
	v_add_f64_e32 v[162:163], v[174:175], v[172:173]
	v_fmac_f64_e32 v[166:167], v[6:7], v[20:21]
	v_fma_f64 v[172:173], v[4:5], v[20:21], -v[22:23]
	ds_load_b128 v[4:7], v2 offset:1296
	s_wait_loadcnt_dscnt 0xb01
	v_mul_f64_e32 v[170:171], v[152:153], v[26:27]
	v_mul_f64_e32 v[26:27], v[154:155], v[26:27]
	scratch_load_b128 v[20:23], off, off offset:704
	v_add_f64_e32 v[164:165], v[164:165], v[168:169]
	s_wait_loadcnt_dscnt 0xb00
	v_mul_f64_e32 v[168:169], v[4:5], v[30:31]
	v_add_f64_e32 v[174:175], v[162:163], v[160:161]
	v_mul_f64_e32 v[30:31], v[6:7], v[30:31]
	ds_load_b128 v[160:163], v2 offset:1312
	v_fmac_f64_e32 v[170:171], v[154:155], v[24:25]
	v_fma_f64 v[152:153], v[152:153], v[24:25], -v[26:27]
	scratch_load_b128 v[24:27], off, off offset:720
	v_add_f64_e32 v[164:165], v[164:165], v[166:167]
	v_fmac_f64_e32 v[168:169], v[6:7], v[28:29]
	v_add_f64_e32 v[154:155], v[174:175], v[172:173]
	v_fma_f64 v[172:173], v[4:5], v[28:29], -v[30:31]
	ds_load_b128 v[4:7], v2 offset:1328
	s_wait_loadcnt_dscnt 0xb01
	v_mul_f64_e32 v[166:167], v[160:161], v[130:131]
	v_mul_f64_e32 v[130:131], v[162:163], v[130:131]
	scratch_load_b128 v[28:31], off, off offset:736
	v_add_f64_e32 v[164:165], v[164:165], v[170:171]
	s_wait_loadcnt_dscnt 0xb00
	v_mul_f64_e32 v[170:171], v[4:5], v[134:135]
	v_add_f64_e32 v[174:175], v[154:155], v[152:153]
	v_mul_f64_e32 v[134:135], v[6:7], v[134:135]
	ds_load_b128 v[152:155], v2 offset:1344
	v_fmac_f64_e32 v[166:167], v[162:163], v[128:129]
	v_fma_f64 v[128:129], v[160:161], v[128:129], -v[130:131]
	s_wait_loadcnt_dscnt 0xa00
	v_mul_f64_e32 v[162:163], v[152:153], v[138:139]
	v_mul_f64_e32 v[138:139], v[154:155], v[138:139]
	v_add_f64_e32 v[160:161], v[164:165], v[168:169]
	v_fmac_f64_e32 v[170:171], v[6:7], v[132:133]
	v_add_f64_e32 v[130:131], v[174:175], v[172:173]
	v_fma_f64 v[132:133], v[4:5], v[132:133], -v[134:135]
	v_fmac_f64_e32 v[162:163], v[154:155], v[136:137]
	v_fma_f64 v[136:137], v[152:153], v[136:137], -v[138:139]
	v_add_f64_e32 v[160:161], v[160:161], v[166:167]
	v_add_f64_e32 v[134:135], v[130:131], v[128:129]
	ds_load_b128 v[4:7], v2 offset:1360
	ds_load_b128 v[128:131], v2 offset:1376
	s_wait_loadcnt_dscnt 0x901
	v_mul_f64_e32 v[164:165], v[4:5], v[146:147]
	v_mul_f64_e32 v[146:147], v[6:7], v[146:147]
	s_wait_loadcnt_dscnt 0x700
	v_mul_f64_e32 v[138:139], v[128:129], v[158:159]
	v_mul_f64_e32 v[152:153], v[130:131], v[158:159]
	v_add_f64_e32 v[132:133], v[134:135], v[132:133]
	v_add_f64_e32 v[134:135], v[160:161], v[170:171]
	v_fmac_f64_e32 v[164:165], v[6:7], v[144:145]
	v_fma_f64 v[144:145], v[4:5], v[144:145], -v[146:147]
	v_fmac_f64_e32 v[138:139], v[130:131], v[156:157]
	v_fma_f64 v[128:129], v[128:129], v[156:157], -v[152:153]
	v_add_f64_e32 v[136:137], v[132:133], v[136:137]
	v_add_f64_e32 v[146:147], v[134:135], v[162:163]
	ds_load_b128 v[4:7], v2 offset:1392
	ds_load_b128 v[132:135], v2 offset:1408
	s_wait_loadcnt_dscnt 0x601
	v_mul_f64_e32 v[154:155], v[4:5], v[142:143]
	v_mul_f64_e32 v[142:143], v[6:7], v[142:143]
	v_add_f64_e32 v[130:131], v[136:137], v[144:145]
	v_add_f64_e32 v[136:137], v[146:147], v[164:165]
	s_wait_loadcnt_dscnt 0x500
	v_mul_f64_e32 v[144:145], v[132:133], v[10:11]
	v_mul_f64_e32 v[10:11], v[134:135], v[10:11]
	v_fmac_f64_e32 v[154:155], v[6:7], v[140:141]
	v_fma_f64 v[140:141], v[4:5], v[140:141], -v[142:143]
	v_add_f64_e32 v[142:143], v[130:131], v[128:129]
	v_add_f64_e32 v[136:137], v[136:137], v[138:139]
	ds_load_b128 v[4:7], v2 offset:1424
	ds_load_b128 v[128:131], v2 offset:1440
	v_fmac_f64_e32 v[144:145], v[134:135], v[8:9]
	v_fma_f64 v[8:9], v[132:133], v[8:9], -v[10:11]
	s_wait_loadcnt_dscnt 0x401
	v_mul_f64_e32 v[138:139], v[4:5], v[14:15]
	v_mul_f64_e32 v[14:15], v[6:7], v[14:15]
	s_wait_loadcnt_dscnt 0x300
	v_mul_f64_e32 v[134:135], v[128:129], v[18:19]
	v_mul_f64_e32 v[18:19], v[130:131], v[18:19]
	v_add_f64_e32 v[10:11], v[142:143], v[140:141]
	v_add_f64_e32 v[132:133], v[136:137], v[154:155]
	v_fmac_f64_e32 v[138:139], v[6:7], v[12:13]
	v_fma_f64 v[12:13], v[4:5], v[12:13], -v[14:15]
	v_fmac_f64_e32 v[134:135], v[130:131], v[16:17]
	v_fma_f64 v[16:17], v[128:129], v[16:17], -v[18:19]
	v_add_f64_e32 v[14:15], v[10:11], v[8:9]
	v_add_f64_e32 v[132:133], v[132:133], v[144:145]
	ds_load_b128 v[4:7], v2 offset:1456
	ds_load_b128 v[8:11], v2 offset:1472
	s_wait_loadcnt_dscnt 0x201
	v_mul_f64_e32 v[136:137], v[4:5], v[22:23]
	v_mul_f64_e32 v[22:23], v[6:7], v[22:23]
	s_wait_loadcnt_dscnt 0x100
	v_mul_f64_e32 v[18:19], v[8:9], v[26:27]
	v_mul_f64_e32 v[26:27], v[10:11], v[26:27]
	v_add_f64_e32 v[12:13], v[14:15], v[12:13]
	v_add_f64_e32 v[14:15], v[132:133], v[138:139]
	v_fmac_f64_e32 v[136:137], v[6:7], v[20:21]
	v_fma_f64 v[20:21], v[4:5], v[20:21], -v[22:23]
	ds_load_b128 v[4:7], v2 offset:1488
	v_fmac_f64_e32 v[18:19], v[10:11], v[24:25]
	v_fma_f64 v[8:9], v[8:9], v[24:25], -v[26:27]
	v_add_f64_e32 v[12:13], v[12:13], v[16:17]
	v_add_f64_e32 v[14:15], v[14:15], v[134:135]
	s_wait_loadcnt_dscnt 0x0
	v_mul_f64_e32 v[16:17], v[4:5], v[30:31]
	v_mul_f64_e32 v[22:23], v[6:7], v[30:31]
	s_delay_alu instid0(VALU_DEP_4) | instskip(NEXT) | instid1(VALU_DEP_4)
	v_add_f64_e32 v[10:11], v[12:13], v[20:21]
	v_add_f64_e32 v[12:13], v[14:15], v[136:137]
	s_delay_alu instid0(VALU_DEP_4) | instskip(NEXT) | instid1(VALU_DEP_4)
	v_fmac_f64_e32 v[16:17], v[6:7], v[28:29]
	v_fma_f64 v[4:5], v[4:5], v[28:29], -v[22:23]
	s_delay_alu instid0(VALU_DEP_4) | instskip(NEXT) | instid1(VALU_DEP_4)
	v_add_f64_e32 v[6:7], v[10:11], v[8:9]
	v_add_f64_e32 v[8:9], v[12:13], v[18:19]
	s_delay_alu instid0(VALU_DEP_2) | instskip(NEXT) | instid1(VALU_DEP_2)
	v_add_f64_e32 v[4:5], v[6:7], v[4:5]
	v_add_f64_e32 v[6:7], v[8:9], v[16:17]
	s_delay_alu instid0(VALU_DEP_2) | instskip(NEXT) | instid1(VALU_DEP_2)
	v_add_f64_e64 v[4:5], v[148:149], -v[4:5]
	v_add_f64_e64 v[6:7], v[150:151], -v[6:7]
	scratch_store_b128 off, v[4:7], off offset:432
	s_wait_xcnt 0x0
	v_cmpx_lt_u32_e32 26, v1
	s_cbranch_execz .LBB46_243
; %bb.242:
	scratch_load_b128 v[6:9], off, s34
	v_dual_mov_b32 v3, v2 :: v_dual_mov_b32 v4, v2
	v_mov_b32_e32 v5, v2
	scratch_store_b128 off, v[2:5], off offset:416
	s_wait_loadcnt 0x0
	ds_store_b128 v126, v[6:9]
.LBB46_243:
	s_wait_xcnt 0x0
	s_or_b32 exec_lo, exec_lo, s2
	s_wait_storecnt_dscnt 0x0
	s_barrier_signal -1
	s_barrier_wait -1
	s_clause 0x9
	scratch_load_b128 v[4:7], off, off offset:432
	scratch_load_b128 v[8:11], off, off offset:448
	;; [unrolled: 1-line block ×10, first 2 shown]
	ds_load_b128 v[140:143], v2 offset:1184
	ds_load_b128 v[148:151], v2 offset:1200
	s_clause 0x2
	scratch_load_b128 v[144:147], off, off offset:592
	scratch_load_b128 v[152:155], off, off offset:416
	;; [unrolled: 1-line block ×3, first 2 shown]
	s_mov_b32 s2, exec_lo
	s_wait_loadcnt_dscnt 0xc01
	v_mul_f64_e32 v[160:161], v[142:143], v[6:7]
	v_mul_f64_e32 v[164:165], v[140:141], v[6:7]
	s_wait_loadcnt_dscnt 0xb00
	v_mul_f64_e32 v[166:167], v[148:149], v[10:11]
	v_mul_f64_e32 v[10:11], v[150:151], v[10:11]
	s_delay_alu instid0(VALU_DEP_4) | instskip(NEXT) | instid1(VALU_DEP_4)
	v_fma_f64 v[168:169], v[140:141], v[4:5], -v[160:161]
	v_fmac_f64_e32 v[164:165], v[142:143], v[4:5]
	ds_load_b128 v[4:7], v2 offset:1216
	ds_load_b128 v[140:143], v2 offset:1232
	scratch_load_b128 v[160:163], off, off offset:624
	v_fmac_f64_e32 v[166:167], v[150:151], v[8:9]
	v_fma_f64 v[148:149], v[148:149], v[8:9], -v[10:11]
	scratch_load_b128 v[8:11], off, off offset:640
	s_wait_loadcnt_dscnt 0xc01
	v_mul_f64_e32 v[170:171], v[4:5], v[14:15]
	v_mul_f64_e32 v[14:15], v[6:7], v[14:15]
	v_add_f64_e32 v[150:151], 0, v[168:169]
	v_add_f64_e32 v[164:165], 0, v[164:165]
	s_wait_loadcnt_dscnt 0xb00
	v_mul_f64_e32 v[168:169], v[140:141], v[18:19]
	v_mul_f64_e32 v[18:19], v[142:143], v[18:19]
	v_fmac_f64_e32 v[170:171], v[6:7], v[12:13]
	v_fma_f64 v[172:173], v[4:5], v[12:13], -v[14:15]
	ds_load_b128 v[4:7], v2 offset:1248
	ds_load_b128 v[12:15], v2 offset:1264
	v_add_f64_e32 v[174:175], v[150:151], v[148:149]
	v_add_f64_e32 v[164:165], v[164:165], v[166:167]
	scratch_load_b128 v[148:151], off, off offset:656
	v_fmac_f64_e32 v[168:169], v[142:143], v[16:17]
	v_fma_f64 v[140:141], v[140:141], v[16:17], -v[18:19]
	scratch_load_b128 v[16:19], off, off offset:672
	s_wait_loadcnt_dscnt 0xc01
	v_mul_f64_e32 v[166:167], v[4:5], v[22:23]
	v_mul_f64_e32 v[22:23], v[6:7], v[22:23]
	v_add_f64_e32 v[142:143], v[174:175], v[172:173]
	v_add_f64_e32 v[164:165], v[164:165], v[170:171]
	s_wait_loadcnt_dscnt 0xb00
	v_mul_f64_e32 v[170:171], v[12:13], v[26:27]
	v_mul_f64_e32 v[26:27], v[14:15], v[26:27]
	v_fmac_f64_e32 v[166:167], v[6:7], v[20:21]
	v_fma_f64 v[172:173], v[4:5], v[20:21], -v[22:23]
	ds_load_b128 v[4:7], v2 offset:1280
	ds_load_b128 v[20:23], v2 offset:1296
	v_add_f64_e32 v[174:175], v[142:143], v[140:141]
	v_add_f64_e32 v[164:165], v[164:165], v[168:169]
	scratch_load_b128 v[140:143], off, off offset:688
	s_wait_loadcnt_dscnt 0xb01
	v_mul_f64_e32 v[168:169], v[4:5], v[30:31]
	v_mul_f64_e32 v[30:31], v[6:7], v[30:31]
	v_fmac_f64_e32 v[170:171], v[14:15], v[24:25]
	v_fma_f64 v[24:25], v[12:13], v[24:25], -v[26:27]
	scratch_load_b128 v[12:15], off, off offset:704
	v_add_f64_e32 v[26:27], v[174:175], v[172:173]
	v_add_f64_e32 v[164:165], v[164:165], v[166:167]
	s_wait_loadcnt_dscnt 0xb00
	v_mul_f64_e32 v[166:167], v[20:21], v[130:131]
	v_mul_f64_e32 v[130:131], v[22:23], v[130:131]
	v_fmac_f64_e32 v[168:169], v[6:7], v[28:29]
	v_fma_f64 v[172:173], v[4:5], v[28:29], -v[30:31]
	v_add_f64_e32 v[174:175], v[26:27], v[24:25]
	v_add_f64_e32 v[164:165], v[164:165], v[170:171]
	ds_load_b128 v[4:7], v2 offset:1312
	ds_load_b128 v[24:27], v2 offset:1328
	scratch_load_b128 v[28:31], off, off offset:720
	v_fmac_f64_e32 v[166:167], v[22:23], v[128:129]
	v_fma_f64 v[128:129], v[20:21], v[128:129], -v[130:131]
	scratch_load_b128 v[20:23], off, off offset:736
	s_wait_loadcnt_dscnt 0xc01
	v_mul_f64_e32 v[170:171], v[4:5], v[134:135]
	v_mul_f64_e32 v[134:135], v[6:7], v[134:135]
	v_add_f64_e32 v[130:131], v[174:175], v[172:173]
	v_add_f64_e32 v[164:165], v[164:165], v[168:169]
	s_wait_loadcnt_dscnt 0xb00
	v_mul_f64_e32 v[168:169], v[24:25], v[138:139]
	v_mul_f64_e32 v[138:139], v[26:27], v[138:139]
	v_fmac_f64_e32 v[170:171], v[6:7], v[132:133]
	v_fma_f64 v[132:133], v[4:5], v[132:133], -v[134:135]
	v_add_f64_e32 v[134:135], v[130:131], v[128:129]
	v_add_f64_e32 v[164:165], v[164:165], v[166:167]
	ds_load_b128 v[4:7], v2 offset:1344
	ds_load_b128 v[128:131], v2 offset:1360
	v_fmac_f64_e32 v[168:169], v[26:27], v[136:137]
	v_fma_f64 v[24:25], v[24:25], v[136:137], -v[138:139]
	s_wait_loadcnt_dscnt 0xa01
	v_mul_f64_e32 v[166:167], v[4:5], v[146:147]
	v_mul_f64_e32 v[146:147], v[6:7], v[146:147]
	s_wait_loadcnt_dscnt 0x800
	v_mul_f64_e32 v[136:137], v[130:131], v[158:159]
	v_add_f64_e32 v[26:27], v[134:135], v[132:133]
	v_add_f64_e32 v[132:133], v[164:165], v[170:171]
	v_mul_f64_e32 v[134:135], v[128:129], v[158:159]
	v_fmac_f64_e32 v[166:167], v[6:7], v[144:145]
	v_fma_f64 v[138:139], v[4:5], v[144:145], -v[146:147]
	v_fma_f64 v[128:129], v[128:129], v[156:157], -v[136:137]
	v_add_f64_e32 v[144:145], v[26:27], v[24:25]
	v_add_f64_e32 v[132:133], v[132:133], v[168:169]
	ds_load_b128 v[4:7], v2 offset:1376
	ds_load_b128 v[24:27], v2 offset:1392
	v_fmac_f64_e32 v[134:135], v[130:131], v[156:157]
	s_wait_loadcnt_dscnt 0x701
	v_mul_f64_e32 v[146:147], v[4:5], v[162:163]
	v_mul_f64_e32 v[158:159], v[6:7], v[162:163]
	s_wait_loadcnt_dscnt 0x600
	v_mul_f64_e32 v[136:137], v[24:25], v[10:11]
	v_mul_f64_e32 v[10:11], v[26:27], v[10:11]
	v_add_f64_e32 v[130:131], v[144:145], v[138:139]
	v_add_f64_e32 v[132:133], v[132:133], v[166:167]
	v_fmac_f64_e32 v[146:147], v[6:7], v[160:161]
	v_fma_f64 v[138:139], v[4:5], v[160:161], -v[158:159]
	v_fmac_f64_e32 v[136:137], v[26:27], v[8:9]
	v_fma_f64 v[8:9], v[24:25], v[8:9], -v[10:11]
	v_add_f64_e32 v[144:145], v[130:131], v[128:129]
	v_add_f64_e32 v[132:133], v[132:133], v[134:135]
	ds_load_b128 v[4:7], v2 offset:1408
	ds_load_b128 v[128:131], v2 offset:1424
	s_wait_loadcnt_dscnt 0x501
	v_mul_f64_e32 v[134:135], v[4:5], v[150:151]
	v_mul_f64_e32 v[150:151], v[6:7], v[150:151]
	s_wait_loadcnt_dscnt 0x400
	v_mul_f64_e32 v[26:27], v[128:129], v[18:19]
	v_mul_f64_e32 v[18:19], v[130:131], v[18:19]
	v_add_f64_e32 v[10:11], v[144:145], v[138:139]
	v_add_f64_e32 v[24:25], v[132:133], v[146:147]
	v_fmac_f64_e32 v[134:135], v[6:7], v[148:149]
	v_fma_f64 v[132:133], v[4:5], v[148:149], -v[150:151]
	v_fmac_f64_e32 v[26:27], v[130:131], v[16:17]
	v_fma_f64 v[16:17], v[128:129], v[16:17], -v[18:19]
	v_add_f64_e32 v[138:139], v[10:11], v[8:9]
	v_add_f64_e32 v[24:25], v[24:25], v[136:137]
	ds_load_b128 v[4:7], v2 offset:1440
	ds_load_b128 v[8:11], v2 offset:1456
	;; [unrolled: 16-line block ×3, first 2 shown]
	s_wait_loadcnt_dscnt 0x101
	v_mul_f64_e32 v[2:3], v[4:5], v[30:31]
	v_mul_f64_e32 v[26:27], v[6:7], v[30:31]
	v_add_f64_e32 v[10:11], v[18:19], v[132:133]
	v_add_f64_e32 v[12:13], v[24:25], v[136:137]
	s_wait_loadcnt_dscnt 0x0
	v_mul_f64_e32 v[18:19], v[14:15], v[22:23]
	v_mul_f64_e32 v[22:23], v[16:17], v[22:23]
	v_fmac_f64_e32 v[2:3], v[6:7], v[28:29]
	v_fma_f64 v[4:5], v[4:5], v[28:29], -v[26:27]
	v_add_f64_e32 v[6:7], v[10:11], v[8:9]
	v_add_f64_e32 v[8:9], v[12:13], v[128:129]
	v_fmac_f64_e32 v[18:19], v[16:17], v[20:21]
	v_fma_f64 v[10:11], v[14:15], v[20:21], -v[22:23]
	s_delay_alu instid0(VALU_DEP_4) | instskip(NEXT) | instid1(VALU_DEP_4)
	v_add_f64_e32 v[4:5], v[6:7], v[4:5]
	v_add_f64_e32 v[2:3], v[8:9], v[2:3]
	s_delay_alu instid0(VALU_DEP_2) | instskip(NEXT) | instid1(VALU_DEP_2)
	v_add_f64_e32 v[4:5], v[4:5], v[10:11]
	v_add_f64_e32 v[6:7], v[2:3], v[18:19]
	s_delay_alu instid0(VALU_DEP_2) | instskip(NEXT) | instid1(VALU_DEP_2)
	v_add_f64_e64 v[2:3], v[152:153], -v[4:5]
	v_add_f64_e64 v[4:5], v[154:155], -v[6:7]
	scratch_store_b128 off, v[2:5], off offset:416
	s_wait_xcnt 0x0
	v_cmpx_lt_u32_e32 25, v1
	s_cbranch_execz .LBB46_245
; %bb.244:
	scratch_load_b128 v[2:5], off, s33
	v_mov_b32_e32 v6, 0
	s_delay_alu instid0(VALU_DEP_1)
	v_dual_mov_b32 v7, v6 :: v_dual_mov_b32 v8, v6
	v_mov_b32_e32 v9, v6
	scratch_store_b128 off, v[6:9], off offset:400
	s_wait_loadcnt 0x0
	ds_store_b128 v126, v[2:5]
.LBB46_245:
	s_wait_xcnt 0x0
	s_or_b32 exec_lo, exec_lo, s2
	s_wait_storecnt_dscnt 0x0
	s_barrier_signal -1
	s_barrier_wait -1
	s_clause 0x9
	scratch_load_b128 v[4:7], off, off offset:416
	scratch_load_b128 v[8:11], off, off offset:432
	scratch_load_b128 v[12:15], off, off offset:448
	scratch_load_b128 v[16:19], off, off offset:464
	scratch_load_b128 v[20:23], off, off offset:480
	scratch_load_b128 v[24:27], off, off offset:496
	scratch_load_b128 v[28:31], off, off offset:512
	scratch_load_b128 v[128:131], off, off offset:528
	scratch_load_b128 v[132:135], off, off offset:544
	scratch_load_b128 v[136:139], off, off offset:560
	v_mov_b32_e32 v2, 0
	s_mov_b32 s2, exec_lo
	ds_load_b128 v[140:143], v2 offset:1168
	s_clause 0x2
	scratch_load_b128 v[144:147], off, off offset:576
	scratch_load_b128 v[148:151], off, off offset:400
	;; [unrolled: 1-line block ×3, first 2 shown]
	s_wait_loadcnt_dscnt 0xc00
	v_mul_f64_e32 v[160:161], v[142:143], v[6:7]
	v_mul_f64_e32 v[164:165], v[140:141], v[6:7]
	ds_load_b128 v[152:155], v2 offset:1184
	v_fma_f64 v[168:169], v[140:141], v[4:5], -v[160:161]
	v_fmac_f64_e32 v[164:165], v[142:143], v[4:5]
	ds_load_b128 v[4:7], v2 offset:1200
	s_wait_loadcnt_dscnt 0xb01
	v_mul_f64_e32 v[166:167], v[152:153], v[10:11]
	v_mul_f64_e32 v[10:11], v[154:155], v[10:11]
	scratch_load_b128 v[140:143], off, off offset:608
	ds_load_b128 v[160:163], v2 offset:1216
	s_wait_loadcnt_dscnt 0xb01
	v_mul_f64_e32 v[170:171], v[4:5], v[14:15]
	v_mul_f64_e32 v[14:15], v[6:7], v[14:15]
	v_add_f64_e32 v[164:165], 0, v[164:165]
	v_fmac_f64_e32 v[166:167], v[154:155], v[8:9]
	v_fma_f64 v[152:153], v[152:153], v[8:9], -v[10:11]
	v_add_f64_e32 v[154:155], 0, v[168:169]
	scratch_load_b128 v[8:11], off, off offset:624
	v_fmac_f64_e32 v[170:171], v[6:7], v[12:13]
	v_fma_f64 v[172:173], v[4:5], v[12:13], -v[14:15]
	ds_load_b128 v[4:7], v2 offset:1232
	s_wait_loadcnt_dscnt 0xb01
	v_mul_f64_e32 v[168:169], v[160:161], v[18:19]
	v_mul_f64_e32 v[18:19], v[162:163], v[18:19]
	scratch_load_b128 v[12:15], off, off offset:640
	v_add_f64_e32 v[164:165], v[164:165], v[166:167]
	v_add_f64_e32 v[174:175], v[154:155], v[152:153]
	ds_load_b128 v[152:155], v2 offset:1248
	s_wait_loadcnt_dscnt 0xb01
	v_mul_f64_e32 v[166:167], v[4:5], v[22:23]
	v_mul_f64_e32 v[22:23], v[6:7], v[22:23]
	v_fmac_f64_e32 v[168:169], v[162:163], v[16:17]
	v_fma_f64 v[160:161], v[160:161], v[16:17], -v[18:19]
	scratch_load_b128 v[16:19], off, off offset:656
	v_add_f64_e32 v[164:165], v[164:165], v[170:171]
	v_add_f64_e32 v[162:163], v[174:175], v[172:173]
	v_fmac_f64_e32 v[166:167], v[6:7], v[20:21]
	v_fma_f64 v[172:173], v[4:5], v[20:21], -v[22:23]
	ds_load_b128 v[4:7], v2 offset:1264
	s_wait_loadcnt_dscnt 0xb01
	v_mul_f64_e32 v[170:171], v[152:153], v[26:27]
	v_mul_f64_e32 v[26:27], v[154:155], v[26:27]
	scratch_load_b128 v[20:23], off, off offset:672
	v_add_f64_e32 v[164:165], v[164:165], v[168:169]
	s_wait_loadcnt_dscnt 0xb00
	v_mul_f64_e32 v[168:169], v[4:5], v[30:31]
	v_add_f64_e32 v[174:175], v[162:163], v[160:161]
	v_mul_f64_e32 v[30:31], v[6:7], v[30:31]
	ds_load_b128 v[160:163], v2 offset:1280
	v_fmac_f64_e32 v[170:171], v[154:155], v[24:25]
	v_fma_f64 v[152:153], v[152:153], v[24:25], -v[26:27]
	scratch_load_b128 v[24:27], off, off offset:688
	v_add_f64_e32 v[164:165], v[164:165], v[166:167]
	v_fmac_f64_e32 v[168:169], v[6:7], v[28:29]
	v_add_f64_e32 v[154:155], v[174:175], v[172:173]
	v_fma_f64 v[172:173], v[4:5], v[28:29], -v[30:31]
	ds_load_b128 v[4:7], v2 offset:1296
	s_wait_loadcnt_dscnt 0xb01
	v_mul_f64_e32 v[166:167], v[160:161], v[130:131]
	v_mul_f64_e32 v[130:131], v[162:163], v[130:131]
	scratch_load_b128 v[28:31], off, off offset:704
	v_add_f64_e32 v[164:165], v[164:165], v[170:171]
	s_wait_loadcnt_dscnt 0xb00
	v_mul_f64_e32 v[170:171], v[4:5], v[134:135]
	v_add_f64_e32 v[174:175], v[154:155], v[152:153]
	v_mul_f64_e32 v[134:135], v[6:7], v[134:135]
	ds_load_b128 v[152:155], v2 offset:1312
	v_fmac_f64_e32 v[166:167], v[162:163], v[128:129]
	v_fma_f64 v[160:161], v[160:161], v[128:129], -v[130:131]
	scratch_load_b128 v[128:131], off, off offset:720
	v_add_f64_e32 v[164:165], v[164:165], v[168:169]
	v_fmac_f64_e32 v[170:171], v[6:7], v[132:133]
	v_add_f64_e32 v[162:163], v[174:175], v[172:173]
	v_fma_f64 v[172:173], v[4:5], v[132:133], -v[134:135]
	ds_load_b128 v[4:7], v2 offset:1328
	s_wait_loadcnt_dscnt 0xb01
	v_mul_f64_e32 v[168:169], v[152:153], v[138:139]
	v_mul_f64_e32 v[138:139], v[154:155], v[138:139]
	scratch_load_b128 v[132:135], off, off offset:736
	v_add_f64_e32 v[164:165], v[164:165], v[166:167]
	s_wait_loadcnt_dscnt 0xb00
	v_mul_f64_e32 v[166:167], v[4:5], v[146:147]
	v_add_f64_e32 v[174:175], v[162:163], v[160:161]
	v_mul_f64_e32 v[146:147], v[6:7], v[146:147]
	ds_load_b128 v[160:163], v2 offset:1344
	v_fmac_f64_e32 v[168:169], v[154:155], v[136:137]
	v_fma_f64 v[136:137], v[152:153], v[136:137], -v[138:139]
	s_wait_loadcnt_dscnt 0x900
	v_mul_f64_e32 v[154:155], v[160:161], v[158:159]
	v_mul_f64_e32 v[158:159], v[162:163], v[158:159]
	v_add_f64_e32 v[152:153], v[164:165], v[170:171]
	v_fmac_f64_e32 v[166:167], v[6:7], v[144:145]
	v_add_f64_e32 v[138:139], v[174:175], v[172:173]
	v_fma_f64 v[144:145], v[4:5], v[144:145], -v[146:147]
	v_fmac_f64_e32 v[154:155], v[162:163], v[156:157]
	v_fma_f64 v[156:157], v[160:161], v[156:157], -v[158:159]
	v_add_f64_e32 v[152:153], v[152:153], v[168:169]
	v_add_f64_e32 v[146:147], v[138:139], v[136:137]
	ds_load_b128 v[4:7], v2 offset:1360
	ds_load_b128 v[136:139], v2 offset:1376
	s_wait_loadcnt_dscnt 0x801
	v_mul_f64_e32 v[164:165], v[4:5], v[142:143]
	v_mul_f64_e32 v[142:143], v[6:7], v[142:143]
	v_add_f64_e32 v[144:145], v[146:147], v[144:145]
	v_add_f64_e32 v[146:147], v[152:153], v[166:167]
	s_wait_loadcnt_dscnt 0x700
	v_mul_f64_e32 v[152:153], v[136:137], v[10:11]
	v_mul_f64_e32 v[10:11], v[138:139], v[10:11]
	v_fmac_f64_e32 v[164:165], v[6:7], v[140:141]
	v_fma_f64 v[158:159], v[4:5], v[140:141], -v[142:143]
	ds_load_b128 v[4:7], v2 offset:1392
	ds_load_b128 v[140:143], v2 offset:1408
	v_add_f64_e32 v[144:145], v[144:145], v[156:157]
	v_add_f64_e32 v[146:147], v[146:147], v[154:155]
	v_fmac_f64_e32 v[152:153], v[138:139], v[8:9]
	v_fma_f64 v[8:9], v[136:137], v[8:9], -v[10:11]
	s_wait_loadcnt_dscnt 0x601
	v_mul_f64_e32 v[154:155], v[4:5], v[14:15]
	v_mul_f64_e32 v[14:15], v[6:7], v[14:15]
	s_wait_loadcnt_dscnt 0x500
	v_mul_f64_e32 v[138:139], v[140:141], v[18:19]
	v_mul_f64_e32 v[18:19], v[142:143], v[18:19]
	v_add_f64_e32 v[10:11], v[144:145], v[158:159]
	v_add_f64_e32 v[136:137], v[146:147], v[164:165]
	v_fmac_f64_e32 v[154:155], v[6:7], v[12:13]
	v_fma_f64 v[12:13], v[4:5], v[12:13], -v[14:15]
	v_fmac_f64_e32 v[138:139], v[142:143], v[16:17]
	v_fma_f64 v[16:17], v[140:141], v[16:17], -v[18:19]
	v_add_f64_e32 v[14:15], v[10:11], v[8:9]
	v_add_f64_e32 v[136:137], v[136:137], v[152:153]
	ds_load_b128 v[4:7], v2 offset:1424
	ds_load_b128 v[8:11], v2 offset:1440
	s_wait_loadcnt_dscnt 0x401
	v_mul_f64_e32 v[144:145], v[4:5], v[22:23]
	v_mul_f64_e32 v[22:23], v[6:7], v[22:23]
	s_wait_loadcnt_dscnt 0x300
	v_mul_f64_e32 v[18:19], v[8:9], v[26:27]
	v_mul_f64_e32 v[26:27], v[10:11], v[26:27]
	v_add_f64_e32 v[12:13], v[14:15], v[12:13]
	v_add_f64_e32 v[14:15], v[136:137], v[154:155]
	v_fmac_f64_e32 v[144:145], v[6:7], v[20:21]
	v_fma_f64 v[20:21], v[4:5], v[20:21], -v[22:23]
	v_fmac_f64_e32 v[18:19], v[10:11], v[24:25]
	v_fma_f64 v[8:9], v[8:9], v[24:25], -v[26:27]
	v_add_f64_e32 v[16:17], v[12:13], v[16:17]
	v_add_f64_e32 v[22:23], v[14:15], v[138:139]
	ds_load_b128 v[4:7], v2 offset:1456
	ds_load_b128 v[12:15], v2 offset:1472
	s_wait_loadcnt_dscnt 0x201
	v_mul_f64_e32 v[136:137], v[4:5], v[30:31]
	v_mul_f64_e32 v[30:31], v[6:7], v[30:31]
	v_add_f64_e32 v[10:11], v[16:17], v[20:21]
	v_add_f64_e32 v[16:17], v[22:23], v[144:145]
	s_wait_loadcnt_dscnt 0x100
	v_mul_f64_e32 v[20:21], v[12:13], v[130:131]
	v_mul_f64_e32 v[22:23], v[14:15], v[130:131]
	v_fmac_f64_e32 v[136:137], v[6:7], v[28:29]
	v_fma_f64 v[24:25], v[4:5], v[28:29], -v[30:31]
	ds_load_b128 v[4:7], v2 offset:1488
	v_add_f64_e32 v[8:9], v[10:11], v[8:9]
	v_add_f64_e32 v[10:11], v[16:17], v[18:19]
	v_fmac_f64_e32 v[20:21], v[14:15], v[128:129]
	v_fma_f64 v[12:13], v[12:13], v[128:129], -v[22:23]
	s_wait_loadcnt_dscnt 0x0
	v_mul_f64_e32 v[16:17], v[4:5], v[134:135]
	v_mul_f64_e32 v[18:19], v[6:7], v[134:135]
	v_add_f64_e32 v[8:9], v[8:9], v[24:25]
	v_add_f64_e32 v[10:11], v[10:11], v[136:137]
	s_delay_alu instid0(VALU_DEP_4) | instskip(NEXT) | instid1(VALU_DEP_4)
	v_fmac_f64_e32 v[16:17], v[6:7], v[132:133]
	v_fma_f64 v[4:5], v[4:5], v[132:133], -v[18:19]
	s_delay_alu instid0(VALU_DEP_4) | instskip(NEXT) | instid1(VALU_DEP_4)
	v_add_f64_e32 v[6:7], v[8:9], v[12:13]
	v_add_f64_e32 v[8:9], v[10:11], v[20:21]
	s_delay_alu instid0(VALU_DEP_2) | instskip(NEXT) | instid1(VALU_DEP_2)
	v_add_f64_e32 v[4:5], v[6:7], v[4:5]
	v_add_f64_e32 v[6:7], v[8:9], v[16:17]
	s_delay_alu instid0(VALU_DEP_2) | instskip(NEXT) | instid1(VALU_DEP_2)
	v_add_f64_e64 v[4:5], v[148:149], -v[4:5]
	v_add_f64_e64 v[6:7], v[150:151], -v[6:7]
	scratch_store_b128 off, v[4:7], off offset:400
	s_wait_xcnt 0x0
	v_cmpx_lt_u32_e32 24, v1
	s_cbranch_execz .LBB46_247
; %bb.246:
	scratch_load_b128 v[6:9], off, s36
	v_dual_mov_b32 v3, v2 :: v_dual_mov_b32 v4, v2
	v_mov_b32_e32 v5, v2
	scratch_store_b128 off, v[2:5], off offset:384
	s_wait_loadcnt 0x0
	ds_store_b128 v126, v[6:9]
.LBB46_247:
	s_wait_xcnt 0x0
	s_or_b32 exec_lo, exec_lo, s2
	s_wait_storecnt_dscnt 0x0
	s_barrier_signal -1
	s_barrier_wait -1
	s_clause 0x9
	scratch_load_b128 v[4:7], off, off offset:400
	scratch_load_b128 v[8:11], off, off offset:416
	;; [unrolled: 1-line block ×10, first 2 shown]
	ds_load_b128 v[140:143], v2 offset:1152
	ds_load_b128 v[148:151], v2 offset:1168
	s_clause 0x2
	scratch_load_b128 v[144:147], off, off offset:560
	scratch_load_b128 v[152:155], off, off offset:384
	;; [unrolled: 1-line block ×3, first 2 shown]
	s_mov_b32 s2, exec_lo
	s_wait_loadcnt_dscnt 0xc01
	v_mul_f64_e32 v[160:161], v[142:143], v[6:7]
	v_mul_f64_e32 v[164:165], v[140:141], v[6:7]
	s_wait_loadcnt_dscnt 0xb00
	v_mul_f64_e32 v[166:167], v[148:149], v[10:11]
	v_mul_f64_e32 v[10:11], v[150:151], v[10:11]
	s_delay_alu instid0(VALU_DEP_4) | instskip(NEXT) | instid1(VALU_DEP_4)
	v_fma_f64 v[168:169], v[140:141], v[4:5], -v[160:161]
	v_fmac_f64_e32 v[164:165], v[142:143], v[4:5]
	ds_load_b128 v[4:7], v2 offset:1184
	ds_load_b128 v[140:143], v2 offset:1200
	scratch_load_b128 v[160:163], off, off offset:592
	v_fmac_f64_e32 v[166:167], v[150:151], v[8:9]
	v_fma_f64 v[148:149], v[148:149], v[8:9], -v[10:11]
	scratch_load_b128 v[8:11], off, off offset:608
	s_wait_loadcnt_dscnt 0xc01
	v_mul_f64_e32 v[170:171], v[4:5], v[14:15]
	v_mul_f64_e32 v[14:15], v[6:7], v[14:15]
	v_add_f64_e32 v[150:151], 0, v[168:169]
	v_add_f64_e32 v[164:165], 0, v[164:165]
	s_wait_loadcnt_dscnt 0xb00
	v_mul_f64_e32 v[168:169], v[140:141], v[18:19]
	v_mul_f64_e32 v[18:19], v[142:143], v[18:19]
	v_fmac_f64_e32 v[170:171], v[6:7], v[12:13]
	v_fma_f64 v[172:173], v[4:5], v[12:13], -v[14:15]
	ds_load_b128 v[4:7], v2 offset:1216
	ds_load_b128 v[12:15], v2 offset:1232
	v_add_f64_e32 v[174:175], v[150:151], v[148:149]
	v_add_f64_e32 v[164:165], v[164:165], v[166:167]
	scratch_load_b128 v[148:151], off, off offset:624
	v_fmac_f64_e32 v[168:169], v[142:143], v[16:17]
	v_fma_f64 v[140:141], v[140:141], v[16:17], -v[18:19]
	scratch_load_b128 v[16:19], off, off offset:640
	s_wait_loadcnt_dscnt 0xc01
	v_mul_f64_e32 v[166:167], v[4:5], v[22:23]
	v_mul_f64_e32 v[22:23], v[6:7], v[22:23]
	v_add_f64_e32 v[142:143], v[174:175], v[172:173]
	v_add_f64_e32 v[164:165], v[164:165], v[170:171]
	s_wait_loadcnt_dscnt 0xb00
	v_mul_f64_e32 v[170:171], v[12:13], v[26:27]
	v_mul_f64_e32 v[26:27], v[14:15], v[26:27]
	v_fmac_f64_e32 v[166:167], v[6:7], v[20:21]
	v_fma_f64 v[172:173], v[4:5], v[20:21], -v[22:23]
	ds_load_b128 v[4:7], v2 offset:1248
	ds_load_b128 v[20:23], v2 offset:1264
	v_add_f64_e32 v[174:175], v[142:143], v[140:141]
	v_add_f64_e32 v[164:165], v[164:165], v[168:169]
	scratch_load_b128 v[140:143], off, off offset:656
	s_wait_loadcnt_dscnt 0xb01
	v_mul_f64_e32 v[168:169], v[4:5], v[30:31]
	v_mul_f64_e32 v[30:31], v[6:7], v[30:31]
	v_fmac_f64_e32 v[170:171], v[14:15], v[24:25]
	v_fma_f64 v[24:25], v[12:13], v[24:25], -v[26:27]
	scratch_load_b128 v[12:15], off, off offset:672
	v_add_f64_e32 v[26:27], v[174:175], v[172:173]
	v_add_f64_e32 v[164:165], v[164:165], v[166:167]
	s_wait_loadcnt_dscnt 0xb00
	v_mul_f64_e32 v[166:167], v[20:21], v[130:131]
	v_mul_f64_e32 v[130:131], v[22:23], v[130:131]
	v_fmac_f64_e32 v[168:169], v[6:7], v[28:29]
	v_fma_f64 v[172:173], v[4:5], v[28:29], -v[30:31]
	v_add_f64_e32 v[174:175], v[26:27], v[24:25]
	v_add_f64_e32 v[164:165], v[164:165], v[170:171]
	ds_load_b128 v[4:7], v2 offset:1280
	ds_load_b128 v[24:27], v2 offset:1296
	scratch_load_b128 v[28:31], off, off offset:688
	v_fmac_f64_e32 v[166:167], v[22:23], v[128:129]
	v_fma_f64 v[128:129], v[20:21], v[128:129], -v[130:131]
	scratch_load_b128 v[20:23], off, off offset:704
	s_wait_loadcnt_dscnt 0xc01
	v_mul_f64_e32 v[170:171], v[4:5], v[134:135]
	v_mul_f64_e32 v[134:135], v[6:7], v[134:135]
	v_add_f64_e32 v[130:131], v[174:175], v[172:173]
	v_add_f64_e32 v[164:165], v[164:165], v[168:169]
	s_wait_loadcnt_dscnt 0xb00
	v_mul_f64_e32 v[168:169], v[24:25], v[138:139]
	v_mul_f64_e32 v[138:139], v[26:27], v[138:139]
	v_fmac_f64_e32 v[170:171], v[6:7], v[132:133]
	v_fma_f64 v[172:173], v[4:5], v[132:133], -v[134:135]
	v_add_f64_e32 v[174:175], v[130:131], v[128:129]
	v_add_f64_e32 v[164:165], v[164:165], v[166:167]
	ds_load_b128 v[4:7], v2 offset:1312
	ds_load_b128 v[128:131], v2 offset:1328
	scratch_load_b128 v[132:135], off, off offset:720
	v_fmac_f64_e32 v[168:169], v[26:27], v[136:137]
	v_fma_f64 v[136:137], v[24:25], v[136:137], -v[138:139]
	scratch_load_b128 v[24:27], off, off offset:736
	s_wait_loadcnt_dscnt 0xc01
	v_mul_f64_e32 v[166:167], v[4:5], v[146:147]
	v_mul_f64_e32 v[146:147], v[6:7], v[146:147]
	v_add_f64_e32 v[138:139], v[174:175], v[172:173]
	v_add_f64_e32 v[164:165], v[164:165], v[170:171]
	s_wait_loadcnt_dscnt 0xa00
	v_mul_f64_e32 v[170:171], v[128:129], v[158:159]
	v_mul_f64_e32 v[158:159], v[130:131], v[158:159]
	v_fmac_f64_e32 v[166:167], v[6:7], v[144:145]
	v_fma_f64 v[144:145], v[4:5], v[144:145], -v[146:147]
	v_add_f64_e32 v[146:147], v[138:139], v[136:137]
	v_add_f64_e32 v[164:165], v[164:165], v[168:169]
	ds_load_b128 v[4:7], v2 offset:1344
	ds_load_b128 v[136:139], v2 offset:1360
	v_fmac_f64_e32 v[170:171], v[130:131], v[156:157]
	v_fma_f64 v[128:129], v[128:129], v[156:157], -v[158:159]
	s_wait_loadcnt_dscnt 0x901
	v_mul_f64_e32 v[168:169], v[4:5], v[162:163]
	v_mul_f64_e32 v[162:163], v[6:7], v[162:163]
	v_add_f64_e32 v[130:131], v[146:147], v[144:145]
	v_add_f64_e32 v[144:145], v[164:165], v[166:167]
	s_wait_loadcnt_dscnt 0x800
	v_mul_f64_e32 v[146:147], v[136:137], v[10:11]
	v_mul_f64_e32 v[10:11], v[138:139], v[10:11]
	v_fmac_f64_e32 v[168:169], v[6:7], v[160:161]
	v_fma_f64 v[156:157], v[4:5], v[160:161], -v[162:163]
	v_add_f64_e32 v[158:159], v[130:131], v[128:129]
	v_add_f64_e32 v[144:145], v[144:145], v[170:171]
	ds_load_b128 v[4:7], v2 offset:1376
	ds_load_b128 v[128:131], v2 offset:1392
	v_fmac_f64_e32 v[146:147], v[138:139], v[8:9]
	v_fma_f64 v[8:9], v[136:137], v[8:9], -v[10:11]
	s_wait_loadcnt_dscnt 0x701
	v_mul_f64_e32 v[160:161], v[4:5], v[150:151]
	v_mul_f64_e32 v[150:151], v[6:7], v[150:151]
	s_wait_loadcnt_dscnt 0x600
	v_mul_f64_e32 v[138:139], v[128:129], v[18:19]
	v_mul_f64_e32 v[18:19], v[130:131], v[18:19]
	v_add_f64_e32 v[10:11], v[158:159], v[156:157]
	v_add_f64_e32 v[136:137], v[144:145], v[168:169]
	v_fmac_f64_e32 v[160:161], v[6:7], v[148:149]
	v_fma_f64 v[144:145], v[4:5], v[148:149], -v[150:151]
	v_fmac_f64_e32 v[138:139], v[130:131], v[16:17]
	v_fma_f64 v[16:17], v[128:129], v[16:17], -v[18:19]
	v_add_f64_e32 v[148:149], v[10:11], v[8:9]
	v_add_f64_e32 v[136:137], v[136:137], v[146:147]
	ds_load_b128 v[4:7], v2 offset:1408
	ds_load_b128 v[8:11], v2 offset:1424
	s_wait_loadcnt_dscnt 0x501
	v_mul_f64_e32 v[146:147], v[4:5], v[142:143]
	v_mul_f64_e32 v[142:143], v[6:7], v[142:143]
	s_wait_loadcnt_dscnt 0x400
	v_mul_f64_e32 v[130:131], v[8:9], v[14:15]
	v_add_f64_e32 v[18:19], v[148:149], v[144:145]
	v_add_f64_e32 v[128:129], v[136:137], v[160:161]
	v_mul_f64_e32 v[136:137], v[10:11], v[14:15]
	v_fmac_f64_e32 v[146:147], v[6:7], v[140:141]
	v_fma_f64 v[140:141], v[4:5], v[140:141], -v[142:143]
	v_fmac_f64_e32 v[130:131], v[10:11], v[12:13]
	v_add_f64_e32 v[18:19], v[18:19], v[16:17]
	v_add_f64_e32 v[128:129], v[128:129], v[138:139]
	ds_load_b128 v[4:7], v2 offset:1440
	ds_load_b128 v[14:17], v2 offset:1456
	v_fma_f64 v[8:9], v[8:9], v[12:13], -v[136:137]
	s_wait_loadcnt_dscnt 0x301
	v_mul_f64_e32 v[138:139], v[4:5], v[30:31]
	v_mul_f64_e32 v[30:31], v[6:7], v[30:31]
	v_add_f64_e32 v[10:11], v[18:19], v[140:141]
	v_add_f64_e32 v[12:13], v[128:129], v[146:147]
	s_wait_loadcnt_dscnt 0x200
	v_mul_f64_e32 v[18:19], v[14:15], v[22:23]
	v_mul_f64_e32 v[22:23], v[16:17], v[22:23]
	v_fmac_f64_e32 v[138:139], v[6:7], v[28:29]
	v_fma_f64 v[28:29], v[4:5], v[28:29], -v[30:31]
	v_add_f64_e32 v[30:31], v[10:11], v[8:9]
	v_add_f64_e32 v[12:13], v[12:13], v[130:131]
	ds_load_b128 v[4:7], v2 offset:1472
	ds_load_b128 v[8:11], v2 offset:1488
	v_fmac_f64_e32 v[18:19], v[16:17], v[20:21]
	v_fma_f64 v[14:15], v[14:15], v[20:21], -v[22:23]
	s_wait_loadcnt_dscnt 0x101
	v_mul_f64_e32 v[2:3], v[4:5], v[134:135]
	v_mul_f64_e32 v[128:129], v[6:7], v[134:135]
	s_wait_loadcnt_dscnt 0x0
	v_mul_f64_e32 v[20:21], v[8:9], v[26:27]
	v_mul_f64_e32 v[22:23], v[10:11], v[26:27]
	v_add_f64_e32 v[16:17], v[30:31], v[28:29]
	v_add_f64_e32 v[12:13], v[12:13], v[138:139]
	v_fmac_f64_e32 v[2:3], v[6:7], v[132:133]
	v_fma_f64 v[4:5], v[4:5], v[132:133], -v[128:129]
	v_fmac_f64_e32 v[20:21], v[10:11], v[24:25]
	v_fma_f64 v[8:9], v[8:9], v[24:25], -v[22:23]
	v_add_f64_e32 v[6:7], v[16:17], v[14:15]
	v_add_f64_e32 v[12:13], v[12:13], v[18:19]
	s_delay_alu instid0(VALU_DEP_2) | instskip(NEXT) | instid1(VALU_DEP_2)
	v_add_f64_e32 v[4:5], v[6:7], v[4:5]
	v_add_f64_e32 v[2:3], v[12:13], v[2:3]
	s_delay_alu instid0(VALU_DEP_2) | instskip(NEXT) | instid1(VALU_DEP_2)
	;; [unrolled: 3-line block ×3, first 2 shown]
	v_add_f64_e64 v[2:3], v[152:153], -v[4:5]
	v_add_f64_e64 v[4:5], v[154:155], -v[6:7]
	scratch_store_b128 off, v[2:5], off offset:384
	s_wait_xcnt 0x0
	v_cmpx_lt_u32_e32 23, v1
	s_cbranch_execz .LBB46_249
; %bb.248:
	scratch_load_b128 v[2:5], off, s35
	v_mov_b32_e32 v6, 0
	s_delay_alu instid0(VALU_DEP_1)
	v_dual_mov_b32 v7, v6 :: v_dual_mov_b32 v8, v6
	v_mov_b32_e32 v9, v6
	scratch_store_b128 off, v[6:9], off offset:368
	s_wait_loadcnt 0x0
	ds_store_b128 v126, v[2:5]
.LBB46_249:
	s_wait_xcnt 0x0
	s_or_b32 exec_lo, exec_lo, s2
	s_wait_storecnt_dscnt 0x0
	s_barrier_signal -1
	s_barrier_wait -1
	s_clause 0x9
	scratch_load_b128 v[4:7], off, off offset:384
	scratch_load_b128 v[8:11], off, off offset:400
	;; [unrolled: 1-line block ×10, first 2 shown]
	v_mov_b32_e32 v2, 0
	s_mov_b32 s2, exec_lo
	ds_load_b128 v[140:143], v2 offset:1136
	s_clause 0x2
	scratch_load_b128 v[144:147], off, off offset:544
	scratch_load_b128 v[148:151], off, off offset:368
	;; [unrolled: 1-line block ×3, first 2 shown]
	s_wait_loadcnt_dscnt 0xc00
	v_mul_f64_e32 v[160:161], v[142:143], v[6:7]
	v_mul_f64_e32 v[164:165], v[140:141], v[6:7]
	ds_load_b128 v[152:155], v2 offset:1152
	v_fma_f64 v[168:169], v[140:141], v[4:5], -v[160:161]
	v_fmac_f64_e32 v[164:165], v[142:143], v[4:5]
	ds_load_b128 v[4:7], v2 offset:1168
	s_wait_loadcnt_dscnt 0xb01
	v_mul_f64_e32 v[166:167], v[152:153], v[10:11]
	v_mul_f64_e32 v[10:11], v[154:155], v[10:11]
	scratch_load_b128 v[140:143], off, off offset:576
	ds_load_b128 v[160:163], v2 offset:1184
	s_wait_loadcnt_dscnt 0xb01
	v_mul_f64_e32 v[170:171], v[4:5], v[14:15]
	v_mul_f64_e32 v[14:15], v[6:7], v[14:15]
	v_add_f64_e32 v[164:165], 0, v[164:165]
	v_fmac_f64_e32 v[166:167], v[154:155], v[8:9]
	v_fma_f64 v[152:153], v[152:153], v[8:9], -v[10:11]
	v_add_f64_e32 v[154:155], 0, v[168:169]
	scratch_load_b128 v[8:11], off, off offset:592
	v_fmac_f64_e32 v[170:171], v[6:7], v[12:13]
	v_fma_f64 v[172:173], v[4:5], v[12:13], -v[14:15]
	ds_load_b128 v[4:7], v2 offset:1200
	s_wait_loadcnt_dscnt 0xb01
	v_mul_f64_e32 v[168:169], v[160:161], v[18:19]
	v_mul_f64_e32 v[18:19], v[162:163], v[18:19]
	scratch_load_b128 v[12:15], off, off offset:608
	v_add_f64_e32 v[164:165], v[164:165], v[166:167]
	v_add_f64_e32 v[174:175], v[154:155], v[152:153]
	ds_load_b128 v[152:155], v2 offset:1216
	s_wait_loadcnt_dscnt 0xb01
	v_mul_f64_e32 v[166:167], v[4:5], v[22:23]
	v_mul_f64_e32 v[22:23], v[6:7], v[22:23]
	v_fmac_f64_e32 v[168:169], v[162:163], v[16:17]
	v_fma_f64 v[160:161], v[160:161], v[16:17], -v[18:19]
	scratch_load_b128 v[16:19], off, off offset:624
	v_add_f64_e32 v[164:165], v[164:165], v[170:171]
	v_add_f64_e32 v[162:163], v[174:175], v[172:173]
	v_fmac_f64_e32 v[166:167], v[6:7], v[20:21]
	v_fma_f64 v[172:173], v[4:5], v[20:21], -v[22:23]
	ds_load_b128 v[4:7], v2 offset:1232
	s_wait_loadcnt_dscnt 0xb01
	v_mul_f64_e32 v[170:171], v[152:153], v[26:27]
	v_mul_f64_e32 v[26:27], v[154:155], v[26:27]
	scratch_load_b128 v[20:23], off, off offset:640
	v_add_f64_e32 v[164:165], v[164:165], v[168:169]
	s_wait_loadcnt_dscnt 0xb00
	v_mul_f64_e32 v[168:169], v[4:5], v[30:31]
	v_add_f64_e32 v[174:175], v[162:163], v[160:161]
	v_mul_f64_e32 v[30:31], v[6:7], v[30:31]
	ds_load_b128 v[160:163], v2 offset:1248
	v_fmac_f64_e32 v[170:171], v[154:155], v[24:25]
	v_fma_f64 v[152:153], v[152:153], v[24:25], -v[26:27]
	scratch_load_b128 v[24:27], off, off offset:656
	v_add_f64_e32 v[164:165], v[164:165], v[166:167]
	v_fmac_f64_e32 v[168:169], v[6:7], v[28:29]
	v_add_f64_e32 v[154:155], v[174:175], v[172:173]
	v_fma_f64 v[172:173], v[4:5], v[28:29], -v[30:31]
	ds_load_b128 v[4:7], v2 offset:1264
	s_wait_loadcnt_dscnt 0xb01
	v_mul_f64_e32 v[166:167], v[160:161], v[130:131]
	v_mul_f64_e32 v[130:131], v[162:163], v[130:131]
	scratch_load_b128 v[28:31], off, off offset:672
	v_add_f64_e32 v[164:165], v[164:165], v[170:171]
	s_wait_loadcnt_dscnt 0xb00
	v_mul_f64_e32 v[170:171], v[4:5], v[134:135]
	v_add_f64_e32 v[174:175], v[154:155], v[152:153]
	v_mul_f64_e32 v[134:135], v[6:7], v[134:135]
	ds_load_b128 v[152:155], v2 offset:1280
	v_fmac_f64_e32 v[166:167], v[162:163], v[128:129]
	v_fma_f64 v[160:161], v[160:161], v[128:129], -v[130:131]
	scratch_load_b128 v[128:131], off, off offset:688
	v_add_f64_e32 v[164:165], v[164:165], v[168:169]
	v_fmac_f64_e32 v[170:171], v[6:7], v[132:133]
	v_add_f64_e32 v[162:163], v[174:175], v[172:173]
	;; [unrolled: 18-line block ×3, first 2 shown]
	v_fma_f64 v[172:173], v[4:5], v[144:145], -v[146:147]
	ds_load_b128 v[4:7], v2 offset:1328
	s_wait_loadcnt_dscnt 0xa01
	v_mul_f64_e32 v[170:171], v[160:161], v[158:159]
	v_mul_f64_e32 v[158:159], v[162:163], v[158:159]
	scratch_load_b128 v[144:147], off, off offset:736
	v_add_f64_e32 v[164:165], v[164:165], v[168:169]
	v_add_f64_e32 v[174:175], v[154:155], v[152:153]
	s_wait_loadcnt_dscnt 0xa00
	v_mul_f64_e32 v[168:169], v[4:5], v[142:143]
	v_mul_f64_e32 v[142:143], v[6:7], v[142:143]
	v_fmac_f64_e32 v[170:171], v[162:163], v[156:157]
	v_fma_f64 v[156:157], v[160:161], v[156:157], -v[158:159]
	ds_load_b128 v[152:155], v2 offset:1344
	v_add_f64_e32 v[160:161], v[164:165], v[166:167]
	v_add_f64_e32 v[158:159], v[174:175], v[172:173]
	s_wait_loadcnt_dscnt 0x900
	v_mul_f64_e32 v[162:163], v[152:153], v[10:11]
	v_mul_f64_e32 v[10:11], v[154:155], v[10:11]
	v_fmac_f64_e32 v[168:169], v[6:7], v[140:141]
	v_fma_f64 v[164:165], v[4:5], v[140:141], -v[142:143]
	ds_load_b128 v[4:7], v2 offset:1360
	ds_load_b128 v[140:143], v2 offset:1376
	v_add_f64_e32 v[156:157], v[158:159], v[156:157]
	v_add_f64_e32 v[158:159], v[160:161], v[170:171]
	s_wait_loadcnt_dscnt 0x801
	v_mul_f64_e32 v[160:161], v[4:5], v[14:15]
	v_mul_f64_e32 v[14:15], v[6:7], v[14:15]
	v_fmac_f64_e32 v[162:163], v[154:155], v[8:9]
	v_fma_f64 v[8:9], v[152:153], v[8:9], -v[10:11]
	s_wait_loadcnt_dscnt 0x700
	v_mul_f64_e32 v[154:155], v[140:141], v[18:19]
	v_mul_f64_e32 v[18:19], v[142:143], v[18:19]
	v_add_f64_e32 v[10:11], v[156:157], v[164:165]
	v_add_f64_e32 v[152:153], v[158:159], v[168:169]
	v_fmac_f64_e32 v[160:161], v[6:7], v[12:13]
	v_fma_f64 v[12:13], v[4:5], v[12:13], -v[14:15]
	v_fmac_f64_e32 v[154:155], v[142:143], v[16:17]
	v_fma_f64 v[16:17], v[140:141], v[16:17], -v[18:19]
	v_add_f64_e32 v[14:15], v[10:11], v[8:9]
	v_add_f64_e32 v[152:153], v[152:153], v[162:163]
	ds_load_b128 v[4:7], v2 offset:1392
	ds_load_b128 v[8:11], v2 offset:1408
	s_wait_loadcnt_dscnt 0x601
	v_mul_f64_e32 v[156:157], v[4:5], v[22:23]
	v_mul_f64_e32 v[22:23], v[6:7], v[22:23]
	s_wait_loadcnt_dscnt 0x500
	v_mul_f64_e32 v[18:19], v[8:9], v[26:27]
	v_mul_f64_e32 v[26:27], v[10:11], v[26:27]
	v_add_f64_e32 v[12:13], v[14:15], v[12:13]
	v_add_f64_e32 v[14:15], v[152:153], v[160:161]
	v_fmac_f64_e32 v[156:157], v[6:7], v[20:21]
	v_fma_f64 v[20:21], v[4:5], v[20:21], -v[22:23]
	v_fmac_f64_e32 v[18:19], v[10:11], v[24:25]
	v_fma_f64 v[8:9], v[8:9], v[24:25], -v[26:27]
	v_add_f64_e32 v[16:17], v[12:13], v[16:17]
	v_add_f64_e32 v[22:23], v[14:15], v[154:155]
	ds_load_b128 v[4:7], v2 offset:1424
	ds_load_b128 v[12:15], v2 offset:1440
	s_wait_loadcnt_dscnt 0x401
	v_mul_f64_e32 v[140:141], v[4:5], v[30:31]
	v_mul_f64_e32 v[30:31], v[6:7], v[30:31]
	v_add_f64_e32 v[10:11], v[16:17], v[20:21]
	v_add_f64_e32 v[16:17], v[22:23], v[156:157]
	s_wait_loadcnt_dscnt 0x300
	v_mul_f64_e32 v[20:21], v[12:13], v[130:131]
	v_mul_f64_e32 v[22:23], v[14:15], v[130:131]
	v_fmac_f64_e32 v[140:141], v[6:7], v[28:29]
	v_fma_f64 v[24:25], v[4:5], v[28:29], -v[30:31]
	v_add_f64_e32 v[26:27], v[10:11], v[8:9]
	v_add_f64_e32 v[16:17], v[16:17], v[18:19]
	ds_load_b128 v[4:7], v2 offset:1456
	ds_load_b128 v[8:11], v2 offset:1472
	v_fmac_f64_e32 v[20:21], v[14:15], v[128:129]
	v_fma_f64 v[12:13], v[12:13], v[128:129], -v[22:23]
	s_wait_loadcnt_dscnt 0x201
	v_mul_f64_e32 v[18:19], v[4:5], v[134:135]
	v_mul_f64_e32 v[28:29], v[6:7], v[134:135]
	s_wait_loadcnt_dscnt 0x100
	v_mul_f64_e32 v[22:23], v[8:9], v[138:139]
	v_add_f64_e32 v[14:15], v[26:27], v[24:25]
	v_add_f64_e32 v[16:17], v[16:17], v[140:141]
	v_mul_f64_e32 v[24:25], v[10:11], v[138:139]
	v_fmac_f64_e32 v[18:19], v[6:7], v[132:133]
	v_fma_f64 v[26:27], v[4:5], v[132:133], -v[28:29]
	ds_load_b128 v[4:7], v2 offset:1488
	v_fmac_f64_e32 v[22:23], v[10:11], v[136:137]
	v_add_f64_e32 v[12:13], v[14:15], v[12:13]
	v_add_f64_e32 v[14:15], v[16:17], v[20:21]
	v_fma_f64 v[8:9], v[8:9], v[136:137], -v[24:25]
	s_wait_loadcnt_dscnt 0x0
	v_mul_f64_e32 v[16:17], v[4:5], v[146:147]
	v_mul_f64_e32 v[20:21], v[6:7], v[146:147]
	v_add_f64_e32 v[10:11], v[12:13], v[26:27]
	v_add_f64_e32 v[12:13], v[14:15], v[18:19]
	s_delay_alu instid0(VALU_DEP_4) | instskip(NEXT) | instid1(VALU_DEP_4)
	v_fmac_f64_e32 v[16:17], v[6:7], v[144:145]
	v_fma_f64 v[4:5], v[4:5], v[144:145], -v[20:21]
	s_delay_alu instid0(VALU_DEP_4) | instskip(NEXT) | instid1(VALU_DEP_4)
	v_add_f64_e32 v[6:7], v[10:11], v[8:9]
	v_add_f64_e32 v[8:9], v[12:13], v[22:23]
	s_delay_alu instid0(VALU_DEP_2) | instskip(NEXT) | instid1(VALU_DEP_2)
	v_add_f64_e32 v[4:5], v[6:7], v[4:5]
	v_add_f64_e32 v[6:7], v[8:9], v[16:17]
	s_delay_alu instid0(VALU_DEP_2) | instskip(NEXT) | instid1(VALU_DEP_2)
	v_add_f64_e64 v[4:5], v[148:149], -v[4:5]
	v_add_f64_e64 v[6:7], v[150:151], -v[6:7]
	scratch_store_b128 off, v[4:7], off offset:368
	s_wait_xcnt 0x0
	v_cmpx_lt_u32_e32 22, v1
	s_cbranch_execz .LBB46_251
; %bb.250:
	scratch_load_b128 v[6:9], off, s43
	v_dual_mov_b32 v3, v2 :: v_dual_mov_b32 v4, v2
	v_mov_b32_e32 v5, v2
	scratch_store_b128 off, v[2:5], off offset:352
	s_wait_loadcnt 0x0
	ds_store_b128 v126, v[6:9]
.LBB46_251:
	s_wait_xcnt 0x0
	s_or_b32 exec_lo, exec_lo, s2
	s_wait_storecnt_dscnt 0x0
	s_barrier_signal -1
	s_barrier_wait -1
	s_clause 0x9
	scratch_load_b128 v[4:7], off, off offset:368
	scratch_load_b128 v[8:11], off, off offset:384
	;; [unrolled: 1-line block ×10, first 2 shown]
	ds_load_b128 v[140:143], v2 offset:1120
	ds_load_b128 v[148:151], v2 offset:1136
	s_clause 0x2
	scratch_load_b128 v[144:147], off, off offset:528
	scratch_load_b128 v[152:155], off, off offset:352
	;; [unrolled: 1-line block ×3, first 2 shown]
	s_mov_b32 s2, exec_lo
	s_wait_loadcnt_dscnt 0xc01
	v_mul_f64_e32 v[160:161], v[142:143], v[6:7]
	v_mul_f64_e32 v[164:165], v[140:141], v[6:7]
	s_wait_loadcnt_dscnt 0xb00
	v_mul_f64_e32 v[166:167], v[148:149], v[10:11]
	v_mul_f64_e32 v[10:11], v[150:151], v[10:11]
	s_delay_alu instid0(VALU_DEP_4) | instskip(NEXT) | instid1(VALU_DEP_4)
	v_fma_f64 v[168:169], v[140:141], v[4:5], -v[160:161]
	v_fmac_f64_e32 v[164:165], v[142:143], v[4:5]
	ds_load_b128 v[4:7], v2 offset:1152
	ds_load_b128 v[140:143], v2 offset:1168
	scratch_load_b128 v[160:163], off, off offset:560
	v_fmac_f64_e32 v[166:167], v[150:151], v[8:9]
	v_fma_f64 v[148:149], v[148:149], v[8:9], -v[10:11]
	scratch_load_b128 v[8:11], off, off offset:576
	s_wait_loadcnt_dscnt 0xc01
	v_mul_f64_e32 v[170:171], v[4:5], v[14:15]
	v_mul_f64_e32 v[14:15], v[6:7], v[14:15]
	v_add_f64_e32 v[150:151], 0, v[168:169]
	v_add_f64_e32 v[164:165], 0, v[164:165]
	s_wait_loadcnt_dscnt 0xb00
	v_mul_f64_e32 v[168:169], v[140:141], v[18:19]
	v_mul_f64_e32 v[18:19], v[142:143], v[18:19]
	v_fmac_f64_e32 v[170:171], v[6:7], v[12:13]
	v_fma_f64 v[172:173], v[4:5], v[12:13], -v[14:15]
	ds_load_b128 v[4:7], v2 offset:1184
	ds_load_b128 v[12:15], v2 offset:1200
	v_add_f64_e32 v[174:175], v[150:151], v[148:149]
	v_add_f64_e32 v[164:165], v[164:165], v[166:167]
	scratch_load_b128 v[148:151], off, off offset:592
	v_fmac_f64_e32 v[168:169], v[142:143], v[16:17]
	v_fma_f64 v[140:141], v[140:141], v[16:17], -v[18:19]
	scratch_load_b128 v[16:19], off, off offset:608
	s_wait_loadcnt_dscnt 0xc01
	v_mul_f64_e32 v[166:167], v[4:5], v[22:23]
	v_mul_f64_e32 v[22:23], v[6:7], v[22:23]
	v_add_f64_e32 v[142:143], v[174:175], v[172:173]
	v_add_f64_e32 v[164:165], v[164:165], v[170:171]
	s_wait_loadcnt_dscnt 0xb00
	v_mul_f64_e32 v[170:171], v[12:13], v[26:27]
	v_mul_f64_e32 v[26:27], v[14:15], v[26:27]
	v_fmac_f64_e32 v[166:167], v[6:7], v[20:21]
	v_fma_f64 v[172:173], v[4:5], v[20:21], -v[22:23]
	ds_load_b128 v[4:7], v2 offset:1216
	ds_load_b128 v[20:23], v2 offset:1232
	v_add_f64_e32 v[174:175], v[142:143], v[140:141]
	v_add_f64_e32 v[164:165], v[164:165], v[168:169]
	scratch_load_b128 v[140:143], off, off offset:624
	s_wait_loadcnt_dscnt 0xb01
	v_mul_f64_e32 v[168:169], v[4:5], v[30:31]
	v_mul_f64_e32 v[30:31], v[6:7], v[30:31]
	v_fmac_f64_e32 v[170:171], v[14:15], v[24:25]
	v_fma_f64 v[24:25], v[12:13], v[24:25], -v[26:27]
	scratch_load_b128 v[12:15], off, off offset:640
	v_add_f64_e32 v[26:27], v[174:175], v[172:173]
	v_add_f64_e32 v[164:165], v[164:165], v[166:167]
	s_wait_loadcnt_dscnt 0xb00
	v_mul_f64_e32 v[166:167], v[20:21], v[130:131]
	v_mul_f64_e32 v[130:131], v[22:23], v[130:131]
	v_fmac_f64_e32 v[168:169], v[6:7], v[28:29]
	v_fma_f64 v[172:173], v[4:5], v[28:29], -v[30:31]
	v_add_f64_e32 v[174:175], v[26:27], v[24:25]
	v_add_f64_e32 v[164:165], v[164:165], v[170:171]
	ds_load_b128 v[4:7], v2 offset:1248
	ds_load_b128 v[24:27], v2 offset:1264
	scratch_load_b128 v[28:31], off, off offset:656
	v_fmac_f64_e32 v[166:167], v[22:23], v[128:129]
	v_fma_f64 v[128:129], v[20:21], v[128:129], -v[130:131]
	scratch_load_b128 v[20:23], off, off offset:672
	s_wait_loadcnt_dscnt 0xc01
	v_mul_f64_e32 v[170:171], v[4:5], v[134:135]
	v_mul_f64_e32 v[134:135], v[6:7], v[134:135]
	v_add_f64_e32 v[130:131], v[174:175], v[172:173]
	v_add_f64_e32 v[164:165], v[164:165], v[168:169]
	s_wait_loadcnt_dscnt 0xb00
	v_mul_f64_e32 v[168:169], v[24:25], v[138:139]
	v_mul_f64_e32 v[138:139], v[26:27], v[138:139]
	v_fmac_f64_e32 v[170:171], v[6:7], v[132:133]
	v_fma_f64 v[172:173], v[4:5], v[132:133], -v[134:135]
	v_add_f64_e32 v[174:175], v[130:131], v[128:129]
	v_add_f64_e32 v[164:165], v[164:165], v[166:167]
	ds_load_b128 v[4:7], v2 offset:1280
	ds_load_b128 v[128:131], v2 offset:1296
	scratch_load_b128 v[132:135], off, off offset:688
	v_fmac_f64_e32 v[168:169], v[26:27], v[136:137]
	v_fma_f64 v[136:137], v[24:25], v[136:137], -v[138:139]
	scratch_load_b128 v[24:27], off, off offset:704
	s_wait_loadcnt_dscnt 0xc01
	v_mul_f64_e32 v[166:167], v[4:5], v[146:147]
	v_mul_f64_e32 v[146:147], v[6:7], v[146:147]
	;; [unrolled: 18-line block ×3, first 2 shown]
	v_add_f64_e32 v[158:159], v[174:175], v[172:173]
	v_add_f64_e32 v[164:165], v[164:165], v[166:167]
	s_wait_loadcnt_dscnt 0xa00
	v_mul_f64_e32 v[166:167], v[136:137], v[10:11]
	v_mul_f64_e32 v[10:11], v[138:139], v[10:11]
	v_fmac_f64_e32 v[168:169], v[6:7], v[160:161]
	v_fma_f64 v[160:161], v[4:5], v[160:161], -v[162:163]
	v_add_f64_e32 v[162:163], v[158:159], v[156:157]
	v_add_f64_e32 v[164:165], v[164:165], v[170:171]
	ds_load_b128 v[4:7], v2 offset:1344
	ds_load_b128 v[156:159], v2 offset:1360
	v_fmac_f64_e32 v[166:167], v[138:139], v[8:9]
	v_fma_f64 v[8:9], v[136:137], v[8:9], -v[10:11]
	s_wait_loadcnt_dscnt 0x901
	v_mul_f64_e32 v[170:171], v[4:5], v[150:151]
	v_mul_f64_e32 v[150:151], v[6:7], v[150:151]
	s_wait_loadcnt_dscnt 0x800
	v_mul_f64_e32 v[138:139], v[156:157], v[18:19]
	v_mul_f64_e32 v[18:19], v[158:159], v[18:19]
	v_add_f64_e32 v[10:11], v[162:163], v[160:161]
	v_add_f64_e32 v[136:137], v[164:165], v[168:169]
	v_fmac_f64_e32 v[170:171], v[6:7], v[148:149]
	v_fma_f64 v[148:149], v[4:5], v[148:149], -v[150:151]
	v_fmac_f64_e32 v[138:139], v[158:159], v[16:17]
	v_fma_f64 v[16:17], v[156:157], v[16:17], -v[18:19]
	v_add_f64_e32 v[150:151], v[10:11], v[8:9]
	v_add_f64_e32 v[136:137], v[136:137], v[166:167]
	ds_load_b128 v[4:7], v2 offset:1376
	ds_load_b128 v[8:11], v2 offset:1392
	s_wait_loadcnt_dscnt 0x701
	v_mul_f64_e32 v[160:161], v[4:5], v[142:143]
	v_mul_f64_e32 v[142:143], v[6:7], v[142:143]
	v_add_f64_e32 v[18:19], v[150:151], v[148:149]
	v_add_f64_e32 v[136:137], v[136:137], v[170:171]
	s_wait_loadcnt_dscnt 0x600
	v_mul_f64_e32 v[148:149], v[8:9], v[14:15]
	v_mul_f64_e32 v[150:151], v[10:11], v[14:15]
	v_fmac_f64_e32 v[160:161], v[6:7], v[140:141]
	v_fma_f64 v[140:141], v[4:5], v[140:141], -v[142:143]
	v_add_f64_e32 v[18:19], v[18:19], v[16:17]
	v_add_f64_e32 v[136:137], v[136:137], v[138:139]
	ds_load_b128 v[4:7], v2 offset:1408
	ds_load_b128 v[14:17], v2 offset:1424
	v_fmac_f64_e32 v[148:149], v[10:11], v[12:13]
	v_fma_f64 v[8:9], v[8:9], v[12:13], -v[150:151]
	s_wait_loadcnt_dscnt 0x501
	v_mul_f64_e32 v[138:139], v[4:5], v[30:31]
	v_mul_f64_e32 v[30:31], v[6:7], v[30:31]
	v_add_f64_e32 v[10:11], v[18:19], v[140:141]
	v_add_f64_e32 v[12:13], v[136:137], v[160:161]
	s_wait_loadcnt_dscnt 0x400
	v_mul_f64_e32 v[18:19], v[14:15], v[22:23]
	v_mul_f64_e32 v[22:23], v[16:17], v[22:23]
	v_fmac_f64_e32 v[138:139], v[6:7], v[28:29]
	v_fma_f64 v[28:29], v[4:5], v[28:29], -v[30:31]
	v_add_f64_e32 v[30:31], v[10:11], v[8:9]
	v_add_f64_e32 v[12:13], v[12:13], v[148:149]
	ds_load_b128 v[4:7], v2 offset:1440
	ds_load_b128 v[8:11], v2 offset:1456
	v_fmac_f64_e32 v[18:19], v[16:17], v[20:21]
	v_fma_f64 v[14:15], v[14:15], v[20:21], -v[22:23]
	s_wait_loadcnt_dscnt 0x301
	v_mul_f64_e32 v[136:137], v[4:5], v[134:135]
	v_mul_f64_e32 v[134:135], v[6:7], v[134:135]
	s_wait_loadcnt_dscnt 0x200
	v_mul_f64_e32 v[20:21], v[8:9], v[26:27]
	v_mul_f64_e32 v[22:23], v[10:11], v[26:27]
	v_add_f64_e32 v[16:17], v[30:31], v[28:29]
	v_add_f64_e32 v[12:13], v[12:13], v[138:139]
	v_fmac_f64_e32 v[136:137], v[6:7], v[132:133]
	v_fma_f64 v[26:27], v[4:5], v[132:133], -v[134:135]
	v_fmac_f64_e32 v[20:21], v[10:11], v[24:25]
	v_fma_f64 v[8:9], v[8:9], v[24:25], -v[22:23]
	v_add_f64_e32 v[16:17], v[16:17], v[14:15]
	v_add_f64_e32 v[18:19], v[12:13], v[18:19]
	ds_load_b128 v[4:7], v2 offset:1472
	ds_load_b128 v[12:15], v2 offset:1488
	s_wait_loadcnt_dscnt 0x101
	v_mul_f64_e32 v[2:3], v[4:5], v[146:147]
	v_mul_f64_e32 v[28:29], v[6:7], v[146:147]
	s_wait_loadcnt_dscnt 0x0
	v_mul_f64_e32 v[22:23], v[14:15], v[130:131]
	v_add_f64_e32 v[10:11], v[16:17], v[26:27]
	v_add_f64_e32 v[16:17], v[18:19], v[136:137]
	v_mul_f64_e32 v[18:19], v[12:13], v[130:131]
	v_fmac_f64_e32 v[2:3], v[6:7], v[144:145]
	v_fma_f64 v[4:5], v[4:5], v[144:145], -v[28:29]
	v_add_f64_e32 v[6:7], v[10:11], v[8:9]
	v_add_f64_e32 v[8:9], v[16:17], v[20:21]
	v_fmac_f64_e32 v[18:19], v[14:15], v[128:129]
	v_fma_f64 v[10:11], v[12:13], v[128:129], -v[22:23]
	s_delay_alu instid0(VALU_DEP_4) | instskip(NEXT) | instid1(VALU_DEP_4)
	v_add_f64_e32 v[4:5], v[6:7], v[4:5]
	v_add_f64_e32 v[2:3], v[8:9], v[2:3]
	s_delay_alu instid0(VALU_DEP_2) | instskip(NEXT) | instid1(VALU_DEP_2)
	v_add_f64_e32 v[4:5], v[4:5], v[10:11]
	v_add_f64_e32 v[6:7], v[2:3], v[18:19]
	s_delay_alu instid0(VALU_DEP_2) | instskip(NEXT) | instid1(VALU_DEP_2)
	v_add_f64_e64 v[2:3], v[152:153], -v[4:5]
	v_add_f64_e64 v[4:5], v[154:155], -v[6:7]
	scratch_store_b128 off, v[2:5], off offset:352
	s_wait_xcnt 0x0
	v_cmpx_lt_u32_e32 21, v1
	s_cbranch_execz .LBB46_253
; %bb.252:
	scratch_load_b128 v[2:5], off, s41
	v_mov_b32_e32 v6, 0
	s_delay_alu instid0(VALU_DEP_1)
	v_dual_mov_b32 v7, v6 :: v_dual_mov_b32 v8, v6
	v_mov_b32_e32 v9, v6
	scratch_store_b128 off, v[6:9], off offset:336
	s_wait_loadcnt 0x0
	ds_store_b128 v126, v[2:5]
.LBB46_253:
	s_wait_xcnt 0x0
	s_or_b32 exec_lo, exec_lo, s2
	s_wait_storecnt_dscnt 0x0
	s_barrier_signal -1
	s_barrier_wait -1
	s_clause 0x9
	scratch_load_b128 v[4:7], off, off offset:352
	scratch_load_b128 v[8:11], off, off offset:368
	;; [unrolled: 1-line block ×10, first 2 shown]
	v_mov_b32_e32 v2, 0
	s_mov_b32 s2, exec_lo
	ds_load_b128 v[140:143], v2 offset:1104
	s_clause 0x2
	scratch_load_b128 v[144:147], off, off offset:512
	scratch_load_b128 v[148:151], off, off offset:336
	;; [unrolled: 1-line block ×3, first 2 shown]
	s_wait_loadcnt_dscnt 0xc00
	v_mul_f64_e32 v[160:161], v[142:143], v[6:7]
	v_mul_f64_e32 v[164:165], v[140:141], v[6:7]
	ds_load_b128 v[152:155], v2 offset:1120
	v_fma_f64 v[168:169], v[140:141], v[4:5], -v[160:161]
	v_fmac_f64_e32 v[164:165], v[142:143], v[4:5]
	ds_load_b128 v[4:7], v2 offset:1136
	s_wait_loadcnt_dscnt 0xb01
	v_mul_f64_e32 v[166:167], v[152:153], v[10:11]
	v_mul_f64_e32 v[10:11], v[154:155], v[10:11]
	scratch_load_b128 v[140:143], off, off offset:544
	ds_load_b128 v[160:163], v2 offset:1152
	s_wait_loadcnt_dscnt 0xb01
	v_mul_f64_e32 v[170:171], v[4:5], v[14:15]
	v_mul_f64_e32 v[14:15], v[6:7], v[14:15]
	v_add_f64_e32 v[164:165], 0, v[164:165]
	v_fmac_f64_e32 v[166:167], v[154:155], v[8:9]
	v_fma_f64 v[152:153], v[152:153], v[8:9], -v[10:11]
	v_add_f64_e32 v[154:155], 0, v[168:169]
	scratch_load_b128 v[8:11], off, off offset:560
	v_fmac_f64_e32 v[170:171], v[6:7], v[12:13]
	v_fma_f64 v[172:173], v[4:5], v[12:13], -v[14:15]
	ds_load_b128 v[4:7], v2 offset:1168
	s_wait_loadcnt_dscnt 0xb01
	v_mul_f64_e32 v[168:169], v[160:161], v[18:19]
	v_mul_f64_e32 v[18:19], v[162:163], v[18:19]
	scratch_load_b128 v[12:15], off, off offset:576
	v_add_f64_e32 v[164:165], v[164:165], v[166:167]
	v_add_f64_e32 v[174:175], v[154:155], v[152:153]
	ds_load_b128 v[152:155], v2 offset:1184
	s_wait_loadcnt_dscnt 0xb01
	v_mul_f64_e32 v[166:167], v[4:5], v[22:23]
	v_mul_f64_e32 v[22:23], v[6:7], v[22:23]
	v_fmac_f64_e32 v[168:169], v[162:163], v[16:17]
	v_fma_f64 v[160:161], v[160:161], v[16:17], -v[18:19]
	scratch_load_b128 v[16:19], off, off offset:592
	v_add_f64_e32 v[164:165], v[164:165], v[170:171]
	v_add_f64_e32 v[162:163], v[174:175], v[172:173]
	v_fmac_f64_e32 v[166:167], v[6:7], v[20:21]
	v_fma_f64 v[172:173], v[4:5], v[20:21], -v[22:23]
	ds_load_b128 v[4:7], v2 offset:1200
	s_wait_loadcnt_dscnt 0xb01
	v_mul_f64_e32 v[170:171], v[152:153], v[26:27]
	v_mul_f64_e32 v[26:27], v[154:155], v[26:27]
	scratch_load_b128 v[20:23], off, off offset:608
	v_add_f64_e32 v[164:165], v[164:165], v[168:169]
	s_wait_loadcnt_dscnt 0xb00
	v_mul_f64_e32 v[168:169], v[4:5], v[30:31]
	v_add_f64_e32 v[174:175], v[162:163], v[160:161]
	v_mul_f64_e32 v[30:31], v[6:7], v[30:31]
	ds_load_b128 v[160:163], v2 offset:1216
	v_fmac_f64_e32 v[170:171], v[154:155], v[24:25]
	v_fma_f64 v[152:153], v[152:153], v[24:25], -v[26:27]
	scratch_load_b128 v[24:27], off, off offset:624
	v_add_f64_e32 v[164:165], v[164:165], v[166:167]
	v_fmac_f64_e32 v[168:169], v[6:7], v[28:29]
	v_add_f64_e32 v[154:155], v[174:175], v[172:173]
	v_fma_f64 v[172:173], v[4:5], v[28:29], -v[30:31]
	ds_load_b128 v[4:7], v2 offset:1232
	s_wait_loadcnt_dscnt 0xb01
	v_mul_f64_e32 v[166:167], v[160:161], v[130:131]
	v_mul_f64_e32 v[130:131], v[162:163], v[130:131]
	scratch_load_b128 v[28:31], off, off offset:640
	v_add_f64_e32 v[164:165], v[164:165], v[170:171]
	s_wait_loadcnt_dscnt 0xb00
	v_mul_f64_e32 v[170:171], v[4:5], v[134:135]
	v_add_f64_e32 v[174:175], v[154:155], v[152:153]
	v_mul_f64_e32 v[134:135], v[6:7], v[134:135]
	ds_load_b128 v[152:155], v2 offset:1248
	v_fmac_f64_e32 v[166:167], v[162:163], v[128:129]
	v_fma_f64 v[160:161], v[160:161], v[128:129], -v[130:131]
	scratch_load_b128 v[128:131], off, off offset:656
	v_add_f64_e32 v[164:165], v[164:165], v[168:169]
	v_fmac_f64_e32 v[170:171], v[6:7], v[132:133]
	v_add_f64_e32 v[162:163], v[174:175], v[172:173]
	;; [unrolled: 18-line block ×3, first 2 shown]
	v_fma_f64 v[172:173], v[4:5], v[144:145], -v[146:147]
	ds_load_b128 v[4:7], v2 offset:1296
	s_wait_loadcnt_dscnt 0xa01
	v_mul_f64_e32 v[170:171], v[160:161], v[158:159]
	v_mul_f64_e32 v[158:159], v[162:163], v[158:159]
	scratch_load_b128 v[144:147], off, off offset:704
	v_add_f64_e32 v[164:165], v[164:165], v[168:169]
	v_add_f64_e32 v[174:175], v[154:155], v[152:153]
	s_wait_loadcnt_dscnt 0xa00
	v_mul_f64_e32 v[168:169], v[4:5], v[142:143]
	v_mul_f64_e32 v[142:143], v[6:7], v[142:143]
	v_fmac_f64_e32 v[170:171], v[162:163], v[156:157]
	v_fma_f64 v[160:161], v[160:161], v[156:157], -v[158:159]
	ds_load_b128 v[152:155], v2 offset:1312
	scratch_load_b128 v[156:159], off, off offset:720
	v_add_f64_e32 v[164:165], v[164:165], v[166:167]
	v_add_f64_e32 v[162:163], v[174:175], v[172:173]
	v_fmac_f64_e32 v[168:169], v[6:7], v[140:141]
	v_fma_f64 v[172:173], v[4:5], v[140:141], -v[142:143]
	ds_load_b128 v[4:7], v2 offset:1328
	s_wait_loadcnt_dscnt 0xa01
	v_mul_f64_e32 v[166:167], v[152:153], v[10:11]
	v_mul_f64_e32 v[10:11], v[154:155], v[10:11]
	scratch_load_b128 v[140:143], off, off offset:736
	v_add_f64_e32 v[164:165], v[164:165], v[170:171]
	s_wait_loadcnt_dscnt 0xa00
	v_mul_f64_e32 v[170:171], v[4:5], v[14:15]
	v_add_f64_e32 v[174:175], v[162:163], v[160:161]
	v_mul_f64_e32 v[14:15], v[6:7], v[14:15]
	ds_load_b128 v[160:163], v2 offset:1344
	v_fmac_f64_e32 v[166:167], v[154:155], v[8:9]
	v_fma_f64 v[8:9], v[152:153], v[8:9], -v[10:11]
	s_wait_loadcnt_dscnt 0x900
	v_mul_f64_e32 v[154:155], v[160:161], v[18:19]
	v_mul_f64_e32 v[18:19], v[162:163], v[18:19]
	v_add_f64_e32 v[152:153], v[164:165], v[168:169]
	v_fmac_f64_e32 v[170:171], v[6:7], v[12:13]
	v_add_f64_e32 v[10:11], v[174:175], v[172:173]
	v_fma_f64 v[12:13], v[4:5], v[12:13], -v[14:15]
	v_fmac_f64_e32 v[154:155], v[162:163], v[16:17]
	v_fma_f64 v[16:17], v[160:161], v[16:17], -v[18:19]
	v_add_f64_e32 v[152:153], v[152:153], v[166:167]
	v_add_f64_e32 v[14:15], v[10:11], v[8:9]
	ds_load_b128 v[4:7], v2 offset:1360
	ds_load_b128 v[8:11], v2 offset:1376
	s_wait_loadcnt_dscnt 0x801
	v_mul_f64_e32 v[164:165], v[4:5], v[22:23]
	v_mul_f64_e32 v[22:23], v[6:7], v[22:23]
	s_wait_loadcnt_dscnt 0x700
	v_mul_f64_e32 v[18:19], v[8:9], v[26:27]
	v_mul_f64_e32 v[26:27], v[10:11], v[26:27]
	v_add_f64_e32 v[12:13], v[14:15], v[12:13]
	v_add_f64_e32 v[14:15], v[152:153], v[170:171]
	v_fmac_f64_e32 v[164:165], v[6:7], v[20:21]
	v_fma_f64 v[20:21], v[4:5], v[20:21], -v[22:23]
	v_fmac_f64_e32 v[18:19], v[10:11], v[24:25]
	v_fma_f64 v[8:9], v[8:9], v[24:25], -v[26:27]
	v_add_f64_e32 v[16:17], v[12:13], v[16:17]
	v_add_f64_e32 v[22:23], v[14:15], v[154:155]
	ds_load_b128 v[4:7], v2 offset:1392
	ds_load_b128 v[12:15], v2 offset:1408
	s_wait_loadcnt_dscnt 0x601
	v_mul_f64_e32 v[152:153], v[4:5], v[30:31]
	v_mul_f64_e32 v[30:31], v[6:7], v[30:31]
	v_add_f64_e32 v[10:11], v[16:17], v[20:21]
	v_add_f64_e32 v[16:17], v[22:23], v[164:165]
	s_wait_loadcnt_dscnt 0x500
	v_mul_f64_e32 v[20:21], v[12:13], v[130:131]
	v_mul_f64_e32 v[22:23], v[14:15], v[130:131]
	v_fmac_f64_e32 v[152:153], v[6:7], v[28:29]
	v_fma_f64 v[24:25], v[4:5], v[28:29], -v[30:31]
	v_add_f64_e32 v[26:27], v[10:11], v[8:9]
	v_add_f64_e32 v[16:17], v[16:17], v[18:19]
	ds_load_b128 v[4:7], v2 offset:1424
	ds_load_b128 v[8:11], v2 offset:1440
	v_fmac_f64_e32 v[20:21], v[14:15], v[128:129]
	v_fma_f64 v[12:13], v[12:13], v[128:129], -v[22:23]
	s_wait_loadcnt_dscnt 0x401
	v_mul_f64_e32 v[18:19], v[4:5], v[134:135]
	v_mul_f64_e32 v[28:29], v[6:7], v[134:135]
	s_wait_loadcnt_dscnt 0x300
	v_mul_f64_e32 v[22:23], v[8:9], v[138:139]
	v_add_f64_e32 v[14:15], v[26:27], v[24:25]
	v_add_f64_e32 v[16:17], v[16:17], v[152:153]
	v_mul_f64_e32 v[24:25], v[10:11], v[138:139]
	v_fmac_f64_e32 v[18:19], v[6:7], v[132:133]
	v_fma_f64 v[26:27], v[4:5], v[132:133], -v[28:29]
	v_fmac_f64_e32 v[22:23], v[10:11], v[136:137]
	v_add_f64_e32 v[28:29], v[14:15], v[12:13]
	v_add_f64_e32 v[16:17], v[16:17], v[20:21]
	ds_load_b128 v[4:7], v2 offset:1456
	ds_load_b128 v[12:15], v2 offset:1472
	v_fma_f64 v[8:9], v[8:9], v[136:137], -v[24:25]
	s_wait_loadcnt_dscnt 0x201
	v_mul_f64_e32 v[20:21], v[4:5], v[146:147]
	v_mul_f64_e32 v[30:31], v[6:7], v[146:147]
	s_wait_loadcnt_dscnt 0x100
	v_mul_f64_e32 v[24:25], v[14:15], v[158:159]
	v_add_f64_e32 v[10:11], v[28:29], v[26:27]
	v_add_f64_e32 v[16:17], v[16:17], v[18:19]
	v_mul_f64_e32 v[18:19], v[12:13], v[158:159]
	v_fmac_f64_e32 v[20:21], v[6:7], v[144:145]
	v_fma_f64 v[26:27], v[4:5], v[144:145], -v[30:31]
	ds_load_b128 v[4:7], v2 offset:1488
	v_fma_f64 v[12:13], v[12:13], v[156:157], -v[24:25]
	v_add_f64_e32 v[8:9], v[10:11], v[8:9]
	v_add_f64_e32 v[10:11], v[16:17], v[22:23]
	v_fmac_f64_e32 v[18:19], v[14:15], v[156:157]
	s_wait_loadcnt_dscnt 0x0
	v_mul_f64_e32 v[16:17], v[4:5], v[142:143]
	v_mul_f64_e32 v[22:23], v[6:7], v[142:143]
	v_add_f64_e32 v[8:9], v[8:9], v[26:27]
	v_add_f64_e32 v[10:11], v[10:11], v[20:21]
	s_delay_alu instid0(VALU_DEP_4) | instskip(NEXT) | instid1(VALU_DEP_4)
	v_fmac_f64_e32 v[16:17], v[6:7], v[140:141]
	v_fma_f64 v[4:5], v[4:5], v[140:141], -v[22:23]
	s_delay_alu instid0(VALU_DEP_4) | instskip(NEXT) | instid1(VALU_DEP_4)
	v_add_f64_e32 v[6:7], v[8:9], v[12:13]
	v_add_f64_e32 v[8:9], v[10:11], v[18:19]
	s_delay_alu instid0(VALU_DEP_2) | instskip(NEXT) | instid1(VALU_DEP_2)
	v_add_f64_e32 v[4:5], v[6:7], v[4:5]
	v_add_f64_e32 v[6:7], v[8:9], v[16:17]
	s_delay_alu instid0(VALU_DEP_2) | instskip(NEXT) | instid1(VALU_DEP_2)
	v_add_f64_e64 v[4:5], v[148:149], -v[4:5]
	v_add_f64_e64 v[6:7], v[150:151], -v[6:7]
	scratch_store_b128 off, v[4:7], off offset:336
	s_wait_xcnt 0x0
	v_cmpx_lt_u32_e32 20, v1
	s_cbranch_execz .LBB46_255
; %bb.254:
	scratch_load_b128 v[6:9], off, s46
	v_dual_mov_b32 v3, v2 :: v_dual_mov_b32 v4, v2
	v_mov_b32_e32 v5, v2
	scratch_store_b128 off, v[2:5], off offset:320
	s_wait_loadcnt 0x0
	ds_store_b128 v126, v[6:9]
.LBB46_255:
	s_wait_xcnt 0x0
	s_or_b32 exec_lo, exec_lo, s2
	s_wait_storecnt_dscnt 0x0
	s_barrier_signal -1
	s_barrier_wait -1
	s_clause 0x9
	scratch_load_b128 v[4:7], off, off offset:336
	scratch_load_b128 v[8:11], off, off offset:352
	;; [unrolled: 1-line block ×10, first 2 shown]
	ds_load_b128 v[140:143], v2 offset:1088
	ds_load_b128 v[148:151], v2 offset:1104
	s_clause 0x2
	scratch_load_b128 v[144:147], off, off offset:496
	scratch_load_b128 v[152:155], off, off offset:320
	scratch_load_b128 v[156:159], off, off offset:512
	s_mov_b32 s2, exec_lo
	s_wait_loadcnt_dscnt 0xc01
	v_mul_f64_e32 v[160:161], v[142:143], v[6:7]
	v_mul_f64_e32 v[164:165], v[140:141], v[6:7]
	s_wait_loadcnt_dscnt 0xb00
	v_mul_f64_e32 v[166:167], v[148:149], v[10:11]
	v_mul_f64_e32 v[10:11], v[150:151], v[10:11]
	s_delay_alu instid0(VALU_DEP_4) | instskip(NEXT) | instid1(VALU_DEP_4)
	v_fma_f64 v[168:169], v[140:141], v[4:5], -v[160:161]
	v_fmac_f64_e32 v[164:165], v[142:143], v[4:5]
	ds_load_b128 v[4:7], v2 offset:1120
	ds_load_b128 v[140:143], v2 offset:1136
	scratch_load_b128 v[160:163], off, off offset:528
	v_fmac_f64_e32 v[166:167], v[150:151], v[8:9]
	v_fma_f64 v[148:149], v[148:149], v[8:9], -v[10:11]
	scratch_load_b128 v[8:11], off, off offset:544
	s_wait_loadcnt_dscnt 0xc01
	v_mul_f64_e32 v[170:171], v[4:5], v[14:15]
	v_mul_f64_e32 v[14:15], v[6:7], v[14:15]
	v_add_f64_e32 v[150:151], 0, v[168:169]
	v_add_f64_e32 v[164:165], 0, v[164:165]
	s_wait_loadcnt_dscnt 0xb00
	v_mul_f64_e32 v[168:169], v[140:141], v[18:19]
	v_mul_f64_e32 v[18:19], v[142:143], v[18:19]
	v_fmac_f64_e32 v[170:171], v[6:7], v[12:13]
	v_fma_f64 v[172:173], v[4:5], v[12:13], -v[14:15]
	ds_load_b128 v[4:7], v2 offset:1152
	ds_load_b128 v[12:15], v2 offset:1168
	v_add_f64_e32 v[174:175], v[150:151], v[148:149]
	v_add_f64_e32 v[164:165], v[164:165], v[166:167]
	scratch_load_b128 v[148:151], off, off offset:560
	v_fmac_f64_e32 v[168:169], v[142:143], v[16:17]
	v_fma_f64 v[140:141], v[140:141], v[16:17], -v[18:19]
	scratch_load_b128 v[16:19], off, off offset:576
	s_wait_loadcnt_dscnt 0xc01
	v_mul_f64_e32 v[166:167], v[4:5], v[22:23]
	v_mul_f64_e32 v[22:23], v[6:7], v[22:23]
	v_add_f64_e32 v[142:143], v[174:175], v[172:173]
	v_add_f64_e32 v[164:165], v[164:165], v[170:171]
	s_wait_loadcnt_dscnt 0xb00
	v_mul_f64_e32 v[170:171], v[12:13], v[26:27]
	v_mul_f64_e32 v[26:27], v[14:15], v[26:27]
	v_fmac_f64_e32 v[166:167], v[6:7], v[20:21]
	v_fma_f64 v[172:173], v[4:5], v[20:21], -v[22:23]
	ds_load_b128 v[4:7], v2 offset:1184
	ds_load_b128 v[20:23], v2 offset:1200
	v_add_f64_e32 v[174:175], v[142:143], v[140:141]
	v_add_f64_e32 v[164:165], v[164:165], v[168:169]
	scratch_load_b128 v[140:143], off, off offset:592
	s_wait_loadcnt_dscnt 0xb01
	v_mul_f64_e32 v[168:169], v[4:5], v[30:31]
	v_mul_f64_e32 v[30:31], v[6:7], v[30:31]
	v_fmac_f64_e32 v[170:171], v[14:15], v[24:25]
	v_fma_f64 v[24:25], v[12:13], v[24:25], -v[26:27]
	scratch_load_b128 v[12:15], off, off offset:608
	v_add_f64_e32 v[26:27], v[174:175], v[172:173]
	v_add_f64_e32 v[164:165], v[164:165], v[166:167]
	s_wait_loadcnt_dscnt 0xb00
	v_mul_f64_e32 v[166:167], v[20:21], v[130:131]
	v_mul_f64_e32 v[130:131], v[22:23], v[130:131]
	v_fmac_f64_e32 v[168:169], v[6:7], v[28:29]
	v_fma_f64 v[172:173], v[4:5], v[28:29], -v[30:31]
	v_add_f64_e32 v[174:175], v[26:27], v[24:25]
	v_add_f64_e32 v[164:165], v[164:165], v[170:171]
	ds_load_b128 v[4:7], v2 offset:1216
	ds_load_b128 v[24:27], v2 offset:1232
	scratch_load_b128 v[28:31], off, off offset:624
	v_fmac_f64_e32 v[166:167], v[22:23], v[128:129]
	v_fma_f64 v[128:129], v[20:21], v[128:129], -v[130:131]
	scratch_load_b128 v[20:23], off, off offset:640
	s_wait_loadcnt_dscnt 0xc01
	v_mul_f64_e32 v[170:171], v[4:5], v[134:135]
	v_mul_f64_e32 v[134:135], v[6:7], v[134:135]
	v_add_f64_e32 v[130:131], v[174:175], v[172:173]
	v_add_f64_e32 v[164:165], v[164:165], v[168:169]
	s_wait_loadcnt_dscnt 0xb00
	v_mul_f64_e32 v[168:169], v[24:25], v[138:139]
	v_mul_f64_e32 v[138:139], v[26:27], v[138:139]
	v_fmac_f64_e32 v[170:171], v[6:7], v[132:133]
	v_fma_f64 v[172:173], v[4:5], v[132:133], -v[134:135]
	v_add_f64_e32 v[174:175], v[130:131], v[128:129]
	v_add_f64_e32 v[164:165], v[164:165], v[166:167]
	ds_load_b128 v[4:7], v2 offset:1248
	ds_load_b128 v[128:131], v2 offset:1264
	scratch_load_b128 v[132:135], off, off offset:656
	v_fmac_f64_e32 v[168:169], v[26:27], v[136:137]
	v_fma_f64 v[136:137], v[24:25], v[136:137], -v[138:139]
	scratch_load_b128 v[24:27], off, off offset:672
	s_wait_loadcnt_dscnt 0xc01
	v_mul_f64_e32 v[166:167], v[4:5], v[146:147]
	v_mul_f64_e32 v[146:147], v[6:7], v[146:147]
	;; [unrolled: 18-line block ×4, first 2 shown]
	v_add_f64_e32 v[138:139], v[174:175], v[172:173]
	v_add_f64_e32 v[164:165], v[164:165], v[168:169]
	s_wait_loadcnt_dscnt 0xa00
	v_mul_f64_e32 v[168:169], v[156:157], v[18:19]
	v_mul_f64_e32 v[18:19], v[158:159], v[18:19]
	v_fmac_f64_e32 v[170:171], v[6:7], v[148:149]
	v_fma_f64 v[148:149], v[4:5], v[148:149], -v[150:151]
	v_add_f64_e32 v[150:151], v[138:139], v[136:137]
	v_add_f64_e32 v[164:165], v[164:165], v[166:167]
	ds_load_b128 v[4:7], v2 offset:1344
	ds_load_b128 v[136:139], v2 offset:1360
	v_fmac_f64_e32 v[168:169], v[158:159], v[16:17]
	v_fma_f64 v[16:17], v[156:157], v[16:17], -v[18:19]
	s_wait_loadcnt_dscnt 0x901
	v_mul_f64_e32 v[166:167], v[4:5], v[142:143]
	v_mul_f64_e32 v[142:143], v[6:7], v[142:143]
	s_wait_loadcnt_dscnt 0x800
	v_mul_f64_e32 v[156:157], v[138:139], v[14:15]
	v_add_f64_e32 v[18:19], v[150:151], v[148:149]
	v_add_f64_e32 v[148:149], v[164:165], v[170:171]
	v_mul_f64_e32 v[150:151], v[136:137], v[14:15]
	v_fmac_f64_e32 v[166:167], v[6:7], v[140:141]
	v_fma_f64 v[140:141], v[4:5], v[140:141], -v[142:143]
	v_add_f64_e32 v[18:19], v[18:19], v[16:17]
	v_add_f64_e32 v[142:143], v[148:149], v[168:169]
	ds_load_b128 v[4:7], v2 offset:1376
	ds_load_b128 v[14:17], v2 offset:1392
	v_fmac_f64_e32 v[150:151], v[138:139], v[12:13]
	v_fma_f64 v[12:13], v[136:137], v[12:13], -v[156:157]
	s_wait_loadcnt_dscnt 0x701
	v_mul_f64_e32 v[148:149], v[4:5], v[30:31]
	v_mul_f64_e32 v[30:31], v[6:7], v[30:31]
	s_wait_loadcnt_dscnt 0x600
	v_mul_f64_e32 v[138:139], v[14:15], v[22:23]
	v_mul_f64_e32 v[22:23], v[16:17], v[22:23]
	v_add_f64_e32 v[18:19], v[18:19], v[140:141]
	v_add_f64_e32 v[136:137], v[142:143], v[166:167]
	v_fmac_f64_e32 v[148:149], v[6:7], v[28:29]
	v_fma_f64 v[140:141], v[4:5], v[28:29], -v[30:31]
	ds_load_b128 v[4:7], v2 offset:1408
	ds_load_b128 v[28:31], v2 offset:1424
	v_fmac_f64_e32 v[138:139], v[16:17], v[20:21]
	v_fma_f64 v[14:15], v[14:15], v[20:21], -v[22:23]
	v_add_f64_e32 v[12:13], v[18:19], v[12:13]
	v_add_f64_e32 v[18:19], v[136:137], v[150:151]
	s_wait_loadcnt_dscnt 0x501
	v_mul_f64_e32 v[136:137], v[4:5], v[134:135]
	v_mul_f64_e32 v[134:135], v[6:7], v[134:135]
	s_wait_loadcnt_dscnt 0x400
	v_mul_f64_e32 v[20:21], v[30:31], v[26:27]
	v_add_f64_e32 v[12:13], v[12:13], v[140:141]
	v_add_f64_e32 v[16:17], v[18:19], v[148:149]
	v_mul_f64_e32 v[18:19], v[28:29], v[26:27]
	v_fmac_f64_e32 v[136:137], v[6:7], v[132:133]
	v_fma_f64 v[22:23], v[4:5], v[132:133], -v[134:135]
	v_fma_f64 v[20:21], v[28:29], v[24:25], -v[20:21]
	v_add_f64_e32 v[26:27], v[12:13], v[14:15]
	v_add_f64_e32 v[16:17], v[16:17], v[138:139]
	ds_load_b128 v[4:7], v2 offset:1440
	ds_load_b128 v[12:15], v2 offset:1456
	v_fmac_f64_e32 v[18:19], v[30:31], v[24:25]
	s_wait_loadcnt_dscnt 0x301
	v_mul_f64_e32 v[132:133], v[4:5], v[146:147]
	v_mul_f64_e32 v[134:135], v[6:7], v[146:147]
	s_wait_loadcnt_dscnt 0x200
	v_mul_f64_e32 v[24:25], v[12:13], v[130:131]
	v_add_f64_e32 v[22:23], v[26:27], v[22:23]
	v_add_f64_e32 v[16:17], v[16:17], v[136:137]
	v_mul_f64_e32 v[26:27], v[14:15], v[130:131]
	v_fmac_f64_e32 v[132:133], v[6:7], v[144:145]
	v_fma_f64 v[28:29], v[4:5], v[144:145], -v[134:135]
	v_fmac_f64_e32 v[24:25], v[14:15], v[128:129]
	v_add_f64_e32 v[20:21], v[22:23], v[20:21]
	v_add_f64_e32 v[22:23], v[16:17], v[18:19]
	ds_load_b128 v[4:7], v2 offset:1472
	ds_load_b128 v[16:19], v2 offset:1488
	v_fma_f64 v[12:13], v[12:13], v[128:129], -v[26:27]
	s_wait_loadcnt_dscnt 0x101
	v_mul_f64_e32 v[2:3], v[4:5], v[162:163]
	v_mul_f64_e32 v[30:31], v[6:7], v[162:163]
	v_add_f64_e32 v[14:15], v[20:21], v[28:29]
	v_add_f64_e32 v[20:21], v[22:23], v[132:133]
	s_wait_loadcnt_dscnt 0x0
	v_mul_f64_e32 v[22:23], v[16:17], v[10:11]
	v_mul_f64_e32 v[10:11], v[18:19], v[10:11]
	v_fmac_f64_e32 v[2:3], v[6:7], v[160:161]
	v_fma_f64 v[4:5], v[4:5], v[160:161], -v[30:31]
	v_add_f64_e32 v[6:7], v[14:15], v[12:13]
	v_add_f64_e32 v[12:13], v[20:21], v[24:25]
	v_fmac_f64_e32 v[22:23], v[18:19], v[8:9]
	v_fma_f64 v[8:9], v[16:17], v[8:9], -v[10:11]
	s_delay_alu instid0(VALU_DEP_4) | instskip(NEXT) | instid1(VALU_DEP_4)
	v_add_f64_e32 v[4:5], v[6:7], v[4:5]
	v_add_f64_e32 v[2:3], v[12:13], v[2:3]
	s_delay_alu instid0(VALU_DEP_2) | instskip(NEXT) | instid1(VALU_DEP_2)
	v_add_f64_e32 v[4:5], v[4:5], v[8:9]
	v_add_f64_e32 v[6:7], v[2:3], v[22:23]
	s_delay_alu instid0(VALU_DEP_2) | instskip(NEXT) | instid1(VALU_DEP_2)
	v_add_f64_e64 v[2:3], v[152:153], -v[4:5]
	v_add_f64_e64 v[4:5], v[154:155], -v[6:7]
	scratch_store_b128 off, v[2:5], off offset:320
	s_wait_xcnt 0x0
	v_cmpx_lt_u32_e32 19, v1
	s_cbranch_execz .LBB46_257
; %bb.256:
	scratch_load_b128 v[2:5], off, s45
	v_mov_b32_e32 v6, 0
	s_delay_alu instid0(VALU_DEP_1)
	v_dual_mov_b32 v7, v6 :: v_dual_mov_b32 v8, v6
	v_mov_b32_e32 v9, v6
	scratch_store_b128 off, v[6:9], off offset:304
	s_wait_loadcnt 0x0
	ds_store_b128 v126, v[2:5]
.LBB46_257:
	s_wait_xcnt 0x0
	s_or_b32 exec_lo, exec_lo, s2
	s_wait_storecnt_dscnt 0x0
	s_barrier_signal -1
	s_barrier_wait -1
	s_clause 0x9
	scratch_load_b128 v[4:7], off, off offset:320
	scratch_load_b128 v[8:11], off, off offset:336
	scratch_load_b128 v[12:15], off, off offset:352
	scratch_load_b128 v[16:19], off, off offset:368
	scratch_load_b128 v[20:23], off, off offset:384
	scratch_load_b128 v[24:27], off, off offset:400
	scratch_load_b128 v[28:31], off, off offset:416
	scratch_load_b128 v[128:131], off, off offset:432
	scratch_load_b128 v[132:135], off, off offset:448
	scratch_load_b128 v[136:139], off, off offset:464
	v_mov_b32_e32 v2, 0
	s_mov_b32 s2, exec_lo
	ds_load_b128 v[140:143], v2 offset:1072
	s_clause 0x2
	scratch_load_b128 v[144:147], off, off offset:480
	scratch_load_b128 v[148:151], off, off offset:304
	;; [unrolled: 1-line block ×3, first 2 shown]
	s_wait_loadcnt_dscnt 0xc00
	v_mul_f64_e32 v[160:161], v[142:143], v[6:7]
	v_mul_f64_e32 v[164:165], v[140:141], v[6:7]
	ds_load_b128 v[152:155], v2 offset:1088
	v_fma_f64 v[168:169], v[140:141], v[4:5], -v[160:161]
	v_fmac_f64_e32 v[164:165], v[142:143], v[4:5]
	ds_load_b128 v[4:7], v2 offset:1104
	s_wait_loadcnt_dscnt 0xb01
	v_mul_f64_e32 v[166:167], v[152:153], v[10:11]
	v_mul_f64_e32 v[10:11], v[154:155], v[10:11]
	scratch_load_b128 v[140:143], off, off offset:512
	ds_load_b128 v[160:163], v2 offset:1120
	s_wait_loadcnt_dscnt 0xb01
	v_mul_f64_e32 v[170:171], v[4:5], v[14:15]
	v_mul_f64_e32 v[14:15], v[6:7], v[14:15]
	v_add_f64_e32 v[164:165], 0, v[164:165]
	v_fmac_f64_e32 v[166:167], v[154:155], v[8:9]
	v_fma_f64 v[152:153], v[152:153], v[8:9], -v[10:11]
	v_add_f64_e32 v[154:155], 0, v[168:169]
	scratch_load_b128 v[8:11], off, off offset:528
	v_fmac_f64_e32 v[170:171], v[6:7], v[12:13]
	v_fma_f64 v[172:173], v[4:5], v[12:13], -v[14:15]
	ds_load_b128 v[4:7], v2 offset:1136
	s_wait_loadcnt_dscnt 0xb01
	v_mul_f64_e32 v[168:169], v[160:161], v[18:19]
	v_mul_f64_e32 v[18:19], v[162:163], v[18:19]
	scratch_load_b128 v[12:15], off, off offset:544
	v_add_f64_e32 v[164:165], v[164:165], v[166:167]
	v_add_f64_e32 v[174:175], v[154:155], v[152:153]
	ds_load_b128 v[152:155], v2 offset:1152
	s_wait_loadcnt_dscnt 0xb01
	v_mul_f64_e32 v[166:167], v[4:5], v[22:23]
	v_mul_f64_e32 v[22:23], v[6:7], v[22:23]
	v_fmac_f64_e32 v[168:169], v[162:163], v[16:17]
	v_fma_f64 v[160:161], v[160:161], v[16:17], -v[18:19]
	scratch_load_b128 v[16:19], off, off offset:560
	v_add_f64_e32 v[164:165], v[164:165], v[170:171]
	v_add_f64_e32 v[162:163], v[174:175], v[172:173]
	v_fmac_f64_e32 v[166:167], v[6:7], v[20:21]
	v_fma_f64 v[172:173], v[4:5], v[20:21], -v[22:23]
	ds_load_b128 v[4:7], v2 offset:1168
	s_wait_loadcnt_dscnt 0xb01
	v_mul_f64_e32 v[170:171], v[152:153], v[26:27]
	v_mul_f64_e32 v[26:27], v[154:155], v[26:27]
	scratch_load_b128 v[20:23], off, off offset:576
	v_add_f64_e32 v[164:165], v[164:165], v[168:169]
	s_wait_loadcnt_dscnt 0xb00
	v_mul_f64_e32 v[168:169], v[4:5], v[30:31]
	v_add_f64_e32 v[174:175], v[162:163], v[160:161]
	v_mul_f64_e32 v[30:31], v[6:7], v[30:31]
	ds_load_b128 v[160:163], v2 offset:1184
	v_fmac_f64_e32 v[170:171], v[154:155], v[24:25]
	v_fma_f64 v[152:153], v[152:153], v[24:25], -v[26:27]
	scratch_load_b128 v[24:27], off, off offset:592
	v_add_f64_e32 v[164:165], v[164:165], v[166:167]
	v_fmac_f64_e32 v[168:169], v[6:7], v[28:29]
	v_add_f64_e32 v[154:155], v[174:175], v[172:173]
	v_fma_f64 v[172:173], v[4:5], v[28:29], -v[30:31]
	ds_load_b128 v[4:7], v2 offset:1200
	s_wait_loadcnt_dscnt 0xb01
	v_mul_f64_e32 v[166:167], v[160:161], v[130:131]
	v_mul_f64_e32 v[130:131], v[162:163], v[130:131]
	scratch_load_b128 v[28:31], off, off offset:608
	v_add_f64_e32 v[164:165], v[164:165], v[170:171]
	s_wait_loadcnt_dscnt 0xb00
	v_mul_f64_e32 v[170:171], v[4:5], v[134:135]
	v_add_f64_e32 v[174:175], v[154:155], v[152:153]
	v_mul_f64_e32 v[134:135], v[6:7], v[134:135]
	ds_load_b128 v[152:155], v2 offset:1216
	v_fmac_f64_e32 v[166:167], v[162:163], v[128:129]
	v_fma_f64 v[160:161], v[160:161], v[128:129], -v[130:131]
	scratch_load_b128 v[128:131], off, off offset:624
	v_add_f64_e32 v[164:165], v[164:165], v[168:169]
	v_fmac_f64_e32 v[170:171], v[6:7], v[132:133]
	v_add_f64_e32 v[162:163], v[174:175], v[172:173]
	;; [unrolled: 18-line block ×3, first 2 shown]
	v_fma_f64 v[172:173], v[4:5], v[144:145], -v[146:147]
	ds_load_b128 v[4:7], v2 offset:1264
	s_wait_loadcnt_dscnt 0xa01
	v_mul_f64_e32 v[170:171], v[160:161], v[158:159]
	v_mul_f64_e32 v[158:159], v[162:163], v[158:159]
	scratch_load_b128 v[144:147], off, off offset:672
	v_add_f64_e32 v[164:165], v[164:165], v[168:169]
	v_add_f64_e32 v[174:175], v[154:155], v[152:153]
	s_wait_loadcnt_dscnt 0xa00
	v_mul_f64_e32 v[168:169], v[4:5], v[142:143]
	v_mul_f64_e32 v[142:143], v[6:7], v[142:143]
	v_fmac_f64_e32 v[170:171], v[162:163], v[156:157]
	v_fma_f64 v[160:161], v[160:161], v[156:157], -v[158:159]
	ds_load_b128 v[152:155], v2 offset:1280
	scratch_load_b128 v[156:159], off, off offset:688
	v_add_f64_e32 v[164:165], v[164:165], v[166:167]
	v_add_f64_e32 v[162:163], v[174:175], v[172:173]
	v_fmac_f64_e32 v[168:169], v[6:7], v[140:141]
	v_fma_f64 v[172:173], v[4:5], v[140:141], -v[142:143]
	ds_load_b128 v[4:7], v2 offset:1296
	s_wait_loadcnt_dscnt 0xa01
	v_mul_f64_e32 v[166:167], v[152:153], v[10:11]
	v_mul_f64_e32 v[10:11], v[154:155], v[10:11]
	scratch_load_b128 v[140:143], off, off offset:704
	v_add_f64_e32 v[164:165], v[164:165], v[170:171]
	s_wait_loadcnt_dscnt 0xa00
	v_mul_f64_e32 v[170:171], v[4:5], v[14:15]
	v_add_f64_e32 v[174:175], v[162:163], v[160:161]
	v_mul_f64_e32 v[14:15], v[6:7], v[14:15]
	ds_load_b128 v[160:163], v2 offset:1312
	v_fmac_f64_e32 v[166:167], v[154:155], v[8:9]
	v_fma_f64 v[152:153], v[152:153], v[8:9], -v[10:11]
	scratch_load_b128 v[8:11], off, off offset:720
	v_add_f64_e32 v[164:165], v[164:165], v[168:169]
	v_fmac_f64_e32 v[170:171], v[6:7], v[12:13]
	v_add_f64_e32 v[154:155], v[174:175], v[172:173]
	v_fma_f64 v[172:173], v[4:5], v[12:13], -v[14:15]
	ds_load_b128 v[4:7], v2 offset:1328
	s_wait_loadcnt_dscnt 0xa01
	v_mul_f64_e32 v[168:169], v[160:161], v[18:19]
	v_mul_f64_e32 v[18:19], v[162:163], v[18:19]
	scratch_load_b128 v[12:15], off, off offset:736
	v_add_f64_e32 v[164:165], v[164:165], v[166:167]
	s_wait_loadcnt_dscnt 0xa00
	v_mul_f64_e32 v[166:167], v[4:5], v[22:23]
	v_add_f64_e32 v[174:175], v[154:155], v[152:153]
	v_mul_f64_e32 v[22:23], v[6:7], v[22:23]
	ds_load_b128 v[152:155], v2 offset:1344
	v_fmac_f64_e32 v[168:169], v[162:163], v[16:17]
	v_fma_f64 v[16:17], v[160:161], v[16:17], -v[18:19]
	s_wait_loadcnt_dscnt 0x900
	v_mul_f64_e32 v[162:163], v[152:153], v[26:27]
	v_mul_f64_e32 v[26:27], v[154:155], v[26:27]
	v_add_f64_e32 v[160:161], v[164:165], v[170:171]
	v_fmac_f64_e32 v[166:167], v[6:7], v[20:21]
	v_add_f64_e32 v[18:19], v[174:175], v[172:173]
	v_fma_f64 v[20:21], v[4:5], v[20:21], -v[22:23]
	v_fmac_f64_e32 v[162:163], v[154:155], v[24:25]
	v_fma_f64 v[24:25], v[152:153], v[24:25], -v[26:27]
	v_add_f64_e32 v[160:161], v[160:161], v[168:169]
	v_add_f64_e32 v[22:23], v[18:19], v[16:17]
	ds_load_b128 v[4:7], v2 offset:1360
	ds_load_b128 v[16:19], v2 offset:1376
	s_wait_loadcnt_dscnt 0x801
	v_mul_f64_e32 v[164:165], v[4:5], v[30:31]
	v_mul_f64_e32 v[30:31], v[6:7], v[30:31]
	s_wait_loadcnt_dscnt 0x700
	v_mul_f64_e32 v[26:27], v[16:17], v[130:131]
	v_mul_f64_e32 v[130:131], v[18:19], v[130:131]
	v_add_f64_e32 v[20:21], v[22:23], v[20:21]
	v_add_f64_e32 v[22:23], v[160:161], v[166:167]
	v_fmac_f64_e32 v[164:165], v[6:7], v[28:29]
	v_fma_f64 v[28:29], v[4:5], v[28:29], -v[30:31]
	v_fmac_f64_e32 v[26:27], v[18:19], v[128:129]
	v_fma_f64 v[16:17], v[16:17], v[128:129], -v[130:131]
	v_add_f64_e32 v[24:25], v[20:21], v[24:25]
	v_add_f64_e32 v[30:31], v[22:23], v[162:163]
	ds_load_b128 v[4:7], v2 offset:1392
	ds_load_b128 v[20:23], v2 offset:1408
	s_wait_loadcnt_dscnt 0x601
	v_mul_f64_e32 v[152:153], v[4:5], v[134:135]
	v_mul_f64_e32 v[134:135], v[6:7], v[134:135]
	v_add_f64_e32 v[18:19], v[24:25], v[28:29]
	v_add_f64_e32 v[24:25], v[30:31], v[164:165]
	s_wait_loadcnt_dscnt 0x500
	v_mul_f64_e32 v[28:29], v[20:21], v[138:139]
	v_mul_f64_e32 v[30:31], v[22:23], v[138:139]
	v_fmac_f64_e32 v[152:153], v[6:7], v[132:133]
	v_fma_f64 v[128:129], v[4:5], v[132:133], -v[134:135]
	v_add_f64_e32 v[130:131], v[18:19], v[16:17]
	v_add_f64_e32 v[24:25], v[24:25], v[26:27]
	ds_load_b128 v[4:7], v2 offset:1424
	ds_load_b128 v[16:19], v2 offset:1440
	v_fmac_f64_e32 v[28:29], v[22:23], v[136:137]
	v_fma_f64 v[20:21], v[20:21], v[136:137], -v[30:31]
	s_wait_loadcnt_dscnt 0x401
	v_mul_f64_e32 v[26:27], v[4:5], v[146:147]
	v_mul_f64_e32 v[132:133], v[6:7], v[146:147]
	s_wait_loadcnt_dscnt 0x300
	v_mul_f64_e32 v[30:31], v[16:17], v[158:159]
	v_add_f64_e32 v[22:23], v[130:131], v[128:129]
	v_add_f64_e32 v[24:25], v[24:25], v[152:153]
	v_mul_f64_e32 v[128:129], v[18:19], v[158:159]
	v_fmac_f64_e32 v[26:27], v[6:7], v[144:145]
	v_fma_f64 v[130:131], v[4:5], v[144:145], -v[132:133]
	v_fmac_f64_e32 v[30:31], v[18:19], v[156:157]
	v_add_f64_e32 v[132:133], v[22:23], v[20:21]
	v_add_f64_e32 v[24:25], v[24:25], v[28:29]
	ds_load_b128 v[4:7], v2 offset:1456
	ds_load_b128 v[20:23], v2 offset:1472
	v_fma_f64 v[16:17], v[16:17], v[156:157], -v[128:129]
	s_wait_loadcnt_dscnt 0x201
	v_mul_f64_e32 v[28:29], v[4:5], v[142:143]
	v_mul_f64_e32 v[134:135], v[6:7], v[142:143]
	v_add_f64_e32 v[18:19], v[132:133], v[130:131]
	v_add_f64_e32 v[24:25], v[24:25], v[26:27]
	s_wait_loadcnt_dscnt 0x100
	v_mul_f64_e32 v[26:27], v[20:21], v[10:11]
	v_mul_f64_e32 v[10:11], v[22:23], v[10:11]
	v_fmac_f64_e32 v[28:29], v[6:7], v[140:141]
	v_fma_f64 v[128:129], v[4:5], v[140:141], -v[134:135]
	ds_load_b128 v[4:7], v2 offset:1488
	v_add_f64_e32 v[16:17], v[18:19], v[16:17]
	v_add_f64_e32 v[18:19], v[24:25], v[30:31]
	v_fmac_f64_e32 v[26:27], v[22:23], v[8:9]
	v_fma_f64 v[8:9], v[20:21], v[8:9], -v[10:11]
	s_wait_loadcnt_dscnt 0x0
	v_mul_f64_e32 v[24:25], v[4:5], v[14:15]
	v_mul_f64_e32 v[14:15], v[6:7], v[14:15]
	v_add_f64_e32 v[10:11], v[16:17], v[128:129]
	v_add_f64_e32 v[16:17], v[18:19], v[28:29]
	s_delay_alu instid0(VALU_DEP_4) | instskip(NEXT) | instid1(VALU_DEP_4)
	v_fmac_f64_e32 v[24:25], v[6:7], v[12:13]
	v_fma_f64 v[4:5], v[4:5], v[12:13], -v[14:15]
	s_delay_alu instid0(VALU_DEP_4) | instskip(NEXT) | instid1(VALU_DEP_4)
	v_add_f64_e32 v[6:7], v[10:11], v[8:9]
	v_add_f64_e32 v[8:9], v[16:17], v[26:27]
	s_delay_alu instid0(VALU_DEP_2) | instskip(NEXT) | instid1(VALU_DEP_2)
	v_add_f64_e32 v[4:5], v[6:7], v[4:5]
	v_add_f64_e32 v[6:7], v[8:9], v[24:25]
	s_delay_alu instid0(VALU_DEP_2) | instskip(NEXT) | instid1(VALU_DEP_2)
	v_add_f64_e64 v[4:5], v[148:149], -v[4:5]
	v_add_f64_e64 v[6:7], v[150:151], -v[6:7]
	scratch_store_b128 off, v[4:7], off offset:304
	s_wait_xcnt 0x0
	v_cmpx_lt_u32_e32 18, v1
	s_cbranch_execz .LBB46_259
; %bb.258:
	scratch_load_b128 v[6:9], off, s42
	v_dual_mov_b32 v3, v2 :: v_dual_mov_b32 v4, v2
	v_mov_b32_e32 v5, v2
	scratch_store_b128 off, v[2:5], off offset:288
	s_wait_loadcnt 0x0
	ds_store_b128 v126, v[6:9]
.LBB46_259:
	s_wait_xcnt 0x0
	s_or_b32 exec_lo, exec_lo, s2
	s_wait_storecnt_dscnt 0x0
	s_barrier_signal -1
	s_barrier_wait -1
	s_clause 0x9
	scratch_load_b128 v[4:7], off, off offset:304
	scratch_load_b128 v[8:11], off, off offset:320
	;; [unrolled: 1-line block ×10, first 2 shown]
	ds_load_b128 v[140:143], v2 offset:1056
	ds_load_b128 v[148:151], v2 offset:1072
	s_clause 0x2
	scratch_load_b128 v[144:147], off, off offset:464
	scratch_load_b128 v[152:155], off, off offset:288
	;; [unrolled: 1-line block ×3, first 2 shown]
	s_mov_b32 s2, exec_lo
	s_wait_loadcnt_dscnt 0xc01
	v_mul_f64_e32 v[160:161], v[142:143], v[6:7]
	v_mul_f64_e32 v[164:165], v[140:141], v[6:7]
	s_wait_loadcnt_dscnt 0xb00
	v_mul_f64_e32 v[166:167], v[148:149], v[10:11]
	v_mul_f64_e32 v[10:11], v[150:151], v[10:11]
	s_delay_alu instid0(VALU_DEP_4) | instskip(NEXT) | instid1(VALU_DEP_4)
	v_fma_f64 v[168:169], v[140:141], v[4:5], -v[160:161]
	v_fmac_f64_e32 v[164:165], v[142:143], v[4:5]
	ds_load_b128 v[4:7], v2 offset:1088
	ds_load_b128 v[140:143], v2 offset:1104
	scratch_load_b128 v[160:163], off, off offset:496
	v_fmac_f64_e32 v[166:167], v[150:151], v[8:9]
	v_fma_f64 v[148:149], v[148:149], v[8:9], -v[10:11]
	scratch_load_b128 v[8:11], off, off offset:512
	s_wait_loadcnt_dscnt 0xc01
	v_mul_f64_e32 v[170:171], v[4:5], v[14:15]
	v_mul_f64_e32 v[14:15], v[6:7], v[14:15]
	v_add_f64_e32 v[150:151], 0, v[168:169]
	v_add_f64_e32 v[164:165], 0, v[164:165]
	s_wait_loadcnt_dscnt 0xb00
	v_mul_f64_e32 v[168:169], v[140:141], v[18:19]
	v_mul_f64_e32 v[18:19], v[142:143], v[18:19]
	v_fmac_f64_e32 v[170:171], v[6:7], v[12:13]
	v_fma_f64 v[172:173], v[4:5], v[12:13], -v[14:15]
	ds_load_b128 v[4:7], v2 offset:1120
	ds_load_b128 v[12:15], v2 offset:1136
	v_add_f64_e32 v[174:175], v[150:151], v[148:149]
	v_add_f64_e32 v[164:165], v[164:165], v[166:167]
	scratch_load_b128 v[148:151], off, off offset:528
	v_fmac_f64_e32 v[168:169], v[142:143], v[16:17]
	v_fma_f64 v[140:141], v[140:141], v[16:17], -v[18:19]
	scratch_load_b128 v[16:19], off, off offset:544
	s_wait_loadcnt_dscnt 0xc01
	v_mul_f64_e32 v[166:167], v[4:5], v[22:23]
	v_mul_f64_e32 v[22:23], v[6:7], v[22:23]
	v_add_f64_e32 v[142:143], v[174:175], v[172:173]
	v_add_f64_e32 v[164:165], v[164:165], v[170:171]
	s_wait_loadcnt_dscnt 0xb00
	v_mul_f64_e32 v[170:171], v[12:13], v[26:27]
	v_mul_f64_e32 v[26:27], v[14:15], v[26:27]
	v_fmac_f64_e32 v[166:167], v[6:7], v[20:21]
	v_fma_f64 v[172:173], v[4:5], v[20:21], -v[22:23]
	ds_load_b128 v[4:7], v2 offset:1152
	ds_load_b128 v[20:23], v2 offset:1168
	v_add_f64_e32 v[174:175], v[142:143], v[140:141]
	v_add_f64_e32 v[164:165], v[164:165], v[168:169]
	scratch_load_b128 v[140:143], off, off offset:560
	s_wait_loadcnt_dscnt 0xb01
	v_mul_f64_e32 v[168:169], v[4:5], v[30:31]
	v_mul_f64_e32 v[30:31], v[6:7], v[30:31]
	v_fmac_f64_e32 v[170:171], v[14:15], v[24:25]
	v_fma_f64 v[24:25], v[12:13], v[24:25], -v[26:27]
	scratch_load_b128 v[12:15], off, off offset:576
	v_add_f64_e32 v[26:27], v[174:175], v[172:173]
	v_add_f64_e32 v[164:165], v[164:165], v[166:167]
	s_wait_loadcnt_dscnt 0xb00
	v_mul_f64_e32 v[166:167], v[20:21], v[130:131]
	v_mul_f64_e32 v[130:131], v[22:23], v[130:131]
	v_fmac_f64_e32 v[168:169], v[6:7], v[28:29]
	v_fma_f64 v[172:173], v[4:5], v[28:29], -v[30:31]
	v_add_f64_e32 v[174:175], v[26:27], v[24:25]
	v_add_f64_e32 v[164:165], v[164:165], v[170:171]
	ds_load_b128 v[4:7], v2 offset:1184
	ds_load_b128 v[24:27], v2 offset:1200
	scratch_load_b128 v[28:31], off, off offset:592
	v_fmac_f64_e32 v[166:167], v[22:23], v[128:129]
	v_fma_f64 v[128:129], v[20:21], v[128:129], -v[130:131]
	scratch_load_b128 v[20:23], off, off offset:608
	s_wait_loadcnt_dscnt 0xc01
	v_mul_f64_e32 v[170:171], v[4:5], v[134:135]
	v_mul_f64_e32 v[134:135], v[6:7], v[134:135]
	v_add_f64_e32 v[130:131], v[174:175], v[172:173]
	v_add_f64_e32 v[164:165], v[164:165], v[168:169]
	s_wait_loadcnt_dscnt 0xb00
	v_mul_f64_e32 v[168:169], v[24:25], v[138:139]
	v_mul_f64_e32 v[138:139], v[26:27], v[138:139]
	v_fmac_f64_e32 v[170:171], v[6:7], v[132:133]
	v_fma_f64 v[172:173], v[4:5], v[132:133], -v[134:135]
	v_add_f64_e32 v[174:175], v[130:131], v[128:129]
	v_add_f64_e32 v[164:165], v[164:165], v[166:167]
	ds_load_b128 v[4:7], v2 offset:1216
	ds_load_b128 v[128:131], v2 offset:1232
	scratch_load_b128 v[132:135], off, off offset:624
	v_fmac_f64_e32 v[168:169], v[26:27], v[136:137]
	v_fma_f64 v[136:137], v[24:25], v[136:137], -v[138:139]
	scratch_load_b128 v[24:27], off, off offset:640
	s_wait_loadcnt_dscnt 0xc01
	v_mul_f64_e32 v[166:167], v[4:5], v[146:147]
	v_mul_f64_e32 v[146:147], v[6:7], v[146:147]
	;; [unrolled: 18-line block ×5, first 2 shown]
	v_add_f64_e32 v[158:159], v[174:175], v[172:173]
	v_add_f64_e32 v[164:165], v[164:165], v[170:171]
	s_wait_loadcnt_dscnt 0xa00
	v_mul_f64_e32 v[170:171], v[136:137], v[14:15]
	v_mul_f64_e32 v[14:15], v[138:139], v[14:15]
	v_fmac_f64_e32 v[166:167], v[6:7], v[140:141]
	v_fma_f64 v[172:173], v[4:5], v[140:141], -v[142:143]
	ds_load_b128 v[4:7], v2 offset:1344
	ds_load_b128 v[140:143], v2 offset:1360
	v_add_f64_e32 v[156:157], v[158:159], v[156:157]
	v_add_f64_e32 v[158:159], v[164:165], v[168:169]
	v_fmac_f64_e32 v[170:171], v[138:139], v[12:13]
	v_fma_f64 v[12:13], v[136:137], v[12:13], -v[14:15]
	s_wait_loadcnt_dscnt 0x901
	v_mul_f64_e32 v[164:165], v[4:5], v[30:31]
	v_mul_f64_e32 v[30:31], v[6:7], v[30:31]
	s_wait_loadcnt_dscnt 0x800
	v_mul_f64_e32 v[138:139], v[140:141], v[22:23]
	v_mul_f64_e32 v[22:23], v[142:143], v[22:23]
	v_add_f64_e32 v[14:15], v[156:157], v[172:173]
	v_add_f64_e32 v[136:137], v[158:159], v[166:167]
	v_fmac_f64_e32 v[164:165], v[6:7], v[28:29]
	v_fma_f64 v[28:29], v[4:5], v[28:29], -v[30:31]
	v_fmac_f64_e32 v[138:139], v[142:143], v[20:21]
	v_fma_f64 v[20:21], v[140:141], v[20:21], -v[22:23]
	v_add_f64_e32 v[30:31], v[14:15], v[12:13]
	v_add_f64_e32 v[136:137], v[136:137], v[170:171]
	ds_load_b128 v[4:7], v2 offset:1376
	ds_load_b128 v[12:15], v2 offset:1392
	s_wait_loadcnt_dscnt 0x701
	v_mul_f64_e32 v[156:157], v[4:5], v[134:135]
	v_mul_f64_e32 v[134:135], v[6:7], v[134:135]
	v_add_f64_e32 v[22:23], v[30:31], v[28:29]
	v_add_f64_e32 v[28:29], v[136:137], v[164:165]
	s_wait_loadcnt_dscnt 0x600
	v_mul_f64_e32 v[30:31], v[12:13], v[26:27]
	v_mul_f64_e32 v[26:27], v[14:15], v[26:27]
	v_fmac_f64_e32 v[156:157], v[6:7], v[132:133]
	v_fma_f64 v[132:133], v[4:5], v[132:133], -v[134:135]
	v_add_f64_e32 v[134:135], v[22:23], v[20:21]
	v_add_f64_e32 v[28:29], v[28:29], v[138:139]
	ds_load_b128 v[4:7], v2 offset:1408
	ds_load_b128 v[20:23], v2 offset:1424
	v_fmac_f64_e32 v[30:31], v[14:15], v[24:25]
	v_fma_f64 v[12:13], v[12:13], v[24:25], -v[26:27]
	s_wait_loadcnt_dscnt 0x501
	v_mul_f64_e32 v[136:137], v[4:5], v[146:147]
	v_mul_f64_e32 v[138:139], v[6:7], v[146:147]
	s_wait_loadcnt_dscnt 0x400
	v_mul_f64_e32 v[26:27], v[20:21], v[130:131]
	v_add_f64_e32 v[14:15], v[134:135], v[132:133]
	v_add_f64_e32 v[24:25], v[28:29], v[156:157]
	v_mul_f64_e32 v[28:29], v[22:23], v[130:131]
	v_fmac_f64_e32 v[136:137], v[6:7], v[144:145]
	v_fma_f64 v[130:131], v[4:5], v[144:145], -v[138:139]
	v_fmac_f64_e32 v[26:27], v[22:23], v[128:129]
	v_add_f64_e32 v[132:133], v[14:15], v[12:13]
	v_add_f64_e32 v[24:25], v[24:25], v[30:31]
	ds_load_b128 v[4:7], v2 offset:1440
	ds_load_b128 v[12:15], v2 offset:1456
	v_fma_f64 v[20:21], v[20:21], v[128:129], -v[28:29]
	s_wait_loadcnt_dscnt 0x301
	v_mul_f64_e32 v[30:31], v[4:5], v[162:163]
	v_mul_f64_e32 v[134:135], v[6:7], v[162:163]
	s_wait_loadcnt_dscnt 0x200
	v_mul_f64_e32 v[28:29], v[12:13], v[10:11]
	v_mul_f64_e32 v[10:11], v[14:15], v[10:11]
	v_add_f64_e32 v[22:23], v[132:133], v[130:131]
	v_add_f64_e32 v[24:25], v[24:25], v[136:137]
	v_fmac_f64_e32 v[30:31], v[6:7], v[160:161]
	v_fma_f64 v[128:129], v[4:5], v[160:161], -v[134:135]
	v_fmac_f64_e32 v[28:29], v[14:15], v[8:9]
	v_fma_f64 v[8:9], v[12:13], v[8:9], -v[10:11]
	v_add_f64_e32 v[130:131], v[22:23], v[20:21]
	v_add_f64_e32 v[24:25], v[24:25], v[26:27]
	ds_load_b128 v[4:7], v2 offset:1472
	ds_load_b128 v[20:23], v2 offset:1488
	s_wait_loadcnt_dscnt 0x101
	v_mul_f64_e32 v[2:3], v[4:5], v[150:151]
	v_mul_f64_e32 v[26:27], v[6:7], v[150:151]
	s_wait_loadcnt_dscnt 0x0
	v_mul_f64_e32 v[14:15], v[20:21], v[18:19]
	v_mul_f64_e32 v[18:19], v[22:23], v[18:19]
	v_add_f64_e32 v[10:11], v[130:131], v[128:129]
	v_add_f64_e32 v[12:13], v[24:25], v[30:31]
	v_fmac_f64_e32 v[2:3], v[6:7], v[148:149]
	v_fma_f64 v[4:5], v[4:5], v[148:149], -v[26:27]
	v_fmac_f64_e32 v[14:15], v[22:23], v[16:17]
	v_add_f64_e32 v[6:7], v[10:11], v[8:9]
	v_add_f64_e32 v[8:9], v[12:13], v[28:29]
	v_fma_f64 v[10:11], v[20:21], v[16:17], -v[18:19]
	s_delay_alu instid0(VALU_DEP_3) | instskip(NEXT) | instid1(VALU_DEP_3)
	v_add_f64_e32 v[4:5], v[6:7], v[4:5]
	v_add_f64_e32 v[2:3], v[8:9], v[2:3]
	s_delay_alu instid0(VALU_DEP_2) | instskip(NEXT) | instid1(VALU_DEP_2)
	v_add_f64_e32 v[4:5], v[4:5], v[10:11]
	v_add_f64_e32 v[6:7], v[2:3], v[14:15]
	s_delay_alu instid0(VALU_DEP_2) | instskip(NEXT) | instid1(VALU_DEP_2)
	v_add_f64_e64 v[2:3], v[152:153], -v[4:5]
	v_add_f64_e64 v[4:5], v[154:155], -v[6:7]
	scratch_store_b128 off, v[2:5], off offset:288
	s_wait_xcnt 0x0
	v_cmpx_lt_u32_e32 17, v1
	s_cbranch_execz .LBB46_261
; %bb.260:
	scratch_load_b128 v[2:5], off, s39
	v_mov_b32_e32 v6, 0
	s_delay_alu instid0(VALU_DEP_1)
	v_dual_mov_b32 v7, v6 :: v_dual_mov_b32 v8, v6
	v_mov_b32_e32 v9, v6
	scratch_store_b128 off, v[6:9], off offset:272
	s_wait_loadcnt 0x0
	ds_store_b128 v126, v[2:5]
.LBB46_261:
	s_wait_xcnt 0x0
	s_or_b32 exec_lo, exec_lo, s2
	s_wait_storecnt_dscnt 0x0
	s_barrier_signal -1
	s_barrier_wait -1
	s_clause 0x9
	scratch_load_b128 v[4:7], off, off offset:288
	scratch_load_b128 v[8:11], off, off offset:304
	;; [unrolled: 1-line block ×10, first 2 shown]
	v_mov_b32_e32 v2, 0
	s_mov_b32 s2, exec_lo
	ds_load_b128 v[140:143], v2 offset:1040
	s_clause 0x2
	scratch_load_b128 v[144:147], off, off offset:448
	scratch_load_b128 v[148:151], off, off offset:272
	;; [unrolled: 1-line block ×3, first 2 shown]
	s_wait_loadcnt_dscnt 0xc00
	v_mul_f64_e32 v[160:161], v[142:143], v[6:7]
	v_mul_f64_e32 v[164:165], v[140:141], v[6:7]
	ds_load_b128 v[152:155], v2 offset:1056
	v_fma_f64 v[168:169], v[140:141], v[4:5], -v[160:161]
	v_fmac_f64_e32 v[164:165], v[142:143], v[4:5]
	ds_load_b128 v[4:7], v2 offset:1072
	s_wait_loadcnt_dscnt 0xb01
	v_mul_f64_e32 v[166:167], v[152:153], v[10:11]
	v_mul_f64_e32 v[10:11], v[154:155], v[10:11]
	scratch_load_b128 v[140:143], off, off offset:480
	ds_load_b128 v[160:163], v2 offset:1088
	s_wait_loadcnt_dscnt 0xb01
	v_mul_f64_e32 v[170:171], v[4:5], v[14:15]
	v_mul_f64_e32 v[14:15], v[6:7], v[14:15]
	v_add_f64_e32 v[164:165], 0, v[164:165]
	v_fmac_f64_e32 v[166:167], v[154:155], v[8:9]
	v_fma_f64 v[152:153], v[152:153], v[8:9], -v[10:11]
	v_add_f64_e32 v[154:155], 0, v[168:169]
	scratch_load_b128 v[8:11], off, off offset:496
	v_fmac_f64_e32 v[170:171], v[6:7], v[12:13]
	v_fma_f64 v[172:173], v[4:5], v[12:13], -v[14:15]
	ds_load_b128 v[4:7], v2 offset:1104
	s_wait_loadcnt_dscnt 0xb01
	v_mul_f64_e32 v[168:169], v[160:161], v[18:19]
	v_mul_f64_e32 v[18:19], v[162:163], v[18:19]
	scratch_load_b128 v[12:15], off, off offset:512
	v_add_f64_e32 v[164:165], v[164:165], v[166:167]
	v_add_f64_e32 v[174:175], v[154:155], v[152:153]
	ds_load_b128 v[152:155], v2 offset:1120
	s_wait_loadcnt_dscnt 0xb01
	v_mul_f64_e32 v[166:167], v[4:5], v[22:23]
	v_mul_f64_e32 v[22:23], v[6:7], v[22:23]
	v_fmac_f64_e32 v[168:169], v[162:163], v[16:17]
	v_fma_f64 v[160:161], v[160:161], v[16:17], -v[18:19]
	scratch_load_b128 v[16:19], off, off offset:528
	v_add_f64_e32 v[164:165], v[164:165], v[170:171]
	v_add_f64_e32 v[162:163], v[174:175], v[172:173]
	v_fmac_f64_e32 v[166:167], v[6:7], v[20:21]
	v_fma_f64 v[172:173], v[4:5], v[20:21], -v[22:23]
	ds_load_b128 v[4:7], v2 offset:1136
	s_wait_loadcnt_dscnt 0xb01
	v_mul_f64_e32 v[170:171], v[152:153], v[26:27]
	v_mul_f64_e32 v[26:27], v[154:155], v[26:27]
	scratch_load_b128 v[20:23], off, off offset:544
	v_add_f64_e32 v[164:165], v[164:165], v[168:169]
	s_wait_loadcnt_dscnt 0xb00
	v_mul_f64_e32 v[168:169], v[4:5], v[30:31]
	v_add_f64_e32 v[174:175], v[162:163], v[160:161]
	v_mul_f64_e32 v[30:31], v[6:7], v[30:31]
	ds_load_b128 v[160:163], v2 offset:1152
	v_fmac_f64_e32 v[170:171], v[154:155], v[24:25]
	v_fma_f64 v[152:153], v[152:153], v[24:25], -v[26:27]
	scratch_load_b128 v[24:27], off, off offset:560
	v_add_f64_e32 v[164:165], v[164:165], v[166:167]
	v_fmac_f64_e32 v[168:169], v[6:7], v[28:29]
	v_add_f64_e32 v[154:155], v[174:175], v[172:173]
	v_fma_f64 v[172:173], v[4:5], v[28:29], -v[30:31]
	ds_load_b128 v[4:7], v2 offset:1168
	s_wait_loadcnt_dscnt 0xb01
	v_mul_f64_e32 v[166:167], v[160:161], v[130:131]
	v_mul_f64_e32 v[130:131], v[162:163], v[130:131]
	scratch_load_b128 v[28:31], off, off offset:576
	v_add_f64_e32 v[164:165], v[164:165], v[170:171]
	s_wait_loadcnt_dscnt 0xb00
	v_mul_f64_e32 v[170:171], v[4:5], v[134:135]
	v_add_f64_e32 v[174:175], v[154:155], v[152:153]
	v_mul_f64_e32 v[134:135], v[6:7], v[134:135]
	ds_load_b128 v[152:155], v2 offset:1184
	v_fmac_f64_e32 v[166:167], v[162:163], v[128:129]
	v_fma_f64 v[160:161], v[160:161], v[128:129], -v[130:131]
	scratch_load_b128 v[128:131], off, off offset:592
	v_add_f64_e32 v[164:165], v[164:165], v[168:169]
	v_fmac_f64_e32 v[170:171], v[6:7], v[132:133]
	v_add_f64_e32 v[162:163], v[174:175], v[172:173]
	;; [unrolled: 18-line block ×3, first 2 shown]
	v_fma_f64 v[172:173], v[4:5], v[144:145], -v[146:147]
	ds_load_b128 v[4:7], v2 offset:1232
	s_wait_loadcnt_dscnt 0xa01
	v_mul_f64_e32 v[170:171], v[160:161], v[158:159]
	v_mul_f64_e32 v[158:159], v[162:163], v[158:159]
	scratch_load_b128 v[144:147], off, off offset:640
	v_add_f64_e32 v[164:165], v[164:165], v[168:169]
	v_add_f64_e32 v[174:175], v[154:155], v[152:153]
	s_wait_loadcnt_dscnt 0xa00
	v_mul_f64_e32 v[168:169], v[4:5], v[142:143]
	v_mul_f64_e32 v[142:143], v[6:7], v[142:143]
	v_fmac_f64_e32 v[170:171], v[162:163], v[156:157]
	v_fma_f64 v[160:161], v[160:161], v[156:157], -v[158:159]
	ds_load_b128 v[152:155], v2 offset:1248
	scratch_load_b128 v[156:159], off, off offset:656
	v_add_f64_e32 v[164:165], v[164:165], v[166:167]
	v_add_f64_e32 v[162:163], v[174:175], v[172:173]
	v_fmac_f64_e32 v[168:169], v[6:7], v[140:141]
	v_fma_f64 v[172:173], v[4:5], v[140:141], -v[142:143]
	ds_load_b128 v[4:7], v2 offset:1264
	s_wait_loadcnt_dscnt 0xa01
	v_mul_f64_e32 v[166:167], v[152:153], v[10:11]
	v_mul_f64_e32 v[10:11], v[154:155], v[10:11]
	scratch_load_b128 v[140:143], off, off offset:672
	v_add_f64_e32 v[164:165], v[164:165], v[170:171]
	s_wait_loadcnt_dscnt 0xa00
	v_mul_f64_e32 v[170:171], v[4:5], v[14:15]
	v_add_f64_e32 v[174:175], v[162:163], v[160:161]
	v_mul_f64_e32 v[14:15], v[6:7], v[14:15]
	ds_load_b128 v[160:163], v2 offset:1280
	v_fmac_f64_e32 v[166:167], v[154:155], v[8:9]
	v_fma_f64 v[152:153], v[152:153], v[8:9], -v[10:11]
	scratch_load_b128 v[8:11], off, off offset:688
	v_add_f64_e32 v[164:165], v[164:165], v[168:169]
	v_fmac_f64_e32 v[170:171], v[6:7], v[12:13]
	v_add_f64_e32 v[154:155], v[174:175], v[172:173]
	v_fma_f64 v[172:173], v[4:5], v[12:13], -v[14:15]
	ds_load_b128 v[4:7], v2 offset:1296
	s_wait_loadcnt_dscnt 0xa01
	v_mul_f64_e32 v[168:169], v[160:161], v[18:19]
	v_mul_f64_e32 v[18:19], v[162:163], v[18:19]
	scratch_load_b128 v[12:15], off, off offset:704
	v_add_f64_e32 v[164:165], v[164:165], v[166:167]
	s_wait_loadcnt_dscnt 0xa00
	v_mul_f64_e32 v[166:167], v[4:5], v[22:23]
	v_add_f64_e32 v[174:175], v[154:155], v[152:153]
	v_mul_f64_e32 v[22:23], v[6:7], v[22:23]
	ds_load_b128 v[152:155], v2 offset:1312
	v_fmac_f64_e32 v[168:169], v[162:163], v[16:17]
	v_fma_f64 v[160:161], v[160:161], v[16:17], -v[18:19]
	scratch_load_b128 v[16:19], off, off offset:720
	v_add_f64_e32 v[164:165], v[164:165], v[170:171]
	v_fmac_f64_e32 v[166:167], v[6:7], v[20:21]
	v_add_f64_e32 v[162:163], v[174:175], v[172:173]
	v_fma_f64 v[172:173], v[4:5], v[20:21], -v[22:23]
	ds_load_b128 v[4:7], v2 offset:1328
	s_wait_loadcnt_dscnt 0xa01
	v_mul_f64_e32 v[170:171], v[152:153], v[26:27]
	v_mul_f64_e32 v[26:27], v[154:155], v[26:27]
	scratch_load_b128 v[20:23], off, off offset:736
	v_add_f64_e32 v[164:165], v[164:165], v[168:169]
	s_wait_loadcnt_dscnt 0xa00
	v_mul_f64_e32 v[168:169], v[4:5], v[30:31]
	v_add_f64_e32 v[174:175], v[162:163], v[160:161]
	v_mul_f64_e32 v[30:31], v[6:7], v[30:31]
	ds_load_b128 v[160:163], v2 offset:1344
	v_fmac_f64_e32 v[170:171], v[154:155], v[24:25]
	v_fma_f64 v[24:25], v[152:153], v[24:25], -v[26:27]
	s_wait_loadcnt_dscnt 0x900
	v_mul_f64_e32 v[154:155], v[160:161], v[130:131]
	v_mul_f64_e32 v[130:131], v[162:163], v[130:131]
	v_add_f64_e32 v[152:153], v[164:165], v[166:167]
	v_fmac_f64_e32 v[168:169], v[6:7], v[28:29]
	v_add_f64_e32 v[26:27], v[174:175], v[172:173]
	v_fma_f64 v[28:29], v[4:5], v[28:29], -v[30:31]
	v_fmac_f64_e32 v[154:155], v[162:163], v[128:129]
	v_fma_f64 v[128:129], v[160:161], v[128:129], -v[130:131]
	v_add_f64_e32 v[152:153], v[152:153], v[170:171]
	v_add_f64_e32 v[30:31], v[26:27], v[24:25]
	ds_load_b128 v[4:7], v2 offset:1360
	ds_load_b128 v[24:27], v2 offset:1376
	s_wait_loadcnt_dscnt 0x801
	v_mul_f64_e32 v[164:165], v[4:5], v[134:135]
	v_mul_f64_e32 v[134:135], v[6:7], v[134:135]
	s_wait_loadcnt_dscnt 0x700
	v_mul_f64_e32 v[130:131], v[24:25], v[138:139]
	v_mul_f64_e32 v[138:139], v[26:27], v[138:139]
	v_add_f64_e32 v[28:29], v[30:31], v[28:29]
	v_add_f64_e32 v[30:31], v[152:153], v[168:169]
	v_fmac_f64_e32 v[164:165], v[6:7], v[132:133]
	v_fma_f64 v[132:133], v[4:5], v[132:133], -v[134:135]
	v_fmac_f64_e32 v[130:131], v[26:27], v[136:137]
	v_fma_f64 v[24:25], v[24:25], v[136:137], -v[138:139]
	v_add_f64_e32 v[128:129], v[28:29], v[128:129]
	v_add_f64_e32 v[134:135], v[30:31], v[154:155]
	ds_load_b128 v[4:7], v2 offset:1392
	ds_load_b128 v[28:31], v2 offset:1408
	s_wait_loadcnt_dscnt 0x601
	v_mul_f64_e32 v[152:153], v[4:5], v[146:147]
	v_mul_f64_e32 v[146:147], v[6:7], v[146:147]
	v_add_f64_e32 v[26:27], v[128:129], v[132:133]
	v_add_f64_e32 v[128:129], v[134:135], v[164:165]
	s_wait_loadcnt_dscnt 0x500
	v_mul_f64_e32 v[132:133], v[28:29], v[158:159]
	v_mul_f64_e32 v[134:135], v[30:31], v[158:159]
	v_fmac_f64_e32 v[152:153], v[6:7], v[144:145]
	v_fma_f64 v[136:137], v[4:5], v[144:145], -v[146:147]
	v_add_f64_e32 v[138:139], v[26:27], v[24:25]
	v_add_f64_e32 v[128:129], v[128:129], v[130:131]
	ds_load_b128 v[4:7], v2 offset:1424
	ds_load_b128 v[24:27], v2 offset:1440
	v_fmac_f64_e32 v[132:133], v[30:31], v[156:157]
	v_fma_f64 v[28:29], v[28:29], v[156:157], -v[134:135]
	s_wait_loadcnt_dscnt 0x401
	v_mul_f64_e32 v[130:131], v[4:5], v[142:143]
	v_mul_f64_e32 v[142:143], v[6:7], v[142:143]
	s_wait_loadcnt_dscnt 0x300
	v_mul_f64_e32 v[134:135], v[24:25], v[10:11]
	v_mul_f64_e32 v[10:11], v[26:27], v[10:11]
	v_add_f64_e32 v[30:31], v[138:139], v[136:137]
	v_add_f64_e32 v[128:129], v[128:129], v[152:153]
	v_fmac_f64_e32 v[130:131], v[6:7], v[140:141]
	v_fma_f64 v[136:137], v[4:5], v[140:141], -v[142:143]
	v_fmac_f64_e32 v[134:135], v[26:27], v[8:9]
	v_fma_f64 v[8:9], v[24:25], v[8:9], -v[10:11]
	v_add_f64_e32 v[138:139], v[30:31], v[28:29]
	v_add_f64_e32 v[128:129], v[128:129], v[132:133]
	ds_load_b128 v[4:7], v2 offset:1456
	ds_load_b128 v[28:31], v2 offset:1472
	s_wait_loadcnt_dscnt 0x201
	v_mul_f64_e32 v[132:133], v[4:5], v[14:15]
	v_mul_f64_e32 v[14:15], v[6:7], v[14:15]
	s_wait_loadcnt_dscnt 0x100
	v_mul_f64_e32 v[26:27], v[28:29], v[18:19]
	v_mul_f64_e32 v[18:19], v[30:31], v[18:19]
	v_add_f64_e32 v[10:11], v[138:139], v[136:137]
	v_add_f64_e32 v[24:25], v[128:129], v[130:131]
	v_fmac_f64_e32 v[132:133], v[6:7], v[12:13]
	v_fma_f64 v[12:13], v[4:5], v[12:13], -v[14:15]
	ds_load_b128 v[4:7], v2 offset:1488
	v_fmac_f64_e32 v[26:27], v[30:31], v[16:17]
	v_fma_f64 v[16:17], v[28:29], v[16:17], -v[18:19]
	v_add_f64_e32 v[8:9], v[10:11], v[8:9]
	v_add_f64_e32 v[10:11], v[24:25], v[134:135]
	s_wait_loadcnt_dscnt 0x0
	v_mul_f64_e32 v[14:15], v[4:5], v[22:23]
	v_mul_f64_e32 v[22:23], v[6:7], v[22:23]
	s_delay_alu instid0(VALU_DEP_4) | instskip(NEXT) | instid1(VALU_DEP_4)
	v_add_f64_e32 v[8:9], v[8:9], v[12:13]
	v_add_f64_e32 v[10:11], v[10:11], v[132:133]
	s_delay_alu instid0(VALU_DEP_4) | instskip(NEXT) | instid1(VALU_DEP_4)
	v_fmac_f64_e32 v[14:15], v[6:7], v[20:21]
	v_fma_f64 v[4:5], v[4:5], v[20:21], -v[22:23]
	s_delay_alu instid0(VALU_DEP_4) | instskip(NEXT) | instid1(VALU_DEP_4)
	v_add_f64_e32 v[6:7], v[8:9], v[16:17]
	v_add_f64_e32 v[8:9], v[10:11], v[26:27]
	s_delay_alu instid0(VALU_DEP_2) | instskip(NEXT) | instid1(VALU_DEP_2)
	v_add_f64_e32 v[4:5], v[6:7], v[4:5]
	v_add_f64_e32 v[6:7], v[8:9], v[14:15]
	s_delay_alu instid0(VALU_DEP_2) | instskip(NEXT) | instid1(VALU_DEP_2)
	v_add_f64_e64 v[4:5], v[148:149], -v[4:5]
	v_add_f64_e64 v[6:7], v[150:151], -v[6:7]
	scratch_store_b128 off, v[4:7], off offset:272
	s_wait_xcnt 0x0
	v_cmpx_lt_u32_e32 16, v1
	s_cbranch_execz .LBB46_263
; %bb.262:
	scratch_load_b128 v[6:9], off, s38
	v_dual_mov_b32 v3, v2 :: v_dual_mov_b32 v4, v2
	v_mov_b32_e32 v5, v2
	scratch_store_b128 off, v[2:5], off offset:256
	s_wait_loadcnt 0x0
	ds_store_b128 v126, v[6:9]
.LBB46_263:
	s_wait_xcnt 0x0
	s_or_b32 exec_lo, exec_lo, s2
	s_wait_storecnt_dscnt 0x0
	s_barrier_signal -1
	s_barrier_wait -1
	s_clause 0x9
	scratch_load_b128 v[4:7], off, off offset:272
	scratch_load_b128 v[8:11], off, off offset:288
	;; [unrolled: 1-line block ×10, first 2 shown]
	ds_load_b128 v[140:143], v2 offset:1024
	ds_load_b128 v[148:151], v2 offset:1040
	s_clause 0x2
	scratch_load_b128 v[144:147], off, off offset:432
	scratch_load_b128 v[152:155], off, off offset:256
	;; [unrolled: 1-line block ×3, first 2 shown]
	s_mov_b32 s2, exec_lo
	s_wait_loadcnt_dscnt 0xc01
	v_mul_f64_e32 v[160:161], v[142:143], v[6:7]
	v_mul_f64_e32 v[164:165], v[140:141], v[6:7]
	s_wait_loadcnt_dscnt 0xb00
	v_mul_f64_e32 v[166:167], v[148:149], v[10:11]
	v_mul_f64_e32 v[10:11], v[150:151], v[10:11]
	s_delay_alu instid0(VALU_DEP_4) | instskip(NEXT) | instid1(VALU_DEP_4)
	v_fma_f64 v[168:169], v[140:141], v[4:5], -v[160:161]
	v_fmac_f64_e32 v[164:165], v[142:143], v[4:5]
	ds_load_b128 v[4:7], v2 offset:1056
	ds_load_b128 v[140:143], v2 offset:1072
	scratch_load_b128 v[160:163], off, off offset:464
	v_fmac_f64_e32 v[166:167], v[150:151], v[8:9]
	v_fma_f64 v[148:149], v[148:149], v[8:9], -v[10:11]
	scratch_load_b128 v[8:11], off, off offset:480
	s_wait_loadcnt_dscnt 0xc01
	v_mul_f64_e32 v[170:171], v[4:5], v[14:15]
	v_mul_f64_e32 v[14:15], v[6:7], v[14:15]
	v_add_f64_e32 v[150:151], 0, v[168:169]
	v_add_f64_e32 v[164:165], 0, v[164:165]
	s_wait_loadcnt_dscnt 0xb00
	v_mul_f64_e32 v[168:169], v[140:141], v[18:19]
	v_mul_f64_e32 v[18:19], v[142:143], v[18:19]
	v_fmac_f64_e32 v[170:171], v[6:7], v[12:13]
	v_fma_f64 v[172:173], v[4:5], v[12:13], -v[14:15]
	ds_load_b128 v[4:7], v2 offset:1088
	ds_load_b128 v[12:15], v2 offset:1104
	v_add_f64_e32 v[174:175], v[150:151], v[148:149]
	v_add_f64_e32 v[164:165], v[164:165], v[166:167]
	scratch_load_b128 v[148:151], off, off offset:496
	v_fmac_f64_e32 v[168:169], v[142:143], v[16:17]
	v_fma_f64 v[140:141], v[140:141], v[16:17], -v[18:19]
	scratch_load_b128 v[16:19], off, off offset:512
	s_wait_loadcnt_dscnt 0xc01
	v_mul_f64_e32 v[166:167], v[4:5], v[22:23]
	v_mul_f64_e32 v[22:23], v[6:7], v[22:23]
	v_add_f64_e32 v[142:143], v[174:175], v[172:173]
	v_add_f64_e32 v[164:165], v[164:165], v[170:171]
	s_wait_loadcnt_dscnt 0xb00
	v_mul_f64_e32 v[170:171], v[12:13], v[26:27]
	v_mul_f64_e32 v[26:27], v[14:15], v[26:27]
	v_fmac_f64_e32 v[166:167], v[6:7], v[20:21]
	v_fma_f64 v[172:173], v[4:5], v[20:21], -v[22:23]
	ds_load_b128 v[4:7], v2 offset:1120
	ds_load_b128 v[20:23], v2 offset:1136
	v_add_f64_e32 v[174:175], v[142:143], v[140:141]
	v_add_f64_e32 v[164:165], v[164:165], v[168:169]
	scratch_load_b128 v[140:143], off, off offset:528
	s_wait_loadcnt_dscnt 0xb01
	v_mul_f64_e32 v[168:169], v[4:5], v[30:31]
	v_mul_f64_e32 v[30:31], v[6:7], v[30:31]
	v_fmac_f64_e32 v[170:171], v[14:15], v[24:25]
	v_fma_f64 v[24:25], v[12:13], v[24:25], -v[26:27]
	scratch_load_b128 v[12:15], off, off offset:544
	v_add_f64_e32 v[26:27], v[174:175], v[172:173]
	v_add_f64_e32 v[164:165], v[164:165], v[166:167]
	s_wait_loadcnt_dscnt 0xb00
	v_mul_f64_e32 v[166:167], v[20:21], v[130:131]
	v_mul_f64_e32 v[130:131], v[22:23], v[130:131]
	v_fmac_f64_e32 v[168:169], v[6:7], v[28:29]
	v_fma_f64 v[172:173], v[4:5], v[28:29], -v[30:31]
	v_add_f64_e32 v[174:175], v[26:27], v[24:25]
	v_add_f64_e32 v[164:165], v[164:165], v[170:171]
	ds_load_b128 v[4:7], v2 offset:1152
	ds_load_b128 v[24:27], v2 offset:1168
	scratch_load_b128 v[28:31], off, off offset:560
	v_fmac_f64_e32 v[166:167], v[22:23], v[128:129]
	v_fma_f64 v[128:129], v[20:21], v[128:129], -v[130:131]
	scratch_load_b128 v[20:23], off, off offset:576
	s_wait_loadcnt_dscnt 0xc01
	v_mul_f64_e32 v[170:171], v[4:5], v[134:135]
	v_mul_f64_e32 v[134:135], v[6:7], v[134:135]
	v_add_f64_e32 v[130:131], v[174:175], v[172:173]
	v_add_f64_e32 v[164:165], v[164:165], v[168:169]
	s_wait_loadcnt_dscnt 0xb00
	v_mul_f64_e32 v[168:169], v[24:25], v[138:139]
	v_mul_f64_e32 v[138:139], v[26:27], v[138:139]
	v_fmac_f64_e32 v[170:171], v[6:7], v[132:133]
	v_fma_f64 v[172:173], v[4:5], v[132:133], -v[134:135]
	v_add_f64_e32 v[174:175], v[130:131], v[128:129]
	v_add_f64_e32 v[164:165], v[164:165], v[166:167]
	ds_load_b128 v[4:7], v2 offset:1184
	ds_load_b128 v[128:131], v2 offset:1200
	scratch_load_b128 v[132:135], off, off offset:592
	v_fmac_f64_e32 v[168:169], v[26:27], v[136:137]
	v_fma_f64 v[136:137], v[24:25], v[136:137], -v[138:139]
	scratch_load_b128 v[24:27], off, off offset:608
	s_wait_loadcnt_dscnt 0xc01
	v_mul_f64_e32 v[166:167], v[4:5], v[146:147]
	v_mul_f64_e32 v[146:147], v[6:7], v[146:147]
	;; [unrolled: 18-line block ×5, first 2 shown]
	v_add_f64_e32 v[158:159], v[174:175], v[172:173]
	v_add_f64_e32 v[164:165], v[164:165], v[170:171]
	s_wait_loadcnt_dscnt 0xa00
	v_mul_f64_e32 v[170:171], v[136:137], v[14:15]
	v_mul_f64_e32 v[14:15], v[138:139], v[14:15]
	v_fmac_f64_e32 v[166:167], v[6:7], v[140:141]
	v_fma_f64 v[172:173], v[4:5], v[140:141], -v[142:143]
	ds_load_b128 v[4:7], v2 offset:1312
	ds_load_b128 v[140:143], v2 offset:1328
	v_add_f64_e32 v[174:175], v[158:159], v[156:157]
	v_add_f64_e32 v[164:165], v[164:165], v[168:169]
	scratch_load_b128 v[156:159], off, off offset:720
	v_fmac_f64_e32 v[170:171], v[138:139], v[12:13]
	v_fma_f64 v[136:137], v[136:137], v[12:13], -v[14:15]
	scratch_load_b128 v[12:15], off, off offset:736
	s_wait_loadcnt_dscnt 0xb01
	v_mul_f64_e32 v[168:169], v[4:5], v[30:31]
	v_mul_f64_e32 v[30:31], v[6:7], v[30:31]
	v_add_f64_e32 v[138:139], v[174:175], v[172:173]
	v_add_f64_e32 v[164:165], v[164:165], v[166:167]
	s_wait_loadcnt_dscnt 0xa00
	v_mul_f64_e32 v[166:167], v[140:141], v[22:23]
	v_mul_f64_e32 v[22:23], v[142:143], v[22:23]
	v_fmac_f64_e32 v[168:169], v[6:7], v[28:29]
	v_fma_f64 v[172:173], v[4:5], v[28:29], -v[30:31]
	ds_load_b128 v[4:7], v2 offset:1344
	ds_load_b128 v[28:31], v2 offset:1360
	v_add_f64_e32 v[136:137], v[138:139], v[136:137]
	v_add_f64_e32 v[138:139], v[164:165], v[170:171]
	v_fmac_f64_e32 v[166:167], v[142:143], v[20:21]
	s_wait_loadcnt_dscnt 0x901
	v_mul_f64_e32 v[164:165], v[4:5], v[134:135]
	v_mul_f64_e32 v[134:135], v[6:7], v[134:135]
	v_fma_f64 v[20:21], v[140:141], v[20:21], -v[22:23]
	v_add_f64_e32 v[22:23], v[136:137], v[172:173]
	v_add_f64_e32 v[136:137], v[138:139], v[168:169]
	s_wait_loadcnt_dscnt 0x800
	v_mul_f64_e32 v[138:139], v[28:29], v[26:27]
	v_mul_f64_e32 v[26:27], v[30:31], v[26:27]
	v_fmac_f64_e32 v[164:165], v[6:7], v[132:133]
	v_fma_f64 v[132:133], v[4:5], v[132:133], -v[134:135]
	v_add_f64_e32 v[134:135], v[22:23], v[20:21]
	v_add_f64_e32 v[136:137], v[136:137], v[166:167]
	ds_load_b128 v[4:7], v2 offset:1376
	ds_load_b128 v[20:23], v2 offset:1392
	v_fmac_f64_e32 v[138:139], v[30:31], v[24:25]
	v_fma_f64 v[24:25], v[28:29], v[24:25], -v[26:27]
	s_wait_loadcnt_dscnt 0x701
	v_mul_f64_e32 v[140:141], v[4:5], v[146:147]
	v_mul_f64_e32 v[142:143], v[6:7], v[146:147]
	s_wait_loadcnt_dscnt 0x600
	v_mul_f64_e32 v[30:31], v[20:21], v[130:131]
	v_mul_f64_e32 v[130:131], v[22:23], v[130:131]
	v_add_f64_e32 v[26:27], v[134:135], v[132:133]
	v_add_f64_e32 v[28:29], v[136:137], v[164:165]
	v_fmac_f64_e32 v[140:141], v[6:7], v[144:145]
	v_fma_f64 v[132:133], v[4:5], v[144:145], -v[142:143]
	v_fmac_f64_e32 v[30:31], v[22:23], v[128:129]
	v_fma_f64 v[20:21], v[20:21], v[128:129], -v[130:131]
	v_add_f64_e32 v[134:135], v[26:27], v[24:25]
	v_add_f64_e32 v[28:29], v[28:29], v[138:139]
	ds_load_b128 v[4:7], v2 offset:1408
	ds_load_b128 v[24:27], v2 offset:1424
	s_wait_loadcnt_dscnt 0x501
	v_mul_f64_e32 v[136:137], v[4:5], v[162:163]
	v_mul_f64_e32 v[138:139], v[6:7], v[162:163]
	s_wait_loadcnt_dscnt 0x400
	v_mul_f64_e32 v[128:129], v[24:25], v[10:11]
	v_mul_f64_e32 v[10:11], v[26:27], v[10:11]
	v_add_f64_e32 v[22:23], v[134:135], v[132:133]
	v_add_f64_e32 v[28:29], v[28:29], v[140:141]
	v_fmac_f64_e32 v[136:137], v[6:7], v[160:161]
	v_fma_f64 v[130:131], v[4:5], v[160:161], -v[138:139]
	v_fmac_f64_e32 v[128:129], v[26:27], v[8:9]
	v_fma_f64 v[8:9], v[24:25], v[8:9], -v[10:11]
	v_add_f64_e32 v[132:133], v[22:23], v[20:21]
	v_add_f64_e32 v[28:29], v[28:29], v[30:31]
	ds_load_b128 v[4:7], v2 offset:1440
	ds_load_b128 v[20:23], v2 offset:1456
	;; [unrolled: 16-line block ×3, first 2 shown]
	s_wait_loadcnt_dscnt 0x101
	v_mul_f64_e32 v[2:3], v[4:5], v[158:159]
	v_mul_f64_e32 v[128:129], v[6:7], v[158:159]
	s_wait_loadcnt_dscnt 0x0
	v_mul_f64_e32 v[22:23], v[8:9], v[14:15]
	v_mul_f64_e32 v[14:15], v[10:11], v[14:15]
	v_add_f64_e32 v[18:19], v[130:131], v[28:29]
	v_add_f64_e32 v[20:21], v[24:25], v[30:31]
	v_fmac_f64_e32 v[2:3], v[6:7], v[156:157]
	v_fma_f64 v[4:5], v[4:5], v[156:157], -v[128:129]
	v_fmac_f64_e32 v[22:23], v[10:11], v[12:13]
	v_fma_f64 v[8:9], v[8:9], v[12:13], -v[14:15]
	v_add_f64_e32 v[6:7], v[18:19], v[16:17]
	v_add_f64_e32 v[16:17], v[20:21], v[26:27]
	s_delay_alu instid0(VALU_DEP_2) | instskip(NEXT) | instid1(VALU_DEP_2)
	v_add_f64_e32 v[4:5], v[6:7], v[4:5]
	v_add_f64_e32 v[2:3], v[16:17], v[2:3]
	s_delay_alu instid0(VALU_DEP_2) | instskip(NEXT) | instid1(VALU_DEP_2)
	;; [unrolled: 3-line block ×3, first 2 shown]
	v_add_f64_e64 v[2:3], v[152:153], -v[4:5]
	v_add_f64_e64 v[4:5], v[154:155], -v[6:7]
	scratch_store_b128 off, v[2:5], off offset:256
	s_wait_xcnt 0x0
	v_cmpx_lt_u32_e32 15, v1
	s_cbranch_execz .LBB46_265
; %bb.264:
	scratch_load_b128 v[2:5], off, s53
	v_mov_b32_e32 v6, 0
	s_delay_alu instid0(VALU_DEP_1)
	v_dual_mov_b32 v7, v6 :: v_dual_mov_b32 v8, v6
	v_mov_b32_e32 v9, v6
	scratch_store_b128 off, v[6:9], off offset:240
	s_wait_loadcnt 0x0
	ds_store_b128 v126, v[2:5]
.LBB46_265:
	s_wait_xcnt 0x0
	s_or_b32 exec_lo, exec_lo, s2
	s_wait_storecnt_dscnt 0x0
	s_barrier_signal -1
	s_barrier_wait -1
	s_clause 0x9
	scratch_load_b128 v[4:7], off, off offset:256
	scratch_load_b128 v[8:11], off, off offset:272
	;; [unrolled: 1-line block ×10, first 2 shown]
	v_mov_b32_e32 v2, 0
	s_mov_b32 s2, exec_lo
	ds_load_b128 v[140:143], v2 offset:1008
	s_clause 0x2
	scratch_load_b128 v[144:147], off, off offset:416
	scratch_load_b128 v[148:151], off, off offset:240
	;; [unrolled: 1-line block ×3, first 2 shown]
	s_wait_loadcnt_dscnt 0xc00
	v_mul_f64_e32 v[160:161], v[142:143], v[6:7]
	v_mul_f64_e32 v[164:165], v[140:141], v[6:7]
	ds_load_b128 v[152:155], v2 offset:1024
	v_fma_f64 v[168:169], v[140:141], v[4:5], -v[160:161]
	v_fmac_f64_e32 v[164:165], v[142:143], v[4:5]
	ds_load_b128 v[4:7], v2 offset:1040
	s_wait_loadcnt_dscnt 0xb01
	v_mul_f64_e32 v[166:167], v[152:153], v[10:11]
	v_mul_f64_e32 v[10:11], v[154:155], v[10:11]
	scratch_load_b128 v[140:143], off, off offset:448
	ds_load_b128 v[160:163], v2 offset:1056
	s_wait_loadcnt_dscnt 0xb01
	v_mul_f64_e32 v[170:171], v[4:5], v[14:15]
	v_mul_f64_e32 v[14:15], v[6:7], v[14:15]
	v_add_f64_e32 v[164:165], 0, v[164:165]
	v_fmac_f64_e32 v[166:167], v[154:155], v[8:9]
	v_fma_f64 v[152:153], v[152:153], v[8:9], -v[10:11]
	v_add_f64_e32 v[154:155], 0, v[168:169]
	scratch_load_b128 v[8:11], off, off offset:464
	v_fmac_f64_e32 v[170:171], v[6:7], v[12:13]
	v_fma_f64 v[172:173], v[4:5], v[12:13], -v[14:15]
	ds_load_b128 v[4:7], v2 offset:1072
	s_wait_loadcnt_dscnt 0xb01
	v_mul_f64_e32 v[168:169], v[160:161], v[18:19]
	v_mul_f64_e32 v[18:19], v[162:163], v[18:19]
	scratch_load_b128 v[12:15], off, off offset:480
	v_add_f64_e32 v[164:165], v[164:165], v[166:167]
	v_add_f64_e32 v[174:175], v[154:155], v[152:153]
	ds_load_b128 v[152:155], v2 offset:1088
	s_wait_loadcnt_dscnt 0xb01
	v_mul_f64_e32 v[166:167], v[4:5], v[22:23]
	v_mul_f64_e32 v[22:23], v[6:7], v[22:23]
	v_fmac_f64_e32 v[168:169], v[162:163], v[16:17]
	v_fma_f64 v[160:161], v[160:161], v[16:17], -v[18:19]
	scratch_load_b128 v[16:19], off, off offset:496
	v_add_f64_e32 v[164:165], v[164:165], v[170:171]
	v_add_f64_e32 v[162:163], v[174:175], v[172:173]
	v_fmac_f64_e32 v[166:167], v[6:7], v[20:21]
	v_fma_f64 v[172:173], v[4:5], v[20:21], -v[22:23]
	ds_load_b128 v[4:7], v2 offset:1104
	s_wait_loadcnt_dscnt 0xb01
	v_mul_f64_e32 v[170:171], v[152:153], v[26:27]
	v_mul_f64_e32 v[26:27], v[154:155], v[26:27]
	scratch_load_b128 v[20:23], off, off offset:512
	v_add_f64_e32 v[164:165], v[164:165], v[168:169]
	s_wait_loadcnt_dscnt 0xb00
	v_mul_f64_e32 v[168:169], v[4:5], v[30:31]
	v_add_f64_e32 v[174:175], v[162:163], v[160:161]
	v_mul_f64_e32 v[30:31], v[6:7], v[30:31]
	ds_load_b128 v[160:163], v2 offset:1120
	v_fmac_f64_e32 v[170:171], v[154:155], v[24:25]
	v_fma_f64 v[152:153], v[152:153], v[24:25], -v[26:27]
	scratch_load_b128 v[24:27], off, off offset:528
	v_add_f64_e32 v[164:165], v[164:165], v[166:167]
	v_fmac_f64_e32 v[168:169], v[6:7], v[28:29]
	v_add_f64_e32 v[154:155], v[174:175], v[172:173]
	v_fma_f64 v[172:173], v[4:5], v[28:29], -v[30:31]
	ds_load_b128 v[4:7], v2 offset:1136
	s_wait_loadcnt_dscnt 0xb01
	v_mul_f64_e32 v[166:167], v[160:161], v[130:131]
	v_mul_f64_e32 v[130:131], v[162:163], v[130:131]
	scratch_load_b128 v[28:31], off, off offset:544
	v_add_f64_e32 v[164:165], v[164:165], v[170:171]
	s_wait_loadcnt_dscnt 0xb00
	v_mul_f64_e32 v[170:171], v[4:5], v[134:135]
	v_add_f64_e32 v[174:175], v[154:155], v[152:153]
	v_mul_f64_e32 v[134:135], v[6:7], v[134:135]
	ds_load_b128 v[152:155], v2 offset:1152
	v_fmac_f64_e32 v[166:167], v[162:163], v[128:129]
	v_fma_f64 v[160:161], v[160:161], v[128:129], -v[130:131]
	scratch_load_b128 v[128:131], off, off offset:560
	v_add_f64_e32 v[164:165], v[164:165], v[168:169]
	v_fmac_f64_e32 v[170:171], v[6:7], v[132:133]
	v_add_f64_e32 v[162:163], v[174:175], v[172:173]
	;; [unrolled: 18-line block ×3, first 2 shown]
	v_fma_f64 v[172:173], v[4:5], v[144:145], -v[146:147]
	ds_load_b128 v[4:7], v2 offset:1200
	s_wait_loadcnt_dscnt 0xa01
	v_mul_f64_e32 v[170:171], v[160:161], v[158:159]
	v_mul_f64_e32 v[158:159], v[162:163], v[158:159]
	scratch_load_b128 v[144:147], off, off offset:608
	v_add_f64_e32 v[164:165], v[164:165], v[168:169]
	v_add_f64_e32 v[174:175], v[154:155], v[152:153]
	s_wait_loadcnt_dscnt 0xa00
	v_mul_f64_e32 v[168:169], v[4:5], v[142:143]
	v_mul_f64_e32 v[142:143], v[6:7], v[142:143]
	v_fmac_f64_e32 v[170:171], v[162:163], v[156:157]
	v_fma_f64 v[160:161], v[160:161], v[156:157], -v[158:159]
	ds_load_b128 v[152:155], v2 offset:1216
	scratch_load_b128 v[156:159], off, off offset:624
	v_add_f64_e32 v[164:165], v[164:165], v[166:167]
	v_add_f64_e32 v[162:163], v[174:175], v[172:173]
	v_fmac_f64_e32 v[168:169], v[6:7], v[140:141]
	v_fma_f64 v[172:173], v[4:5], v[140:141], -v[142:143]
	ds_load_b128 v[4:7], v2 offset:1232
	s_wait_loadcnt_dscnt 0xa01
	v_mul_f64_e32 v[166:167], v[152:153], v[10:11]
	v_mul_f64_e32 v[10:11], v[154:155], v[10:11]
	scratch_load_b128 v[140:143], off, off offset:640
	v_add_f64_e32 v[164:165], v[164:165], v[170:171]
	s_wait_loadcnt_dscnt 0xa00
	v_mul_f64_e32 v[170:171], v[4:5], v[14:15]
	v_add_f64_e32 v[174:175], v[162:163], v[160:161]
	v_mul_f64_e32 v[14:15], v[6:7], v[14:15]
	ds_load_b128 v[160:163], v2 offset:1248
	v_fmac_f64_e32 v[166:167], v[154:155], v[8:9]
	v_fma_f64 v[152:153], v[152:153], v[8:9], -v[10:11]
	scratch_load_b128 v[8:11], off, off offset:656
	v_add_f64_e32 v[164:165], v[164:165], v[168:169]
	v_fmac_f64_e32 v[170:171], v[6:7], v[12:13]
	v_add_f64_e32 v[154:155], v[174:175], v[172:173]
	v_fma_f64 v[172:173], v[4:5], v[12:13], -v[14:15]
	ds_load_b128 v[4:7], v2 offset:1264
	s_wait_loadcnt_dscnt 0xa01
	v_mul_f64_e32 v[168:169], v[160:161], v[18:19]
	v_mul_f64_e32 v[18:19], v[162:163], v[18:19]
	scratch_load_b128 v[12:15], off, off offset:672
	v_add_f64_e32 v[164:165], v[164:165], v[166:167]
	s_wait_loadcnt_dscnt 0xa00
	v_mul_f64_e32 v[166:167], v[4:5], v[22:23]
	v_add_f64_e32 v[174:175], v[154:155], v[152:153]
	v_mul_f64_e32 v[22:23], v[6:7], v[22:23]
	ds_load_b128 v[152:155], v2 offset:1280
	v_fmac_f64_e32 v[168:169], v[162:163], v[16:17]
	v_fma_f64 v[160:161], v[160:161], v[16:17], -v[18:19]
	scratch_load_b128 v[16:19], off, off offset:688
	v_add_f64_e32 v[164:165], v[164:165], v[170:171]
	v_fmac_f64_e32 v[166:167], v[6:7], v[20:21]
	v_add_f64_e32 v[162:163], v[174:175], v[172:173]
	;; [unrolled: 18-line block ×3, first 2 shown]
	v_fma_f64 v[172:173], v[4:5], v[28:29], -v[30:31]
	ds_load_b128 v[4:7], v2 offset:1328
	s_wait_loadcnt_dscnt 0xa01
	v_mul_f64_e32 v[166:167], v[160:161], v[130:131]
	v_mul_f64_e32 v[130:131], v[162:163], v[130:131]
	scratch_load_b128 v[28:31], off, off offset:736
	v_add_f64_e32 v[164:165], v[164:165], v[170:171]
	s_wait_loadcnt_dscnt 0xa00
	v_mul_f64_e32 v[170:171], v[4:5], v[134:135]
	v_add_f64_e32 v[174:175], v[154:155], v[152:153]
	v_mul_f64_e32 v[134:135], v[6:7], v[134:135]
	ds_load_b128 v[152:155], v2 offset:1344
	v_fmac_f64_e32 v[166:167], v[162:163], v[128:129]
	v_fma_f64 v[128:129], v[160:161], v[128:129], -v[130:131]
	s_wait_loadcnt_dscnt 0x900
	v_mul_f64_e32 v[162:163], v[152:153], v[138:139]
	v_mul_f64_e32 v[138:139], v[154:155], v[138:139]
	v_add_f64_e32 v[160:161], v[164:165], v[168:169]
	v_fmac_f64_e32 v[170:171], v[6:7], v[132:133]
	v_add_f64_e32 v[130:131], v[174:175], v[172:173]
	v_fma_f64 v[132:133], v[4:5], v[132:133], -v[134:135]
	v_fmac_f64_e32 v[162:163], v[154:155], v[136:137]
	v_fma_f64 v[136:137], v[152:153], v[136:137], -v[138:139]
	v_add_f64_e32 v[160:161], v[160:161], v[166:167]
	v_add_f64_e32 v[134:135], v[130:131], v[128:129]
	ds_load_b128 v[4:7], v2 offset:1360
	ds_load_b128 v[128:131], v2 offset:1376
	s_wait_loadcnt_dscnt 0x801
	v_mul_f64_e32 v[164:165], v[4:5], v[146:147]
	v_mul_f64_e32 v[146:147], v[6:7], v[146:147]
	s_wait_loadcnt_dscnt 0x700
	v_mul_f64_e32 v[138:139], v[128:129], v[158:159]
	v_mul_f64_e32 v[152:153], v[130:131], v[158:159]
	v_add_f64_e32 v[132:133], v[134:135], v[132:133]
	v_add_f64_e32 v[134:135], v[160:161], v[170:171]
	v_fmac_f64_e32 v[164:165], v[6:7], v[144:145]
	v_fma_f64 v[144:145], v[4:5], v[144:145], -v[146:147]
	v_fmac_f64_e32 v[138:139], v[130:131], v[156:157]
	v_fma_f64 v[128:129], v[128:129], v[156:157], -v[152:153]
	v_add_f64_e32 v[136:137], v[132:133], v[136:137]
	v_add_f64_e32 v[146:147], v[134:135], v[162:163]
	ds_load_b128 v[4:7], v2 offset:1392
	ds_load_b128 v[132:135], v2 offset:1408
	s_wait_loadcnt_dscnt 0x601
	v_mul_f64_e32 v[154:155], v[4:5], v[142:143]
	v_mul_f64_e32 v[142:143], v[6:7], v[142:143]
	v_add_f64_e32 v[130:131], v[136:137], v[144:145]
	v_add_f64_e32 v[136:137], v[146:147], v[164:165]
	s_wait_loadcnt_dscnt 0x500
	v_mul_f64_e32 v[144:145], v[132:133], v[10:11]
	v_mul_f64_e32 v[10:11], v[134:135], v[10:11]
	v_fmac_f64_e32 v[154:155], v[6:7], v[140:141]
	v_fma_f64 v[140:141], v[4:5], v[140:141], -v[142:143]
	v_add_f64_e32 v[142:143], v[130:131], v[128:129]
	v_add_f64_e32 v[136:137], v[136:137], v[138:139]
	ds_load_b128 v[4:7], v2 offset:1424
	ds_load_b128 v[128:131], v2 offset:1440
	v_fmac_f64_e32 v[144:145], v[134:135], v[8:9]
	v_fma_f64 v[8:9], v[132:133], v[8:9], -v[10:11]
	s_wait_loadcnt_dscnt 0x401
	v_mul_f64_e32 v[138:139], v[4:5], v[14:15]
	v_mul_f64_e32 v[14:15], v[6:7], v[14:15]
	s_wait_loadcnt_dscnt 0x300
	v_mul_f64_e32 v[134:135], v[128:129], v[18:19]
	v_mul_f64_e32 v[18:19], v[130:131], v[18:19]
	v_add_f64_e32 v[10:11], v[142:143], v[140:141]
	v_add_f64_e32 v[132:133], v[136:137], v[154:155]
	v_fmac_f64_e32 v[138:139], v[6:7], v[12:13]
	v_fma_f64 v[12:13], v[4:5], v[12:13], -v[14:15]
	v_fmac_f64_e32 v[134:135], v[130:131], v[16:17]
	v_fma_f64 v[16:17], v[128:129], v[16:17], -v[18:19]
	v_add_f64_e32 v[14:15], v[10:11], v[8:9]
	v_add_f64_e32 v[132:133], v[132:133], v[144:145]
	ds_load_b128 v[4:7], v2 offset:1456
	ds_load_b128 v[8:11], v2 offset:1472
	s_wait_loadcnt_dscnt 0x201
	v_mul_f64_e32 v[136:137], v[4:5], v[22:23]
	v_mul_f64_e32 v[22:23], v[6:7], v[22:23]
	s_wait_loadcnt_dscnt 0x100
	v_mul_f64_e32 v[18:19], v[8:9], v[26:27]
	v_mul_f64_e32 v[26:27], v[10:11], v[26:27]
	v_add_f64_e32 v[12:13], v[14:15], v[12:13]
	v_add_f64_e32 v[14:15], v[132:133], v[138:139]
	v_fmac_f64_e32 v[136:137], v[6:7], v[20:21]
	v_fma_f64 v[20:21], v[4:5], v[20:21], -v[22:23]
	ds_load_b128 v[4:7], v2 offset:1488
	v_fmac_f64_e32 v[18:19], v[10:11], v[24:25]
	v_fma_f64 v[8:9], v[8:9], v[24:25], -v[26:27]
	v_add_f64_e32 v[12:13], v[12:13], v[16:17]
	v_add_f64_e32 v[14:15], v[14:15], v[134:135]
	s_wait_loadcnt_dscnt 0x0
	v_mul_f64_e32 v[16:17], v[4:5], v[30:31]
	v_mul_f64_e32 v[22:23], v[6:7], v[30:31]
	s_delay_alu instid0(VALU_DEP_4) | instskip(NEXT) | instid1(VALU_DEP_4)
	v_add_f64_e32 v[10:11], v[12:13], v[20:21]
	v_add_f64_e32 v[12:13], v[14:15], v[136:137]
	s_delay_alu instid0(VALU_DEP_4) | instskip(NEXT) | instid1(VALU_DEP_4)
	v_fmac_f64_e32 v[16:17], v[6:7], v[28:29]
	v_fma_f64 v[4:5], v[4:5], v[28:29], -v[22:23]
	s_delay_alu instid0(VALU_DEP_4) | instskip(NEXT) | instid1(VALU_DEP_4)
	v_add_f64_e32 v[6:7], v[10:11], v[8:9]
	v_add_f64_e32 v[8:9], v[12:13], v[18:19]
	s_delay_alu instid0(VALU_DEP_2) | instskip(NEXT) | instid1(VALU_DEP_2)
	v_add_f64_e32 v[4:5], v[6:7], v[4:5]
	v_add_f64_e32 v[6:7], v[8:9], v[16:17]
	s_delay_alu instid0(VALU_DEP_2) | instskip(NEXT) | instid1(VALU_DEP_2)
	v_add_f64_e64 v[4:5], v[148:149], -v[4:5]
	v_add_f64_e64 v[6:7], v[150:151], -v[6:7]
	scratch_store_b128 off, v[4:7], off offset:240
	s_wait_xcnt 0x0
	v_cmpx_lt_u32_e32 14, v1
	s_cbranch_execz .LBB46_267
; %bb.266:
	scratch_load_b128 v[6:9], off, s58
	v_dual_mov_b32 v3, v2 :: v_dual_mov_b32 v4, v2
	v_mov_b32_e32 v5, v2
	scratch_store_b128 off, v[2:5], off offset:224
	s_wait_loadcnt 0x0
	ds_store_b128 v126, v[6:9]
.LBB46_267:
	s_wait_xcnt 0x0
	s_or_b32 exec_lo, exec_lo, s2
	s_wait_storecnt_dscnt 0x0
	s_barrier_signal -1
	s_barrier_wait -1
	s_clause 0x9
	scratch_load_b128 v[4:7], off, off offset:240
	scratch_load_b128 v[8:11], off, off offset:256
	;; [unrolled: 1-line block ×10, first 2 shown]
	ds_load_b128 v[140:143], v2 offset:992
	ds_load_b128 v[148:151], v2 offset:1008
	s_clause 0x2
	scratch_load_b128 v[144:147], off, off offset:400
	scratch_load_b128 v[152:155], off, off offset:224
	scratch_load_b128 v[156:159], off, off offset:416
	s_mov_b32 s2, exec_lo
	s_wait_loadcnt_dscnt 0xc01
	v_mul_f64_e32 v[160:161], v[142:143], v[6:7]
	v_mul_f64_e32 v[164:165], v[140:141], v[6:7]
	s_wait_loadcnt_dscnt 0xb00
	v_mul_f64_e32 v[166:167], v[148:149], v[10:11]
	v_mul_f64_e32 v[10:11], v[150:151], v[10:11]
	s_delay_alu instid0(VALU_DEP_4) | instskip(NEXT) | instid1(VALU_DEP_4)
	v_fma_f64 v[168:169], v[140:141], v[4:5], -v[160:161]
	v_fmac_f64_e32 v[164:165], v[142:143], v[4:5]
	ds_load_b128 v[4:7], v2 offset:1024
	ds_load_b128 v[140:143], v2 offset:1040
	scratch_load_b128 v[160:163], off, off offset:432
	v_fmac_f64_e32 v[166:167], v[150:151], v[8:9]
	v_fma_f64 v[148:149], v[148:149], v[8:9], -v[10:11]
	scratch_load_b128 v[8:11], off, off offset:448
	s_wait_loadcnt_dscnt 0xc01
	v_mul_f64_e32 v[170:171], v[4:5], v[14:15]
	v_mul_f64_e32 v[14:15], v[6:7], v[14:15]
	v_add_f64_e32 v[150:151], 0, v[168:169]
	v_add_f64_e32 v[164:165], 0, v[164:165]
	s_wait_loadcnt_dscnt 0xb00
	v_mul_f64_e32 v[168:169], v[140:141], v[18:19]
	v_mul_f64_e32 v[18:19], v[142:143], v[18:19]
	v_fmac_f64_e32 v[170:171], v[6:7], v[12:13]
	v_fma_f64 v[172:173], v[4:5], v[12:13], -v[14:15]
	ds_load_b128 v[4:7], v2 offset:1056
	ds_load_b128 v[12:15], v2 offset:1072
	v_add_f64_e32 v[174:175], v[150:151], v[148:149]
	v_add_f64_e32 v[164:165], v[164:165], v[166:167]
	scratch_load_b128 v[148:151], off, off offset:464
	v_fmac_f64_e32 v[168:169], v[142:143], v[16:17]
	v_fma_f64 v[140:141], v[140:141], v[16:17], -v[18:19]
	scratch_load_b128 v[16:19], off, off offset:480
	s_wait_loadcnt_dscnt 0xc01
	v_mul_f64_e32 v[166:167], v[4:5], v[22:23]
	v_mul_f64_e32 v[22:23], v[6:7], v[22:23]
	v_add_f64_e32 v[142:143], v[174:175], v[172:173]
	v_add_f64_e32 v[164:165], v[164:165], v[170:171]
	s_wait_loadcnt_dscnt 0xb00
	v_mul_f64_e32 v[170:171], v[12:13], v[26:27]
	v_mul_f64_e32 v[26:27], v[14:15], v[26:27]
	v_fmac_f64_e32 v[166:167], v[6:7], v[20:21]
	v_fma_f64 v[172:173], v[4:5], v[20:21], -v[22:23]
	ds_load_b128 v[4:7], v2 offset:1088
	ds_load_b128 v[20:23], v2 offset:1104
	v_add_f64_e32 v[174:175], v[142:143], v[140:141]
	v_add_f64_e32 v[164:165], v[164:165], v[168:169]
	scratch_load_b128 v[140:143], off, off offset:496
	s_wait_loadcnt_dscnt 0xb01
	v_mul_f64_e32 v[168:169], v[4:5], v[30:31]
	v_mul_f64_e32 v[30:31], v[6:7], v[30:31]
	v_fmac_f64_e32 v[170:171], v[14:15], v[24:25]
	v_fma_f64 v[24:25], v[12:13], v[24:25], -v[26:27]
	scratch_load_b128 v[12:15], off, off offset:512
	v_add_f64_e32 v[26:27], v[174:175], v[172:173]
	v_add_f64_e32 v[164:165], v[164:165], v[166:167]
	s_wait_loadcnt_dscnt 0xb00
	v_mul_f64_e32 v[166:167], v[20:21], v[130:131]
	v_mul_f64_e32 v[130:131], v[22:23], v[130:131]
	v_fmac_f64_e32 v[168:169], v[6:7], v[28:29]
	v_fma_f64 v[172:173], v[4:5], v[28:29], -v[30:31]
	v_add_f64_e32 v[174:175], v[26:27], v[24:25]
	v_add_f64_e32 v[164:165], v[164:165], v[170:171]
	ds_load_b128 v[4:7], v2 offset:1120
	ds_load_b128 v[24:27], v2 offset:1136
	scratch_load_b128 v[28:31], off, off offset:528
	v_fmac_f64_e32 v[166:167], v[22:23], v[128:129]
	v_fma_f64 v[128:129], v[20:21], v[128:129], -v[130:131]
	scratch_load_b128 v[20:23], off, off offset:544
	s_wait_loadcnt_dscnt 0xc01
	v_mul_f64_e32 v[170:171], v[4:5], v[134:135]
	v_mul_f64_e32 v[134:135], v[6:7], v[134:135]
	v_add_f64_e32 v[130:131], v[174:175], v[172:173]
	v_add_f64_e32 v[164:165], v[164:165], v[168:169]
	s_wait_loadcnt_dscnt 0xb00
	v_mul_f64_e32 v[168:169], v[24:25], v[138:139]
	v_mul_f64_e32 v[138:139], v[26:27], v[138:139]
	v_fmac_f64_e32 v[170:171], v[6:7], v[132:133]
	v_fma_f64 v[172:173], v[4:5], v[132:133], -v[134:135]
	v_add_f64_e32 v[174:175], v[130:131], v[128:129]
	v_add_f64_e32 v[164:165], v[164:165], v[166:167]
	ds_load_b128 v[4:7], v2 offset:1152
	ds_load_b128 v[128:131], v2 offset:1168
	scratch_load_b128 v[132:135], off, off offset:560
	v_fmac_f64_e32 v[168:169], v[26:27], v[136:137]
	v_fma_f64 v[136:137], v[24:25], v[136:137], -v[138:139]
	scratch_load_b128 v[24:27], off, off offset:576
	s_wait_loadcnt_dscnt 0xc01
	v_mul_f64_e32 v[166:167], v[4:5], v[146:147]
	v_mul_f64_e32 v[146:147], v[6:7], v[146:147]
	;; [unrolled: 18-line block ×5, first 2 shown]
	v_add_f64_e32 v[158:159], v[174:175], v[172:173]
	v_add_f64_e32 v[164:165], v[164:165], v[170:171]
	s_wait_loadcnt_dscnt 0xa00
	v_mul_f64_e32 v[170:171], v[136:137], v[14:15]
	v_mul_f64_e32 v[14:15], v[138:139], v[14:15]
	v_fmac_f64_e32 v[166:167], v[6:7], v[140:141]
	v_fma_f64 v[172:173], v[4:5], v[140:141], -v[142:143]
	ds_load_b128 v[4:7], v2 offset:1280
	ds_load_b128 v[140:143], v2 offset:1296
	v_add_f64_e32 v[174:175], v[158:159], v[156:157]
	v_add_f64_e32 v[164:165], v[164:165], v[168:169]
	scratch_load_b128 v[156:159], off, off offset:688
	v_fmac_f64_e32 v[170:171], v[138:139], v[12:13]
	v_fma_f64 v[136:137], v[136:137], v[12:13], -v[14:15]
	scratch_load_b128 v[12:15], off, off offset:704
	s_wait_loadcnt_dscnt 0xb01
	v_mul_f64_e32 v[168:169], v[4:5], v[30:31]
	v_mul_f64_e32 v[30:31], v[6:7], v[30:31]
	v_add_f64_e32 v[138:139], v[174:175], v[172:173]
	v_add_f64_e32 v[164:165], v[164:165], v[166:167]
	s_wait_loadcnt_dscnt 0xa00
	v_mul_f64_e32 v[166:167], v[140:141], v[22:23]
	v_mul_f64_e32 v[22:23], v[142:143], v[22:23]
	v_fmac_f64_e32 v[168:169], v[6:7], v[28:29]
	v_fma_f64 v[172:173], v[4:5], v[28:29], -v[30:31]
	ds_load_b128 v[4:7], v2 offset:1312
	ds_load_b128 v[28:31], v2 offset:1328
	v_add_f64_e32 v[174:175], v[138:139], v[136:137]
	v_add_f64_e32 v[164:165], v[164:165], v[170:171]
	scratch_load_b128 v[136:139], off, off offset:720
	s_wait_loadcnt_dscnt 0xa01
	v_mul_f64_e32 v[170:171], v[4:5], v[134:135]
	v_mul_f64_e32 v[134:135], v[6:7], v[134:135]
	v_fmac_f64_e32 v[166:167], v[142:143], v[20:21]
	v_fma_f64 v[140:141], v[140:141], v[20:21], -v[22:23]
	scratch_load_b128 v[20:23], off, off offset:736
	v_add_f64_e32 v[142:143], v[174:175], v[172:173]
	v_add_f64_e32 v[164:165], v[164:165], v[168:169]
	s_wait_loadcnt_dscnt 0xa00
	v_mul_f64_e32 v[168:169], v[28:29], v[26:27]
	v_mul_f64_e32 v[26:27], v[30:31], v[26:27]
	v_fmac_f64_e32 v[170:171], v[6:7], v[132:133]
	v_fma_f64 v[172:173], v[4:5], v[132:133], -v[134:135]
	ds_load_b128 v[4:7], v2 offset:1344
	ds_load_b128 v[132:135], v2 offset:1360
	v_add_f64_e32 v[140:141], v[142:143], v[140:141]
	v_add_f64_e32 v[142:143], v[164:165], v[166:167]
	v_fmac_f64_e32 v[168:169], v[30:31], v[24:25]
	s_wait_loadcnt_dscnt 0x901
	v_mul_f64_e32 v[164:165], v[4:5], v[146:147]
	v_mul_f64_e32 v[146:147], v[6:7], v[146:147]
	v_fma_f64 v[24:25], v[28:29], v[24:25], -v[26:27]
	s_wait_loadcnt_dscnt 0x800
	v_mul_f64_e32 v[30:31], v[132:133], v[130:131]
	v_mul_f64_e32 v[130:131], v[134:135], v[130:131]
	v_add_f64_e32 v[26:27], v[140:141], v[172:173]
	v_add_f64_e32 v[28:29], v[142:143], v[170:171]
	v_fmac_f64_e32 v[164:165], v[6:7], v[144:145]
	v_fma_f64 v[140:141], v[4:5], v[144:145], -v[146:147]
	v_fmac_f64_e32 v[30:31], v[134:135], v[128:129]
	v_fma_f64 v[128:129], v[132:133], v[128:129], -v[130:131]
	v_add_f64_e32 v[142:143], v[26:27], v[24:25]
	v_add_f64_e32 v[28:29], v[28:29], v[168:169]
	ds_load_b128 v[4:7], v2 offset:1376
	ds_load_b128 v[24:27], v2 offset:1392
	s_wait_loadcnt_dscnt 0x701
	v_mul_f64_e32 v[144:145], v[4:5], v[162:163]
	v_mul_f64_e32 v[146:147], v[6:7], v[162:163]
	s_wait_loadcnt_dscnt 0x600
	v_mul_f64_e32 v[132:133], v[24:25], v[10:11]
	v_mul_f64_e32 v[10:11], v[26:27], v[10:11]
	v_add_f64_e32 v[130:131], v[142:143], v[140:141]
	v_add_f64_e32 v[28:29], v[28:29], v[164:165]
	v_fmac_f64_e32 v[144:145], v[6:7], v[160:161]
	v_fma_f64 v[134:135], v[4:5], v[160:161], -v[146:147]
	v_fmac_f64_e32 v[132:133], v[26:27], v[8:9]
	v_fma_f64 v[8:9], v[24:25], v[8:9], -v[10:11]
	v_add_f64_e32 v[128:129], v[130:131], v[128:129]
	v_add_f64_e32 v[130:131], v[28:29], v[30:31]
	ds_load_b128 v[4:7], v2 offset:1408
	ds_load_b128 v[28:31], v2 offset:1424
	s_wait_loadcnt_dscnt 0x501
	v_mul_f64_e32 v[140:141], v[4:5], v[150:151]
	v_mul_f64_e32 v[142:143], v[6:7], v[150:151]
	;; [unrolled: 16-line block ×4, first 2 shown]
	v_add_f64_e32 v[10:11], v[18:19], v[128:129]
	v_add_f64_e32 v[12:13], v[24:25], v[132:133]
	s_wait_loadcnt_dscnt 0x0
	v_mul_f64_e32 v[18:19], v[14:15], v[22:23]
	v_mul_f64_e32 v[22:23], v[16:17], v[22:23]
	v_fmac_f64_e32 v[2:3], v[6:7], v[136:137]
	v_fma_f64 v[4:5], v[4:5], v[136:137], -v[26:27]
	v_add_f64_e32 v[6:7], v[10:11], v[8:9]
	v_add_f64_e32 v[8:9], v[12:13], v[28:29]
	v_fmac_f64_e32 v[18:19], v[16:17], v[20:21]
	v_fma_f64 v[10:11], v[14:15], v[20:21], -v[22:23]
	s_delay_alu instid0(VALU_DEP_4) | instskip(NEXT) | instid1(VALU_DEP_4)
	v_add_f64_e32 v[4:5], v[6:7], v[4:5]
	v_add_f64_e32 v[2:3], v[8:9], v[2:3]
	s_delay_alu instid0(VALU_DEP_2) | instskip(NEXT) | instid1(VALU_DEP_2)
	v_add_f64_e32 v[4:5], v[4:5], v[10:11]
	v_add_f64_e32 v[6:7], v[2:3], v[18:19]
	s_delay_alu instid0(VALU_DEP_2) | instskip(NEXT) | instid1(VALU_DEP_2)
	v_add_f64_e64 v[2:3], v[152:153], -v[4:5]
	v_add_f64_e64 v[4:5], v[154:155], -v[6:7]
	scratch_store_b128 off, v[2:5], off offset:224
	s_wait_xcnt 0x0
	v_cmpx_lt_u32_e32 13, v1
	s_cbranch_execz .LBB46_269
; %bb.268:
	scratch_load_b128 v[2:5], off, s57
	v_mov_b32_e32 v6, 0
	s_delay_alu instid0(VALU_DEP_1)
	v_dual_mov_b32 v7, v6 :: v_dual_mov_b32 v8, v6
	v_mov_b32_e32 v9, v6
	scratch_store_b128 off, v[6:9], off offset:208
	s_wait_loadcnt 0x0
	ds_store_b128 v126, v[2:5]
.LBB46_269:
	s_wait_xcnt 0x0
	s_or_b32 exec_lo, exec_lo, s2
	s_wait_storecnt_dscnt 0x0
	s_barrier_signal -1
	s_barrier_wait -1
	s_clause 0x9
	scratch_load_b128 v[4:7], off, off offset:224
	scratch_load_b128 v[8:11], off, off offset:240
	;; [unrolled: 1-line block ×10, first 2 shown]
	v_mov_b32_e32 v2, 0
	s_mov_b32 s2, exec_lo
	ds_load_b128 v[140:143], v2 offset:976
	s_clause 0x2
	scratch_load_b128 v[144:147], off, off offset:384
	scratch_load_b128 v[148:151], off, off offset:208
	;; [unrolled: 1-line block ×3, first 2 shown]
	s_wait_loadcnt_dscnt 0xc00
	v_mul_f64_e32 v[160:161], v[142:143], v[6:7]
	v_mul_f64_e32 v[164:165], v[140:141], v[6:7]
	ds_load_b128 v[152:155], v2 offset:992
	v_fma_f64 v[168:169], v[140:141], v[4:5], -v[160:161]
	v_fmac_f64_e32 v[164:165], v[142:143], v[4:5]
	ds_load_b128 v[4:7], v2 offset:1008
	s_wait_loadcnt_dscnt 0xb01
	v_mul_f64_e32 v[166:167], v[152:153], v[10:11]
	v_mul_f64_e32 v[10:11], v[154:155], v[10:11]
	scratch_load_b128 v[140:143], off, off offset:416
	ds_load_b128 v[160:163], v2 offset:1024
	s_wait_loadcnt_dscnt 0xb01
	v_mul_f64_e32 v[170:171], v[4:5], v[14:15]
	v_mul_f64_e32 v[14:15], v[6:7], v[14:15]
	v_add_f64_e32 v[164:165], 0, v[164:165]
	v_fmac_f64_e32 v[166:167], v[154:155], v[8:9]
	v_fma_f64 v[152:153], v[152:153], v[8:9], -v[10:11]
	v_add_f64_e32 v[154:155], 0, v[168:169]
	scratch_load_b128 v[8:11], off, off offset:432
	v_fmac_f64_e32 v[170:171], v[6:7], v[12:13]
	v_fma_f64 v[172:173], v[4:5], v[12:13], -v[14:15]
	ds_load_b128 v[4:7], v2 offset:1040
	s_wait_loadcnt_dscnt 0xb01
	v_mul_f64_e32 v[168:169], v[160:161], v[18:19]
	v_mul_f64_e32 v[18:19], v[162:163], v[18:19]
	scratch_load_b128 v[12:15], off, off offset:448
	v_add_f64_e32 v[164:165], v[164:165], v[166:167]
	v_add_f64_e32 v[174:175], v[154:155], v[152:153]
	ds_load_b128 v[152:155], v2 offset:1056
	s_wait_loadcnt_dscnt 0xb01
	v_mul_f64_e32 v[166:167], v[4:5], v[22:23]
	v_mul_f64_e32 v[22:23], v[6:7], v[22:23]
	v_fmac_f64_e32 v[168:169], v[162:163], v[16:17]
	v_fma_f64 v[160:161], v[160:161], v[16:17], -v[18:19]
	scratch_load_b128 v[16:19], off, off offset:464
	v_add_f64_e32 v[164:165], v[164:165], v[170:171]
	v_add_f64_e32 v[162:163], v[174:175], v[172:173]
	v_fmac_f64_e32 v[166:167], v[6:7], v[20:21]
	v_fma_f64 v[172:173], v[4:5], v[20:21], -v[22:23]
	ds_load_b128 v[4:7], v2 offset:1072
	s_wait_loadcnt_dscnt 0xb01
	v_mul_f64_e32 v[170:171], v[152:153], v[26:27]
	v_mul_f64_e32 v[26:27], v[154:155], v[26:27]
	scratch_load_b128 v[20:23], off, off offset:480
	v_add_f64_e32 v[164:165], v[164:165], v[168:169]
	s_wait_loadcnt_dscnt 0xb00
	v_mul_f64_e32 v[168:169], v[4:5], v[30:31]
	v_add_f64_e32 v[174:175], v[162:163], v[160:161]
	v_mul_f64_e32 v[30:31], v[6:7], v[30:31]
	ds_load_b128 v[160:163], v2 offset:1088
	v_fmac_f64_e32 v[170:171], v[154:155], v[24:25]
	v_fma_f64 v[152:153], v[152:153], v[24:25], -v[26:27]
	scratch_load_b128 v[24:27], off, off offset:496
	v_add_f64_e32 v[164:165], v[164:165], v[166:167]
	v_fmac_f64_e32 v[168:169], v[6:7], v[28:29]
	v_add_f64_e32 v[154:155], v[174:175], v[172:173]
	v_fma_f64 v[172:173], v[4:5], v[28:29], -v[30:31]
	ds_load_b128 v[4:7], v2 offset:1104
	s_wait_loadcnt_dscnt 0xb01
	v_mul_f64_e32 v[166:167], v[160:161], v[130:131]
	v_mul_f64_e32 v[130:131], v[162:163], v[130:131]
	scratch_load_b128 v[28:31], off, off offset:512
	v_add_f64_e32 v[164:165], v[164:165], v[170:171]
	s_wait_loadcnt_dscnt 0xb00
	v_mul_f64_e32 v[170:171], v[4:5], v[134:135]
	v_add_f64_e32 v[174:175], v[154:155], v[152:153]
	v_mul_f64_e32 v[134:135], v[6:7], v[134:135]
	ds_load_b128 v[152:155], v2 offset:1120
	v_fmac_f64_e32 v[166:167], v[162:163], v[128:129]
	v_fma_f64 v[160:161], v[160:161], v[128:129], -v[130:131]
	scratch_load_b128 v[128:131], off, off offset:528
	v_add_f64_e32 v[164:165], v[164:165], v[168:169]
	v_fmac_f64_e32 v[170:171], v[6:7], v[132:133]
	v_add_f64_e32 v[162:163], v[174:175], v[172:173]
	;; [unrolled: 18-line block ×3, first 2 shown]
	v_fma_f64 v[172:173], v[4:5], v[144:145], -v[146:147]
	ds_load_b128 v[4:7], v2 offset:1168
	s_wait_loadcnt_dscnt 0xa01
	v_mul_f64_e32 v[170:171], v[160:161], v[158:159]
	v_mul_f64_e32 v[158:159], v[162:163], v[158:159]
	scratch_load_b128 v[144:147], off, off offset:576
	v_add_f64_e32 v[164:165], v[164:165], v[168:169]
	v_add_f64_e32 v[174:175], v[154:155], v[152:153]
	s_wait_loadcnt_dscnt 0xa00
	v_mul_f64_e32 v[168:169], v[4:5], v[142:143]
	v_mul_f64_e32 v[142:143], v[6:7], v[142:143]
	v_fmac_f64_e32 v[170:171], v[162:163], v[156:157]
	v_fma_f64 v[160:161], v[160:161], v[156:157], -v[158:159]
	ds_load_b128 v[152:155], v2 offset:1184
	scratch_load_b128 v[156:159], off, off offset:592
	v_add_f64_e32 v[164:165], v[164:165], v[166:167]
	v_add_f64_e32 v[162:163], v[174:175], v[172:173]
	v_fmac_f64_e32 v[168:169], v[6:7], v[140:141]
	v_fma_f64 v[172:173], v[4:5], v[140:141], -v[142:143]
	ds_load_b128 v[4:7], v2 offset:1200
	s_wait_loadcnt_dscnt 0xa01
	v_mul_f64_e32 v[166:167], v[152:153], v[10:11]
	v_mul_f64_e32 v[10:11], v[154:155], v[10:11]
	scratch_load_b128 v[140:143], off, off offset:608
	v_add_f64_e32 v[164:165], v[164:165], v[170:171]
	s_wait_loadcnt_dscnt 0xa00
	v_mul_f64_e32 v[170:171], v[4:5], v[14:15]
	v_add_f64_e32 v[174:175], v[162:163], v[160:161]
	v_mul_f64_e32 v[14:15], v[6:7], v[14:15]
	ds_load_b128 v[160:163], v2 offset:1216
	v_fmac_f64_e32 v[166:167], v[154:155], v[8:9]
	v_fma_f64 v[152:153], v[152:153], v[8:9], -v[10:11]
	scratch_load_b128 v[8:11], off, off offset:624
	v_add_f64_e32 v[164:165], v[164:165], v[168:169]
	v_fmac_f64_e32 v[170:171], v[6:7], v[12:13]
	v_add_f64_e32 v[154:155], v[174:175], v[172:173]
	v_fma_f64 v[172:173], v[4:5], v[12:13], -v[14:15]
	ds_load_b128 v[4:7], v2 offset:1232
	s_wait_loadcnt_dscnt 0xa01
	v_mul_f64_e32 v[168:169], v[160:161], v[18:19]
	v_mul_f64_e32 v[18:19], v[162:163], v[18:19]
	scratch_load_b128 v[12:15], off, off offset:640
	v_add_f64_e32 v[164:165], v[164:165], v[166:167]
	s_wait_loadcnt_dscnt 0xa00
	v_mul_f64_e32 v[166:167], v[4:5], v[22:23]
	v_add_f64_e32 v[174:175], v[154:155], v[152:153]
	v_mul_f64_e32 v[22:23], v[6:7], v[22:23]
	ds_load_b128 v[152:155], v2 offset:1248
	v_fmac_f64_e32 v[168:169], v[162:163], v[16:17]
	v_fma_f64 v[160:161], v[160:161], v[16:17], -v[18:19]
	scratch_load_b128 v[16:19], off, off offset:656
	v_add_f64_e32 v[164:165], v[164:165], v[170:171]
	v_fmac_f64_e32 v[166:167], v[6:7], v[20:21]
	v_add_f64_e32 v[162:163], v[174:175], v[172:173]
	;; [unrolled: 18-line block ×4, first 2 shown]
	v_fma_f64 v[172:173], v[4:5], v[132:133], -v[134:135]
	ds_load_b128 v[4:7], v2 offset:1328
	s_wait_loadcnt_dscnt 0xa01
	v_mul_f64_e32 v[168:169], v[152:153], v[138:139]
	v_mul_f64_e32 v[138:139], v[154:155], v[138:139]
	scratch_load_b128 v[132:135], off, off offset:736
	v_add_f64_e32 v[164:165], v[164:165], v[166:167]
	s_wait_loadcnt_dscnt 0xa00
	v_mul_f64_e32 v[166:167], v[4:5], v[146:147]
	v_add_f64_e32 v[174:175], v[162:163], v[160:161]
	v_mul_f64_e32 v[146:147], v[6:7], v[146:147]
	ds_load_b128 v[160:163], v2 offset:1344
	v_fmac_f64_e32 v[168:169], v[154:155], v[136:137]
	v_fma_f64 v[136:137], v[152:153], v[136:137], -v[138:139]
	s_wait_loadcnt_dscnt 0x900
	v_mul_f64_e32 v[154:155], v[160:161], v[158:159]
	v_mul_f64_e32 v[158:159], v[162:163], v[158:159]
	v_add_f64_e32 v[152:153], v[164:165], v[170:171]
	v_fmac_f64_e32 v[166:167], v[6:7], v[144:145]
	v_add_f64_e32 v[138:139], v[174:175], v[172:173]
	v_fma_f64 v[144:145], v[4:5], v[144:145], -v[146:147]
	v_fmac_f64_e32 v[154:155], v[162:163], v[156:157]
	v_fma_f64 v[156:157], v[160:161], v[156:157], -v[158:159]
	v_add_f64_e32 v[152:153], v[152:153], v[168:169]
	v_add_f64_e32 v[146:147], v[138:139], v[136:137]
	ds_load_b128 v[4:7], v2 offset:1360
	ds_load_b128 v[136:139], v2 offset:1376
	s_wait_loadcnt_dscnt 0x801
	v_mul_f64_e32 v[164:165], v[4:5], v[142:143]
	v_mul_f64_e32 v[142:143], v[6:7], v[142:143]
	v_add_f64_e32 v[144:145], v[146:147], v[144:145]
	v_add_f64_e32 v[146:147], v[152:153], v[166:167]
	s_wait_loadcnt_dscnt 0x700
	v_mul_f64_e32 v[152:153], v[136:137], v[10:11]
	v_mul_f64_e32 v[10:11], v[138:139], v[10:11]
	v_fmac_f64_e32 v[164:165], v[6:7], v[140:141]
	v_fma_f64 v[158:159], v[4:5], v[140:141], -v[142:143]
	ds_load_b128 v[4:7], v2 offset:1392
	ds_load_b128 v[140:143], v2 offset:1408
	v_add_f64_e32 v[144:145], v[144:145], v[156:157]
	v_add_f64_e32 v[146:147], v[146:147], v[154:155]
	v_fmac_f64_e32 v[152:153], v[138:139], v[8:9]
	v_fma_f64 v[8:9], v[136:137], v[8:9], -v[10:11]
	s_wait_loadcnt_dscnt 0x601
	v_mul_f64_e32 v[154:155], v[4:5], v[14:15]
	v_mul_f64_e32 v[14:15], v[6:7], v[14:15]
	s_wait_loadcnt_dscnt 0x500
	v_mul_f64_e32 v[138:139], v[140:141], v[18:19]
	v_mul_f64_e32 v[18:19], v[142:143], v[18:19]
	v_add_f64_e32 v[10:11], v[144:145], v[158:159]
	v_add_f64_e32 v[136:137], v[146:147], v[164:165]
	v_fmac_f64_e32 v[154:155], v[6:7], v[12:13]
	v_fma_f64 v[12:13], v[4:5], v[12:13], -v[14:15]
	v_fmac_f64_e32 v[138:139], v[142:143], v[16:17]
	v_fma_f64 v[16:17], v[140:141], v[16:17], -v[18:19]
	v_add_f64_e32 v[14:15], v[10:11], v[8:9]
	v_add_f64_e32 v[136:137], v[136:137], v[152:153]
	ds_load_b128 v[4:7], v2 offset:1424
	ds_load_b128 v[8:11], v2 offset:1440
	s_wait_loadcnt_dscnt 0x401
	v_mul_f64_e32 v[144:145], v[4:5], v[22:23]
	v_mul_f64_e32 v[22:23], v[6:7], v[22:23]
	s_wait_loadcnt_dscnt 0x300
	v_mul_f64_e32 v[18:19], v[8:9], v[26:27]
	v_mul_f64_e32 v[26:27], v[10:11], v[26:27]
	v_add_f64_e32 v[12:13], v[14:15], v[12:13]
	v_add_f64_e32 v[14:15], v[136:137], v[154:155]
	v_fmac_f64_e32 v[144:145], v[6:7], v[20:21]
	v_fma_f64 v[20:21], v[4:5], v[20:21], -v[22:23]
	v_fmac_f64_e32 v[18:19], v[10:11], v[24:25]
	v_fma_f64 v[8:9], v[8:9], v[24:25], -v[26:27]
	v_add_f64_e32 v[16:17], v[12:13], v[16:17]
	v_add_f64_e32 v[22:23], v[14:15], v[138:139]
	ds_load_b128 v[4:7], v2 offset:1456
	ds_load_b128 v[12:15], v2 offset:1472
	s_wait_loadcnt_dscnt 0x201
	v_mul_f64_e32 v[136:137], v[4:5], v[30:31]
	v_mul_f64_e32 v[30:31], v[6:7], v[30:31]
	v_add_f64_e32 v[10:11], v[16:17], v[20:21]
	v_add_f64_e32 v[16:17], v[22:23], v[144:145]
	s_wait_loadcnt_dscnt 0x100
	v_mul_f64_e32 v[20:21], v[12:13], v[130:131]
	v_mul_f64_e32 v[22:23], v[14:15], v[130:131]
	v_fmac_f64_e32 v[136:137], v[6:7], v[28:29]
	v_fma_f64 v[24:25], v[4:5], v[28:29], -v[30:31]
	ds_load_b128 v[4:7], v2 offset:1488
	v_add_f64_e32 v[8:9], v[10:11], v[8:9]
	v_add_f64_e32 v[10:11], v[16:17], v[18:19]
	v_fmac_f64_e32 v[20:21], v[14:15], v[128:129]
	v_fma_f64 v[12:13], v[12:13], v[128:129], -v[22:23]
	s_wait_loadcnt_dscnt 0x0
	v_mul_f64_e32 v[16:17], v[4:5], v[134:135]
	v_mul_f64_e32 v[18:19], v[6:7], v[134:135]
	v_add_f64_e32 v[8:9], v[8:9], v[24:25]
	v_add_f64_e32 v[10:11], v[10:11], v[136:137]
	s_delay_alu instid0(VALU_DEP_4) | instskip(NEXT) | instid1(VALU_DEP_4)
	v_fmac_f64_e32 v[16:17], v[6:7], v[132:133]
	v_fma_f64 v[4:5], v[4:5], v[132:133], -v[18:19]
	s_delay_alu instid0(VALU_DEP_4) | instskip(NEXT) | instid1(VALU_DEP_4)
	v_add_f64_e32 v[6:7], v[8:9], v[12:13]
	v_add_f64_e32 v[8:9], v[10:11], v[20:21]
	s_delay_alu instid0(VALU_DEP_2) | instskip(NEXT) | instid1(VALU_DEP_2)
	v_add_f64_e32 v[4:5], v[6:7], v[4:5]
	v_add_f64_e32 v[6:7], v[8:9], v[16:17]
	s_delay_alu instid0(VALU_DEP_2) | instskip(NEXT) | instid1(VALU_DEP_2)
	v_add_f64_e64 v[4:5], v[148:149], -v[4:5]
	v_add_f64_e64 v[6:7], v[150:151], -v[6:7]
	scratch_store_b128 off, v[4:7], off offset:208
	s_wait_xcnt 0x0
	v_cmpx_lt_u32_e32 12, v1
	s_cbranch_execz .LBB46_271
; %bb.270:
	scratch_load_b128 v[6:9], off, s56
	v_dual_mov_b32 v3, v2 :: v_dual_mov_b32 v4, v2
	v_mov_b32_e32 v5, v2
	scratch_store_b128 off, v[2:5], off offset:192
	s_wait_loadcnt 0x0
	ds_store_b128 v126, v[6:9]
.LBB46_271:
	s_wait_xcnt 0x0
	s_or_b32 exec_lo, exec_lo, s2
	s_wait_storecnt_dscnt 0x0
	s_barrier_signal -1
	s_barrier_wait -1
	s_clause 0x9
	scratch_load_b128 v[4:7], off, off offset:208
	scratch_load_b128 v[8:11], off, off offset:224
	;; [unrolled: 1-line block ×10, first 2 shown]
	ds_load_b128 v[140:143], v2 offset:960
	ds_load_b128 v[148:151], v2 offset:976
	s_clause 0x2
	scratch_load_b128 v[144:147], off, off offset:368
	scratch_load_b128 v[152:155], off, off offset:192
	;; [unrolled: 1-line block ×3, first 2 shown]
	s_mov_b32 s2, exec_lo
	s_wait_loadcnt_dscnt 0xc01
	v_mul_f64_e32 v[160:161], v[142:143], v[6:7]
	v_mul_f64_e32 v[164:165], v[140:141], v[6:7]
	s_wait_loadcnt_dscnt 0xb00
	v_mul_f64_e32 v[166:167], v[148:149], v[10:11]
	v_mul_f64_e32 v[10:11], v[150:151], v[10:11]
	s_delay_alu instid0(VALU_DEP_4) | instskip(NEXT) | instid1(VALU_DEP_4)
	v_fma_f64 v[168:169], v[140:141], v[4:5], -v[160:161]
	v_fmac_f64_e32 v[164:165], v[142:143], v[4:5]
	ds_load_b128 v[4:7], v2 offset:992
	ds_load_b128 v[140:143], v2 offset:1008
	scratch_load_b128 v[160:163], off, off offset:400
	v_fmac_f64_e32 v[166:167], v[150:151], v[8:9]
	v_fma_f64 v[148:149], v[148:149], v[8:9], -v[10:11]
	scratch_load_b128 v[8:11], off, off offset:416
	s_wait_loadcnt_dscnt 0xc01
	v_mul_f64_e32 v[170:171], v[4:5], v[14:15]
	v_mul_f64_e32 v[14:15], v[6:7], v[14:15]
	v_add_f64_e32 v[150:151], 0, v[168:169]
	v_add_f64_e32 v[164:165], 0, v[164:165]
	s_wait_loadcnt_dscnt 0xb00
	v_mul_f64_e32 v[168:169], v[140:141], v[18:19]
	v_mul_f64_e32 v[18:19], v[142:143], v[18:19]
	v_fmac_f64_e32 v[170:171], v[6:7], v[12:13]
	v_fma_f64 v[172:173], v[4:5], v[12:13], -v[14:15]
	ds_load_b128 v[4:7], v2 offset:1024
	ds_load_b128 v[12:15], v2 offset:1040
	v_add_f64_e32 v[174:175], v[150:151], v[148:149]
	v_add_f64_e32 v[164:165], v[164:165], v[166:167]
	scratch_load_b128 v[148:151], off, off offset:432
	v_fmac_f64_e32 v[168:169], v[142:143], v[16:17]
	v_fma_f64 v[140:141], v[140:141], v[16:17], -v[18:19]
	scratch_load_b128 v[16:19], off, off offset:448
	s_wait_loadcnt_dscnt 0xc01
	v_mul_f64_e32 v[166:167], v[4:5], v[22:23]
	v_mul_f64_e32 v[22:23], v[6:7], v[22:23]
	v_add_f64_e32 v[142:143], v[174:175], v[172:173]
	v_add_f64_e32 v[164:165], v[164:165], v[170:171]
	s_wait_loadcnt_dscnt 0xb00
	v_mul_f64_e32 v[170:171], v[12:13], v[26:27]
	v_mul_f64_e32 v[26:27], v[14:15], v[26:27]
	v_fmac_f64_e32 v[166:167], v[6:7], v[20:21]
	v_fma_f64 v[172:173], v[4:5], v[20:21], -v[22:23]
	ds_load_b128 v[4:7], v2 offset:1056
	ds_load_b128 v[20:23], v2 offset:1072
	v_add_f64_e32 v[174:175], v[142:143], v[140:141]
	v_add_f64_e32 v[164:165], v[164:165], v[168:169]
	scratch_load_b128 v[140:143], off, off offset:464
	s_wait_loadcnt_dscnt 0xb01
	v_mul_f64_e32 v[168:169], v[4:5], v[30:31]
	v_mul_f64_e32 v[30:31], v[6:7], v[30:31]
	v_fmac_f64_e32 v[170:171], v[14:15], v[24:25]
	v_fma_f64 v[24:25], v[12:13], v[24:25], -v[26:27]
	scratch_load_b128 v[12:15], off, off offset:480
	v_add_f64_e32 v[26:27], v[174:175], v[172:173]
	v_add_f64_e32 v[164:165], v[164:165], v[166:167]
	s_wait_loadcnt_dscnt 0xb00
	v_mul_f64_e32 v[166:167], v[20:21], v[130:131]
	v_mul_f64_e32 v[130:131], v[22:23], v[130:131]
	v_fmac_f64_e32 v[168:169], v[6:7], v[28:29]
	v_fma_f64 v[172:173], v[4:5], v[28:29], -v[30:31]
	v_add_f64_e32 v[174:175], v[26:27], v[24:25]
	v_add_f64_e32 v[164:165], v[164:165], v[170:171]
	ds_load_b128 v[4:7], v2 offset:1088
	ds_load_b128 v[24:27], v2 offset:1104
	scratch_load_b128 v[28:31], off, off offset:496
	v_fmac_f64_e32 v[166:167], v[22:23], v[128:129]
	v_fma_f64 v[128:129], v[20:21], v[128:129], -v[130:131]
	scratch_load_b128 v[20:23], off, off offset:512
	s_wait_loadcnt_dscnt 0xc01
	v_mul_f64_e32 v[170:171], v[4:5], v[134:135]
	v_mul_f64_e32 v[134:135], v[6:7], v[134:135]
	v_add_f64_e32 v[130:131], v[174:175], v[172:173]
	v_add_f64_e32 v[164:165], v[164:165], v[168:169]
	s_wait_loadcnt_dscnt 0xb00
	v_mul_f64_e32 v[168:169], v[24:25], v[138:139]
	v_mul_f64_e32 v[138:139], v[26:27], v[138:139]
	v_fmac_f64_e32 v[170:171], v[6:7], v[132:133]
	v_fma_f64 v[172:173], v[4:5], v[132:133], -v[134:135]
	v_add_f64_e32 v[174:175], v[130:131], v[128:129]
	v_add_f64_e32 v[164:165], v[164:165], v[166:167]
	ds_load_b128 v[4:7], v2 offset:1120
	ds_load_b128 v[128:131], v2 offset:1136
	scratch_load_b128 v[132:135], off, off offset:528
	v_fmac_f64_e32 v[168:169], v[26:27], v[136:137]
	v_fma_f64 v[136:137], v[24:25], v[136:137], -v[138:139]
	scratch_load_b128 v[24:27], off, off offset:544
	s_wait_loadcnt_dscnt 0xc01
	v_mul_f64_e32 v[166:167], v[4:5], v[146:147]
	v_mul_f64_e32 v[146:147], v[6:7], v[146:147]
	;; [unrolled: 18-line block ×5, first 2 shown]
	v_add_f64_e32 v[158:159], v[174:175], v[172:173]
	v_add_f64_e32 v[164:165], v[164:165], v[170:171]
	s_wait_loadcnt_dscnt 0xa00
	v_mul_f64_e32 v[170:171], v[136:137], v[14:15]
	v_mul_f64_e32 v[14:15], v[138:139], v[14:15]
	v_fmac_f64_e32 v[166:167], v[6:7], v[140:141]
	v_fma_f64 v[172:173], v[4:5], v[140:141], -v[142:143]
	ds_load_b128 v[4:7], v2 offset:1248
	ds_load_b128 v[140:143], v2 offset:1264
	v_add_f64_e32 v[174:175], v[158:159], v[156:157]
	v_add_f64_e32 v[164:165], v[164:165], v[168:169]
	scratch_load_b128 v[156:159], off, off offset:656
	v_fmac_f64_e32 v[170:171], v[138:139], v[12:13]
	v_fma_f64 v[136:137], v[136:137], v[12:13], -v[14:15]
	scratch_load_b128 v[12:15], off, off offset:672
	s_wait_loadcnt_dscnt 0xb01
	v_mul_f64_e32 v[168:169], v[4:5], v[30:31]
	v_mul_f64_e32 v[30:31], v[6:7], v[30:31]
	v_add_f64_e32 v[138:139], v[174:175], v[172:173]
	v_add_f64_e32 v[164:165], v[164:165], v[166:167]
	s_wait_loadcnt_dscnt 0xa00
	v_mul_f64_e32 v[166:167], v[140:141], v[22:23]
	v_mul_f64_e32 v[22:23], v[142:143], v[22:23]
	v_fmac_f64_e32 v[168:169], v[6:7], v[28:29]
	v_fma_f64 v[172:173], v[4:5], v[28:29], -v[30:31]
	ds_load_b128 v[4:7], v2 offset:1280
	ds_load_b128 v[28:31], v2 offset:1296
	v_add_f64_e32 v[174:175], v[138:139], v[136:137]
	v_add_f64_e32 v[164:165], v[164:165], v[170:171]
	scratch_load_b128 v[136:139], off, off offset:688
	s_wait_loadcnt_dscnt 0xa01
	v_mul_f64_e32 v[170:171], v[4:5], v[134:135]
	v_mul_f64_e32 v[134:135], v[6:7], v[134:135]
	v_fmac_f64_e32 v[166:167], v[142:143], v[20:21]
	v_fma_f64 v[140:141], v[140:141], v[20:21], -v[22:23]
	scratch_load_b128 v[20:23], off, off offset:704
	v_add_f64_e32 v[142:143], v[174:175], v[172:173]
	v_add_f64_e32 v[164:165], v[164:165], v[168:169]
	s_wait_loadcnt_dscnt 0xa00
	v_mul_f64_e32 v[168:169], v[28:29], v[26:27]
	v_mul_f64_e32 v[26:27], v[30:31], v[26:27]
	v_fmac_f64_e32 v[170:171], v[6:7], v[132:133]
	v_fma_f64 v[172:173], v[4:5], v[132:133], -v[134:135]
	ds_load_b128 v[4:7], v2 offset:1312
	ds_load_b128 v[132:135], v2 offset:1328
	v_add_f64_e32 v[174:175], v[142:143], v[140:141]
	v_add_f64_e32 v[164:165], v[164:165], v[166:167]
	scratch_load_b128 v[140:143], off, off offset:720
	s_wait_loadcnt_dscnt 0xa01
	v_mul_f64_e32 v[166:167], v[4:5], v[146:147]
	v_mul_f64_e32 v[146:147], v[6:7], v[146:147]
	v_fmac_f64_e32 v[168:169], v[30:31], v[24:25]
	v_fma_f64 v[28:29], v[28:29], v[24:25], -v[26:27]
	scratch_load_b128 v[24:27], off, off offset:736
	v_add_f64_e32 v[30:31], v[174:175], v[172:173]
	v_add_f64_e32 v[164:165], v[164:165], v[170:171]
	s_wait_loadcnt_dscnt 0xa00
	v_mul_f64_e32 v[170:171], v[132:133], v[130:131]
	v_mul_f64_e32 v[130:131], v[134:135], v[130:131]
	v_fmac_f64_e32 v[166:167], v[6:7], v[144:145]
	v_fma_f64 v[144:145], v[4:5], v[144:145], -v[146:147]
	v_add_f64_e32 v[146:147], v[30:31], v[28:29]
	v_add_f64_e32 v[164:165], v[164:165], v[168:169]
	ds_load_b128 v[4:7], v2 offset:1344
	ds_load_b128 v[28:31], v2 offset:1360
	v_fmac_f64_e32 v[170:171], v[134:135], v[128:129]
	v_fma_f64 v[128:129], v[132:133], v[128:129], -v[130:131]
	s_wait_loadcnt_dscnt 0x901
	v_mul_f64_e32 v[168:169], v[4:5], v[162:163]
	v_mul_f64_e32 v[162:163], v[6:7], v[162:163]
	s_wait_loadcnt_dscnt 0x800
	v_mul_f64_e32 v[134:135], v[28:29], v[10:11]
	v_mul_f64_e32 v[10:11], v[30:31], v[10:11]
	v_add_f64_e32 v[130:131], v[146:147], v[144:145]
	v_add_f64_e32 v[132:133], v[164:165], v[166:167]
	v_fmac_f64_e32 v[168:169], v[6:7], v[160:161]
	v_fma_f64 v[144:145], v[4:5], v[160:161], -v[162:163]
	v_fmac_f64_e32 v[134:135], v[30:31], v[8:9]
	v_fma_f64 v[8:9], v[28:29], v[8:9], -v[10:11]
	v_add_f64_e32 v[146:147], v[130:131], v[128:129]
	v_add_f64_e32 v[132:133], v[132:133], v[170:171]
	ds_load_b128 v[4:7], v2 offset:1376
	ds_load_b128 v[128:131], v2 offset:1392
	s_wait_loadcnt_dscnt 0x701
	v_mul_f64_e32 v[160:161], v[4:5], v[150:151]
	v_mul_f64_e32 v[150:151], v[6:7], v[150:151]
	s_wait_loadcnt_dscnt 0x600
	v_mul_f64_e32 v[30:31], v[128:129], v[18:19]
	v_mul_f64_e32 v[18:19], v[130:131], v[18:19]
	v_add_f64_e32 v[10:11], v[146:147], v[144:145]
	v_add_f64_e32 v[28:29], v[132:133], v[168:169]
	v_fmac_f64_e32 v[160:161], v[6:7], v[148:149]
	v_fma_f64 v[132:133], v[4:5], v[148:149], -v[150:151]
	v_fmac_f64_e32 v[30:31], v[130:131], v[16:17]
	v_fma_f64 v[16:17], v[128:129], v[16:17], -v[18:19]
	v_add_f64_e32 v[144:145], v[10:11], v[8:9]
	v_add_f64_e32 v[28:29], v[28:29], v[134:135]
	ds_load_b128 v[4:7], v2 offset:1408
	ds_load_b128 v[8:11], v2 offset:1424
	;; [unrolled: 16-line block ×3, first 2 shown]
	s_wait_loadcnt_dscnt 0x301
	v_mul_f64_e32 v[30:31], v[4:5], v[138:139]
	v_mul_f64_e32 v[138:139], v[6:7], v[138:139]
	v_add_f64_e32 v[10:11], v[18:19], v[132:133]
	v_add_f64_e32 v[12:13], v[28:29], v[134:135]
	s_wait_loadcnt_dscnt 0x200
	v_mul_f64_e32 v[18:19], v[14:15], v[22:23]
	v_mul_f64_e32 v[22:23], v[16:17], v[22:23]
	v_fmac_f64_e32 v[30:31], v[6:7], v[136:137]
	v_fma_f64 v[28:29], v[4:5], v[136:137], -v[138:139]
	v_add_f64_e32 v[130:131], v[10:11], v[8:9]
	v_add_f64_e32 v[12:13], v[12:13], v[128:129]
	ds_load_b128 v[4:7], v2 offset:1472
	ds_load_b128 v[8:11], v2 offset:1488
	v_fmac_f64_e32 v[18:19], v[16:17], v[20:21]
	v_fma_f64 v[14:15], v[14:15], v[20:21], -v[22:23]
	s_wait_loadcnt_dscnt 0x101
	v_mul_f64_e32 v[2:3], v[4:5], v[142:143]
	v_mul_f64_e32 v[128:129], v[6:7], v[142:143]
	s_wait_loadcnt_dscnt 0x0
	v_mul_f64_e32 v[20:21], v[8:9], v[26:27]
	v_mul_f64_e32 v[22:23], v[10:11], v[26:27]
	v_add_f64_e32 v[16:17], v[130:131], v[28:29]
	v_add_f64_e32 v[12:13], v[12:13], v[30:31]
	v_fmac_f64_e32 v[2:3], v[6:7], v[140:141]
	v_fma_f64 v[4:5], v[4:5], v[140:141], -v[128:129]
	v_fmac_f64_e32 v[20:21], v[10:11], v[24:25]
	v_fma_f64 v[8:9], v[8:9], v[24:25], -v[22:23]
	v_add_f64_e32 v[6:7], v[16:17], v[14:15]
	v_add_f64_e32 v[12:13], v[12:13], v[18:19]
	s_delay_alu instid0(VALU_DEP_2) | instskip(NEXT) | instid1(VALU_DEP_2)
	v_add_f64_e32 v[4:5], v[6:7], v[4:5]
	v_add_f64_e32 v[2:3], v[12:13], v[2:3]
	s_delay_alu instid0(VALU_DEP_2) | instskip(NEXT) | instid1(VALU_DEP_2)
	;; [unrolled: 3-line block ×3, first 2 shown]
	v_add_f64_e64 v[2:3], v[152:153], -v[4:5]
	v_add_f64_e64 v[4:5], v[154:155], -v[6:7]
	scratch_store_b128 off, v[2:5], off offset:192
	s_wait_xcnt 0x0
	v_cmpx_lt_u32_e32 11, v1
	s_cbranch_execz .LBB46_273
; %bb.272:
	scratch_load_b128 v[2:5], off, s54
	v_mov_b32_e32 v6, 0
	s_delay_alu instid0(VALU_DEP_1)
	v_dual_mov_b32 v7, v6 :: v_dual_mov_b32 v8, v6
	v_mov_b32_e32 v9, v6
	scratch_store_b128 off, v[6:9], off offset:176
	s_wait_loadcnt 0x0
	ds_store_b128 v126, v[2:5]
.LBB46_273:
	s_wait_xcnt 0x0
	s_or_b32 exec_lo, exec_lo, s2
	s_wait_storecnt_dscnt 0x0
	s_barrier_signal -1
	s_barrier_wait -1
	s_clause 0x9
	scratch_load_b128 v[4:7], off, off offset:192
	scratch_load_b128 v[8:11], off, off offset:208
	;; [unrolled: 1-line block ×10, first 2 shown]
	v_mov_b32_e32 v2, 0
	s_mov_b32 s2, exec_lo
	ds_load_b128 v[140:143], v2 offset:944
	s_clause 0x2
	scratch_load_b128 v[144:147], off, off offset:352
	scratch_load_b128 v[148:151], off, off offset:176
	;; [unrolled: 1-line block ×3, first 2 shown]
	s_wait_loadcnt_dscnt 0xc00
	v_mul_f64_e32 v[160:161], v[142:143], v[6:7]
	v_mul_f64_e32 v[164:165], v[140:141], v[6:7]
	ds_load_b128 v[152:155], v2 offset:960
	v_fma_f64 v[168:169], v[140:141], v[4:5], -v[160:161]
	v_fmac_f64_e32 v[164:165], v[142:143], v[4:5]
	ds_load_b128 v[4:7], v2 offset:976
	s_wait_loadcnt_dscnt 0xb01
	v_mul_f64_e32 v[166:167], v[152:153], v[10:11]
	v_mul_f64_e32 v[10:11], v[154:155], v[10:11]
	scratch_load_b128 v[140:143], off, off offset:384
	ds_load_b128 v[160:163], v2 offset:992
	s_wait_loadcnt_dscnt 0xb01
	v_mul_f64_e32 v[170:171], v[4:5], v[14:15]
	v_mul_f64_e32 v[14:15], v[6:7], v[14:15]
	v_add_f64_e32 v[164:165], 0, v[164:165]
	v_fmac_f64_e32 v[166:167], v[154:155], v[8:9]
	v_fma_f64 v[152:153], v[152:153], v[8:9], -v[10:11]
	v_add_f64_e32 v[154:155], 0, v[168:169]
	scratch_load_b128 v[8:11], off, off offset:400
	v_fmac_f64_e32 v[170:171], v[6:7], v[12:13]
	v_fma_f64 v[172:173], v[4:5], v[12:13], -v[14:15]
	ds_load_b128 v[4:7], v2 offset:1008
	s_wait_loadcnt_dscnt 0xb01
	v_mul_f64_e32 v[168:169], v[160:161], v[18:19]
	v_mul_f64_e32 v[18:19], v[162:163], v[18:19]
	scratch_load_b128 v[12:15], off, off offset:416
	v_add_f64_e32 v[164:165], v[164:165], v[166:167]
	v_add_f64_e32 v[174:175], v[154:155], v[152:153]
	ds_load_b128 v[152:155], v2 offset:1024
	s_wait_loadcnt_dscnt 0xb01
	v_mul_f64_e32 v[166:167], v[4:5], v[22:23]
	v_mul_f64_e32 v[22:23], v[6:7], v[22:23]
	v_fmac_f64_e32 v[168:169], v[162:163], v[16:17]
	v_fma_f64 v[160:161], v[160:161], v[16:17], -v[18:19]
	scratch_load_b128 v[16:19], off, off offset:432
	v_add_f64_e32 v[164:165], v[164:165], v[170:171]
	v_add_f64_e32 v[162:163], v[174:175], v[172:173]
	v_fmac_f64_e32 v[166:167], v[6:7], v[20:21]
	v_fma_f64 v[172:173], v[4:5], v[20:21], -v[22:23]
	ds_load_b128 v[4:7], v2 offset:1040
	s_wait_loadcnt_dscnt 0xb01
	v_mul_f64_e32 v[170:171], v[152:153], v[26:27]
	v_mul_f64_e32 v[26:27], v[154:155], v[26:27]
	scratch_load_b128 v[20:23], off, off offset:448
	v_add_f64_e32 v[164:165], v[164:165], v[168:169]
	s_wait_loadcnt_dscnt 0xb00
	v_mul_f64_e32 v[168:169], v[4:5], v[30:31]
	v_add_f64_e32 v[174:175], v[162:163], v[160:161]
	v_mul_f64_e32 v[30:31], v[6:7], v[30:31]
	ds_load_b128 v[160:163], v2 offset:1056
	v_fmac_f64_e32 v[170:171], v[154:155], v[24:25]
	v_fma_f64 v[152:153], v[152:153], v[24:25], -v[26:27]
	scratch_load_b128 v[24:27], off, off offset:464
	v_add_f64_e32 v[164:165], v[164:165], v[166:167]
	v_fmac_f64_e32 v[168:169], v[6:7], v[28:29]
	v_add_f64_e32 v[154:155], v[174:175], v[172:173]
	v_fma_f64 v[172:173], v[4:5], v[28:29], -v[30:31]
	ds_load_b128 v[4:7], v2 offset:1072
	s_wait_loadcnt_dscnt 0xb01
	v_mul_f64_e32 v[166:167], v[160:161], v[130:131]
	v_mul_f64_e32 v[130:131], v[162:163], v[130:131]
	scratch_load_b128 v[28:31], off, off offset:480
	v_add_f64_e32 v[164:165], v[164:165], v[170:171]
	s_wait_loadcnt_dscnt 0xb00
	v_mul_f64_e32 v[170:171], v[4:5], v[134:135]
	v_add_f64_e32 v[174:175], v[154:155], v[152:153]
	v_mul_f64_e32 v[134:135], v[6:7], v[134:135]
	ds_load_b128 v[152:155], v2 offset:1088
	v_fmac_f64_e32 v[166:167], v[162:163], v[128:129]
	v_fma_f64 v[160:161], v[160:161], v[128:129], -v[130:131]
	scratch_load_b128 v[128:131], off, off offset:496
	v_add_f64_e32 v[164:165], v[164:165], v[168:169]
	v_fmac_f64_e32 v[170:171], v[6:7], v[132:133]
	v_add_f64_e32 v[162:163], v[174:175], v[172:173]
	;; [unrolled: 18-line block ×3, first 2 shown]
	v_fma_f64 v[172:173], v[4:5], v[144:145], -v[146:147]
	ds_load_b128 v[4:7], v2 offset:1136
	s_wait_loadcnt_dscnt 0xa01
	v_mul_f64_e32 v[170:171], v[160:161], v[158:159]
	v_mul_f64_e32 v[158:159], v[162:163], v[158:159]
	scratch_load_b128 v[144:147], off, off offset:544
	v_add_f64_e32 v[164:165], v[164:165], v[168:169]
	v_add_f64_e32 v[174:175], v[154:155], v[152:153]
	s_wait_loadcnt_dscnt 0xa00
	v_mul_f64_e32 v[168:169], v[4:5], v[142:143]
	v_mul_f64_e32 v[142:143], v[6:7], v[142:143]
	v_fmac_f64_e32 v[170:171], v[162:163], v[156:157]
	v_fma_f64 v[160:161], v[160:161], v[156:157], -v[158:159]
	ds_load_b128 v[152:155], v2 offset:1152
	scratch_load_b128 v[156:159], off, off offset:560
	v_add_f64_e32 v[164:165], v[164:165], v[166:167]
	v_add_f64_e32 v[162:163], v[174:175], v[172:173]
	v_fmac_f64_e32 v[168:169], v[6:7], v[140:141]
	v_fma_f64 v[172:173], v[4:5], v[140:141], -v[142:143]
	ds_load_b128 v[4:7], v2 offset:1168
	s_wait_loadcnt_dscnt 0xa01
	v_mul_f64_e32 v[166:167], v[152:153], v[10:11]
	v_mul_f64_e32 v[10:11], v[154:155], v[10:11]
	scratch_load_b128 v[140:143], off, off offset:576
	v_add_f64_e32 v[164:165], v[164:165], v[170:171]
	s_wait_loadcnt_dscnt 0xa00
	v_mul_f64_e32 v[170:171], v[4:5], v[14:15]
	v_add_f64_e32 v[174:175], v[162:163], v[160:161]
	v_mul_f64_e32 v[14:15], v[6:7], v[14:15]
	ds_load_b128 v[160:163], v2 offset:1184
	v_fmac_f64_e32 v[166:167], v[154:155], v[8:9]
	v_fma_f64 v[152:153], v[152:153], v[8:9], -v[10:11]
	scratch_load_b128 v[8:11], off, off offset:592
	v_add_f64_e32 v[164:165], v[164:165], v[168:169]
	v_fmac_f64_e32 v[170:171], v[6:7], v[12:13]
	v_add_f64_e32 v[154:155], v[174:175], v[172:173]
	v_fma_f64 v[172:173], v[4:5], v[12:13], -v[14:15]
	ds_load_b128 v[4:7], v2 offset:1200
	s_wait_loadcnt_dscnt 0xa01
	v_mul_f64_e32 v[168:169], v[160:161], v[18:19]
	v_mul_f64_e32 v[18:19], v[162:163], v[18:19]
	scratch_load_b128 v[12:15], off, off offset:608
	v_add_f64_e32 v[164:165], v[164:165], v[166:167]
	s_wait_loadcnt_dscnt 0xa00
	v_mul_f64_e32 v[166:167], v[4:5], v[22:23]
	v_add_f64_e32 v[174:175], v[154:155], v[152:153]
	v_mul_f64_e32 v[22:23], v[6:7], v[22:23]
	ds_load_b128 v[152:155], v2 offset:1216
	v_fmac_f64_e32 v[168:169], v[162:163], v[16:17]
	v_fma_f64 v[160:161], v[160:161], v[16:17], -v[18:19]
	scratch_load_b128 v[16:19], off, off offset:624
	v_add_f64_e32 v[164:165], v[164:165], v[170:171]
	v_fmac_f64_e32 v[166:167], v[6:7], v[20:21]
	v_add_f64_e32 v[162:163], v[174:175], v[172:173]
	;; [unrolled: 18-line block ×5, first 2 shown]
	v_fma_f64 v[172:173], v[4:5], v[144:145], -v[146:147]
	ds_load_b128 v[4:7], v2 offset:1328
	s_wait_loadcnt_dscnt 0xa01
	v_mul_f64_e32 v[170:171], v[160:161], v[158:159]
	v_mul_f64_e32 v[158:159], v[162:163], v[158:159]
	scratch_load_b128 v[144:147], off, off offset:736
	v_add_f64_e32 v[164:165], v[164:165], v[168:169]
	s_wait_loadcnt_dscnt 0xa00
	v_mul_f64_e32 v[168:169], v[4:5], v[142:143]
	v_add_f64_e32 v[174:175], v[154:155], v[152:153]
	v_mul_f64_e32 v[142:143], v[6:7], v[142:143]
	ds_load_b128 v[152:155], v2 offset:1344
	v_fmac_f64_e32 v[170:171], v[162:163], v[156:157]
	v_fma_f64 v[156:157], v[160:161], v[156:157], -v[158:159]
	s_wait_loadcnt_dscnt 0x900
	v_mul_f64_e32 v[162:163], v[152:153], v[10:11]
	v_mul_f64_e32 v[10:11], v[154:155], v[10:11]
	v_add_f64_e32 v[160:161], v[164:165], v[166:167]
	v_fmac_f64_e32 v[168:169], v[6:7], v[140:141]
	v_add_f64_e32 v[158:159], v[174:175], v[172:173]
	v_fma_f64 v[164:165], v[4:5], v[140:141], -v[142:143]
	ds_load_b128 v[4:7], v2 offset:1360
	ds_load_b128 v[140:143], v2 offset:1376
	v_fmac_f64_e32 v[162:163], v[154:155], v[8:9]
	v_fma_f64 v[8:9], v[152:153], v[8:9], -v[10:11]
	v_add_f64_e32 v[156:157], v[158:159], v[156:157]
	v_add_f64_e32 v[158:159], v[160:161], v[170:171]
	s_wait_loadcnt_dscnt 0x801
	v_mul_f64_e32 v[160:161], v[4:5], v[14:15]
	v_mul_f64_e32 v[14:15], v[6:7], v[14:15]
	s_wait_loadcnt_dscnt 0x700
	v_mul_f64_e32 v[154:155], v[140:141], v[18:19]
	v_mul_f64_e32 v[18:19], v[142:143], v[18:19]
	v_add_f64_e32 v[10:11], v[156:157], v[164:165]
	v_add_f64_e32 v[152:153], v[158:159], v[168:169]
	v_fmac_f64_e32 v[160:161], v[6:7], v[12:13]
	v_fma_f64 v[12:13], v[4:5], v[12:13], -v[14:15]
	v_fmac_f64_e32 v[154:155], v[142:143], v[16:17]
	v_fma_f64 v[16:17], v[140:141], v[16:17], -v[18:19]
	v_add_f64_e32 v[14:15], v[10:11], v[8:9]
	v_add_f64_e32 v[152:153], v[152:153], v[162:163]
	ds_load_b128 v[4:7], v2 offset:1392
	ds_load_b128 v[8:11], v2 offset:1408
	s_wait_loadcnt_dscnt 0x601
	v_mul_f64_e32 v[156:157], v[4:5], v[22:23]
	v_mul_f64_e32 v[22:23], v[6:7], v[22:23]
	s_wait_loadcnt_dscnt 0x500
	v_mul_f64_e32 v[18:19], v[8:9], v[26:27]
	v_mul_f64_e32 v[26:27], v[10:11], v[26:27]
	v_add_f64_e32 v[12:13], v[14:15], v[12:13]
	v_add_f64_e32 v[14:15], v[152:153], v[160:161]
	v_fmac_f64_e32 v[156:157], v[6:7], v[20:21]
	v_fma_f64 v[20:21], v[4:5], v[20:21], -v[22:23]
	v_fmac_f64_e32 v[18:19], v[10:11], v[24:25]
	v_fma_f64 v[8:9], v[8:9], v[24:25], -v[26:27]
	v_add_f64_e32 v[16:17], v[12:13], v[16:17]
	v_add_f64_e32 v[22:23], v[14:15], v[154:155]
	ds_load_b128 v[4:7], v2 offset:1424
	ds_load_b128 v[12:15], v2 offset:1440
	s_wait_loadcnt_dscnt 0x401
	v_mul_f64_e32 v[140:141], v[4:5], v[30:31]
	v_mul_f64_e32 v[30:31], v[6:7], v[30:31]
	v_add_f64_e32 v[10:11], v[16:17], v[20:21]
	v_add_f64_e32 v[16:17], v[22:23], v[156:157]
	s_wait_loadcnt_dscnt 0x300
	v_mul_f64_e32 v[20:21], v[12:13], v[130:131]
	v_mul_f64_e32 v[22:23], v[14:15], v[130:131]
	v_fmac_f64_e32 v[140:141], v[6:7], v[28:29]
	v_fma_f64 v[24:25], v[4:5], v[28:29], -v[30:31]
	v_add_f64_e32 v[26:27], v[10:11], v[8:9]
	v_add_f64_e32 v[16:17], v[16:17], v[18:19]
	ds_load_b128 v[4:7], v2 offset:1456
	ds_load_b128 v[8:11], v2 offset:1472
	v_fmac_f64_e32 v[20:21], v[14:15], v[128:129]
	v_fma_f64 v[12:13], v[12:13], v[128:129], -v[22:23]
	s_wait_loadcnt_dscnt 0x201
	v_mul_f64_e32 v[18:19], v[4:5], v[134:135]
	v_mul_f64_e32 v[28:29], v[6:7], v[134:135]
	s_wait_loadcnt_dscnt 0x100
	v_mul_f64_e32 v[22:23], v[8:9], v[138:139]
	v_add_f64_e32 v[14:15], v[26:27], v[24:25]
	v_add_f64_e32 v[16:17], v[16:17], v[140:141]
	v_mul_f64_e32 v[24:25], v[10:11], v[138:139]
	v_fmac_f64_e32 v[18:19], v[6:7], v[132:133]
	v_fma_f64 v[26:27], v[4:5], v[132:133], -v[28:29]
	ds_load_b128 v[4:7], v2 offset:1488
	v_fmac_f64_e32 v[22:23], v[10:11], v[136:137]
	v_add_f64_e32 v[12:13], v[14:15], v[12:13]
	v_add_f64_e32 v[14:15], v[16:17], v[20:21]
	v_fma_f64 v[8:9], v[8:9], v[136:137], -v[24:25]
	s_wait_loadcnt_dscnt 0x0
	v_mul_f64_e32 v[16:17], v[4:5], v[146:147]
	v_mul_f64_e32 v[20:21], v[6:7], v[146:147]
	v_add_f64_e32 v[10:11], v[12:13], v[26:27]
	v_add_f64_e32 v[12:13], v[14:15], v[18:19]
	s_delay_alu instid0(VALU_DEP_4) | instskip(NEXT) | instid1(VALU_DEP_4)
	v_fmac_f64_e32 v[16:17], v[6:7], v[144:145]
	v_fma_f64 v[4:5], v[4:5], v[144:145], -v[20:21]
	s_delay_alu instid0(VALU_DEP_4) | instskip(NEXT) | instid1(VALU_DEP_4)
	v_add_f64_e32 v[6:7], v[10:11], v[8:9]
	v_add_f64_e32 v[8:9], v[12:13], v[22:23]
	s_delay_alu instid0(VALU_DEP_2) | instskip(NEXT) | instid1(VALU_DEP_2)
	v_add_f64_e32 v[4:5], v[6:7], v[4:5]
	v_add_f64_e32 v[6:7], v[8:9], v[16:17]
	s_delay_alu instid0(VALU_DEP_2) | instskip(NEXT) | instid1(VALU_DEP_2)
	v_add_f64_e64 v[4:5], v[148:149], -v[4:5]
	v_add_f64_e64 v[6:7], v[150:151], -v[6:7]
	scratch_store_b128 off, v[4:7], off offset:176
	s_wait_xcnt 0x0
	v_cmpx_lt_u32_e32 10, v1
	s_cbranch_execz .LBB46_275
; %bb.274:
	scratch_load_b128 v[6:9], off, s51
	v_dual_mov_b32 v3, v2 :: v_dual_mov_b32 v4, v2
	v_mov_b32_e32 v5, v2
	scratch_store_b128 off, v[2:5], off offset:160
	s_wait_loadcnt 0x0
	ds_store_b128 v126, v[6:9]
.LBB46_275:
	s_wait_xcnt 0x0
	s_or_b32 exec_lo, exec_lo, s2
	s_wait_storecnt_dscnt 0x0
	s_barrier_signal -1
	s_barrier_wait -1
	s_clause 0x9
	scratch_load_b128 v[4:7], off, off offset:176
	scratch_load_b128 v[8:11], off, off offset:192
	;; [unrolled: 1-line block ×10, first 2 shown]
	ds_load_b128 v[140:143], v2 offset:928
	ds_load_b128 v[148:151], v2 offset:944
	s_clause 0x2
	scratch_load_b128 v[144:147], off, off offset:336
	scratch_load_b128 v[152:155], off, off offset:160
	;; [unrolled: 1-line block ×3, first 2 shown]
	s_mov_b32 s2, exec_lo
	s_wait_loadcnt_dscnt 0xc01
	v_mul_f64_e32 v[160:161], v[142:143], v[6:7]
	v_mul_f64_e32 v[164:165], v[140:141], v[6:7]
	s_wait_loadcnt_dscnt 0xb00
	v_mul_f64_e32 v[166:167], v[148:149], v[10:11]
	v_mul_f64_e32 v[10:11], v[150:151], v[10:11]
	s_delay_alu instid0(VALU_DEP_4) | instskip(NEXT) | instid1(VALU_DEP_4)
	v_fma_f64 v[168:169], v[140:141], v[4:5], -v[160:161]
	v_fmac_f64_e32 v[164:165], v[142:143], v[4:5]
	ds_load_b128 v[4:7], v2 offset:960
	ds_load_b128 v[140:143], v2 offset:976
	scratch_load_b128 v[160:163], off, off offset:368
	v_fmac_f64_e32 v[166:167], v[150:151], v[8:9]
	v_fma_f64 v[148:149], v[148:149], v[8:9], -v[10:11]
	scratch_load_b128 v[8:11], off, off offset:384
	s_wait_loadcnt_dscnt 0xc01
	v_mul_f64_e32 v[170:171], v[4:5], v[14:15]
	v_mul_f64_e32 v[14:15], v[6:7], v[14:15]
	v_add_f64_e32 v[150:151], 0, v[168:169]
	v_add_f64_e32 v[164:165], 0, v[164:165]
	s_wait_loadcnt_dscnt 0xb00
	v_mul_f64_e32 v[168:169], v[140:141], v[18:19]
	v_mul_f64_e32 v[18:19], v[142:143], v[18:19]
	v_fmac_f64_e32 v[170:171], v[6:7], v[12:13]
	v_fma_f64 v[172:173], v[4:5], v[12:13], -v[14:15]
	ds_load_b128 v[4:7], v2 offset:992
	ds_load_b128 v[12:15], v2 offset:1008
	v_add_f64_e32 v[174:175], v[150:151], v[148:149]
	v_add_f64_e32 v[164:165], v[164:165], v[166:167]
	scratch_load_b128 v[148:151], off, off offset:400
	v_fmac_f64_e32 v[168:169], v[142:143], v[16:17]
	v_fma_f64 v[140:141], v[140:141], v[16:17], -v[18:19]
	scratch_load_b128 v[16:19], off, off offset:416
	s_wait_loadcnt_dscnt 0xc01
	v_mul_f64_e32 v[166:167], v[4:5], v[22:23]
	v_mul_f64_e32 v[22:23], v[6:7], v[22:23]
	v_add_f64_e32 v[142:143], v[174:175], v[172:173]
	v_add_f64_e32 v[164:165], v[164:165], v[170:171]
	s_wait_loadcnt_dscnt 0xb00
	v_mul_f64_e32 v[170:171], v[12:13], v[26:27]
	v_mul_f64_e32 v[26:27], v[14:15], v[26:27]
	v_fmac_f64_e32 v[166:167], v[6:7], v[20:21]
	v_fma_f64 v[172:173], v[4:5], v[20:21], -v[22:23]
	ds_load_b128 v[4:7], v2 offset:1024
	ds_load_b128 v[20:23], v2 offset:1040
	v_add_f64_e32 v[174:175], v[142:143], v[140:141]
	v_add_f64_e32 v[164:165], v[164:165], v[168:169]
	scratch_load_b128 v[140:143], off, off offset:432
	s_wait_loadcnt_dscnt 0xb01
	v_mul_f64_e32 v[168:169], v[4:5], v[30:31]
	v_mul_f64_e32 v[30:31], v[6:7], v[30:31]
	v_fmac_f64_e32 v[170:171], v[14:15], v[24:25]
	v_fma_f64 v[24:25], v[12:13], v[24:25], -v[26:27]
	scratch_load_b128 v[12:15], off, off offset:448
	v_add_f64_e32 v[26:27], v[174:175], v[172:173]
	v_add_f64_e32 v[164:165], v[164:165], v[166:167]
	s_wait_loadcnt_dscnt 0xb00
	v_mul_f64_e32 v[166:167], v[20:21], v[130:131]
	v_mul_f64_e32 v[130:131], v[22:23], v[130:131]
	v_fmac_f64_e32 v[168:169], v[6:7], v[28:29]
	v_fma_f64 v[172:173], v[4:5], v[28:29], -v[30:31]
	v_add_f64_e32 v[174:175], v[26:27], v[24:25]
	v_add_f64_e32 v[164:165], v[164:165], v[170:171]
	ds_load_b128 v[4:7], v2 offset:1056
	ds_load_b128 v[24:27], v2 offset:1072
	scratch_load_b128 v[28:31], off, off offset:464
	v_fmac_f64_e32 v[166:167], v[22:23], v[128:129]
	v_fma_f64 v[128:129], v[20:21], v[128:129], -v[130:131]
	scratch_load_b128 v[20:23], off, off offset:480
	s_wait_loadcnt_dscnt 0xc01
	v_mul_f64_e32 v[170:171], v[4:5], v[134:135]
	v_mul_f64_e32 v[134:135], v[6:7], v[134:135]
	v_add_f64_e32 v[130:131], v[174:175], v[172:173]
	v_add_f64_e32 v[164:165], v[164:165], v[168:169]
	s_wait_loadcnt_dscnt 0xb00
	v_mul_f64_e32 v[168:169], v[24:25], v[138:139]
	v_mul_f64_e32 v[138:139], v[26:27], v[138:139]
	v_fmac_f64_e32 v[170:171], v[6:7], v[132:133]
	v_fma_f64 v[172:173], v[4:5], v[132:133], -v[134:135]
	v_add_f64_e32 v[174:175], v[130:131], v[128:129]
	v_add_f64_e32 v[164:165], v[164:165], v[166:167]
	ds_load_b128 v[4:7], v2 offset:1088
	ds_load_b128 v[128:131], v2 offset:1104
	scratch_load_b128 v[132:135], off, off offset:496
	v_fmac_f64_e32 v[168:169], v[26:27], v[136:137]
	v_fma_f64 v[136:137], v[24:25], v[136:137], -v[138:139]
	scratch_load_b128 v[24:27], off, off offset:512
	s_wait_loadcnt_dscnt 0xc01
	v_mul_f64_e32 v[166:167], v[4:5], v[146:147]
	v_mul_f64_e32 v[146:147], v[6:7], v[146:147]
	;; [unrolled: 18-line block ×5, first 2 shown]
	v_add_f64_e32 v[158:159], v[174:175], v[172:173]
	v_add_f64_e32 v[164:165], v[164:165], v[170:171]
	s_wait_loadcnt_dscnt 0xa00
	v_mul_f64_e32 v[170:171], v[136:137], v[14:15]
	v_mul_f64_e32 v[14:15], v[138:139], v[14:15]
	v_fmac_f64_e32 v[166:167], v[6:7], v[140:141]
	v_fma_f64 v[172:173], v[4:5], v[140:141], -v[142:143]
	ds_load_b128 v[4:7], v2 offset:1216
	ds_load_b128 v[140:143], v2 offset:1232
	v_add_f64_e32 v[174:175], v[158:159], v[156:157]
	v_add_f64_e32 v[164:165], v[164:165], v[168:169]
	scratch_load_b128 v[156:159], off, off offset:624
	v_fmac_f64_e32 v[170:171], v[138:139], v[12:13]
	v_fma_f64 v[136:137], v[136:137], v[12:13], -v[14:15]
	scratch_load_b128 v[12:15], off, off offset:640
	s_wait_loadcnt_dscnt 0xb01
	v_mul_f64_e32 v[168:169], v[4:5], v[30:31]
	v_mul_f64_e32 v[30:31], v[6:7], v[30:31]
	v_add_f64_e32 v[138:139], v[174:175], v[172:173]
	v_add_f64_e32 v[164:165], v[164:165], v[166:167]
	s_wait_loadcnt_dscnt 0xa00
	v_mul_f64_e32 v[166:167], v[140:141], v[22:23]
	v_mul_f64_e32 v[22:23], v[142:143], v[22:23]
	v_fmac_f64_e32 v[168:169], v[6:7], v[28:29]
	v_fma_f64 v[172:173], v[4:5], v[28:29], -v[30:31]
	ds_load_b128 v[4:7], v2 offset:1248
	ds_load_b128 v[28:31], v2 offset:1264
	v_add_f64_e32 v[174:175], v[138:139], v[136:137]
	v_add_f64_e32 v[164:165], v[164:165], v[170:171]
	scratch_load_b128 v[136:139], off, off offset:656
	s_wait_loadcnt_dscnt 0xa01
	v_mul_f64_e32 v[170:171], v[4:5], v[134:135]
	v_mul_f64_e32 v[134:135], v[6:7], v[134:135]
	v_fmac_f64_e32 v[166:167], v[142:143], v[20:21]
	v_fma_f64 v[140:141], v[140:141], v[20:21], -v[22:23]
	scratch_load_b128 v[20:23], off, off offset:672
	v_add_f64_e32 v[142:143], v[174:175], v[172:173]
	v_add_f64_e32 v[164:165], v[164:165], v[168:169]
	s_wait_loadcnt_dscnt 0xa00
	v_mul_f64_e32 v[168:169], v[28:29], v[26:27]
	v_mul_f64_e32 v[26:27], v[30:31], v[26:27]
	v_fmac_f64_e32 v[170:171], v[6:7], v[132:133]
	v_fma_f64 v[172:173], v[4:5], v[132:133], -v[134:135]
	ds_load_b128 v[4:7], v2 offset:1280
	ds_load_b128 v[132:135], v2 offset:1296
	v_add_f64_e32 v[174:175], v[142:143], v[140:141]
	v_add_f64_e32 v[164:165], v[164:165], v[166:167]
	scratch_load_b128 v[140:143], off, off offset:688
	s_wait_loadcnt_dscnt 0xa01
	v_mul_f64_e32 v[166:167], v[4:5], v[146:147]
	v_mul_f64_e32 v[146:147], v[6:7], v[146:147]
	v_fmac_f64_e32 v[168:169], v[30:31], v[24:25]
	v_fma_f64 v[28:29], v[28:29], v[24:25], -v[26:27]
	scratch_load_b128 v[24:27], off, off offset:704
	v_add_f64_e32 v[30:31], v[174:175], v[172:173]
	v_add_f64_e32 v[164:165], v[164:165], v[170:171]
	s_wait_loadcnt_dscnt 0xa00
	v_mul_f64_e32 v[170:171], v[132:133], v[130:131]
	v_mul_f64_e32 v[130:131], v[134:135], v[130:131]
	v_fmac_f64_e32 v[166:167], v[6:7], v[144:145]
	v_fma_f64 v[172:173], v[4:5], v[144:145], -v[146:147]
	v_add_f64_e32 v[174:175], v[30:31], v[28:29]
	v_add_f64_e32 v[164:165], v[164:165], v[168:169]
	ds_load_b128 v[4:7], v2 offset:1312
	ds_load_b128 v[28:31], v2 offset:1328
	scratch_load_b128 v[144:147], off, off offset:720
	v_fmac_f64_e32 v[170:171], v[134:135], v[128:129]
	v_fma_f64 v[132:133], v[132:133], v[128:129], -v[130:131]
	scratch_load_b128 v[128:131], off, off offset:736
	s_wait_loadcnt_dscnt 0xb01
	v_mul_f64_e32 v[168:169], v[4:5], v[162:163]
	v_mul_f64_e32 v[162:163], v[6:7], v[162:163]
	v_add_f64_e32 v[134:135], v[174:175], v[172:173]
	v_add_f64_e32 v[164:165], v[164:165], v[166:167]
	s_wait_loadcnt_dscnt 0xa00
	v_mul_f64_e32 v[166:167], v[28:29], v[10:11]
	v_mul_f64_e32 v[10:11], v[30:31], v[10:11]
	v_fmac_f64_e32 v[168:169], v[6:7], v[160:161]
	v_fma_f64 v[160:161], v[4:5], v[160:161], -v[162:163]
	v_add_f64_e32 v[162:163], v[134:135], v[132:133]
	v_add_f64_e32 v[164:165], v[164:165], v[170:171]
	ds_load_b128 v[4:7], v2 offset:1344
	ds_load_b128 v[132:135], v2 offset:1360
	v_fmac_f64_e32 v[166:167], v[30:31], v[8:9]
	v_fma_f64 v[8:9], v[28:29], v[8:9], -v[10:11]
	s_wait_loadcnt_dscnt 0x901
	v_mul_f64_e32 v[170:171], v[4:5], v[150:151]
	v_mul_f64_e32 v[150:151], v[6:7], v[150:151]
	s_wait_loadcnt_dscnt 0x800
	v_mul_f64_e32 v[30:31], v[132:133], v[18:19]
	v_mul_f64_e32 v[18:19], v[134:135], v[18:19]
	v_add_f64_e32 v[10:11], v[162:163], v[160:161]
	v_add_f64_e32 v[28:29], v[164:165], v[168:169]
	v_fmac_f64_e32 v[170:171], v[6:7], v[148:149]
	v_fma_f64 v[148:149], v[4:5], v[148:149], -v[150:151]
	v_fmac_f64_e32 v[30:31], v[134:135], v[16:17]
	v_fma_f64 v[16:17], v[132:133], v[16:17], -v[18:19]
	v_add_f64_e32 v[150:151], v[10:11], v[8:9]
	v_add_f64_e32 v[28:29], v[28:29], v[166:167]
	ds_load_b128 v[4:7], v2 offset:1376
	ds_load_b128 v[8:11], v2 offset:1392
	s_wait_loadcnt_dscnt 0x701
	v_mul_f64_e32 v[160:161], v[4:5], v[158:159]
	v_mul_f64_e32 v[158:159], v[6:7], v[158:159]
	s_wait_loadcnt_dscnt 0x600
	v_mul_f64_e32 v[132:133], v[8:9], v[14:15]
	v_mul_f64_e32 v[134:135], v[10:11], v[14:15]
	v_add_f64_e32 v[18:19], v[150:151], v[148:149]
	v_add_f64_e32 v[28:29], v[28:29], v[170:171]
	v_fmac_f64_e32 v[160:161], v[6:7], v[156:157]
	v_fma_f64 v[148:149], v[4:5], v[156:157], -v[158:159]
	v_fmac_f64_e32 v[132:133], v[10:11], v[12:13]
	v_fma_f64 v[8:9], v[8:9], v[12:13], -v[134:135]
	v_add_f64_e32 v[18:19], v[18:19], v[16:17]
	v_add_f64_e32 v[28:29], v[28:29], v[30:31]
	ds_load_b128 v[4:7], v2 offset:1408
	ds_load_b128 v[14:17], v2 offset:1424
	s_wait_loadcnt_dscnt 0x501
	v_mul_f64_e32 v[30:31], v[4:5], v[138:139]
	v_mul_f64_e32 v[138:139], v[6:7], v[138:139]
	v_add_f64_e32 v[10:11], v[18:19], v[148:149]
	v_add_f64_e32 v[12:13], v[28:29], v[160:161]
	s_wait_loadcnt_dscnt 0x400
	v_mul_f64_e32 v[18:19], v[14:15], v[22:23]
	v_mul_f64_e32 v[22:23], v[16:17], v[22:23]
	v_fmac_f64_e32 v[30:31], v[6:7], v[136:137]
	v_fma_f64 v[28:29], v[4:5], v[136:137], -v[138:139]
	v_add_f64_e32 v[134:135], v[10:11], v[8:9]
	v_add_f64_e32 v[12:13], v[12:13], v[132:133]
	ds_load_b128 v[4:7], v2 offset:1440
	ds_load_b128 v[8:11], v2 offset:1456
	v_fmac_f64_e32 v[18:19], v[16:17], v[20:21]
	v_fma_f64 v[14:15], v[14:15], v[20:21], -v[22:23]
	s_wait_loadcnt_dscnt 0x301
	v_mul_f64_e32 v[132:133], v[4:5], v[142:143]
	v_mul_f64_e32 v[136:137], v[6:7], v[142:143]
	s_wait_loadcnt_dscnt 0x200
	v_mul_f64_e32 v[20:21], v[8:9], v[26:27]
	v_mul_f64_e32 v[22:23], v[10:11], v[26:27]
	v_add_f64_e32 v[16:17], v[134:135], v[28:29]
	v_add_f64_e32 v[12:13], v[12:13], v[30:31]
	v_fmac_f64_e32 v[132:133], v[6:7], v[140:141]
	v_fma_f64 v[26:27], v[4:5], v[140:141], -v[136:137]
	v_fmac_f64_e32 v[20:21], v[10:11], v[24:25]
	v_fma_f64 v[8:9], v[8:9], v[24:25], -v[22:23]
	v_add_f64_e32 v[16:17], v[16:17], v[14:15]
	v_add_f64_e32 v[18:19], v[12:13], v[18:19]
	ds_load_b128 v[4:7], v2 offset:1472
	ds_load_b128 v[12:15], v2 offset:1488
	s_wait_loadcnt_dscnt 0x101
	v_mul_f64_e32 v[2:3], v[4:5], v[146:147]
	v_mul_f64_e32 v[28:29], v[6:7], v[146:147]
	s_wait_loadcnt_dscnt 0x0
	v_mul_f64_e32 v[22:23], v[14:15], v[130:131]
	v_add_f64_e32 v[10:11], v[16:17], v[26:27]
	v_add_f64_e32 v[16:17], v[18:19], v[132:133]
	v_mul_f64_e32 v[18:19], v[12:13], v[130:131]
	v_fmac_f64_e32 v[2:3], v[6:7], v[144:145]
	v_fma_f64 v[4:5], v[4:5], v[144:145], -v[28:29]
	v_add_f64_e32 v[6:7], v[10:11], v[8:9]
	v_add_f64_e32 v[8:9], v[16:17], v[20:21]
	v_fmac_f64_e32 v[18:19], v[14:15], v[128:129]
	v_fma_f64 v[10:11], v[12:13], v[128:129], -v[22:23]
	s_delay_alu instid0(VALU_DEP_4) | instskip(NEXT) | instid1(VALU_DEP_4)
	v_add_f64_e32 v[4:5], v[6:7], v[4:5]
	v_add_f64_e32 v[2:3], v[8:9], v[2:3]
	s_delay_alu instid0(VALU_DEP_2) | instskip(NEXT) | instid1(VALU_DEP_2)
	v_add_f64_e32 v[4:5], v[4:5], v[10:11]
	v_add_f64_e32 v[6:7], v[2:3], v[18:19]
	s_delay_alu instid0(VALU_DEP_2) | instskip(NEXT) | instid1(VALU_DEP_2)
	v_add_f64_e64 v[2:3], v[152:153], -v[4:5]
	v_add_f64_e64 v[4:5], v[154:155], -v[6:7]
	scratch_store_b128 off, v[2:5], off offset:160
	s_wait_xcnt 0x0
	v_cmpx_lt_u32_e32 9, v1
	s_cbranch_execz .LBB46_277
; %bb.276:
	scratch_load_b128 v[2:5], off, s49
	v_mov_b32_e32 v6, 0
	s_delay_alu instid0(VALU_DEP_1)
	v_dual_mov_b32 v7, v6 :: v_dual_mov_b32 v8, v6
	v_mov_b32_e32 v9, v6
	scratch_store_b128 off, v[6:9], off offset:144
	s_wait_loadcnt 0x0
	ds_store_b128 v126, v[2:5]
.LBB46_277:
	s_wait_xcnt 0x0
	s_or_b32 exec_lo, exec_lo, s2
	s_wait_storecnt_dscnt 0x0
	s_barrier_signal -1
	s_barrier_wait -1
	s_clause 0x9
	scratch_load_b128 v[4:7], off, off offset:160
	scratch_load_b128 v[8:11], off, off offset:176
	scratch_load_b128 v[12:15], off, off offset:192
	scratch_load_b128 v[16:19], off, off offset:208
	scratch_load_b128 v[20:23], off, off offset:224
	scratch_load_b128 v[24:27], off, off offset:240
	scratch_load_b128 v[28:31], off, off offset:256
	scratch_load_b128 v[128:131], off, off offset:272
	scratch_load_b128 v[132:135], off, off offset:288
	scratch_load_b128 v[136:139], off, off offset:304
	v_mov_b32_e32 v2, 0
	s_mov_b32 s2, exec_lo
	ds_load_b128 v[140:143], v2 offset:912
	s_clause 0x2
	scratch_load_b128 v[144:147], off, off offset:320
	scratch_load_b128 v[148:151], off, off offset:144
	;; [unrolled: 1-line block ×3, first 2 shown]
	s_wait_loadcnt_dscnt 0xc00
	v_mul_f64_e32 v[160:161], v[142:143], v[6:7]
	v_mul_f64_e32 v[164:165], v[140:141], v[6:7]
	ds_load_b128 v[152:155], v2 offset:928
	v_fma_f64 v[168:169], v[140:141], v[4:5], -v[160:161]
	v_fmac_f64_e32 v[164:165], v[142:143], v[4:5]
	ds_load_b128 v[4:7], v2 offset:944
	s_wait_loadcnt_dscnt 0xb01
	v_mul_f64_e32 v[166:167], v[152:153], v[10:11]
	v_mul_f64_e32 v[10:11], v[154:155], v[10:11]
	scratch_load_b128 v[140:143], off, off offset:352
	ds_load_b128 v[160:163], v2 offset:960
	s_wait_loadcnt_dscnt 0xb01
	v_mul_f64_e32 v[170:171], v[4:5], v[14:15]
	v_mul_f64_e32 v[14:15], v[6:7], v[14:15]
	v_add_f64_e32 v[164:165], 0, v[164:165]
	v_fmac_f64_e32 v[166:167], v[154:155], v[8:9]
	v_fma_f64 v[152:153], v[152:153], v[8:9], -v[10:11]
	v_add_f64_e32 v[154:155], 0, v[168:169]
	scratch_load_b128 v[8:11], off, off offset:368
	v_fmac_f64_e32 v[170:171], v[6:7], v[12:13]
	v_fma_f64 v[172:173], v[4:5], v[12:13], -v[14:15]
	ds_load_b128 v[4:7], v2 offset:976
	s_wait_loadcnt_dscnt 0xb01
	v_mul_f64_e32 v[168:169], v[160:161], v[18:19]
	v_mul_f64_e32 v[18:19], v[162:163], v[18:19]
	scratch_load_b128 v[12:15], off, off offset:384
	v_add_f64_e32 v[164:165], v[164:165], v[166:167]
	v_add_f64_e32 v[174:175], v[154:155], v[152:153]
	ds_load_b128 v[152:155], v2 offset:992
	s_wait_loadcnt_dscnt 0xb01
	v_mul_f64_e32 v[166:167], v[4:5], v[22:23]
	v_mul_f64_e32 v[22:23], v[6:7], v[22:23]
	v_fmac_f64_e32 v[168:169], v[162:163], v[16:17]
	v_fma_f64 v[160:161], v[160:161], v[16:17], -v[18:19]
	scratch_load_b128 v[16:19], off, off offset:400
	v_add_f64_e32 v[164:165], v[164:165], v[170:171]
	v_add_f64_e32 v[162:163], v[174:175], v[172:173]
	v_fmac_f64_e32 v[166:167], v[6:7], v[20:21]
	v_fma_f64 v[172:173], v[4:5], v[20:21], -v[22:23]
	ds_load_b128 v[4:7], v2 offset:1008
	s_wait_loadcnt_dscnt 0xb01
	v_mul_f64_e32 v[170:171], v[152:153], v[26:27]
	v_mul_f64_e32 v[26:27], v[154:155], v[26:27]
	scratch_load_b128 v[20:23], off, off offset:416
	v_add_f64_e32 v[164:165], v[164:165], v[168:169]
	s_wait_loadcnt_dscnt 0xb00
	v_mul_f64_e32 v[168:169], v[4:5], v[30:31]
	v_add_f64_e32 v[174:175], v[162:163], v[160:161]
	v_mul_f64_e32 v[30:31], v[6:7], v[30:31]
	ds_load_b128 v[160:163], v2 offset:1024
	v_fmac_f64_e32 v[170:171], v[154:155], v[24:25]
	v_fma_f64 v[152:153], v[152:153], v[24:25], -v[26:27]
	scratch_load_b128 v[24:27], off, off offset:432
	v_add_f64_e32 v[164:165], v[164:165], v[166:167]
	v_fmac_f64_e32 v[168:169], v[6:7], v[28:29]
	v_add_f64_e32 v[154:155], v[174:175], v[172:173]
	v_fma_f64 v[172:173], v[4:5], v[28:29], -v[30:31]
	ds_load_b128 v[4:7], v2 offset:1040
	s_wait_loadcnt_dscnt 0xb01
	v_mul_f64_e32 v[166:167], v[160:161], v[130:131]
	v_mul_f64_e32 v[130:131], v[162:163], v[130:131]
	scratch_load_b128 v[28:31], off, off offset:448
	v_add_f64_e32 v[164:165], v[164:165], v[170:171]
	s_wait_loadcnt_dscnt 0xb00
	v_mul_f64_e32 v[170:171], v[4:5], v[134:135]
	v_add_f64_e32 v[174:175], v[154:155], v[152:153]
	v_mul_f64_e32 v[134:135], v[6:7], v[134:135]
	ds_load_b128 v[152:155], v2 offset:1056
	v_fmac_f64_e32 v[166:167], v[162:163], v[128:129]
	v_fma_f64 v[160:161], v[160:161], v[128:129], -v[130:131]
	scratch_load_b128 v[128:131], off, off offset:464
	v_add_f64_e32 v[164:165], v[164:165], v[168:169]
	v_fmac_f64_e32 v[170:171], v[6:7], v[132:133]
	v_add_f64_e32 v[162:163], v[174:175], v[172:173]
	;; [unrolled: 18-line block ×3, first 2 shown]
	v_fma_f64 v[172:173], v[4:5], v[144:145], -v[146:147]
	ds_load_b128 v[4:7], v2 offset:1104
	s_wait_loadcnt_dscnt 0xa01
	v_mul_f64_e32 v[170:171], v[160:161], v[158:159]
	v_mul_f64_e32 v[158:159], v[162:163], v[158:159]
	scratch_load_b128 v[144:147], off, off offset:512
	v_add_f64_e32 v[164:165], v[164:165], v[168:169]
	v_add_f64_e32 v[174:175], v[154:155], v[152:153]
	s_wait_loadcnt_dscnt 0xa00
	v_mul_f64_e32 v[168:169], v[4:5], v[142:143]
	v_mul_f64_e32 v[142:143], v[6:7], v[142:143]
	v_fmac_f64_e32 v[170:171], v[162:163], v[156:157]
	v_fma_f64 v[160:161], v[160:161], v[156:157], -v[158:159]
	ds_load_b128 v[152:155], v2 offset:1120
	scratch_load_b128 v[156:159], off, off offset:528
	v_add_f64_e32 v[164:165], v[164:165], v[166:167]
	v_add_f64_e32 v[162:163], v[174:175], v[172:173]
	v_fmac_f64_e32 v[168:169], v[6:7], v[140:141]
	v_fma_f64 v[172:173], v[4:5], v[140:141], -v[142:143]
	ds_load_b128 v[4:7], v2 offset:1136
	s_wait_loadcnt_dscnt 0xa01
	v_mul_f64_e32 v[166:167], v[152:153], v[10:11]
	v_mul_f64_e32 v[10:11], v[154:155], v[10:11]
	scratch_load_b128 v[140:143], off, off offset:544
	v_add_f64_e32 v[164:165], v[164:165], v[170:171]
	s_wait_loadcnt_dscnt 0xa00
	v_mul_f64_e32 v[170:171], v[4:5], v[14:15]
	v_add_f64_e32 v[174:175], v[162:163], v[160:161]
	v_mul_f64_e32 v[14:15], v[6:7], v[14:15]
	ds_load_b128 v[160:163], v2 offset:1152
	v_fmac_f64_e32 v[166:167], v[154:155], v[8:9]
	v_fma_f64 v[152:153], v[152:153], v[8:9], -v[10:11]
	scratch_load_b128 v[8:11], off, off offset:560
	v_add_f64_e32 v[164:165], v[164:165], v[168:169]
	v_fmac_f64_e32 v[170:171], v[6:7], v[12:13]
	v_add_f64_e32 v[154:155], v[174:175], v[172:173]
	v_fma_f64 v[172:173], v[4:5], v[12:13], -v[14:15]
	ds_load_b128 v[4:7], v2 offset:1168
	s_wait_loadcnt_dscnt 0xa01
	v_mul_f64_e32 v[168:169], v[160:161], v[18:19]
	v_mul_f64_e32 v[18:19], v[162:163], v[18:19]
	scratch_load_b128 v[12:15], off, off offset:576
	v_add_f64_e32 v[164:165], v[164:165], v[166:167]
	s_wait_loadcnt_dscnt 0xa00
	v_mul_f64_e32 v[166:167], v[4:5], v[22:23]
	v_add_f64_e32 v[174:175], v[154:155], v[152:153]
	v_mul_f64_e32 v[22:23], v[6:7], v[22:23]
	ds_load_b128 v[152:155], v2 offset:1184
	v_fmac_f64_e32 v[168:169], v[162:163], v[16:17]
	v_fma_f64 v[160:161], v[160:161], v[16:17], -v[18:19]
	scratch_load_b128 v[16:19], off, off offset:592
	v_add_f64_e32 v[164:165], v[164:165], v[170:171]
	v_fmac_f64_e32 v[166:167], v[6:7], v[20:21]
	v_add_f64_e32 v[162:163], v[174:175], v[172:173]
	;; [unrolled: 18-line block ×6, first 2 shown]
	v_fma_f64 v[172:173], v[4:5], v[140:141], -v[142:143]
	ds_load_b128 v[4:7], v2 offset:1328
	s_wait_loadcnt_dscnt 0xa01
	v_mul_f64_e32 v[166:167], v[152:153], v[10:11]
	v_mul_f64_e32 v[10:11], v[154:155], v[10:11]
	scratch_load_b128 v[140:143], off, off offset:736
	v_add_f64_e32 v[164:165], v[164:165], v[170:171]
	s_wait_loadcnt_dscnt 0xa00
	v_mul_f64_e32 v[170:171], v[4:5], v[14:15]
	v_add_f64_e32 v[174:175], v[162:163], v[160:161]
	v_mul_f64_e32 v[14:15], v[6:7], v[14:15]
	ds_load_b128 v[160:163], v2 offset:1344
	v_fmac_f64_e32 v[166:167], v[154:155], v[8:9]
	v_fma_f64 v[8:9], v[152:153], v[8:9], -v[10:11]
	s_wait_loadcnt_dscnt 0x900
	v_mul_f64_e32 v[154:155], v[160:161], v[18:19]
	v_mul_f64_e32 v[18:19], v[162:163], v[18:19]
	v_add_f64_e32 v[152:153], v[164:165], v[168:169]
	v_fmac_f64_e32 v[170:171], v[6:7], v[12:13]
	v_add_f64_e32 v[10:11], v[174:175], v[172:173]
	v_fma_f64 v[12:13], v[4:5], v[12:13], -v[14:15]
	v_fmac_f64_e32 v[154:155], v[162:163], v[16:17]
	v_fma_f64 v[16:17], v[160:161], v[16:17], -v[18:19]
	v_add_f64_e32 v[152:153], v[152:153], v[166:167]
	v_add_f64_e32 v[14:15], v[10:11], v[8:9]
	ds_load_b128 v[4:7], v2 offset:1360
	ds_load_b128 v[8:11], v2 offset:1376
	s_wait_loadcnt_dscnt 0x801
	v_mul_f64_e32 v[164:165], v[4:5], v[22:23]
	v_mul_f64_e32 v[22:23], v[6:7], v[22:23]
	s_wait_loadcnt_dscnt 0x700
	v_mul_f64_e32 v[18:19], v[8:9], v[26:27]
	v_mul_f64_e32 v[26:27], v[10:11], v[26:27]
	v_add_f64_e32 v[12:13], v[14:15], v[12:13]
	v_add_f64_e32 v[14:15], v[152:153], v[170:171]
	v_fmac_f64_e32 v[164:165], v[6:7], v[20:21]
	v_fma_f64 v[20:21], v[4:5], v[20:21], -v[22:23]
	v_fmac_f64_e32 v[18:19], v[10:11], v[24:25]
	v_fma_f64 v[8:9], v[8:9], v[24:25], -v[26:27]
	v_add_f64_e32 v[16:17], v[12:13], v[16:17]
	v_add_f64_e32 v[22:23], v[14:15], v[154:155]
	ds_load_b128 v[4:7], v2 offset:1392
	ds_load_b128 v[12:15], v2 offset:1408
	s_wait_loadcnt_dscnt 0x601
	v_mul_f64_e32 v[152:153], v[4:5], v[30:31]
	v_mul_f64_e32 v[30:31], v[6:7], v[30:31]
	v_add_f64_e32 v[10:11], v[16:17], v[20:21]
	v_add_f64_e32 v[16:17], v[22:23], v[164:165]
	s_wait_loadcnt_dscnt 0x500
	v_mul_f64_e32 v[20:21], v[12:13], v[130:131]
	v_mul_f64_e32 v[22:23], v[14:15], v[130:131]
	v_fmac_f64_e32 v[152:153], v[6:7], v[28:29]
	v_fma_f64 v[24:25], v[4:5], v[28:29], -v[30:31]
	v_add_f64_e32 v[26:27], v[10:11], v[8:9]
	v_add_f64_e32 v[16:17], v[16:17], v[18:19]
	ds_load_b128 v[4:7], v2 offset:1424
	ds_load_b128 v[8:11], v2 offset:1440
	v_fmac_f64_e32 v[20:21], v[14:15], v[128:129]
	v_fma_f64 v[12:13], v[12:13], v[128:129], -v[22:23]
	s_wait_loadcnt_dscnt 0x401
	v_mul_f64_e32 v[18:19], v[4:5], v[134:135]
	v_mul_f64_e32 v[28:29], v[6:7], v[134:135]
	s_wait_loadcnt_dscnt 0x300
	v_mul_f64_e32 v[22:23], v[8:9], v[138:139]
	v_add_f64_e32 v[14:15], v[26:27], v[24:25]
	v_add_f64_e32 v[16:17], v[16:17], v[152:153]
	v_mul_f64_e32 v[24:25], v[10:11], v[138:139]
	v_fmac_f64_e32 v[18:19], v[6:7], v[132:133]
	v_fma_f64 v[26:27], v[4:5], v[132:133], -v[28:29]
	v_fmac_f64_e32 v[22:23], v[10:11], v[136:137]
	v_add_f64_e32 v[28:29], v[14:15], v[12:13]
	v_add_f64_e32 v[16:17], v[16:17], v[20:21]
	ds_load_b128 v[4:7], v2 offset:1456
	ds_load_b128 v[12:15], v2 offset:1472
	v_fma_f64 v[8:9], v[8:9], v[136:137], -v[24:25]
	s_wait_loadcnt_dscnt 0x201
	v_mul_f64_e32 v[20:21], v[4:5], v[146:147]
	v_mul_f64_e32 v[30:31], v[6:7], v[146:147]
	s_wait_loadcnt_dscnt 0x100
	v_mul_f64_e32 v[24:25], v[14:15], v[158:159]
	v_add_f64_e32 v[10:11], v[28:29], v[26:27]
	v_add_f64_e32 v[16:17], v[16:17], v[18:19]
	v_mul_f64_e32 v[18:19], v[12:13], v[158:159]
	v_fmac_f64_e32 v[20:21], v[6:7], v[144:145]
	v_fma_f64 v[26:27], v[4:5], v[144:145], -v[30:31]
	ds_load_b128 v[4:7], v2 offset:1488
	v_fma_f64 v[12:13], v[12:13], v[156:157], -v[24:25]
	v_add_f64_e32 v[8:9], v[10:11], v[8:9]
	v_add_f64_e32 v[10:11], v[16:17], v[22:23]
	v_fmac_f64_e32 v[18:19], v[14:15], v[156:157]
	s_wait_loadcnt_dscnt 0x0
	v_mul_f64_e32 v[16:17], v[4:5], v[142:143]
	v_mul_f64_e32 v[22:23], v[6:7], v[142:143]
	v_add_f64_e32 v[8:9], v[8:9], v[26:27]
	v_add_f64_e32 v[10:11], v[10:11], v[20:21]
	s_delay_alu instid0(VALU_DEP_4) | instskip(NEXT) | instid1(VALU_DEP_4)
	v_fmac_f64_e32 v[16:17], v[6:7], v[140:141]
	v_fma_f64 v[4:5], v[4:5], v[140:141], -v[22:23]
	s_delay_alu instid0(VALU_DEP_4) | instskip(NEXT) | instid1(VALU_DEP_4)
	v_add_f64_e32 v[6:7], v[8:9], v[12:13]
	v_add_f64_e32 v[8:9], v[10:11], v[18:19]
	s_delay_alu instid0(VALU_DEP_2) | instskip(NEXT) | instid1(VALU_DEP_2)
	v_add_f64_e32 v[4:5], v[6:7], v[4:5]
	v_add_f64_e32 v[6:7], v[8:9], v[16:17]
	s_delay_alu instid0(VALU_DEP_2) | instskip(NEXT) | instid1(VALU_DEP_2)
	v_add_f64_e64 v[4:5], v[148:149], -v[4:5]
	v_add_f64_e64 v[6:7], v[150:151], -v[6:7]
	scratch_store_b128 off, v[4:7], off offset:144
	s_wait_xcnt 0x0
	v_cmpx_lt_u32_e32 8, v1
	s_cbranch_execz .LBB46_279
; %bb.278:
	scratch_load_b128 v[6:9], off, s48
	v_dual_mov_b32 v3, v2 :: v_dual_mov_b32 v4, v2
	v_mov_b32_e32 v5, v2
	scratch_store_b128 off, v[2:5], off offset:128
	s_wait_loadcnt 0x0
	ds_store_b128 v126, v[6:9]
.LBB46_279:
	s_wait_xcnt 0x0
	s_or_b32 exec_lo, exec_lo, s2
	s_wait_storecnt_dscnt 0x0
	s_barrier_signal -1
	s_barrier_wait -1
	s_clause 0x9
	scratch_load_b128 v[4:7], off, off offset:144
	scratch_load_b128 v[8:11], off, off offset:160
	;; [unrolled: 1-line block ×10, first 2 shown]
	ds_load_b128 v[140:143], v2 offset:896
	ds_load_b128 v[148:151], v2 offset:912
	s_clause 0x2
	scratch_load_b128 v[144:147], off, off offset:304
	scratch_load_b128 v[152:155], off, off offset:128
	scratch_load_b128 v[156:159], off, off offset:320
	s_mov_b32 s2, exec_lo
	s_wait_loadcnt_dscnt 0xc01
	v_mul_f64_e32 v[160:161], v[142:143], v[6:7]
	v_mul_f64_e32 v[164:165], v[140:141], v[6:7]
	s_wait_loadcnt_dscnt 0xb00
	v_mul_f64_e32 v[166:167], v[148:149], v[10:11]
	v_mul_f64_e32 v[10:11], v[150:151], v[10:11]
	s_delay_alu instid0(VALU_DEP_4) | instskip(NEXT) | instid1(VALU_DEP_4)
	v_fma_f64 v[168:169], v[140:141], v[4:5], -v[160:161]
	v_fmac_f64_e32 v[164:165], v[142:143], v[4:5]
	ds_load_b128 v[4:7], v2 offset:928
	ds_load_b128 v[140:143], v2 offset:944
	scratch_load_b128 v[160:163], off, off offset:336
	v_fmac_f64_e32 v[166:167], v[150:151], v[8:9]
	v_fma_f64 v[148:149], v[148:149], v[8:9], -v[10:11]
	scratch_load_b128 v[8:11], off, off offset:352
	s_wait_loadcnt_dscnt 0xc01
	v_mul_f64_e32 v[170:171], v[4:5], v[14:15]
	v_mul_f64_e32 v[14:15], v[6:7], v[14:15]
	v_add_f64_e32 v[150:151], 0, v[168:169]
	v_add_f64_e32 v[164:165], 0, v[164:165]
	s_wait_loadcnt_dscnt 0xb00
	v_mul_f64_e32 v[168:169], v[140:141], v[18:19]
	v_mul_f64_e32 v[18:19], v[142:143], v[18:19]
	v_fmac_f64_e32 v[170:171], v[6:7], v[12:13]
	v_fma_f64 v[172:173], v[4:5], v[12:13], -v[14:15]
	ds_load_b128 v[4:7], v2 offset:960
	ds_load_b128 v[12:15], v2 offset:976
	v_add_f64_e32 v[174:175], v[150:151], v[148:149]
	v_add_f64_e32 v[164:165], v[164:165], v[166:167]
	scratch_load_b128 v[148:151], off, off offset:368
	v_fmac_f64_e32 v[168:169], v[142:143], v[16:17]
	v_fma_f64 v[140:141], v[140:141], v[16:17], -v[18:19]
	scratch_load_b128 v[16:19], off, off offset:384
	s_wait_loadcnt_dscnt 0xc01
	v_mul_f64_e32 v[166:167], v[4:5], v[22:23]
	v_mul_f64_e32 v[22:23], v[6:7], v[22:23]
	v_add_f64_e32 v[142:143], v[174:175], v[172:173]
	v_add_f64_e32 v[164:165], v[164:165], v[170:171]
	s_wait_loadcnt_dscnt 0xb00
	v_mul_f64_e32 v[170:171], v[12:13], v[26:27]
	v_mul_f64_e32 v[26:27], v[14:15], v[26:27]
	v_fmac_f64_e32 v[166:167], v[6:7], v[20:21]
	v_fma_f64 v[172:173], v[4:5], v[20:21], -v[22:23]
	ds_load_b128 v[4:7], v2 offset:992
	ds_load_b128 v[20:23], v2 offset:1008
	v_add_f64_e32 v[174:175], v[142:143], v[140:141]
	v_add_f64_e32 v[164:165], v[164:165], v[168:169]
	scratch_load_b128 v[140:143], off, off offset:400
	s_wait_loadcnt_dscnt 0xb01
	v_mul_f64_e32 v[168:169], v[4:5], v[30:31]
	v_mul_f64_e32 v[30:31], v[6:7], v[30:31]
	v_fmac_f64_e32 v[170:171], v[14:15], v[24:25]
	v_fma_f64 v[24:25], v[12:13], v[24:25], -v[26:27]
	scratch_load_b128 v[12:15], off, off offset:416
	v_add_f64_e32 v[26:27], v[174:175], v[172:173]
	v_add_f64_e32 v[164:165], v[164:165], v[166:167]
	s_wait_loadcnt_dscnt 0xb00
	v_mul_f64_e32 v[166:167], v[20:21], v[130:131]
	v_mul_f64_e32 v[130:131], v[22:23], v[130:131]
	v_fmac_f64_e32 v[168:169], v[6:7], v[28:29]
	v_fma_f64 v[172:173], v[4:5], v[28:29], -v[30:31]
	v_add_f64_e32 v[174:175], v[26:27], v[24:25]
	v_add_f64_e32 v[164:165], v[164:165], v[170:171]
	ds_load_b128 v[4:7], v2 offset:1024
	ds_load_b128 v[24:27], v2 offset:1040
	scratch_load_b128 v[28:31], off, off offset:432
	v_fmac_f64_e32 v[166:167], v[22:23], v[128:129]
	v_fma_f64 v[128:129], v[20:21], v[128:129], -v[130:131]
	scratch_load_b128 v[20:23], off, off offset:448
	s_wait_loadcnt_dscnt 0xc01
	v_mul_f64_e32 v[170:171], v[4:5], v[134:135]
	v_mul_f64_e32 v[134:135], v[6:7], v[134:135]
	v_add_f64_e32 v[130:131], v[174:175], v[172:173]
	v_add_f64_e32 v[164:165], v[164:165], v[168:169]
	s_wait_loadcnt_dscnt 0xb00
	v_mul_f64_e32 v[168:169], v[24:25], v[138:139]
	v_mul_f64_e32 v[138:139], v[26:27], v[138:139]
	v_fmac_f64_e32 v[170:171], v[6:7], v[132:133]
	v_fma_f64 v[172:173], v[4:5], v[132:133], -v[134:135]
	v_add_f64_e32 v[174:175], v[130:131], v[128:129]
	v_add_f64_e32 v[164:165], v[164:165], v[166:167]
	ds_load_b128 v[4:7], v2 offset:1056
	ds_load_b128 v[128:131], v2 offset:1072
	scratch_load_b128 v[132:135], off, off offset:464
	v_fmac_f64_e32 v[168:169], v[26:27], v[136:137]
	v_fma_f64 v[136:137], v[24:25], v[136:137], -v[138:139]
	scratch_load_b128 v[24:27], off, off offset:480
	s_wait_loadcnt_dscnt 0xc01
	v_mul_f64_e32 v[166:167], v[4:5], v[146:147]
	v_mul_f64_e32 v[146:147], v[6:7], v[146:147]
	;; [unrolled: 18-line block ×5, first 2 shown]
	v_add_f64_e32 v[158:159], v[174:175], v[172:173]
	v_add_f64_e32 v[164:165], v[164:165], v[170:171]
	s_wait_loadcnt_dscnt 0xa00
	v_mul_f64_e32 v[170:171], v[136:137], v[14:15]
	v_mul_f64_e32 v[14:15], v[138:139], v[14:15]
	v_fmac_f64_e32 v[166:167], v[6:7], v[140:141]
	v_fma_f64 v[172:173], v[4:5], v[140:141], -v[142:143]
	ds_load_b128 v[4:7], v2 offset:1184
	ds_load_b128 v[140:143], v2 offset:1200
	v_add_f64_e32 v[174:175], v[158:159], v[156:157]
	v_add_f64_e32 v[164:165], v[164:165], v[168:169]
	scratch_load_b128 v[156:159], off, off offset:592
	v_fmac_f64_e32 v[170:171], v[138:139], v[12:13]
	v_fma_f64 v[136:137], v[136:137], v[12:13], -v[14:15]
	scratch_load_b128 v[12:15], off, off offset:608
	s_wait_loadcnt_dscnt 0xb01
	v_mul_f64_e32 v[168:169], v[4:5], v[30:31]
	v_mul_f64_e32 v[30:31], v[6:7], v[30:31]
	v_add_f64_e32 v[138:139], v[174:175], v[172:173]
	v_add_f64_e32 v[164:165], v[164:165], v[166:167]
	s_wait_loadcnt_dscnt 0xa00
	v_mul_f64_e32 v[166:167], v[140:141], v[22:23]
	v_mul_f64_e32 v[22:23], v[142:143], v[22:23]
	v_fmac_f64_e32 v[168:169], v[6:7], v[28:29]
	v_fma_f64 v[172:173], v[4:5], v[28:29], -v[30:31]
	ds_load_b128 v[4:7], v2 offset:1216
	ds_load_b128 v[28:31], v2 offset:1232
	v_add_f64_e32 v[174:175], v[138:139], v[136:137]
	v_add_f64_e32 v[164:165], v[164:165], v[170:171]
	scratch_load_b128 v[136:139], off, off offset:624
	s_wait_loadcnt_dscnt 0xa01
	v_mul_f64_e32 v[170:171], v[4:5], v[134:135]
	v_mul_f64_e32 v[134:135], v[6:7], v[134:135]
	v_fmac_f64_e32 v[166:167], v[142:143], v[20:21]
	v_fma_f64 v[140:141], v[140:141], v[20:21], -v[22:23]
	scratch_load_b128 v[20:23], off, off offset:640
	v_add_f64_e32 v[142:143], v[174:175], v[172:173]
	v_add_f64_e32 v[164:165], v[164:165], v[168:169]
	s_wait_loadcnt_dscnt 0xa00
	v_mul_f64_e32 v[168:169], v[28:29], v[26:27]
	v_mul_f64_e32 v[26:27], v[30:31], v[26:27]
	v_fmac_f64_e32 v[170:171], v[6:7], v[132:133]
	v_fma_f64 v[172:173], v[4:5], v[132:133], -v[134:135]
	ds_load_b128 v[4:7], v2 offset:1248
	ds_load_b128 v[132:135], v2 offset:1264
	v_add_f64_e32 v[174:175], v[142:143], v[140:141]
	v_add_f64_e32 v[164:165], v[164:165], v[166:167]
	scratch_load_b128 v[140:143], off, off offset:656
	s_wait_loadcnt_dscnt 0xa01
	v_mul_f64_e32 v[166:167], v[4:5], v[146:147]
	v_mul_f64_e32 v[146:147], v[6:7], v[146:147]
	v_fmac_f64_e32 v[168:169], v[30:31], v[24:25]
	v_fma_f64 v[28:29], v[28:29], v[24:25], -v[26:27]
	scratch_load_b128 v[24:27], off, off offset:672
	v_add_f64_e32 v[30:31], v[174:175], v[172:173]
	v_add_f64_e32 v[164:165], v[164:165], v[170:171]
	s_wait_loadcnt_dscnt 0xa00
	v_mul_f64_e32 v[170:171], v[132:133], v[130:131]
	v_mul_f64_e32 v[130:131], v[134:135], v[130:131]
	v_fmac_f64_e32 v[166:167], v[6:7], v[144:145]
	v_fma_f64 v[172:173], v[4:5], v[144:145], -v[146:147]
	v_add_f64_e32 v[174:175], v[30:31], v[28:29]
	v_add_f64_e32 v[164:165], v[164:165], v[168:169]
	ds_load_b128 v[4:7], v2 offset:1280
	ds_load_b128 v[28:31], v2 offset:1296
	scratch_load_b128 v[144:147], off, off offset:688
	v_fmac_f64_e32 v[170:171], v[134:135], v[128:129]
	v_fma_f64 v[132:133], v[132:133], v[128:129], -v[130:131]
	scratch_load_b128 v[128:131], off, off offset:704
	s_wait_loadcnt_dscnt 0xb01
	v_mul_f64_e32 v[168:169], v[4:5], v[162:163]
	v_mul_f64_e32 v[162:163], v[6:7], v[162:163]
	v_add_f64_e32 v[134:135], v[174:175], v[172:173]
	v_add_f64_e32 v[164:165], v[164:165], v[166:167]
	s_wait_loadcnt_dscnt 0xa00
	v_mul_f64_e32 v[166:167], v[28:29], v[10:11]
	v_mul_f64_e32 v[10:11], v[30:31], v[10:11]
	v_fmac_f64_e32 v[168:169], v[6:7], v[160:161]
	v_fma_f64 v[172:173], v[4:5], v[160:161], -v[162:163]
	v_add_f64_e32 v[174:175], v[134:135], v[132:133]
	v_add_f64_e32 v[164:165], v[164:165], v[170:171]
	ds_load_b128 v[4:7], v2 offset:1312
	ds_load_b128 v[132:135], v2 offset:1328
	scratch_load_b128 v[160:163], off, off offset:720
	v_fmac_f64_e32 v[166:167], v[30:31], v[8:9]
	v_fma_f64 v[28:29], v[28:29], v[8:9], -v[10:11]
	scratch_load_b128 v[8:11], off, off offset:736
	s_wait_loadcnt_dscnt 0xb01
	v_mul_f64_e32 v[170:171], v[4:5], v[150:151]
	v_mul_f64_e32 v[150:151], v[6:7], v[150:151]
	v_add_f64_e32 v[30:31], v[174:175], v[172:173]
	v_add_f64_e32 v[164:165], v[164:165], v[168:169]
	s_wait_loadcnt_dscnt 0xa00
	v_mul_f64_e32 v[168:169], v[132:133], v[18:19]
	v_mul_f64_e32 v[18:19], v[134:135], v[18:19]
	v_fmac_f64_e32 v[170:171], v[6:7], v[148:149]
	v_fma_f64 v[148:149], v[4:5], v[148:149], -v[150:151]
	v_add_f64_e32 v[150:151], v[30:31], v[28:29]
	v_add_f64_e32 v[164:165], v[164:165], v[166:167]
	ds_load_b128 v[4:7], v2 offset:1344
	ds_load_b128 v[28:31], v2 offset:1360
	v_fmac_f64_e32 v[168:169], v[134:135], v[16:17]
	v_fma_f64 v[16:17], v[132:133], v[16:17], -v[18:19]
	s_wait_loadcnt_dscnt 0x901
	v_mul_f64_e32 v[166:167], v[4:5], v[158:159]
	v_mul_f64_e32 v[158:159], v[6:7], v[158:159]
	s_wait_loadcnt_dscnt 0x800
	v_mul_f64_e32 v[134:135], v[28:29], v[14:15]
	v_add_f64_e32 v[18:19], v[150:151], v[148:149]
	v_add_f64_e32 v[132:133], v[164:165], v[170:171]
	v_mul_f64_e32 v[148:149], v[30:31], v[14:15]
	v_fmac_f64_e32 v[166:167], v[6:7], v[156:157]
	v_fma_f64 v[150:151], v[4:5], v[156:157], -v[158:159]
	v_fmac_f64_e32 v[134:135], v[30:31], v[12:13]
	v_add_f64_e32 v[18:19], v[18:19], v[16:17]
	v_add_f64_e32 v[132:133], v[132:133], v[168:169]
	ds_load_b128 v[4:7], v2 offset:1376
	ds_load_b128 v[14:17], v2 offset:1392
	v_fma_f64 v[12:13], v[28:29], v[12:13], -v[148:149]
	s_wait_loadcnt_dscnt 0x701
	v_mul_f64_e32 v[156:157], v[4:5], v[138:139]
	v_mul_f64_e32 v[138:139], v[6:7], v[138:139]
	v_add_f64_e32 v[18:19], v[18:19], v[150:151]
	v_add_f64_e32 v[28:29], v[132:133], v[166:167]
	s_wait_loadcnt_dscnt 0x600
	v_mul_f64_e32 v[132:133], v[14:15], v[22:23]
	v_mul_f64_e32 v[22:23], v[16:17], v[22:23]
	v_fmac_f64_e32 v[156:157], v[6:7], v[136:137]
	v_fma_f64 v[136:137], v[4:5], v[136:137], -v[138:139]
	v_add_f64_e32 v[12:13], v[18:19], v[12:13]
	v_add_f64_e32 v[18:19], v[28:29], v[134:135]
	ds_load_b128 v[4:7], v2 offset:1408
	ds_load_b128 v[28:31], v2 offset:1424
	v_fmac_f64_e32 v[132:133], v[16:17], v[20:21]
	v_fma_f64 v[14:15], v[14:15], v[20:21], -v[22:23]
	s_wait_loadcnt_dscnt 0x501
	v_mul_f64_e32 v[134:135], v[4:5], v[142:143]
	v_mul_f64_e32 v[138:139], v[6:7], v[142:143]
	s_wait_loadcnt_dscnt 0x400
	v_mul_f64_e32 v[20:21], v[30:31], v[26:27]
	v_add_f64_e32 v[12:13], v[12:13], v[136:137]
	v_add_f64_e32 v[16:17], v[18:19], v[156:157]
	v_mul_f64_e32 v[18:19], v[28:29], v[26:27]
	v_fmac_f64_e32 v[134:135], v[6:7], v[140:141]
	v_fma_f64 v[22:23], v[4:5], v[140:141], -v[138:139]
	v_fma_f64 v[20:21], v[28:29], v[24:25], -v[20:21]
	v_add_f64_e32 v[26:27], v[12:13], v[14:15]
	v_add_f64_e32 v[16:17], v[16:17], v[132:133]
	ds_load_b128 v[4:7], v2 offset:1440
	ds_load_b128 v[12:15], v2 offset:1456
	v_fmac_f64_e32 v[18:19], v[30:31], v[24:25]
	s_wait_loadcnt_dscnt 0x301
	v_mul_f64_e32 v[132:133], v[4:5], v[146:147]
	v_mul_f64_e32 v[136:137], v[6:7], v[146:147]
	s_wait_loadcnt_dscnt 0x200
	v_mul_f64_e32 v[24:25], v[12:13], v[130:131]
	v_add_f64_e32 v[22:23], v[26:27], v[22:23]
	v_add_f64_e32 v[16:17], v[16:17], v[134:135]
	v_mul_f64_e32 v[26:27], v[14:15], v[130:131]
	v_fmac_f64_e32 v[132:133], v[6:7], v[144:145]
	v_fma_f64 v[28:29], v[4:5], v[144:145], -v[136:137]
	v_fmac_f64_e32 v[24:25], v[14:15], v[128:129]
	v_add_f64_e32 v[20:21], v[22:23], v[20:21]
	v_add_f64_e32 v[22:23], v[16:17], v[18:19]
	ds_load_b128 v[4:7], v2 offset:1472
	ds_load_b128 v[16:19], v2 offset:1488
	v_fma_f64 v[12:13], v[12:13], v[128:129], -v[26:27]
	s_wait_loadcnt_dscnt 0x101
	v_mul_f64_e32 v[2:3], v[4:5], v[162:163]
	v_mul_f64_e32 v[30:31], v[6:7], v[162:163]
	v_add_f64_e32 v[14:15], v[20:21], v[28:29]
	v_add_f64_e32 v[20:21], v[22:23], v[132:133]
	s_wait_loadcnt_dscnt 0x0
	v_mul_f64_e32 v[22:23], v[16:17], v[10:11]
	v_mul_f64_e32 v[10:11], v[18:19], v[10:11]
	v_fmac_f64_e32 v[2:3], v[6:7], v[160:161]
	v_fma_f64 v[4:5], v[4:5], v[160:161], -v[30:31]
	v_add_f64_e32 v[6:7], v[14:15], v[12:13]
	v_add_f64_e32 v[12:13], v[20:21], v[24:25]
	v_fmac_f64_e32 v[22:23], v[18:19], v[8:9]
	v_fma_f64 v[8:9], v[16:17], v[8:9], -v[10:11]
	s_delay_alu instid0(VALU_DEP_4) | instskip(NEXT) | instid1(VALU_DEP_4)
	v_add_f64_e32 v[4:5], v[6:7], v[4:5]
	v_add_f64_e32 v[2:3], v[12:13], v[2:3]
	s_delay_alu instid0(VALU_DEP_2) | instskip(NEXT) | instid1(VALU_DEP_2)
	v_add_f64_e32 v[4:5], v[4:5], v[8:9]
	v_add_f64_e32 v[6:7], v[2:3], v[22:23]
	s_delay_alu instid0(VALU_DEP_2) | instskip(NEXT) | instid1(VALU_DEP_2)
	v_add_f64_e64 v[2:3], v[152:153], -v[4:5]
	v_add_f64_e64 v[4:5], v[154:155], -v[6:7]
	scratch_store_b128 off, v[2:5], off offset:128
	s_wait_xcnt 0x0
	v_cmpx_lt_u32_e32 7, v1
	s_cbranch_execz .LBB46_281
; %bb.280:
	scratch_load_b128 v[2:5], off, s55
	v_mov_b32_e32 v6, 0
	s_delay_alu instid0(VALU_DEP_1)
	v_dual_mov_b32 v7, v6 :: v_dual_mov_b32 v8, v6
	v_mov_b32_e32 v9, v6
	scratch_store_b128 off, v[6:9], off offset:112
	s_wait_loadcnt 0x0
	ds_store_b128 v126, v[2:5]
.LBB46_281:
	s_wait_xcnt 0x0
	s_or_b32 exec_lo, exec_lo, s2
	s_wait_storecnt_dscnt 0x0
	s_barrier_signal -1
	s_barrier_wait -1
	s_clause 0x9
	scratch_load_b128 v[4:7], off, off offset:128
	scratch_load_b128 v[8:11], off, off offset:144
	;; [unrolled: 1-line block ×10, first 2 shown]
	v_mov_b32_e32 v2, 0
	s_mov_b32 s2, exec_lo
	ds_load_b128 v[140:143], v2 offset:880
	s_clause 0x2
	scratch_load_b128 v[144:147], off, off offset:288
	scratch_load_b128 v[148:151], off, off offset:112
	scratch_load_b128 v[156:159], off, off offset:304
	s_wait_loadcnt_dscnt 0xc00
	v_mul_f64_e32 v[160:161], v[142:143], v[6:7]
	v_mul_f64_e32 v[164:165], v[140:141], v[6:7]
	ds_load_b128 v[152:155], v2 offset:896
	v_fma_f64 v[168:169], v[140:141], v[4:5], -v[160:161]
	v_fmac_f64_e32 v[164:165], v[142:143], v[4:5]
	ds_load_b128 v[4:7], v2 offset:912
	s_wait_loadcnt_dscnt 0xb01
	v_mul_f64_e32 v[166:167], v[152:153], v[10:11]
	v_mul_f64_e32 v[10:11], v[154:155], v[10:11]
	scratch_load_b128 v[140:143], off, off offset:320
	ds_load_b128 v[160:163], v2 offset:928
	s_wait_loadcnt_dscnt 0xb01
	v_mul_f64_e32 v[170:171], v[4:5], v[14:15]
	v_mul_f64_e32 v[14:15], v[6:7], v[14:15]
	v_add_f64_e32 v[164:165], 0, v[164:165]
	v_fmac_f64_e32 v[166:167], v[154:155], v[8:9]
	v_fma_f64 v[152:153], v[152:153], v[8:9], -v[10:11]
	v_add_f64_e32 v[154:155], 0, v[168:169]
	scratch_load_b128 v[8:11], off, off offset:336
	v_fmac_f64_e32 v[170:171], v[6:7], v[12:13]
	v_fma_f64 v[172:173], v[4:5], v[12:13], -v[14:15]
	ds_load_b128 v[4:7], v2 offset:944
	s_wait_loadcnt_dscnt 0xb01
	v_mul_f64_e32 v[168:169], v[160:161], v[18:19]
	v_mul_f64_e32 v[18:19], v[162:163], v[18:19]
	scratch_load_b128 v[12:15], off, off offset:352
	v_add_f64_e32 v[164:165], v[164:165], v[166:167]
	v_add_f64_e32 v[174:175], v[154:155], v[152:153]
	ds_load_b128 v[152:155], v2 offset:960
	s_wait_loadcnt_dscnt 0xb01
	v_mul_f64_e32 v[166:167], v[4:5], v[22:23]
	v_mul_f64_e32 v[22:23], v[6:7], v[22:23]
	v_fmac_f64_e32 v[168:169], v[162:163], v[16:17]
	v_fma_f64 v[160:161], v[160:161], v[16:17], -v[18:19]
	scratch_load_b128 v[16:19], off, off offset:368
	v_add_f64_e32 v[164:165], v[164:165], v[170:171]
	v_add_f64_e32 v[162:163], v[174:175], v[172:173]
	v_fmac_f64_e32 v[166:167], v[6:7], v[20:21]
	v_fma_f64 v[172:173], v[4:5], v[20:21], -v[22:23]
	ds_load_b128 v[4:7], v2 offset:976
	s_wait_loadcnt_dscnt 0xb01
	v_mul_f64_e32 v[170:171], v[152:153], v[26:27]
	v_mul_f64_e32 v[26:27], v[154:155], v[26:27]
	scratch_load_b128 v[20:23], off, off offset:384
	v_add_f64_e32 v[164:165], v[164:165], v[168:169]
	s_wait_loadcnt_dscnt 0xb00
	v_mul_f64_e32 v[168:169], v[4:5], v[30:31]
	v_add_f64_e32 v[174:175], v[162:163], v[160:161]
	v_mul_f64_e32 v[30:31], v[6:7], v[30:31]
	ds_load_b128 v[160:163], v2 offset:992
	v_fmac_f64_e32 v[170:171], v[154:155], v[24:25]
	v_fma_f64 v[152:153], v[152:153], v[24:25], -v[26:27]
	scratch_load_b128 v[24:27], off, off offset:400
	v_add_f64_e32 v[164:165], v[164:165], v[166:167]
	v_fmac_f64_e32 v[168:169], v[6:7], v[28:29]
	v_add_f64_e32 v[154:155], v[174:175], v[172:173]
	v_fma_f64 v[172:173], v[4:5], v[28:29], -v[30:31]
	ds_load_b128 v[4:7], v2 offset:1008
	s_wait_loadcnt_dscnt 0xb01
	v_mul_f64_e32 v[166:167], v[160:161], v[130:131]
	v_mul_f64_e32 v[130:131], v[162:163], v[130:131]
	scratch_load_b128 v[28:31], off, off offset:416
	v_add_f64_e32 v[164:165], v[164:165], v[170:171]
	s_wait_loadcnt_dscnt 0xb00
	v_mul_f64_e32 v[170:171], v[4:5], v[134:135]
	v_add_f64_e32 v[174:175], v[154:155], v[152:153]
	v_mul_f64_e32 v[134:135], v[6:7], v[134:135]
	ds_load_b128 v[152:155], v2 offset:1024
	v_fmac_f64_e32 v[166:167], v[162:163], v[128:129]
	v_fma_f64 v[160:161], v[160:161], v[128:129], -v[130:131]
	scratch_load_b128 v[128:131], off, off offset:432
	v_add_f64_e32 v[164:165], v[164:165], v[168:169]
	v_fmac_f64_e32 v[170:171], v[6:7], v[132:133]
	v_add_f64_e32 v[162:163], v[174:175], v[172:173]
	;; [unrolled: 18-line block ×3, first 2 shown]
	v_fma_f64 v[172:173], v[4:5], v[144:145], -v[146:147]
	ds_load_b128 v[4:7], v2 offset:1072
	s_wait_loadcnt_dscnt 0xa01
	v_mul_f64_e32 v[170:171], v[160:161], v[158:159]
	v_mul_f64_e32 v[158:159], v[162:163], v[158:159]
	scratch_load_b128 v[144:147], off, off offset:480
	v_add_f64_e32 v[164:165], v[164:165], v[168:169]
	v_add_f64_e32 v[174:175], v[154:155], v[152:153]
	s_wait_loadcnt_dscnt 0xa00
	v_mul_f64_e32 v[168:169], v[4:5], v[142:143]
	v_mul_f64_e32 v[142:143], v[6:7], v[142:143]
	v_fmac_f64_e32 v[170:171], v[162:163], v[156:157]
	v_fma_f64 v[160:161], v[160:161], v[156:157], -v[158:159]
	ds_load_b128 v[152:155], v2 offset:1088
	scratch_load_b128 v[156:159], off, off offset:496
	v_add_f64_e32 v[164:165], v[164:165], v[166:167]
	v_add_f64_e32 v[162:163], v[174:175], v[172:173]
	v_fmac_f64_e32 v[168:169], v[6:7], v[140:141]
	v_fma_f64 v[172:173], v[4:5], v[140:141], -v[142:143]
	ds_load_b128 v[4:7], v2 offset:1104
	s_wait_loadcnt_dscnt 0xa01
	v_mul_f64_e32 v[166:167], v[152:153], v[10:11]
	v_mul_f64_e32 v[10:11], v[154:155], v[10:11]
	scratch_load_b128 v[140:143], off, off offset:512
	v_add_f64_e32 v[164:165], v[164:165], v[170:171]
	s_wait_loadcnt_dscnt 0xa00
	v_mul_f64_e32 v[170:171], v[4:5], v[14:15]
	v_add_f64_e32 v[174:175], v[162:163], v[160:161]
	v_mul_f64_e32 v[14:15], v[6:7], v[14:15]
	ds_load_b128 v[160:163], v2 offset:1120
	v_fmac_f64_e32 v[166:167], v[154:155], v[8:9]
	v_fma_f64 v[152:153], v[152:153], v[8:9], -v[10:11]
	scratch_load_b128 v[8:11], off, off offset:528
	v_add_f64_e32 v[164:165], v[164:165], v[168:169]
	v_fmac_f64_e32 v[170:171], v[6:7], v[12:13]
	v_add_f64_e32 v[154:155], v[174:175], v[172:173]
	v_fma_f64 v[172:173], v[4:5], v[12:13], -v[14:15]
	ds_load_b128 v[4:7], v2 offset:1136
	s_wait_loadcnt_dscnt 0xa01
	v_mul_f64_e32 v[168:169], v[160:161], v[18:19]
	v_mul_f64_e32 v[18:19], v[162:163], v[18:19]
	scratch_load_b128 v[12:15], off, off offset:544
	v_add_f64_e32 v[164:165], v[164:165], v[166:167]
	s_wait_loadcnt_dscnt 0xa00
	v_mul_f64_e32 v[166:167], v[4:5], v[22:23]
	v_add_f64_e32 v[174:175], v[154:155], v[152:153]
	v_mul_f64_e32 v[22:23], v[6:7], v[22:23]
	ds_load_b128 v[152:155], v2 offset:1152
	v_fmac_f64_e32 v[168:169], v[162:163], v[16:17]
	v_fma_f64 v[160:161], v[160:161], v[16:17], -v[18:19]
	scratch_load_b128 v[16:19], off, off offset:560
	v_add_f64_e32 v[164:165], v[164:165], v[170:171]
	v_fmac_f64_e32 v[166:167], v[6:7], v[20:21]
	v_add_f64_e32 v[162:163], v[174:175], v[172:173]
	;; [unrolled: 18-line block ×7, first 2 shown]
	v_fma_f64 v[172:173], v[4:5], v[12:13], -v[14:15]
	ds_load_b128 v[4:7], v2 offset:1328
	s_wait_loadcnt_dscnt 0xa01
	v_mul_f64_e32 v[168:169], v[160:161], v[18:19]
	v_mul_f64_e32 v[18:19], v[162:163], v[18:19]
	scratch_load_b128 v[12:15], off, off offset:736
	v_add_f64_e32 v[164:165], v[164:165], v[166:167]
	s_wait_loadcnt_dscnt 0xa00
	v_mul_f64_e32 v[166:167], v[4:5], v[22:23]
	v_add_f64_e32 v[174:175], v[154:155], v[152:153]
	v_mul_f64_e32 v[22:23], v[6:7], v[22:23]
	ds_load_b128 v[152:155], v2 offset:1344
	v_fmac_f64_e32 v[168:169], v[162:163], v[16:17]
	v_fma_f64 v[16:17], v[160:161], v[16:17], -v[18:19]
	s_wait_loadcnt_dscnt 0x900
	v_mul_f64_e32 v[162:163], v[152:153], v[26:27]
	v_mul_f64_e32 v[26:27], v[154:155], v[26:27]
	v_add_f64_e32 v[160:161], v[164:165], v[170:171]
	v_fmac_f64_e32 v[166:167], v[6:7], v[20:21]
	v_add_f64_e32 v[18:19], v[174:175], v[172:173]
	v_fma_f64 v[20:21], v[4:5], v[20:21], -v[22:23]
	v_fmac_f64_e32 v[162:163], v[154:155], v[24:25]
	v_fma_f64 v[24:25], v[152:153], v[24:25], -v[26:27]
	v_add_f64_e32 v[160:161], v[160:161], v[168:169]
	v_add_f64_e32 v[22:23], v[18:19], v[16:17]
	ds_load_b128 v[4:7], v2 offset:1360
	ds_load_b128 v[16:19], v2 offset:1376
	s_wait_loadcnt_dscnt 0x801
	v_mul_f64_e32 v[164:165], v[4:5], v[30:31]
	v_mul_f64_e32 v[30:31], v[6:7], v[30:31]
	s_wait_loadcnt_dscnt 0x700
	v_mul_f64_e32 v[26:27], v[16:17], v[130:131]
	v_mul_f64_e32 v[130:131], v[18:19], v[130:131]
	v_add_f64_e32 v[20:21], v[22:23], v[20:21]
	v_add_f64_e32 v[22:23], v[160:161], v[166:167]
	v_fmac_f64_e32 v[164:165], v[6:7], v[28:29]
	v_fma_f64 v[28:29], v[4:5], v[28:29], -v[30:31]
	v_fmac_f64_e32 v[26:27], v[18:19], v[128:129]
	v_fma_f64 v[16:17], v[16:17], v[128:129], -v[130:131]
	v_add_f64_e32 v[24:25], v[20:21], v[24:25]
	v_add_f64_e32 v[30:31], v[22:23], v[162:163]
	ds_load_b128 v[4:7], v2 offset:1392
	ds_load_b128 v[20:23], v2 offset:1408
	s_wait_loadcnt_dscnt 0x601
	v_mul_f64_e32 v[152:153], v[4:5], v[134:135]
	v_mul_f64_e32 v[134:135], v[6:7], v[134:135]
	v_add_f64_e32 v[18:19], v[24:25], v[28:29]
	v_add_f64_e32 v[24:25], v[30:31], v[164:165]
	s_wait_loadcnt_dscnt 0x500
	v_mul_f64_e32 v[28:29], v[20:21], v[138:139]
	v_mul_f64_e32 v[30:31], v[22:23], v[138:139]
	v_fmac_f64_e32 v[152:153], v[6:7], v[132:133]
	v_fma_f64 v[128:129], v[4:5], v[132:133], -v[134:135]
	v_add_f64_e32 v[130:131], v[18:19], v[16:17]
	v_add_f64_e32 v[24:25], v[24:25], v[26:27]
	ds_load_b128 v[4:7], v2 offset:1424
	ds_load_b128 v[16:19], v2 offset:1440
	v_fmac_f64_e32 v[28:29], v[22:23], v[136:137]
	v_fma_f64 v[20:21], v[20:21], v[136:137], -v[30:31]
	s_wait_loadcnt_dscnt 0x401
	v_mul_f64_e32 v[26:27], v[4:5], v[146:147]
	v_mul_f64_e32 v[132:133], v[6:7], v[146:147]
	s_wait_loadcnt_dscnt 0x300
	v_mul_f64_e32 v[30:31], v[16:17], v[158:159]
	v_add_f64_e32 v[22:23], v[130:131], v[128:129]
	v_add_f64_e32 v[24:25], v[24:25], v[152:153]
	v_mul_f64_e32 v[128:129], v[18:19], v[158:159]
	v_fmac_f64_e32 v[26:27], v[6:7], v[144:145]
	v_fma_f64 v[130:131], v[4:5], v[144:145], -v[132:133]
	v_fmac_f64_e32 v[30:31], v[18:19], v[156:157]
	v_add_f64_e32 v[132:133], v[22:23], v[20:21]
	v_add_f64_e32 v[24:25], v[24:25], v[28:29]
	ds_load_b128 v[4:7], v2 offset:1456
	ds_load_b128 v[20:23], v2 offset:1472
	v_fma_f64 v[16:17], v[16:17], v[156:157], -v[128:129]
	s_wait_loadcnt_dscnt 0x201
	v_mul_f64_e32 v[28:29], v[4:5], v[142:143]
	v_mul_f64_e32 v[134:135], v[6:7], v[142:143]
	v_add_f64_e32 v[18:19], v[132:133], v[130:131]
	v_add_f64_e32 v[24:25], v[24:25], v[26:27]
	s_wait_loadcnt_dscnt 0x100
	v_mul_f64_e32 v[26:27], v[20:21], v[10:11]
	v_mul_f64_e32 v[10:11], v[22:23], v[10:11]
	v_fmac_f64_e32 v[28:29], v[6:7], v[140:141]
	v_fma_f64 v[128:129], v[4:5], v[140:141], -v[134:135]
	ds_load_b128 v[4:7], v2 offset:1488
	v_add_f64_e32 v[16:17], v[18:19], v[16:17]
	v_add_f64_e32 v[18:19], v[24:25], v[30:31]
	v_fmac_f64_e32 v[26:27], v[22:23], v[8:9]
	v_fma_f64 v[8:9], v[20:21], v[8:9], -v[10:11]
	s_wait_loadcnt_dscnt 0x0
	v_mul_f64_e32 v[24:25], v[4:5], v[14:15]
	v_mul_f64_e32 v[14:15], v[6:7], v[14:15]
	v_add_f64_e32 v[10:11], v[16:17], v[128:129]
	v_add_f64_e32 v[16:17], v[18:19], v[28:29]
	s_delay_alu instid0(VALU_DEP_4) | instskip(NEXT) | instid1(VALU_DEP_4)
	v_fmac_f64_e32 v[24:25], v[6:7], v[12:13]
	v_fma_f64 v[4:5], v[4:5], v[12:13], -v[14:15]
	s_delay_alu instid0(VALU_DEP_4) | instskip(NEXT) | instid1(VALU_DEP_4)
	v_add_f64_e32 v[6:7], v[10:11], v[8:9]
	v_add_f64_e32 v[8:9], v[16:17], v[26:27]
	s_delay_alu instid0(VALU_DEP_2) | instskip(NEXT) | instid1(VALU_DEP_2)
	v_add_f64_e32 v[4:5], v[6:7], v[4:5]
	v_add_f64_e32 v[6:7], v[8:9], v[24:25]
	s_delay_alu instid0(VALU_DEP_2) | instskip(NEXT) | instid1(VALU_DEP_2)
	v_add_f64_e64 v[4:5], v[148:149], -v[4:5]
	v_add_f64_e64 v[6:7], v[150:151], -v[6:7]
	scratch_store_b128 off, v[4:7], off offset:112
	s_wait_xcnt 0x0
	v_cmpx_lt_u32_e32 6, v1
	s_cbranch_execz .LBB46_283
; %bb.282:
	scratch_load_b128 v[6:9], off, s52
	v_dual_mov_b32 v3, v2 :: v_dual_mov_b32 v4, v2
	v_mov_b32_e32 v5, v2
	scratch_store_b128 off, v[2:5], off offset:96
	s_wait_loadcnt 0x0
	ds_store_b128 v126, v[6:9]
.LBB46_283:
	s_wait_xcnt 0x0
	s_or_b32 exec_lo, exec_lo, s2
	s_wait_storecnt_dscnt 0x0
	s_barrier_signal -1
	s_barrier_wait -1
	s_clause 0x9
	scratch_load_b128 v[4:7], off, off offset:112
	scratch_load_b128 v[8:11], off, off offset:128
	;; [unrolled: 1-line block ×10, first 2 shown]
	ds_load_b128 v[140:143], v2 offset:864
	ds_load_b128 v[148:151], v2 offset:880
	s_clause 0x2
	scratch_load_b128 v[144:147], off, off offset:272
	scratch_load_b128 v[152:155], off, off offset:96
	;; [unrolled: 1-line block ×3, first 2 shown]
	s_mov_b32 s2, exec_lo
	s_wait_loadcnt_dscnt 0xc01
	v_mul_f64_e32 v[160:161], v[142:143], v[6:7]
	v_mul_f64_e32 v[164:165], v[140:141], v[6:7]
	s_wait_loadcnt_dscnt 0xb00
	v_mul_f64_e32 v[166:167], v[148:149], v[10:11]
	v_mul_f64_e32 v[10:11], v[150:151], v[10:11]
	s_delay_alu instid0(VALU_DEP_4) | instskip(NEXT) | instid1(VALU_DEP_4)
	v_fma_f64 v[168:169], v[140:141], v[4:5], -v[160:161]
	v_fmac_f64_e32 v[164:165], v[142:143], v[4:5]
	ds_load_b128 v[4:7], v2 offset:896
	ds_load_b128 v[140:143], v2 offset:912
	scratch_load_b128 v[160:163], off, off offset:304
	v_fmac_f64_e32 v[166:167], v[150:151], v[8:9]
	v_fma_f64 v[148:149], v[148:149], v[8:9], -v[10:11]
	scratch_load_b128 v[8:11], off, off offset:320
	s_wait_loadcnt_dscnt 0xc01
	v_mul_f64_e32 v[170:171], v[4:5], v[14:15]
	v_mul_f64_e32 v[14:15], v[6:7], v[14:15]
	v_add_f64_e32 v[150:151], 0, v[168:169]
	v_add_f64_e32 v[164:165], 0, v[164:165]
	s_wait_loadcnt_dscnt 0xb00
	v_mul_f64_e32 v[168:169], v[140:141], v[18:19]
	v_mul_f64_e32 v[18:19], v[142:143], v[18:19]
	v_fmac_f64_e32 v[170:171], v[6:7], v[12:13]
	v_fma_f64 v[172:173], v[4:5], v[12:13], -v[14:15]
	ds_load_b128 v[4:7], v2 offset:928
	ds_load_b128 v[12:15], v2 offset:944
	v_add_f64_e32 v[174:175], v[150:151], v[148:149]
	v_add_f64_e32 v[164:165], v[164:165], v[166:167]
	scratch_load_b128 v[148:151], off, off offset:336
	v_fmac_f64_e32 v[168:169], v[142:143], v[16:17]
	v_fma_f64 v[140:141], v[140:141], v[16:17], -v[18:19]
	scratch_load_b128 v[16:19], off, off offset:352
	s_wait_loadcnt_dscnt 0xc01
	v_mul_f64_e32 v[166:167], v[4:5], v[22:23]
	v_mul_f64_e32 v[22:23], v[6:7], v[22:23]
	v_add_f64_e32 v[142:143], v[174:175], v[172:173]
	v_add_f64_e32 v[164:165], v[164:165], v[170:171]
	s_wait_loadcnt_dscnt 0xb00
	v_mul_f64_e32 v[170:171], v[12:13], v[26:27]
	v_mul_f64_e32 v[26:27], v[14:15], v[26:27]
	v_fmac_f64_e32 v[166:167], v[6:7], v[20:21]
	v_fma_f64 v[172:173], v[4:5], v[20:21], -v[22:23]
	ds_load_b128 v[4:7], v2 offset:960
	ds_load_b128 v[20:23], v2 offset:976
	v_add_f64_e32 v[174:175], v[142:143], v[140:141]
	v_add_f64_e32 v[164:165], v[164:165], v[168:169]
	scratch_load_b128 v[140:143], off, off offset:368
	s_wait_loadcnt_dscnt 0xb01
	v_mul_f64_e32 v[168:169], v[4:5], v[30:31]
	v_mul_f64_e32 v[30:31], v[6:7], v[30:31]
	v_fmac_f64_e32 v[170:171], v[14:15], v[24:25]
	v_fma_f64 v[24:25], v[12:13], v[24:25], -v[26:27]
	scratch_load_b128 v[12:15], off, off offset:384
	v_add_f64_e32 v[26:27], v[174:175], v[172:173]
	v_add_f64_e32 v[164:165], v[164:165], v[166:167]
	s_wait_loadcnt_dscnt 0xb00
	v_mul_f64_e32 v[166:167], v[20:21], v[130:131]
	v_mul_f64_e32 v[130:131], v[22:23], v[130:131]
	v_fmac_f64_e32 v[168:169], v[6:7], v[28:29]
	v_fma_f64 v[172:173], v[4:5], v[28:29], -v[30:31]
	v_add_f64_e32 v[174:175], v[26:27], v[24:25]
	v_add_f64_e32 v[164:165], v[164:165], v[170:171]
	ds_load_b128 v[4:7], v2 offset:992
	ds_load_b128 v[24:27], v2 offset:1008
	scratch_load_b128 v[28:31], off, off offset:400
	v_fmac_f64_e32 v[166:167], v[22:23], v[128:129]
	v_fma_f64 v[128:129], v[20:21], v[128:129], -v[130:131]
	scratch_load_b128 v[20:23], off, off offset:416
	s_wait_loadcnt_dscnt 0xc01
	v_mul_f64_e32 v[170:171], v[4:5], v[134:135]
	v_mul_f64_e32 v[134:135], v[6:7], v[134:135]
	v_add_f64_e32 v[130:131], v[174:175], v[172:173]
	v_add_f64_e32 v[164:165], v[164:165], v[168:169]
	s_wait_loadcnt_dscnt 0xb00
	v_mul_f64_e32 v[168:169], v[24:25], v[138:139]
	v_mul_f64_e32 v[138:139], v[26:27], v[138:139]
	v_fmac_f64_e32 v[170:171], v[6:7], v[132:133]
	v_fma_f64 v[172:173], v[4:5], v[132:133], -v[134:135]
	v_add_f64_e32 v[174:175], v[130:131], v[128:129]
	v_add_f64_e32 v[164:165], v[164:165], v[166:167]
	ds_load_b128 v[4:7], v2 offset:1024
	ds_load_b128 v[128:131], v2 offset:1040
	scratch_load_b128 v[132:135], off, off offset:432
	v_fmac_f64_e32 v[168:169], v[26:27], v[136:137]
	v_fma_f64 v[136:137], v[24:25], v[136:137], -v[138:139]
	scratch_load_b128 v[24:27], off, off offset:448
	s_wait_loadcnt_dscnt 0xc01
	v_mul_f64_e32 v[166:167], v[4:5], v[146:147]
	v_mul_f64_e32 v[146:147], v[6:7], v[146:147]
	;; [unrolled: 18-line block ×5, first 2 shown]
	v_add_f64_e32 v[158:159], v[174:175], v[172:173]
	v_add_f64_e32 v[164:165], v[164:165], v[170:171]
	s_wait_loadcnt_dscnt 0xa00
	v_mul_f64_e32 v[170:171], v[136:137], v[14:15]
	v_mul_f64_e32 v[14:15], v[138:139], v[14:15]
	v_fmac_f64_e32 v[166:167], v[6:7], v[140:141]
	v_fma_f64 v[172:173], v[4:5], v[140:141], -v[142:143]
	ds_load_b128 v[4:7], v2 offset:1152
	ds_load_b128 v[140:143], v2 offset:1168
	v_add_f64_e32 v[174:175], v[158:159], v[156:157]
	v_add_f64_e32 v[164:165], v[164:165], v[168:169]
	scratch_load_b128 v[156:159], off, off offset:560
	v_fmac_f64_e32 v[170:171], v[138:139], v[12:13]
	v_fma_f64 v[136:137], v[136:137], v[12:13], -v[14:15]
	scratch_load_b128 v[12:15], off, off offset:576
	s_wait_loadcnt_dscnt 0xb01
	v_mul_f64_e32 v[168:169], v[4:5], v[30:31]
	v_mul_f64_e32 v[30:31], v[6:7], v[30:31]
	v_add_f64_e32 v[138:139], v[174:175], v[172:173]
	v_add_f64_e32 v[164:165], v[164:165], v[166:167]
	s_wait_loadcnt_dscnt 0xa00
	v_mul_f64_e32 v[166:167], v[140:141], v[22:23]
	v_mul_f64_e32 v[22:23], v[142:143], v[22:23]
	v_fmac_f64_e32 v[168:169], v[6:7], v[28:29]
	v_fma_f64 v[172:173], v[4:5], v[28:29], -v[30:31]
	ds_load_b128 v[4:7], v2 offset:1184
	ds_load_b128 v[28:31], v2 offset:1200
	v_add_f64_e32 v[174:175], v[138:139], v[136:137]
	v_add_f64_e32 v[164:165], v[164:165], v[170:171]
	scratch_load_b128 v[136:139], off, off offset:592
	s_wait_loadcnt_dscnt 0xa01
	v_mul_f64_e32 v[170:171], v[4:5], v[134:135]
	v_mul_f64_e32 v[134:135], v[6:7], v[134:135]
	v_fmac_f64_e32 v[166:167], v[142:143], v[20:21]
	v_fma_f64 v[140:141], v[140:141], v[20:21], -v[22:23]
	scratch_load_b128 v[20:23], off, off offset:608
	v_add_f64_e32 v[142:143], v[174:175], v[172:173]
	v_add_f64_e32 v[164:165], v[164:165], v[168:169]
	s_wait_loadcnt_dscnt 0xa00
	v_mul_f64_e32 v[168:169], v[28:29], v[26:27]
	v_mul_f64_e32 v[26:27], v[30:31], v[26:27]
	v_fmac_f64_e32 v[170:171], v[6:7], v[132:133]
	v_fma_f64 v[172:173], v[4:5], v[132:133], -v[134:135]
	ds_load_b128 v[4:7], v2 offset:1216
	ds_load_b128 v[132:135], v2 offset:1232
	v_add_f64_e32 v[174:175], v[142:143], v[140:141]
	v_add_f64_e32 v[164:165], v[164:165], v[166:167]
	scratch_load_b128 v[140:143], off, off offset:624
	s_wait_loadcnt_dscnt 0xa01
	v_mul_f64_e32 v[166:167], v[4:5], v[146:147]
	v_mul_f64_e32 v[146:147], v[6:7], v[146:147]
	v_fmac_f64_e32 v[168:169], v[30:31], v[24:25]
	v_fma_f64 v[28:29], v[28:29], v[24:25], -v[26:27]
	scratch_load_b128 v[24:27], off, off offset:640
	v_add_f64_e32 v[30:31], v[174:175], v[172:173]
	v_add_f64_e32 v[164:165], v[164:165], v[170:171]
	s_wait_loadcnt_dscnt 0xa00
	v_mul_f64_e32 v[170:171], v[132:133], v[130:131]
	v_mul_f64_e32 v[130:131], v[134:135], v[130:131]
	v_fmac_f64_e32 v[166:167], v[6:7], v[144:145]
	v_fma_f64 v[172:173], v[4:5], v[144:145], -v[146:147]
	v_add_f64_e32 v[174:175], v[30:31], v[28:29]
	v_add_f64_e32 v[164:165], v[164:165], v[168:169]
	ds_load_b128 v[4:7], v2 offset:1248
	ds_load_b128 v[28:31], v2 offset:1264
	scratch_load_b128 v[144:147], off, off offset:656
	v_fmac_f64_e32 v[170:171], v[134:135], v[128:129]
	v_fma_f64 v[132:133], v[132:133], v[128:129], -v[130:131]
	scratch_load_b128 v[128:131], off, off offset:672
	s_wait_loadcnt_dscnt 0xb01
	v_mul_f64_e32 v[168:169], v[4:5], v[162:163]
	v_mul_f64_e32 v[162:163], v[6:7], v[162:163]
	v_add_f64_e32 v[134:135], v[174:175], v[172:173]
	v_add_f64_e32 v[164:165], v[164:165], v[166:167]
	s_wait_loadcnt_dscnt 0xa00
	v_mul_f64_e32 v[166:167], v[28:29], v[10:11]
	v_mul_f64_e32 v[10:11], v[30:31], v[10:11]
	v_fmac_f64_e32 v[168:169], v[6:7], v[160:161]
	v_fma_f64 v[172:173], v[4:5], v[160:161], -v[162:163]
	v_add_f64_e32 v[174:175], v[134:135], v[132:133]
	v_add_f64_e32 v[164:165], v[164:165], v[170:171]
	ds_load_b128 v[4:7], v2 offset:1280
	ds_load_b128 v[132:135], v2 offset:1296
	scratch_load_b128 v[160:163], off, off offset:688
	v_fmac_f64_e32 v[166:167], v[30:31], v[8:9]
	v_fma_f64 v[28:29], v[28:29], v[8:9], -v[10:11]
	scratch_load_b128 v[8:11], off, off offset:704
	s_wait_loadcnt_dscnt 0xb01
	v_mul_f64_e32 v[170:171], v[4:5], v[150:151]
	v_mul_f64_e32 v[150:151], v[6:7], v[150:151]
	v_add_f64_e32 v[30:31], v[174:175], v[172:173]
	v_add_f64_e32 v[164:165], v[164:165], v[168:169]
	s_wait_loadcnt_dscnt 0xa00
	v_mul_f64_e32 v[168:169], v[132:133], v[18:19]
	v_mul_f64_e32 v[18:19], v[134:135], v[18:19]
	v_fmac_f64_e32 v[170:171], v[6:7], v[148:149]
	v_fma_f64 v[172:173], v[4:5], v[148:149], -v[150:151]
	v_add_f64_e32 v[174:175], v[30:31], v[28:29]
	v_add_f64_e32 v[164:165], v[164:165], v[166:167]
	ds_load_b128 v[4:7], v2 offset:1312
	ds_load_b128 v[28:31], v2 offset:1328
	scratch_load_b128 v[148:151], off, off offset:720
	v_fmac_f64_e32 v[168:169], v[134:135], v[16:17]
	v_fma_f64 v[132:133], v[132:133], v[16:17], -v[18:19]
	scratch_load_b128 v[16:19], off, off offset:736
	s_wait_loadcnt_dscnt 0xb01
	v_mul_f64_e32 v[166:167], v[4:5], v[158:159]
	v_mul_f64_e32 v[158:159], v[6:7], v[158:159]
	v_add_f64_e32 v[134:135], v[174:175], v[172:173]
	v_add_f64_e32 v[164:165], v[164:165], v[170:171]
	s_wait_loadcnt_dscnt 0xa00
	v_mul_f64_e32 v[170:171], v[28:29], v[14:15]
	v_mul_f64_e32 v[14:15], v[30:31], v[14:15]
	v_fmac_f64_e32 v[166:167], v[6:7], v[156:157]
	v_fma_f64 v[156:157], v[4:5], v[156:157], -v[158:159]
	v_add_f64_e32 v[158:159], v[134:135], v[132:133]
	v_add_f64_e32 v[164:165], v[164:165], v[168:169]
	ds_load_b128 v[4:7], v2 offset:1344
	ds_load_b128 v[132:135], v2 offset:1360
	v_fmac_f64_e32 v[170:171], v[30:31], v[12:13]
	v_fma_f64 v[12:13], v[28:29], v[12:13], -v[14:15]
	s_wait_loadcnt_dscnt 0x901
	v_mul_f64_e32 v[168:169], v[4:5], v[138:139]
	v_mul_f64_e32 v[138:139], v[6:7], v[138:139]
	s_wait_loadcnt_dscnt 0x800
	v_mul_f64_e32 v[30:31], v[132:133], v[22:23]
	v_mul_f64_e32 v[22:23], v[134:135], v[22:23]
	v_add_f64_e32 v[14:15], v[158:159], v[156:157]
	v_add_f64_e32 v[28:29], v[164:165], v[166:167]
	v_fmac_f64_e32 v[168:169], v[6:7], v[136:137]
	v_fma_f64 v[136:137], v[4:5], v[136:137], -v[138:139]
	v_fmac_f64_e32 v[30:31], v[134:135], v[20:21]
	v_fma_f64 v[20:21], v[132:133], v[20:21], -v[22:23]
	v_add_f64_e32 v[138:139], v[14:15], v[12:13]
	v_add_f64_e32 v[28:29], v[28:29], v[170:171]
	ds_load_b128 v[4:7], v2 offset:1376
	ds_load_b128 v[12:15], v2 offset:1392
	s_wait_loadcnt_dscnt 0x701
	v_mul_f64_e32 v[156:157], v[4:5], v[142:143]
	v_mul_f64_e32 v[142:143], v[6:7], v[142:143]
	s_wait_loadcnt_dscnt 0x600
	v_mul_f64_e32 v[132:133], v[12:13], v[26:27]
	v_mul_f64_e32 v[26:27], v[14:15], v[26:27]
	v_add_f64_e32 v[22:23], v[138:139], v[136:137]
	v_add_f64_e32 v[28:29], v[28:29], v[168:169]
	v_fmac_f64_e32 v[156:157], v[6:7], v[140:141]
	v_fma_f64 v[134:135], v[4:5], v[140:141], -v[142:143]
	v_fmac_f64_e32 v[132:133], v[14:15], v[24:25]
	v_fma_f64 v[12:13], v[12:13], v[24:25], -v[26:27]
	v_add_f64_e32 v[136:137], v[22:23], v[20:21]
	v_add_f64_e32 v[28:29], v[28:29], v[30:31]
	ds_load_b128 v[4:7], v2 offset:1408
	ds_load_b128 v[20:23], v2 offset:1424
	s_wait_loadcnt_dscnt 0x501
	v_mul_f64_e32 v[30:31], v[4:5], v[146:147]
	v_mul_f64_e32 v[138:139], v[6:7], v[146:147]
	s_wait_loadcnt_dscnt 0x400
	v_mul_f64_e32 v[26:27], v[20:21], v[130:131]
	v_add_f64_e32 v[14:15], v[136:137], v[134:135]
	v_add_f64_e32 v[24:25], v[28:29], v[156:157]
	v_mul_f64_e32 v[28:29], v[22:23], v[130:131]
	v_fmac_f64_e32 v[30:31], v[6:7], v[144:145]
	v_fma_f64 v[130:131], v[4:5], v[144:145], -v[138:139]
	v_fmac_f64_e32 v[26:27], v[22:23], v[128:129]
	v_add_f64_e32 v[134:135], v[14:15], v[12:13]
	v_add_f64_e32 v[24:25], v[24:25], v[132:133]
	ds_load_b128 v[4:7], v2 offset:1440
	ds_load_b128 v[12:15], v2 offset:1456
	v_fma_f64 v[20:21], v[20:21], v[128:129], -v[28:29]
	s_wait_loadcnt_dscnt 0x301
	v_mul_f64_e32 v[132:133], v[4:5], v[162:163]
	v_mul_f64_e32 v[136:137], v[6:7], v[162:163]
	s_wait_loadcnt_dscnt 0x200
	v_mul_f64_e32 v[28:29], v[12:13], v[10:11]
	v_mul_f64_e32 v[10:11], v[14:15], v[10:11]
	v_add_f64_e32 v[22:23], v[134:135], v[130:131]
	v_add_f64_e32 v[24:25], v[24:25], v[30:31]
	v_fmac_f64_e32 v[132:133], v[6:7], v[160:161]
	v_fma_f64 v[30:31], v[4:5], v[160:161], -v[136:137]
	v_fmac_f64_e32 v[28:29], v[14:15], v[8:9]
	v_fma_f64 v[8:9], v[12:13], v[8:9], -v[10:11]
	v_add_f64_e32 v[128:129], v[22:23], v[20:21]
	v_add_f64_e32 v[24:25], v[24:25], v[26:27]
	ds_load_b128 v[4:7], v2 offset:1472
	ds_load_b128 v[20:23], v2 offset:1488
	s_wait_loadcnt_dscnt 0x101
	v_mul_f64_e32 v[2:3], v[4:5], v[150:151]
	v_mul_f64_e32 v[26:27], v[6:7], v[150:151]
	s_wait_loadcnt_dscnt 0x0
	v_mul_f64_e32 v[14:15], v[20:21], v[18:19]
	v_mul_f64_e32 v[18:19], v[22:23], v[18:19]
	v_add_f64_e32 v[10:11], v[128:129], v[30:31]
	v_add_f64_e32 v[12:13], v[24:25], v[132:133]
	v_fmac_f64_e32 v[2:3], v[6:7], v[148:149]
	v_fma_f64 v[4:5], v[4:5], v[148:149], -v[26:27]
	v_fmac_f64_e32 v[14:15], v[22:23], v[16:17]
	v_add_f64_e32 v[6:7], v[10:11], v[8:9]
	v_add_f64_e32 v[8:9], v[12:13], v[28:29]
	v_fma_f64 v[10:11], v[20:21], v[16:17], -v[18:19]
	s_delay_alu instid0(VALU_DEP_3) | instskip(NEXT) | instid1(VALU_DEP_3)
	v_add_f64_e32 v[4:5], v[6:7], v[4:5]
	v_add_f64_e32 v[2:3], v[8:9], v[2:3]
	s_delay_alu instid0(VALU_DEP_2) | instskip(NEXT) | instid1(VALU_DEP_2)
	v_add_f64_e32 v[4:5], v[4:5], v[10:11]
	v_add_f64_e32 v[6:7], v[2:3], v[14:15]
	s_delay_alu instid0(VALU_DEP_2) | instskip(NEXT) | instid1(VALU_DEP_2)
	v_add_f64_e64 v[2:3], v[152:153], -v[4:5]
	v_add_f64_e64 v[4:5], v[154:155], -v[6:7]
	scratch_store_b128 off, v[2:5], off offset:96
	s_wait_xcnt 0x0
	v_cmpx_lt_u32_e32 5, v1
	s_cbranch_execz .LBB46_285
; %bb.284:
	scratch_load_b128 v[2:5], off, s50
	v_mov_b32_e32 v6, 0
	s_delay_alu instid0(VALU_DEP_1)
	v_dual_mov_b32 v7, v6 :: v_dual_mov_b32 v8, v6
	v_mov_b32_e32 v9, v6
	scratch_store_b128 off, v[6:9], off offset:80
	s_wait_loadcnt 0x0
	ds_store_b128 v126, v[2:5]
.LBB46_285:
	s_wait_xcnt 0x0
	s_or_b32 exec_lo, exec_lo, s2
	s_wait_storecnt_dscnt 0x0
	s_barrier_signal -1
	s_barrier_wait -1
	s_clause 0x9
	scratch_load_b128 v[4:7], off, off offset:96
	scratch_load_b128 v[8:11], off, off offset:112
	;; [unrolled: 1-line block ×10, first 2 shown]
	v_mov_b32_e32 v2, 0
	s_mov_b32 s2, exec_lo
	ds_load_b128 v[140:143], v2 offset:848
	s_clause 0x2
	scratch_load_b128 v[144:147], off, off offset:256
	scratch_load_b128 v[148:151], off, off offset:80
	;; [unrolled: 1-line block ×3, first 2 shown]
	s_wait_loadcnt_dscnt 0xc00
	v_mul_f64_e32 v[160:161], v[142:143], v[6:7]
	v_mul_f64_e32 v[164:165], v[140:141], v[6:7]
	ds_load_b128 v[152:155], v2 offset:864
	v_fma_f64 v[168:169], v[140:141], v[4:5], -v[160:161]
	v_fmac_f64_e32 v[164:165], v[142:143], v[4:5]
	ds_load_b128 v[4:7], v2 offset:880
	s_wait_loadcnt_dscnt 0xb01
	v_mul_f64_e32 v[166:167], v[152:153], v[10:11]
	v_mul_f64_e32 v[10:11], v[154:155], v[10:11]
	scratch_load_b128 v[140:143], off, off offset:288
	ds_load_b128 v[160:163], v2 offset:896
	s_wait_loadcnt_dscnt 0xb01
	v_mul_f64_e32 v[170:171], v[4:5], v[14:15]
	v_mul_f64_e32 v[14:15], v[6:7], v[14:15]
	v_add_f64_e32 v[164:165], 0, v[164:165]
	v_fmac_f64_e32 v[166:167], v[154:155], v[8:9]
	v_fma_f64 v[152:153], v[152:153], v[8:9], -v[10:11]
	v_add_f64_e32 v[154:155], 0, v[168:169]
	scratch_load_b128 v[8:11], off, off offset:304
	v_fmac_f64_e32 v[170:171], v[6:7], v[12:13]
	v_fma_f64 v[172:173], v[4:5], v[12:13], -v[14:15]
	ds_load_b128 v[4:7], v2 offset:912
	s_wait_loadcnt_dscnt 0xb01
	v_mul_f64_e32 v[168:169], v[160:161], v[18:19]
	v_mul_f64_e32 v[18:19], v[162:163], v[18:19]
	scratch_load_b128 v[12:15], off, off offset:320
	v_add_f64_e32 v[164:165], v[164:165], v[166:167]
	v_add_f64_e32 v[174:175], v[154:155], v[152:153]
	ds_load_b128 v[152:155], v2 offset:928
	s_wait_loadcnt_dscnt 0xb01
	v_mul_f64_e32 v[166:167], v[4:5], v[22:23]
	v_mul_f64_e32 v[22:23], v[6:7], v[22:23]
	v_fmac_f64_e32 v[168:169], v[162:163], v[16:17]
	v_fma_f64 v[160:161], v[160:161], v[16:17], -v[18:19]
	scratch_load_b128 v[16:19], off, off offset:336
	v_add_f64_e32 v[164:165], v[164:165], v[170:171]
	v_add_f64_e32 v[162:163], v[174:175], v[172:173]
	v_fmac_f64_e32 v[166:167], v[6:7], v[20:21]
	v_fma_f64 v[172:173], v[4:5], v[20:21], -v[22:23]
	ds_load_b128 v[4:7], v2 offset:944
	s_wait_loadcnt_dscnt 0xb01
	v_mul_f64_e32 v[170:171], v[152:153], v[26:27]
	v_mul_f64_e32 v[26:27], v[154:155], v[26:27]
	scratch_load_b128 v[20:23], off, off offset:352
	v_add_f64_e32 v[164:165], v[164:165], v[168:169]
	s_wait_loadcnt_dscnt 0xb00
	v_mul_f64_e32 v[168:169], v[4:5], v[30:31]
	v_add_f64_e32 v[174:175], v[162:163], v[160:161]
	v_mul_f64_e32 v[30:31], v[6:7], v[30:31]
	ds_load_b128 v[160:163], v2 offset:960
	v_fmac_f64_e32 v[170:171], v[154:155], v[24:25]
	v_fma_f64 v[152:153], v[152:153], v[24:25], -v[26:27]
	scratch_load_b128 v[24:27], off, off offset:368
	v_add_f64_e32 v[164:165], v[164:165], v[166:167]
	v_fmac_f64_e32 v[168:169], v[6:7], v[28:29]
	v_add_f64_e32 v[154:155], v[174:175], v[172:173]
	v_fma_f64 v[172:173], v[4:5], v[28:29], -v[30:31]
	ds_load_b128 v[4:7], v2 offset:976
	s_wait_loadcnt_dscnt 0xb01
	v_mul_f64_e32 v[166:167], v[160:161], v[130:131]
	v_mul_f64_e32 v[130:131], v[162:163], v[130:131]
	scratch_load_b128 v[28:31], off, off offset:384
	v_add_f64_e32 v[164:165], v[164:165], v[170:171]
	s_wait_loadcnt_dscnt 0xb00
	v_mul_f64_e32 v[170:171], v[4:5], v[134:135]
	v_add_f64_e32 v[174:175], v[154:155], v[152:153]
	v_mul_f64_e32 v[134:135], v[6:7], v[134:135]
	ds_load_b128 v[152:155], v2 offset:992
	v_fmac_f64_e32 v[166:167], v[162:163], v[128:129]
	v_fma_f64 v[160:161], v[160:161], v[128:129], -v[130:131]
	scratch_load_b128 v[128:131], off, off offset:400
	v_add_f64_e32 v[164:165], v[164:165], v[168:169]
	v_fmac_f64_e32 v[170:171], v[6:7], v[132:133]
	v_add_f64_e32 v[162:163], v[174:175], v[172:173]
	;; [unrolled: 18-line block ×3, first 2 shown]
	v_fma_f64 v[172:173], v[4:5], v[144:145], -v[146:147]
	ds_load_b128 v[4:7], v2 offset:1040
	s_wait_loadcnt_dscnt 0xa01
	v_mul_f64_e32 v[170:171], v[160:161], v[158:159]
	v_mul_f64_e32 v[158:159], v[162:163], v[158:159]
	scratch_load_b128 v[144:147], off, off offset:448
	v_add_f64_e32 v[164:165], v[164:165], v[168:169]
	v_add_f64_e32 v[174:175], v[154:155], v[152:153]
	s_wait_loadcnt_dscnt 0xa00
	v_mul_f64_e32 v[168:169], v[4:5], v[142:143]
	v_mul_f64_e32 v[142:143], v[6:7], v[142:143]
	v_fmac_f64_e32 v[170:171], v[162:163], v[156:157]
	v_fma_f64 v[160:161], v[160:161], v[156:157], -v[158:159]
	ds_load_b128 v[152:155], v2 offset:1056
	scratch_load_b128 v[156:159], off, off offset:464
	v_add_f64_e32 v[164:165], v[164:165], v[166:167]
	v_add_f64_e32 v[162:163], v[174:175], v[172:173]
	v_fmac_f64_e32 v[168:169], v[6:7], v[140:141]
	v_fma_f64 v[172:173], v[4:5], v[140:141], -v[142:143]
	ds_load_b128 v[4:7], v2 offset:1072
	s_wait_loadcnt_dscnt 0xa01
	v_mul_f64_e32 v[166:167], v[152:153], v[10:11]
	v_mul_f64_e32 v[10:11], v[154:155], v[10:11]
	scratch_load_b128 v[140:143], off, off offset:480
	v_add_f64_e32 v[164:165], v[164:165], v[170:171]
	s_wait_loadcnt_dscnt 0xa00
	v_mul_f64_e32 v[170:171], v[4:5], v[14:15]
	v_add_f64_e32 v[174:175], v[162:163], v[160:161]
	v_mul_f64_e32 v[14:15], v[6:7], v[14:15]
	ds_load_b128 v[160:163], v2 offset:1088
	v_fmac_f64_e32 v[166:167], v[154:155], v[8:9]
	v_fma_f64 v[152:153], v[152:153], v[8:9], -v[10:11]
	scratch_load_b128 v[8:11], off, off offset:496
	v_add_f64_e32 v[164:165], v[164:165], v[168:169]
	v_fmac_f64_e32 v[170:171], v[6:7], v[12:13]
	v_add_f64_e32 v[154:155], v[174:175], v[172:173]
	v_fma_f64 v[172:173], v[4:5], v[12:13], -v[14:15]
	ds_load_b128 v[4:7], v2 offset:1104
	s_wait_loadcnt_dscnt 0xa01
	v_mul_f64_e32 v[168:169], v[160:161], v[18:19]
	v_mul_f64_e32 v[18:19], v[162:163], v[18:19]
	scratch_load_b128 v[12:15], off, off offset:512
	v_add_f64_e32 v[164:165], v[164:165], v[166:167]
	s_wait_loadcnt_dscnt 0xa00
	v_mul_f64_e32 v[166:167], v[4:5], v[22:23]
	v_add_f64_e32 v[174:175], v[154:155], v[152:153]
	v_mul_f64_e32 v[22:23], v[6:7], v[22:23]
	ds_load_b128 v[152:155], v2 offset:1120
	v_fmac_f64_e32 v[168:169], v[162:163], v[16:17]
	v_fma_f64 v[160:161], v[160:161], v[16:17], -v[18:19]
	scratch_load_b128 v[16:19], off, off offset:528
	v_add_f64_e32 v[164:165], v[164:165], v[170:171]
	v_fmac_f64_e32 v[166:167], v[6:7], v[20:21]
	v_add_f64_e32 v[162:163], v[174:175], v[172:173]
	;; [unrolled: 18-line block ×8, first 2 shown]
	v_fma_f64 v[172:173], v[4:5], v[20:21], -v[22:23]
	ds_load_b128 v[4:7], v2 offset:1328
	s_wait_loadcnt_dscnt 0xa01
	v_mul_f64_e32 v[170:171], v[152:153], v[26:27]
	v_mul_f64_e32 v[26:27], v[154:155], v[26:27]
	scratch_load_b128 v[20:23], off, off offset:736
	v_add_f64_e32 v[164:165], v[164:165], v[168:169]
	s_wait_loadcnt_dscnt 0xa00
	v_mul_f64_e32 v[168:169], v[4:5], v[30:31]
	v_add_f64_e32 v[174:175], v[162:163], v[160:161]
	v_mul_f64_e32 v[30:31], v[6:7], v[30:31]
	ds_load_b128 v[160:163], v2 offset:1344
	v_fmac_f64_e32 v[170:171], v[154:155], v[24:25]
	v_fma_f64 v[24:25], v[152:153], v[24:25], -v[26:27]
	s_wait_loadcnt_dscnt 0x900
	v_mul_f64_e32 v[154:155], v[160:161], v[130:131]
	v_mul_f64_e32 v[130:131], v[162:163], v[130:131]
	v_add_f64_e32 v[152:153], v[164:165], v[166:167]
	v_fmac_f64_e32 v[168:169], v[6:7], v[28:29]
	v_add_f64_e32 v[26:27], v[174:175], v[172:173]
	v_fma_f64 v[28:29], v[4:5], v[28:29], -v[30:31]
	v_fmac_f64_e32 v[154:155], v[162:163], v[128:129]
	v_fma_f64 v[128:129], v[160:161], v[128:129], -v[130:131]
	v_add_f64_e32 v[152:153], v[152:153], v[170:171]
	v_add_f64_e32 v[30:31], v[26:27], v[24:25]
	ds_load_b128 v[4:7], v2 offset:1360
	ds_load_b128 v[24:27], v2 offset:1376
	s_wait_loadcnt_dscnt 0x801
	v_mul_f64_e32 v[164:165], v[4:5], v[134:135]
	v_mul_f64_e32 v[134:135], v[6:7], v[134:135]
	s_wait_loadcnt_dscnt 0x700
	v_mul_f64_e32 v[130:131], v[24:25], v[138:139]
	v_mul_f64_e32 v[138:139], v[26:27], v[138:139]
	v_add_f64_e32 v[28:29], v[30:31], v[28:29]
	v_add_f64_e32 v[30:31], v[152:153], v[168:169]
	v_fmac_f64_e32 v[164:165], v[6:7], v[132:133]
	v_fma_f64 v[132:133], v[4:5], v[132:133], -v[134:135]
	v_fmac_f64_e32 v[130:131], v[26:27], v[136:137]
	v_fma_f64 v[24:25], v[24:25], v[136:137], -v[138:139]
	v_add_f64_e32 v[128:129], v[28:29], v[128:129]
	v_add_f64_e32 v[134:135], v[30:31], v[154:155]
	ds_load_b128 v[4:7], v2 offset:1392
	ds_load_b128 v[28:31], v2 offset:1408
	s_wait_loadcnt_dscnt 0x601
	v_mul_f64_e32 v[152:153], v[4:5], v[146:147]
	v_mul_f64_e32 v[146:147], v[6:7], v[146:147]
	v_add_f64_e32 v[26:27], v[128:129], v[132:133]
	v_add_f64_e32 v[128:129], v[134:135], v[164:165]
	s_wait_loadcnt_dscnt 0x500
	v_mul_f64_e32 v[132:133], v[28:29], v[158:159]
	v_mul_f64_e32 v[134:135], v[30:31], v[158:159]
	v_fmac_f64_e32 v[152:153], v[6:7], v[144:145]
	v_fma_f64 v[136:137], v[4:5], v[144:145], -v[146:147]
	v_add_f64_e32 v[138:139], v[26:27], v[24:25]
	v_add_f64_e32 v[128:129], v[128:129], v[130:131]
	ds_load_b128 v[4:7], v2 offset:1424
	ds_load_b128 v[24:27], v2 offset:1440
	v_fmac_f64_e32 v[132:133], v[30:31], v[156:157]
	v_fma_f64 v[28:29], v[28:29], v[156:157], -v[134:135]
	s_wait_loadcnt_dscnt 0x401
	v_mul_f64_e32 v[130:131], v[4:5], v[142:143]
	v_mul_f64_e32 v[142:143], v[6:7], v[142:143]
	s_wait_loadcnt_dscnt 0x300
	v_mul_f64_e32 v[134:135], v[24:25], v[10:11]
	v_mul_f64_e32 v[10:11], v[26:27], v[10:11]
	v_add_f64_e32 v[30:31], v[138:139], v[136:137]
	v_add_f64_e32 v[128:129], v[128:129], v[152:153]
	v_fmac_f64_e32 v[130:131], v[6:7], v[140:141]
	v_fma_f64 v[136:137], v[4:5], v[140:141], -v[142:143]
	v_fmac_f64_e32 v[134:135], v[26:27], v[8:9]
	v_fma_f64 v[8:9], v[24:25], v[8:9], -v[10:11]
	v_add_f64_e32 v[138:139], v[30:31], v[28:29]
	v_add_f64_e32 v[128:129], v[128:129], v[132:133]
	ds_load_b128 v[4:7], v2 offset:1456
	ds_load_b128 v[28:31], v2 offset:1472
	s_wait_loadcnt_dscnt 0x201
	v_mul_f64_e32 v[132:133], v[4:5], v[14:15]
	v_mul_f64_e32 v[14:15], v[6:7], v[14:15]
	s_wait_loadcnt_dscnt 0x100
	v_mul_f64_e32 v[26:27], v[28:29], v[18:19]
	v_mul_f64_e32 v[18:19], v[30:31], v[18:19]
	v_add_f64_e32 v[10:11], v[138:139], v[136:137]
	v_add_f64_e32 v[24:25], v[128:129], v[130:131]
	v_fmac_f64_e32 v[132:133], v[6:7], v[12:13]
	v_fma_f64 v[12:13], v[4:5], v[12:13], -v[14:15]
	ds_load_b128 v[4:7], v2 offset:1488
	v_fmac_f64_e32 v[26:27], v[30:31], v[16:17]
	v_fma_f64 v[16:17], v[28:29], v[16:17], -v[18:19]
	v_add_f64_e32 v[8:9], v[10:11], v[8:9]
	v_add_f64_e32 v[10:11], v[24:25], v[134:135]
	s_wait_loadcnt_dscnt 0x0
	v_mul_f64_e32 v[14:15], v[4:5], v[22:23]
	v_mul_f64_e32 v[22:23], v[6:7], v[22:23]
	s_delay_alu instid0(VALU_DEP_4) | instskip(NEXT) | instid1(VALU_DEP_4)
	v_add_f64_e32 v[8:9], v[8:9], v[12:13]
	v_add_f64_e32 v[10:11], v[10:11], v[132:133]
	s_delay_alu instid0(VALU_DEP_4) | instskip(NEXT) | instid1(VALU_DEP_4)
	v_fmac_f64_e32 v[14:15], v[6:7], v[20:21]
	v_fma_f64 v[4:5], v[4:5], v[20:21], -v[22:23]
	s_delay_alu instid0(VALU_DEP_4) | instskip(NEXT) | instid1(VALU_DEP_4)
	v_add_f64_e32 v[6:7], v[8:9], v[16:17]
	v_add_f64_e32 v[8:9], v[10:11], v[26:27]
	s_delay_alu instid0(VALU_DEP_2) | instskip(NEXT) | instid1(VALU_DEP_2)
	v_add_f64_e32 v[4:5], v[6:7], v[4:5]
	v_add_f64_e32 v[6:7], v[8:9], v[14:15]
	s_delay_alu instid0(VALU_DEP_2) | instskip(NEXT) | instid1(VALU_DEP_2)
	v_add_f64_e64 v[4:5], v[148:149], -v[4:5]
	v_add_f64_e64 v[6:7], v[150:151], -v[6:7]
	scratch_store_b128 off, v[4:7], off offset:80
	s_wait_xcnt 0x0
	v_cmpx_lt_u32_e32 4, v1
	s_cbranch_execz .LBB46_287
; %bb.286:
	scratch_load_b128 v[6:9], off, s44
	v_dual_mov_b32 v3, v2 :: v_dual_mov_b32 v4, v2
	v_mov_b32_e32 v5, v2
	scratch_store_b128 off, v[2:5], off offset:64
	s_wait_loadcnt 0x0
	ds_store_b128 v126, v[6:9]
.LBB46_287:
	s_wait_xcnt 0x0
	s_or_b32 exec_lo, exec_lo, s2
	s_wait_storecnt_dscnt 0x0
	s_barrier_signal -1
	s_barrier_wait -1
	s_clause 0x9
	scratch_load_b128 v[4:7], off, off offset:80
	scratch_load_b128 v[8:11], off, off offset:96
	;; [unrolled: 1-line block ×10, first 2 shown]
	ds_load_b128 v[140:143], v2 offset:832
	ds_load_b128 v[148:151], v2 offset:848
	s_clause 0x2
	scratch_load_b128 v[144:147], off, off offset:240
	scratch_load_b128 v[152:155], off, off offset:64
	;; [unrolled: 1-line block ×3, first 2 shown]
	s_mov_b32 s2, exec_lo
	s_wait_loadcnt_dscnt 0xc01
	v_mul_f64_e32 v[160:161], v[142:143], v[6:7]
	v_mul_f64_e32 v[164:165], v[140:141], v[6:7]
	s_wait_loadcnt_dscnt 0xb00
	v_mul_f64_e32 v[166:167], v[148:149], v[10:11]
	v_mul_f64_e32 v[10:11], v[150:151], v[10:11]
	s_delay_alu instid0(VALU_DEP_4) | instskip(NEXT) | instid1(VALU_DEP_4)
	v_fma_f64 v[168:169], v[140:141], v[4:5], -v[160:161]
	v_fmac_f64_e32 v[164:165], v[142:143], v[4:5]
	ds_load_b128 v[4:7], v2 offset:864
	ds_load_b128 v[140:143], v2 offset:880
	scratch_load_b128 v[160:163], off, off offset:272
	v_fmac_f64_e32 v[166:167], v[150:151], v[8:9]
	v_fma_f64 v[148:149], v[148:149], v[8:9], -v[10:11]
	scratch_load_b128 v[8:11], off, off offset:288
	s_wait_loadcnt_dscnt 0xc01
	v_mul_f64_e32 v[170:171], v[4:5], v[14:15]
	v_mul_f64_e32 v[14:15], v[6:7], v[14:15]
	v_add_f64_e32 v[150:151], 0, v[168:169]
	v_add_f64_e32 v[164:165], 0, v[164:165]
	s_wait_loadcnt_dscnt 0xb00
	v_mul_f64_e32 v[168:169], v[140:141], v[18:19]
	v_mul_f64_e32 v[18:19], v[142:143], v[18:19]
	v_fmac_f64_e32 v[170:171], v[6:7], v[12:13]
	v_fma_f64 v[172:173], v[4:5], v[12:13], -v[14:15]
	ds_load_b128 v[4:7], v2 offset:896
	ds_load_b128 v[12:15], v2 offset:912
	v_add_f64_e32 v[174:175], v[150:151], v[148:149]
	v_add_f64_e32 v[164:165], v[164:165], v[166:167]
	scratch_load_b128 v[148:151], off, off offset:304
	v_fmac_f64_e32 v[168:169], v[142:143], v[16:17]
	v_fma_f64 v[140:141], v[140:141], v[16:17], -v[18:19]
	scratch_load_b128 v[16:19], off, off offset:320
	s_wait_loadcnt_dscnt 0xc01
	v_mul_f64_e32 v[166:167], v[4:5], v[22:23]
	v_mul_f64_e32 v[22:23], v[6:7], v[22:23]
	v_add_f64_e32 v[142:143], v[174:175], v[172:173]
	v_add_f64_e32 v[164:165], v[164:165], v[170:171]
	s_wait_loadcnt_dscnt 0xb00
	v_mul_f64_e32 v[170:171], v[12:13], v[26:27]
	v_mul_f64_e32 v[26:27], v[14:15], v[26:27]
	v_fmac_f64_e32 v[166:167], v[6:7], v[20:21]
	v_fma_f64 v[172:173], v[4:5], v[20:21], -v[22:23]
	ds_load_b128 v[4:7], v2 offset:928
	ds_load_b128 v[20:23], v2 offset:944
	v_add_f64_e32 v[174:175], v[142:143], v[140:141]
	v_add_f64_e32 v[164:165], v[164:165], v[168:169]
	scratch_load_b128 v[140:143], off, off offset:336
	s_wait_loadcnt_dscnt 0xb01
	v_mul_f64_e32 v[168:169], v[4:5], v[30:31]
	v_mul_f64_e32 v[30:31], v[6:7], v[30:31]
	v_fmac_f64_e32 v[170:171], v[14:15], v[24:25]
	v_fma_f64 v[24:25], v[12:13], v[24:25], -v[26:27]
	scratch_load_b128 v[12:15], off, off offset:352
	v_add_f64_e32 v[26:27], v[174:175], v[172:173]
	v_add_f64_e32 v[164:165], v[164:165], v[166:167]
	s_wait_loadcnt_dscnt 0xb00
	v_mul_f64_e32 v[166:167], v[20:21], v[130:131]
	v_mul_f64_e32 v[130:131], v[22:23], v[130:131]
	v_fmac_f64_e32 v[168:169], v[6:7], v[28:29]
	v_fma_f64 v[172:173], v[4:5], v[28:29], -v[30:31]
	v_add_f64_e32 v[174:175], v[26:27], v[24:25]
	v_add_f64_e32 v[164:165], v[164:165], v[170:171]
	ds_load_b128 v[4:7], v2 offset:960
	ds_load_b128 v[24:27], v2 offset:976
	scratch_load_b128 v[28:31], off, off offset:368
	v_fmac_f64_e32 v[166:167], v[22:23], v[128:129]
	v_fma_f64 v[128:129], v[20:21], v[128:129], -v[130:131]
	scratch_load_b128 v[20:23], off, off offset:384
	s_wait_loadcnt_dscnt 0xc01
	v_mul_f64_e32 v[170:171], v[4:5], v[134:135]
	v_mul_f64_e32 v[134:135], v[6:7], v[134:135]
	v_add_f64_e32 v[130:131], v[174:175], v[172:173]
	v_add_f64_e32 v[164:165], v[164:165], v[168:169]
	s_wait_loadcnt_dscnt 0xb00
	v_mul_f64_e32 v[168:169], v[24:25], v[138:139]
	v_mul_f64_e32 v[138:139], v[26:27], v[138:139]
	v_fmac_f64_e32 v[170:171], v[6:7], v[132:133]
	v_fma_f64 v[172:173], v[4:5], v[132:133], -v[134:135]
	v_add_f64_e32 v[174:175], v[130:131], v[128:129]
	v_add_f64_e32 v[164:165], v[164:165], v[166:167]
	ds_load_b128 v[4:7], v2 offset:992
	ds_load_b128 v[128:131], v2 offset:1008
	scratch_load_b128 v[132:135], off, off offset:400
	v_fmac_f64_e32 v[168:169], v[26:27], v[136:137]
	v_fma_f64 v[136:137], v[24:25], v[136:137], -v[138:139]
	scratch_load_b128 v[24:27], off, off offset:416
	s_wait_loadcnt_dscnt 0xc01
	v_mul_f64_e32 v[166:167], v[4:5], v[146:147]
	v_mul_f64_e32 v[146:147], v[6:7], v[146:147]
	;; [unrolled: 18-line block ×5, first 2 shown]
	v_add_f64_e32 v[158:159], v[174:175], v[172:173]
	v_add_f64_e32 v[164:165], v[164:165], v[170:171]
	s_wait_loadcnt_dscnt 0xa00
	v_mul_f64_e32 v[170:171], v[136:137], v[14:15]
	v_mul_f64_e32 v[14:15], v[138:139], v[14:15]
	v_fmac_f64_e32 v[166:167], v[6:7], v[140:141]
	v_fma_f64 v[172:173], v[4:5], v[140:141], -v[142:143]
	ds_load_b128 v[4:7], v2 offset:1120
	ds_load_b128 v[140:143], v2 offset:1136
	v_add_f64_e32 v[174:175], v[158:159], v[156:157]
	v_add_f64_e32 v[164:165], v[164:165], v[168:169]
	scratch_load_b128 v[156:159], off, off offset:528
	v_fmac_f64_e32 v[170:171], v[138:139], v[12:13]
	v_fma_f64 v[136:137], v[136:137], v[12:13], -v[14:15]
	scratch_load_b128 v[12:15], off, off offset:544
	s_wait_loadcnt_dscnt 0xb01
	v_mul_f64_e32 v[168:169], v[4:5], v[30:31]
	v_mul_f64_e32 v[30:31], v[6:7], v[30:31]
	v_add_f64_e32 v[138:139], v[174:175], v[172:173]
	v_add_f64_e32 v[164:165], v[164:165], v[166:167]
	s_wait_loadcnt_dscnt 0xa00
	v_mul_f64_e32 v[166:167], v[140:141], v[22:23]
	v_mul_f64_e32 v[22:23], v[142:143], v[22:23]
	v_fmac_f64_e32 v[168:169], v[6:7], v[28:29]
	v_fma_f64 v[172:173], v[4:5], v[28:29], -v[30:31]
	ds_load_b128 v[4:7], v2 offset:1152
	ds_load_b128 v[28:31], v2 offset:1168
	v_add_f64_e32 v[174:175], v[138:139], v[136:137]
	v_add_f64_e32 v[164:165], v[164:165], v[170:171]
	scratch_load_b128 v[136:139], off, off offset:560
	s_wait_loadcnt_dscnt 0xa01
	v_mul_f64_e32 v[170:171], v[4:5], v[134:135]
	v_mul_f64_e32 v[134:135], v[6:7], v[134:135]
	v_fmac_f64_e32 v[166:167], v[142:143], v[20:21]
	v_fma_f64 v[140:141], v[140:141], v[20:21], -v[22:23]
	scratch_load_b128 v[20:23], off, off offset:576
	v_add_f64_e32 v[142:143], v[174:175], v[172:173]
	v_add_f64_e32 v[164:165], v[164:165], v[168:169]
	s_wait_loadcnt_dscnt 0xa00
	v_mul_f64_e32 v[168:169], v[28:29], v[26:27]
	v_mul_f64_e32 v[26:27], v[30:31], v[26:27]
	v_fmac_f64_e32 v[170:171], v[6:7], v[132:133]
	v_fma_f64 v[172:173], v[4:5], v[132:133], -v[134:135]
	ds_load_b128 v[4:7], v2 offset:1184
	ds_load_b128 v[132:135], v2 offset:1200
	v_add_f64_e32 v[174:175], v[142:143], v[140:141]
	v_add_f64_e32 v[164:165], v[164:165], v[166:167]
	scratch_load_b128 v[140:143], off, off offset:592
	s_wait_loadcnt_dscnt 0xa01
	v_mul_f64_e32 v[166:167], v[4:5], v[146:147]
	v_mul_f64_e32 v[146:147], v[6:7], v[146:147]
	v_fmac_f64_e32 v[168:169], v[30:31], v[24:25]
	v_fma_f64 v[28:29], v[28:29], v[24:25], -v[26:27]
	scratch_load_b128 v[24:27], off, off offset:608
	v_add_f64_e32 v[30:31], v[174:175], v[172:173]
	v_add_f64_e32 v[164:165], v[164:165], v[170:171]
	s_wait_loadcnt_dscnt 0xa00
	v_mul_f64_e32 v[170:171], v[132:133], v[130:131]
	v_mul_f64_e32 v[130:131], v[134:135], v[130:131]
	v_fmac_f64_e32 v[166:167], v[6:7], v[144:145]
	v_fma_f64 v[172:173], v[4:5], v[144:145], -v[146:147]
	v_add_f64_e32 v[174:175], v[30:31], v[28:29]
	v_add_f64_e32 v[164:165], v[164:165], v[168:169]
	ds_load_b128 v[4:7], v2 offset:1216
	ds_load_b128 v[28:31], v2 offset:1232
	scratch_load_b128 v[144:147], off, off offset:624
	v_fmac_f64_e32 v[170:171], v[134:135], v[128:129]
	v_fma_f64 v[132:133], v[132:133], v[128:129], -v[130:131]
	scratch_load_b128 v[128:131], off, off offset:640
	s_wait_loadcnt_dscnt 0xb01
	v_mul_f64_e32 v[168:169], v[4:5], v[162:163]
	v_mul_f64_e32 v[162:163], v[6:7], v[162:163]
	v_add_f64_e32 v[134:135], v[174:175], v[172:173]
	v_add_f64_e32 v[164:165], v[164:165], v[166:167]
	s_wait_loadcnt_dscnt 0xa00
	v_mul_f64_e32 v[166:167], v[28:29], v[10:11]
	v_mul_f64_e32 v[10:11], v[30:31], v[10:11]
	v_fmac_f64_e32 v[168:169], v[6:7], v[160:161]
	v_fma_f64 v[172:173], v[4:5], v[160:161], -v[162:163]
	v_add_f64_e32 v[174:175], v[134:135], v[132:133]
	v_add_f64_e32 v[164:165], v[164:165], v[170:171]
	ds_load_b128 v[4:7], v2 offset:1248
	ds_load_b128 v[132:135], v2 offset:1264
	scratch_load_b128 v[160:163], off, off offset:656
	v_fmac_f64_e32 v[166:167], v[30:31], v[8:9]
	v_fma_f64 v[28:29], v[28:29], v[8:9], -v[10:11]
	scratch_load_b128 v[8:11], off, off offset:672
	s_wait_loadcnt_dscnt 0xb01
	v_mul_f64_e32 v[170:171], v[4:5], v[150:151]
	v_mul_f64_e32 v[150:151], v[6:7], v[150:151]
	;; [unrolled: 18-line block ×4, first 2 shown]
	v_add_f64_e32 v[30:31], v[174:175], v[172:173]
	v_add_f64_e32 v[164:165], v[164:165], v[166:167]
	s_wait_loadcnt_dscnt 0xa00
	v_mul_f64_e32 v[166:167], v[132:133], v[22:23]
	v_mul_f64_e32 v[22:23], v[134:135], v[22:23]
	v_fmac_f64_e32 v[168:169], v[6:7], v[136:137]
	v_fma_f64 v[136:137], v[4:5], v[136:137], -v[138:139]
	v_add_f64_e32 v[138:139], v[30:31], v[28:29]
	v_add_f64_e32 v[164:165], v[164:165], v[170:171]
	ds_load_b128 v[4:7], v2 offset:1344
	ds_load_b128 v[28:31], v2 offset:1360
	v_fmac_f64_e32 v[166:167], v[134:135], v[20:21]
	v_fma_f64 v[20:21], v[132:133], v[20:21], -v[22:23]
	s_wait_loadcnt_dscnt 0x901
	v_mul_f64_e32 v[170:171], v[4:5], v[142:143]
	v_mul_f64_e32 v[142:143], v[6:7], v[142:143]
	s_wait_loadcnt_dscnt 0x800
	v_mul_f64_e32 v[134:135], v[28:29], v[26:27]
	v_mul_f64_e32 v[26:27], v[30:31], v[26:27]
	v_add_f64_e32 v[22:23], v[138:139], v[136:137]
	v_add_f64_e32 v[132:133], v[164:165], v[168:169]
	v_fmac_f64_e32 v[170:171], v[6:7], v[140:141]
	v_fma_f64 v[136:137], v[4:5], v[140:141], -v[142:143]
	v_fmac_f64_e32 v[134:135], v[30:31], v[24:25]
	v_fma_f64 v[24:25], v[28:29], v[24:25], -v[26:27]
	v_add_f64_e32 v[138:139], v[22:23], v[20:21]
	v_add_f64_e32 v[132:133], v[132:133], v[166:167]
	ds_load_b128 v[4:7], v2 offset:1376
	ds_load_b128 v[20:23], v2 offset:1392
	s_wait_loadcnt_dscnt 0x701
	v_mul_f64_e32 v[140:141], v[4:5], v[146:147]
	v_mul_f64_e32 v[142:143], v[6:7], v[146:147]
	s_wait_loadcnt_dscnt 0x600
	v_mul_f64_e32 v[30:31], v[20:21], v[130:131]
	v_mul_f64_e32 v[130:131], v[22:23], v[130:131]
	v_add_f64_e32 v[26:27], v[138:139], v[136:137]
	v_add_f64_e32 v[28:29], v[132:133], v[170:171]
	v_fmac_f64_e32 v[140:141], v[6:7], v[144:145]
	v_fma_f64 v[132:133], v[4:5], v[144:145], -v[142:143]
	v_fmac_f64_e32 v[30:31], v[22:23], v[128:129]
	v_fma_f64 v[20:21], v[20:21], v[128:129], -v[130:131]
	v_add_f64_e32 v[136:137], v[26:27], v[24:25]
	v_add_f64_e32 v[28:29], v[28:29], v[134:135]
	ds_load_b128 v[4:7], v2 offset:1408
	ds_load_b128 v[24:27], v2 offset:1424
	;; [unrolled: 16-line block ×4, first 2 shown]
	s_wait_loadcnt_dscnt 0x101
	v_mul_f64_e32 v[2:3], v[4:5], v[158:159]
	v_mul_f64_e32 v[128:129], v[6:7], v[158:159]
	s_wait_loadcnt_dscnt 0x0
	v_mul_f64_e32 v[22:23], v[8:9], v[14:15]
	v_mul_f64_e32 v[14:15], v[10:11], v[14:15]
	v_add_f64_e32 v[18:19], v[130:131], v[28:29]
	v_add_f64_e32 v[20:21], v[24:25], v[30:31]
	v_fmac_f64_e32 v[2:3], v[6:7], v[156:157]
	v_fma_f64 v[4:5], v[4:5], v[156:157], -v[128:129]
	v_fmac_f64_e32 v[22:23], v[10:11], v[12:13]
	v_fma_f64 v[8:9], v[8:9], v[12:13], -v[14:15]
	v_add_f64_e32 v[6:7], v[18:19], v[16:17]
	v_add_f64_e32 v[16:17], v[20:21], v[26:27]
	s_delay_alu instid0(VALU_DEP_2) | instskip(NEXT) | instid1(VALU_DEP_2)
	v_add_f64_e32 v[4:5], v[6:7], v[4:5]
	v_add_f64_e32 v[2:3], v[16:17], v[2:3]
	s_delay_alu instid0(VALU_DEP_2) | instskip(NEXT) | instid1(VALU_DEP_2)
	;; [unrolled: 3-line block ×3, first 2 shown]
	v_add_f64_e64 v[2:3], v[152:153], -v[4:5]
	v_add_f64_e64 v[4:5], v[154:155], -v[6:7]
	scratch_store_b128 off, v[2:5], off offset:64
	s_wait_xcnt 0x0
	v_cmpx_lt_u32_e32 3, v1
	s_cbranch_execz .LBB46_289
; %bb.288:
	scratch_load_b128 v[2:5], off, s40
	v_mov_b32_e32 v6, 0
	s_delay_alu instid0(VALU_DEP_1)
	v_dual_mov_b32 v7, v6 :: v_dual_mov_b32 v8, v6
	v_mov_b32_e32 v9, v6
	scratch_store_b128 off, v[6:9], off offset:48
	s_wait_loadcnt 0x0
	ds_store_b128 v126, v[2:5]
.LBB46_289:
	s_wait_xcnt 0x0
	s_or_b32 exec_lo, exec_lo, s2
	s_wait_storecnt_dscnt 0x0
	s_barrier_signal -1
	s_barrier_wait -1
	s_clause 0x9
	scratch_load_b128 v[4:7], off, off offset:64
	scratch_load_b128 v[8:11], off, off offset:80
	;; [unrolled: 1-line block ×10, first 2 shown]
	v_mov_b32_e32 v2, 0
	s_mov_b32 s2, exec_lo
	ds_load_b128 v[140:143], v2 offset:816
	s_clause 0x2
	scratch_load_b128 v[144:147], off, off offset:224
	scratch_load_b128 v[148:151], off, off offset:48
	;; [unrolled: 1-line block ×3, first 2 shown]
	s_wait_loadcnt_dscnt 0xc00
	v_mul_f64_e32 v[160:161], v[142:143], v[6:7]
	v_mul_f64_e32 v[164:165], v[140:141], v[6:7]
	ds_load_b128 v[152:155], v2 offset:832
	v_fma_f64 v[168:169], v[140:141], v[4:5], -v[160:161]
	v_fmac_f64_e32 v[164:165], v[142:143], v[4:5]
	ds_load_b128 v[4:7], v2 offset:848
	s_wait_loadcnt_dscnt 0xb01
	v_mul_f64_e32 v[166:167], v[152:153], v[10:11]
	v_mul_f64_e32 v[10:11], v[154:155], v[10:11]
	scratch_load_b128 v[140:143], off, off offset:256
	ds_load_b128 v[160:163], v2 offset:864
	s_wait_loadcnt_dscnt 0xb01
	v_mul_f64_e32 v[170:171], v[4:5], v[14:15]
	v_mul_f64_e32 v[14:15], v[6:7], v[14:15]
	v_add_f64_e32 v[164:165], 0, v[164:165]
	v_fmac_f64_e32 v[166:167], v[154:155], v[8:9]
	v_fma_f64 v[152:153], v[152:153], v[8:9], -v[10:11]
	v_add_f64_e32 v[154:155], 0, v[168:169]
	scratch_load_b128 v[8:11], off, off offset:272
	v_fmac_f64_e32 v[170:171], v[6:7], v[12:13]
	v_fma_f64 v[172:173], v[4:5], v[12:13], -v[14:15]
	ds_load_b128 v[4:7], v2 offset:880
	s_wait_loadcnt_dscnt 0xb01
	v_mul_f64_e32 v[168:169], v[160:161], v[18:19]
	v_mul_f64_e32 v[18:19], v[162:163], v[18:19]
	scratch_load_b128 v[12:15], off, off offset:288
	v_add_f64_e32 v[164:165], v[164:165], v[166:167]
	v_add_f64_e32 v[174:175], v[154:155], v[152:153]
	ds_load_b128 v[152:155], v2 offset:896
	s_wait_loadcnt_dscnt 0xb01
	v_mul_f64_e32 v[166:167], v[4:5], v[22:23]
	v_mul_f64_e32 v[22:23], v[6:7], v[22:23]
	v_fmac_f64_e32 v[168:169], v[162:163], v[16:17]
	v_fma_f64 v[160:161], v[160:161], v[16:17], -v[18:19]
	scratch_load_b128 v[16:19], off, off offset:304
	v_add_f64_e32 v[164:165], v[164:165], v[170:171]
	v_add_f64_e32 v[162:163], v[174:175], v[172:173]
	v_fmac_f64_e32 v[166:167], v[6:7], v[20:21]
	v_fma_f64 v[172:173], v[4:5], v[20:21], -v[22:23]
	ds_load_b128 v[4:7], v2 offset:912
	s_wait_loadcnt_dscnt 0xb01
	v_mul_f64_e32 v[170:171], v[152:153], v[26:27]
	v_mul_f64_e32 v[26:27], v[154:155], v[26:27]
	scratch_load_b128 v[20:23], off, off offset:320
	v_add_f64_e32 v[164:165], v[164:165], v[168:169]
	s_wait_loadcnt_dscnt 0xb00
	v_mul_f64_e32 v[168:169], v[4:5], v[30:31]
	v_add_f64_e32 v[174:175], v[162:163], v[160:161]
	v_mul_f64_e32 v[30:31], v[6:7], v[30:31]
	ds_load_b128 v[160:163], v2 offset:928
	v_fmac_f64_e32 v[170:171], v[154:155], v[24:25]
	v_fma_f64 v[152:153], v[152:153], v[24:25], -v[26:27]
	scratch_load_b128 v[24:27], off, off offset:336
	v_add_f64_e32 v[164:165], v[164:165], v[166:167]
	v_fmac_f64_e32 v[168:169], v[6:7], v[28:29]
	v_add_f64_e32 v[154:155], v[174:175], v[172:173]
	v_fma_f64 v[172:173], v[4:5], v[28:29], -v[30:31]
	ds_load_b128 v[4:7], v2 offset:944
	s_wait_loadcnt_dscnt 0xb01
	v_mul_f64_e32 v[166:167], v[160:161], v[130:131]
	v_mul_f64_e32 v[130:131], v[162:163], v[130:131]
	scratch_load_b128 v[28:31], off, off offset:352
	v_add_f64_e32 v[164:165], v[164:165], v[170:171]
	s_wait_loadcnt_dscnt 0xb00
	v_mul_f64_e32 v[170:171], v[4:5], v[134:135]
	v_add_f64_e32 v[174:175], v[154:155], v[152:153]
	v_mul_f64_e32 v[134:135], v[6:7], v[134:135]
	ds_load_b128 v[152:155], v2 offset:960
	v_fmac_f64_e32 v[166:167], v[162:163], v[128:129]
	v_fma_f64 v[160:161], v[160:161], v[128:129], -v[130:131]
	scratch_load_b128 v[128:131], off, off offset:368
	v_add_f64_e32 v[164:165], v[164:165], v[168:169]
	v_fmac_f64_e32 v[170:171], v[6:7], v[132:133]
	v_add_f64_e32 v[162:163], v[174:175], v[172:173]
	;; [unrolled: 18-line block ×3, first 2 shown]
	v_fma_f64 v[172:173], v[4:5], v[144:145], -v[146:147]
	ds_load_b128 v[4:7], v2 offset:1008
	s_wait_loadcnt_dscnt 0xa01
	v_mul_f64_e32 v[170:171], v[160:161], v[158:159]
	v_mul_f64_e32 v[158:159], v[162:163], v[158:159]
	scratch_load_b128 v[144:147], off, off offset:416
	v_add_f64_e32 v[164:165], v[164:165], v[168:169]
	v_add_f64_e32 v[174:175], v[154:155], v[152:153]
	s_wait_loadcnt_dscnt 0xa00
	v_mul_f64_e32 v[168:169], v[4:5], v[142:143]
	v_mul_f64_e32 v[142:143], v[6:7], v[142:143]
	v_fmac_f64_e32 v[170:171], v[162:163], v[156:157]
	v_fma_f64 v[160:161], v[160:161], v[156:157], -v[158:159]
	ds_load_b128 v[152:155], v2 offset:1024
	scratch_load_b128 v[156:159], off, off offset:432
	v_add_f64_e32 v[164:165], v[164:165], v[166:167]
	v_add_f64_e32 v[162:163], v[174:175], v[172:173]
	v_fmac_f64_e32 v[168:169], v[6:7], v[140:141]
	v_fma_f64 v[172:173], v[4:5], v[140:141], -v[142:143]
	ds_load_b128 v[4:7], v2 offset:1040
	s_wait_loadcnt_dscnt 0xa01
	v_mul_f64_e32 v[166:167], v[152:153], v[10:11]
	v_mul_f64_e32 v[10:11], v[154:155], v[10:11]
	scratch_load_b128 v[140:143], off, off offset:448
	v_add_f64_e32 v[164:165], v[164:165], v[170:171]
	s_wait_loadcnt_dscnt 0xa00
	v_mul_f64_e32 v[170:171], v[4:5], v[14:15]
	v_add_f64_e32 v[174:175], v[162:163], v[160:161]
	v_mul_f64_e32 v[14:15], v[6:7], v[14:15]
	ds_load_b128 v[160:163], v2 offset:1056
	v_fmac_f64_e32 v[166:167], v[154:155], v[8:9]
	v_fma_f64 v[152:153], v[152:153], v[8:9], -v[10:11]
	scratch_load_b128 v[8:11], off, off offset:464
	v_add_f64_e32 v[164:165], v[164:165], v[168:169]
	v_fmac_f64_e32 v[170:171], v[6:7], v[12:13]
	v_add_f64_e32 v[154:155], v[174:175], v[172:173]
	v_fma_f64 v[172:173], v[4:5], v[12:13], -v[14:15]
	ds_load_b128 v[4:7], v2 offset:1072
	s_wait_loadcnt_dscnt 0xa01
	v_mul_f64_e32 v[168:169], v[160:161], v[18:19]
	v_mul_f64_e32 v[18:19], v[162:163], v[18:19]
	scratch_load_b128 v[12:15], off, off offset:480
	v_add_f64_e32 v[164:165], v[164:165], v[166:167]
	s_wait_loadcnt_dscnt 0xa00
	v_mul_f64_e32 v[166:167], v[4:5], v[22:23]
	v_add_f64_e32 v[174:175], v[154:155], v[152:153]
	v_mul_f64_e32 v[22:23], v[6:7], v[22:23]
	ds_load_b128 v[152:155], v2 offset:1088
	v_fmac_f64_e32 v[168:169], v[162:163], v[16:17]
	v_fma_f64 v[160:161], v[160:161], v[16:17], -v[18:19]
	scratch_load_b128 v[16:19], off, off offset:496
	v_add_f64_e32 v[164:165], v[164:165], v[170:171]
	v_fmac_f64_e32 v[166:167], v[6:7], v[20:21]
	v_add_f64_e32 v[162:163], v[174:175], v[172:173]
	;; [unrolled: 18-line block ×9, first 2 shown]
	v_fma_f64 v[172:173], v[4:5], v[28:29], -v[30:31]
	ds_load_b128 v[4:7], v2 offset:1328
	s_wait_loadcnt_dscnt 0xa01
	v_mul_f64_e32 v[166:167], v[160:161], v[130:131]
	v_mul_f64_e32 v[130:131], v[162:163], v[130:131]
	scratch_load_b128 v[28:31], off, off offset:736
	v_add_f64_e32 v[164:165], v[164:165], v[170:171]
	s_wait_loadcnt_dscnt 0xa00
	v_mul_f64_e32 v[170:171], v[4:5], v[134:135]
	v_add_f64_e32 v[174:175], v[154:155], v[152:153]
	v_mul_f64_e32 v[134:135], v[6:7], v[134:135]
	ds_load_b128 v[152:155], v2 offset:1344
	v_fmac_f64_e32 v[166:167], v[162:163], v[128:129]
	v_fma_f64 v[128:129], v[160:161], v[128:129], -v[130:131]
	s_wait_loadcnt_dscnt 0x900
	v_mul_f64_e32 v[162:163], v[152:153], v[138:139]
	v_mul_f64_e32 v[138:139], v[154:155], v[138:139]
	v_add_f64_e32 v[160:161], v[164:165], v[168:169]
	v_fmac_f64_e32 v[170:171], v[6:7], v[132:133]
	v_add_f64_e32 v[130:131], v[174:175], v[172:173]
	v_fma_f64 v[132:133], v[4:5], v[132:133], -v[134:135]
	v_fmac_f64_e32 v[162:163], v[154:155], v[136:137]
	v_fma_f64 v[136:137], v[152:153], v[136:137], -v[138:139]
	v_add_f64_e32 v[160:161], v[160:161], v[166:167]
	v_add_f64_e32 v[134:135], v[130:131], v[128:129]
	ds_load_b128 v[4:7], v2 offset:1360
	ds_load_b128 v[128:131], v2 offset:1376
	s_wait_loadcnt_dscnt 0x801
	v_mul_f64_e32 v[164:165], v[4:5], v[146:147]
	v_mul_f64_e32 v[146:147], v[6:7], v[146:147]
	s_wait_loadcnt_dscnt 0x700
	v_mul_f64_e32 v[138:139], v[128:129], v[158:159]
	v_mul_f64_e32 v[152:153], v[130:131], v[158:159]
	v_add_f64_e32 v[132:133], v[134:135], v[132:133]
	v_add_f64_e32 v[134:135], v[160:161], v[170:171]
	v_fmac_f64_e32 v[164:165], v[6:7], v[144:145]
	v_fma_f64 v[144:145], v[4:5], v[144:145], -v[146:147]
	v_fmac_f64_e32 v[138:139], v[130:131], v[156:157]
	v_fma_f64 v[128:129], v[128:129], v[156:157], -v[152:153]
	v_add_f64_e32 v[136:137], v[132:133], v[136:137]
	v_add_f64_e32 v[146:147], v[134:135], v[162:163]
	ds_load_b128 v[4:7], v2 offset:1392
	ds_load_b128 v[132:135], v2 offset:1408
	s_wait_loadcnt_dscnt 0x601
	v_mul_f64_e32 v[154:155], v[4:5], v[142:143]
	v_mul_f64_e32 v[142:143], v[6:7], v[142:143]
	v_add_f64_e32 v[130:131], v[136:137], v[144:145]
	v_add_f64_e32 v[136:137], v[146:147], v[164:165]
	s_wait_loadcnt_dscnt 0x500
	v_mul_f64_e32 v[144:145], v[132:133], v[10:11]
	v_mul_f64_e32 v[10:11], v[134:135], v[10:11]
	v_fmac_f64_e32 v[154:155], v[6:7], v[140:141]
	v_fma_f64 v[140:141], v[4:5], v[140:141], -v[142:143]
	v_add_f64_e32 v[142:143], v[130:131], v[128:129]
	v_add_f64_e32 v[136:137], v[136:137], v[138:139]
	ds_load_b128 v[4:7], v2 offset:1424
	ds_load_b128 v[128:131], v2 offset:1440
	v_fmac_f64_e32 v[144:145], v[134:135], v[8:9]
	v_fma_f64 v[8:9], v[132:133], v[8:9], -v[10:11]
	s_wait_loadcnt_dscnt 0x401
	v_mul_f64_e32 v[138:139], v[4:5], v[14:15]
	v_mul_f64_e32 v[14:15], v[6:7], v[14:15]
	s_wait_loadcnt_dscnt 0x300
	v_mul_f64_e32 v[134:135], v[128:129], v[18:19]
	v_mul_f64_e32 v[18:19], v[130:131], v[18:19]
	v_add_f64_e32 v[10:11], v[142:143], v[140:141]
	v_add_f64_e32 v[132:133], v[136:137], v[154:155]
	v_fmac_f64_e32 v[138:139], v[6:7], v[12:13]
	v_fma_f64 v[12:13], v[4:5], v[12:13], -v[14:15]
	v_fmac_f64_e32 v[134:135], v[130:131], v[16:17]
	v_fma_f64 v[16:17], v[128:129], v[16:17], -v[18:19]
	v_add_f64_e32 v[14:15], v[10:11], v[8:9]
	v_add_f64_e32 v[132:133], v[132:133], v[144:145]
	ds_load_b128 v[4:7], v2 offset:1456
	ds_load_b128 v[8:11], v2 offset:1472
	s_wait_loadcnt_dscnt 0x201
	v_mul_f64_e32 v[136:137], v[4:5], v[22:23]
	v_mul_f64_e32 v[22:23], v[6:7], v[22:23]
	s_wait_loadcnt_dscnt 0x100
	v_mul_f64_e32 v[18:19], v[8:9], v[26:27]
	v_mul_f64_e32 v[26:27], v[10:11], v[26:27]
	v_add_f64_e32 v[12:13], v[14:15], v[12:13]
	v_add_f64_e32 v[14:15], v[132:133], v[138:139]
	v_fmac_f64_e32 v[136:137], v[6:7], v[20:21]
	v_fma_f64 v[20:21], v[4:5], v[20:21], -v[22:23]
	ds_load_b128 v[4:7], v2 offset:1488
	v_fmac_f64_e32 v[18:19], v[10:11], v[24:25]
	v_fma_f64 v[8:9], v[8:9], v[24:25], -v[26:27]
	v_add_f64_e32 v[12:13], v[12:13], v[16:17]
	v_add_f64_e32 v[14:15], v[14:15], v[134:135]
	s_wait_loadcnt_dscnt 0x0
	v_mul_f64_e32 v[16:17], v[4:5], v[30:31]
	v_mul_f64_e32 v[22:23], v[6:7], v[30:31]
	s_delay_alu instid0(VALU_DEP_4) | instskip(NEXT) | instid1(VALU_DEP_4)
	v_add_f64_e32 v[10:11], v[12:13], v[20:21]
	v_add_f64_e32 v[12:13], v[14:15], v[136:137]
	s_delay_alu instid0(VALU_DEP_4) | instskip(NEXT) | instid1(VALU_DEP_4)
	v_fmac_f64_e32 v[16:17], v[6:7], v[28:29]
	v_fma_f64 v[4:5], v[4:5], v[28:29], -v[22:23]
	s_delay_alu instid0(VALU_DEP_4) | instskip(NEXT) | instid1(VALU_DEP_4)
	v_add_f64_e32 v[6:7], v[10:11], v[8:9]
	v_add_f64_e32 v[8:9], v[12:13], v[18:19]
	s_delay_alu instid0(VALU_DEP_2) | instskip(NEXT) | instid1(VALU_DEP_2)
	v_add_f64_e32 v[4:5], v[6:7], v[4:5]
	v_add_f64_e32 v[6:7], v[8:9], v[16:17]
	s_delay_alu instid0(VALU_DEP_2) | instskip(NEXT) | instid1(VALU_DEP_2)
	v_add_f64_e64 v[4:5], v[148:149], -v[4:5]
	v_add_f64_e64 v[6:7], v[150:151], -v[6:7]
	scratch_store_b128 off, v[4:7], off offset:48
	s_wait_xcnt 0x0
	v_cmpx_lt_u32_e32 2, v1
	s_cbranch_execz .LBB46_291
; %bb.290:
	scratch_load_b128 v[6:9], off, s37
	v_dual_mov_b32 v3, v2 :: v_dual_mov_b32 v4, v2
	v_mov_b32_e32 v5, v2
	scratch_store_b128 off, v[2:5], off offset:32
	s_wait_loadcnt 0x0
	ds_store_b128 v126, v[6:9]
.LBB46_291:
	s_wait_xcnt 0x0
	s_or_b32 exec_lo, exec_lo, s2
	s_wait_storecnt_dscnt 0x0
	s_barrier_signal -1
	s_barrier_wait -1
	s_clause 0x9
	scratch_load_b128 v[4:7], off, off offset:48
	scratch_load_b128 v[8:11], off, off offset:64
	;; [unrolled: 1-line block ×10, first 2 shown]
	ds_load_b128 v[140:143], v2 offset:800
	ds_load_b128 v[148:151], v2 offset:816
	s_clause 0x2
	scratch_load_b128 v[144:147], off, off offset:208
	scratch_load_b128 v[152:155], off, off offset:32
	;; [unrolled: 1-line block ×3, first 2 shown]
	s_mov_b32 s2, exec_lo
	v_ashrrev_i32_e32 v37, 31, v36
	v_ashrrev_i32_e32 v41, 31, v40
	;; [unrolled: 1-line block ×3, first 2 shown]
	v_dual_ashrrev_i32 v49, 31, v48 :: v_dual_ashrrev_i32 v39, 31, v38
	v_dual_ashrrev_i32 v43, 31, v42 :: v_dual_ashrrev_i32 v53, 31, v52
	;; [unrolled: 1-line block ×8, first 2 shown]
	v_ashrrev_i32_e32 v81, 31, v80
	v_ashrrev_i32_e32 v85, 31, v84
	v_dual_ashrrev_i32 v89, 31, v88 :: v_dual_ashrrev_i32 v71, 31, v70
	v_ashrrev_i32_e32 v75, 31, v74
	v_ashrrev_i32_e32 v79, 31, v78
	v_dual_ashrrev_i32 v83, 31, v82 :: v_dual_ashrrev_i32 v93, 31, v92
	v_dual_ashrrev_i32 v97, 31, v96 :: v_dual_ashrrev_i32 v87, 31, v86
	;; [unrolled: 1-line block ×3, first 2 shown]
	v_ashrrev_i32_e32 v105, 31, v104
	v_dual_ashrrev_i32 v109, 31, v108 :: v_dual_ashrrev_i32 v95, 31, v94
	v_dual_ashrrev_i32 v113, 31, v112 :: v_dual_ashrrev_i32 v99, 31, v98
	v_ashrrev_i32_e32 v117, 31, v116
	v_dual_ashrrev_i32 v121, 31, v120 :: v_dual_ashrrev_i32 v103, 31, v102
	v_ashrrev_i32_e32 v107, 31, v106
	;; [unrolled: 2-line block ×3, first 2 shown]
	v_ashrrev_i32_e32 v119, 31, v118
	v_ashrrev_i32_e32 v123, 31, v122
	s_wait_loadcnt_dscnt 0xc01
	v_mul_f64_e32 v[160:161], v[142:143], v[6:7]
	v_mul_f64_e32 v[164:165], v[140:141], v[6:7]
	s_wait_loadcnt_dscnt 0xb00
	v_mul_f64_e32 v[166:167], v[148:149], v[10:11]
	v_mul_f64_e32 v[10:11], v[150:151], v[10:11]
	s_delay_alu instid0(VALU_DEP_4) | instskip(NEXT) | instid1(VALU_DEP_4)
	v_fma_f64 v[168:169], v[140:141], v[4:5], -v[160:161]
	v_fmac_f64_e32 v[164:165], v[142:143], v[4:5]
	ds_load_b128 v[4:7], v2 offset:832
	ds_load_b128 v[160:163], v2 offset:848
	scratch_load_b128 v[140:143], off, off offset:240
	v_fmac_f64_e32 v[166:167], v[150:151], v[8:9]
	v_fma_f64 v[148:149], v[148:149], v[8:9], -v[10:11]
	scratch_load_b128 v[8:11], off, off offset:256
	s_wait_loadcnt_dscnt 0xc01
	v_mul_f64_e32 v[170:171], v[4:5], v[14:15]
	v_mul_f64_e32 v[14:15], v[6:7], v[14:15]
	v_add_f64_e32 v[150:151], 0, v[168:169]
	v_add_f64_e32 v[164:165], 0, v[164:165]
	s_wait_loadcnt_dscnt 0xb00
	v_mul_f64_e32 v[168:169], v[160:161], v[18:19]
	v_mul_f64_e32 v[18:19], v[162:163], v[18:19]
	v_fmac_f64_e32 v[170:171], v[6:7], v[12:13]
	v_fma_f64 v[172:173], v[4:5], v[12:13], -v[14:15]
	ds_load_b128 v[4:7], v2 offset:864
	scratch_load_b128 v[12:15], off, off offset:272
	v_add_f64_e32 v[174:175], v[150:151], v[148:149]
	v_add_f64_e32 v[164:165], v[164:165], v[166:167]
	ds_load_b128 v[148:151], v2 offset:880
	v_fmac_f64_e32 v[168:169], v[162:163], v[16:17]
	v_fma_f64 v[160:161], v[160:161], v[16:17], -v[18:19]
	scratch_load_b128 v[16:19], off, off offset:288
	s_wait_loadcnt_dscnt 0xc01
	v_mul_f64_e32 v[166:167], v[4:5], v[22:23]
	v_mul_f64_e32 v[22:23], v[6:7], v[22:23]
	v_add_f64_e32 v[162:163], v[174:175], v[172:173]
	v_add_f64_e32 v[164:165], v[164:165], v[170:171]
	s_wait_loadcnt_dscnt 0xb00
	v_mul_f64_e32 v[170:171], v[148:149], v[26:27]
	v_mul_f64_e32 v[26:27], v[150:151], v[26:27]
	v_fmac_f64_e32 v[166:167], v[6:7], v[20:21]
	v_fma_f64 v[172:173], v[4:5], v[20:21], -v[22:23]
	ds_load_b128 v[4:7], v2 offset:896
	scratch_load_b128 v[20:23], off, off offset:304
	v_add_f64_e32 v[174:175], v[162:163], v[160:161]
	v_add_f64_e32 v[164:165], v[164:165], v[168:169]
	ds_load_b128 v[160:163], v2 offset:912
	s_wait_loadcnt_dscnt 0xb01
	v_mul_f64_e32 v[168:169], v[4:5], v[30:31]
	v_mul_f64_e32 v[30:31], v[6:7], v[30:31]
	v_fmac_f64_e32 v[170:171], v[150:151], v[24:25]
	v_fma_f64 v[148:149], v[148:149], v[24:25], -v[26:27]
	scratch_load_b128 v[24:27], off, off offset:320
	v_add_f64_e32 v[150:151], v[174:175], v[172:173]
	v_add_f64_e32 v[164:165], v[164:165], v[166:167]
	s_wait_loadcnt_dscnt 0xb00
	v_mul_f64_e32 v[166:167], v[160:161], v[130:131]
	v_mul_f64_e32 v[130:131], v[162:163], v[130:131]
	v_fmac_f64_e32 v[168:169], v[6:7], v[28:29]
	v_fma_f64 v[172:173], v[4:5], v[28:29], -v[30:31]
	ds_load_b128 v[4:7], v2 offset:928
	scratch_load_b128 v[28:31], off, off offset:336
	v_add_f64_e32 v[174:175], v[150:151], v[148:149]
	v_add_f64_e32 v[164:165], v[164:165], v[170:171]
	ds_load_b128 v[148:151], v2 offset:944
	s_wait_loadcnt_dscnt 0xb01
	v_mul_f64_e32 v[170:171], v[4:5], v[134:135]
	v_mul_f64_e32 v[134:135], v[6:7], v[134:135]
	v_fmac_f64_e32 v[166:167], v[162:163], v[128:129]
	v_fma_f64 v[160:161], v[160:161], v[128:129], -v[130:131]
	scratch_load_b128 v[128:131], off, off offset:352
	;; [unrolled: 18-line block ×3, first 2 shown]
	v_add_f64_e32 v[150:151], v[174:175], v[172:173]
	v_add_f64_e32 v[164:165], v[164:165], v[170:171]
	s_wait_loadcnt_dscnt 0xa00
	v_mul_f64_e32 v[170:171], v[160:161], v[158:159]
	v_mul_f64_e32 v[158:159], v[162:163], v[158:159]
	v_fmac_f64_e32 v[166:167], v[6:7], v[144:145]
	v_fma_f64 v[172:173], v[4:5], v[144:145], -v[146:147]
	ds_load_b128 v[4:7], v2 offset:992
	scratch_load_b128 v[144:147], off, off offset:400
	v_add_f64_e32 v[174:175], v[150:151], v[148:149]
	v_add_f64_e32 v[164:165], v[164:165], v[168:169]
	ds_load_b128 v[148:151], v2 offset:1008
	v_fmac_f64_e32 v[170:171], v[162:163], v[156:157]
	s_wait_loadcnt_dscnt 0xa01
	v_mul_f64_e32 v[168:169], v[4:5], v[142:143]
	v_mul_f64_e32 v[142:143], v[6:7], v[142:143]
	v_fma_f64 v[160:161], v[160:161], v[156:157], -v[158:159]
	scratch_load_b128 v[156:159], off, off offset:416
	v_add_f64_e32 v[162:163], v[174:175], v[172:173]
	v_add_f64_e32 v[164:165], v[164:165], v[166:167]
	s_wait_loadcnt_dscnt 0xa00
	v_mul_f64_e32 v[166:167], v[148:149], v[10:11]
	v_mul_f64_e32 v[10:11], v[150:151], v[10:11]
	v_fmac_f64_e32 v[168:169], v[6:7], v[140:141]
	v_fma_f64 v[172:173], v[4:5], v[140:141], -v[142:143]
	ds_load_b128 v[4:7], v2 offset:1024
	scratch_load_b128 v[140:143], off, off offset:432
	v_add_f64_e32 v[174:175], v[162:163], v[160:161]
	v_add_f64_e32 v[164:165], v[164:165], v[170:171]
	ds_load_b128 v[160:163], v2 offset:1040
	s_wait_loadcnt_dscnt 0xa01
	v_mul_f64_e32 v[170:171], v[4:5], v[14:15]
	v_mul_f64_e32 v[14:15], v[6:7], v[14:15]
	v_fmac_f64_e32 v[166:167], v[150:151], v[8:9]
	v_fma_f64 v[148:149], v[148:149], v[8:9], -v[10:11]
	scratch_load_b128 v[8:11], off, off offset:448
	v_add_f64_e32 v[150:151], v[174:175], v[172:173]
	v_add_f64_e32 v[164:165], v[164:165], v[168:169]
	s_wait_loadcnt_dscnt 0xa00
	v_mul_f64_e32 v[168:169], v[160:161], v[18:19]
	v_mul_f64_e32 v[18:19], v[162:163], v[18:19]
	v_fmac_f64_e32 v[170:171], v[6:7], v[12:13]
	v_fma_f64 v[172:173], v[4:5], v[12:13], -v[14:15]
	ds_load_b128 v[4:7], v2 offset:1056
	scratch_load_b128 v[12:15], off, off offset:464
	v_add_f64_e32 v[174:175], v[150:151], v[148:149]
	v_add_f64_e32 v[164:165], v[164:165], v[166:167]
	ds_load_b128 v[148:151], v2 offset:1072
	s_wait_loadcnt_dscnt 0xa01
	v_mul_f64_e32 v[166:167], v[4:5], v[22:23]
	v_mul_f64_e32 v[22:23], v[6:7], v[22:23]
	v_fmac_f64_e32 v[168:169], v[162:163], v[16:17]
	;; [unrolled: 18-line block ×10, first 2 shown]
	v_fma_f64 v[160:161], v[160:161], v[128:129], -v[130:131]
	scratch_load_b128 v[128:131], off, off offset:736
	v_add_f64_e32 v[162:163], v[174:175], v[172:173]
	v_add_f64_e32 v[164:165], v[164:165], v[168:169]
	s_wait_loadcnt_dscnt 0xa00
	v_mul_f64_e32 v[168:169], v[148:149], v[138:139]
	v_mul_f64_e32 v[138:139], v[150:151], v[138:139]
	v_fmac_f64_e32 v[170:171], v[6:7], v[132:133]
	v_fma_f64 v[172:173], v[4:5], v[132:133], -v[134:135]
	ds_load_b128 v[4:7], v2 offset:1344
	ds_load_b128 v[132:135], v2 offset:1360
	v_add_f64_e32 v[160:161], v[162:163], v[160:161]
	v_add_f64_e32 v[162:163], v[164:165], v[166:167]
	s_wait_loadcnt_dscnt 0x901
	v_mul_f64_e32 v[164:165], v[4:5], v[146:147]
	v_mul_f64_e32 v[146:147], v[6:7], v[146:147]
	v_fmac_f64_e32 v[168:169], v[150:151], v[136:137]
	v_fma_f64 v[136:137], v[148:149], v[136:137], -v[138:139]
	s_wait_loadcnt_dscnt 0x800
	v_mul_f64_e32 v[150:151], v[132:133], v[158:159]
	v_mul_f64_e32 v[158:159], v[134:135], v[158:159]
	v_add_f64_e32 v[138:139], v[160:161], v[172:173]
	v_add_f64_e32 v[148:149], v[162:163], v[170:171]
	v_fmac_f64_e32 v[164:165], v[6:7], v[144:145]
	v_fma_f64 v[144:145], v[4:5], v[144:145], -v[146:147]
	v_fmac_f64_e32 v[150:151], v[134:135], v[156:157]
	v_fma_f64 v[132:133], v[132:133], v[156:157], -v[158:159]
	v_add_f64_e32 v[146:147], v[138:139], v[136:137]
	v_add_f64_e32 v[148:149], v[148:149], v[168:169]
	ds_load_b128 v[4:7], v2 offset:1376
	ds_load_b128 v[136:139], v2 offset:1392
	s_wait_loadcnt_dscnt 0x701
	v_mul_f64_e32 v[160:161], v[4:5], v[142:143]
	v_mul_f64_e32 v[142:143], v[6:7], v[142:143]
	v_add_f64_e32 v[134:135], v[146:147], v[144:145]
	v_add_f64_e32 v[144:145], v[148:149], v[164:165]
	s_wait_loadcnt_dscnt 0x600
	v_mul_f64_e32 v[146:147], v[136:137], v[10:11]
	v_mul_f64_e32 v[10:11], v[138:139], v[10:11]
	v_fmac_f64_e32 v[160:161], v[6:7], v[140:141]
	v_fma_f64 v[140:141], v[4:5], v[140:141], -v[142:143]
	v_add_f64_e32 v[142:143], v[134:135], v[132:133]
	v_add_f64_e32 v[144:145], v[144:145], v[150:151]
	ds_load_b128 v[4:7], v2 offset:1408
	ds_load_b128 v[132:135], v2 offset:1424
	v_fmac_f64_e32 v[146:147], v[138:139], v[8:9]
	v_fma_f64 v[8:9], v[136:137], v[8:9], -v[10:11]
	s_wait_loadcnt_dscnt 0x501
	v_mul_f64_e32 v[148:149], v[4:5], v[14:15]
	v_mul_f64_e32 v[14:15], v[6:7], v[14:15]
	s_wait_loadcnt_dscnt 0x400
	v_mul_f64_e32 v[138:139], v[132:133], v[18:19]
	v_mul_f64_e32 v[18:19], v[134:135], v[18:19]
	v_add_f64_e32 v[10:11], v[142:143], v[140:141]
	v_add_f64_e32 v[136:137], v[144:145], v[160:161]
	v_fmac_f64_e32 v[148:149], v[6:7], v[12:13]
	v_fma_f64 v[12:13], v[4:5], v[12:13], -v[14:15]
	v_fmac_f64_e32 v[138:139], v[134:135], v[16:17]
	v_fma_f64 v[16:17], v[132:133], v[16:17], -v[18:19]
	v_add_f64_e32 v[14:15], v[10:11], v[8:9]
	v_add_f64_e32 v[136:137], v[136:137], v[146:147]
	ds_load_b128 v[4:7], v2 offset:1440
	ds_load_b128 v[8:11], v2 offset:1456
	s_wait_loadcnt_dscnt 0x301
	v_mul_f64_e32 v[140:141], v[4:5], v[22:23]
	v_mul_f64_e32 v[22:23], v[6:7], v[22:23]
	s_wait_loadcnt_dscnt 0x200
	v_mul_f64_e32 v[18:19], v[8:9], v[26:27]
	v_mul_f64_e32 v[26:27], v[10:11], v[26:27]
	v_add_f64_e32 v[12:13], v[14:15], v[12:13]
	v_add_f64_e32 v[14:15], v[136:137], v[148:149]
	v_fmac_f64_e32 v[140:141], v[6:7], v[20:21]
	v_fma_f64 v[20:21], v[4:5], v[20:21], -v[22:23]
	v_fmac_f64_e32 v[18:19], v[10:11], v[24:25]
	v_fma_f64 v[8:9], v[8:9], v[24:25], -v[26:27]
	v_add_f64_e32 v[16:17], v[12:13], v[16:17]
	v_add_f64_e32 v[22:23], v[14:15], v[138:139]
	ds_load_b128 v[4:7], v2 offset:1472
	ds_load_b128 v[12:15], v2 offset:1488
	s_wait_loadcnt_dscnt 0x101
	v_mul_f64_e32 v[2:3], v[4:5], v[30:31]
	v_mul_f64_e32 v[30:31], v[6:7], v[30:31]
	v_add_f64_e32 v[10:11], v[16:17], v[20:21]
	v_add_f64_e32 v[16:17], v[22:23], v[140:141]
	s_wait_loadcnt_dscnt 0x0
	v_mul_f64_e32 v[20:21], v[12:13], v[130:131]
	v_mul_f64_e32 v[22:23], v[14:15], v[130:131]
	v_fmac_f64_e32 v[2:3], v[6:7], v[28:29]
	v_fma_f64 v[4:5], v[4:5], v[28:29], -v[30:31]
	v_add_f64_e32 v[6:7], v[10:11], v[8:9]
	v_add_f64_e32 v[8:9], v[16:17], v[18:19]
	v_fmac_f64_e32 v[20:21], v[14:15], v[128:129]
	v_fma_f64 v[10:11], v[12:13], v[128:129], -v[22:23]
	s_delay_alu instid0(VALU_DEP_4) | instskip(NEXT) | instid1(VALU_DEP_4)
	v_add_f64_e32 v[4:5], v[6:7], v[4:5]
	v_add_f64_e32 v[2:3], v[8:9], v[2:3]
	s_delay_alu instid0(VALU_DEP_2) | instskip(NEXT) | instid1(VALU_DEP_2)
	v_add_f64_e32 v[4:5], v[4:5], v[10:11]
	v_add_f64_e32 v[6:7], v[2:3], v[20:21]
	s_delay_alu instid0(VALU_DEP_2) | instskip(NEXT) | instid1(VALU_DEP_2)
	v_add_f64_e64 v[2:3], v[152:153], -v[4:5]
	v_add_f64_e64 v[4:5], v[154:155], -v[6:7]
	scratch_store_b128 off, v[2:5], off offset:32
	s_wait_xcnt 0x0
	v_cmpx_lt_u32_e32 1, v1
	s_cbranch_execz .LBB46_293
; %bb.292:
	scratch_load_b128 v[2:5], off, s47
	v_mov_b32_e32 v6, 0
	s_delay_alu instid0(VALU_DEP_1)
	v_dual_mov_b32 v7, v6 :: v_dual_mov_b32 v8, v6
	v_mov_b32_e32 v9, v6
	scratch_store_b128 off, v[6:9], off offset:16
	s_wait_loadcnt 0x0
	ds_store_b128 v126, v[2:5]
.LBB46_293:
	s_wait_xcnt 0x0
	s_or_b32 exec_lo, exec_lo, s2
	s_wait_storecnt_dscnt 0x0
	s_barrier_signal -1
	s_barrier_wait -1
	s_clause 0x9
	scratch_load_b128 v[4:7], off, off offset:32
	scratch_load_b128 v[8:11], off, off offset:48
	;; [unrolled: 1-line block ×10, first 2 shown]
	v_mov_b32_e32 v2, 0
	s_mov_b32 s2, exec_lo
	ds_load_b128 v[140:143], v2 offset:784
	s_clause 0x2
	scratch_load_b128 v[144:147], off, off offset:192
	scratch_load_b128 v[148:151], off, off offset:16
	;; [unrolled: 1-line block ×3, first 2 shown]
	s_wait_loadcnt_dscnt 0xc00
	v_mul_f64_e32 v[160:161], v[142:143], v[6:7]
	v_mul_f64_e32 v[164:165], v[140:141], v[6:7]
	ds_load_b128 v[152:155], v2 offset:800
	v_fma_f64 v[168:169], v[140:141], v[4:5], -v[160:161]
	v_fmac_f64_e32 v[164:165], v[142:143], v[4:5]
	ds_load_b128 v[4:7], v2 offset:816
	s_wait_loadcnt_dscnt 0xb01
	v_mul_f64_e32 v[166:167], v[152:153], v[10:11]
	v_mul_f64_e32 v[10:11], v[154:155], v[10:11]
	scratch_load_b128 v[140:143], off, off offset:224
	ds_load_b128 v[160:163], v2 offset:832
	s_wait_loadcnt_dscnt 0xb01
	v_mul_f64_e32 v[170:171], v[4:5], v[14:15]
	v_mul_f64_e32 v[14:15], v[6:7], v[14:15]
	v_add_f64_e32 v[164:165], 0, v[164:165]
	v_fmac_f64_e32 v[166:167], v[154:155], v[8:9]
	v_fma_f64 v[152:153], v[152:153], v[8:9], -v[10:11]
	v_add_f64_e32 v[154:155], 0, v[168:169]
	scratch_load_b128 v[8:11], off, off offset:240
	v_fmac_f64_e32 v[170:171], v[6:7], v[12:13]
	v_fma_f64 v[172:173], v[4:5], v[12:13], -v[14:15]
	ds_load_b128 v[4:7], v2 offset:848
	s_wait_loadcnt_dscnt 0xb01
	v_mul_f64_e32 v[168:169], v[160:161], v[18:19]
	v_mul_f64_e32 v[18:19], v[162:163], v[18:19]
	scratch_load_b128 v[12:15], off, off offset:256
	v_add_f64_e32 v[164:165], v[164:165], v[166:167]
	v_add_f64_e32 v[174:175], v[154:155], v[152:153]
	ds_load_b128 v[152:155], v2 offset:864
	s_wait_loadcnt_dscnt 0xb01
	v_mul_f64_e32 v[166:167], v[4:5], v[22:23]
	v_mul_f64_e32 v[22:23], v[6:7], v[22:23]
	v_fmac_f64_e32 v[168:169], v[162:163], v[16:17]
	v_fma_f64 v[160:161], v[160:161], v[16:17], -v[18:19]
	scratch_load_b128 v[16:19], off, off offset:272
	v_add_f64_e32 v[164:165], v[164:165], v[170:171]
	v_add_f64_e32 v[162:163], v[174:175], v[172:173]
	v_fmac_f64_e32 v[166:167], v[6:7], v[20:21]
	v_fma_f64 v[172:173], v[4:5], v[20:21], -v[22:23]
	ds_load_b128 v[4:7], v2 offset:880
	s_wait_loadcnt_dscnt 0xb01
	v_mul_f64_e32 v[170:171], v[152:153], v[26:27]
	v_mul_f64_e32 v[26:27], v[154:155], v[26:27]
	scratch_load_b128 v[20:23], off, off offset:288
	v_add_f64_e32 v[164:165], v[164:165], v[168:169]
	s_wait_loadcnt_dscnt 0xb00
	v_mul_f64_e32 v[168:169], v[4:5], v[30:31]
	v_add_f64_e32 v[174:175], v[162:163], v[160:161]
	v_mul_f64_e32 v[30:31], v[6:7], v[30:31]
	ds_load_b128 v[160:163], v2 offset:896
	v_fmac_f64_e32 v[170:171], v[154:155], v[24:25]
	v_fma_f64 v[152:153], v[152:153], v[24:25], -v[26:27]
	scratch_load_b128 v[24:27], off, off offset:304
	v_add_f64_e32 v[164:165], v[164:165], v[166:167]
	v_fmac_f64_e32 v[168:169], v[6:7], v[28:29]
	v_add_f64_e32 v[154:155], v[174:175], v[172:173]
	v_fma_f64 v[172:173], v[4:5], v[28:29], -v[30:31]
	ds_load_b128 v[4:7], v2 offset:912
	s_wait_loadcnt_dscnt 0xb01
	v_mul_f64_e32 v[166:167], v[160:161], v[130:131]
	v_mul_f64_e32 v[130:131], v[162:163], v[130:131]
	scratch_load_b128 v[28:31], off, off offset:320
	v_add_f64_e32 v[164:165], v[164:165], v[170:171]
	s_wait_loadcnt_dscnt 0xb00
	v_mul_f64_e32 v[170:171], v[4:5], v[134:135]
	v_add_f64_e32 v[174:175], v[154:155], v[152:153]
	v_mul_f64_e32 v[134:135], v[6:7], v[134:135]
	ds_load_b128 v[152:155], v2 offset:928
	v_fmac_f64_e32 v[166:167], v[162:163], v[128:129]
	v_fma_f64 v[160:161], v[160:161], v[128:129], -v[130:131]
	scratch_load_b128 v[128:131], off, off offset:336
	v_add_f64_e32 v[164:165], v[164:165], v[168:169]
	v_fmac_f64_e32 v[170:171], v[6:7], v[132:133]
	v_add_f64_e32 v[162:163], v[174:175], v[172:173]
	;; [unrolled: 18-line block ×3, first 2 shown]
	v_fma_f64 v[172:173], v[4:5], v[144:145], -v[146:147]
	ds_load_b128 v[4:7], v2 offset:976
	s_wait_loadcnt_dscnt 0xa01
	v_mul_f64_e32 v[170:171], v[160:161], v[158:159]
	v_mul_f64_e32 v[158:159], v[162:163], v[158:159]
	scratch_load_b128 v[144:147], off, off offset:384
	v_add_f64_e32 v[164:165], v[164:165], v[168:169]
	v_add_f64_e32 v[174:175], v[154:155], v[152:153]
	s_wait_loadcnt_dscnt 0xa00
	v_mul_f64_e32 v[168:169], v[4:5], v[142:143]
	v_mul_f64_e32 v[142:143], v[6:7], v[142:143]
	v_fmac_f64_e32 v[170:171], v[162:163], v[156:157]
	v_fma_f64 v[160:161], v[160:161], v[156:157], -v[158:159]
	ds_load_b128 v[152:155], v2 offset:992
	scratch_load_b128 v[156:159], off, off offset:400
	v_add_f64_e32 v[164:165], v[164:165], v[166:167]
	v_add_f64_e32 v[162:163], v[174:175], v[172:173]
	v_fmac_f64_e32 v[168:169], v[6:7], v[140:141]
	v_fma_f64 v[172:173], v[4:5], v[140:141], -v[142:143]
	ds_load_b128 v[4:7], v2 offset:1008
	s_wait_loadcnt_dscnt 0xa01
	v_mul_f64_e32 v[166:167], v[152:153], v[10:11]
	v_mul_f64_e32 v[10:11], v[154:155], v[10:11]
	scratch_load_b128 v[140:143], off, off offset:416
	v_add_f64_e32 v[164:165], v[164:165], v[170:171]
	s_wait_loadcnt_dscnt 0xa00
	v_mul_f64_e32 v[170:171], v[4:5], v[14:15]
	v_add_f64_e32 v[174:175], v[162:163], v[160:161]
	v_mul_f64_e32 v[14:15], v[6:7], v[14:15]
	ds_load_b128 v[160:163], v2 offset:1024
	v_fmac_f64_e32 v[166:167], v[154:155], v[8:9]
	v_fma_f64 v[152:153], v[152:153], v[8:9], -v[10:11]
	scratch_load_b128 v[8:11], off, off offset:432
	v_add_f64_e32 v[164:165], v[164:165], v[168:169]
	v_fmac_f64_e32 v[170:171], v[6:7], v[12:13]
	v_add_f64_e32 v[154:155], v[174:175], v[172:173]
	v_fma_f64 v[172:173], v[4:5], v[12:13], -v[14:15]
	ds_load_b128 v[4:7], v2 offset:1040
	s_wait_loadcnt_dscnt 0xa01
	v_mul_f64_e32 v[168:169], v[160:161], v[18:19]
	v_mul_f64_e32 v[18:19], v[162:163], v[18:19]
	scratch_load_b128 v[12:15], off, off offset:448
	v_add_f64_e32 v[164:165], v[164:165], v[166:167]
	s_wait_loadcnt_dscnt 0xa00
	v_mul_f64_e32 v[166:167], v[4:5], v[22:23]
	v_add_f64_e32 v[174:175], v[154:155], v[152:153]
	v_mul_f64_e32 v[22:23], v[6:7], v[22:23]
	ds_load_b128 v[152:155], v2 offset:1056
	v_fmac_f64_e32 v[168:169], v[162:163], v[16:17]
	v_fma_f64 v[160:161], v[160:161], v[16:17], -v[18:19]
	scratch_load_b128 v[16:19], off, off offset:464
	v_add_f64_e32 v[164:165], v[164:165], v[170:171]
	v_fmac_f64_e32 v[166:167], v[6:7], v[20:21]
	v_add_f64_e32 v[162:163], v[174:175], v[172:173]
	;; [unrolled: 18-line block ×10, first 2 shown]
	v_fma_f64 v[172:173], v[4:5], v[132:133], -v[134:135]
	ds_load_b128 v[4:7], v2 offset:1328
	s_wait_loadcnt_dscnt 0xa01
	v_mul_f64_e32 v[168:169], v[152:153], v[138:139]
	v_mul_f64_e32 v[138:139], v[154:155], v[138:139]
	scratch_load_b128 v[132:135], off, off offset:736
	v_add_f64_e32 v[164:165], v[164:165], v[166:167]
	s_wait_loadcnt_dscnt 0xa00
	v_mul_f64_e32 v[166:167], v[4:5], v[146:147]
	v_add_f64_e32 v[174:175], v[162:163], v[160:161]
	v_mul_f64_e32 v[146:147], v[6:7], v[146:147]
	ds_load_b128 v[160:163], v2 offset:1344
	v_fmac_f64_e32 v[168:169], v[154:155], v[136:137]
	v_fma_f64 v[136:137], v[152:153], v[136:137], -v[138:139]
	s_wait_loadcnt_dscnt 0x900
	v_mul_f64_e32 v[154:155], v[160:161], v[158:159]
	v_mul_f64_e32 v[158:159], v[162:163], v[158:159]
	v_add_f64_e32 v[152:153], v[164:165], v[170:171]
	v_fmac_f64_e32 v[166:167], v[6:7], v[144:145]
	v_add_f64_e32 v[138:139], v[174:175], v[172:173]
	v_fma_f64 v[144:145], v[4:5], v[144:145], -v[146:147]
	v_fmac_f64_e32 v[154:155], v[162:163], v[156:157]
	v_fma_f64 v[156:157], v[160:161], v[156:157], -v[158:159]
	v_add_f64_e32 v[152:153], v[152:153], v[168:169]
	v_add_f64_e32 v[146:147], v[138:139], v[136:137]
	ds_load_b128 v[4:7], v2 offset:1360
	ds_load_b128 v[136:139], v2 offset:1376
	s_wait_loadcnt_dscnt 0x801
	v_mul_f64_e32 v[164:165], v[4:5], v[142:143]
	v_mul_f64_e32 v[142:143], v[6:7], v[142:143]
	v_add_f64_e32 v[144:145], v[146:147], v[144:145]
	v_add_f64_e32 v[146:147], v[152:153], v[166:167]
	s_wait_loadcnt_dscnt 0x700
	v_mul_f64_e32 v[152:153], v[136:137], v[10:11]
	v_mul_f64_e32 v[10:11], v[138:139], v[10:11]
	v_fmac_f64_e32 v[164:165], v[6:7], v[140:141]
	v_fma_f64 v[158:159], v[4:5], v[140:141], -v[142:143]
	ds_load_b128 v[4:7], v2 offset:1392
	ds_load_b128 v[140:143], v2 offset:1408
	v_add_f64_e32 v[144:145], v[144:145], v[156:157]
	v_add_f64_e32 v[146:147], v[146:147], v[154:155]
	v_fmac_f64_e32 v[152:153], v[138:139], v[8:9]
	v_fma_f64 v[8:9], v[136:137], v[8:9], -v[10:11]
	s_wait_loadcnt_dscnt 0x601
	v_mul_f64_e32 v[154:155], v[4:5], v[14:15]
	v_mul_f64_e32 v[14:15], v[6:7], v[14:15]
	s_wait_loadcnt_dscnt 0x500
	v_mul_f64_e32 v[138:139], v[140:141], v[18:19]
	v_mul_f64_e32 v[18:19], v[142:143], v[18:19]
	v_add_f64_e32 v[10:11], v[144:145], v[158:159]
	v_add_f64_e32 v[136:137], v[146:147], v[164:165]
	v_fmac_f64_e32 v[154:155], v[6:7], v[12:13]
	v_fma_f64 v[12:13], v[4:5], v[12:13], -v[14:15]
	v_fmac_f64_e32 v[138:139], v[142:143], v[16:17]
	v_fma_f64 v[16:17], v[140:141], v[16:17], -v[18:19]
	v_add_f64_e32 v[14:15], v[10:11], v[8:9]
	v_add_f64_e32 v[136:137], v[136:137], v[152:153]
	ds_load_b128 v[4:7], v2 offset:1424
	ds_load_b128 v[8:11], v2 offset:1440
	s_wait_loadcnt_dscnt 0x401
	v_mul_f64_e32 v[144:145], v[4:5], v[22:23]
	v_mul_f64_e32 v[22:23], v[6:7], v[22:23]
	s_wait_loadcnt_dscnt 0x300
	v_mul_f64_e32 v[18:19], v[8:9], v[26:27]
	v_mul_f64_e32 v[26:27], v[10:11], v[26:27]
	v_add_f64_e32 v[12:13], v[14:15], v[12:13]
	v_add_f64_e32 v[14:15], v[136:137], v[154:155]
	v_fmac_f64_e32 v[144:145], v[6:7], v[20:21]
	v_fma_f64 v[20:21], v[4:5], v[20:21], -v[22:23]
	v_fmac_f64_e32 v[18:19], v[10:11], v[24:25]
	v_fma_f64 v[8:9], v[8:9], v[24:25], -v[26:27]
	v_add_f64_e32 v[16:17], v[12:13], v[16:17]
	v_add_f64_e32 v[22:23], v[14:15], v[138:139]
	ds_load_b128 v[4:7], v2 offset:1456
	ds_load_b128 v[12:15], v2 offset:1472
	s_wait_loadcnt_dscnt 0x201
	v_mul_f64_e32 v[136:137], v[4:5], v[30:31]
	v_mul_f64_e32 v[30:31], v[6:7], v[30:31]
	v_add_f64_e32 v[10:11], v[16:17], v[20:21]
	v_add_f64_e32 v[16:17], v[22:23], v[144:145]
	s_wait_loadcnt_dscnt 0x100
	v_mul_f64_e32 v[20:21], v[12:13], v[130:131]
	v_mul_f64_e32 v[22:23], v[14:15], v[130:131]
	v_fmac_f64_e32 v[136:137], v[6:7], v[28:29]
	v_fma_f64 v[24:25], v[4:5], v[28:29], -v[30:31]
	ds_load_b128 v[4:7], v2 offset:1488
	v_add_f64_e32 v[8:9], v[10:11], v[8:9]
	v_add_f64_e32 v[10:11], v[16:17], v[18:19]
	v_fmac_f64_e32 v[20:21], v[14:15], v[128:129]
	v_fma_f64 v[12:13], v[12:13], v[128:129], -v[22:23]
	s_wait_loadcnt_dscnt 0x0
	v_mul_f64_e32 v[16:17], v[4:5], v[134:135]
	v_mul_f64_e32 v[18:19], v[6:7], v[134:135]
	v_add_f64_e32 v[8:9], v[8:9], v[24:25]
	v_add_f64_e32 v[10:11], v[10:11], v[136:137]
	s_delay_alu instid0(VALU_DEP_4) | instskip(NEXT) | instid1(VALU_DEP_4)
	v_fmac_f64_e32 v[16:17], v[6:7], v[132:133]
	v_fma_f64 v[4:5], v[4:5], v[132:133], -v[18:19]
	s_delay_alu instid0(VALU_DEP_4) | instskip(NEXT) | instid1(VALU_DEP_4)
	v_add_f64_e32 v[6:7], v[8:9], v[12:13]
	v_add_f64_e32 v[8:9], v[10:11], v[20:21]
	s_delay_alu instid0(VALU_DEP_2) | instskip(NEXT) | instid1(VALU_DEP_2)
	v_add_f64_e32 v[4:5], v[6:7], v[4:5]
	v_add_f64_e32 v[6:7], v[8:9], v[16:17]
	s_delay_alu instid0(VALU_DEP_2) | instskip(NEXT) | instid1(VALU_DEP_2)
	v_add_f64_e64 v[4:5], v[148:149], -v[4:5]
	v_add_f64_e64 v[6:7], v[150:151], -v[6:7]
	scratch_store_b128 off, v[4:7], off offset:16
	s_wait_xcnt 0x0
	v_cmpx_ne_u32_e32 0, v1
	s_cbranch_execz .LBB46_295
; %bb.294:
	scratch_load_b128 v[6:9], off, off
	v_dual_mov_b32 v3, v2 :: v_dual_mov_b32 v4, v2
	v_mov_b32_e32 v5, v2
	scratch_store_b128 off, v[2:5], off
	s_wait_loadcnt 0x0
	ds_store_b128 v126, v[6:9]
.LBB46_295:
	s_wait_xcnt 0x0
	s_or_b32 exec_lo, exec_lo, s2
	s_wait_storecnt_dscnt 0x0
	s_barrier_signal -1
	s_barrier_wait -1
	s_clause 0x9
	scratch_load_b128 v[4:7], off, off offset:16
	scratch_load_b128 v[8:11], off, off offset:32
	;; [unrolled: 1-line block ×10, first 2 shown]
	ds_load_b128 v[138:141], v2 offset:768
	ds_load_b128 v[146:149], v2 offset:784
	s_clause 0x2
	scratch_load_b128 v[142:145], off, off offset:176
	scratch_load_b128 v[152:155], off, off
	scratch_load_b128 v[156:159], off, off offset:192
	s_and_b32 vcc_lo, exec_lo, s59
	s_wait_loadcnt_dscnt 0xc01
	v_mul_f64_e32 v[150:151], v[140:141], v[6:7]
	v_mul_f64_e32 v[164:165], v[138:139], v[6:7]
	s_wait_loadcnt_dscnt 0xb00
	v_mul_f64_e32 v[166:167], v[146:147], v[10:11]
	v_mul_f64_e32 v[10:11], v[148:149], v[10:11]
	s_delay_alu instid0(VALU_DEP_4) | instskip(NEXT) | instid1(VALU_DEP_4)
	v_fma_f64 v[150:151], v[138:139], v[4:5], -v[150:151]
	v_fmac_f64_e32 v[164:165], v[140:141], v[4:5]
	ds_load_b128 v[4:7], v2 offset:800
	ds_load_b128 v[138:141], v2 offset:816
	scratch_load_b128 v[160:163], off, off offset:208
	v_fmac_f64_e32 v[166:167], v[148:149], v[8:9]
	v_fma_f64 v[146:147], v[146:147], v[8:9], -v[10:11]
	scratch_load_b128 v[8:11], off, off offset:224
	s_wait_loadcnt_dscnt 0xc01
	v_mul_f64_e32 v[168:169], v[4:5], v[14:15]
	v_mul_f64_e32 v[14:15], v[6:7], v[14:15]
	v_add_f64_e32 v[148:149], 0, v[150:151]
	v_add_f64_e32 v[150:151], 0, v[164:165]
	s_wait_loadcnt_dscnt 0xb00
	v_mul_f64_e32 v[164:165], v[138:139], v[18:19]
	v_mul_f64_e32 v[18:19], v[140:141], v[18:19]
	v_fmac_f64_e32 v[168:169], v[6:7], v[12:13]
	v_fma_f64 v[170:171], v[4:5], v[12:13], -v[14:15]
	ds_load_b128 v[4:7], v2 offset:832
	ds_load_b128 v[12:15], v2 offset:848
	v_add_f64_e32 v[172:173], v[148:149], v[146:147]
	v_add_f64_e32 v[150:151], v[150:151], v[166:167]
	scratch_load_b128 v[146:149], off, off offset:240
	v_fmac_f64_e32 v[164:165], v[140:141], v[16:17]
	v_fma_f64 v[138:139], v[138:139], v[16:17], -v[18:19]
	scratch_load_b128 v[16:19], off, off offset:256
	s_wait_loadcnt_dscnt 0xc01
	v_mul_f64_e32 v[166:167], v[4:5], v[22:23]
	v_mul_f64_e32 v[22:23], v[6:7], v[22:23]
	v_add_f64_e32 v[140:141], v[172:173], v[170:171]
	v_add_f64_e32 v[150:151], v[150:151], v[168:169]
	s_wait_loadcnt_dscnt 0xb00
	v_mul_f64_e32 v[168:169], v[12:13], v[26:27]
	v_mul_f64_e32 v[26:27], v[14:15], v[26:27]
	v_fmac_f64_e32 v[166:167], v[6:7], v[20:21]
	v_fma_f64 v[170:171], v[4:5], v[20:21], -v[22:23]
	ds_load_b128 v[4:7], v2 offset:864
	ds_load_b128 v[20:23], v2 offset:880
	v_add_f64_e32 v[172:173], v[140:141], v[138:139]
	v_add_f64_e32 v[150:151], v[150:151], v[164:165]
	scratch_load_b128 v[138:141], off, off offset:272
	s_wait_loadcnt_dscnt 0xb01
	v_mul_f64_e32 v[164:165], v[4:5], v[30:31]
	v_mul_f64_e32 v[30:31], v[6:7], v[30:31]
	v_fmac_f64_e32 v[168:169], v[14:15], v[24:25]
	v_fma_f64 v[24:25], v[12:13], v[24:25], -v[26:27]
	scratch_load_b128 v[12:15], off, off offset:288
	v_add_f64_e32 v[26:27], v[172:173], v[170:171]
	v_add_f64_e32 v[150:151], v[150:151], v[166:167]
	s_wait_loadcnt_dscnt 0xb00
	v_mul_f64_e32 v[166:167], v[20:21], v[128:129]
	v_mul_f64_e32 v[128:129], v[22:23], v[128:129]
	v_fmac_f64_e32 v[164:165], v[6:7], v[28:29]
	v_fma_f64 v[170:171], v[4:5], v[28:29], -v[30:31]
	v_add_f64_e32 v[172:173], v[26:27], v[24:25]
	v_add_f64_e32 v[150:151], v[150:151], v[168:169]
	ds_load_b128 v[4:7], v2 offset:896
	ds_load_b128 v[24:27], v2 offset:912
	scratch_load_b128 v[28:31], off, off offset:304
	v_fmac_f64_e32 v[166:167], v[22:23], v[126:127]
	v_fma_f64 v[126:127], v[20:21], v[126:127], -v[128:129]
	scratch_load_b128 v[20:23], off, off offset:320
	s_wait_loadcnt_dscnt 0xc01
	v_mul_f64_e32 v[168:169], v[4:5], v[132:133]
	v_mul_f64_e32 v[132:133], v[6:7], v[132:133]
	v_add_f64_e32 v[128:129], v[172:173], v[170:171]
	v_add_f64_e32 v[150:151], v[150:151], v[164:165]
	s_wait_loadcnt_dscnt 0xb00
	v_mul_f64_e32 v[164:165], v[24:25], v[136:137]
	v_mul_f64_e32 v[136:137], v[26:27], v[136:137]
	v_fmac_f64_e32 v[168:169], v[6:7], v[130:131]
	v_fma_f64 v[170:171], v[4:5], v[130:131], -v[132:133]
	v_add_f64_e32 v[172:173], v[128:129], v[126:127]
	v_add_f64_e32 v[150:151], v[150:151], v[166:167]
	ds_load_b128 v[4:7], v2 offset:928
	ds_load_b128 v[126:129], v2 offset:944
	scratch_load_b128 v[130:133], off, off offset:336
	v_fmac_f64_e32 v[164:165], v[26:27], v[134:135]
	v_fma_f64 v[134:135], v[24:25], v[134:135], -v[136:137]
	scratch_load_b128 v[24:27], off, off offset:352
	s_wait_loadcnt_dscnt 0xc01
	v_mul_f64_e32 v[166:167], v[4:5], v[144:145]
	v_mul_f64_e32 v[144:145], v[6:7], v[144:145]
	;; [unrolled: 18-line block ×5, first 2 shown]
	v_add_f64_e32 v[158:159], v[172:173], v[170:171]
	v_add_f64_e32 v[150:151], v[150:151], v[168:169]
	s_wait_loadcnt_dscnt 0xa00
	v_mul_f64_e32 v[168:169], v[134:135], v[14:15]
	v_mul_f64_e32 v[14:15], v[136:137], v[14:15]
	v_fmac_f64_e32 v[166:167], v[6:7], v[138:139]
	v_fma_f64 v[170:171], v[4:5], v[138:139], -v[140:141]
	ds_load_b128 v[4:7], v2 offset:1056
	ds_load_b128 v[138:141], v2 offset:1072
	v_add_f64_e32 v[172:173], v[158:159], v[156:157]
	v_add_f64_e32 v[150:151], v[150:151], v[164:165]
	scratch_load_b128 v[156:159], off, off offset:464
	v_fmac_f64_e32 v[168:169], v[136:137], v[12:13]
	v_fma_f64 v[134:135], v[134:135], v[12:13], -v[14:15]
	scratch_load_b128 v[12:15], off, off offset:480
	s_wait_loadcnt_dscnt 0xb01
	v_mul_f64_e32 v[164:165], v[4:5], v[30:31]
	v_mul_f64_e32 v[30:31], v[6:7], v[30:31]
	v_add_f64_e32 v[136:137], v[172:173], v[170:171]
	v_add_f64_e32 v[150:151], v[150:151], v[166:167]
	s_wait_loadcnt_dscnt 0xa00
	v_mul_f64_e32 v[166:167], v[138:139], v[22:23]
	v_mul_f64_e32 v[22:23], v[140:141], v[22:23]
	v_fmac_f64_e32 v[164:165], v[6:7], v[28:29]
	v_fma_f64 v[170:171], v[4:5], v[28:29], -v[30:31]
	ds_load_b128 v[4:7], v2 offset:1088
	ds_load_b128 v[28:31], v2 offset:1104
	v_add_f64_e32 v[172:173], v[136:137], v[134:135]
	v_add_f64_e32 v[150:151], v[150:151], v[168:169]
	scratch_load_b128 v[134:137], off, off offset:496
	s_wait_loadcnt_dscnt 0xa01
	v_mul_f64_e32 v[168:169], v[4:5], v[132:133]
	v_mul_f64_e32 v[132:133], v[6:7], v[132:133]
	v_fmac_f64_e32 v[166:167], v[140:141], v[20:21]
	v_fma_f64 v[138:139], v[138:139], v[20:21], -v[22:23]
	scratch_load_b128 v[20:23], off, off offset:512
	v_add_f64_e32 v[140:141], v[172:173], v[170:171]
	v_add_f64_e32 v[150:151], v[150:151], v[164:165]
	s_wait_loadcnt_dscnt 0xa00
	v_mul_f64_e32 v[164:165], v[28:29], v[26:27]
	v_mul_f64_e32 v[26:27], v[30:31], v[26:27]
	v_fmac_f64_e32 v[168:169], v[6:7], v[130:131]
	v_fma_f64 v[170:171], v[4:5], v[130:131], -v[132:133]
	ds_load_b128 v[4:7], v2 offset:1120
	ds_load_b128 v[130:133], v2 offset:1136
	v_add_f64_e32 v[172:173], v[140:141], v[138:139]
	v_add_f64_e32 v[150:151], v[150:151], v[166:167]
	scratch_load_b128 v[138:141], off, off offset:528
	s_wait_loadcnt_dscnt 0xa01
	v_mul_f64_e32 v[166:167], v[4:5], v[144:145]
	v_mul_f64_e32 v[144:145], v[6:7], v[144:145]
	v_fmac_f64_e32 v[164:165], v[30:31], v[24:25]
	v_fma_f64 v[28:29], v[28:29], v[24:25], -v[26:27]
	scratch_load_b128 v[24:27], off, off offset:544
	v_add_f64_e32 v[30:31], v[172:173], v[170:171]
	v_add_f64_e32 v[150:151], v[150:151], v[168:169]
	s_wait_loadcnt_dscnt 0xa00
	v_mul_f64_e32 v[168:169], v[130:131], v[128:129]
	v_mul_f64_e32 v[128:129], v[132:133], v[128:129]
	v_fmac_f64_e32 v[166:167], v[6:7], v[142:143]
	v_fma_f64 v[170:171], v[4:5], v[142:143], -v[144:145]
	v_add_f64_e32 v[172:173], v[30:31], v[28:29]
	v_add_f64_e32 v[150:151], v[150:151], v[164:165]
	ds_load_b128 v[4:7], v2 offset:1152
	ds_load_b128 v[28:31], v2 offset:1168
	scratch_load_b128 v[142:145], off, off offset:560
	v_fmac_f64_e32 v[168:169], v[132:133], v[126:127]
	v_fma_f64 v[130:131], v[130:131], v[126:127], -v[128:129]
	scratch_load_b128 v[126:129], off, off offset:576
	s_wait_loadcnt_dscnt 0xb01
	v_mul_f64_e32 v[164:165], v[4:5], v[162:163]
	v_mul_f64_e32 v[162:163], v[6:7], v[162:163]
	v_add_f64_e32 v[132:133], v[172:173], v[170:171]
	v_add_f64_e32 v[150:151], v[150:151], v[166:167]
	s_wait_loadcnt_dscnt 0xa00
	v_mul_f64_e32 v[166:167], v[28:29], v[10:11]
	v_mul_f64_e32 v[10:11], v[30:31], v[10:11]
	v_fmac_f64_e32 v[164:165], v[6:7], v[160:161]
	v_fma_f64 v[170:171], v[4:5], v[160:161], -v[162:163]
	v_add_f64_e32 v[172:173], v[132:133], v[130:131]
	v_add_f64_e32 v[150:151], v[150:151], v[168:169]
	ds_load_b128 v[4:7], v2 offset:1184
	ds_load_b128 v[130:133], v2 offset:1200
	scratch_load_b128 v[160:163], off, off offset:592
	v_fmac_f64_e32 v[166:167], v[30:31], v[8:9]
	v_fma_f64 v[28:29], v[28:29], v[8:9], -v[10:11]
	scratch_load_b128 v[8:11], off, off offset:608
	s_wait_loadcnt_dscnt 0xb01
	v_mul_f64_e32 v[168:169], v[4:5], v[148:149]
	v_mul_f64_e32 v[148:149], v[6:7], v[148:149]
	;; [unrolled: 18-line block ×6, first 2 shown]
	v_add_f64_e32 v[30:31], v[172:173], v[170:171]
	v_add_f64_e32 v[150:151], v[150:151], v[168:169]
	s_wait_loadcnt_dscnt 0xa00
	v_mul_f64_e32 v[168:169], v[130:131], v[128:129]
	v_mul_f64_e32 v[128:129], v[132:133], v[128:129]
	v_fmac_f64_e32 v[166:167], v[6:7], v[142:143]
	v_fma_f64 v[142:143], v[4:5], v[142:143], -v[144:145]
	v_add_f64_e32 v[144:145], v[30:31], v[28:29]
	v_add_f64_e32 v[150:151], v[150:151], v[164:165]
	ds_load_b128 v[4:7], v2 offset:1344
	ds_load_b128 v[28:31], v2 offset:1360
	v_fmac_f64_e32 v[168:169], v[132:133], v[126:127]
	v_fma_f64 v[126:127], v[130:131], v[126:127], -v[128:129]
	s_wait_loadcnt_dscnt 0x901
	v_mul_f64_e32 v[164:165], v[4:5], v[162:163]
	v_mul_f64_e32 v[162:163], v[6:7], v[162:163]
	s_wait_loadcnt_dscnt 0x800
	v_mul_f64_e32 v[132:133], v[28:29], v[10:11]
	v_mul_f64_e32 v[10:11], v[30:31], v[10:11]
	v_add_f64_e32 v[128:129], v[144:145], v[142:143]
	v_add_f64_e32 v[130:131], v[150:151], v[166:167]
	v_fmac_f64_e32 v[164:165], v[6:7], v[160:161]
	v_fma_f64 v[142:143], v[4:5], v[160:161], -v[162:163]
	v_fmac_f64_e32 v[132:133], v[30:31], v[8:9]
	v_fma_f64 v[8:9], v[28:29], v[8:9], -v[10:11]
	v_add_f64_e32 v[144:145], v[128:129], v[126:127]
	v_add_f64_e32 v[130:131], v[130:131], v[168:169]
	ds_load_b128 v[4:7], v2 offset:1376
	ds_load_b128 v[126:129], v2 offset:1392
	s_wait_loadcnt_dscnt 0x701
	v_mul_f64_e32 v[150:151], v[4:5], v[148:149]
	v_mul_f64_e32 v[148:149], v[6:7], v[148:149]
	s_wait_loadcnt_dscnt 0x600
	v_mul_f64_e32 v[30:31], v[126:127], v[18:19]
	v_mul_f64_e32 v[18:19], v[128:129], v[18:19]
	v_add_f64_e32 v[10:11], v[144:145], v[142:143]
	v_add_f64_e32 v[28:29], v[130:131], v[164:165]
	v_fmac_f64_e32 v[150:151], v[6:7], v[146:147]
	v_fma_f64 v[130:131], v[4:5], v[146:147], -v[148:149]
	v_fmac_f64_e32 v[30:31], v[128:129], v[16:17]
	v_fma_f64 v[16:17], v[126:127], v[16:17], -v[18:19]
	v_lshl_add_u64 v[148:149], v[38:39], 4, s[4:5]
	v_lshl_add_u64 v[146:147], v[40:41], 4, s[4:5]
	;; [unrolled: 1-line block ×4, first 2 shown]
	v_add_f64_e32 v[142:143], v[10:11], v[8:9]
	v_add_f64_e32 v[28:29], v[28:29], v[132:133]
	ds_load_b128 v[4:7], v2 offset:1408
	ds_load_b128 v[8:11], v2 offset:1424
	s_wait_loadcnt_dscnt 0x501
	v_mul_f64_e32 v[132:133], v[4:5], v[158:159]
	v_mul_f64_e32 v[144:145], v[6:7], v[158:159]
	s_wait_loadcnt_dscnt 0x400
	v_mul_f64_e32 v[126:127], v[8:9], v[14:15]
	v_mul_f64_e32 v[128:129], v[10:11], v[14:15]
	v_add_f64_e32 v[18:19], v[142:143], v[130:131]
	v_add_f64_e32 v[28:29], v[28:29], v[150:151]
	v_lshl_add_u64 v[150:151], v[36:37], 4, s[4:5]
	v_lshl_add_u64 v[142:143], v[42:43], 4, s[4:5]
	;; [unrolled: 1-line block ×4, first 2 shown]
	v_fmac_f64_e32 v[132:133], v[6:7], v[156:157]
	v_fma_f64 v[130:131], v[4:5], v[156:157], -v[144:145]
	v_fmac_f64_e32 v[126:127], v[10:11], v[12:13]
	v_fma_f64 v[8:9], v[8:9], v[12:13], -v[128:129]
	v_lshl_add_u64 v[144:145], v[44:45], 4, s[4:5]
	v_lshl_add_u64 v[44:45], v[100:101], 4, s[4:5]
	v_add_f64_e32 v[18:19], v[18:19], v[16:17]
	v_add_f64_e32 v[28:29], v[28:29], v[30:31]
	ds_load_b128 v[4:7], v2 offset:1440
	ds_load_b128 v[14:17], v2 offset:1456
	s_wait_loadcnt_dscnt 0x301
	v_mul_f64_e32 v[30:31], v[4:5], v[136:137]
	v_mul_f64_e32 v[136:137], v[6:7], v[136:137]
	v_add_f64_e32 v[10:11], v[18:19], v[130:131]
	v_add_f64_e32 v[12:13], v[28:29], v[132:133]
	s_wait_loadcnt_dscnt 0x200
	v_mul_f64_e32 v[18:19], v[14:15], v[22:23]
	v_mul_f64_e32 v[22:23], v[16:17], v[22:23]
	v_lshl_add_u64 v[132:133], v[54:55], 4, s[4:5]
	v_lshl_add_u64 v[130:131], v[56:57], 4, s[4:5]
	;; [unrolled: 1-line block ×4, first 2 shown]
	v_fmac_f64_e32 v[30:31], v[6:7], v[134:135]
	v_fma_f64 v[28:29], v[4:5], v[134:135], -v[136:137]
	v_lshl_add_u64 v[134:135], v[50:51], 4, s[4:5]
	v_lshl_add_u64 v[136:137], v[52:53], 4, s[4:5]
	;; [unrolled: 1-line block ×4, first 2 shown]
	v_add_f64_e32 v[128:129], v[10:11], v[8:9]
	v_add_f64_e32 v[12:13], v[12:13], v[126:127]
	ds_load_b128 v[4:7], v2 offset:1472
	ds_load_b128 v[8:11], v2 offset:1488
	v_fmac_f64_e32 v[18:19], v[16:17], v[20:21]
	v_fma_f64 v[14:15], v[14:15], v[20:21], -v[22:23]
	s_wait_loadcnt_dscnt 0x101
	v_mul_f64_e32 v[2:3], v[4:5], v[140:141]
	v_mul_f64_e32 v[126:127], v[6:7], v[140:141]
	s_wait_loadcnt_dscnt 0x0
	v_mul_f64_e32 v[20:21], v[8:9], v[26:27]
	v_mul_f64_e32 v[22:23], v[10:11], v[26:27]
	v_lshl_add_u64 v[140:141], v[46:47], 4, s[4:5]
	v_lshl_add_u64 v[26:27], v[86:87], 4, s[4:5]
	;; [unrolled: 1-line block ×3, first 2 shown]
	v_add_f64_e32 v[16:17], v[128:129], v[28:29]
	v_add_f64_e32 v[12:13], v[12:13], v[30:31]
	v_lshl_add_u64 v[128:129], v[60:61], 4, s[4:5]
	v_lshl_add_u64 v[28:29], v[88:89], 4, s[4:5]
	;; [unrolled: 1-line block ×4, first 2 shown]
	v_fmac_f64_e32 v[2:3], v[6:7], v[138:139]
	v_fma_f64 v[4:5], v[4:5], v[138:139], -v[126:127]
	v_fmac_f64_e32 v[20:21], v[10:11], v[24:25]
	v_fma_f64 v[8:9], v[8:9], v[24:25], -v[22:23]
	v_lshl_add_u64 v[138:139], v[48:49], 4, s[4:5]
	v_lshl_add_u64 v[126:127], v[58:59], 4, s[4:5]
	;; [unrolled: 1-line block ×7, first 2 shown]
	v_add_f64_e32 v[6:7], v[16:17], v[14:15]
	v_add_f64_e32 v[12:13], v[12:13], v[18:19]
	v_lshl_add_u64 v[14:15], v[74:75], 4, s[4:5]
	v_lshl_add_u64 v[16:17], v[76:77], 4, s[4:5]
	;; [unrolled: 1-line block ×3, first 2 shown]
	v_add_f64_e32 v[4:5], v[6:7], v[4:5]
	v_add_f64_e32 v[2:3], v[12:13], v[2:3]
	v_lshl_add_u64 v[12:13], v[72:73], 4, s[4:5]
	s_delay_alu instid0(VALU_DEP_3) | instskip(NEXT) | instid1(VALU_DEP_3)
	v_add_f64_e32 v[6:7], v[4:5], v[8:9]
	v_add_f64_e32 v[8:9], v[2:3], v[20:21]
	v_lshl_add_u64 v[4:5], v[62:63], 4, s[4:5]
	v_lshl_add_u64 v[2:3], v[64:65], 4, s[4:5]
	;; [unrolled: 1-line block ×5, first 2 shown]
	v_add_f64_e64 v[152:153], v[152:153], -v[6:7]
	v_add_f64_e64 v[154:155], v[154:155], -v[8:9]
	v_lshl_add_u64 v[6:7], v[66:67], 4, s[4:5]
	v_lshl_add_u64 v[8:9], v[68:69], 4, s[4:5]
	;; [unrolled: 1-line block ×4, first 2 shown]
	scratch_store_b128 off, v[152:155], off
	s_cbranch_vccz .LBB46_388
; %bb.296:
	v_mov_b32_e32 v70, 0
	s_load_b64 s[2:3], s[0:1], 0x4
	v_bfe_u32 v72, v0, 10, 10
	v_bfe_u32 v0, v0, 20, 10
	global_load_b32 v71, v70, s[16:17] offset:180
	s_wait_kmcnt 0x0
	s_lshr_b32 s0, s2, 16
	v_mul_u32_u24_e32 v72, s3, v72
	s_mul_i32 s0, s0, s3
	s_delay_alu instid0(SALU_CYCLE_1) | instskip(NEXT) | instid1(VALU_DEP_1)
	v_mul_u32_u24_e32 v1, s0, v1
	v_add3_u32 v0, v1, v72, v0
	s_delay_alu instid0(VALU_DEP_1)
	v_lshl_add_u32 v0, v0, 4, 0x5e8
	s_wait_loadcnt 0x0
	v_cmp_ne_u32_e32 vcc_lo, 46, v71
	s_cbranch_vccz .LBB46_298
; %bb.297:
	v_lshlrev_b32_e32 v1, 4, v71
	s_clause 0x1
	scratch_load_b128 v[72:75], off, s15
	scratch_load_b128 v[76:79], v1, off offset:-16
	s_wait_loadcnt 0x1
	ds_store_2addr_b64 v0, v[72:73], v[74:75] offset1:1
	s_wait_loadcnt 0x0
	s_clause 0x1
	scratch_store_b128 off, v[76:79], s15
	scratch_store_b128 v1, v[72:75], off offset:-16
.LBB46_298:
	global_load_b32 v1, v70, s[16:17] offset:176
	s_wait_loadcnt 0x0
	v_cmp_eq_u32_e32 vcc_lo, 45, v1
	s_cbranch_vccnz .LBB46_300
; %bb.299:
	v_lshlrev_b32_e32 v1, 4, v1
	s_clause 0x1
	scratch_load_b128 v[70:73], off, s23
	scratch_load_b128 v[74:77], v1, off offset:-16
	s_wait_loadcnt 0x1
	ds_store_2addr_b64 v0, v[70:71], v[72:73] offset1:1
	s_wait_loadcnt 0x0
	s_clause 0x1
	scratch_store_b128 off, v[74:77], s23
	scratch_store_b128 v1, v[70:73], off offset:-16
.LBB46_300:
	s_wait_xcnt 0x0
	v_mov_b32_e32 v1, 0
	global_load_b32 v70, v1, s[16:17] offset:172
	s_wait_loadcnt 0x0
	v_cmp_eq_u32_e32 vcc_lo, 44, v70
	s_cbranch_vccnz .LBB46_302
; %bb.301:
	v_lshlrev_b32_e32 v70, 4, v70
	s_delay_alu instid0(VALU_DEP_1)
	v_mov_b32_e32 v78, v70
	s_clause 0x1
	scratch_load_b128 v[70:73], off, s8
	scratch_load_b128 v[74:77], v78, off offset:-16
	s_wait_loadcnt 0x1
	ds_store_2addr_b64 v0, v[70:71], v[72:73] offset1:1
	s_wait_loadcnt 0x0
	s_clause 0x1
	scratch_store_b128 off, v[74:77], s8
	scratch_store_b128 v78, v[70:73], off offset:-16
.LBB46_302:
	global_load_b32 v1, v1, s[16:17] offset:168
	s_wait_loadcnt 0x0
	v_cmp_eq_u32_e32 vcc_lo, 43, v1
	s_cbranch_vccnz .LBB46_304
; %bb.303:
	s_wait_xcnt 0x0
	v_lshlrev_b32_e32 v1, 4, v1
	s_clause 0x1
	scratch_load_b128 v[70:73], off, s10
	scratch_load_b128 v[74:77], v1, off offset:-16
	s_wait_loadcnt 0x1
	ds_store_2addr_b64 v0, v[70:71], v[72:73] offset1:1
	s_wait_loadcnt 0x0
	s_clause 0x1
	scratch_store_b128 off, v[74:77], s10
	scratch_store_b128 v1, v[70:73], off offset:-16
.LBB46_304:
	s_wait_xcnt 0x0
	v_mov_b32_e32 v1, 0
	global_load_b32 v70, v1, s[16:17] offset:164
	s_wait_loadcnt 0x0
	v_cmp_eq_u32_e32 vcc_lo, 42, v70
	s_cbranch_vccnz .LBB46_306
; %bb.305:
	v_lshlrev_b32_e32 v70, 4, v70
	s_delay_alu instid0(VALU_DEP_1)
	v_mov_b32_e32 v78, v70
	s_clause 0x1
	scratch_load_b128 v[70:73], off, s9
	scratch_load_b128 v[74:77], v78, off offset:-16
	s_wait_loadcnt 0x1
	ds_store_2addr_b64 v0, v[70:71], v[72:73] offset1:1
	s_wait_loadcnt 0x0
	s_clause 0x1
	scratch_store_b128 off, v[74:77], s9
	scratch_store_b128 v78, v[70:73], off offset:-16
.LBB46_306:
	global_load_b32 v1, v1, s[16:17] offset:160
	s_wait_loadcnt 0x0
	v_cmp_eq_u32_e32 vcc_lo, 41, v1
	s_cbranch_vccnz .LBB46_308
; %bb.307:
	s_wait_xcnt 0x0
	v_lshlrev_b32_e32 v1, 4, v1
	s_clause 0x1
	scratch_load_b128 v[70:73], off, s12
	scratch_load_b128 v[74:77], v1, off offset:-16
	s_wait_loadcnt 0x1
	ds_store_2addr_b64 v0, v[70:71], v[72:73] offset1:1
	s_wait_loadcnt 0x0
	s_clause 0x1
	scratch_store_b128 off, v[74:77], s12
	scratch_store_b128 v1, v[70:73], off offset:-16
.LBB46_308:
	;; [unrolled: 37-line block ×21, first 2 shown]
	s_wait_xcnt 0x0
	v_mov_b32_e32 v1, 0
	global_load_b32 v70, v1, s[16:17] offset:4
	s_wait_loadcnt 0x0
	v_cmp_eq_u32_e32 vcc_lo, 2, v70
	s_cbranch_vccnz .LBB46_386
; %bb.385:
	v_lshlrev_b32_e32 v70, 4, v70
	s_delay_alu instid0(VALU_DEP_1)
	v_mov_b32_e32 v78, v70
	s_clause 0x1
	scratch_load_b128 v[70:73], off, s47
	scratch_load_b128 v[74:77], v78, off offset:-16
	s_wait_loadcnt 0x1
	ds_store_2addr_b64 v0, v[70:71], v[72:73] offset1:1
	s_wait_loadcnt 0x0
	s_clause 0x1
	scratch_store_b128 off, v[74:77], s47
	scratch_store_b128 v78, v[70:73], off offset:-16
.LBB46_386:
	global_load_b32 v1, v1, s[16:17]
	s_wait_loadcnt 0x0
	v_cmp_eq_u32_e32 vcc_lo, 1, v1
	s_cbranch_vccnz .LBB46_388
; %bb.387:
	s_wait_xcnt 0x0
	v_lshlrev_b32_e32 v1, 4, v1
	scratch_load_b128 v[70:73], off, off
	scratch_load_b128 v[74:77], v1, off offset:-16
	s_wait_loadcnt 0x1
	ds_store_2addr_b64 v0, v[70:71], v[72:73] offset1:1
	s_wait_loadcnt 0x0
	scratch_store_b128 off, v[74:77], off
	scratch_store_b128 v1, v[70:73], off offset:-16
.LBB46_388:
	scratch_load_b128 v[70:73], off, off
	s_clause 0x15
	scratch_load_b128 v[74:77], off, s47
	scratch_load_b128 v[78:81], off, s37
	;; [unrolled: 1-line block ×15, first 2 shown]
	; meta instruction
	; meta instruction
	;; [unrolled: 1-line block ×15, first 2 shown]
	scratch_load_b128 v[160:163], off, s38
	scratch_load_b128 v[164:167], off, s39
	;; [unrolled: 1-line block ×7, first 2 shown]
	s_wait_loadcnt 0x16
	global_store_b128 v[32:33], v[70:73], off
	s_clause 0x1
	scratch_load_b128 v[70:73], off, s35
	scratch_load_b128 v[188:191], off, s36
	s_wait_loadcnt 0x17
	global_store_b128 v[34:35], v[74:77], off
	s_wait_loadcnt 0x16
	global_store_b128 v[150:151], v[78:81], off
	s_clause 0x1
	scratch_load_b128 v[32:35], off, s33
	scratch_load_b128 v[74:77], off, s34
	s_wait_loadcnt 0x17
	global_store_b128 v[148:149], v[82:85], off
	s_clause 0x1
	scratch_load_b128 v[78:81], off, s30
	scratch_load_b128 v[82:85], off, s31
	s_wait_loadcnt 0x18
	global_store_b128 v[146:147], v[86:89], off
	s_clause 0x1
	scratch_load_b128 v[86:89], off, s28
	scratch_load_b128 v[146:149], off, s29
	s_wait_loadcnt 0x19
	global_store_b128 v[142:143], v[90:93], off
	s_wait_loadcnt 0x18
	global_store_b128 v[144:145], v[94:97], off
	s_clause 0x1
	scratch_load_b128 v[90:93], off, s26
	scratch_load_b128 v[94:97], off, s27
	s_wait_loadcnt 0x19
	global_store_b128 v[140:141], v[98:101], off
	s_clause 0x1
	scratch_load_b128 v[98:101], off, s24
	scratch_load_b128 v[140:143], off, s25
	;; [unrolled: 17-line block ×4, first 2 shown]
	s_wait_loadcnt 0x1e
	global_store_b128 v[2:3], v[160:163], off
	s_wait_loadcnt 0x1d
	global_store_b128 v[6:7], v[164:167], off
	s_wait_loadcnt 0x1c
	global_store_b128 v[8:9], v[168:171], off
	s_wait_loadcnt 0x1b
	global_store_b128 v[10:11], v[172:175], off
	s_wait_loadcnt 0x1a
	global_store_b128 v[12:13], v[176:179], off
	s_wait_loadcnt 0x19
	global_store_b128 v[14:15], v[180:183], off
	s_wait_loadcnt 0x18
	global_store_b128 v[16:17], v[184:187], off
	s_wait_loadcnt 0x17
	global_store_b128 v[18:19], v[70:73], off
	s_wait_loadcnt 0x16
	global_store_b128 v[20:21], v[188:191], off
	s_wait_loadcnt 0x15
	global_store_b128 v[22:23], v[32:35], off
	s_wait_loadcnt 0x14
	global_store_b128 v[24:25], v[74:77], off
	s_wait_loadcnt 0x13
	global_store_b128 v[26:27], v[78:81], off
	s_wait_loadcnt 0x12
	global_store_b128 v[28:29], v[82:85], off
	s_wait_loadcnt 0x11
	global_store_b128 v[30:31], v[86:89], off
	s_wait_loadcnt 0x10
	global_store_b128 v[36:37], v[146:149], off
	s_wait_loadcnt 0xf
	global_store_b128 v[38:39], v[90:93], off
	s_wait_loadcnt 0xe
	global_store_b128 v[40:41], v[94:97], off
	s_wait_loadcnt 0xd
	global_store_b128 v[42:43], v[98:101], off
	s_wait_loadcnt 0xc
	global_store_b128 v[44:45], v[140:143], off
	s_wait_loadcnt 0xb
	global_store_b128 v[46:47], v[102:105], off
	s_wait_loadcnt 0xa
	global_store_b128 v[48:49], v[192:195], off
	s_wait_loadcnt 0x9
	global_store_b128 v[50:51], v[106:109], off
	s_wait_loadcnt 0x8
	global_store_b128 v[52:53], v[110:113], off
	s_wait_loadcnt 0x7
	global_store_b128 v[54:55], v[114:117], off
	s_wait_loadcnt 0x6
	global_store_b128 v[56:57], v[132:135], off
	s_wait_loadcnt 0x5
	global_store_b128 v[58:59], v[118:121], off
	s_wait_loadcnt 0x4
	global_store_b128 v[60:61], v[136:139], off
	s_wait_loadcnt 0x3
	global_store_b128 v[62:63], v[122:125], off
	s_wait_loadcnt 0x2
	global_store_b128 v[64:65], v[126:129], off
	s_wait_loadcnt 0x1
	global_store_b128 v[66:67], v[150:153], off
	s_wait_loadcnt 0x0
	global_store_b128 v[68:69], v[154:157], off
	s_sendmsg sendmsg(MSG_DEALLOC_VGPRS)
	s_endpgm
	.section	.rodata,"a",@progbits
	.p2align	6, 0x0
	.amdhsa_kernel _ZN9rocsolver6v33100L18getri_kernel_smallILi47E19rocblas_complex_numIdEPS3_EEvT1_iilPiilS6_bb
		.amdhsa_group_segment_fixed_size 2536
		.amdhsa_private_segment_fixed_size 768
		.amdhsa_kernarg_size 60
		.amdhsa_user_sgpr_count 4
		.amdhsa_user_sgpr_dispatch_ptr 1
		.amdhsa_user_sgpr_queue_ptr 0
		.amdhsa_user_sgpr_kernarg_segment_ptr 1
		.amdhsa_user_sgpr_dispatch_id 0
		.amdhsa_user_sgpr_kernarg_preload_length 0
		.amdhsa_user_sgpr_kernarg_preload_offset 0
		.amdhsa_user_sgpr_private_segment_size 0
		.amdhsa_wavefront_size32 1
		.amdhsa_uses_dynamic_stack 0
		.amdhsa_enable_private_segment 1
		.amdhsa_system_sgpr_workgroup_id_x 1
		.amdhsa_system_sgpr_workgroup_id_y 0
		.amdhsa_system_sgpr_workgroup_id_z 0
		.amdhsa_system_sgpr_workgroup_info 0
		.amdhsa_system_vgpr_workitem_id 2
		.amdhsa_next_free_vgpr 198
		.amdhsa_next_free_sgpr 81
		.amdhsa_named_barrier_count 0
		.amdhsa_reserve_vcc 1
		.amdhsa_float_round_mode_32 0
		.amdhsa_float_round_mode_16_64 0
		.amdhsa_float_denorm_mode_32 3
		.amdhsa_float_denorm_mode_16_64 3
		.amdhsa_fp16_overflow 0
		.amdhsa_memory_ordered 1
		.amdhsa_forward_progress 1
		.amdhsa_inst_pref_size 255
		.amdhsa_round_robin_scheduling 0
		.amdhsa_exception_fp_ieee_invalid_op 0
		.amdhsa_exception_fp_denorm_src 0
		.amdhsa_exception_fp_ieee_div_zero 0
		.amdhsa_exception_fp_ieee_overflow 0
		.amdhsa_exception_fp_ieee_underflow 0
		.amdhsa_exception_fp_ieee_inexact 0
		.amdhsa_exception_int_div_zero 0
	.end_amdhsa_kernel
	.section	.text._ZN9rocsolver6v33100L18getri_kernel_smallILi47E19rocblas_complex_numIdEPS3_EEvT1_iilPiilS6_bb,"axG",@progbits,_ZN9rocsolver6v33100L18getri_kernel_smallILi47E19rocblas_complex_numIdEPS3_EEvT1_iilPiilS6_bb,comdat
.Lfunc_end46:
	.size	_ZN9rocsolver6v33100L18getri_kernel_smallILi47E19rocblas_complex_numIdEPS3_EEvT1_iilPiilS6_bb, .Lfunc_end46-_ZN9rocsolver6v33100L18getri_kernel_smallILi47E19rocblas_complex_numIdEPS3_EEvT1_iilPiilS6_bb
                                        ; -- End function
	.set _ZN9rocsolver6v33100L18getri_kernel_smallILi47E19rocblas_complex_numIdEPS3_EEvT1_iilPiilS6_bb.num_vgpr, 198
	.set _ZN9rocsolver6v33100L18getri_kernel_smallILi47E19rocblas_complex_numIdEPS3_EEvT1_iilPiilS6_bb.num_agpr, 0
	.set _ZN9rocsolver6v33100L18getri_kernel_smallILi47E19rocblas_complex_numIdEPS3_EEvT1_iilPiilS6_bb.numbered_sgpr, 81
	.set _ZN9rocsolver6v33100L18getri_kernel_smallILi47E19rocblas_complex_numIdEPS3_EEvT1_iilPiilS6_bb.num_named_barrier, 0
	.set _ZN9rocsolver6v33100L18getri_kernel_smallILi47E19rocblas_complex_numIdEPS3_EEvT1_iilPiilS6_bb.private_seg_size, 768
	.set _ZN9rocsolver6v33100L18getri_kernel_smallILi47E19rocblas_complex_numIdEPS3_EEvT1_iilPiilS6_bb.uses_vcc, 1
	.set _ZN9rocsolver6v33100L18getri_kernel_smallILi47E19rocblas_complex_numIdEPS3_EEvT1_iilPiilS6_bb.uses_flat_scratch, 1
	.set _ZN9rocsolver6v33100L18getri_kernel_smallILi47E19rocblas_complex_numIdEPS3_EEvT1_iilPiilS6_bb.has_dyn_sized_stack, 0
	.set _ZN9rocsolver6v33100L18getri_kernel_smallILi47E19rocblas_complex_numIdEPS3_EEvT1_iilPiilS6_bb.has_recursion, 0
	.set _ZN9rocsolver6v33100L18getri_kernel_smallILi47E19rocblas_complex_numIdEPS3_EEvT1_iilPiilS6_bb.has_indirect_call, 0
	.section	.AMDGPU.csdata,"",@progbits
; Kernel info:
; codeLenInByte = 85552
; TotalNumSgprs: 83
; NumVgprs: 198
; ScratchSize: 768
; MemoryBound: 0
; FloatMode: 240
; IeeeMode: 1
; LDSByteSize: 2536 bytes/workgroup (compile time only)
; SGPRBlocks: 0
; VGPRBlocks: 12
; NumSGPRsForWavesPerEU: 83
; NumVGPRsForWavesPerEU: 198
; NamedBarCnt: 0
; Occupancy: 4
; WaveLimiterHint : 1
; COMPUTE_PGM_RSRC2:SCRATCH_EN: 1
; COMPUTE_PGM_RSRC2:USER_SGPR: 4
; COMPUTE_PGM_RSRC2:TRAP_HANDLER: 0
; COMPUTE_PGM_RSRC2:TGID_X_EN: 1
; COMPUTE_PGM_RSRC2:TGID_Y_EN: 0
; COMPUTE_PGM_RSRC2:TGID_Z_EN: 0
; COMPUTE_PGM_RSRC2:TIDIG_COMP_CNT: 2
	.section	.text._ZN9rocsolver6v33100L18getri_kernel_smallILi48E19rocblas_complex_numIdEPS3_EEvT1_iilPiilS6_bb,"axG",@progbits,_ZN9rocsolver6v33100L18getri_kernel_smallILi48E19rocblas_complex_numIdEPS3_EEvT1_iilPiilS6_bb,comdat
	.globl	_ZN9rocsolver6v33100L18getri_kernel_smallILi48E19rocblas_complex_numIdEPS3_EEvT1_iilPiilS6_bb ; -- Begin function _ZN9rocsolver6v33100L18getri_kernel_smallILi48E19rocblas_complex_numIdEPS3_EEvT1_iilPiilS6_bb
	.p2align	8
	.type	_ZN9rocsolver6v33100L18getri_kernel_smallILi48E19rocblas_complex_numIdEPS3_EEvT1_iilPiilS6_bb,@function
_ZN9rocsolver6v33100L18getri_kernel_smallILi48E19rocblas_complex_numIdEPS3_EEvT1_iilPiilS6_bb: ; @_ZN9rocsolver6v33100L18getri_kernel_smallILi48E19rocblas_complex_numIdEPS3_EEvT1_iilPiilS6_bb
; %bb.0:
	v_and_b32_e32 v1, 0x3ff, v0
	s_mov_b32 s4, exec_lo
	s_delay_alu instid0(VALU_DEP_1)
	v_cmpx_gt_u32_e32 48, v1
	s_cbranch_execz .LBB47_206
; %bb.1:
	s_clause 0x2
	s_load_b32 s8, s[2:3], 0x38
	s_load_b128 s[12:15], s[2:3], 0x10
	s_load_b128 s[4:7], s[2:3], 0x28
	s_getreg_b32 s11, hwreg(HW_REG_IB_STS2, 6, 4)
                                        ; implicit-def: $sgpr16_sgpr17
	s_wait_kmcnt 0x0
	s_bitcmp1_b32 s8, 8
	s_cselect_b32 s60, -1, 0
	s_bfe_u32 s9, ttmp6, 0x4000c
	s_and_b32 s10, ttmp6, 15
	s_add_co_i32 s9, s9, 1
	s_delay_alu instid0(SALU_CYCLE_1) | instskip(NEXT) | instid1(SALU_CYCLE_1)
	s_mul_i32 s9, ttmp9, s9
	s_add_co_i32 s10, s10, s9
	s_cmp_eq_u32 s11, 0
	s_cselect_b32 s18, ttmp9, s10
	s_bfe_u32 s8, s8, 0x10008
	s_ashr_i32 s19, s18, 31
	s_cmp_eq_u32 s8, 0
	s_cbranch_scc1 .LBB47_3
; %bb.2:
	s_load_b32 s8, s[2:3], 0x20
	s_mul_u64 s[4:5], s[4:5], s[18:19]
	s_delay_alu instid0(SALU_CYCLE_1) | instskip(NEXT) | instid1(SALU_CYCLE_1)
	s_lshl_b64 s[4:5], s[4:5], 2
	s_add_nc_u64 s[4:5], s[14:15], s[4:5]
	s_wait_kmcnt 0x0
	s_ashr_i32 s9, s8, 31
	s_delay_alu instid0(SALU_CYCLE_1) | instskip(NEXT) | instid1(SALU_CYCLE_1)
	s_lshl_b64 s[8:9], s[8:9], 2
	s_add_nc_u64 s[16:17], s[4:5], s[8:9]
.LBB47_3:
	s_clause 0x1
	s_load_b128 s[8:11], s[2:3], 0x0
	s_load_b32 s61, s[2:3], 0x38
	s_wait_xcnt 0x0
	s_mul_u64 s[2:3], s[12:13], s[18:19]
	s_movk_i32 s44, 0x1b0
	s_lshl_b64 s[2:3], s[2:3], 4
	s_movk_i32 s62, 0x1c0
	s_movk_i32 s63, 0x1d0
	;; [unrolled: 1-line block ×15, first 2 shown]
	s_wait_kmcnt 0x0
	v_add3_u32 v28, s11, s11, v1
	s_ashr_i32 s5, s10, 31
	s_mov_b32 s4, s10
	s_add_nc_u64 s[2:3], s[8:9], s[2:3]
	s_lshl_b64 s[4:5], s[4:5], 4
	v_add_nc_u32_e32 v30, s11, v28
	s_add_nc_u64 s[4:5], s[2:3], s[4:5]
	s_ashr_i32 s3, s11, 31
	s_mov_b32 s2, s11
	global_load_b128 v[2:5], v28, s[4:5] scale_offset
	v_add_nc_u32_e32 v32, s11, v30
	s_movk_i32 s77, 0x2b0
	s_movk_i32 s78, 0x2c0
	;; [unrolled: 1-line block ×4, first 2 shown]
	v_add_nc_u32_e32 v34, s11, v32
	s_movk_i32 s81, 0x2f0
	s_mov_b32 s48, 16
	s_mov_b32 s45, 32
	;; [unrolled: 1-line block ×3, first 2 shown]
	v_add_nc_u32_e32 v36, s11, v34
	global_load_b128 v[6:9], v30, s[4:5] scale_offset
	s_mov_b32 s47, 64
	s_movk_i32 s51, 0x50
	s_movk_i32 s53, 0x60
	v_add_nc_u32_e32 v38, s11, v36
	s_movk_i32 s56, 0x70
	s_movk_i32 s49, 0x80
	;; [unrolled: 1-line block ×4, first 2 shown]
	v_add_nc_u32_e32 v40, s11, v38
	s_movk_i32 s55, 0xb0
	s_movk_i32 s57, 0xc0
	;; [unrolled: 1-line block ×4, first 2 shown]
	v_dual_add_nc_u32 v42, s11, v40 :: v_dual_lshlrev_b32 v14, 4, v1
	s_movk_i32 s54, 0xf0
	s_movk_i32 s38, 0x100
	;; [unrolled: 1-line block ×3, first 2 shown]
	s_delay_alu instid0(VALU_DEP_1) | instskip(SKIP_3) | instid1(VALU_DEP_1)
	v_dual_mov_b32 v15, 0 :: v_dual_add_nc_u32 v44, s11, v42
	s_movk_i32 s41, 0x120
	s_movk_i32 s42, 0x130
	;; [unrolled: 1-line block ×3, first 2 shown]
	v_add_nc_u32_e32 v46, s11, v44
	v_add_nc_u64_e32 v[24:25], s[4:5], v[14:15]
	s_movk_i32 s37, 0x150
	s_movk_i32 s39, 0x160
	;; [unrolled: 1-line block ×3, first 2 shown]
	v_add_nc_u32_e32 v48, s11, v46
	s_movk_i32 s36, 0x180
	s_movk_i32 s33, 0x190
	v_lshl_add_u64 v[26:27], s[2:3], 4, v[24:25]
	s_movk_i32 s34, 0x1a0
	v_add_nc_u32_e32 v50, s11, v48
	s_clause 0x6
	global_load_b128 v[10:13], v1, s[4:5] scale_offset
	global_load_b128 v[16:19], v[26:27], off
	global_load_b128 v[20:23], v32, s[4:5] scale_offset
	global_load_b128 v[104:107], v34, s[4:5] scale_offset
	;; [unrolled: 1-line block ×5, first 2 shown]
	v_add_nc_u32_e32 v52, s11, v50
	s_clause 0x2
	global_load_b128 v[120:123], v42, s[4:5] scale_offset
	global_load_b128 v[124:127], v44, s[4:5] scale_offset
	global_load_b128 v[128:131], v46, s[4:5] scale_offset
	s_mov_b32 s30, s44
	s_mov_b32 s31, s62
	;; [unrolled: 1-line block ×3, first 2 shown]
	v_add_nc_u32_e32 v54, s11, v52
	s_mov_b32 s28, s64
	s_mov_b32 s22, s65
	;; [unrolled: 1-line block ×4, first 2 shown]
	v_add_nc_u32_e32 v56, s11, v54
	s_clause 0x3
	global_load_b128 v[132:135], v48, s[4:5] scale_offset
	global_load_b128 v[136:139], v50, s[4:5] scale_offset
	;; [unrolled: 1-line block ×4, first 2 shown]
	s_mov_b32 s20, s68
	s_mov_b32 s12, s69
	v_add_nc_u32_e32 v58, s11, v56
	s_mov_b32 s13, s70
	s_mov_b32 s10, s71
	s_mov_b32 s8, s73
	s_mov_b32 s9, s74
	v_add_nc_u32_e32 v60, s11, v58
	s_mov_b32 s27, s75
	s_mov_b32 s29, s76
	;; [unrolled: 5-line block ×3, first 2 shown]
	s_mov_b32 s44, s81
	s_bitcmp0_b32 s61, 0
	v_add_nc_u32_e32 v64, s11, v62
	s_mov_b32 s3, -1
	s_delay_alu instid0(VALU_DEP_1)
	v_add_nc_u32_e32 v66, s11, v64
	s_clause 0x2
	global_load_b128 v[148:151], v56, s[4:5] scale_offset
	global_load_b128 v[152:155], v58, s[4:5] scale_offset
	global_load_b128 v[156:159], v60, s[4:5] scale_offset
	v_add_nc_u32_e32 v68, s11, v66
	s_clause 0x3
	global_load_b128 v[160:163], v62, s[4:5] scale_offset
	global_load_b128 v[164:167], v64, s[4:5] scale_offset
	;; [unrolled: 1-line block ×4, first 2 shown]
	v_add_nc_u32_e32 v70, s11, v68
	s_delay_alu instid0(VALU_DEP_1) | instskip(NEXT) | instid1(VALU_DEP_1)
	v_add_nc_u32_e32 v72, s11, v70
	v_add_nc_u32_e32 v74, s11, v72
	s_delay_alu instid0(VALU_DEP_1) | instskip(SKIP_2) | instid1(VALU_DEP_1)
	v_add_nc_u32_e32 v76, s11, v74
	global_load_b128 v[176:179], v70, s[4:5] scale_offset
	v_add_nc_u32_e32 v78, s11, v76
	v_add_nc_u32_e32 v80, s11, v78
	s_clause 0x1
	global_load_b128 v[180:183], v72, s[4:5] scale_offset
	global_load_b128 v[184:187], v74, s[4:5] scale_offset
	v_add_nc_u32_e32 v82, s11, v80
	s_delay_alu instid0(VALU_DEP_1) | instskip(NEXT) | instid1(VALU_DEP_1)
	v_add_nc_u32_e32 v84, s11, v82
	v_add_nc_u32_e32 v86, s11, v84
	s_delay_alu instid0(VALU_DEP_1) | instskip(NEXT) | instid1(VALU_DEP_1)
	v_add_nc_u32_e32 v88, s11, v86
	;; [unrolled: 3-line block ×5, first 2 shown]
	v_add_nc_u32_e32 v102, s11, v100
	s_wait_loadcnt 0x19
	scratch_store_b128 off, v[2:5], off offset:32
	s_clause 0x1
	global_load_b128 v[2:5], v76, s[4:5] scale_offset
	global_load_b128 v[188:191], v78, s[4:5] scale_offset
	s_wait_loadcnt 0x1a
	scratch_store_b128 off, v[6:9], off offset:48
	s_wait_loadcnt 0x19
	scratch_store_b128 off, v[10:13], off
	s_wait_loadcnt 0x18
	scratch_store_b128 off, v[16:19], off offset:16
	s_clause 0x1
	global_load_b128 v[6:9], v80, s[4:5] scale_offset
	global_load_b128 v[10:13], v82, s[4:5] scale_offset
	s_wait_loadcnt 0x19
	scratch_store_b128 off, v[20:23], off offset:64
	s_wait_loadcnt 0x18
	scratch_store_b128 off, v[104:107], off offset:80
	s_wait_xcnt 0x0
	v_add_nc_u32_e32 v104, s11, v102
	s_clause 0x1
	global_load_b128 v[16:19], v84, s[4:5] scale_offset
	global_load_b128 v[20:23], v86, s[4:5] scale_offset
	s_wait_loadcnt 0x19
	scratch_store_b128 off, v[108:111], off offset:96
	s_wait_loadcnt 0x18
	scratch_store_b128 off, v[112:115], off offset:112
	;; [unrolled: 2-line block ×3, first 2 shown]
	s_clause 0x1
	global_load_b128 v[192:195], v88, s[4:5] scale_offset
	global_load_b128 v[196:199], v90, s[4:5] scale_offset
	v_add_nc_u32_e32 v106, s11, v104
	s_wait_loadcnt 0x18
	scratch_store_b128 off, v[120:123], off offset:144
	s_wait_loadcnt 0x17
	scratch_store_b128 off, v[124:127], off offset:160
	s_clause 0x1
	global_load_b128 v[120:123], v92, s[4:5] scale_offset
	global_load_b128 v[124:127], v94, s[4:5] scale_offset
	s_wait_loadcnt 0x18
	scratch_store_b128 off, v[128:131], off offset:176
	s_wait_loadcnt 0x17
	scratch_store_b128 off, v[132:135], off offset:192
	s_wait_loadcnt 0x16
	scratch_store_b128 off, v[136:139], off offset:208
	v_add_nc_u32_e32 v108, s11, v106
	s_clause 0x1
	global_load_b128 v[128:131], v96, s[4:5] scale_offset
	global_load_b128 v[132:135], v98, s[4:5] scale_offset
	s_wait_loadcnt 0x17
	scratch_store_b128 off, v[140:143], off offset:224
	s_wait_loadcnt 0x16
	scratch_store_b128 off, v[144:147], off offset:240
	s_clause 0x1
	global_load_b128 v[136:139], v100, s[4:5] scale_offset
	global_load_b128 v[140:143], v102, s[4:5] scale_offset
	v_add_nc_u32_e32 v110, s11, v108
	s_delay_alu instid0(VALU_DEP_1) | instskip(NEXT) | instid1(VALU_DEP_1)
	v_add_nc_u32_e32 v112, s11, v110
	v_add_nc_u32_e32 v114, s11, v112
	s_delay_alu instid0(VALU_DEP_1)
	v_add_nc_u32_e32 v116, s11, v114
	s_wait_loadcnt 0x17
	scratch_store_b128 off, v[148:151], off offset:256
	s_wait_loadcnt 0x16
	scratch_store_b128 off, v[152:155], off offset:272
	;; [unrolled: 2-line block ×3, first 2 shown]
	v_add_nc_u32_e32 v118, s11, v116
	s_clause 0x1
	global_load_b128 v[144:147], v104, s[4:5] scale_offset
	global_load_b128 v[148:151], v106, s[4:5] scale_offset
	s_mov_b32 s11, s72
	s_wait_loadcnt 0x16
	scratch_store_b128 off, v[160:163], off offset:304
	s_wait_loadcnt 0x15
	scratch_store_b128 off, v[164:167], off offset:320
	s_clause 0x1
	global_load_b128 v[152:155], v108, s[4:5] scale_offset
	global_load_b128 v[156:159], v110, s[4:5] scale_offset
	s_wait_loadcnt 0x16
	scratch_store_b128 off, v[168:171], off offset:336
	s_wait_loadcnt 0x15
	scratch_store_b128 off, v[172:175], off offset:352
	s_clause 0x1
	global_load_b128 v[160:163], v112, s[4:5] scale_offset
	global_load_b128 v[164:167], v114, s[4:5] scale_offset
	s_wait_loadcnt 0x16
	scratch_store_b128 off, v[176:179], off offset:368
	s_wait_loadcnt 0x15
	scratch_store_b128 off, v[180:183], off offset:384
	;; [unrolled: 2-line block ×3, first 2 shown]
	s_clause 0x1
	global_load_b128 v[168:171], v116, s[4:5] scale_offset
	global_load_b128 v[172:175], v118, s[4:5] scale_offset
	s_wait_loadcnt 0x15
	scratch_store_b128 off, v[2:5], off offset:416
	s_wait_loadcnt 0x14
	scratch_store_b128 off, v[188:191], off offset:432
	;; [unrolled: 2-line block ×22, first 2 shown]
	s_cbranch_scc1 .LBB47_204
; %bb.4:
	v_cmp_eq_u32_e64 s2, 0, v1
	s_wait_xcnt 0x0
	s_and_saveexec_b32 s3, s2
; %bb.5:
	v_mov_b32_e32 v2, 0
	ds_store_b32 v2, v2 offset:1536
; %bb.6:
	s_or_b32 exec_lo, exec_lo, s3
	s_wait_storecnt_dscnt 0x0
	s_barrier_signal -1
	s_barrier_wait -1
	scratch_load_b128 v[2:5], v1, off scale_offset
	s_wait_loadcnt 0x0
	v_cmp_eq_f64_e32 vcc_lo, 0, v[2:3]
	v_cmp_eq_f64_e64 s3, 0, v[4:5]
	s_and_b32 s3, vcc_lo, s3
	s_delay_alu instid0(SALU_CYCLE_1)
	s_and_saveexec_b32 s61, s3
	s_cbranch_execz .LBB47_10
; %bb.7:
	v_mov_b32_e32 v2, 0
	s_mov_b32 s62, 0
	ds_load_b32 v3, v2 offset:1536
	s_wait_dscnt 0x0
	v_readfirstlane_b32 s3, v3
	v_add_nc_u32_e32 v3, 1, v1
	s_cmp_eq_u32 s3, 0
	s_delay_alu instid0(VALU_DEP_1) | instskip(SKIP_1) | instid1(SALU_CYCLE_1)
	v_cmp_gt_i32_e32 vcc_lo, s3, v3
	s_cselect_b32 s63, -1, 0
	s_or_b32 s63, s63, vcc_lo
	s_delay_alu instid0(SALU_CYCLE_1)
	s_and_b32 exec_lo, exec_lo, s63
	s_cbranch_execz .LBB47_10
; %bb.8:
	v_mov_b32_e32 v4, s3
.LBB47_9:                               ; =>This Inner Loop Header: Depth=1
	ds_cmpstore_rtn_b32 v4, v2, v3, v4 offset:1536
	s_wait_dscnt 0x0
	v_cmp_ne_u32_e32 vcc_lo, 0, v4
	v_cmp_le_i32_e64 s3, v4, v3
	s_and_b32 s3, vcc_lo, s3
	s_delay_alu instid0(SALU_CYCLE_1) | instskip(NEXT) | instid1(SALU_CYCLE_1)
	s_and_b32 s3, exec_lo, s3
	s_or_b32 s62, s3, s62
	s_delay_alu instid0(SALU_CYCLE_1)
	s_and_not1_b32 exec_lo, exec_lo, s62
	s_cbranch_execnz .LBB47_9
.LBB47_10:
	s_or_b32 exec_lo, exec_lo, s61
	v_mov_b32_e32 v2, 0
	s_barrier_signal -1
	s_barrier_wait -1
	ds_load_b32 v3, v2 offset:1536
	s_and_saveexec_b32 s3, s2
	s_cbranch_execz .LBB47_12
; %bb.11:
	s_lshl_b64 s[62:63], s[18:19], 2
	s_delay_alu instid0(SALU_CYCLE_1)
	s_add_nc_u64 s[62:63], s[6:7], s[62:63]
	s_wait_dscnt 0x0
	global_store_b32 v2, v3, s[62:63]
.LBB47_12:
	s_wait_xcnt 0x0
	s_or_b32 exec_lo, exec_lo, s3
	s_wait_dscnt 0x0
	v_cmp_ne_u32_e32 vcc_lo, 0, v3
	s_mov_b32 s3, 0
	s_cbranch_vccnz .LBB47_204
; %bb.13:
	v_lshl_add_u32 v15, v1, 4, 0
                                        ; implicit-def: $vgpr6_vgpr7
                                        ; implicit-def: $vgpr10_vgpr11
	scratch_load_b128 v[2:5], v15, off
	s_wait_loadcnt 0x0
	v_cmp_ngt_f64_e64 s3, |v[2:3]|, |v[4:5]|
	s_wait_xcnt 0x0
	s_and_saveexec_b32 s61, s3
	s_delay_alu instid0(SALU_CYCLE_1)
	s_xor_b32 s3, exec_lo, s61
	s_cbranch_execz .LBB47_15
; %bb.14:
	v_div_scale_f64 v[6:7], null, v[4:5], v[4:5], v[2:3]
	v_div_scale_f64 v[12:13], vcc_lo, v[2:3], v[4:5], v[2:3]
	s_delay_alu instid0(VALU_DEP_2) | instskip(SKIP_1) | instid1(TRANS32_DEP_1)
	v_rcp_f64_e32 v[8:9], v[6:7]
	v_nop
	v_fma_f64 v[10:11], -v[6:7], v[8:9], 1.0
	s_delay_alu instid0(VALU_DEP_1) | instskip(NEXT) | instid1(VALU_DEP_1)
	v_fmac_f64_e32 v[8:9], v[8:9], v[10:11]
	v_fma_f64 v[10:11], -v[6:7], v[8:9], 1.0
	s_delay_alu instid0(VALU_DEP_1) | instskip(NEXT) | instid1(VALU_DEP_1)
	v_fmac_f64_e32 v[8:9], v[8:9], v[10:11]
	v_mul_f64_e32 v[10:11], v[12:13], v[8:9]
	s_delay_alu instid0(VALU_DEP_1) | instskip(NEXT) | instid1(VALU_DEP_1)
	v_fma_f64 v[6:7], -v[6:7], v[10:11], v[12:13]
	v_div_fmas_f64 v[6:7], v[6:7], v[8:9], v[10:11]
	s_delay_alu instid0(VALU_DEP_1) | instskip(NEXT) | instid1(VALU_DEP_1)
	v_div_fixup_f64 v[6:7], v[6:7], v[4:5], v[2:3]
	v_fmac_f64_e32 v[4:5], v[2:3], v[6:7]
	s_delay_alu instid0(VALU_DEP_1) | instskip(SKIP_1) | instid1(VALU_DEP_2)
	v_div_scale_f64 v[2:3], null, v[4:5], v[4:5], 1.0
	v_div_scale_f64 v[12:13], vcc_lo, 1.0, v[4:5], 1.0
	v_rcp_f64_e32 v[8:9], v[2:3]
	v_nop
	s_delay_alu instid0(TRANS32_DEP_1) | instskip(NEXT) | instid1(VALU_DEP_1)
	v_fma_f64 v[10:11], -v[2:3], v[8:9], 1.0
	v_fmac_f64_e32 v[8:9], v[8:9], v[10:11]
	s_delay_alu instid0(VALU_DEP_1) | instskip(NEXT) | instid1(VALU_DEP_1)
	v_fma_f64 v[10:11], -v[2:3], v[8:9], 1.0
	v_fmac_f64_e32 v[8:9], v[8:9], v[10:11]
	s_delay_alu instid0(VALU_DEP_1) | instskip(NEXT) | instid1(VALU_DEP_1)
	v_mul_f64_e32 v[10:11], v[12:13], v[8:9]
	v_fma_f64 v[2:3], -v[2:3], v[10:11], v[12:13]
	s_delay_alu instid0(VALU_DEP_1) | instskip(NEXT) | instid1(VALU_DEP_1)
	v_div_fmas_f64 v[2:3], v[2:3], v[8:9], v[10:11]
	v_div_fixup_f64 v[8:9], v[2:3], v[4:5], 1.0
                                        ; implicit-def: $vgpr2_vgpr3
	s_delay_alu instid0(VALU_DEP_1) | instskip(SKIP_1) | instid1(VALU_DEP_2)
	v_mul_f64_e32 v[6:7], v[6:7], v[8:9]
	v_xor_b32_e32 v9, 0x80000000, v9
	v_xor_b32_e32 v11, 0x80000000, v7
	s_delay_alu instid0(VALU_DEP_3)
	v_mov_b32_e32 v10, v6
.LBB47_15:
	s_and_not1_saveexec_b32 s3, s3
	s_cbranch_execz .LBB47_17
; %bb.16:
	v_div_scale_f64 v[6:7], null, v[2:3], v[2:3], v[4:5]
	v_div_scale_f64 v[12:13], vcc_lo, v[4:5], v[2:3], v[4:5]
	s_delay_alu instid0(VALU_DEP_2) | instskip(SKIP_1) | instid1(TRANS32_DEP_1)
	v_rcp_f64_e32 v[8:9], v[6:7]
	v_nop
	v_fma_f64 v[10:11], -v[6:7], v[8:9], 1.0
	s_delay_alu instid0(VALU_DEP_1) | instskip(NEXT) | instid1(VALU_DEP_1)
	v_fmac_f64_e32 v[8:9], v[8:9], v[10:11]
	v_fma_f64 v[10:11], -v[6:7], v[8:9], 1.0
	s_delay_alu instid0(VALU_DEP_1) | instskip(NEXT) | instid1(VALU_DEP_1)
	v_fmac_f64_e32 v[8:9], v[8:9], v[10:11]
	v_mul_f64_e32 v[10:11], v[12:13], v[8:9]
	s_delay_alu instid0(VALU_DEP_1) | instskip(NEXT) | instid1(VALU_DEP_1)
	v_fma_f64 v[6:7], -v[6:7], v[10:11], v[12:13]
	v_div_fmas_f64 v[6:7], v[6:7], v[8:9], v[10:11]
	s_delay_alu instid0(VALU_DEP_1) | instskip(NEXT) | instid1(VALU_DEP_1)
	v_div_fixup_f64 v[8:9], v[6:7], v[2:3], v[4:5]
	v_fmac_f64_e32 v[2:3], v[4:5], v[8:9]
	s_delay_alu instid0(VALU_DEP_1) | instskip(NEXT) | instid1(VALU_DEP_1)
	v_div_scale_f64 v[4:5], null, v[2:3], v[2:3], 1.0
	v_rcp_f64_e32 v[6:7], v[4:5]
	v_nop
	s_delay_alu instid0(TRANS32_DEP_1) | instskip(NEXT) | instid1(VALU_DEP_1)
	v_fma_f64 v[10:11], -v[4:5], v[6:7], 1.0
	v_fmac_f64_e32 v[6:7], v[6:7], v[10:11]
	s_delay_alu instid0(VALU_DEP_1) | instskip(NEXT) | instid1(VALU_DEP_1)
	v_fma_f64 v[10:11], -v[4:5], v[6:7], 1.0
	v_fmac_f64_e32 v[6:7], v[6:7], v[10:11]
	v_div_scale_f64 v[10:11], vcc_lo, 1.0, v[2:3], 1.0
	s_delay_alu instid0(VALU_DEP_1) | instskip(NEXT) | instid1(VALU_DEP_1)
	v_mul_f64_e32 v[12:13], v[10:11], v[6:7]
	v_fma_f64 v[4:5], -v[4:5], v[12:13], v[10:11]
	s_delay_alu instid0(VALU_DEP_1) | instskip(NEXT) | instid1(VALU_DEP_1)
	v_div_fmas_f64 v[4:5], v[4:5], v[6:7], v[12:13]
	v_div_fixup_f64 v[6:7], v[4:5], v[2:3], 1.0
	s_delay_alu instid0(VALU_DEP_1)
	v_mul_f64_e64 v[8:9], v[8:9], -v[6:7]
	v_xor_b32_e32 v11, 0x80000000, v7
	v_mov_b32_e32 v10, v6
.LBB47_17:
	s_or_b32 exec_lo, exec_lo, s3
	s_clause 0x1
	scratch_store_b128 v15, v[6:9], off
	scratch_load_b128 v[2:5], off, s48
	v_xor_b32_e32 v13, 0x80000000, v9
	v_mov_b32_e32 v12, v8
	s_wait_xcnt 0x1
	v_add_nc_u32_e32 v6, 0x300, v14
	ds_store_b128 v14, v[10:13]
	s_wait_loadcnt 0x0
	ds_store_b128 v14, v[2:5] offset:768
	s_wait_storecnt_dscnt 0x0
	s_barrier_signal -1
	s_barrier_wait -1
	s_wait_xcnt 0x0
	s_and_saveexec_b32 s3, s2
	s_cbranch_execz .LBB47_19
; %bb.18:
	scratch_load_b128 v[2:5], v15, off
	ds_load_b128 v[8:11], v6
	v_mov_b32_e32 v7, 0
	ds_load_b128 v[16:19], v7 offset:16
	s_wait_loadcnt_dscnt 0x1
	v_mul_f64_e32 v[12:13], v[8:9], v[4:5]
	v_mul_f64_e32 v[4:5], v[10:11], v[4:5]
	s_delay_alu instid0(VALU_DEP_2) | instskip(NEXT) | instid1(VALU_DEP_2)
	v_fmac_f64_e32 v[12:13], v[10:11], v[2:3]
	v_fma_f64 v[2:3], v[8:9], v[2:3], -v[4:5]
	s_delay_alu instid0(VALU_DEP_2) | instskip(NEXT) | instid1(VALU_DEP_2)
	v_add_f64_e32 v[8:9], 0, v[12:13]
	v_add_f64_e32 v[2:3], 0, v[2:3]
	s_wait_dscnt 0x0
	s_delay_alu instid0(VALU_DEP_2) | instskip(NEXT) | instid1(VALU_DEP_2)
	v_mul_f64_e32 v[10:11], v[8:9], v[18:19]
	v_mul_f64_e32 v[4:5], v[2:3], v[18:19]
	s_delay_alu instid0(VALU_DEP_2) | instskip(NEXT) | instid1(VALU_DEP_2)
	v_fma_f64 v[2:3], v[2:3], v[16:17], -v[10:11]
	v_fmac_f64_e32 v[4:5], v[8:9], v[16:17]
	scratch_store_b128 off, v[2:5], off offset:16
.LBB47_19:
	s_wait_xcnt 0x0
	s_or_b32 exec_lo, exec_lo, s3
	s_wait_storecnt 0x0
	s_barrier_signal -1
	s_barrier_wait -1
	scratch_load_b128 v[2:5], off, s45
	s_mov_b32 s3, exec_lo
	s_wait_loadcnt 0x0
	ds_store_b128 v6, v[2:5]
	s_wait_dscnt 0x0
	s_barrier_signal -1
	s_barrier_wait -1
	v_cmpx_gt_u32_e32 2, v1
	s_cbranch_execz .LBB47_23
; %bb.20:
	scratch_load_b128 v[2:5], v15, off
	ds_load_b128 v[8:11], v6
	s_wait_loadcnt_dscnt 0x0
	v_mul_f64_e32 v[12:13], v[10:11], v[4:5]
	v_mul_f64_e32 v[16:17], v[8:9], v[4:5]
	s_delay_alu instid0(VALU_DEP_2) | instskip(NEXT) | instid1(VALU_DEP_2)
	v_fma_f64 v[4:5], v[8:9], v[2:3], -v[12:13]
	v_fmac_f64_e32 v[16:17], v[10:11], v[2:3]
	s_delay_alu instid0(VALU_DEP_2) | instskip(NEXT) | instid1(VALU_DEP_2)
	v_add_f64_e32 v[4:5], 0, v[4:5]
	v_add_f64_e32 v[2:3], 0, v[16:17]
	s_and_saveexec_b32 s61, s2
	s_cbranch_execz .LBB47_22
; %bb.21:
	scratch_load_b128 v[8:11], off, off offset:16
	v_mov_b32_e32 v7, 0
	ds_load_b128 v[16:19], v7 offset:784
	s_wait_loadcnt_dscnt 0x0
	v_mul_f64_e32 v[12:13], v[16:17], v[10:11]
	v_mul_f64_e32 v[10:11], v[18:19], v[10:11]
	s_delay_alu instid0(VALU_DEP_2) | instskip(NEXT) | instid1(VALU_DEP_2)
	v_fmac_f64_e32 v[12:13], v[18:19], v[8:9]
	v_fma_f64 v[8:9], v[16:17], v[8:9], -v[10:11]
	s_delay_alu instid0(VALU_DEP_2) | instskip(NEXT) | instid1(VALU_DEP_2)
	v_add_f64_e32 v[2:3], v[2:3], v[12:13]
	v_add_f64_e32 v[4:5], v[4:5], v[8:9]
.LBB47_22:
	s_or_b32 exec_lo, exec_lo, s61
	v_mov_b32_e32 v7, 0
	ds_load_b128 v[8:11], v7 offset:32
	s_wait_dscnt 0x0
	v_mul_f64_e32 v[16:17], v[2:3], v[10:11]
	v_mul_f64_e32 v[12:13], v[4:5], v[10:11]
	s_delay_alu instid0(VALU_DEP_2) | instskip(NEXT) | instid1(VALU_DEP_2)
	v_fma_f64 v[10:11], v[4:5], v[8:9], -v[16:17]
	v_fmac_f64_e32 v[12:13], v[2:3], v[8:9]
	scratch_store_b128 off, v[10:13], off offset:32
.LBB47_23:
	s_wait_xcnt 0x0
	s_or_b32 exec_lo, exec_lo, s3
	s_wait_storecnt 0x0
	s_barrier_signal -1
	s_barrier_wait -1
	scratch_load_b128 v[2:5], off, s46
	v_add_nc_u32_e32 v7, -1, v1
	s_mov_b32 s2, exec_lo
	s_wait_loadcnt 0x0
	ds_store_b128 v6, v[2:5]
	s_wait_dscnt 0x0
	s_barrier_signal -1
	s_barrier_wait -1
	v_cmpx_gt_u32_e32 3, v1
	s_cbranch_execz .LBB47_27
; %bb.24:
	v_dual_mov_b32 v10, v14 :: v_dual_add_nc_u32 v8, -1, v1
	v_mov_b64_e32 v[2:3], 0
	v_mov_b64_e32 v[4:5], 0
	v_add_nc_u32_e32 v9, 0x300, v14
	s_delay_alu instid0(VALU_DEP_4)
	v_or_b32_e32 v10, 8, v10
	s_mov_b32 s3, 0
.LBB47_25:                              ; =>This Inner Loop Header: Depth=1
	scratch_load_b128 v[16:19], v10, off offset:-8
	ds_load_b128 v[20:23], v9
	v_dual_add_nc_u32 v8, 1, v8 :: v_dual_add_nc_u32 v9, 16, v9
	s_wait_xcnt 0x0
	v_add_nc_u32_e32 v10, 16, v10
	s_delay_alu instid0(VALU_DEP_2) | instskip(SKIP_4) | instid1(VALU_DEP_2)
	v_cmp_lt_u32_e32 vcc_lo, 1, v8
	s_or_b32 s3, vcc_lo, s3
	s_wait_loadcnt_dscnt 0x0
	v_mul_f64_e32 v[12:13], v[22:23], v[18:19]
	v_mul_f64_e32 v[18:19], v[20:21], v[18:19]
	v_fma_f64 v[12:13], v[20:21], v[16:17], -v[12:13]
	s_delay_alu instid0(VALU_DEP_2) | instskip(NEXT) | instid1(VALU_DEP_2)
	v_fmac_f64_e32 v[18:19], v[22:23], v[16:17]
	v_add_f64_e32 v[4:5], v[4:5], v[12:13]
	s_delay_alu instid0(VALU_DEP_2)
	v_add_f64_e32 v[2:3], v[2:3], v[18:19]
	s_and_not1_b32 exec_lo, exec_lo, s3
	s_cbranch_execnz .LBB47_25
; %bb.26:
	s_or_b32 exec_lo, exec_lo, s3
	v_mov_b32_e32 v8, 0
	ds_load_b128 v[8:11], v8 offset:48
	s_wait_dscnt 0x0
	v_mul_f64_e32 v[16:17], v[2:3], v[10:11]
	v_mul_f64_e32 v[12:13], v[4:5], v[10:11]
	s_delay_alu instid0(VALU_DEP_2) | instskip(NEXT) | instid1(VALU_DEP_2)
	v_fma_f64 v[10:11], v[4:5], v[8:9], -v[16:17]
	v_fmac_f64_e32 v[12:13], v[2:3], v[8:9]
	scratch_store_b128 off, v[10:13], off offset:48
.LBB47_27:
	s_wait_xcnt 0x0
	s_or_b32 exec_lo, exec_lo, s2
	s_wait_storecnt 0x0
	s_barrier_signal -1
	s_barrier_wait -1
	scratch_load_b128 v[2:5], off, s47
	s_mov_b32 s2, exec_lo
	s_wait_loadcnt 0x0
	ds_store_b128 v6, v[2:5]
	s_wait_dscnt 0x0
	s_barrier_signal -1
	s_barrier_wait -1
	v_cmpx_gt_u32_e32 4, v1
	s_cbranch_execz .LBB47_31
; %bb.28:
	v_dual_mov_b32 v10, v14 :: v_dual_add_nc_u32 v8, -1, v1
	v_mov_b64_e32 v[2:3], 0
	v_mov_b64_e32 v[4:5], 0
	v_add_nc_u32_e32 v9, 0x300, v14
	s_delay_alu instid0(VALU_DEP_4)
	v_or_b32_e32 v10, 8, v10
	s_mov_b32 s3, 0
.LBB47_29:                              ; =>This Inner Loop Header: Depth=1
	scratch_load_b128 v[16:19], v10, off offset:-8
	ds_load_b128 v[20:23], v9
	v_dual_add_nc_u32 v8, 1, v8 :: v_dual_add_nc_u32 v9, 16, v9
	s_wait_xcnt 0x0
	v_add_nc_u32_e32 v10, 16, v10
	s_delay_alu instid0(VALU_DEP_2) | instskip(SKIP_4) | instid1(VALU_DEP_2)
	v_cmp_lt_u32_e32 vcc_lo, 2, v8
	s_or_b32 s3, vcc_lo, s3
	s_wait_loadcnt_dscnt 0x0
	v_mul_f64_e32 v[12:13], v[22:23], v[18:19]
	v_mul_f64_e32 v[18:19], v[20:21], v[18:19]
	v_fma_f64 v[12:13], v[20:21], v[16:17], -v[12:13]
	s_delay_alu instid0(VALU_DEP_2) | instskip(NEXT) | instid1(VALU_DEP_2)
	v_fmac_f64_e32 v[18:19], v[22:23], v[16:17]
	v_add_f64_e32 v[4:5], v[4:5], v[12:13]
	s_delay_alu instid0(VALU_DEP_2)
	v_add_f64_e32 v[2:3], v[2:3], v[18:19]
	s_and_not1_b32 exec_lo, exec_lo, s3
	s_cbranch_execnz .LBB47_29
; %bb.30:
	s_or_b32 exec_lo, exec_lo, s3
	v_mov_b32_e32 v8, 0
	ds_load_b128 v[8:11], v8 offset:64
	s_wait_dscnt 0x0
	v_mul_f64_e32 v[16:17], v[2:3], v[10:11]
	v_mul_f64_e32 v[12:13], v[4:5], v[10:11]
	s_delay_alu instid0(VALU_DEP_2) | instskip(NEXT) | instid1(VALU_DEP_2)
	v_fma_f64 v[10:11], v[4:5], v[8:9], -v[16:17]
	v_fmac_f64_e32 v[12:13], v[2:3], v[8:9]
	scratch_store_b128 off, v[10:13], off offset:64
.LBB47_31:
	s_wait_xcnt 0x0
	s_or_b32 exec_lo, exec_lo, s2
	s_wait_storecnt 0x0
	s_barrier_signal -1
	s_barrier_wait -1
	scratch_load_b128 v[2:5], off, s51
	;; [unrolled: 54-line block ×19, first 2 shown]
	s_mov_b32 s2, exec_lo
	s_wait_loadcnt 0x0
	ds_store_b128 v6, v[2:5]
	s_wait_dscnt 0x0
	s_barrier_signal -1
	s_barrier_wait -1
	v_cmpx_gt_u32_e32 22, v1
	s_cbranch_execz .LBB47_103
; %bb.100:
	v_dual_mov_b32 v10, v14 :: v_dual_add_nc_u32 v8, -1, v1
	v_mov_b64_e32 v[2:3], 0
	v_mov_b64_e32 v[4:5], 0
	v_add_nc_u32_e32 v9, 0x300, v14
	s_delay_alu instid0(VALU_DEP_4)
	v_or_b32_e32 v10, 8, v10
	s_mov_b32 s3, 0
.LBB47_101:                             ; =>This Inner Loop Header: Depth=1
	scratch_load_b128 v[16:19], v10, off offset:-8
	ds_load_b128 v[20:23], v9
	v_dual_add_nc_u32 v8, 1, v8 :: v_dual_add_nc_u32 v9, 16, v9
	s_wait_xcnt 0x0
	v_add_nc_u32_e32 v10, 16, v10
	s_delay_alu instid0(VALU_DEP_2) | instskip(SKIP_4) | instid1(VALU_DEP_2)
	v_cmp_lt_u32_e32 vcc_lo, 20, v8
	s_or_b32 s3, vcc_lo, s3
	s_wait_loadcnt_dscnt 0x0
	v_mul_f64_e32 v[12:13], v[22:23], v[18:19]
	v_mul_f64_e32 v[18:19], v[20:21], v[18:19]
	v_fma_f64 v[12:13], v[20:21], v[16:17], -v[12:13]
	s_delay_alu instid0(VALU_DEP_2) | instskip(NEXT) | instid1(VALU_DEP_2)
	v_fmac_f64_e32 v[18:19], v[22:23], v[16:17]
	v_add_f64_e32 v[4:5], v[4:5], v[12:13]
	s_delay_alu instid0(VALU_DEP_2)
	v_add_f64_e32 v[2:3], v[2:3], v[18:19]
	s_and_not1_b32 exec_lo, exec_lo, s3
	s_cbranch_execnz .LBB47_101
; %bb.102:
	s_or_b32 exec_lo, exec_lo, s3
	v_mov_b32_e32 v8, 0
	ds_load_b128 v[8:11], v8 offset:352
	s_wait_dscnt 0x0
	v_mul_f64_e32 v[16:17], v[2:3], v[10:11]
	v_mul_f64_e32 v[12:13], v[4:5], v[10:11]
	s_delay_alu instid0(VALU_DEP_2) | instskip(NEXT) | instid1(VALU_DEP_2)
	v_fma_f64 v[10:11], v[4:5], v[8:9], -v[16:17]
	v_fmac_f64_e32 v[12:13], v[2:3], v[8:9]
	scratch_store_b128 off, v[10:13], off offset:352
.LBB47_103:
	s_wait_xcnt 0x0
	s_or_b32 exec_lo, exec_lo, s2
	s_wait_storecnt 0x0
	s_barrier_signal -1
	s_barrier_wait -1
	scratch_load_b128 v[2:5], off, s35
	s_mov_b32 s2, exec_lo
	s_wait_loadcnt 0x0
	ds_store_b128 v6, v[2:5]
	s_wait_dscnt 0x0
	s_barrier_signal -1
	s_barrier_wait -1
	v_cmpx_gt_u32_e32 23, v1
	s_cbranch_execz .LBB47_107
; %bb.104:
	v_dual_mov_b32 v10, v14 :: v_dual_add_nc_u32 v8, -1, v1
	v_mov_b64_e32 v[2:3], 0
	v_mov_b64_e32 v[4:5], 0
	v_add_nc_u32_e32 v9, 0x300, v14
	s_delay_alu instid0(VALU_DEP_4)
	v_or_b32_e32 v10, 8, v10
	s_mov_b32 s3, 0
.LBB47_105:                             ; =>This Inner Loop Header: Depth=1
	scratch_load_b128 v[16:19], v10, off offset:-8
	ds_load_b128 v[20:23], v9
	v_dual_add_nc_u32 v8, 1, v8 :: v_dual_add_nc_u32 v9, 16, v9
	s_wait_xcnt 0x0
	v_add_nc_u32_e32 v10, 16, v10
	s_delay_alu instid0(VALU_DEP_2) | instskip(SKIP_4) | instid1(VALU_DEP_2)
	v_cmp_lt_u32_e32 vcc_lo, 21, v8
	s_or_b32 s3, vcc_lo, s3
	s_wait_loadcnt_dscnt 0x0
	v_mul_f64_e32 v[12:13], v[22:23], v[18:19]
	v_mul_f64_e32 v[18:19], v[20:21], v[18:19]
	v_fma_f64 v[12:13], v[20:21], v[16:17], -v[12:13]
	s_delay_alu instid0(VALU_DEP_2) | instskip(NEXT) | instid1(VALU_DEP_2)
	v_fmac_f64_e32 v[18:19], v[22:23], v[16:17]
	v_add_f64_e32 v[4:5], v[4:5], v[12:13]
	s_delay_alu instid0(VALU_DEP_2)
	v_add_f64_e32 v[2:3], v[2:3], v[18:19]
	s_and_not1_b32 exec_lo, exec_lo, s3
	s_cbranch_execnz .LBB47_105
; %bb.106:
	s_or_b32 exec_lo, exec_lo, s3
	v_mov_b32_e32 v8, 0
	ds_load_b128 v[8:11], v8 offset:368
	s_wait_dscnt 0x0
	v_mul_f64_e32 v[16:17], v[2:3], v[10:11]
	v_mul_f64_e32 v[12:13], v[4:5], v[10:11]
	s_delay_alu instid0(VALU_DEP_2) | instskip(NEXT) | instid1(VALU_DEP_2)
	v_fma_f64 v[10:11], v[4:5], v[8:9], -v[16:17]
	v_fmac_f64_e32 v[12:13], v[2:3], v[8:9]
	scratch_store_b128 off, v[10:13], off offset:368
.LBB47_107:
	s_wait_xcnt 0x0
	s_or_b32 exec_lo, exec_lo, s2
	s_wait_storecnt 0x0
	s_barrier_signal -1
	s_barrier_wait -1
	scratch_load_b128 v[2:5], off, s36
	;; [unrolled: 54-line block ×25, first 2 shown]
	s_mov_b32 s2, exec_lo
	s_wait_loadcnt 0x0
	ds_store_b128 v6, v[2:5]
	s_wait_dscnt 0x0
	s_barrier_signal -1
	s_barrier_wait -1
	v_cmpx_ne_u32_e32 47, v1
	s_cbranch_execz .LBB47_203
; %bb.200:
	v_mov_b32_e32 v8, v14
	v_mov_b64_e32 v[2:3], 0
	v_mov_b64_e32 v[4:5], 0
	s_mov_b32 s3, 0
	s_delay_alu instid0(VALU_DEP_3)
	v_or_b32_e32 v8, 8, v8
.LBB47_201:                             ; =>This Inner Loop Header: Depth=1
	scratch_load_b128 v[10:13], v8, off offset:-8
	ds_load_b128 v[14:17], v6
	v_dual_add_nc_u32 v7, 1, v7 :: v_dual_add_nc_u32 v6, 16, v6
	s_wait_xcnt 0x0
	v_add_nc_u32_e32 v8, 16, v8
	s_delay_alu instid0(VALU_DEP_2) | instskip(SKIP_4) | instid1(VALU_DEP_2)
	v_cmp_lt_u32_e32 vcc_lo, 45, v7
	s_or_b32 s3, vcc_lo, s3
	s_wait_loadcnt_dscnt 0x0
	v_mul_f64_e32 v[18:19], v[16:17], v[12:13]
	v_mul_f64_e32 v[12:13], v[14:15], v[12:13]
	v_fma_f64 v[14:15], v[14:15], v[10:11], -v[18:19]
	s_delay_alu instid0(VALU_DEP_2) | instskip(NEXT) | instid1(VALU_DEP_2)
	v_fmac_f64_e32 v[12:13], v[16:17], v[10:11]
	v_add_f64_e32 v[4:5], v[4:5], v[14:15]
	s_delay_alu instid0(VALU_DEP_2)
	v_add_f64_e32 v[2:3], v[2:3], v[12:13]
	s_and_not1_b32 exec_lo, exec_lo, s3
	s_cbranch_execnz .LBB47_201
; %bb.202:
	s_or_b32 exec_lo, exec_lo, s3
	v_mov_b32_e32 v6, 0
	ds_load_b128 v[6:9], v6 offset:752
	s_wait_dscnt 0x0
	v_mul_f64_e32 v[12:13], v[2:3], v[8:9]
	v_mul_f64_e32 v[10:11], v[4:5], v[8:9]
	s_delay_alu instid0(VALU_DEP_2) | instskip(NEXT) | instid1(VALU_DEP_2)
	v_fma_f64 v[8:9], v[4:5], v[6:7], -v[12:13]
	v_fmac_f64_e32 v[10:11], v[2:3], v[6:7]
	scratch_store_b128 off, v[8:11], off offset:752
.LBB47_203:
	s_wait_xcnt 0x0
	s_or_b32 exec_lo, exec_lo, s2
	s_mov_b32 s3, -1
	s_wait_storecnt 0x0
	s_barrier_signal -1
	s_barrier_wait -1
.LBB47_204:
	s_and_b32 vcc_lo, exec_lo, s3
	s_cbranch_vccz .LBB47_206
; %bb.205:
	s_wait_xcnt 0x15
	v_mov_b32_e32 v2, 0
	s_lshl_b64 s[2:3], s[18:19], 2
	s_delay_alu instid0(SALU_CYCLE_1)
	s_add_nc_u64 s[2:3], s[6:7], s[2:3]
	global_load_b32 v2, v2, s[2:3]
	s_wait_loadcnt 0x0
	v_cmp_ne_u32_e32 vcc_lo, 0, v2
	s_cbranch_vccz .LBB47_207
.LBB47_206:
	s_sendmsg sendmsg(MSG_DEALLOC_VGPRS)
	s_endpgm
.LBB47_207:
	s_wait_xcnt 0xe
	v_lshl_add_u32 v120, v1, 4, 0x300
	s_wait_xcnt 0x0
	s_mov_b32 s2, exec_lo
	v_cmpx_eq_u32_e32 47, v1
	s_cbranch_execz .LBB47_209
; %bb.208:
	scratch_load_b128 v[2:5], off, s21
	v_mov_b32_e32 v6, 0
	s_delay_alu instid0(VALU_DEP_1)
	v_dual_mov_b32 v7, v6 :: v_dual_mov_b32 v8, v6
	v_mov_b32_e32 v9, v6
	scratch_store_b128 off, v[6:9], off offset:736
	s_wait_loadcnt 0x0
	ds_store_b128 v120, v[2:5]
.LBB47_209:
	s_wait_xcnt 0x0
	s_or_b32 exec_lo, exec_lo, s2
	s_wait_storecnt_dscnt 0x0
	s_barrier_signal -1
	s_barrier_wait -1
	s_clause 0x1
	scratch_load_b128 v[4:7], off, off offset:752
	scratch_load_b128 v[8:11], off, off offset:736
	v_mov_b32_e32 v2, 0
	s_mov_b32 s2, exec_lo
	ds_load_b128 v[12:15], v2 offset:1520
	s_wait_loadcnt_dscnt 0x100
	v_mul_f64_e32 v[16:17], v[14:15], v[6:7]
	v_mul_f64_e32 v[6:7], v[12:13], v[6:7]
	s_delay_alu instid0(VALU_DEP_2) | instskip(NEXT) | instid1(VALU_DEP_2)
	v_fma_f64 v[12:13], v[12:13], v[4:5], -v[16:17]
	v_fmac_f64_e32 v[6:7], v[14:15], v[4:5]
	s_delay_alu instid0(VALU_DEP_2) | instskip(NEXT) | instid1(VALU_DEP_2)
	v_add_f64_e32 v[4:5], 0, v[12:13]
	v_add_f64_e32 v[6:7], 0, v[6:7]
	s_wait_loadcnt 0x0
	s_delay_alu instid0(VALU_DEP_2) | instskip(NEXT) | instid1(VALU_DEP_2)
	v_add_f64_e64 v[4:5], v[8:9], -v[4:5]
	v_add_f64_e64 v[6:7], v[10:11], -v[6:7]
	scratch_store_b128 off, v[4:7], off offset:736
	s_wait_xcnt 0x0
	v_cmpx_lt_u32_e32 45, v1
	s_cbranch_execz .LBB47_211
; %bb.210:
	scratch_load_b128 v[6:9], off, s14
	v_dual_mov_b32 v3, v2 :: v_dual_mov_b32 v4, v2
	v_mov_b32_e32 v5, v2
	scratch_store_b128 off, v[2:5], off offset:720
	s_wait_loadcnt 0x0
	ds_store_b128 v120, v[6:9]
.LBB47_211:
	s_wait_xcnt 0x0
	s_or_b32 exec_lo, exec_lo, s2
	s_wait_storecnt_dscnt 0x0
	s_barrier_signal -1
	s_barrier_wait -1
	s_clause 0x2
	scratch_load_b128 v[4:7], off, off offset:736
	scratch_load_b128 v[8:11], off, off offset:752
	;; [unrolled: 1-line block ×3, first 2 shown]
	ds_load_b128 v[16:19], v2 offset:1504
	ds_load_b128 v[20:23], v2 offset:1520
	s_mov_b32 s2, exec_lo
	s_wait_loadcnt_dscnt 0x201
	v_mul_f64_e32 v[2:3], v[18:19], v[6:7]
	v_mul_f64_e32 v[6:7], v[16:17], v[6:7]
	s_wait_loadcnt_dscnt 0x100
	v_mul_f64_e32 v[122:123], v[20:21], v[10:11]
	v_mul_f64_e32 v[10:11], v[22:23], v[10:11]
	s_delay_alu instid0(VALU_DEP_4) | instskip(NEXT) | instid1(VALU_DEP_4)
	v_fma_f64 v[2:3], v[16:17], v[4:5], -v[2:3]
	v_fmac_f64_e32 v[6:7], v[18:19], v[4:5]
	s_delay_alu instid0(VALU_DEP_4) | instskip(NEXT) | instid1(VALU_DEP_4)
	v_fmac_f64_e32 v[122:123], v[22:23], v[8:9]
	v_fma_f64 v[4:5], v[20:21], v[8:9], -v[10:11]
	s_delay_alu instid0(VALU_DEP_4) | instskip(NEXT) | instid1(VALU_DEP_4)
	v_add_f64_e32 v[2:3], 0, v[2:3]
	v_add_f64_e32 v[6:7], 0, v[6:7]
	s_delay_alu instid0(VALU_DEP_2) | instskip(NEXT) | instid1(VALU_DEP_2)
	v_add_f64_e32 v[2:3], v[2:3], v[4:5]
	v_add_f64_e32 v[4:5], v[6:7], v[122:123]
	s_wait_loadcnt 0x0
	s_delay_alu instid0(VALU_DEP_2) | instskip(NEXT) | instid1(VALU_DEP_2)
	v_add_f64_e64 v[2:3], v[12:13], -v[2:3]
	v_add_f64_e64 v[4:5], v[14:15], -v[4:5]
	scratch_store_b128 off, v[2:5], off offset:720
	s_wait_xcnt 0x0
	v_cmpx_lt_u32_e32 44, v1
	s_cbranch_execz .LBB47_213
; %bb.212:
	scratch_load_b128 v[2:5], off, s25
	v_mov_b32_e32 v6, 0
	s_delay_alu instid0(VALU_DEP_1)
	v_dual_mov_b32 v7, v6 :: v_dual_mov_b32 v8, v6
	v_mov_b32_e32 v9, v6
	scratch_store_b128 off, v[6:9], off offset:704
	s_wait_loadcnt 0x0
	ds_store_b128 v120, v[2:5]
.LBB47_213:
	s_wait_xcnt 0x0
	s_or_b32 exec_lo, exec_lo, s2
	s_wait_storecnt_dscnt 0x0
	s_barrier_signal -1
	s_barrier_wait -1
	s_clause 0x3
	scratch_load_b128 v[4:7], off, off offset:720
	scratch_load_b128 v[8:11], off, off offset:736
	;; [unrolled: 1-line block ×4, first 2 shown]
	v_mov_b32_e32 v2, 0
	ds_load_b128 v[20:23], v2 offset:1488
	ds_load_b128 v[122:125], v2 offset:1504
	s_mov_b32 s2, exec_lo
	s_wait_loadcnt_dscnt 0x301
	v_mul_f64_e32 v[126:127], v[22:23], v[6:7]
	v_mul_f64_e32 v[128:129], v[20:21], v[6:7]
	s_wait_loadcnt_dscnt 0x200
	v_mul_f64_e32 v[130:131], v[122:123], v[10:11]
	v_mul_f64_e32 v[10:11], v[124:125], v[10:11]
	s_delay_alu instid0(VALU_DEP_4) | instskip(NEXT) | instid1(VALU_DEP_4)
	v_fma_f64 v[20:21], v[20:21], v[4:5], -v[126:127]
	v_fmac_f64_e32 v[128:129], v[22:23], v[4:5]
	ds_load_b128 v[4:7], v2 offset:1520
	v_fmac_f64_e32 v[130:131], v[124:125], v[8:9]
	v_fma_f64 v[8:9], v[122:123], v[8:9], -v[10:11]
	s_wait_loadcnt_dscnt 0x100
	v_mul_f64_e32 v[22:23], v[4:5], v[14:15]
	v_mul_f64_e32 v[14:15], v[6:7], v[14:15]
	v_add_f64_e32 v[10:11], 0, v[20:21]
	v_add_f64_e32 v[20:21], 0, v[128:129]
	s_delay_alu instid0(VALU_DEP_4) | instskip(NEXT) | instid1(VALU_DEP_4)
	v_fmac_f64_e32 v[22:23], v[6:7], v[12:13]
	v_fma_f64 v[4:5], v[4:5], v[12:13], -v[14:15]
	s_delay_alu instid0(VALU_DEP_4) | instskip(NEXT) | instid1(VALU_DEP_4)
	v_add_f64_e32 v[6:7], v[10:11], v[8:9]
	v_add_f64_e32 v[8:9], v[20:21], v[130:131]
	s_delay_alu instid0(VALU_DEP_2) | instskip(NEXT) | instid1(VALU_DEP_2)
	v_add_f64_e32 v[4:5], v[6:7], v[4:5]
	v_add_f64_e32 v[6:7], v[8:9], v[22:23]
	s_wait_loadcnt 0x0
	s_delay_alu instid0(VALU_DEP_2) | instskip(NEXT) | instid1(VALU_DEP_2)
	v_add_f64_e64 v[4:5], v[16:17], -v[4:5]
	v_add_f64_e64 v[6:7], v[18:19], -v[6:7]
	scratch_store_b128 off, v[4:7], off offset:704
	s_wait_xcnt 0x0
	v_cmpx_lt_u32_e32 43, v1
	s_cbranch_execz .LBB47_215
; %bb.214:
	scratch_load_b128 v[6:9], off, s23
	v_dual_mov_b32 v3, v2 :: v_dual_mov_b32 v4, v2
	v_mov_b32_e32 v5, v2
	scratch_store_b128 off, v[2:5], off offset:688
	s_wait_loadcnt 0x0
	ds_store_b128 v120, v[6:9]
.LBB47_215:
	s_wait_xcnt 0x0
	s_or_b32 exec_lo, exec_lo, s2
	s_wait_storecnt_dscnt 0x0
	s_barrier_signal -1
	s_barrier_wait -1
	s_clause 0x4
	scratch_load_b128 v[4:7], off, off offset:704
	scratch_load_b128 v[8:11], off, off offset:720
	;; [unrolled: 1-line block ×5, first 2 shown]
	ds_load_b128 v[122:125], v2 offset:1472
	ds_load_b128 v[126:129], v2 offset:1488
	s_mov_b32 s2, exec_lo
	s_wait_loadcnt_dscnt 0x401
	v_mul_f64_e32 v[130:131], v[124:125], v[6:7]
	v_mul_f64_e32 v[132:133], v[122:123], v[6:7]
	s_wait_loadcnt_dscnt 0x300
	v_mul_f64_e32 v[134:135], v[126:127], v[10:11]
	v_mul_f64_e32 v[10:11], v[128:129], v[10:11]
	s_delay_alu instid0(VALU_DEP_4) | instskip(NEXT) | instid1(VALU_DEP_4)
	v_fma_f64 v[130:131], v[122:123], v[4:5], -v[130:131]
	v_fmac_f64_e32 v[132:133], v[124:125], v[4:5]
	ds_load_b128 v[4:7], v2 offset:1504
	ds_load_b128 v[122:125], v2 offset:1520
	v_fmac_f64_e32 v[134:135], v[128:129], v[8:9]
	v_fma_f64 v[8:9], v[126:127], v[8:9], -v[10:11]
	s_wait_loadcnt_dscnt 0x201
	v_mul_f64_e32 v[2:3], v[4:5], v[14:15]
	v_mul_f64_e32 v[14:15], v[6:7], v[14:15]
	s_wait_loadcnt_dscnt 0x100
	v_mul_f64_e32 v[128:129], v[122:123], v[18:19]
	v_mul_f64_e32 v[18:19], v[124:125], v[18:19]
	v_add_f64_e32 v[10:11], 0, v[130:131]
	v_add_f64_e32 v[126:127], 0, v[132:133]
	v_fmac_f64_e32 v[2:3], v[6:7], v[12:13]
	v_fma_f64 v[4:5], v[4:5], v[12:13], -v[14:15]
	v_fmac_f64_e32 v[128:129], v[124:125], v[16:17]
	v_add_f64_e32 v[6:7], v[10:11], v[8:9]
	v_add_f64_e32 v[8:9], v[126:127], v[134:135]
	v_fma_f64 v[10:11], v[122:123], v[16:17], -v[18:19]
	s_delay_alu instid0(VALU_DEP_3) | instskip(NEXT) | instid1(VALU_DEP_3)
	v_add_f64_e32 v[4:5], v[6:7], v[4:5]
	v_add_f64_e32 v[2:3], v[8:9], v[2:3]
	s_delay_alu instid0(VALU_DEP_2) | instskip(NEXT) | instid1(VALU_DEP_2)
	v_add_f64_e32 v[4:5], v[4:5], v[10:11]
	v_add_f64_e32 v[6:7], v[2:3], v[128:129]
	s_wait_loadcnt 0x0
	s_delay_alu instid0(VALU_DEP_2) | instskip(NEXT) | instid1(VALU_DEP_2)
	v_add_f64_e64 v[2:3], v[20:21], -v[4:5]
	v_add_f64_e64 v[4:5], v[22:23], -v[6:7]
	scratch_store_b128 off, v[2:5], off offset:688
	s_wait_xcnt 0x0
	v_cmpx_lt_u32_e32 42, v1
	s_cbranch_execz .LBB47_217
; %bb.216:
	scratch_load_b128 v[2:5], off, s29
	v_mov_b32_e32 v6, 0
	s_delay_alu instid0(VALU_DEP_1)
	v_dual_mov_b32 v7, v6 :: v_dual_mov_b32 v8, v6
	v_mov_b32_e32 v9, v6
	scratch_store_b128 off, v[6:9], off offset:672
	s_wait_loadcnt 0x0
	ds_store_b128 v120, v[2:5]
.LBB47_217:
	s_wait_xcnt 0x0
	s_or_b32 exec_lo, exec_lo, s2
	s_wait_storecnt_dscnt 0x0
	s_barrier_signal -1
	s_barrier_wait -1
	s_clause 0x5
	scratch_load_b128 v[4:7], off, off offset:688
	scratch_load_b128 v[8:11], off, off offset:704
	;; [unrolled: 1-line block ×6, first 2 shown]
	v_mov_b32_e32 v2, 0
	ds_load_b128 v[126:129], v2 offset:1456
	ds_load_b128 v[130:133], v2 offset:1472
	s_mov_b32 s2, exec_lo
	s_wait_loadcnt_dscnt 0x501
	v_mul_f64_e32 v[134:135], v[128:129], v[6:7]
	v_mul_f64_e32 v[136:137], v[126:127], v[6:7]
	s_wait_loadcnt_dscnt 0x400
	v_mul_f64_e32 v[138:139], v[130:131], v[10:11]
	v_mul_f64_e32 v[10:11], v[132:133], v[10:11]
	s_delay_alu instid0(VALU_DEP_4) | instskip(NEXT) | instid1(VALU_DEP_4)
	v_fma_f64 v[134:135], v[126:127], v[4:5], -v[134:135]
	v_fmac_f64_e32 v[136:137], v[128:129], v[4:5]
	ds_load_b128 v[4:7], v2 offset:1488
	ds_load_b128 v[126:129], v2 offset:1504
	v_fmac_f64_e32 v[138:139], v[132:133], v[8:9]
	v_fma_f64 v[8:9], v[130:131], v[8:9], -v[10:11]
	s_wait_loadcnt_dscnt 0x301
	v_mul_f64_e32 v[140:141], v[4:5], v[14:15]
	v_mul_f64_e32 v[14:15], v[6:7], v[14:15]
	s_wait_loadcnt_dscnt 0x200
	v_mul_f64_e32 v[132:133], v[126:127], v[18:19]
	v_mul_f64_e32 v[18:19], v[128:129], v[18:19]
	v_add_f64_e32 v[10:11], 0, v[134:135]
	v_add_f64_e32 v[130:131], 0, v[136:137]
	v_fmac_f64_e32 v[140:141], v[6:7], v[12:13]
	v_fma_f64 v[12:13], v[4:5], v[12:13], -v[14:15]
	ds_load_b128 v[4:7], v2 offset:1520
	v_fmac_f64_e32 v[132:133], v[128:129], v[16:17]
	v_fma_f64 v[16:17], v[126:127], v[16:17], -v[18:19]
	v_add_f64_e32 v[8:9], v[10:11], v[8:9]
	v_add_f64_e32 v[10:11], v[130:131], v[138:139]
	s_wait_loadcnt_dscnt 0x100
	v_mul_f64_e32 v[14:15], v[4:5], v[22:23]
	v_mul_f64_e32 v[22:23], v[6:7], v[22:23]
	s_delay_alu instid0(VALU_DEP_4) | instskip(NEXT) | instid1(VALU_DEP_4)
	v_add_f64_e32 v[8:9], v[8:9], v[12:13]
	v_add_f64_e32 v[10:11], v[10:11], v[140:141]
	s_delay_alu instid0(VALU_DEP_4) | instskip(NEXT) | instid1(VALU_DEP_4)
	v_fmac_f64_e32 v[14:15], v[6:7], v[20:21]
	v_fma_f64 v[4:5], v[4:5], v[20:21], -v[22:23]
	s_delay_alu instid0(VALU_DEP_4) | instskip(NEXT) | instid1(VALU_DEP_4)
	v_add_f64_e32 v[6:7], v[8:9], v[16:17]
	v_add_f64_e32 v[8:9], v[10:11], v[132:133]
	s_delay_alu instid0(VALU_DEP_2) | instskip(NEXT) | instid1(VALU_DEP_2)
	v_add_f64_e32 v[4:5], v[6:7], v[4:5]
	v_add_f64_e32 v[6:7], v[8:9], v[14:15]
	s_wait_loadcnt 0x0
	s_delay_alu instid0(VALU_DEP_2) | instskip(NEXT) | instid1(VALU_DEP_2)
	v_add_f64_e64 v[4:5], v[122:123], -v[4:5]
	v_add_f64_e64 v[6:7], v[124:125], -v[6:7]
	scratch_store_b128 off, v[4:7], off offset:672
	s_wait_xcnt 0x0
	v_cmpx_lt_u32_e32 41, v1
	s_cbranch_execz .LBB47_219
; %bb.218:
	scratch_load_b128 v[6:9], off, s27
	v_dual_mov_b32 v3, v2 :: v_dual_mov_b32 v4, v2
	v_mov_b32_e32 v5, v2
	scratch_store_b128 off, v[2:5], off offset:656
	s_wait_loadcnt 0x0
	ds_store_b128 v120, v[6:9]
.LBB47_219:
	s_wait_xcnt 0x0
	s_or_b32 exec_lo, exec_lo, s2
	s_wait_storecnt_dscnt 0x0
	s_barrier_signal -1
	s_barrier_wait -1
	s_clause 0x6
	scratch_load_b128 v[4:7], off, off offset:672
	scratch_load_b128 v[8:11], off, off offset:688
	;; [unrolled: 1-line block ×7, first 2 shown]
	ds_load_b128 v[130:133], v2 offset:1440
	ds_load_b128 v[134:137], v2 offset:1456
	s_mov_b32 s2, exec_lo
	s_wait_loadcnt_dscnt 0x601
	v_mul_f64_e32 v[138:139], v[132:133], v[6:7]
	v_mul_f64_e32 v[140:141], v[130:131], v[6:7]
	s_wait_loadcnt_dscnt 0x500
	v_mul_f64_e32 v[142:143], v[134:135], v[10:11]
	v_mul_f64_e32 v[10:11], v[136:137], v[10:11]
	s_delay_alu instid0(VALU_DEP_4) | instskip(NEXT) | instid1(VALU_DEP_4)
	v_fma_f64 v[138:139], v[130:131], v[4:5], -v[138:139]
	v_fmac_f64_e32 v[140:141], v[132:133], v[4:5]
	ds_load_b128 v[4:7], v2 offset:1472
	ds_load_b128 v[130:133], v2 offset:1488
	v_fmac_f64_e32 v[142:143], v[136:137], v[8:9]
	v_fma_f64 v[8:9], v[134:135], v[8:9], -v[10:11]
	s_wait_loadcnt_dscnt 0x401
	v_mul_f64_e32 v[144:145], v[4:5], v[14:15]
	v_mul_f64_e32 v[14:15], v[6:7], v[14:15]
	s_wait_loadcnt_dscnt 0x300
	v_mul_f64_e32 v[136:137], v[130:131], v[18:19]
	v_mul_f64_e32 v[18:19], v[132:133], v[18:19]
	v_add_f64_e32 v[10:11], 0, v[138:139]
	v_add_f64_e32 v[134:135], 0, v[140:141]
	v_fmac_f64_e32 v[144:145], v[6:7], v[12:13]
	v_fma_f64 v[12:13], v[4:5], v[12:13], -v[14:15]
	v_fmac_f64_e32 v[136:137], v[132:133], v[16:17]
	v_fma_f64 v[16:17], v[130:131], v[16:17], -v[18:19]
	v_add_f64_e32 v[14:15], v[10:11], v[8:9]
	v_add_f64_e32 v[134:135], v[134:135], v[142:143]
	ds_load_b128 v[4:7], v2 offset:1504
	ds_load_b128 v[8:11], v2 offset:1520
	s_wait_loadcnt_dscnt 0x201
	v_mul_f64_e32 v[2:3], v[4:5], v[22:23]
	v_mul_f64_e32 v[22:23], v[6:7], v[22:23]
	s_wait_loadcnt_dscnt 0x100
	v_mul_f64_e32 v[18:19], v[8:9], v[124:125]
	v_mul_f64_e32 v[124:125], v[10:11], v[124:125]
	v_add_f64_e32 v[12:13], v[14:15], v[12:13]
	v_add_f64_e32 v[14:15], v[134:135], v[144:145]
	v_fmac_f64_e32 v[2:3], v[6:7], v[20:21]
	v_fma_f64 v[4:5], v[4:5], v[20:21], -v[22:23]
	v_fmac_f64_e32 v[18:19], v[10:11], v[122:123]
	v_fma_f64 v[8:9], v[8:9], v[122:123], -v[124:125]
	v_add_f64_e32 v[6:7], v[12:13], v[16:17]
	v_add_f64_e32 v[12:13], v[14:15], v[136:137]
	s_delay_alu instid0(VALU_DEP_2) | instskip(NEXT) | instid1(VALU_DEP_2)
	v_add_f64_e32 v[4:5], v[6:7], v[4:5]
	v_add_f64_e32 v[2:3], v[12:13], v[2:3]
	s_delay_alu instid0(VALU_DEP_2) | instskip(NEXT) | instid1(VALU_DEP_2)
	v_add_f64_e32 v[4:5], v[4:5], v[8:9]
	v_add_f64_e32 v[6:7], v[2:3], v[18:19]
	s_wait_loadcnt 0x0
	s_delay_alu instid0(VALU_DEP_2) | instskip(NEXT) | instid1(VALU_DEP_2)
	v_add_f64_e64 v[2:3], v[126:127], -v[4:5]
	v_add_f64_e64 v[4:5], v[128:129], -v[6:7]
	scratch_store_b128 off, v[2:5], off offset:656
	s_wait_xcnt 0x0
	v_cmpx_lt_u32_e32 40, v1
	s_cbranch_execz .LBB47_221
; %bb.220:
	scratch_load_b128 v[2:5], off, s9
	v_mov_b32_e32 v6, 0
	s_delay_alu instid0(VALU_DEP_1)
	v_dual_mov_b32 v7, v6 :: v_dual_mov_b32 v8, v6
	v_mov_b32_e32 v9, v6
	scratch_store_b128 off, v[6:9], off offset:640
	s_wait_loadcnt 0x0
	ds_store_b128 v120, v[2:5]
.LBB47_221:
	s_wait_xcnt 0x0
	s_or_b32 exec_lo, exec_lo, s2
	s_wait_storecnt_dscnt 0x0
	s_barrier_signal -1
	s_barrier_wait -1
	s_clause 0x7
	scratch_load_b128 v[4:7], off, off offset:656
	scratch_load_b128 v[8:11], off, off offset:672
	;; [unrolled: 1-line block ×8, first 2 shown]
	v_mov_b32_e32 v2, 0
	ds_load_b128 v[134:137], v2 offset:1424
	ds_load_b128 v[138:141], v2 offset:1440
	s_mov_b32 s2, exec_lo
	s_wait_loadcnt_dscnt 0x701
	v_mul_f64_e32 v[142:143], v[136:137], v[6:7]
	v_mul_f64_e32 v[144:145], v[134:135], v[6:7]
	s_wait_loadcnt_dscnt 0x600
	v_mul_f64_e32 v[146:147], v[138:139], v[10:11]
	v_mul_f64_e32 v[10:11], v[140:141], v[10:11]
	s_delay_alu instid0(VALU_DEP_4) | instskip(NEXT) | instid1(VALU_DEP_4)
	v_fma_f64 v[142:143], v[134:135], v[4:5], -v[142:143]
	v_fmac_f64_e32 v[144:145], v[136:137], v[4:5]
	ds_load_b128 v[4:7], v2 offset:1456
	ds_load_b128 v[134:137], v2 offset:1472
	v_fmac_f64_e32 v[146:147], v[140:141], v[8:9]
	v_fma_f64 v[8:9], v[138:139], v[8:9], -v[10:11]
	s_wait_loadcnt_dscnt 0x501
	v_mul_f64_e32 v[148:149], v[4:5], v[14:15]
	v_mul_f64_e32 v[14:15], v[6:7], v[14:15]
	s_wait_loadcnt_dscnt 0x400
	v_mul_f64_e32 v[140:141], v[134:135], v[18:19]
	v_mul_f64_e32 v[18:19], v[136:137], v[18:19]
	v_add_f64_e32 v[10:11], 0, v[142:143]
	v_add_f64_e32 v[138:139], 0, v[144:145]
	v_fmac_f64_e32 v[148:149], v[6:7], v[12:13]
	v_fma_f64 v[12:13], v[4:5], v[12:13], -v[14:15]
	v_fmac_f64_e32 v[140:141], v[136:137], v[16:17]
	v_fma_f64 v[16:17], v[134:135], v[16:17], -v[18:19]
	v_add_f64_e32 v[14:15], v[10:11], v[8:9]
	v_add_f64_e32 v[138:139], v[138:139], v[146:147]
	ds_load_b128 v[4:7], v2 offset:1488
	ds_load_b128 v[8:11], v2 offset:1504
	s_wait_loadcnt_dscnt 0x301
	v_mul_f64_e32 v[142:143], v[4:5], v[22:23]
	v_mul_f64_e32 v[22:23], v[6:7], v[22:23]
	s_wait_loadcnt_dscnt 0x200
	v_mul_f64_e32 v[18:19], v[8:9], v[124:125]
	v_mul_f64_e32 v[124:125], v[10:11], v[124:125]
	v_add_f64_e32 v[12:13], v[14:15], v[12:13]
	v_add_f64_e32 v[14:15], v[138:139], v[148:149]
	v_fmac_f64_e32 v[142:143], v[6:7], v[20:21]
	v_fma_f64 v[20:21], v[4:5], v[20:21], -v[22:23]
	ds_load_b128 v[4:7], v2 offset:1520
	v_fmac_f64_e32 v[18:19], v[10:11], v[122:123]
	v_fma_f64 v[8:9], v[8:9], v[122:123], -v[124:125]
	v_add_f64_e32 v[12:13], v[12:13], v[16:17]
	v_add_f64_e32 v[14:15], v[14:15], v[140:141]
	s_wait_loadcnt_dscnt 0x100
	v_mul_f64_e32 v[16:17], v[4:5], v[128:129]
	v_mul_f64_e32 v[22:23], v[6:7], v[128:129]
	s_delay_alu instid0(VALU_DEP_4) | instskip(NEXT) | instid1(VALU_DEP_4)
	v_add_f64_e32 v[10:11], v[12:13], v[20:21]
	v_add_f64_e32 v[12:13], v[14:15], v[142:143]
	s_delay_alu instid0(VALU_DEP_4) | instskip(NEXT) | instid1(VALU_DEP_4)
	v_fmac_f64_e32 v[16:17], v[6:7], v[126:127]
	v_fma_f64 v[4:5], v[4:5], v[126:127], -v[22:23]
	s_delay_alu instid0(VALU_DEP_4) | instskip(NEXT) | instid1(VALU_DEP_4)
	v_add_f64_e32 v[6:7], v[10:11], v[8:9]
	v_add_f64_e32 v[8:9], v[12:13], v[18:19]
	s_delay_alu instid0(VALU_DEP_2) | instskip(NEXT) | instid1(VALU_DEP_2)
	v_add_f64_e32 v[4:5], v[6:7], v[4:5]
	v_add_f64_e32 v[6:7], v[8:9], v[16:17]
	s_wait_loadcnt 0x0
	s_delay_alu instid0(VALU_DEP_2) | instskip(NEXT) | instid1(VALU_DEP_2)
	v_add_f64_e64 v[4:5], v[130:131], -v[4:5]
	v_add_f64_e64 v[6:7], v[132:133], -v[6:7]
	scratch_store_b128 off, v[4:7], off offset:640
	s_wait_xcnt 0x0
	v_cmpx_lt_u32_e32 39, v1
	s_cbranch_execz .LBB47_223
; %bb.222:
	scratch_load_b128 v[6:9], off, s8
	v_dual_mov_b32 v3, v2 :: v_dual_mov_b32 v4, v2
	v_mov_b32_e32 v5, v2
	scratch_store_b128 off, v[2:5], off offset:624
	s_wait_loadcnt 0x0
	ds_store_b128 v120, v[6:9]
.LBB47_223:
	s_wait_xcnt 0x0
	s_or_b32 exec_lo, exec_lo, s2
	s_wait_storecnt_dscnt 0x0
	s_barrier_signal -1
	s_barrier_wait -1
	s_clause 0x7
	scratch_load_b128 v[4:7], off, off offset:640
	scratch_load_b128 v[8:11], off, off offset:656
	;; [unrolled: 1-line block ×8, first 2 shown]
	ds_load_b128 v[134:137], v2 offset:1408
	ds_load_b128 v[138:141], v2 offset:1424
	scratch_load_b128 v[142:145], off, off offset:624
	s_mov_b32 s2, exec_lo
	s_wait_loadcnt_dscnt 0x801
	v_mul_f64_e32 v[146:147], v[136:137], v[6:7]
	v_mul_f64_e32 v[148:149], v[134:135], v[6:7]
	s_wait_loadcnt_dscnt 0x700
	v_mul_f64_e32 v[150:151], v[138:139], v[10:11]
	v_mul_f64_e32 v[10:11], v[140:141], v[10:11]
	s_delay_alu instid0(VALU_DEP_4) | instskip(NEXT) | instid1(VALU_DEP_4)
	v_fma_f64 v[146:147], v[134:135], v[4:5], -v[146:147]
	v_fmac_f64_e32 v[148:149], v[136:137], v[4:5]
	ds_load_b128 v[4:7], v2 offset:1440
	ds_load_b128 v[134:137], v2 offset:1456
	v_fmac_f64_e32 v[150:151], v[140:141], v[8:9]
	v_fma_f64 v[8:9], v[138:139], v[8:9], -v[10:11]
	s_wait_loadcnt_dscnt 0x601
	v_mul_f64_e32 v[152:153], v[4:5], v[14:15]
	v_mul_f64_e32 v[14:15], v[6:7], v[14:15]
	s_wait_loadcnt_dscnt 0x500
	v_mul_f64_e32 v[140:141], v[134:135], v[18:19]
	v_mul_f64_e32 v[18:19], v[136:137], v[18:19]
	v_add_f64_e32 v[10:11], 0, v[146:147]
	v_add_f64_e32 v[138:139], 0, v[148:149]
	v_fmac_f64_e32 v[152:153], v[6:7], v[12:13]
	v_fma_f64 v[12:13], v[4:5], v[12:13], -v[14:15]
	v_fmac_f64_e32 v[140:141], v[136:137], v[16:17]
	v_fma_f64 v[16:17], v[134:135], v[16:17], -v[18:19]
	v_add_f64_e32 v[14:15], v[10:11], v[8:9]
	v_add_f64_e32 v[138:139], v[138:139], v[150:151]
	ds_load_b128 v[4:7], v2 offset:1472
	ds_load_b128 v[8:11], v2 offset:1488
	s_wait_loadcnt_dscnt 0x401
	v_mul_f64_e32 v[146:147], v[4:5], v[22:23]
	v_mul_f64_e32 v[22:23], v[6:7], v[22:23]
	s_wait_loadcnt_dscnt 0x300
	v_mul_f64_e32 v[18:19], v[8:9], v[124:125]
	v_mul_f64_e32 v[124:125], v[10:11], v[124:125]
	v_add_f64_e32 v[12:13], v[14:15], v[12:13]
	v_add_f64_e32 v[14:15], v[138:139], v[152:153]
	v_fmac_f64_e32 v[146:147], v[6:7], v[20:21]
	v_fma_f64 v[20:21], v[4:5], v[20:21], -v[22:23]
	v_fmac_f64_e32 v[18:19], v[10:11], v[122:123]
	v_fma_f64 v[8:9], v[8:9], v[122:123], -v[124:125]
	v_add_f64_e32 v[16:17], v[12:13], v[16:17]
	v_add_f64_e32 v[22:23], v[14:15], v[140:141]
	ds_load_b128 v[4:7], v2 offset:1504
	ds_load_b128 v[12:15], v2 offset:1520
	s_wait_loadcnt_dscnt 0x201
	v_mul_f64_e32 v[2:3], v[4:5], v[128:129]
	v_mul_f64_e32 v[128:129], v[6:7], v[128:129]
	v_add_f64_e32 v[10:11], v[16:17], v[20:21]
	v_add_f64_e32 v[16:17], v[22:23], v[146:147]
	s_wait_loadcnt_dscnt 0x100
	v_mul_f64_e32 v[20:21], v[12:13], v[132:133]
	v_mul_f64_e32 v[22:23], v[14:15], v[132:133]
	v_fmac_f64_e32 v[2:3], v[6:7], v[126:127]
	v_fma_f64 v[4:5], v[4:5], v[126:127], -v[128:129]
	v_add_f64_e32 v[6:7], v[10:11], v[8:9]
	v_add_f64_e32 v[8:9], v[16:17], v[18:19]
	v_fmac_f64_e32 v[20:21], v[14:15], v[130:131]
	v_fma_f64 v[10:11], v[12:13], v[130:131], -v[22:23]
	s_delay_alu instid0(VALU_DEP_4) | instskip(NEXT) | instid1(VALU_DEP_4)
	v_add_f64_e32 v[4:5], v[6:7], v[4:5]
	v_add_f64_e32 v[2:3], v[8:9], v[2:3]
	s_delay_alu instid0(VALU_DEP_2) | instskip(NEXT) | instid1(VALU_DEP_2)
	v_add_f64_e32 v[4:5], v[4:5], v[10:11]
	v_add_f64_e32 v[6:7], v[2:3], v[20:21]
	s_wait_loadcnt 0x0
	s_delay_alu instid0(VALU_DEP_2) | instskip(NEXT) | instid1(VALU_DEP_2)
	v_add_f64_e64 v[2:3], v[142:143], -v[4:5]
	v_add_f64_e64 v[4:5], v[144:145], -v[6:7]
	scratch_store_b128 off, v[2:5], off offset:624
	s_wait_xcnt 0x0
	v_cmpx_lt_u32_e32 38, v1
	s_cbranch_execz .LBB47_225
; %bb.224:
	scratch_load_b128 v[2:5], off, s11
	v_mov_b32_e32 v6, 0
	s_delay_alu instid0(VALU_DEP_1)
	v_dual_mov_b32 v7, v6 :: v_dual_mov_b32 v8, v6
	v_mov_b32_e32 v9, v6
	scratch_store_b128 off, v[6:9], off offset:608
	s_wait_loadcnt 0x0
	ds_store_b128 v120, v[2:5]
.LBB47_225:
	s_wait_xcnt 0x0
	s_or_b32 exec_lo, exec_lo, s2
	s_wait_storecnt_dscnt 0x0
	s_barrier_signal -1
	s_barrier_wait -1
	s_clause 0x8
	scratch_load_b128 v[4:7], off, off offset:624
	scratch_load_b128 v[8:11], off, off offset:640
	;; [unrolled: 1-line block ×9, first 2 shown]
	v_mov_b32_e32 v2, 0
	scratch_load_b128 v[142:145], off, off offset:608
	s_mov_b32 s2, exec_lo
	ds_load_b128 v[138:141], v2 offset:1392
	ds_load_b128 v[146:149], v2 offset:1408
	s_wait_loadcnt_dscnt 0x901
	v_mul_f64_e32 v[150:151], v[140:141], v[6:7]
	v_mul_f64_e32 v[152:153], v[138:139], v[6:7]
	s_wait_loadcnt_dscnt 0x800
	v_mul_f64_e32 v[154:155], v[146:147], v[10:11]
	v_mul_f64_e32 v[10:11], v[148:149], v[10:11]
	s_delay_alu instid0(VALU_DEP_4) | instskip(NEXT) | instid1(VALU_DEP_4)
	v_fma_f64 v[150:151], v[138:139], v[4:5], -v[150:151]
	v_fmac_f64_e32 v[152:153], v[140:141], v[4:5]
	ds_load_b128 v[4:7], v2 offset:1424
	ds_load_b128 v[138:141], v2 offset:1440
	v_fmac_f64_e32 v[154:155], v[148:149], v[8:9]
	v_fma_f64 v[8:9], v[146:147], v[8:9], -v[10:11]
	s_wait_loadcnt_dscnt 0x701
	v_mul_f64_e32 v[156:157], v[4:5], v[14:15]
	v_mul_f64_e32 v[14:15], v[6:7], v[14:15]
	s_wait_loadcnt_dscnt 0x600
	v_mul_f64_e32 v[148:149], v[138:139], v[18:19]
	v_mul_f64_e32 v[18:19], v[140:141], v[18:19]
	v_add_f64_e32 v[10:11], 0, v[150:151]
	v_add_f64_e32 v[146:147], 0, v[152:153]
	v_fmac_f64_e32 v[156:157], v[6:7], v[12:13]
	v_fma_f64 v[12:13], v[4:5], v[12:13], -v[14:15]
	v_fmac_f64_e32 v[148:149], v[140:141], v[16:17]
	v_fma_f64 v[16:17], v[138:139], v[16:17], -v[18:19]
	v_add_f64_e32 v[14:15], v[10:11], v[8:9]
	v_add_f64_e32 v[146:147], v[146:147], v[154:155]
	ds_load_b128 v[4:7], v2 offset:1456
	ds_load_b128 v[8:11], v2 offset:1472
	s_wait_loadcnt_dscnt 0x501
	v_mul_f64_e32 v[150:151], v[4:5], v[22:23]
	v_mul_f64_e32 v[22:23], v[6:7], v[22:23]
	s_wait_loadcnt_dscnt 0x400
	v_mul_f64_e32 v[18:19], v[8:9], v[124:125]
	v_mul_f64_e32 v[124:125], v[10:11], v[124:125]
	v_add_f64_e32 v[12:13], v[14:15], v[12:13]
	v_add_f64_e32 v[14:15], v[146:147], v[156:157]
	v_fmac_f64_e32 v[150:151], v[6:7], v[20:21]
	v_fma_f64 v[20:21], v[4:5], v[20:21], -v[22:23]
	v_fmac_f64_e32 v[18:19], v[10:11], v[122:123]
	v_fma_f64 v[8:9], v[8:9], v[122:123], -v[124:125]
	v_add_f64_e32 v[16:17], v[12:13], v[16:17]
	v_add_f64_e32 v[22:23], v[14:15], v[148:149]
	ds_load_b128 v[4:7], v2 offset:1488
	ds_load_b128 v[12:15], v2 offset:1504
	s_wait_loadcnt_dscnt 0x301
	v_mul_f64_e32 v[138:139], v[4:5], v[128:129]
	v_mul_f64_e32 v[128:129], v[6:7], v[128:129]
	v_add_f64_e32 v[10:11], v[16:17], v[20:21]
	v_add_f64_e32 v[16:17], v[22:23], v[150:151]
	s_wait_loadcnt_dscnt 0x200
	v_mul_f64_e32 v[20:21], v[12:13], v[132:133]
	v_mul_f64_e32 v[22:23], v[14:15], v[132:133]
	v_fmac_f64_e32 v[138:139], v[6:7], v[126:127]
	v_fma_f64 v[122:123], v[4:5], v[126:127], -v[128:129]
	ds_load_b128 v[4:7], v2 offset:1520
	v_add_f64_e32 v[8:9], v[10:11], v[8:9]
	v_add_f64_e32 v[10:11], v[16:17], v[18:19]
	v_fmac_f64_e32 v[20:21], v[14:15], v[130:131]
	v_fma_f64 v[12:13], v[12:13], v[130:131], -v[22:23]
	s_wait_loadcnt_dscnt 0x100
	v_mul_f64_e32 v[16:17], v[4:5], v[136:137]
	v_mul_f64_e32 v[18:19], v[6:7], v[136:137]
	v_add_f64_e32 v[8:9], v[8:9], v[122:123]
	v_add_f64_e32 v[10:11], v[10:11], v[138:139]
	s_delay_alu instid0(VALU_DEP_4) | instskip(NEXT) | instid1(VALU_DEP_4)
	v_fmac_f64_e32 v[16:17], v[6:7], v[134:135]
	v_fma_f64 v[4:5], v[4:5], v[134:135], -v[18:19]
	s_delay_alu instid0(VALU_DEP_4) | instskip(NEXT) | instid1(VALU_DEP_4)
	v_add_f64_e32 v[6:7], v[8:9], v[12:13]
	v_add_f64_e32 v[8:9], v[10:11], v[20:21]
	s_delay_alu instid0(VALU_DEP_2) | instskip(NEXT) | instid1(VALU_DEP_2)
	v_add_f64_e32 v[4:5], v[6:7], v[4:5]
	v_add_f64_e32 v[6:7], v[8:9], v[16:17]
	s_wait_loadcnt 0x0
	s_delay_alu instid0(VALU_DEP_2) | instskip(NEXT) | instid1(VALU_DEP_2)
	v_add_f64_e64 v[4:5], v[142:143], -v[4:5]
	v_add_f64_e64 v[6:7], v[144:145], -v[6:7]
	scratch_store_b128 off, v[4:7], off offset:608
	s_wait_xcnt 0x0
	v_cmpx_lt_u32_e32 37, v1
	s_cbranch_execz .LBB47_227
; %bb.226:
	scratch_load_b128 v[6:9], off, s10
	v_dual_mov_b32 v3, v2 :: v_dual_mov_b32 v4, v2
	v_mov_b32_e32 v5, v2
	scratch_store_b128 off, v[2:5], off offset:592
	s_wait_loadcnt 0x0
	ds_store_b128 v120, v[6:9]
.LBB47_227:
	s_wait_xcnt 0x0
	s_or_b32 exec_lo, exec_lo, s2
	s_wait_storecnt_dscnt 0x0
	s_barrier_signal -1
	s_barrier_wait -1
	s_clause 0x9
	scratch_load_b128 v[4:7], off, off offset:608
	scratch_load_b128 v[8:11], off, off offset:624
	;; [unrolled: 1-line block ×10, first 2 shown]
	ds_load_b128 v[142:145], v2 offset:1376
	ds_load_b128 v[146:149], v2 offset:1392
	scratch_load_b128 v[150:153], off, off offset:592
	s_mov_b32 s2, exec_lo
	s_wait_loadcnt_dscnt 0xa01
	v_mul_f64_e32 v[154:155], v[144:145], v[6:7]
	v_mul_f64_e32 v[156:157], v[142:143], v[6:7]
	s_wait_loadcnt_dscnt 0x900
	v_mul_f64_e32 v[158:159], v[146:147], v[10:11]
	v_mul_f64_e32 v[10:11], v[148:149], v[10:11]
	s_delay_alu instid0(VALU_DEP_4) | instskip(NEXT) | instid1(VALU_DEP_4)
	v_fma_f64 v[154:155], v[142:143], v[4:5], -v[154:155]
	v_fmac_f64_e32 v[156:157], v[144:145], v[4:5]
	ds_load_b128 v[4:7], v2 offset:1408
	ds_load_b128 v[142:145], v2 offset:1424
	v_fmac_f64_e32 v[158:159], v[148:149], v[8:9]
	v_fma_f64 v[8:9], v[146:147], v[8:9], -v[10:11]
	s_wait_loadcnt_dscnt 0x801
	v_mul_f64_e32 v[160:161], v[4:5], v[14:15]
	v_mul_f64_e32 v[14:15], v[6:7], v[14:15]
	s_wait_loadcnt_dscnt 0x700
	v_mul_f64_e32 v[148:149], v[142:143], v[18:19]
	v_mul_f64_e32 v[18:19], v[144:145], v[18:19]
	v_add_f64_e32 v[10:11], 0, v[154:155]
	v_add_f64_e32 v[146:147], 0, v[156:157]
	v_fmac_f64_e32 v[160:161], v[6:7], v[12:13]
	v_fma_f64 v[12:13], v[4:5], v[12:13], -v[14:15]
	v_fmac_f64_e32 v[148:149], v[144:145], v[16:17]
	v_fma_f64 v[16:17], v[142:143], v[16:17], -v[18:19]
	v_add_f64_e32 v[14:15], v[10:11], v[8:9]
	v_add_f64_e32 v[146:147], v[146:147], v[158:159]
	ds_load_b128 v[4:7], v2 offset:1440
	ds_load_b128 v[8:11], v2 offset:1456
	s_wait_loadcnt_dscnt 0x601
	v_mul_f64_e32 v[154:155], v[4:5], v[22:23]
	v_mul_f64_e32 v[22:23], v[6:7], v[22:23]
	s_wait_loadcnt_dscnt 0x500
	v_mul_f64_e32 v[18:19], v[8:9], v[124:125]
	v_mul_f64_e32 v[124:125], v[10:11], v[124:125]
	v_add_f64_e32 v[12:13], v[14:15], v[12:13]
	v_add_f64_e32 v[14:15], v[146:147], v[160:161]
	v_fmac_f64_e32 v[154:155], v[6:7], v[20:21]
	v_fma_f64 v[20:21], v[4:5], v[20:21], -v[22:23]
	v_fmac_f64_e32 v[18:19], v[10:11], v[122:123]
	v_fma_f64 v[8:9], v[8:9], v[122:123], -v[124:125]
	v_add_f64_e32 v[16:17], v[12:13], v[16:17]
	v_add_f64_e32 v[22:23], v[14:15], v[148:149]
	ds_load_b128 v[4:7], v2 offset:1472
	ds_load_b128 v[12:15], v2 offset:1488
	s_wait_loadcnt_dscnt 0x401
	v_mul_f64_e32 v[142:143], v[4:5], v[128:129]
	v_mul_f64_e32 v[128:129], v[6:7], v[128:129]
	v_add_f64_e32 v[10:11], v[16:17], v[20:21]
	v_add_f64_e32 v[16:17], v[22:23], v[154:155]
	s_wait_loadcnt_dscnt 0x300
	v_mul_f64_e32 v[20:21], v[12:13], v[132:133]
	v_mul_f64_e32 v[22:23], v[14:15], v[132:133]
	v_fmac_f64_e32 v[142:143], v[6:7], v[126:127]
	v_fma_f64 v[122:123], v[4:5], v[126:127], -v[128:129]
	v_add_f64_e32 v[124:125], v[10:11], v[8:9]
	v_add_f64_e32 v[16:17], v[16:17], v[18:19]
	ds_load_b128 v[4:7], v2 offset:1504
	ds_load_b128 v[8:11], v2 offset:1520
	v_fmac_f64_e32 v[20:21], v[14:15], v[130:131]
	v_fma_f64 v[12:13], v[12:13], v[130:131], -v[22:23]
	s_wait_loadcnt_dscnt 0x201
	v_mul_f64_e32 v[2:3], v[4:5], v[136:137]
	v_mul_f64_e32 v[18:19], v[6:7], v[136:137]
	s_wait_loadcnt_dscnt 0x100
	v_mul_f64_e32 v[22:23], v[8:9], v[140:141]
	v_add_f64_e32 v[14:15], v[124:125], v[122:123]
	v_add_f64_e32 v[16:17], v[16:17], v[142:143]
	v_mul_f64_e32 v[122:123], v[10:11], v[140:141]
	v_fmac_f64_e32 v[2:3], v[6:7], v[134:135]
	v_fma_f64 v[4:5], v[4:5], v[134:135], -v[18:19]
	v_fmac_f64_e32 v[22:23], v[10:11], v[138:139]
	v_add_f64_e32 v[6:7], v[14:15], v[12:13]
	v_add_f64_e32 v[12:13], v[16:17], v[20:21]
	v_fma_f64 v[8:9], v[8:9], v[138:139], -v[122:123]
	s_delay_alu instid0(VALU_DEP_3) | instskip(NEXT) | instid1(VALU_DEP_3)
	v_add_f64_e32 v[4:5], v[6:7], v[4:5]
	v_add_f64_e32 v[2:3], v[12:13], v[2:3]
	s_delay_alu instid0(VALU_DEP_2) | instskip(NEXT) | instid1(VALU_DEP_2)
	v_add_f64_e32 v[4:5], v[4:5], v[8:9]
	v_add_f64_e32 v[6:7], v[2:3], v[22:23]
	s_wait_loadcnt 0x0
	s_delay_alu instid0(VALU_DEP_2) | instskip(NEXT) | instid1(VALU_DEP_2)
	v_add_f64_e64 v[2:3], v[150:151], -v[4:5]
	v_add_f64_e64 v[4:5], v[152:153], -v[6:7]
	scratch_store_b128 off, v[2:5], off offset:592
	s_wait_xcnt 0x0
	v_cmpx_lt_u32_e32 36, v1
	s_cbranch_execz .LBB47_229
; %bb.228:
	scratch_load_b128 v[2:5], off, s13
	v_mov_b32_e32 v6, 0
	s_delay_alu instid0(VALU_DEP_1)
	v_dual_mov_b32 v7, v6 :: v_dual_mov_b32 v8, v6
	v_mov_b32_e32 v9, v6
	scratch_store_b128 off, v[6:9], off offset:576
	s_wait_loadcnt 0x0
	ds_store_b128 v120, v[2:5]
.LBB47_229:
	s_wait_xcnt 0x0
	s_or_b32 exec_lo, exec_lo, s2
	s_wait_storecnt_dscnt 0x0
	s_barrier_signal -1
	s_barrier_wait -1
	s_clause 0x9
	scratch_load_b128 v[4:7], off, off offset:592
	scratch_load_b128 v[8:11], off, off offset:608
	;; [unrolled: 1-line block ×10, first 2 shown]
	v_mov_b32_e32 v2, 0
	s_mov_b32 s2, exec_lo
	ds_load_b128 v[142:145], v2 offset:1360
	s_clause 0x1
	scratch_load_b128 v[146:149], off, off offset:752
	scratch_load_b128 v[150:153], off, off offset:576
	s_wait_loadcnt_dscnt 0xb00
	v_mul_f64_e32 v[158:159], v[144:145], v[6:7]
	v_mul_f64_e32 v[160:161], v[142:143], v[6:7]
	ds_load_b128 v[154:157], v2 offset:1376
	s_wait_loadcnt_dscnt 0xa00
	v_mul_f64_e32 v[162:163], v[154:155], v[10:11]
	v_mul_f64_e32 v[10:11], v[156:157], v[10:11]
	v_fma_f64 v[158:159], v[142:143], v[4:5], -v[158:159]
	v_fmac_f64_e32 v[160:161], v[144:145], v[4:5]
	ds_load_b128 v[4:7], v2 offset:1392
	ds_load_b128 v[142:145], v2 offset:1408
	s_wait_loadcnt_dscnt 0x901
	v_mul_f64_e32 v[164:165], v[4:5], v[14:15]
	v_mul_f64_e32 v[14:15], v[6:7], v[14:15]
	v_fmac_f64_e32 v[162:163], v[156:157], v[8:9]
	v_fma_f64 v[8:9], v[154:155], v[8:9], -v[10:11]
	s_wait_loadcnt_dscnt 0x800
	v_mul_f64_e32 v[156:157], v[142:143], v[18:19]
	v_mul_f64_e32 v[18:19], v[144:145], v[18:19]
	v_add_f64_e32 v[10:11], 0, v[158:159]
	v_add_f64_e32 v[154:155], 0, v[160:161]
	v_fmac_f64_e32 v[164:165], v[6:7], v[12:13]
	v_fma_f64 v[12:13], v[4:5], v[12:13], -v[14:15]
	v_fmac_f64_e32 v[156:157], v[144:145], v[16:17]
	v_fma_f64 v[16:17], v[142:143], v[16:17], -v[18:19]
	v_add_f64_e32 v[14:15], v[10:11], v[8:9]
	v_add_f64_e32 v[154:155], v[154:155], v[162:163]
	ds_load_b128 v[4:7], v2 offset:1424
	ds_load_b128 v[8:11], v2 offset:1440
	s_wait_loadcnt_dscnt 0x701
	v_mul_f64_e32 v[158:159], v[4:5], v[22:23]
	v_mul_f64_e32 v[22:23], v[6:7], v[22:23]
	s_wait_loadcnt_dscnt 0x600
	v_mul_f64_e32 v[18:19], v[8:9], v[124:125]
	v_mul_f64_e32 v[124:125], v[10:11], v[124:125]
	v_add_f64_e32 v[12:13], v[14:15], v[12:13]
	v_add_f64_e32 v[14:15], v[154:155], v[164:165]
	v_fmac_f64_e32 v[158:159], v[6:7], v[20:21]
	v_fma_f64 v[20:21], v[4:5], v[20:21], -v[22:23]
	v_fmac_f64_e32 v[18:19], v[10:11], v[122:123]
	v_fma_f64 v[8:9], v[8:9], v[122:123], -v[124:125]
	v_add_f64_e32 v[16:17], v[12:13], v[16:17]
	v_add_f64_e32 v[22:23], v[14:15], v[156:157]
	ds_load_b128 v[4:7], v2 offset:1456
	ds_load_b128 v[12:15], v2 offset:1472
	s_wait_loadcnt_dscnt 0x501
	v_mul_f64_e32 v[142:143], v[4:5], v[128:129]
	v_mul_f64_e32 v[128:129], v[6:7], v[128:129]
	v_add_f64_e32 v[10:11], v[16:17], v[20:21]
	v_add_f64_e32 v[16:17], v[22:23], v[158:159]
	s_wait_loadcnt_dscnt 0x400
	v_mul_f64_e32 v[20:21], v[12:13], v[132:133]
	v_mul_f64_e32 v[22:23], v[14:15], v[132:133]
	v_fmac_f64_e32 v[142:143], v[6:7], v[126:127]
	v_fma_f64 v[122:123], v[4:5], v[126:127], -v[128:129]
	v_add_f64_e32 v[124:125], v[10:11], v[8:9]
	v_add_f64_e32 v[16:17], v[16:17], v[18:19]
	ds_load_b128 v[4:7], v2 offset:1488
	ds_load_b128 v[8:11], v2 offset:1504
	v_fmac_f64_e32 v[20:21], v[14:15], v[130:131]
	v_fma_f64 v[12:13], v[12:13], v[130:131], -v[22:23]
	s_wait_loadcnt_dscnt 0x301
	v_mul_f64_e32 v[18:19], v[4:5], v[136:137]
	v_mul_f64_e32 v[126:127], v[6:7], v[136:137]
	s_wait_loadcnt_dscnt 0x200
	v_mul_f64_e32 v[22:23], v[8:9], v[140:141]
	v_add_f64_e32 v[14:15], v[124:125], v[122:123]
	v_add_f64_e32 v[16:17], v[16:17], v[142:143]
	v_mul_f64_e32 v[122:123], v[10:11], v[140:141]
	v_fmac_f64_e32 v[18:19], v[6:7], v[134:135]
	v_fma_f64 v[124:125], v[4:5], v[134:135], -v[126:127]
	ds_load_b128 v[4:7], v2 offset:1520
	v_fmac_f64_e32 v[22:23], v[10:11], v[138:139]
	v_add_f64_e32 v[12:13], v[14:15], v[12:13]
	v_add_f64_e32 v[14:15], v[16:17], v[20:21]
	v_fma_f64 v[8:9], v[8:9], v[138:139], -v[122:123]
	s_wait_loadcnt_dscnt 0x100
	v_mul_f64_e32 v[16:17], v[4:5], v[148:149]
	v_mul_f64_e32 v[20:21], v[6:7], v[148:149]
	v_add_f64_e32 v[10:11], v[12:13], v[124:125]
	v_add_f64_e32 v[12:13], v[14:15], v[18:19]
	s_delay_alu instid0(VALU_DEP_4) | instskip(NEXT) | instid1(VALU_DEP_4)
	v_fmac_f64_e32 v[16:17], v[6:7], v[146:147]
	v_fma_f64 v[4:5], v[4:5], v[146:147], -v[20:21]
	s_delay_alu instid0(VALU_DEP_4) | instskip(NEXT) | instid1(VALU_DEP_4)
	v_add_f64_e32 v[6:7], v[10:11], v[8:9]
	v_add_f64_e32 v[8:9], v[12:13], v[22:23]
	s_delay_alu instid0(VALU_DEP_2) | instskip(NEXT) | instid1(VALU_DEP_2)
	v_add_f64_e32 v[4:5], v[6:7], v[4:5]
	v_add_f64_e32 v[6:7], v[8:9], v[16:17]
	s_wait_loadcnt 0x0
	s_delay_alu instid0(VALU_DEP_2) | instskip(NEXT) | instid1(VALU_DEP_2)
	v_add_f64_e64 v[4:5], v[150:151], -v[4:5]
	v_add_f64_e64 v[6:7], v[152:153], -v[6:7]
	scratch_store_b128 off, v[4:7], off offset:576
	s_wait_xcnt 0x0
	v_cmpx_lt_u32_e32 35, v1
	s_cbranch_execz .LBB47_231
; %bb.230:
	scratch_load_b128 v[6:9], off, s12
	v_dual_mov_b32 v3, v2 :: v_dual_mov_b32 v4, v2
	v_mov_b32_e32 v5, v2
	scratch_store_b128 off, v[2:5], off offset:560
	s_wait_loadcnt 0x0
	ds_store_b128 v120, v[6:9]
.LBB47_231:
	s_wait_xcnt 0x0
	s_or_b32 exec_lo, exec_lo, s2
	s_wait_storecnt_dscnt 0x0
	s_barrier_signal -1
	s_barrier_wait -1
	s_clause 0x9
	scratch_load_b128 v[4:7], off, off offset:576
	scratch_load_b128 v[8:11], off, off offset:592
	;; [unrolled: 1-line block ×10, first 2 shown]
	ds_load_b128 v[142:145], v2 offset:1344
	ds_load_b128 v[150:153], v2 offset:1360
	s_clause 0x2
	scratch_load_b128 v[146:149], off, off offset:736
	scratch_load_b128 v[154:157], off, off offset:560
	;; [unrolled: 1-line block ×3, first 2 shown]
	s_mov_b32 s2, exec_lo
	s_wait_loadcnt_dscnt 0xc01
	v_mul_f64_e32 v[162:163], v[144:145], v[6:7]
	v_mul_f64_e32 v[164:165], v[142:143], v[6:7]
	s_wait_loadcnt_dscnt 0xb00
	v_mul_f64_e32 v[166:167], v[150:151], v[10:11]
	v_mul_f64_e32 v[10:11], v[152:153], v[10:11]
	s_delay_alu instid0(VALU_DEP_4) | instskip(NEXT) | instid1(VALU_DEP_4)
	v_fma_f64 v[162:163], v[142:143], v[4:5], -v[162:163]
	v_fmac_f64_e32 v[164:165], v[144:145], v[4:5]
	ds_load_b128 v[4:7], v2 offset:1376
	ds_load_b128 v[142:145], v2 offset:1392
	v_fmac_f64_e32 v[166:167], v[152:153], v[8:9]
	v_fma_f64 v[8:9], v[150:151], v[8:9], -v[10:11]
	s_wait_loadcnt_dscnt 0xa01
	v_mul_f64_e32 v[168:169], v[4:5], v[14:15]
	v_mul_f64_e32 v[14:15], v[6:7], v[14:15]
	s_wait_loadcnt_dscnt 0x900
	v_mul_f64_e32 v[152:153], v[142:143], v[18:19]
	v_mul_f64_e32 v[18:19], v[144:145], v[18:19]
	v_add_f64_e32 v[10:11], 0, v[162:163]
	v_add_f64_e32 v[150:151], 0, v[164:165]
	v_fmac_f64_e32 v[168:169], v[6:7], v[12:13]
	v_fma_f64 v[12:13], v[4:5], v[12:13], -v[14:15]
	v_fmac_f64_e32 v[152:153], v[144:145], v[16:17]
	v_fma_f64 v[16:17], v[142:143], v[16:17], -v[18:19]
	v_add_f64_e32 v[14:15], v[10:11], v[8:9]
	v_add_f64_e32 v[150:151], v[150:151], v[166:167]
	ds_load_b128 v[4:7], v2 offset:1408
	ds_load_b128 v[8:11], v2 offset:1424
	s_wait_loadcnt_dscnt 0x801
	v_mul_f64_e32 v[162:163], v[4:5], v[22:23]
	v_mul_f64_e32 v[22:23], v[6:7], v[22:23]
	s_wait_loadcnt_dscnt 0x700
	v_mul_f64_e32 v[18:19], v[8:9], v[124:125]
	v_mul_f64_e32 v[124:125], v[10:11], v[124:125]
	v_add_f64_e32 v[12:13], v[14:15], v[12:13]
	v_add_f64_e32 v[14:15], v[150:151], v[168:169]
	v_fmac_f64_e32 v[162:163], v[6:7], v[20:21]
	v_fma_f64 v[20:21], v[4:5], v[20:21], -v[22:23]
	v_fmac_f64_e32 v[18:19], v[10:11], v[122:123]
	v_fma_f64 v[8:9], v[8:9], v[122:123], -v[124:125]
	v_add_f64_e32 v[16:17], v[12:13], v[16:17]
	v_add_f64_e32 v[22:23], v[14:15], v[152:153]
	ds_load_b128 v[4:7], v2 offset:1440
	ds_load_b128 v[12:15], v2 offset:1456
	s_wait_loadcnt_dscnt 0x601
	v_mul_f64_e32 v[142:143], v[4:5], v[128:129]
	v_mul_f64_e32 v[128:129], v[6:7], v[128:129]
	v_add_f64_e32 v[10:11], v[16:17], v[20:21]
	v_add_f64_e32 v[16:17], v[22:23], v[162:163]
	s_wait_loadcnt_dscnt 0x500
	v_mul_f64_e32 v[20:21], v[12:13], v[132:133]
	v_mul_f64_e32 v[22:23], v[14:15], v[132:133]
	v_fmac_f64_e32 v[142:143], v[6:7], v[126:127]
	v_fma_f64 v[122:123], v[4:5], v[126:127], -v[128:129]
	v_add_f64_e32 v[124:125], v[10:11], v[8:9]
	v_add_f64_e32 v[16:17], v[16:17], v[18:19]
	ds_load_b128 v[4:7], v2 offset:1472
	ds_load_b128 v[8:11], v2 offset:1488
	v_fmac_f64_e32 v[20:21], v[14:15], v[130:131]
	v_fma_f64 v[12:13], v[12:13], v[130:131], -v[22:23]
	s_wait_loadcnt_dscnt 0x401
	v_mul_f64_e32 v[18:19], v[4:5], v[136:137]
	v_mul_f64_e32 v[126:127], v[6:7], v[136:137]
	s_wait_loadcnt_dscnt 0x300
	v_mul_f64_e32 v[22:23], v[8:9], v[140:141]
	v_add_f64_e32 v[14:15], v[124:125], v[122:123]
	v_add_f64_e32 v[16:17], v[16:17], v[142:143]
	v_mul_f64_e32 v[122:123], v[10:11], v[140:141]
	v_fmac_f64_e32 v[18:19], v[6:7], v[134:135]
	v_fma_f64 v[124:125], v[4:5], v[134:135], -v[126:127]
	v_fmac_f64_e32 v[22:23], v[10:11], v[138:139]
	v_add_f64_e32 v[126:127], v[14:15], v[12:13]
	v_add_f64_e32 v[16:17], v[16:17], v[20:21]
	ds_load_b128 v[4:7], v2 offset:1504
	ds_load_b128 v[12:15], v2 offset:1520
	v_fma_f64 v[8:9], v[8:9], v[138:139], -v[122:123]
	s_wait_loadcnt_dscnt 0x201
	v_mul_f64_e32 v[2:3], v[4:5], v[148:149]
	v_mul_f64_e32 v[20:21], v[6:7], v[148:149]
	s_wait_loadcnt_dscnt 0x0
	v_mul_f64_e32 v[122:123], v[14:15], v[160:161]
	v_add_f64_e32 v[10:11], v[126:127], v[124:125]
	v_add_f64_e32 v[16:17], v[16:17], v[18:19]
	v_mul_f64_e32 v[18:19], v[12:13], v[160:161]
	v_fmac_f64_e32 v[2:3], v[6:7], v[146:147]
	v_fma_f64 v[4:5], v[4:5], v[146:147], -v[20:21]
	v_add_f64_e32 v[6:7], v[10:11], v[8:9]
	v_add_f64_e32 v[8:9], v[16:17], v[22:23]
	v_fmac_f64_e32 v[18:19], v[14:15], v[158:159]
	v_fma_f64 v[10:11], v[12:13], v[158:159], -v[122:123]
	s_delay_alu instid0(VALU_DEP_4) | instskip(NEXT) | instid1(VALU_DEP_4)
	v_add_f64_e32 v[4:5], v[6:7], v[4:5]
	v_add_f64_e32 v[2:3], v[8:9], v[2:3]
	s_delay_alu instid0(VALU_DEP_2) | instskip(NEXT) | instid1(VALU_DEP_2)
	v_add_f64_e32 v[4:5], v[4:5], v[10:11]
	v_add_f64_e32 v[6:7], v[2:3], v[18:19]
	s_delay_alu instid0(VALU_DEP_2) | instskip(NEXT) | instid1(VALU_DEP_2)
	v_add_f64_e64 v[2:3], v[154:155], -v[4:5]
	v_add_f64_e64 v[4:5], v[156:157], -v[6:7]
	scratch_store_b128 off, v[2:5], off offset:560
	s_wait_xcnt 0x0
	v_cmpx_lt_u32_e32 34, v1
	s_cbranch_execz .LBB47_233
; %bb.232:
	scratch_load_b128 v[2:5], off, s20
	v_mov_b32_e32 v6, 0
	s_delay_alu instid0(VALU_DEP_1)
	v_dual_mov_b32 v7, v6 :: v_dual_mov_b32 v8, v6
	v_mov_b32_e32 v9, v6
	scratch_store_b128 off, v[6:9], off offset:544
	s_wait_loadcnt 0x0
	ds_store_b128 v120, v[2:5]
.LBB47_233:
	s_wait_xcnt 0x0
	s_or_b32 exec_lo, exec_lo, s2
	s_wait_storecnt_dscnt 0x0
	s_barrier_signal -1
	s_barrier_wait -1
	s_clause 0x9
	scratch_load_b128 v[4:7], off, off offset:560
	scratch_load_b128 v[8:11], off, off offset:576
	scratch_load_b128 v[12:15], off, off offset:592
	scratch_load_b128 v[16:19], off, off offset:608
	scratch_load_b128 v[20:23], off, off offset:624
	scratch_load_b128 v[122:125], off, off offset:640
	scratch_load_b128 v[126:129], off, off offset:656
	scratch_load_b128 v[130:133], off, off offset:672
	scratch_load_b128 v[134:137], off, off offset:688
	scratch_load_b128 v[138:141], off, off offset:704
	v_mov_b32_e32 v2, 0
	s_mov_b32 s2, exec_lo
	ds_load_b128 v[142:145], v2 offset:1328
	s_clause 0x2
	scratch_load_b128 v[146:149], off, off offset:720
	scratch_load_b128 v[150:153], off, off offset:544
	;; [unrolled: 1-line block ×3, first 2 shown]
	s_wait_loadcnt_dscnt 0xc00
	v_mul_f64_e32 v[162:163], v[144:145], v[6:7]
	v_mul_f64_e32 v[166:167], v[142:143], v[6:7]
	ds_load_b128 v[154:157], v2 offset:1344
	v_fma_f64 v[170:171], v[142:143], v[4:5], -v[162:163]
	v_fmac_f64_e32 v[166:167], v[144:145], v[4:5]
	ds_load_b128 v[4:7], v2 offset:1360
	s_wait_loadcnt_dscnt 0xb01
	v_mul_f64_e32 v[168:169], v[154:155], v[10:11]
	v_mul_f64_e32 v[10:11], v[156:157], v[10:11]
	scratch_load_b128 v[142:145], off, off offset:752
	ds_load_b128 v[162:165], v2 offset:1376
	s_wait_loadcnt_dscnt 0xb01
	v_mul_f64_e32 v[172:173], v[4:5], v[14:15]
	v_mul_f64_e32 v[14:15], v[6:7], v[14:15]
	v_fmac_f64_e32 v[168:169], v[156:157], v[8:9]
	v_fma_f64 v[8:9], v[154:155], v[8:9], -v[10:11]
	v_add_f64_e32 v[10:11], 0, v[170:171]
	v_add_f64_e32 v[154:155], 0, v[166:167]
	s_wait_loadcnt_dscnt 0xa00
	v_mul_f64_e32 v[156:157], v[162:163], v[18:19]
	v_mul_f64_e32 v[18:19], v[164:165], v[18:19]
	v_fmac_f64_e32 v[172:173], v[6:7], v[12:13]
	v_fma_f64 v[12:13], v[4:5], v[12:13], -v[14:15]
	v_add_f64_e32 v[14:15], v[10:11], v[8:9]
	v_add_f64_e32 v[154:155], v[154:155], v[168:169]
	ds_load_b128 v[4:7], v2 offset:1392
	ds_load_b128 v[8:11], v2 offset:1408
	v_fmac_f64_e32 v[156:157], v[164:165], v[16:17]
	v_fma_f64 v[16:17], v[162:163], v[16:17], -v[18:19]
	s_wait_loadcnt_dscnt 0x901
	v_mul_f64_e32 v[166:167], v[4:5], v[22:23]
	v_mul_f64_e32 v[22:23], v[6:7], v[22:23]
	s_wait_loadcnt_dscnt 0x800
	v_mul_f64_e32 v[18:19], v[8:9], v[124:125]
	v_mul_f64_e32 v[124:125], v[10:11], v[124:125]
	v_add_f64_e32 v[12:13], v[14:15], v[12:13]
	v_add_f64_e32 v[14:15], v[154:155], v[172:173]
	v_fmac_f64_e32 v[166:167], v[6:7], v[20:21]
	v_fma_f64 v[20:21], v[4:5], v[20:21], -v[22:23]
	v_fmac_f64_e32 v[18:19], v[10:11], v[122:123]
	v_fma_f64 v[8:9], v[8:9], v[122:123], -v[124:125]
	v_add_f64_e32 v[16:17], v[12:13], v[16:17]
	v_add_f64_e32 v[22:23], v[14:15], v[156:157]
	ds_load_b128 v[4:7], v2 offset:1424
	ds_load_b128 v[12:15], v2 offset:1440
	s_wait_loadcnt_dscnt 0x701
	v_mul_f64_e32 v[154:155], v[4:5], v[128:129]
	v_mul_f64_e32 v[128:129], v[6:7], v[128:129]
	v_add_f64_e32 v[10:11], v[16:17], v[20:21]
	v_add_f64_e32 v[16:17], v[22:23], v[166:167]
	s_wait_loadcnt_dscnt 0x600
	v_mul_f64_e32 v[20:21], v[12:13], v[132:133]
	v_mul_f64_e32 v[22:23], v[14:15], v[132:133]
	v_fmac_f64_e32 v[154:155], v[6:7], v[126:127]
	v_fma_f64 v[122:123], v[4:5], v[126:127], -v[128:129]
	v_add_f64_e32 v[124:125], v[10:11], v[8:9]
	v_add_f64_e32 v[16:17], v[16:17], v[18:19]
	ds_load_b128 v[4:7], v2 offset:1456
	ds_load_b128 v[8:11], v2 offset:1472
	v_fmac_f64_e32 v[20:21], v[14:15], v[130:131]
	v_fma_f64 v[12:13], v[12:13], v[130:131], -v[22:23]
	s_wait_loadcnt_dscnt 0x501
	v_mul_f64_e32 v[18:19], v[4:5], v[136:137]
	v_mul_f64_e32 v[126:127], v[6:7], v[136:137]
	s_wait_loadcnt_dscnt 0x400
	v_mul_f64_e32 v[22:23], v[8:9], v[140:141]
	v_add_f64_e32 v[14:15], v[124:125], v[122:123]
	v_add_f64_e32 v[16:17], v[16:17], v[154:155]
	v_mul_f64_e32 v[122:123], v[10:11], v[140:141]
	v_fmac_f64_e32 v[18:19], v[6:7], v[134:135]
	v_fma_f64 v[124:125], v[4:5], v[134:135], -v[126:127]
	v_fmac_f64_e32 v[22:23], v[10:11], v[138:139]
	v_add_f64_e32 v[126:127], v[14:15], v[12:13]
	v_add_f64_e32 v[16:17], v[16:17], v[20:21]
	ds_load_b128 v[4:7], v2 offset:1488
	ds_load_b128 v[12:15], v2 offset:1504
	v_fma_f64 v[8:9], v[8:9], v[138:139], -v[122:123]
	s_wait_loadcnt_dscnt 0x301
	v_mul_f64_e32 v[20:21], v[4:5], v[148:149]
	v_mul_f64_e32 v[128:129], v[6:7], v[148:149]
	s_wait_loadcnt_dscnt 0x100
	v_mul_f64_e32 v[122:123], v[14:15], v[160:161]
	v_add_f64_e32 v[10:11], v[126:127], v[124:125]
	v_add_f64_e32 v[16:17], v[16:17], v[18:19]
	v_mul_f64_e32 v[18:19], v[12:13], v[160:161]
	v_fmac_f64_e32 v[20:21], v[6:7], v[146:147]
	v_fma_f64 v[124:125], v[4:5], v[146:147], -v[128:129]
	ds_load_b128 v[4:7], v2 offset:1520
	v_fma_f64 v[12:13], v[12:13], v[158:159], -v[122:123]
	v_add_f64_e32 v[8:9], v[10:11], v[8:9]
	v_add_f64_e32 v[10:11], v[16:17], v[22:23]
	v_fmac_f64_e32 v[18:19], v[14:15], v[158:159]
	s_wait_loadcnt_dscnt 0x0
	v_mul_f64_e32 v[16:17], v[4:5], v[144:145]
	v_mul_f64_e32 v[22:23], v[6:7], v[144:145]
	v_add_f64_e32 v[8:9], v[8:9], v[124:125]
	v_add_f64_e32 v[10:11], v[10:11], v[20:21]
	s_delay_alu instid0(VALU_DEP_4) | instskip(NEXT) | instid1(VALU_DEP_4)
	v_fmac_f64_e32 v[16:17], v[6:7], v[142:143]
	v_fma_f64 v[4:5], v[4:5], v[142:143], -v[22:23]
	s_delay_alu instid0(VALU_DEP_4) | instskip(NEXT) | instid1(VALU_DEP_4)
	v_add_f64_e32 v[6:7], v[8:9], v[12:13]
	v_add_f64_e32 v[8:9], v[10:11], v[18:19]
	s_delay_alu instid0(VALU_DEP_2) | instskip(NEXT) | instid1(VALU_DEP_2)
	v_add_f64_e32 v[4:5], v[6:7], v[4:5]
	v_add_f64_e32 v[6:7], v[8:9], v[16:17]
	s_delay_alu instid0(VALU_DEP_2) | instskip(NEXT) | instid1(VALU_DEP_2)
	v_add_f64_e64 v[4:5], v[150:151], -v[4:5]
	v_add_f64_e64 v[6:7], v[152:153], -v[6:7]
	scratch_store_b128 off, v[4:7], off offset:544
	s_wait_xcnt 0x0
	v_cmpx_lt_u32_e32 33, v1
	s_cbranch_execz .LBB47_235
; %bb.234:
	scratch_load_b128 v[6:9], off, s15
	v_dual_mov_b32 v3, v2 :: v_dual_mov_b32 v4, v2
	v_mov_b32_e32 v5, v2
	scratch_store_b128 off, v[2:5], off offset:528
	s_wait_loadcnt 0x0
	ds_store_b128 v120, v[6:9]
.LBB47_235:
	s_wait_xcnt 0x0
	s_or_b32 exec_lo, exec_lo, s2
	s_wait_storecnt_dscnt 0x0
	s_barrier_signal -1
	s_barrier_wait -1
	s_clause 0x9
	scratch_load_b128 v[4:7], off, off offset:544
	scratch_load_b128 v[8:11], off, off offset:560
	;; [unrolled: 1-line block ×10, first 2 shown]
	ds_load_b128 v[142:145], v2 offset:1312
	ds_load_b128 v[150:153], v2 offset:1328
	s_clause 0x2
	scratch_load_b128 v[146:149], off, off offset:704
	scratch_load_b128 v[154:157], off, off offset:528
	;; [unrolled: 1-line block ×3, first 2 shown]
	s_mov_b32 s2, exec_lo
	s_wait_loadcnt_dscnt 0xc01
	v_mul_f64_e32 v[162:163], v[144:145], v[6:7]
	v_mul_f64_e32 v[166:167], v[142:143], v[6:7]
	s_wait_loadcnt_dscnt 0xb00
	v_mul_f64_e32 v[168:169], v[150:151], v[10:11]
	v_mul_f64_e32 v[10:11], v[152:153], v[10:11]
	s_delay_alu instid0(VALU_DEP_4) | instskip(NEXT) | instid1(VALU_DEP_4)
	v_fma_f64 v[170:171], v[142:143], v[4:5], -v[162:163]
	v_fmac_f64_e32 v[166:167], v[144:145], v[4:5]
	ds_load_b128 v[4:7], v2 offset:1344
	ds_load_b128 v[142:145], v2 offset:1360
	scratch_load_b128 v[162:165], off, off offset:736
	v_fmac_f64_e32 v[168:169], v[152:153], v[8:9]
	v_fma_f64 v[150:151], v[150:151], v[8:9], -v[10:11]
	scratch_load_b128 v[8:11], off, off offset:752
	s_wait_loadcnt_dscnt 0xc01
	v_mul_f64_e32 v[172:173], v[4:5], v[14:15]
	v_mul_f64_e32 v[14:15], v[6:7], v[14:15]
	v_add_f64_e32 v[152:153], 0, v[170:171]
	v_add_f64_e32 v[166:167], 0, v[166:167]
	s_wait_loadcnt_dscnt 0xb00
	v_mul_f64_e32 v[170:171], v[142:143], v[18:19]
	v_mul_f64_e32 v[18:19], v[144:145], v[18:19]
	v_fmac_f64_e32 v[172:173], v[6:7], v[12:13]
	v_fma_f64 v[174:175], v[4:5], v[12:13], -v[14:15]
	ds_load_b128 v[4:7], v2 offset:1376
	ds_load_b128 v[12:15], v2 offset:1392
	v_add_f64_e32 v[150:151], v[152:153], v[150:151]
	v_add_f64_e32 v[152:153], v[166:167], v[168:169]
	v_fmac_f64_e32 v[170:171], v[144:145], v[16:17]
	v_fma_f64 v[16:17], v[142:143], v[16:17], -v[18:19]
	s_wait_loadcnt_dscnt 0xa01
	v_mul_f64_e32 v[166:167], v[4:5], v[22:23]
	v_mul_f64_e32 v[22:23], v[6:7], v[22:23]
	s_wait_loadcnt_dscnt 0x900
	v_mul_f64_e32 v[144:145], v[12:13], v[124:125]
	v_mul_f64_e32 v[124:125], v[14:15], v[124:125]
	v_add_f64_e32 v[18:19], v[150:151], v[174:175]
	v_add_f64_e32 v[142:143], v[152:153], v[172:173]
	v_fmac_f64_e32 v[166:167], v[6:7], v[20:21]
	v_fma_f64 v[20:21], v[4:5], v[20:21], -v[22:23]
	v_fmac_f64_e32 v[144:145], v[14:15], v[122:123]
	v_fma_f64 v[12:13], v[12:13], v[122:123], -v[124:125]
	v_add_f64_e32 v[22:23], v[18:19], v[16:17]
	v_add_f64_e32 v[142:143], v[142:143], v[170:171]
	ds_load_b128 v[4:7], v2 offset:1408
	ds_load_b128 v[16:19], v2 offset:1424
	s_wait_loadcnt_dscnt 0x801
	v_mul_f64_e32 v[150:151], v[4:5], v[128:129]
	v_mul_f64_e32 v[128:129], v[6:7], v[128:129]
	s_wait_loadcnt_dscnt 0x700
	v_mul_f64_e32 v[122:123], v[18:19], v[132:133]
	v_add_f64_e32 v[14:15], v[22:23], v[20:21]
	v_add_f64_e32 v[20:21], v[142:143], v[166:167]
	v_mul_f64_e32 v[22:23], v[16:17], v[132:133]
	v_fmac_f64_e32 v[150:151], v[6:7], v[126:127]
	v_fma_f64 v[124:125], v[4:5], v[126:127], -v[128:129]
	v_fma_f64 v[16:17], v[16:17], v[130:131], -v[122:123]
	v_add_f64_e32 v[126:127], v[14:15], v[12:13]
	v_add_f64_e32 v[20:21], v[20:21], v[144:145]
	ds_load_b128 v[4:7], v2 offset:1440
	ds_load_b128 v[12:15], v2 offset:1456
	v_fmac_f64_e32 v[22:23], v[18:19], v[130:131]
	s_wait_loadcnt_dscnt 0x601
	v_mul_f64_e32 v[128:129], v[4:5], v[136:137]
	v_mul_f64_e32 v[132:133], v[6:7], v[136:137]
	s_wait_loadcnt_dscnt 0x500
	v_mul_f64_e32 v[122:123], v[12:13], v[140:141]
	v_add_f64_e32 v[18:19], v[126:127], v[124:125]
	v_add_f64_e32 v[20:21], v[20:21], v[150:151]
	v_mul_f64_e32 v[124:125], v[14:15], v[140:141]
	v_fmac_f64_e32 v[128:129], v[6:7], v[134:135]
	v_fma_f64 v[126:127], v[4:5], v[134:135], -v[132:133]
	v_fmac_f64_e32 v[122:123], v[14:15], v[138:139]
	v_add_f64_e32 v[130:131], v[18:19], v[16:17]
	v_add_f64_e32 v[20:21], v[20:21], v[22:23]
	ds_load_b128 v[4:7], v2 offset:1472
	ds_load_b128 v[16:19], v2 offset:1488
	v_fma_f64 v[12:13], v[12:13], v[138:139], -v[124:125]
	s_wait_loadcnt_dscnt 0x401
	v_mul_f64_e32 v[22:23], v[4:5], v[148:149]
	v_mul_f64_e32 v[132:133], v[6:7], v[148:149]
	s_wait_loadcnt_dscnt 0x200
	v_mul_f64_e32 v[124:125], v[16:17], v[160:161]
	v_add_f64_e32 v[14:15], v[130:131], v[126:127]
	v_add_f64_e32 v[20:21], v[20:21], v[128:129]
	v_mul_f64_e32 v[126:127], v[18:19], v[160:161]
	v_fmac_f64_e32 v[22:23], v[6:7], v[146:147]
	v_fma_f64 v[128:129], v[4:5], v[146:147], -v[132:133]
	v_fmac_f64_e32 v[124:125], v[18:19], v[158:159]
	v_add_f64_e32 v[130:131], v[14:15], v[12:13]
	v_add_f64_e32 v[20:21], v[20:21], v[122:123]
	ds_load_b128 v[4:7], v2 offset:1504
	ds_load_b128 v[12:15], v2 offset:1520
	v_fma_f64 v[16:17], v[16:17], v[158:159], -v[126:127]
	s_wait_loadcnt_dscnt 0x101
	v_mul_f64_e32 v[2:3], v[4:5], v[164:165]
	v_mul_f64_e32 v[122:123], v[6:7], v[164:165]
	v_add_f64_e32 v[18:19], v[130:131], v[128:129]
	v_add_f64_e32 v[20:21], v[20:21], v[22:23]
	s_wait_loadcnt_dscnt 0x0
	v_mul_f64_e32 v[22:23], v[12:13], v[10:11]
	v_mul_f64_e32 v[10:11], v[14:15], v[10:11]
	v_fmac_f64_e32 v[2:3], v[6:7], v[162:163]
	v_fma_f64 v[4:5], v[4:5], v[162:163], -v[122:123]
	v_add_f64_e32 v[6:7], v[18:19], v[16:17]
	v_add_f64_e32 v[16:17], v[20:21], v[124:125]
	v_fmac_f64_e32 v[22:23], v[14:15], v[8:9]
	v_fma_f64 v[8:9], v[12:13], v[8:9], -v[10:11]
	s_delay_alu instid0(VALU_DEP_4) | instskip(NEXT) | instid1(VALU_DEP_4)
	v_add_f64_e32 v[4:5], v[6:7], v[4:5]
	v_add_f64_e32 v[2:3], v[16:17], v[2:3]
	s_delay_alu instid0(VALU_DEP_2) | instskip(NEXT) | instid1(VALU_DEP_2)
	v_add_f64_e32 v[4:5], v[4:5], v[8:9]
	v_add_f64_e32 v[6:7], v[2:3], v[22:23]
	s_delay_alu instid0(VALU_DEP_2) | instskip(NEXT) | instid1(VALU_DEP_2)
	v_add_f64_e64 v[2:3], v[154:155], -v[4:5]
	v_add_f64_e64 v[4:5], v[156:157], -v[6:7]
	scratch_store_b128 off, v[2:5], off offset:528
	s_wait_xcnt 0x0
	v_cmpx_lt_u32_e32 32, v1
	s_cbranch_execz .LBB47_237
; %bb.236:
	scratch_load_b128 v[2:5], off, s24
	v_mov_b32_e32 v6, 0
	s_delay_alu instid0(VALU_DEP_1)
	v_dual_mov_b32 v7, v6 :: v_dual_mov_b32 v8, v6
	v_mov_b32_e32 v9, v6
	scratch_store_b128 off, v[6:9], off offset:512
	s_wait_loadcnt 0x0
	ds_store_b128 v120, v[2:5]
.LBB47_237:
	s_wait_xcnt 0x0
	s_or_b32 exec_lo, exec_lo, s2
	s_wait_storecnt_dscnt 0x0
	s_barrier_signal -1
	s_barrier_wait -1
	s_clause 0x9
	scratch_load_b128 v[4:7], off, off offset:528
	scratch_load_b128 v[8:11], off, off offset:544
	;; [unrolled: 1-line block ×10, first 2 shown]
	v_mov_b32_e32 v2, 0
	s_mov_b32 s2, exec_lo
	ds_load_b128 v[142:145], v2 offset:1296
	s_clause 0x2
	scratch_load_b128 v[146:149], off, off offset:688
	scratch_load_b128 v[150:153], off, off offset:512
	;; [unrolled: 1-line block ×3, first 2 shown]
	s_wait_loadcnt_dscnt 0xc00
	v_mul_f64_e32 v[162:163], v[144:145], v[6:7]
	v_mul_f64_e32 v[166:167], v[142:143], v[6:7]
	ds_load_b128 v[154:157], v2 offset:1312
	v_fma_f64 v[170:171], v[142:143], v[4:5], -v[162:163]
	v_fmac_f64_e32 v[166:167], v[144:145], v[4:5]
	ds_load_b128 v[4:7], v2 offset:1328
	s_wait_loadcnt_dscnt 0xb01
	v_mul_f64_e32 v[168:169], v[154:155], v[10:11]
	v_mul_f64_e32 v[10:11], v[156:157], v[10:11]
	scratch_load_b128 v[142:145], off, off offset:720
	ds_load_b128 v[162:165], v2 offset:1344
	s_wait_loadcnt_dscnt 0xb01
	v_mul_f64_e32 v[172:173], v[4:5], v[14:15]
	v_mul_f64_e32 v[14:15], v[6:7], v[14:15]
	v_add_f64_e32 v[166:167], 0, v[166:167]
	v_fmac_f64_e32 v[168:169], v[156:157], v[8:9]
	v_fma_f64 v[154:155], v[154:155], v[8:9], -v[10:11]
	v_add_f64_e32 v[156:157], 0, v[170:171]
	scratch_load_b128 v[8:11], off, off offset:736
	v_fmac_f64_e32 v[172:173], v[6:7], v[12:13]
	v_fma_f64 v[174:175], v[4:5], v[12:13], -v[14:15]
	ds_load_b128 v[4:7], v2 offset:1360
	s_wait_loadcnt_dscnt 0xb01
	v_mul_f64_e32 v[170:171], v[162:163], v[18:19]
	v_mul_f64_e32 v[18:19], v[164:165], v[18:19]
	scratch_load_b128 v[12:15], off, off offset:752
	v_add_f64_e32 v[166:167], v[166:167], v[168:169]
	v_add_f64_e32 v[176:177], v[156:157], v[154:155]
	ds_load_b128 v[154:157], v2 offset:1376
	s_wait_loadcnt_dscnt 0xb01
	v_mul_f64_e32 v[168:169], v[4:5], v[22:23]
	v_mul_f64_e32 v[22:23], v[6:7], v[22:23]
	v_fmac_f64_e32 v[170:171], v[164:165], v[16:17]
	v_fma_f64 v[16:17], v[162:163], v[16:17], -v[18:19]
	s_wait_loadcnt_dscnt 0xa00
	v_mul_f64_e32 v[164:165], v[154:155], v[124:125]
	v_mul_f64_e32 v[124:125], v[156:157], v[124:125]
	v_add_f64_e32 v[162:163], v[166:167], v[172:173]
	v_add_f64_e32 v[18:19], v[176:177], v[174:175]
	v_fmac_f64_e32 v[168:169], v[6:7], v[20:21]
	v_fma_f64 v[20:21], v[4:5], v[20:21], -v[22:23]
	v_fmac_f64_e32 v[164:165], v[156:157], v[122:123]
	v_fma_f64 v[122:123], v[154:155], v[122:123], -v[124:125]
	v_add_f64_e32 v[162:163], v[162:163], v[170:171]
	v_add_f64_e32 v[22:23], v[18:19], v[16:17]
	ds_load_b128 v[4:7], v2 offset:1392
	ds_load_b128 v[16:19], v2 offset:1408
	s_wait_loadcnt_dscnt 0x901
	v_mul_f64_e32 v[166:167], v[4:5], v[128:129]
	v_mul_f64_e32 v[128:129], v[6:7], v[128:129]
	s_wait_loadcnt_dscnt 0x800
	v_mul_f64_e32 v[124:125], v[16:17], v[132:133]
	v_mul_f64_e32 v[132:133], v[18:19], v[132:133]
	v_add_f64_e32 v[20:21], v[22:23], v[20:21]
	v_add_f64_e32 v[22:23], v[162:163], v[168:169]
	v_fmac_f64_e32 v[166:167], v[6:7], v[126:127]
	v_fma_f64 v[126:127], v[4:5], v[126:127], -v[128:129]
	v_fmac_f64_e32 v[124:125], v[18:19], v[130:131]
	v_fma_f64 v[16:17], v[16:17], v[130:131], -v[132:133]
	v_add_f64_e32 v[122:123], v[20:21], v[122:123]
	v_add_f64_e32 v[128:129], v[22:23], v[164:165]
	ds_load_b128 v[4:7], v2 offset:1424
	ds_load_b128 v[20:23], v2 offset:1440
	s_wait_loadcnt_dscnt 0x701
	v_mul_f64_e32 v[154:155], v[4:5], v[136:137]
	v_mul_f64_e32 v[136:137], v[6:7], v[136:137]
	v_add_f64_e32 v[18:19], v[122:123], v[126:127]
	v_add_f64_e32 v[122:123], v[128:129], v[166:167]
	s_wait_loadcnt_dscnt 0x600
	v_mul_f64_e32 v[126:127], v[20:21], v[140:141]
	v_mul_f64_e32 v[128:129], v[22:23], v[140:141]
	v_fmac_f64_e32 v[154:155], v[6:7], v[134:135]
	v_fma_f64 v[130:131], v[4:5], v[134:135], -v[136:137]
	v_add_f64_e32 v[132:133], v[18:19], v[16:17]
	v_add_f64_e32 v[122:123], v[122:123], v[124:125]
	ds_load_b128 v[4:7], v2 offset:1456
	ds_load_b128 v[16:19], v2 offset:1472
	v_fmac_f64_e32 v[126:127], v[22:23], v[138:139]
	v_fma_f64 v[20:21], v[20:21], v[138:139], -v[128:129]
	s_wait_loadcnt_dscnt 0x501
	v_mul_f64_e32 v[124:125], v[4:5], v[148:149]
	v_mul_f64_e32 v[134:135], v[6:7], v[148:149]
	s_wait_loadcnt_dscnt 0x300
	v_mul_f64_e32 v[128:129], v[16:17], v[160:161]
	v_add_f64_e32 v[22:23], v[132:133], v[130:131]
	v_add_f64_e32 v[122:123], v[122:123], v[154:155]
	v_mul_f64_e32 v[130:131], v[18:19], v[160:161]
	v_fmac_f64_e32 v[124:125], v[6:7], v[146:147]
	v_fma_f64 v[132:133], v[4:5], v[146:147], -v[134:135]
	v_fmac_f64_e32 v[128:129], v[18:19], v[158:159]
	v_add_f64_e32 v[134:135], v[22:23], v[20:21]
	v_add_f64_e32 v[122:123], v[122:123], v[126:127]
	ds_load_b128 v[4:7], v2 offset:1488
	ds_load_b128 v[20:23], v2 offset:1504
	v_fma_f64 v[16:17], v[16:17], v[158:159], -v[130:131]
	s_wait_loadcnt_dscnt 0x201
	v_mul_f64_e32 v[126:127], v[4:5], v[144:145]
	v_mul_f64_e32 v[136:137], v[6:7], v[144:145]
	v_add_f64_e32 v[18:19], v[134:135], v[132:133]
	v_add_f64_e32 v[122:123], v[122:123], v[124:125]
	s_wait_loadcnt_dscnt 0x100
	v_mul_f64_e32 v[124:125], v[20:21], v[10:11]
	v_mul_f64_e32 v[10:11], v[22:23], v[10:11]
	v_fmac_f64_e32 v[126:127], v[6:7], v[142:143]
	v_fma_f64 v[130:131], v[4:5], v[142:143], -v[136:137]
	ds_load_b128 v[4:7], v2 offset:1520
	v_add_f64_e32 v[16:17], v[18:19], v[16:17]
	v_add_f64_e32 v[18:19], v[122:123], v[128:129]
	v_fmac_f64_e32 v[124:125], v[22:23], v[8:9]
	v_fma_f64 v[8:9], v[20:21], v[8:9], -v[10:11]
	s_wait_loadcnt_dscnt 0x0
	v_mul_f64_e32 v[122:123], v[4:5], v[14:15]
	v_mul_f64_e32 v[14:15], v[6:7], v[14:15]
	v_add_f64_e32 v[10:11], v[16:17], v[130:131]
	v_add_f64_e32 v[16:17], v[18:19], v[126:127]
	s_delay_alu instid0(VALU_DEP_4) | instskip(NEXT) | instid1(VALU_DEP_4)
	v_fmac_f64_e32 v[122:123], v[6:7], v[12:13]
	v_fma_f64 v[4:5], v[4:5], v[12:13], -v[14:15]
	s_delay_alu instid0(VALU_DEP_4) | instskip(NEXT) | instid1(VALU_DEP_4)
	v_add_f64_e32 v[6:7], v[10:11], v[8:9]
	v_add_f64_e32 v[8:9], v[16:17], v[124:125]
	s_delay_alu instid0(VALU_DEP_2) | instskip(NEXT) | instid1(VALU_DEP_2)
	v_add_f64_e32 v[4:5], v[6:7], v[4:5]
	v_add_f64_e32 v[6:7], v[8:9], v[122:123]
	s_delay_alu instid0(VALU_DEP_2) | instskip(NEXT) | instid1(VALU_DEP_2)
	v_add_f64_e64 v[4:5], v[150:151], -v[4:5]
	v_add_f64_e64 v[6:7], v[152:153], -v[6:7]
	scratch_store_b128 off, v[4:7], off offset:512
	s_wait_xcnt 0x0
	v_cmpx_lt_u32_e32 31, v1
	s_cbranch_execz .LBB47_239
; %bb.238:
	scratch_load_b128 v[6:9], off, s22
	v_dual_mov_b32 v3, v2 :: v_dual_mov_b32 v4, v2
	v_mov_b32_e32 v5, v2
	scratch_store_b128 off, v[2:5], off offset:496
	s_wait_loadcnt 0x0
	ds_store_b128 v120, v[6:9]
.LBB47_239:
	s_wait_xcnt 0x0
	s_or_b32 exec_lo, exec_lo, s2
	s_wait_storecnt_dscnt 0x0
	s_barrier_signal -1
	s_barrier_wait -1
	s_clause 0x9
	scratch_load_b128 v[4:7], off, off offset:512
	scratch_load_b128 v[8:11], off, off offset:528
	;; [unrolled: 1-line block ×10, first 2 shown]
	ds_load_b128 v[142:145], v2 offset:1280
	ds_load_b128 v[150:153], v2 offset:1296
	s_clause 0x2
	scratch_load_b128 v[146:149], off, off offset:672
	scratch_load_b128 v[154:157], off, off offset:496
	;; [unrolled: 1-line block ×3, first 2 shown]
	s_mov_b32 s2, exec_lo
	s_wait_loadcnt_dscnt 0xc01
	v_mul_f64_e32 v[162:163], v[144:145], v[6:7]
	v_mul_f64_e32 v[166:167], v[142:143], v[6:7]
	s_wait_loadcnt_dscnt 0xb00
	v_mul_f64_e32 v[168:169], v[150:151], v[10:11]
	v_mul_f64_e32 v[10:11], v[152:153], v[10:11]
	s_delay_alu instid0(VALU_DEP_4) | instskip(NEXT) | instid1(VALU_DEP_4)
	v_fma_f64 v[170:171], v[142:143], v[4:5], -v[162:163]
	v_fmac_f64_e32 v[166:167], v[144:145], v[4:5]
	ds_load_b128 v[4:7], v2 offset:1312
	ds_load_b128 v[142:145], v2 offset:1328
	scratch_load_b128 v[162:165], off, off offset:704
	v_fmac_f64_e32 v[168:169], v[152:153], v[8:9]
	v_fma_f64 v[150:151], v[150:151], v[8:9], -v[10:11]
	scratch_load_b128 v[8:11], off, off offset:720
	s_wait_loadcnt_dscnt 0xc01
	v_mul_f64_e32 v[172:173], v[4:5], v[14:15]
	v_mul_f64_e32 v[14:15], v[6:7], v[14:15]
	v_add_f64_e32 v[152:153], 0, v[170:171]
	v_add_f64_e32 v[166:167], 0, v[166:167]
	s_wait_loadcnt_dscnt 0xb00
	v_mul_f64_e32 v[170:171], v[142:143], v[18:19]
	v_mul_f64_e32 v[18:19], v[144:145], v[18:19]
	v_fmac_f64_e32 v[172:173], v[6:7], v[12:13]
	v_fma_f64 v[174:175], v[4:5], v[12:13], -v[14:15]
	ds_load_b128 v[4:7], v2 offset:1344
	ds_load_b128 v[12:15], v2 offset:1360
	v_add_f64_e32 v[176:177], v[152:153], v[150:151]
	v_add_f64_e32 v[166:167], v[166:167], v[168:169]
	scratch_load_b128 v[150:153], off, off offset:736
	v_fmac_f64_e32 v[170:171], v[144:145], v[16:17]
	v_fma_f64 v[142:143], v[142:143], v[16:17], -v[18:19]
	scratch_load_b128 v[16:19], off, off offset:752
	s_wait_loadcnt_dscnt 0xc01
	v_mul_f64_e32 v[168:169], v[4:5], v[22:23]
	v_mul_f64_e32 v[22:23], v[6:7], v[22:23]
	v_add_f64_e32 v[144:145], v[176:177], v[174:175]
	v_add_f64_e32 v[166:167], v[166:167], v[172:173]
	s_wait_loadcnt_dscnt 0xb00
	v_mul_f64_e32 v[172:173], v[12:13], v[124:125]
	v_mul_f64_e32 v[124:125], v[14:15], v[124:125]
	v_fmac_f64_e32 v[168:169], v[6:7], v[20:21]
	v_fma_f64 v[174:175], v[4:5], v[20:21], -v[22:23]
	ds_load_b128 v[4:7], v2 offset:1376
	ds_load_b128 v[20:23], v2 offset:1392
	v_add_f64_e32 v[142:143], v[144:145], v[142:143]
	v_add_f64_e32 v[144:145], v[166:167], v[170:171]
	s_wait_loadcnt_dscnt 0xa01
	v_mul_f64_e32 v[166:167], v[4:5], v[128:129]
	v_mul_f64_e32 v[128:129], v[6:7], v[128:129]
	v_fmac_f64_e32 v[172:173], v[14:15], v[122:123]
	v_fma_f64 v[12:13], v[12:13], v[122:123], -v[124:125]
	s_wait_loadcnt_dscnt 0x900
	v_mul_f64_e32 v[124:125], v[20:21], v[132:133]
	v_mul_f64_e32 v[132:133], v[22:23], v[132:133]
	v_add_f64_e32 v[14:15], v[142:143], v[174:175]
	v_add_f64_e32 v[122:123], v[144:145], v[168:169]
	v_fmac_f64_e32 v[166:167], v[6:7], v[126:127]
	v_fma_f64 v[126:127], v[4:5], v[126:127], -v[128:129]
	v_fmac_f64_e32 v[124:125], v[22:23], v[130:131]
	v_fma_f64 v[20:21], v[20:21], v[130:131], -v[132:133]
	v_add_f64_e32 v[128:129], v[14:15], v[12:13]
	v_add_f64_e32 v[122:123], v[122:123], v[172:173]
	ds_load_b128 v[4:7], v2 offset:1408
	ds_load_b128 v[12:15], v2 offset:1424
	s_wait_loadcnt_dscnt 0x801
	v_mul_f64_e32 v[142:143], v[4:5], v[136:137]
	v_mul_f64_e32 v[136:137], v[6:7], v[136:137]
	v_add_f64_e32 v[22:23], v[128:129], v[126:127]
	v_add_f64_e32 v[122:123], v[122:123], v[166:167]
	s_wait_loadcnt_dscnt 0x700
	v_mul_f64_e32 v[126:127], v[12:13], v[140:141]
	v_mul_f64_e32 v[128:129], v[14:15], v[140:141]
	v_fmac_f64_e32 v[142:143], v[6:7], v[134:135]
	v_fma_f64 v[130:131], v[4:5], v[134:135], -v[136:137]
	v_add_f64_e32 v[132:133], v[22:23], v[20:21]
	v_add_f64_e32 v[122:123], v[122:123], v[124:125]
	ds_load_b128 v[4:7], v2 offset:1440
	ds_load_b128 v[20:23], v2 offset:1456
	v_fmac_f64_e32 v[126:127], v[14:15], v[138:139]
	v_fma_f64 v[12:13], v[12:13], v[138:139], -v[128:129]
	s_wait_loadcnt_dscnt 0x601
	v_mul_f64_e32 v[124:125], v[4:5], v[148:149]
	v_mul_f64_e32 v[134:135], v[6:7], v[148:149]
	s_wait_loadcnt_dscnt 0x400
	v_mul_f64_e32 v[128:129], v[20:21], v[160:161]
	v_add_f64_e32 v[14:15], v[132:133], v[130:131]
	v_add_f64_e32 v[122:123], v[122:123], v[142:143]
	v_mul_f64_e32 v[130:131], v[22:23], v[160:161]
	v_fmac_f64_e32 v[124:125], v[6:7], v[146:147]
	v_fma_f64 v[132:133], v[4:5], v[146:147], -v[134:135]
	v_fmac_f64_e32 v[128:129], v[22:23], v[158:159]
	v_add_f64_e32 v[134:135], v[14:15], v[12:13]
	v_add_f64_e32 v[122:123], v[122:123], v[126:127]
	ds_load_b128 v[4:7], v2 offset:1472
	ds_load_b128 v[12:15], v2 offset:1488
	v_fma_f64 v[20:21], v[20:21], v[158:159], -v[130:131]
	s_wait_loadcnt_dscnt 0x301
	v_mul_f64_e32 v[126:127], v[4:5], v[164:165]
	v_mul_f64_e32 v[136:137], v[6:7], v[164:165]
	v_add_f64_e32 v[22:23], v[134:135], v[132:133]
	v_add_f64_e32 v[122:123], v[122:123], v[124:125]
	s_wait_loadcnt_dscnt 0x200
	v_mul_f64_e32 v[124:125], v[12:13], v[10:11]
	v_mul_f64_e32 v[10:11], v[14:15], v[10:11]
	v_fmac_f64_e32 v[126:127], v[6:7], v[162:163]
	v_fma_f64 v[130:131], v[4:5], v[162:163], -v[136:137]
	v_add_f64_e32 v[132:133], v[22:23], v[20:21]
	v_add_f64_e32 v[122:123], v[122:123], v[128:129]
	ds_load_b128 v[4:7], v2 offset:1504
	ds_load_b128 v[20:23], v2 offset:1520
	v_fmac_f64_e32 v[124:125], v[14:15], v[8:9]
	v_fma_f64 v[8:9], v[12:13], v[8:9], -v[10:11]
	s_wait_loadcnt_dscnt 0x101
	v_mul_f64_e32 v[2:3], v[4:5], v[152:153]
	v_mul_f64_e32 v[128:129], v[6:7], v[152:153]
	s_wait_loadcnt_dscnt 0x0
	v_mul_f64_e32 v[14:15], v[20:21], v[18:19]
	v_mul_f64_e32 v[18:19], v[22:23], v[18:19]
	v_add_f64_e32 v[10:11], v[132:133], v[130:131]
	v_add_f64_e32 v[12:13], v[122:123], v[126:127]
	v_fmac_f64_e32 v[2:3], v[6:7], v[150:151]
	v_fma_f64 v[4:5], v[4:5], v[150:151], -v[128:129]
	v_fmac_f64_e32 v[14:15], v[22:23], v[16:17]
	v_add_f64_e32 v[6:7], v[10:11], v[8:9]
	v_add_f64_e32 v[8:9], v[12:13], v[124:125]
	v_fma_f64 v[10:11], v[20:21], v[16:17], -v[18:19]
	s_delay_alu instid0(VALU_DEP_3) | instskip(NEXT) | instid1(VALU_DEP_3)
	v_add_f64_e32 v[4:5], v[6:7], v[4:5]
	v_add_f64_e32 v[2:3], v[8:9], v[2:3]
	s_delay_alu instid0(VALU_DEP_2) | instskip(NEXT) | instid1(VALU_DEP_2)
	v_add_f64_e32 v[4:5], v[4:5], v[10:11]
	v_add_f64_e32 v[6:7], v[2:3], v[14:15]
	s_delay_alu instid0(VALU_DEP_2) | instskip(NEXT) | instid1(VALU_DEP_2)
	v_add_f64_e64 v[2:3], v[154:155], -v[4:5]
	v_add_f64_e64 v[4:5], v[156:157], -v[6:7]
	scratch_store_b128 off, v[2:5], off offset:496
	s_wait_xcnt 0x0
	v_cmpx_lt_u32_e32 30, v1
	s_cbranch_execz .LBB47_241
; %bb.240:
	scratch_load_b128 v[2:5], off, s28
	v_mov_b32_e32 v6, 0
	s_delay_alu instid0(VALU_DEP_1)
	v_dual_mov_b32 v7, v6 :: v_dual_mov_b32 v8, v6
	v_mov_b32_e32 v9, v6
	scratch_store_b128 off, v[6:9], off offset:480
	s_wait_loadcnt 0x0
	ds_store_b128 v120, v[2:5]
.LBB47_241:
	s_wait_xcnt 0x0
	s_or_b32 exec_lo, exec_lo, s2
	s_wait_storecnt_dscnt 0x0
	s_barrier_signal -1
	s_barrier_wait -1
	s_clause 0x9
	scratch_load_b128 v[4:7], off, off offset:496
	scratch_load_b128 v[8:11], off, off offset:512
	;; [unrolled: 1-line block ×10, first 2 shown]
	v_mov_b32_e32 v2, 0
	s_mov_b32 s2, exec_lo
	ds_load_b128 v[142:145], v2 offset:1264
	s_clause 0x2
	scratch_load_b128 v[146:149], off, off offset:656
	scratch_load_b128 v[150:153], off, off offset:480
	;; [unrolled: 1-line block ×3, first 2 shown]
	s_wait_loadcnt_dscnt 0xc00
	v_mul_f64_e32 v[162:163], v[144:145], v[6:7]
	v_mul_f64_e32 v[166:167], v[142:143], v[6:7]
	ds_load_b128 v[154:157], v2 offset:1280
	v_fma_f64 v[170:171], v[142:143], v[4:5], -v[162:163]
	v_fmac_f64_e32 v[166:167], v[144:145], v[4:5]
	ds_load_b128 v[4:7], v2 offset:1296
	s_wait_loadcnt_dscnt 0xb01
	v_mul_f64_e32 v[168:169], v[154:155], v[10:11]
	v_mul_f64_e32 v[10:11], v[156:157], v[10:11]
	scratch_load_b128 v[142:145], off, off offset:688
	ds_load_b128 v[162:165], v2 offset:1312
	s_wait_loadcnt_dscnt 0xb01
	v_mul_f64_e32 v[172:173], v[4:5], v[14:15]
	v_mul_f64_e32 v[14:15], v[6:7], v[14:15]
	v_add_f64_e32 v[166:167], 0, v[166:167]
	v_fmac_f64_e32 v[168:169], v[156:157], v[8:9]
	v_fma_f64 v[154:155], v[154:155], v[8:9], -v[10:11]
	v_add_f64_e32 v[156:157], 0, v[170:171]
	scratch_load_b128 v[8:11], off, off offset:704
	v_fmac_f64_e32 v[172:173], v[6:7], v[12:13]
	v_fma_f64 v[174:175], v[4:5], v[12:13], -v[14:15]
	ds_load_b128 v[4:7], v2 offset:1328
	s_wait_loadcnt_dscnt 0xb01
	v_mul_f64_e32 v[170:171], v[162:163], v[18:19]
	v_mul_f64_e32 v[18:19], v[164:165], v[18:19]
	scratch_load_b128 v[12:15], off, off offset:720
	v_add_f64_e32 v[166:167], v[166:167], v[168:169]
	v_add_f64_e32 v[176:177], v[156:157], v[154:155]
	ds_load_b128 v[154:157], v2 offset:1344
	s_wait_loadcnt_dscnt 0xb01
	v_mul_f64_e32 v[168:169], v[4:5], v[22:23]
	v_mul_f64_e32 v[22:23], v[6:7], v[22:23]
	v_fmac_f64_e32 v[170:171], v[164:165], v[16:17]
	v_fma_f64 v[162:163], v[162:163], v[16:17], -v[18:19]
	scratch_load_b128 v[16:19], off, off offset:736
	v_add_f64_e32 v[166:167], v[166:167], v[172:173]
	v_add_f64_e32 v[164:165], v[176:177], v[174:175]
	v_fmac_f64_e32 v[168:169], v[6:7], v[20:21]
	v_fma_f64 v[174:175], v[4:5], v[20:21], -v[22:23]
	ds_load_b128 v[4:7], v2 offset:1360
	s_wait_loadcnt_dscnt 0xb01
	v_mul_f64_e32 v[172:173], v[154:155], v[124:125]
	v_mul_f64_e32 v[124:125], v[156:157], v[124:125]
	scratch_load_b128 v[20:23], off, off offset:752
	v_add_f64_e32 v[166:167], v[166:167], v[170:171]
	s_wait_loadcnt_dscnt 0xb00
	v_mul_f64_e32 v[170:171], v[4:5], v[128:129]
	v_add_f64_e32 v[176:177], v[164:165], v[162:163]
	v_mul_f64_e32 v[128:129], v[6:7], v[128:129]
	ds_load_b128 v[162:165], v2 offset:1376
	v_fmac_f64_e32 v[172:173], v[156:157], v[122:123]
	v_fma_f64 v[122:123], v[154:155], v[122:123], -v[124:125]
	s_wait_loadcnt_dscnt 0xa00
	v_mul_f64_e32 v[156:157], v[162:163], v[132:133]
	v_mul_f64_e32 v[132:133], v[164:165], v[132:133]
	v_add_f64_e32 v[154:155], v[166:167], v[168:169]
	v_fmac_f64_e32 v[170:171], v[6:7], v[126:127]
	v_add_f64_e32 v[124:125], v[176:177], v[174:175]
	v_fma_f64 v[126:127], v[4:5], v[126:127], -v[128:129]
	v_fmac_f64_e32 v[156:157], v[164:165], v[130:131]
	v_fma_f64 v[130:131], v[162:163], v[130:131], -v[132:133]
	v_add_f64_e32 v[154:155], v[154:155], v[172:173]
	v_add_f64_e32 v[128:129], v[124:125], v[122:123]
	ds_load_b128 v[4:7], v2 offset:1392
	ds_load_b128 v[122:125], v2 offset:1408
	s_wait_loadcnt_dscnt 0x901
	v_mul_f64_e32 v[166:167], v[4:5], v[136:137]
	v_mul_f64_e32 v[136:137], v[6:7], v[136:137]
	s_wait_loadcnt_dscnt 0x800
	v_mul_f64_e32 v[132:133], v[122:123], v[140:141]
	v_mul_f64_e32 v[140:141], v[124:125], v[140:141]
	v_add_f64_e32 v[126:127], v[128:129], v[126:127]
	v_add_f64_e32 v[128:129], v[154:155], v[170:171]
	v_fmac_f64_e32 v[166:167], v[6:7], v[134:135]
	v_fma_f64 v[134:135], v[4:5], v[134:135], -v[136:137]
	v_fmac_f64_e32 v[132:133], v[124:125], v[138:139]
	v_fma_f64 v[122:123], v[122:123], v[138:139], -v[140:141]
	v_add_f64_e32 v[130:131], v[126:127], v[130:131]
	v_add_f64_e32 v[136:137], v[128:129], v[156:157]
	ds_load_b128 v[4:7], v2 offset:1424
	ds_load_b128 v[126:129], v2 offset:1440
	s_wait_loadcnt_dscnt 0x701
	v_mul_f64_e32 v[154:155], v[4:5], v[148:149]
	v_mul_f64_e32 v[148:149], v[6:7], v[148:149]
	v_add_f64_e32 v[124:125], v[130:131], v[134:135]
	v_add_f64_e32 v[130:131], v[136:137], v[166:167]
	s_wait_loadcnt_dscnt 0x500
	v_mul_f64_e32 v[134:135], v[126:127], v[160:161]
	v_mul_f64_e32 v[136:137], v[128:129], v[160:161]
	v_fmac_f64_e32 v[154:155], v[6:7], v[146:147]
	v_fma_f64 v[138:139], v[4:5], v[146:147], -v[148:149]
	v_add_f64_e32 v[140:141], v[124:125], v[122:123]
	v_add_f64_e32 v[130:131], v[130:131], v[132:133]
	ds_load_b128 v[4:7], v2 offset:1456
	ds_load_b128 v[122:125], v2 offset:1472
	v_fmac_f64_e32 v[134:135], v[128:129], v[158:159]
	v_fma_f64 v[126:127], v[126:127], v[158:159], -v[136:137]
	s_wait_loadcnt_dscnt 0x401
	v_mul_f64_e32 v[132:133], v[4:5], v[144:145]
	v_mul_f64_e32 v[144:145], v[6:7], v[144:145]
	v_add_f64_e32 v[128:129], v[140:141], v[138:139]
	v_add_f64_e32 v[130:131], v[130:131], v[154:155]
	s_wait_loadcnt_dscnt 0x300
	v_mul_f64_e32 v[136:137], v[122:123], v[10:11]
	v_mul_f64_e32 v[10:11], v[124:125], v[10:11]
	v_fmac_f64_e32 v[132:133], v[6:7], v[142:143]
	v_fma_f64 v[138:139], v[4:5], v[142:143], -v[144:145]
	v_add_f64_e32 v[140:141], v[128:129], v[126:127]
	v_add_f64_e32 v[130:131], v[130:131], v[134:135]
	ds_load_b128 v[4:7], v2 offset:1488
	ds_load_b128 v[126:129], v2 offset:1504
	v_fmac_f64_e32 v[136:137], v[124:125], v[8:9]
	v_fma_f64 v[8:9], v[122:123], v[8:9], -v[10:11]
	s_wait_loadcnt_dscnt 0x201
	v_mul_f64_e32 v[134:135], v[4:5], v[14:15]
	v_mul_f64_e32 v[14:15], v[6:7], v[14:15]
	s_wait_loadcnt_dscnt 0x100
	v_mul_f64_e32 v[124:125], v[126:127], v[18:19]
	v_mul_f64_e32 v[18:19], v[128:129], v[18:19]
	v_add_f64_e32 v[10:11], v[140:141], v[138:139]
	v_add_f64_e32 v[122:123], v[130:131], v[132:133]
	v_fmac_f64_e32 v[134:135], v[6:7], v[12:13]
	v_fma_f64 v[12:13], v[4:5], v[12:13], -v[14:15]
	ds_load_b128 v[4:7], v2 offset:1520
	v_fmac_f64_e32 v[124:125], v[128:129], v[16:17]
	v_fma_f64 v[16:17], v[126:127], v[16:17], -v[18:19]
	v_add_f64_e32 v[8:9], v[10:11], v[8:9]
	v_add_f64_e32 v[10:11], v[122:123], v[136:137]
	s_wait_loadcnt_dscnt 0x0
	v_mul_f64_e32 v[14:15], v[4:5], v[22:23]
	v_mul_f64_e32 v[22:23], v[6:7], v[22:23]
	s_delay_alu instid0(VALU_DEP_4) | instskip(NEXT) | instid1(VALU_DEP_4)
	v_add_f64_e32 v[8:9], v[8:9], v[12:13]
	v_add_f64_e32 v[10:11], v[10:11], v[134:135]
	s_delay_alu instid0(VALU_DEP_4) | instskip(NEXT) | instid1(VALU_DEP_4)
	v_fmac_f64_e32 v[14:15], v[6:7], v[20:21]
	v_fma_f64 v[4:5], v[4:5], v[20:21], -v[22:23]
	s_delay_alu instid0(VALU_DEP_4) | instskip(NEXT) | instid1(VALU_DEP_4)
	v_add_f64_e32 v[6:7], v[8:9], v[16:17]
	v_add_f64_e32 v[8:9], v[10:11], v[124:125]
	s_delay_alu instid0(VALU_DEP_2) | instskip(NEXT) | instid1(VALU_DEP_2)
	v_add_f64_e32 v[4:5], v[6:7], v[4:5]
	v_add_f64_e32 v[6:7], v[8:9], v[14:15]
	s_delay_alu instid0(VALU_DEP_2) | instskip(NEXT) | instid1(VALU_DEP_2)
	v_add_f64_e64 v[4:5], v[150:151], -v[4:5]
	v_add_f64_e64 v[6:7], v[152:153], -v[6:7]
	scratch_store_b128 off, v[4:7], off offset:480
	s_wait_xcnt 0x0
	v_cmpx_lt_u32_e32 29, v1
	s_cbranch_execz .LBB47_243
; %bb.242:
	scratch_load_b128 v[6:9], off, s26
	v_dual_mov_b32 v3, v2 :: v_dual_mov_b32 v4, v2
	v_mov_b32_e32 v5, v2
	scratch_store_b128 off, v[2:5], off offset:464
	s_wait_loadcnt 0x0
	ds_store_b128 v120, v[6:9]
.LBB47_243:
	s_wait_xcnt 0x0
	s_or_b32 exec_lo, exec_lo, s2
	s_wait_storecnt_dscnt 0x0
	s_barrier_signal -1
	s_barrier_wait -1
	s_clause 0x9
	scratch_load_b128 v[4:7], off, off offset:480
	scratch_load_b128 v[8:11], off, off offset:496
	;; [unrolled: 1-line block ×10, first 2 shown]
	ds_load_b128 v[142:145], v2 offset:1248
	ds_load_b128 v[150:153], v2 offset:1264
	s_clause 0x2
	scratch_load_b128 v[146:149], off, off offset:640
	scratch_load_b128 v[154:157], off, off offset:464
	;; [unrolled: 1-line block ×3, first 2 shown]
	s_mov_b32 s2, exec_lo
	s_wait_loadcnt_dscnt 0xc01
	v_mul_f64_e32 v[162:163], v[144:145], v[6:7]
	v_mul_f64_e32 v[166:167], v[142:143], v[6:7]
	s_wait_loadcnt_dscnt 0xb00
	v_mul_f64_e32 v[168:169], v[150:151], v[10:11]
	v_mul_f64_e32 v[10:11], v[152:153], v[10:11]
	s_delay_alu instid0(VALU_DEP_4) | instskip(NEXT) | instid1(VALU_DEP_4)
	v_fma_f64 v[170:171], v[142:143], v[4:5], -v[162:163]
	v_fmac_f64_e32 v[166:167], v[144:145], v[4:5]
	ds_load_b128 v[4:7], v2 offset:1280
	ds_load_b128 v[142:145], v2 offset:1296
	scratch_load_b128 v[162:165], off, off offset:672
	v_fmac_f64_e32 v[168:169], v[152:153], v[8:9]
	v_fma_f64 v[150:151], v[150:151], v[8:9], -v[10:11]
	scratch_load_b128 v[8:11], off, off offset:688
	s_wait_loadcnt_dscnt 0xc01
	v_mul_f64_e32 v[172:173], v[4:5], v[14:15]
	v_mul_f64_e32 v[14:15], v[6:7], v[14:15]
	v_add_f64_e32 v[152:153], 0, v[170:171]
	v_add_f64_e32 v[166:167], 0, v[166:167]
	s_wait_loadcnt_dscnt 0xb00
	v_mul_f64_e32 v[170:171], v[142:143], v[18:19]
	v_mul_f64_e32 v[18:19], v[144:145], v[18:19]
	v_fmac_f64_e32 v[172:173], v[6:7], v[12:13]
	v_fma_f64 v[174:175], v[4:5], v[12:13], -v[14:15]
	ds_load_b128 v[4:7], v2 offset:1312
	ds_load_b128 v[12:15], v2 offset:1328
	v_add_f64_e32 v[176:177], v[152:153], v[150:151]
	v_add_f64_e32 v[166:167], v[166:167], v[168:169]
	scratch_load_b128 v[150:153], off, off offset:704
	v_fmac_f64_e32 v[170:171], v[144:145], v[16:17]
	v_fma_f64 v[142:143], v[142:143], v[16:17], -v[18:19]
	scratch_load_b128 v[16:19], off, off offset:720
	s_wait_loadcnt_dscnt 0xc01
	v_mul_f64_e32 v[168:169], v[4:5], v[22:23]
	v_mul_f64_e32 v[22:23], v[6:7], v[22:23]
	v_add_f64_e32 v[144:145], v[176:177], v[174:175]
	v_add_f64_e32 v[166:167], v[166:167], v[172:173]
	s_wait_loadcnt_dscnt 0xb00
	v_mul_f64_e32 v[172:173], v[12:13], v[124:125]
	v_mul_f64_e32 v[124:125], v[14:15], v[124:125]
	v_fmac_f64_e32 v[168:169], v[6:7], v[20:21]
	v_fma_f64 v[174:175], v[4:5], v[20:21], -v[22:23]
	ds_load_b128 v[4:7], v2 offset:1344
	ds_load_b128 v[20:23], v2 offset:1360
	v_add_f64_e32 v[176:177], v[144:145], v[142:143]
	v_add_f64_e32 v[166:167], v[166:167], v[170:171]
	scratch_load_b128 v[142:145], off, off offset:736
	s_wait_loadcnt_dscnt 0xb01
	v_mul_f64_e32 v[170:171], v[4:5], v[128:129]
	v_mul_f64_e32 v[128:129], v[6:7], v[128:129]
	v_fmac_f64_e32 v[172:173], v[14:15], v[122:123]
	v_fma_f64 v[122:123], v[12:13], v[122:123], -v[124:125]
	scratch_load_b128 v[12:15], off, off offset:752
	v_add_f64_e32 v[124:125], v[176:177], v[174:175]
	v_add_f64_e32 v[166:167], v[166:167], v[168:169]
	s_wait_loadcnt_dscnt 0xb00
	v_mul_f64_e32 v[168:169], v[20:21], v[132:133]
	v_mul_f64_e32 v[132:133], v[22:23], v[132:133]
	v_fmac_f64_e32 v[170:171], v[6:7], v[126:127]
	v_fma_f64 v[126:127], v[4:5], v[126:127], -v[128:129]
	v_add_f64_e32 v[128:129], v[124:125], v[122:123]
	v_add_f64_e32 v[166:167], v[166:167], v[172:173]
	ds_load_b128 v[4:7], v2 offset:1376
	ds_load_b128 v[122:125], v2 offset:1392
	v_fmac_f64_e32 v[168:169], v[22:23], v[130:131]
	v_fma_f64 v[20:21], v[20:21], v[130:131], -v[132:133]
	s_wait_loadcnt_dscnt 0xa01
	v_mul_f64_e32 v[172:173], v[4:5], v[136:137]
	v_mul_f64_e32 v[136:137], v[6:7], v[136:137]
	s_wait_loadcnt_dscnt 0x900
	v_mul_f64_e32 v[130:131], v[124:125], v[140:141]
	v_add_f64_e32 v[22:23], v[128:129], v[126:127]
	v_add_f64_e32 v[126:127], v[166:167], v[170:171]
	v_mul_f64_e32 v[128:129], v[122:123], v[140:141]
	v_fmac_f64_e32 v[172:173], v[6:7], v[134:135]
	v_fma_f64 v[132:133], v[4:5], v[134:135], -v[136:137]
	v_fma_f64 v[122:123], v[122:123], v[138:139], -v[130:131]
	v_add_f64_e32 v[134:135], v[22:23], v[20:21]
	v_add_f64_e32 v[126:127], v[126:127], v[168:169]
	ds_load_b128 v[4:7], v2 offset:1408
	ds_load_b128 v[20:23], v2 offset:1424
	v_fmac_f64_e32 v[128:129], v[124:125], v[138:139]
	s_wait_loadcnt_dscnt 0x801
	v_mul_f64_e32 v[136:137], v[4:5], v[148:149]
	v_mul_f64_e32 v[140:141], v[6:7], v[148:149]
	s_wait_loadcnt_dscnt 0x600
	v_mul_f64_e32 v[130:131], v[20:21], v[160:161]
	v_add_f64_e32 v[124:125], v[134:135], v[132:133]
	v_add_f64_e32 v[126:127], v[126:127], v[172:173]
	v_mul_f64_e32 v[132:133], v[22:23], v[160:161]
	v_fmac_f64_e32 v[136:137], v[6:7], v[146:147]
	v_fma_f64 v[134:135], v[4:5], v[146:147], -v[140:141]
	v_fmac_f64_e32 v[130:131], v[22:23], v[158:159]
	v_add_f64_e32 v[138:139], v[124:125], v[122:123]
	v_add_f64_e32 v[126:127], v[126:127], v[128:129]
	ds_load_b128 v[4:7], v2 offset:1440
	ds_load_b128 v[122:125], v2 offset:1456
	v_fma_f64 v[20:21], v[20:21], v[158:159], -v[132:133]
	s_wait_loadcnt_dscnt 0x501
	v_mul_f64_e32 v[128:129], v[4:5], v[164:165]
	v_mul_f64_e32 v[140:141], v[6:7], v[164:165]
	s_wait_loadcnt_dscnt 0x400
	v_mul_f64_e32 v[132:133], v[122:123], v[10:11]
	v_mul_f64_e32 v[10:11], v[124:125], v[10:11]
	v_add_f64_e32 v[22:23], v[138:139], v[134:135]
	v_add_f64_e32 v[126:127], v[126:127], v[136:137]
	v_fmac_f64_e32 v[128:129], v[6:7], v[162:163]
	v_fma_f64 v[134:135], v[4:5], v[162:163], -v[140:141]
	v_fmac_f64_e32 v[132:133], v[124:125], v[8:9]
	v_fma_f64 v[8:9], v[122:123], v[8:9], -v[10:11]
	v_add_f64_e32 v[136:137], v[22:23], v[20:21]
	v_add_f64_e32 v[126:127], v[126:127], v[130:131]
	ds_load_b128 v[4:7], v2 offset:1472
	ds_load_b128 v[20:23], v2 offset:1488
	s_wait_loadcnt_dscnt 0x301
	v_mul_f64_e32 v[130:131], v[4:5], v[152:153]
	v_mul_f64_e32 v[138:139], v[6:7], v[152:153]
	s_wait_loadcnt_dscnt 0x200
	v_mul_f64_e32 v[124:125], v[20:21], v[18:19]
	v_mul_f64_e32 v[18:19], v[22:23], v[18:19]
	v_add_f64_e32 v[10:11], v[136:137], v[134:135]
	v_add_f64_e32 v[122:123], v[126:127], v[128:129]
	v_fmac_f64_e32 v[130:131], v[6:7], v[150:151]
	v_fma_f64 v[126:127], v[4:5], v[150:151], -v[138:139]
	v_fmac_f64_e32 v[124:125], v[22:23], v[16:17]
	v_fma_f64 v[16:17], v[20:21], v[16:17], -v[18:19]
	v_add_f64_e32 v[128:129], v[10:11], v[8:9]
	v_add_f64_e32 v[122:123], v[122:123], v[132:133]
	ds_load_b128 v[4:7], v2 offset:1504
	ds_load_b128 v[8:11], v2 offset:1520
	s_wait_loadcnt_dscnt 0x101
	v_mul_f64_e32 v[2:3], v[4:5], v[144:145]
	v_mul_f64_e32 v[132:133], v[6:7], v[144:145]
	s_wait_loadcnt_dscnt 0x0
	v_mul_f64_e32 v[22:23], v[8:9], v[14:15]
	v_mul_f64_e32 v[14:15], v[10:11], v[14:15]
	v_add_f64_e32 v[18:19], v[128:129], v[126:127]
	v_add_f64_e32 v[20:21], v[122:123], v[130:131]
	v_fmac_f64_e32 v[2:3], v[6:7], v[142:143]
	v_fma_f64 v[4:5], v[4:5], v[142:143], -v[132:133]
	v_fmac_f64_e32 v[22:23], v[10:11], v[12:13]
	v_fma_f64 v[8:9], v[8:9], v[12:13], -v[14:15]
	v_add_f64_e32 v[6:7], v[18:19], v[16:17]
	v_add_f64_e32 v[16:17], v[20:21], v[124:125]
	s_delay_alu instid0(VALU_DEP_2) | instskip(NEXT) | instid1(VALU_DEP_2)
	v_add_f64_e32 v[4:5], v[6:7], v[4:5]
	v_add_f64_e32 v[2:3], v[16:17], v[2:3]
	s_delay_alu instid0(VALU_DEP_2) | instskip(NEXT) | instid1(VALU_DEP_2)
	;; [unrolled: 3-line block ×3, first 2 shown]
	v_add_f64_e64 v[2:3], v[154:155], -v[4:5]
	v_add_f64_e64 v[4:5], v[156:157], -v[6:7]
	scratch_store_b128 off, v[2:5], off offset:464
	s_wait_xcnt 0x0
	v_cmpx_lt_u32_e32 28, v1
	s_cbranch_execz .LBB47_245
; %bb.244:
	scratch_load_b128 v[2:5], off, s31
	v_mov_b32_e32 v6, 0
	s_delay_alu instid0(VALU_DEP_1)
	v_dual_mov_b32 v7, v6 :: v_dual_mov_b32 v8, v6
	v_mov_b32_e32 v9, v6
	scratch_store_b128 off, v[6:9], off offset:448
	s_wait_loadcnt 0x0
	ds_store_b128 v120, v[2:5]
.LBB47_245:
	s_wait_xcnt 0x0
	s_or_b32 exec_lo, exec_lo, s2
	s_wait_storecnt_dscnt 0x0
	s_barrier_signal -1
	s_barrier_wait -1
	s_clause 0x9
	scratch_load_b128 v[4:7], off, off offset:464
	scratch_load_b128 v[8:11], off, off offset:480
	;; [unrolled: 1-line block ×10, first 2 shown]
	v_mov_b32_e32 v2, 0
	s_mov_b32 s2, exec_lo
	ds_load_b128 v[142:145], v2 offset:1232
	s_clause 0x2
	scratch_load_b128 v[146:149], off, off offset:624
	scratch_load_b128 v[150:153], off, off offset:448
	;; [unrolled: 1-line block ×3, first 2 shown]
	s_wait_loadcnt_dscnt 0xc00
	v_mul_f64_e32 v[162:163], v[144:145], v[6:7]
	v_mul_f64_e32 v[166:167], v[142:143], v[6:7]
	ds_load_b128 v[154:157], v2 offset:1248
	v_fma_f64 v[170:171], v[142:143], v[4:5], -v[162:163]
	v_fmac_f64_e32 v[166:167], v[144:145], v[4:5]
	ds_load_b128 v[4:7], v2 offset:1264
	s_wait_loadcnt_dscnt 0xb01
	v_mul_f64_e32 v[168:169], v[154:155], v[10:11]
	v_mul_f64_e32 v[10:11], v[156:157], v[10:11]
	scratch_load_b128 v[142:145], off, off offset:656
	ds_load_b128 v[162:165], v2 offset:1280
	s_wait_loadcnt_dscnt 0xb01
	v_mul_f64_e32 v[172:173], v[4:5], v[14:15]
	v_mul_f64_e32 v[14:15], v[6:7], v[14:15]
	v_add_f64_e32 v[166:167], 0, v[166:167]
	v_fmac_f64_e32 v[168:169], v[156:157], v[8:9]
	v_fma_f64 v[154:155], v[154:155], v[8:9], -v[10:11]
	v_add_f64_e32 v[156:157], 0, v[170:171]
	scratch_load_b128 v[8:11], off, off offset:672
	v_fmac_f64_e32 v[172:173], v[6:7], v[12:13]
	v_fma_f64 v[174:175], v[4:5], v[12:13], -v[14:15]
	ds_load_b128 v[4:7], v2 offset:1296
	s_wait_loadcnt_dscnt 0xb01
	v_mul_f64_e32 v[170:171], v[162:163], v[18:19]
	v_mul_f64_e32 v[18:19], v[164:165], v[18:19]
	scratch_load_b128 v[12:15], off, off offset:688
	v_add_f64_e32 v[166:167], v[166:167], v[168:169]
	v_add_f64_e32 v[176:177], v[156:157], v[154:155]
	ds_load_b128 v[154:157], v2 offset:1312
	s_wait_loadcnt_dscnt 0xb01
	v_mul_f64_e32 v[168:169], v[4:5], v[22:23]
	v_mul_f64_e32 v[22:23], v[6:7], v[22:23]
	v_fmac_f64_e32 v[170:171], v[164:165], v[16:17]
	v_fma_f64 v[162:163], v[162:163], v[16:17], -v[18:19]
	scratch_load_b128 v[16:19], off, off offset:704
	v_add_f64_e32 v[166:167], v[166:167], v[172:173]
	v_add_f64_e32 v[164:165], v[176:177], v[174:175]
	v_fmac_f64_e32 v[168:169], v[6:7], v[20:21]
	v_fma_f64 v[174:175], v[4:5], v[20:21], -v[22:23]
	ds_load_b128 v[4:7], v2 offset:1328
	s_wait_loadcnt_dscnt 0xb01
	v_mul_f64_e32 v[172:173], v[154:155], v[124:125]
	v_mul_f64_e32 v[124:125], v[156:157], v[124:125]
	scratch_load_b128 v[20:23], off, off offset:720
	v_add_f64_e32 v[166:167], v[166:167], v[170:171]
	s_wait_loadcnt_dscnt 0xb00
	v_mul_f64_e32 v[170:171], v[4:5], v[128:129]
	v_add_f64_e32 v[176:177], v[164:165], v[162:163]
	v_mul_f64_e32 v[128:129], v[6:7], v[128:129]
	ds_load_b128 v[162:165], v2 offset:1344
	v_fmac_f64_e32 v[172:173], v[156:157], v[122:123]
	v_fma_f64 v[154:155], v[154:155], v[122:123], -v[124:125]
	scratch_load_b128 v[122:125], off, off offset:736
	v_add_f64_e32 v[166:167], v[166:167], v[168:169]
	v_fmac_f64_e32 v[170:171], v[6:7], v[126:127]
	v_add_f64_e32 v[156:157], v[176:177], v[174:175]
	v_fma_f64 v[174:175], v[4:5], v[126:127], -v[128:129]
	ds_load_b128 v[4:7], v2 offset:1360
	s_wait_loadcnt_dscnt 0xb01
	v_mul_f64_e32 v[168:169], v[162:163], v[132:133]
	v_mul_f64_e32 v[132:133], v[164:165], v[132:133]
	scratch_load_b128 v[126:129], off, off offset:752
	v_add_f64_e32 v[166:167], v[166:167], v[172:173]
	s_wait_loadcnt_dscnt 0xb00
	v_mul_f64_e32 v[172:173], v[4:5], v[136:137]
	v_add_f64_e32 v[176:177], v[156:157], v[154:155]
	v_mul_f64_e32 v[136:137], v[6:7], v[136:137]
	ds_load_b128 v[154:157], v2 offset:1376
	v_fmac_f64_e32 v[168:169], v[164:165], v[130:131]
	v_fma_f64 v[130:131], v[162:163], v[130:131], -v[132:133]
	s_wait_loadcnt_dscnt 0xa00
	v_mul_f64_e32 v[164:165], v[154:155], v[140:141]
	v_mul_f64_e32 v[140:141], v[156:157], v[140:141]
	v_add_f64_e32 v[162:163], v[166:167], v[170:171]
	v_fmac_f64_e32 v[172:173], v[6:7], v[134:135]
	v_add_f64_e32 v[132:133], v[176:177], v[174:175]
	v_fma_f64 v[134:135], v[4:5], v[134:135], -v[136:137]
	v_fmac_f64_e32 v[164:165], v[156:157], v[138:139]
	v_fma_f64 v[138:139], v[154:155], v[138:139], -v[140:141]
	v_add_f64_e32 v[162:163], v[162:163], v[168:169]
	v_add_f64_e32 v[136:137], v[132:133], v[130:131]
	ds_load_b128 v[4:7], v2 offset:1392
	ds_load_b128 v[130:133], v2 offset:1408
	s_wait_loadcnt_dscnt 0x901
	v_mul_f64_e32 v[166:167], v[4:5], v[148:149]
	v_mul_f64_e32 v[148:149], v[6:7], v[148:149]
	s_wait_loadcnt_dscnt 0x700
	v_mul_f64_e32 v[140:141], v[130:131], v[160:161]
	v_mul_f64_e32 v[154:155], v[132:133], v[160:161]
	v_add_f64_e32 v[134:135], v[136:137], v[134:135]
	v_add_f64_e32 v[136:137], v[162:163], v[172:173]
	v_fmac_f64_e32 v[166:167], v[6:7], v[146:147]
	v_fma_f64 v[146:147], v[4:5], v[146:147], -v[148:149]
	v_fmac_f64_e32 v[140:141], v[132:133], v[158:159]
	v_fma_f64 v[130:131], v[130:131], v[158:159], -v[154:155]
	v_add_f64_e32 v[138:139], v[134:135], v[138:139]
	v_add_f64_e32 v[148:149], v[136:137], v[164:165]
	ds_load_b128 v[4:7], v2 offset:1424
	ds_load_b128 v[134:137], v2 offset:1440
	s_wait_loadcnt_dscnt 0x601
	v_mul_f64_e32 v[156:157], v[4:5], v[144:145]
	v_mul_f64_e32 v[144:145], v[6:7], v[144:145]
	v_add_f64_e32 v[132:133], v[138:139], v[146:147]
	v_add_f64_e32 v[138:139], v[148:149], v[166:167]
	s_wait_loadcnt_dscnt 0x500
	v_mul_f64_e32 v[146:147], v[134:135], v[10:11]
	v_mul_f64_e32 v[10:11], v[136:137], v[10:11]
	v_fmac_f64_e32 v[156:157], v[6:7], v[142:143]
	v_fma_f64 v[142:143], v[4:5], v[142:143], -v[144:145]
	v_add_f64_e32 v[144:145], v[132:133], v[130:131]
	v_add_f64_e32 v[138:139], v[138:139], v[140:141]
	ds_load_b128 v[4:7], v2 offset:1456
	ds_load_b128 v[130:133], v2 offset:1472
	v_fmac_f64_e32 v[146:147], v[136:137], v[8:9]
	v_fma_f64 v[8:9], v[134:135], v[8:9], -v[10:11]
	s_wait_loadcnt_dscnt 0x401
	v_mul_f64_e32 v[140:141], v[4:5], v[14:15]
	v_mul_f64_e32 v[14:15], v[6:7], v[14:15]
	s_wait_loadcnt_dscnt 0x300
	v_mul_f64_e32 v[136:137], v[130:131], v[18:19]
	v_mul_f64_e32 v[18:19], v[132:133], v[18:19]
	v_add_f64_e32 v[10:11], v[144:145], v[142:143]
	v_add_f64_e32 v[134:135], v[138:139], v[156:157]
	v_fmac_f64_e32 v[140:141], v[6:7], v[12:13]
	v_fma_f64 v[12:13], v[4:5], v[12:13], -v[14:15]
	v_fmac_f64_e32 v[136:137], v[132:133], v[16:17]
	v_fma_f64 v[16:17], v[130:131], v[16:17], -v[18:19]
	v_add_f64_e32 v[14:15], v[10:11], v[8:9]
	v_add_f64_e32 v[134:135], v[134:135], v[146:147]
	ds_load_b128 v[4:7], v2 offset:1488
	ds_load_b128 v[8:11], v2 offset:1504
	s_wait_loadcnt_dscnt 0x201
	v_mul_f64_e32 v[138:139], v[4:5], v[22:23]
	v_mul_f64_e32 v[22:23], v[6:7], v[22:23]
	s_wait_loadcnt_dscnt 0x100
	v_mul_f64_e32 v[18:19], v[8:9], v[124:125]
	v_mul_f64_e32 v[124:125], v[10:11], v[124:125]
	v_add_f64_e32 v[12:13], v[14:15], v[12:13]
	v_add_f64_e32 v[14:15], v[134:135], v[140:141]
	v_fmac_f64_e32 v[138:139], v[6:7], v[20:21]
	v_fma_f64 v[20:21], v[4:5], v[20:21], -v[22:23]
	ds_load_b128 v[4:7], v2 offset:1520
	v_fmac_f64_e32 v[18:19], v[10:11], v[122:123]
	v_fma_f64 v[8:9], v[8:9], v[122:123], -v[124:125]
	v_add_f64_e32 v[12:13], v[12:13], v[16:17]
	v_add_f64_e32 v[14:15], v[14:15], v[136:137]
	s_wait_loadcnt_dscnt 0x0
	v_mul_f64_e32 v[16:17], v[4:5], v[128:129]
	v_mul_f64_e32 v[22:23], v[6:7], v[128:129]
	s_delay_alu instid0(VALU_DEP_4) | instskip(NEXT) | instid1(VALU_DEP_4)
	v_add_f64_e32 v[10:11], v[12:13], v[20:21]
	v_add_f64_e32 v[12:13], v[14:15], v[138:139]
	s_delay_alu instid0(VALU_DEP_4) | instskip(NEXT) | instid1(VALU_DEP_4)
	v_fmac_f64_e32 v[16:17], v[6:7], v[126:127]
	v_fma_f64 v[4:5], v[4:5], v[126:127], -v[22:23]
	s_delay_alu instid0(VALU_DEP_4) | instskip(NEXT) | instid1(VALU_DEP_4)
	v_add_f64_e32 v[6:7], v[10:11], v[8:9]
	v_add_f64_e32 v[8:9], v[12:13], v[18:19]
	s_delay_alu instid0(VALU_DEP_2) | instskip(NEXT) | instid1(VALU_DEP_2)
	v_add_f64_e32 v[4:5], v[6:7], v[4:5]
	v_add_f64_e32 v[6:7], v[8:9], v[16:17]
	s_delay_alu instid0(VALU_DEP_2) | instskip(NEXT) | instid1(VALU_DEP_2)
	v_add_f64_e64 v[4:5], v[150:151], -v[4:5]
	v_add_f64_e64 v[6:7], v[152:153], -v[6:7]
	scratch_store_b128 off, v[4:7], off offset:448
	s_wait_xcnt 0x0
	v_cmpx_lt_u32_e32 27, v1
	s_cbranch_execz .LBB47_247
; %bb.246:
	scratch_load_b128 v[6:9], off, s30
	v_dual_mov_b32 v3, v2 :: v_dual_mov_b32 v4, v2
	v_mov_b32_e32 v5, v2
	scratch_store_b128 off, v[2:5], off offset:432
	s_wait_loadcnt 0x0
	ds_store_b128 v120, v[6:9]
.LBB47_247:
	s_wait_xcnt 0x0
	s_or_b32 exec_lo, exec_lo, s2
	s_wait_storecnt_dscnt 0x0
	s_barrier_signal -1
	s_barrier_wait -1
	s_clause 0x9
	scratch_load_b128 v[4:7], off, off offset:448
	scratch_load_b128 v[8:11], off, off offset:464
	;; [unrolled: 1-line block ×10, first 2 shown]
	ds_load_b128 v[142:145], v2 offset:1216
	ds_load_b128 v[150:153], v2 offset:1232
	s_clause 0x2
	scratch_load_b128 v[146:149], off, off offset:608
	scratch_load_b128 v[154:157], off, off offset:432
	;; [unrolled: 1-line block ×3, first 2 shown]
	s_mov_b32 s2, exec_lo
	s_wait_loadcnt_dscnt 0xc01
	v_mul_f64_e32 v[162:163], v[144:145], v[6:7]
	v_mul_f64_e32 v[166:167], v[142:143], v[6:7]
	s_wait_loadcnt_dscnt 0xb00
	v_mul_f64_e32 v[168:169], v[150:151], v[10:11]
	v_mul_f64_e32 v[10:11], v[152:153], v[10:11]
	s_delay_alu instid0(VALU_DEP_4) | instskip(NEXT) | instid1(VALU_DEP_4)
	v_fma_f64 v[170:171], v[142:143], v[4:5], -v[162:163]
	v_fmac_f64_e32 v[166:167], v[144:145], v[4:5]
	ds_load_b128 v[4:7], v2 offset:1248
	ds_load_b128 v[142:145], v2 offset:1264
	scratch_load_b128 v[162:165], off, off offset:640
	v_fmac_f64_e32 v[168:169], v[152:153], v[8:9]
	v_fma_f64 v[150:151], v[150:151], v[8:9], -v[10:11]
	scratch_load_b128 v[8:11], off, off offset:656
	s_wait_loadcnt_dscnt 0xc01
	v_mul_f64_e32 v[172:173], v[4:5], v[14:15]
	v_mul_f64_e32 v[14:15], v[6:7], v[14:15]
	v_add_f64_e32 v[152:153], 0, v[170:171]
	v_add_f64_e32 v[166:167], 0, v[166:167]
	s_wait_loadcnt_dscnt 0xb00
	v_mul_f64_e32 v[170:171], v[142:143], v[18:19]
	v_mul_f64_e32 v[18:19], v[144:145], v[18:19]
	v_fmac_f64_e32 v[172:173], v[6:7], v[12:13]
	v_fma_f64 v[174:175], v[4:5], v[12:13], -v[14:15]
	ds_load_b128 v[4:7], v2 offset:1280
	ds_load_b128 v[12:15], v2 offset:1296
	v_add_f64_e32 v[176:177], v[152:153], v[150:151]
	v_add_f64_e32 v[166:167], v[166:167], v[168:169]
	scratch_load_b128 v[150:153], off, off offset:672
	v_fmac_f64_e32 v[170:171], v[144:145], v[16:17]
	v_fma_f64 v[142:143], v[142:143], v[16:17], -v[18:19]
	scratch_load_b128 v[16:19], off, off offset:688
	s_wait_loadcnt_dscnt 0xc01
	v_mul_f64_e32 v[168:169], v[4:5], v[22:23]
	v_mul_f64_e32 v[22:23], v[6:7], v[22:23]
	v_add_f64_e32 v[144:145], v[176:177], v[174:175]
	v_add_f64_e32 v[166:167], v[166:167], v[172:173]
	s_wait_loadcnt_dscnt 0xb00
	v_mul_f64_e32 v[172:173], v[12:13], v[124:125]
	v_mul_f64_e32 v[124:125], v[14:15], v[124:125]
	v_fmac_f64_e32 v[168:169], v[6:7], v[20:21]
	v_fma_f64 v[174:175], v[4:5], v[20:21], -v[22:23]
	ds_load_b128 v[4:7], v2 offset:1312
	ds_load_b128 v[20:23], v2 offset:1328
	v_add_f64_e32 v[176:177], v[144:145], v[142:143]
	v_add_f64_e32 v[166:167], v[166:167], v[170:171]
	scratch_load_b128 v[142:145], off, off offset:704
	s_wait_loadcnt_dscnt 0xb01
	v_mul_f64_e32 v[170:171], v[4:5], v[128:129]
	v_mul_f64_e32 v[128:129], v[6:7], v[128:129]
	v_fmac_f64_e32 v[172:173], v[14:15], v[122:123]
	v_fma_f64 v[122:123], v[12:13], v[122:123], -v[124:125]
	scratch_load_b128 v[12:15], off, off offset:720
	v_add_f64_e32 v[124:125], v[176:177], v[174:175]
	v_add_f64_e32 v[166:167], v[166:167], v[168:169]
	s_wait_loadcnt_dscnt 0xb00
	v_mul_f64_e32 v[168:169], v[20:21], v[132:133]
	v_mul_f64_e32 v[132:133], v[22:23], v[132:133]
	v_fmac_f64_e32 v[170:171], v[6:7], v[126:127]
	v_fma_f64 v[174:175], v[4:5], v[126:127], -v[128:129]
	v_add_f64_e32 v[176:177], v[124:125], v[122:123]
	v_add_f64_e32 v[166:167], v[166:167], v[172:173]
	ds_load_b128 v[4:7], v2 offset:1344
	ds_load_b128 v[122:125], v2 offset:1360
	scratch_load_b128 v[126:129], off, off offset:736
	v_fmac_f64_e32 v[168:169], v[22:23], v[130:131]
	v_fma_f64 v[130:131], v[20:21], v[130:131], -v[132:133]
	scratch_load_b128 v[20:23], off, off offset:752
	s_wait_loadcnt_dscnt 0xc01
	v_mul_f64_e32 v[172:173], v[4:5], v[136:137]
	v_mul_f64_e32 v[136:137], v[6:7], v[136:137]
	v_add_f64_e32 v[132:133], v[176:177], v[174:175]
	v_add_f64_e32 v[166:167], v[166:167], v[170:171]
	s_wait_loadcnt_dscnt 0xb00
	v_mul_f64_e32 v[170:171], v[122:123], v[140:141]
	v_mul_f64_e32 v[140:141], v[124:125], v[140:141]
	v_fmac_f64_e32 v[172:173], v[6:7], v[134:135]
	v_fma_f64 v[134:135], v[4:5], v[134:135], -v[136:137]
	v_add_f64_e32 v[136:137], v[132:133], v[130:131]
	v_add_f64_e32 v[166:167], v[166:167], v[168:169]
	ds_load_b128 v[4:7], v2 offset:1376
	ds_load_b128 v[130:133], v2 offset:1392
	v_fmac_f64_e32 v[170:171], v[124:125], v[138:139]
	v_fma_f64 v[122:123], v[122:123], v[138:139], -v[140:141]
	s_wait_loadcnt_dscnt 0xa01
	v_mul_f64_e32 v[168:169], v[4:5], v[148:149]
	v_mul_f64_e32 v[148:149], v[6:7], v[148:149]
	s_wait_loadcnt_dscnt 0x800
	v_mul_f64_e32 v[138:139], v[132:133], v[160:161]
	v_add_f64_e32 v[124:125], v[136:137], v[134:135]
	v_add_f64_e32 v[134:135], v[166:167], v[172:173]
	v_mul_f64_e32 v[136:137], v[130:131], v[160:161]
	v_fmac_f64_e32 v[168:169], v[6:7], v[146:147]
	v_fma_f64 v[140:141], v[4:5], v[146:147], -v[148:149]
	v_fma_f64 v[130:131], v[130:131], v[158:159], -v[138:139]
	v_add_f64_e32 v[146:147], v[124:125], v[122:123]
	v_add_f64_e32 v[134:135], v[134:135], v[170:171]
	ds_load_b128 v[4:7], v2 offset:1408
	ds_load_b128 v[122:125], v2 offset:1424
	v_fmac_f64_e32 v[136:137], v[132:133], v[158:159]
	s_wait_loadcnt_dscnt 0x701
	v_mul_f64_e32 v[148:149], v[4:5], v[164:165]
	v_mul_f64_e32 v[160:161], v[6:7], v[164:165]
	s_wait_loadcnt_dscnt 0x600
	v_mul_f64_e32 v[138:139], v[122:123], v[10:11]
	v_mul_f64_e32 v[10:11], v[124:125], v[10:11]
	v_add_f64_e32 v[132:133], v[146:147], v[140:141]
	v_add_f64_e32 v[134:135], v[134:135], v[168:169]
	v_fmac_f64_e32 v[148:149], v[6:7], v[162:163]
	v_fma_f64 v[140:141], v[4:5], v[162:163], -v[160:161]
	v_fmac_f64_e32 v[138:139], v[124:125], v[8:9]
	v_fma_f64 v[8:9], v[122:123], v[8:9], -v[10:11]
	v_add_f64_e32 v[146:147], v[132:133], v[130:131]
	v_add_f64_e32 v[134:135], v[134:135], v[136:137]
	ds_load_b128 v[4:7], v2 offset:1440
	ds_load_b128 v[130:133], v2 offset:1456
	s_wait_loadcnt_dscnt 0x501
	v_mul_f64_e32 v[136:137], v[4:5], v[152:153]
	v_mul_f64_e32 v[152:153], v[6:7], v[152:153]
	s_wait_loadcnt_dscnt 0x400
	v_mul_f64_e32 v[124:125], v[130:131], v[18:19]
	v_mul_f64_e32 v[18:19], v[132:133], v[18:19]
	v_add_f64_e32 v[10:11], v[146:147], v[140:141]
	v_add_f64_e32 v[122:123], v[134:135], v[148:149]
	v_fmac_f64_e32 v[136:137], v[6:7], v[150:151]
	v_fma_f64 v[134:135], v[4:5], v[150:151], -v[152:153]
	v_fmac_f64_e32 v[124:125], v[132:133], v[16:17]
	v_fma_f64 v[16:17], v[130:131], v[16:17], -v[18:19]
	v_add_f64_e32 v[140:141], v[10:11], v[8:9]
	v_add_f64_e32 v[122:123], v[122:123], v[138:139]
	ds_load_b128 v[4:7], v2 offset:1472
	ds_load_b128 v[8:11], v2 offset:1488
	;; [unrolled: 16-line block ×3, first 2 shown]
	s_wait_loadcnt_dscnt 0x101
	v_mul_f64_e32 v[2:3], v[4:5], v[128:129]
	v_mul_f64_e32 v[124:125], v[6:7], v[128:129]
	v_add_f64_e32 v[10:11], v[18:19], v[134:135]
	v_add_f64_e32 v[12:13], v[122:123], v[138:139]
	s_wait_loadcnt_dscnt 0x0
	v_mul_f64_e32 v[18:19], v[14:15], v[22:23]
	v_mul_f64_e32 v[22:23], v[16:17], v[22:23]
	v_fmac_f64_e32 v[2:3], v[6:7], v[126:127]
	v_fma_f64 v[4:5], v[4:5], v[126:127], -v[124:125]
	v_add_f64_e32 v[6:7], v[10:11], v[8:9]
	v_add_f64_e32 v[8:9], v[12:13], v[130:131]
	v_fmac_f64_e32 v[18:19], v[16:17], v[20:21]
	v_fma_f64 v[10:11], v[14:15], v[20:21], -v[22:23]
	s_delay_alu instid0(VALU_DEP_4) | instskip(NEXT) | instid1(VALU_DEP_4)
	v_add_f64_e32 v[4:5], v[6:7], v[4:5]
	v_add_f64_e32 v[2:3], v[8:9], v[2:3]
	s_delay_alu instid0(VALU_DEP_2) | instskip(NEXT) | instid1(VALU_DEP_2)
	v_add_f64_e32 v[4:5], v[4:5], v[10:11]
	v_add_f64_e32 v[6:7], v[2:3], v[18:19]
	s_delay_alu instid0(VALU_DEP_2) | instskip(NEXT) | instid1(VALU_DEP_2)
	v_add_f64_e64 v[2:3], v[154:155], -v[4:5]
	v_add_f64_e64 v[4:5], v[156:157], -v[6:7]
	scratch_store_b128 off, v[2:5], off offset:432
	s_wait_xcnt 0x0
	v_cmpx_lt_u32_e32 26, v1
	s_cbranch_execz .LBB47_249
; %bb.248:
	scratch_load_b128 v[2:5], off, s34
	v_mov_b32_e32 v6, 0
	s_delay_alu instid0(VALU_DEP_1)
	v_dual_mov_b32 v7, v6 :: v_dual_mov_b32 v8, v6
	v_mov_b32_e32 v9, v6
	scratch_store_b128 off, v[6:9], off offset:416
	s_wait_loadcnt 0x0
	ds_store_b128 v120, v[2:5]
.LBB47_249:
	s_wait_xcnt 0x0
	s_or_b32 exec_lo, exec_lo, s2
	s_wait_storecnt_dscnt 0x0
	s_barrier_signal -1
	s_barrier_wait -1
	s_clause 0x9
	scratch_load_b128 v[4:7], off, off offset:432
	scratch_load_b128 v[8:11], off, off offset:448
	;; [unrolled: 1-line block ×10, first 2 shown]
	v_mov_b32_e32 v2, 0
	s_mov_b32 s2, exec_lo
	ds_load_b128 v[142:145], v2 offset:1200
	s_clause 0x2
	scratch_load_b128 v[146:149], off, off offset:592
	scratch_load_b128 v[150:153], off, off offset:416
	;; [unrolled: 1-line block ×3, first 2 shown]
	s_wait_loadcnt_dscnt 0xc00
	v_mul_f64_e32 v[162:163], v[144:145], v[6:7]
	v_mul_f64_e32 v[166:167], v[142:143], v[6:7]
	ds_load_b128 v[154:157], v2 offset:1216
	v_fma_f64 v[170:171], v[142:143], v[4:5], -v[162:163]
	v_fmac_f64_e32 v[166:167], v[144:145], v[4:5]
	ds_load_b128 v[4:7], v2 offset:1232
	s_wait_loadcnt_dscnt 0xb01
	v_mul_f64_e32 v[168:169], v[154:155], v[10:11]
	v_mul_f64_e32 v[10:11], v[156:157], v[10:11]
	scratch_load_b128 v[142:145], off, off offset:624
	ds_load_b128 v[162:165], v2 offset:1248
	s_wait_loadcnt_dscnt 0xb01
	v_mul_f64_e32 v[172:173], v[4:5], v[14:15]
	v_mul_f64_e32 v[14:15], v[6:7], v[14:15]
	v_add_f64_e32 v[166:167], 0, v[166:167]
	v_fmac_f64_e32 v[168:169], v[156:157], v[8:9]
	v_fma_f64 v[154:155], v[154:155], v[8:9], -v[10:11]
	v_add_f64_e32 v[156:157], 0, v[170:171]
	scratch_load_b128 v[8:11], off, off offset:640
	v_fmac_f64_e32 v[172:173], v[6:7], v[12:13]
	v_fma_f64 v[174:175], v[4:5], v[12:13], -v[14:15]
	ds_load_b128 v[4:7], v2 offset:1264
	s_wait_loadcnt_dscnt 0xb01
	v_mul_f64_e32 v[170:171], v[162:163], v[18:19]
	v_mul_f64_e32 v[18:19], v[164:165], v[18:19]
	scratch_load_b128 v[12:15], off, off offset:656
	v_add_f64_e32 v[166:167], v[166:167], v[168:169]
	v_add_f64_e32 v[176:177], v[156:157], v[154:155]
	ds_load_b128 v[154:157], v2 offset:1280
	s_wait_loadcnt_dscnt 0xb01
	v_mul_f64_e32 v[168:169], v[4:5], v[22:23]
	v_mul_f64_e32 v[22:23], v[6:7], v[22:23]
	v_fmac_f64_e32 v[170:171], v[164:165], v[16:17]
	v_fma_f64 v[162:163], v[162:163], v[16:17], -v[18:19]
	scratch_load_b128 v[16:19], off, off offset:672
	v_add_f64_e32 v[166:167], v[166:167], v[172:173]
	v_add_f64_e32 v[164:165], v[176:177], v[174:175]
	v_fmac_f64_e32 v[168:169], v[6:7], v[20:21]
	v_fma_f64 v[174:175], v[4:5], v[20:21], -v[22:23]
	ds_load_b128 v[4:7], v2 offset:1296
	s_wait_loadcnt_dscnt 0xb01
	v_mul_f64_e32 v[172:173], v[154:155], v[124:125]
	v_mul_f64_e32 v[124:125], v[156:157], v[124:125]
	scratch_load_b128 v[20:23], off, off offset:688
	v_add_f64_e32 v[166:167], v[166:167], v[170:171]
	s_wait_loadcnt_dscnt 0xb00
	v_mul_f64_e32 v[170:171], v[4:5], v[128:129]
	v_add_f64_e32 v[176:177], v[164:165], v[162:163]
	v_mul_f64_e32 v[128:129], v[6:7], v[128:129]
	ds_load_b128 v[162:165], v2 offset:1312
	v_fmac_f64_e32 v[172:173], v[156:157], v[122:123]
	v_fma_f64 v[154:155], v[154:155], v[122:123], -v[124:125]
	scratch_load_b128 v[122:125], off, off offset:704
	v_add_f64_e32 v[166:167], v[166:167], v[168:169]
	v_fmac_f64_e32 v[170:171], v[6:7], v[126:127]
	v_add_f64_e32 v[156:157], v[176:177], v[174:175]
	v_fma_f64 v[174:175], v[4:5], v[126:127], -v[128:129]
	ds_load_b128 v[4:7], v2 offset:1328
	s_wait_loadcnt_dscnt 0xb01
	v_mul_f64_e32 v[168:169], v[162:163], v[132:133]
	v_mul_f64_e32 v[132:133], v[164:165], v[132:133]
	scratch_load_b128 v[126:129], off, off offset:720
	v_add_f64_e32 v[166:167], v[166:167], v[172:173]
	s_wait_loadcnt_dscnt 0xb00
	v_mul_f64_e32 v[172:173], v[4:5], v[136:137]
	v_add_f64_e32 v[176:177], v[156:157], v[154:155]
	v_mul_f64_e32 v[136:137], v[6:7], v[136:137]
	ds_load_b128 v[154:157], v2 offset:1344
	v_fmac_f64_e32 v[168:169], v[164:165], v[130:131]
	v_fma_f64 v[162:163], v[162:163], v[130:131], -v[132:133]
	scratch_load_b128 v[130:133], off, off offset:736
	v_add_f64_e32 v[166:167], v[166:167], v[170:171]
	v_fmac_f64_e32 v[172:173], v[6:7], v[134:135]
	v_add_f64_e32 v[164:165], v[176:177], v[174:175]
	v_fma_f64 v[174:175], v[4:5], v[134:135], -v[136:137]
	ds_load_b128 v[4:7], v2 offset:1360
	s_wait_loadcnt_dscnt 0xb01
	v_mul_f64_e32 v[170:171], v[154:155], v[140:141]
	v_mul_f64_e32 v[140:141], v[156:157], v[140:141]
	scratch_load_b128 v[134:137], off, off offset:752
	v_add_f64_e32 v[166:167], v[166:167], v[168:169]
	s_wait_loadcnt_dscnt 0xb00
	v_mul_f64_e32 v[168:169], v[4:5], v[148:149]
	v_add_f64_e32 v[176:177], v[164:165], v[162:163]
	v_mul_f64_e32 v[148:149], v[6:7], v[148:149]
	ds_load_b128 v[162:165], v2 offset:1376
	v_fmac_f64_e32 v[170:171], v[156:157], v[138:139]
	v_fma_f64 v[138:139], v[154:155], v[138:139], -v[140:141]
	s_wait_loadcnt_dscnt 0x900
	v_mul_f64_e32 v[156:157], v[162:163], v[160:161]
	v_mul_f64_e32 v[160:161], v[164:165], v[160:161]
	v_add_f64_e32 v[154:155], v[166:167], v[172:173]
	v_fmac_f64_e32 v[168:169], v[6:7], v[146:147]
	v_add_f64_e32 v[140:141], v[176:177], v[174:175]
	v_fma_f64 v[146:147], v[4:5], v[146:147], -v[148:149]
	v_fmac_f64_e32 v[156:157], v[164:165], v[158:159]
	v_fma_f64 v[158:159], v[162:163], v[158:159], -v[160:161]
	v_add_f64_e32 v[154:155], v[154:155], v[170:171]
	v_add_f64_e32 v[148:149], v[140:141], v[138:139]
	ds_load_b128 v[4:7], v2 offset:1392
	ds_load_b128 v[138:141], v2 offset:1408
	s_wait_loadcnt_dscnt 0x801
	v_mul_f64_e32 v[166:167], v[4:5], v[144:145]
	v_mul_f64_e32 v[144:145], v[6:7], v[144:145]
	v_add_f64_e32 v[146:147], v[148:149], v[146:147]
	v_add_f64_e32 v[148:149], v[154:155], v[168:169]
	s_wait_loadcnt_dscnt 0x700
	v_mul_f64_e32 v[154:155], v[138:139], v[10:11]
	v_mul_f64_e32 v[10:11], v[140:141], v[10:11]
	v_fmac_f64_e32 v[166:167], v[6:7], v[142:143]
	v_fma_f64 v[160:161], v[4:5], v[142:143], -v[144:145]
	ds_load_b128 v[4:7], v2 offset:1424
	ds_load_b128 v[142:145], v2 offset:1440
	v_add_f64_e32 v[146:147], v[146:147], v[158:159]
	v_add_f64_e32 v[148:149], v[148:149], v[156:157]
	v_fmac_f64_e32 v[154:155], v[140:141], v[8:9]
	v_fma_f64 v[8:9], v[138:139], v[8:9], -v[10:11]
	s_wait_loadcnt_dscnt 0x601
	v_mul_f64_e32 v[156:157], v[4:5], v[14:15]
	v_mul_f64_e32 v[14:15], v[6:7], v[14:15]
	s_wait_loadcnt_dscnt 0x500
	v_mul_f64_e32 v[140:141], v[142:143], v[18:19]
	v_mul_f64_e32 v[18:19], v[144:145], v[18:19]
	v_add_f64_e32 v[10:11], v[146:147], v[160:161]
	v_add_f64_e32 v[138:139], v[148:149], v[166:167]
	v_fmac_f64_e32 v[156:157], v[6:7], v[12:13]
	v_fma_f64 v[12:13], v[4:5], v[12:13], -v[14:15]
	v_fmac_f64_e32 v[140:141], v[144:145], v[16:17]
	v_fma_f64 v[16:17], v[142:143], v[16:17], -v[18:19]
	v_add_f64_e32 v[14:15], v[10:11], v[8:9]
	v_add_f64_e32 v[138:139], v[138:139], v[154:155]
	ds_load_b128 v[4:7], v2 offset:1456
	ds_load_b128 v[8:11], v2 offset:1472
	s_wait_loadcnt_dscnt 0x401
	v_mul_f64_e32 v[146:147], v[4:5], v[22:23]
	v_mul_f64_e32 v[22:23], v[6:7], v[22:23]
	s_wait_loadcnt_dscnt 0x300
	v_mul_f64_e32 v[18:19], v[8:9], v[124:125]
	v_mul_f64_e32 v[124:125], v[10:11], v[124:125]
	v_add_f64_e32 v[12:13], v[14:15], v[12:13]
	v_add_f64_e32 v[14:15], v[138:139], v[156:157]
	v_fmac_f64_e32 v[146:147], v[6:7], v[20:21]
	v_fma_f64 v[20:21], v[4:5], v[20:21], -v[22:23]
	v_fmac_f64_e32 v[18:19], v[10:11], v[122:123]
	v_fma_f64 v[8:9], v[8:9], v[122:123], -v[124:125]
	v_add_f64_e32 v[16:17], v[12:13], v[16:17]
	v_add_f64_e32 v[22:23], v[14:15], v[140:141]
	ds_load_b128 v[4:7], v2 offset:1488
	ds_load_b128 v[12:15], v2 offset:1504
	s_wait_loadcnt_dscnt 0x201
	v_mul_f64_e32 v[138:139], v[4:5], v[128:129]
	v_mul_f64_e32 v[128:129], v[6:7], v[128:129]
	v_add_f64_e32 v[10:11], v[16:17], v[20:21]
	v_add_f64_e32 v[16:17], v[22:23], v[146:147]
	s_wait_loadcnt_dscnt 0x100
	v_mul_f64_e32 v[20:21], v[12:13], v[132:133]
	v_mul_f64_e32 v[22:23], v[14:15], v[132:133]
	v_fmac_f64_e32 v[138:139], v[6:7], v[126:127]
	v_fma_f64 v[122:123], v[4:5], v[126:127], -v[128:129]
	ds_load_b128 v[4:7], v2 offset:1520
	v_add_f64_e32 v[8:9], v[10:11], v[8:9]
	v_add_f64_e32 v[10:11], v[16:17], v[18:19]
	v_fmac_f64_e32 v[20:21], v[14:15], v[130:131]
	v_fma_f64 v[12:13], v[12:13], v[130:131], -v[22:23]
	s_wait_loadcnt_dscnt 0x0
	v_mul_f64_e32 v[16:17], v[4:5], v[136:137]
	v_mul_f64_e32 v[18:19], v[6:7], v[136:137]
	v_add_f64_e32 v[8:9], v[8:9], v[122:123]
	v_add_f64_e32 v[10:11], v[10:11], v[138:139]
	s_delay_alu instid0(VALU_DEP_4) | instskip(NEXT) | instid1(VALU_DEP_4)
	v_fmac_f64_e32 v[16:17], v[6:7], v[134:135]
	v_fma_f64 v[4:5], v[4:5], v[134:135], -v[18:19]
	s_delay_alu instid0(VALU_DEP_4) | instskip(NEXT) | instid1(VALU_DEP_4)
	v_add_f64_e32 v[6:7], v[8:9], v[12:13]
	v_add_f64_e32 v[8:9], v[10:11], v[20:21]
	s_delay_alu instid0(VALU_DEP_2) | instskip(NEXT) | instid1(VALU_DEP_2)
	v_add_f64_e32 v[4:5], v[6:7], v[4:5]
	v_add_f64_e32 v[6:7], v[8:9], v[16:17]
	s_delay_alu instid0(VALU_DEP_2) | instskip(NEXT) | instid1(VALU_DEP_2)
	v_add_f64_e64 v[4:5], v[150:151], -v[4:5]
	v_add_f64_e64 v[6:7], v[152:153], -v[6:7]
	scratch_store_b128 off, v[4:7], off offset:416
	s_wait_xcnt 0x0
	v_cmpx_lt_u32_e32 25, v1
	s_cbranch_execz .LBB47_251
; %bb.250:
	scratch_load_b128 v[6:9], off, s33
	v_dual_mov_b32 v3, v2 :: v_dual_mov_b32 v4, v2
	v_mov_b32_e32 v5, v2
	scratch_store_b128 off, v[2:5], off offset:400
	s_wait_loadcnt 0x0
	ds_store_b128 v120, v[6:9]
.LBB47_251:
	s_wait_xcnt 0x0
	s_or_b32 exec_lo, exec_lo, s2
	s_wait_storecnt_dscnt 0x0
	s_barrier_signal -1
	s_barrier_wait -1
	s_clause 0x9
	scratch_load_b128 v[4:7], off, off offset:416
	scratch_load_b128 v[8:11], off, off offset:432
	;; [unrolled: 1-line block ×10, first 2 shown]
	ds_load_b128 v[142:145], v2 offset:1184
	ds_load_b128 v[150:153], v2 offset:1200
	s_clause 0x2
	scratch_load_b128 v[146:149], off, off offset:576
	scratch_load_b128 v[154:157], off, off offset:400
	scratch_load_b128 v[158:161], off, off offset:592
	s_mov_b32 s2, exec_lo
	s_wait_loadcnt_dscnt 0xc01
	v_mul_f64_e32 v[162:163], v[144:145], v[6:7]
	v_mul_f64_e32 v[166:167], v[142:143], v[6:7]
	s_wait_loadcnt_dscnt 0xb00
	v_mul_f64_e32 v[168:169], v[150:151], v[10:11]
	v_mul_f64_e32 v[10:11], v[152:153], v[10:11]
	s_delay_alu instid0(VALU_DEP_4) | instskip(NEXT) | instid1(VALU_DEP_4)
	v_fma_f64 v[170:171], v[142:143], v[4:5], -v[162:163]
	v_fmac_f64_e32 v[166:167], v[144:145], v[4:5]
	ds_load_b128 v[4:7], v2 offset:1216
	ds_load_b128 v[142:145], v2 offset:1232
	scratch_load_b128 v[162:165], off, off offset:608
	v_fmac_f64_e32 v[168:169], v[152:153], v[8:9]
	v_fma_f64 v[150:151], v[150:151], v[8:9], -v[10:11]
	scratch_load_b128 v[8:11], off, off offset:624
	s_wait_loadcnt_dscnt 0xc01
	v_mul_f64_e32 v[172:173], v[4:5], v[14:15]
	v_mul_f64_e32 v[14:15], v[6:7], v[14:15]
	v_add_f64_e32 v[152:153], 0, v[170:171]
	v_add_f64_e32 v[166:167], 0, v[166:167]
	s_wait_loadcnt_dscnt 0xb00
	v_mul_f64_e32 v[170:171], v[142:143], v[18:19]
	v_mul_f64_e32 v[18:19], v[144:145], v[18:19]
	v_fmac_f64_e32 v[172:173], v[6:7], v[12:13]
	v_fma_f64 v[174:175], v[4:5], v[12:13], -v[14:15]
	ds_load_b128 v[4:7], v2 offset:1248
	ds_load_b128 v[12:15], v2 offset:1264
	v_add_f64_e32 v[176:177], v[152:153], v[150:151]
	v_add_f64_e32 v[166:167], v[166:167], v[168:169]
	scratch_load_b128 v[150:153], off, off offset:640
	v_fmac_f64_e32 v[170:171], v[144:145], v[16:17]
	v_fma_f64 v[142:143], v[142:143], v[16:17], -v[18:19]
	scratch_load_b128 v[16:19], off, off offset:656
	s_wait_loadcnt_dscnt 0xc01
	v_mul_f64_e32 v[168:169], v[4:5], v[22:23]
	v_mul_f64_e32 v[22:23], v[6:7], v[22:23]
	v_add_f64_e32 v[144:145], v[176:177], v[174:175]
	v_add_f64_e32 v[166:167], v[166:167], v[172:173]
	s_wait_loadcnt_dscnt 0xb00
	v_mul_f64_e32 v[172:173], v[12:13], v[124:125]
	v_mul_f64_e32 v[124:125], v[14:15], v[124:125]
	v_fmac_f64_e32 v[168:169], v[6:7], v[20:21]
	v_fma_f64 v[174:175], v[4:5], v[20:21], -v[22:23]
	ds_load_b128 v[4:7], v2 offset:1280
	ds_load_b128 v[20:23], v2 offset:1296
	v_add_f64_e32 v[176:177], v[144:145], v[142:143]
	v_add_f64_e32 v[166:167], v[166:167], v[170:171]
	scratch_load_b128 v[142:145], off, off offset:672
	s_wait_loadcnt_dscnt 0xb01
	v_mul_f64_e32 v[170:171], v[4:5], v[128:129]
	v_mul_f64_e32 v[128:129], v[6:7], v[128:129]
	v_fmac_f64_e32 v[172:173], v[14:15], v[122:123]
	v_fma_f64 v[122:123], v[12:13], v[122:123], -v[124:125]
	scratch_load_b128 v[12:15], off, off offset:688
	v_add_f64_e32 v[124:125], v[176:177], v[174:175]
	v_add_f64_e32 v[166:167], v[166:167], v[168:169]
	s_wait_loadcnt_dscnt 0xb00
	v_mul_f64_e32 v[168:169], v[20:21], v[132:133]
	v_mul_f64_e32 v[132:133], v[22:23], v[132:133]
	v_fmac_f64_e32 v[170:171], v[6:7], v[126:127]
	v_fma_f64 v[174:175], v[4:5], v[126:127], -v[128:129]
	v_add_f64_e32 v[176:177], v[124:125], v[122:123]
	v_add_f64_e32 v[166:167], v[166:167], v[172:173]
	ds_load_b128 v[4:7], v2 offset:1312
	ds_load_b128 v[122:125], v2 offset:1328
	scratch_load_b128 v[126:129], off, off offset:704
	v_fmac_f64_e32 v[168:169], v[22:23], v[130:131]
	v_fma_f64 v[130:131], v[20:21], v[130:131], -v[132:133]
	scratch_load_b128 v[20:23], off, off offset:720
	s_wait_loadcnt_dscnt 0xc01
	v_mul_f64_e32 v[172:173], v[4:5], v[136:137]
	v_mul_f64_e32 v[136:137], v[6:7], v[136:137]
	v_add_f64_e32 v[132:133], v[176:177], v[174:175]
	v_add_f64_e32 v[166:167], v[166:167], v[170:171]
	s_wait_loadcnt_dscnt 0xb00
	v_mul_f64_e32 v[170:171], v[122:123], v[140:141]
	v_mul_f64_e32 v[140:141], v[124:125], v[140:141]
	v_fmac_f64_e32 v[172:173], v[6:7], v[134:135]
	v_fma_f64 v[174:175], v[4:5], v[134:135], -v[136:137]
	v_add_f64_e32 v[176:177], v[132:133], v[130:131]
	v_add_f64_e32 v[166:167], v[166:167], v[168:169]
	ds_load_b128 v[4:7], v2 offset:1344
	ds_load_b128 v[130:133], v2 offset:1360
	scratch_load_b128 v[134:137], off, off offset:736
	v_fmac_f64_e32 v[170:171], v[124:125], v[138:139]
	v_fma_f64 v[138:139], v[122:123], v[138:139], -v[140:141]
	scratch_load_b128 v[122:125], off, off offset:752
	s_wait_loadcnt_dscnt 0xc01
	v_mul_f64_e32 v[168:169], v[4:5], v[148:149]
	v_mul_f64_e32 v[148:149], v[6:7], v[148:149]
	v_add_f64_e32 v[140:141], v[176:177], v[174:175]
	v_add_f64_e32 v[166:167], v[166:167], v[172:173]
	s_wait_loadcnt_dscnt 0xa00
	v_mul_f64_e32 v[172:173], v[130:131], v[160:161]
	v_mul_f64_e32 v[160:161], v[132:133], v[160:161]
	v_fmac_f64_e32 v[168:169], v[6:7], v[146:147]
	v_fma_f64 v[146:147], v[4:5], v[146:147], -v[148:149]
	v_add_f64_e32 v[148:149], v[140:141], v[138:139]
	v_add_f64_e32 v[166:167], v[166:167], v[170:171]
	ds_load_b128 v[4:7], v2 offset:1376
	ds_load_b128 v[138:141], v2 offset:1392
	v_fmac_f64_e32 v[172:173], v[132:133], v[158:159]
	v_fma_f64 v[130:131], v[130:131], v[158:159], -v[160:161]
	s_wait_loadcnt_dscnt 0x901
	v_mul_f64_e32 v[170:171], v[4:5], v[164:165]
	v_mul_f64_e32 v[164:165], v[6:7], v[164:165]
	v_add_f64_e32 v[132:133], v[148:149], v[146:147]
	v_add_f64_e32 v[146:147], v[166:167], v[168:169]
	s_wait_loadcnt_dscnt 0x800
	v_mul_f64_e32 v[148:149], v[138:139], v[10:11]
	v_mul_f64_e32 v[10:11], v[140:141], v[10:11]
	v_fmac_f64_e32 v[170:171], v[6:7], v[162:163]
	v_fma_f64 v[158:159], v[4:5], v[162:163], -v[164:165]
	v_add_f64_e32 v[160:161], v[132:133], v[130:131]
	v_add_f64_e32 v[146:147], v[146:147], v[172:173]
	ds_load_b128 v[4:7], v2 offset:1408
	ds_load_b128 v[130:133], v2 offset:1424
	v_fmac_f64_e32 v[148:149], v[140:141], v[8:9]
	v_fma_f64 v[8:9], v[138:139], v[8:9], -v[10:11]
	s_wait_loadcnt_dscnt 0x701
	v_mul_f64_e32 v[162:163], v[4:5], v[152:153]
	v_mul_f64_e32 v[152:153], v[6:7], v[152:153]
	s_wait_loadcnt_dscnt 0x600
	v_mul_f64_e32 v[140:141], v[130:131], v[18:19]
	v_mul_f64_e32 v[18:19], v[132:133], v[18:19]
	v_add_f64_e32 v[10:11], v[160:161], v[158:159]
	v_add_f64_e32 v[138:139], v[146:147], v[170:171]
	v_fmac_f64_e32 v[162:163], v[6:7], v[150:151]
	v_fma_f64 v[146:147], v[4:5], v[150:151], -v[152:153]
	v_fmac_f64_e32 v[140:141], v[132:133], v[16:17]
	v_fma_f64 v[16:17], v[130:131], v[16:17], -v[18:19]
	v_add_f64_e32 v[150:151], v[10:11], v[8:9]
	v_add_f64_e32 v[138:139], v[138:139], v[148:149]
	ds_load_b128 v[4:7], v2 offset:1440
	ds_load_b128 v[8:11], v2 offset:1456
	s_wait_loadcnt_dscnt 0x501
	v_mul_f64_e32 v[148:149], v[4:5], v[144:145]
	v_mul_f64_e32 v[144:145], v[6:7], v[144:145]
	s_wait_loadcnt_dscnt 0x400
	v_mul_f64_e32 v[132:133], v[8:9], v[14:15]
	v_add_f64_e32 v[18:19], v[150:151], v[146:147]
	v_add_f64_e32 v[130:131], v[138:139], v[162:163]
	v_mul_f64_e32 v[138:139], v[10:11], v[14:15]
	v_fmac_f64_e32 v[148:149], v[6:7], v[142:143]
	v_fma_f64 v[142:143], v[4:5], v[142:143], -v[144:145]
	v_fmac_f64_e32 v[132:133], v[10:11], v[12:13]
	v_add_f64_e32 v[18:19], v[18:19], v[16:17]
	v_add_f64_e32 v[130:131], v[130:131], v[140:141]
	ds_load_b128 v[4:7], v2 offset:1472
	ds_load_b128 v[14:17], v2 offset:1488
	v_fma_f64 v[8:9], v[8:9], v[12:13], -v[138:139]
	s_wait_loadcnt_dscnt 0x301
	v_mul_f64_e32 v[140:141], v[4:5], v[128:129]
	v_mul_f64_e32 v[128:129], v[6:7], v[128:129]
	v_add_f64_e32 v[10:11], v[18:19], v[142:143]
	v_add_f64_e32 v[12:13], v[130:131], v[148:149]
	s_wait_loadcnt_dscnt 0x200
	v_mul_f64_e32 v[18:19], v[14:15], v[22:23]
	v_mul_f64_e32 v[22:23], v[16:17], v[22:23]
	v_fmac_f64_e32 v[140:141], v[6:7], v[126:127]
	v_fma_f64 v[126:127], v[4:5], v[126:127], -v[128:129]
	v_add_f64_e32 v[128:129], v[10:11], v[8:9]
	v_add_f64_e32 v[12:13], v[12:13], v[132:133]
	ds_load_b128 v[4:7], v2 offset:1504
	ds_load_b128 v[8:11], v2 offset:1520
	v_fmac_f64_e32 v[18:19], v[16:17], v[20:21]
	v_fma_f64 v[14:15], v[14:15], v[20:21], -v[22:23]
	s_wait_loadcnt_dscnt 0x101
	v_mul_f64_e32 v[2:3], v[4:5], v[136:137]
	v_mul_f64_e32 v[130:131], v[6:7], v[136:137]
	s_wait_loadcnt_dscnt 0x0
	v_mul_f64_e32 v[20:21], v[8:9], v[124:125]
	v_mul_f64_e32 v[22:23], v[10:11], v[124:125]
	v_add_f64_e32 v[16:17], v[128:129], v[126:127]
	v_add_f64_e32 v[12:13], v[12:13], v[140:141]
	v_fmac_f64_e32 v[2:3], v[6:7], v[134:135]
	v_fma_f64 v[4:5], v[4:5], v[134:135], -v[130:131]
	v_fmac_f64_e32 v[20:21], v[10:11], v[122:123]
	v_fma_f64 v[8:9], v[8:9], v[122:123], -v[22:23]
	v_add_f64_e32 v[6:7], v[16:17], v[14:15]
	v_add_f64_e32 v[12:13], v[12:13], v[18:19]
	s_delay_alu instid0(VALU_DEP_2) | instskip(NEXT) | instid1(VALU_DEP_2)
	v_add_f64_e32 v[4:5], v[6:7], v[4:5]
	v_add_f64_e32 v[2:3], v[12:13], v[2:3]
	s_delay_alu instid0(VALU_DEP_2) | instskip(NEXT) | instid1(VALU_DEP_2)
	;; [unrolled: 3-line block ×3, first 2 shown]
	v_add_f64_e64 v[2:3], v[154:155], -v[4:5]
	v_add_f64_e64 v[4:5], v[156:157], -v[6:7]
	scratch_store_b128 off, v[2:5], off offset:400
	s_wait_xcnt 0x0
	v_cmpx_lt_u32_e32 24, v1
	s_cbranch_execz .LBB47_253
; %bb.252:
	scratch_load_b128 v[2:5], off, s36
	v_mov_b32_e32 v6, 0
	s_delay_alu instid0(VALU_DEP_1)
	v_dual_mov_b32 v7, v6 :: v_dual_mov_b32 v8, v6
	v_mov_b32_e32 v9, v6
	scratch_store_b128 off, v[6:9], off offset:384
	s_wait_loadcnt 0x0
	ds_store_b128 v120, v[2:5]
.LBB47_253:
	s_wait_xcnt 0x0
	s_or_b32 exec_lo, exec_lo, s2
	s_wait_storecnt_dscnt 0x0
	s_barrier_signal -1
	s_barrier_wait -1
	s_clause 0x9
	scratch_load_b128 v[4:7], off, off offset:400
	scratch_load_b128 v[8:11], off, off offset:416
	;; [unrolled: 1-line block ×10, first 2 shown]
	v_mov_b32_e32 v2, 0
	s_mov_b32 s2, exec_lo
	ds_load_b128 v[142:145], v2 offset:1168
	s_clause 0x2
	scratch_load_b128 v[146:149], off, off offset:560
	scratch_load_b128 v[150:153], off, off offset:384
	;; [unrolled: 1-line block ×3, first 2 shown]
	s_wait_loadcnt_dscnt 0xc00
	v_mul_f64_e32 v[162:163], v[144:145], v[6:7]
	v_mul_f64_e32 v[166:167], v[142:143], v[6:7]
	ds_load_b128 v[154:157], v2 offset:1184
	v_fma_f64 v[170:171], v[142:143], v[4:5], -v[162:163]
	v_fmac_f64_e32 v[166:167], v[144:145], v[4:5]
	ds_load_b128 v[4:7], v2 offset:1200
	s_wait_loadcnt_dscnt 0xb01
	v_mul_f64_e32 v[168:169], v[154:155], v[10:11]
	v_mul_f64_e32 v[10:11], v[156:157], v[10:11]
	scratch_load_b128 v[142:145], off, off offset:592
	ds_load_b128 v[162:165], v2 offset:1216
	s_wait_loadcnt_dscnt 0xb01
	v_mul_f64_e32 v[172:173], v[4:5], v[14:15]
	v_mul_f64_e32 v[14:15], v[6:7], v[14:15]
	v_add_f64_e32 v[166:167], 0, v[166:167]
	v_fmac_f64_e32 v[168:169], v[156:157], v[8:9]
	v_fma_f64 v[154:155], v[154:155], v[8:9], -v[10:11]
	v_add_f64_e32 v[156:157], 0, v[170:171]
	scratch_load_b128 v[8:11], off, off offset:608
	v_fmac_f64_e32 v[172:173], v[6:7], v[12:13]
	v_fma_f64 v[174:175], v[4:5], v[12:13], -v[14:15]
	ds_load_b128 v[4:7], v2 offset:1232
	s_wait_loadcnt_dscnt 0xb01
	v_mul_f64_e32 v[170:171], v[162:163], v[18:19]
	v_mul_f64_e32 v[18:19], v[164:165], v[18:19]
	scratch_load_b128 v[12:15], off, off offset:624
	v_add_f64_e32 v[166:167], v[166:167], v[168:169]
	v_add_f64_e32 v[176:177], v[156:157], v[154:155]
	ds_load_b128 v[154:157], v2 offset:1248
	s_wait_loadcnt_dscnt 0xb01
	v_mul_f64_e32 v[168:169], v[4:5], v[22:23]
	v_mul_f64_e32 v[22:23], v[6:7], v[22:23]
	v_fmac_f64_e32 v[170:171], v[164:165], v[16:17]
	v_fma_f64 v[162:163], v[162:163], v[16:17], -v[18:19]
	scratch_load_b128 v[16:19], off, off offset:640
	v_add_f64_e32 v[166:167], v[166:167], v[172:173]
	v_add_f64_e32 v[164:165], v[176:177], v[174:175]
	v_fmac_f64_e32 v[168:169], v[6:7], v[20:21]
	v_fma_f64 v[174:175], v[4:5], v[20:21], -v[22:23]
	ds_load_b128 v[4:7], v2 offset:1264
	s_wait_loadcnt_dscnt 0xb01
	v_mul_f64_e32 v[172:173], v[154:155], v[124:125]
	v_mul_f64_e32 v[124:125], v[156:157], v[124:125]
	scratch_load_b128 v[20:23], off, off offset:656
	v_add_f64_e32 v[166:167], v[166:167], v[170:171]
	s_wait_loadcnt_dscnt 0xb00
	v_mul_f64_e32 v[170:171], v[4:5], v[128:129]
	v_add_f64_e32 v[176:177], v[164:165], v[162:163]
	v_mul_f64_e32 v[128:129], v[6:7], v[128:129]
	ds_load_b128 v[162:165], v2 offset:1280
	v_fmac_f64_e32 v[172:173], v[156:157], v[122:123]
	v_fma_f64 v[154:155], v[154:155], v[122:123], -v[124:125]
	scratch_load_b128 v[122:125], off, off offset:672
	v_add_f64_e32 v[166:167], v[166:167], v[168:169]
	v_fmac_f64_e32 v[170:171], v[6:7], v[126:127]
	v_add_f64_e32 v[156:157], v[176:177], v[174:175]
	v_fma_f64 v[174:175], v[4:5], v[126:127], -v[128:129]
	ds_load_b128 v[4:7], v2 offset:1296
	s_wait_loadcnt_dscnt 0xb01
	v_mul_f64_e32 v[168:169], v[162:163], v[132:133]
	v_mul_f64_e32 v[132:133], v[164:165], v[132:133]
	scratch_load_b128 v[126:129], off, off offset:688
	v_add_f64_e32 v[166:167], v[166:167], v[172:173]
	s_wait_loadcnt_dscnt 0xb00
	v_mul_f64_e32 v[172:173], v[4:5], v[136:137]
	v_add_f64_e32 v[176:177], v[156:157], v[154:155]
	v_mul_f64_e32 v[136:137], v[6:7], v[136:137]
	ds_load_b128 v[154:157], v2 offset:1312
	v_fmac_f64_e32 v[168:169], v[164:165], v[130:131]
	v_fma_f64 v[162:163], v[162:163], v[130:131], -v[132:133]
	scratch_load_b128 v[130:133], off, off offset:704
	v_add_f64_e32 v[166:167], v[166:167], v[170:171]
	v_fmac_f64_e32 v[172:173], v[6:7], v[134:135]
	v_add_f64_e32 v[164:165], v[176:177], v[174:175]
	;; [unrolled: 18-line block ×3, first 2 shown]
	v_fma_f64 v[174:175], v[4:5], v[146:147], -v[148:149]
	ds_load_b128 v[4:7], v2 offset:1360
	s_wait_loadcnt_dscnt 0xa01
	v_mul_f64_e32 v[172:173], v[162:163], v[160:161]
	v_mul_f64_e32 v[160:161], v[164:165], v[160:161]
	scratch_load_b128 v[146:149], off, off offset:752
	v_add_f64_e32 v[166:167], v[166:167], v[170:171]
	v_add_f64_e32 v[176:177], v[156:157], v[154:155]
	s_wait_loadcnt_dscnt 0xa00
	v_mul_f64_e32 v[170:171], v[4:5], v[144:145]
	v_mul_f64_e32 v[144:145], v[6:7], v[144:145]
	v_fmac_f64_e32 v[172:173], v[164:165], v[158:159]
	v_fma_f64 v[158:159], v[162:163], v[158:159], -v[160:161]
	ds_load_b128 v[154:157], v2 offset:1376
	v_add_f64_e32 v[162:163], v[166:167], v[168:169]
	v_add_f64_e32 v[160:161], v[176:177], v[174:175]
	s_wait_loadcnt_dscnt 0x900
	v_mul_f64_e32 v[164:165], v[154:155], v[10:11]
	v_mul_f64_e32 v[10:11], v[156:157], v[10:11]
	v_fmac_f64_e32 v[170:171], v[6:7], v[142:143]
	v_fma_f64 v[166:167], v[4:5], v[142:143], -v[144:145]
	ds_load_b128 v[4:7], v2 offset:1392
	ds_load_b128 v[142:145], v2 offset:1408
	v_add_f64_e32 v[158:159], v[160:161], v[158:159]
	v_add_f64_e32 v[160:161], v[162:163], v[172:173]
	s_wait_loadcnt_dscnt 0x801
	v_mul_f64_e32 v[162:163], v[4:5], v[14:15]
	v_mul_f64_e32 v[14:15], v[6:7], v[14:15]
	v_fmac_f64_e32 v[164:165], v[156:157], v[8:9]
	v_fma_f64 v[8:9], v[154:155], v[8:9], -v[10:11]
	s_wait_loadcnt_dscnt 0x700
	v_mul_f64_e32 v[156:157], v[142:143], v[18:19]
	v_mul_f64_e32 v[18:19], v[144:145], v[18:19]
	v_add_f64_e32 v[10:11], v[158:159], v[166:167]
	v_add_f64_e32 v[154:155], v[160:161], v[170:171]
	v_fmac_f64_e32 v[162:163], v[6:7], v[12:13]
	v_fma_f64 v[12:13], v[4:5], v[12:13], -v[14:15]
	v_fmac_f64_e32 v[156:157], v[144:145], v[16:17]
	v_fma_f64 v[16:17], v[142:143], v[16:17], -v[18:19]
	v_add_f64_e32 v[14:15], v[10:11], v[8:9]
	v_add_f64_e32 v[154:155], v[154:155], v[164:165]
	ds_load_b128 v[4:7], v2 offset:1424
	ds_load_b128 v[8:11], v2 offset:1440
	s_wait_loadcnt_dscnt 0x601
	v_mul_f64_e32 v[158:159], v[4:5], v[22:23]
	v_mul_f64_e32 v[22:23], v[6:7], v[22:23]
	s_wait_loadcnt_dscnt 0x500
	v_mul_f64_e32 v[18:19], v[8:9], v[124:125]
	v_mul_f64_e32 v[124:125], v[10:11], v[124:125]
	v_add_f64_e32 v[12:13], v[14:15], v[12:13]
	v_add_f64_e32 v[14:15], v[154:155], v[162:163]
	v_fmac_f64_e32 v[158:159], v[6:7], v[20:21]
	v_fma_f64 v[20:21], v[4:5], v[20:21], -v[22:23]
	v_fmac_f64_e32 v[18:19], v[10:11], v[122:123]
	v_fma_f64 v[8:9], v[8:9], v[122:123], -v[124:125]
	v_add_f64_e32 v[16:17], v[12:13], v[16:17]
	v_add_f64_e32 v[22:23], v[14:15], v[156:157]
	ds_load_b128 v[4:7], v2 offset:1456
	ds_load_b128 v[12:15], v2 offset:1472
	s_wait_loadcnt_dscnt 0x401
	v_mul_f64_e32 v[142:143], v[4:5], v[128:129]
	v_mul_f64_e32 v[128:129], v[6:7], v[128:129]
	v_add_f64_e32 v[10:11], v[16:17], v[20:21]
	v_add_f64_e32 v[16:17], v[22:23], v[158:159]
	s_wait_loadcnt_dscnt 0x300
	v_mul_f64_e32 v[20:21], v[12:13], v[132:133]
	v_mul_f64_e32 v[22:23], v[14:15], v[132:133]
	v_fmac_f64_e32 v[142:143], v[6:7], v[126:127]
	v_fma_f64 v[122:123], v[4:5], v[126:127], -v[128:129]
	v_add_f64_e32 v[124:125], v[10:11], v[8:9]
	v_add_f64_e32 v[16:17], v[16:17], v[18:19]
	ds_load_b128 v[4:7], v2 offset:1488
	ds_load_b128 v[8:11], v2 offset:1504
	v_fmac_f64_e32 v[20:21], v[14:15], v[130:131]
	v_fma_f64 v[12:13], v[12:13], v[130:131], -v[22:23]
	s_wait_loadcnt_dscnt 0x201
	v_mul_f64_e32 v[18:19], v[4:5], v[136:137]
	v_mul_f64_e32 v[126:127], v[6:7], v[136:137]
	s_wait_loadcnt_dscnt 0x100
	v_mul_f64_e32 v[22:23], v[8:9], v[140:141]
	v_add_f64_e32 v[14:15], v[124:125], v[122:123]
	v_add_f64_e32 v[16:17], v[16:17], v[142:143]
	v_mul_f64_e32 v[122:123], v[10:11], v[140:141]
	v_fmac_f64_e32 v[18:19], v[6:7], v[134:135]
	v_fma_f64 v[124:125], v[4:5], v[134:135], -v[126:127]
	ds_load_b128 v[4:7], v2 offset:1520
	v_fmac_f64_e32 v[22:23], v[10:11], v[138:139]
	v_add_f64_e32 v[12:13], v[14:15], v[12:13]
	v_add_f64_e32 v[14:15], v[16:17], v[20:21]
	v_fma_f64 v[8:9], v[8:9], v[138:139], -v[122:123]
	s_wait_loadcnt_dscnt 0x0
	v_mul_f64_e32 v[16:17], v[4:5], v[148:149]
	v_mul_f64_e32 v[20:21], v[6:7], v[148:149]
	v_add_f64_e32 v[10:11], v[12:13], v[124:125]
	v_add_f64_e32 v[12:13], v[14:15], v[18:19]
	s_delay_alu instid0(VALU_DEP_4) | instskip(NEXT) | instid1(VALU_DEP_4)
	v_fmac_f64_e32 v[16:17], v[6:7], v[146:147]
	v_fma_f64 v[4:5], v[4:5], v[146:147], -v[20:21]
	s_delay_alu instid0(VALU_DEP_4) | instskip(NEXT) | instid1(VALU_DEP_4)
	v_add_f64_e32 v[6:7], v[10:11], v[8:9]
	v_add_f64_e32 v[8:9], v[12:13], v[22:23]
	s_delay_alu instid0(VALU_DEP_2) | instskip(NEXT) | instid1(VALU_DEP_2)
	v_add_f64_e32 v[4:5], v[6:7], v[4:5]
	v_add_f64_e32 v[6:7], v[8:9], v[16:17]
	s_delay_alu instid0(VALU_DEP_2) | instskip(NEXT) | instid1(VALU_DEP_2)
	v_add_f64_e64 v[4:5], v[150:151], -v[4:5]
	v_add_f64_e64 v[6:7], v[152:153], -v[6:7]
	scratch_store_b128 off, v[4:7], off offset:384
	s_wait_xcnt 0x0
	v_cmpx_lt_u32_e32 23, v1
	s_cbranch_execz .LBB47_255
; %bb.254:
	scratch_load_b128 v[6:9], off, s35
	v_dual_mov_b32 v3, v2 :: v_dual_mov_b32 v4, v2
	v_mov_b32_e32 v5, v2
	scratch_store_b128 off, v[2:5], off offset:368
	s_wait_loadcnt 0x0
	ds_store_b128 v120, v[6:9]
.LBB47_255:
	s_wait_xcnt 0x0
	s_or_b32 exec_lo, exec_lo, s2
	s_wait_storecnt_dscnt 0x0
	s_barrier_signal -1
	s_barrier_wait -1
	s_clause 0x9
	scratch_load_b128 v[4:7], off, off offset:384
	scratch_load_b128 v[8:11], off, off offset:400
	;; [unrolled: 1-line block ×10, first 2 shown]
	ds_load_b128 v[142:145], v2 offset:1152
	ds_load_b128 v[150:153], v2 offset:1168
	s_clause 0x2
	scratch_load_b128 v[146:149], off, off offset:544
	scratch_load_b128 v[154:157], off, off offset:368
	;; [unrolled: 1-line block ×3, first 2 shown]
	s_mov_b32 s2, exec_lo
	s_wait_loadcnt_dscnt 0xc01
	v_mul_f64_e32 v[162:163], v[144:145], v[6:7]
	v_mul_f64_e32 v[166:167], v[142:143], v[6:7]
	s_wait_loadcnt_dscnt 0xb00
	v_mul_f64_e32 v[168:169], v[150:151], v[10:11]
	v_mul_f64_e32 v[10:11], v[152:153], v[10:11]
	s_delay_alu instid0(VALU_DEP_4) | instskip(NEXT) | instid1(VALU_DEP_4)
	v_fma_f64 v[170:171], v[142:143], v[4:5], -v[162:163]
	v_fmac_f64_e32 v[166:167], v[144:145], v[4:5]
	ds_load_b128 v[4:7], v2 offset:1184
	ds_load_b128 v[142:145], v2 offset:1200
	scratch_load_b128 v[162:165], off, off offset:576
	v_fmac_f64_e32 v[168:169], v[152:153], v[8:9]
	v_fma_f64 v[150:151], v[150:151], v[8:9], -v[10:11]
	scratch_load_b128 v[8:11], off, off offset:592
	s_wait_loadcnt_dscnt 0xc01
	v_mul_f64_e32 v[172:173], v[4:5], v[14:15]
	v_mul_f64_e32 v[14:15], v[6:7], v[14:15]
	v_add_f64_e32 v[152:153], 0, v[170:171]
	v_add_f64_e32 v[166:167], 0, v[166:167]
	s_wait_loadcnt_dscnt 0xb00
	v_mul_f64_e32 v[170:171], v[142:143], v[18:19]
	v_mul_f64_e32 v[18:19], v[144:145], v[18:19]
	v_fmac_f64_e32 v[172:173], v[6:7], v[12:13]
	v_fma_f64 v[174:175], v[4:5], v[12:13], -v[14:15]
	ds_load_b128 v[4:7], v2 offset:1216
	ds_load_b128 v[12:15], v2 offset:1232
	v_add_f64_e32 v[176:177], v[152:153], v[150:151]
	v_add_f64_e32 v[166:167], v[166:167], v[168:169]
	scratch_load_b128 v[150:153], off, off offset:608
	v_fmac_f64_e32 v[170:171], v[144:145], v[16:17]
	v_fma_f64 v[142:143], v[142:143], v[16:17], -v[18:19]
	scratch_load_b128 v[16:19], off, off offset:624
	s_wait_loadcnt_dscnt 0xc01
	v_mul_f64_e32 v[168:169], v[4:5], v[22:23]
	v_mul_f64_e32 v[22:23], v[6:7], v[22:23]
	v_add_f64_e32 v[144:145], v[176:177], v[174:175]
	v_add_f64_e32 v[166:167], v[166:167], v[172:173]
	s_wait_loadcnt_dscnt 0xb00
	v_mul_f64_e32 v[172:173], v[12:13], v[124:125]
	v_mul_f64_e32 v[124:125], v[14:15], v[124:125]
	v_fmac_f64_e32 v[168:169], v[6:7], v[20:21]
	v_fma_f64 v[174:175], v[4:5], v[20:21], -v[22:23]
	ds_load_b128 v[4:7], v2 offset:1248
	ds_load_b128 v[20:23], v2 offset:1264
	v_add_f64_e32 v[176:177], v[144:145], v[142:143]
	v_add_f64_e32 v[166:167], v[166:167], v[170:171]
	scratch_load_b128 v[142:145], off, off offset:640
	s_wait_loadcnt_dscnt 0xb01
	v_mul_f64_e32 v[170:171], v[4:5], v[128:129]
	v_mul_f64_e32 v[128:129], v[6:7], v[128:129]
	v_fmac_f64_e32 v[172:173], v[14:15], v[122:123]
	v_fma_f64 v[122:123], v[12:13], v[122:123], -v[124:125]
	scratch_load_b128 v[12:15], off, off offset:656
	v_add_f64_e32 v[124:125], v[176:177], v[174:175]
	v_add_f64_e32 v[166:167], v[166:167], v[168:169]
	s_wait_loadcnt_dscnt 0xb00
	v_mul_f64_e32 v[168:169], v[20:21], v[132:133]
	v_mul_f64_e32 v[132:133], v[22:23], v[132:133]
	v_fmac_f64_e32 v[170:171], v[6:7], v[126:127]
	v_fma_f64 v[174:175], v[4:5], v[126:127], -v[128:129]
	v_add_f64_e32 v[176:177], v[124:125], v[122:123]
	v_add_f64_e32 v[166:167], v[166:167], v[172:173]
	ds_load_b128 v[4:7], v2 offset:1280
	ds_load_b128 v[122:125], v2 offset:1296
	scratch_load_b128 v[126:129], off, off offset:672
	v_fmac_f64_e32 v[168:169], v[22:23], v[130:131]
	v_fma_f64 v[130:131], v[20:21], v[130:131], -v[132:133]
	scratch_load_b128 v[20:23], off, off offset:688
	s_wait_loadcnt_dscnt 0xc01
	v_mul_f64_e32 v[172:173], v[4:5], v[136:137]
	v_mul_f64_e32 v[136:137], v[6:7], v[136:137]
	v_add_f64_e32 v[132:133], v[176:177], v[174:175]
	v_add_f64_e32 v[166:167], v[166:167], v[170:171]
	s_wait_loadcnt_dscnt 0xb00
	v_mul_f64_e32 v[170:171], v[122:123], v[140:141]
	v_mul_f64_e32 v[140:141], v[124:125], v[140:141]
	v_fmac_f64_e32 v[172:173], v[6:7], v[134:135]
	v_fma_f64 v[174:175], v[4:5], v[134:135], -v[136:137]
	v_add_f64_e32 v[176:177], v[132:133], v[130:131]
	v_add_f64_e32 v[166:167], v[166:167], v[168:169]
	ds_load_b128 v[4:7], v2 offset:1312
	ds_load_b128 v[130:133], v2 offset:1328
	scratch_load_b128 v[134:137], off, off offset:704
	v_fmac_f64_e32 v[170:171], v[124:125], v[138:139]
	v_fma_f64 v[138:139], v[122:123], v[138:139], -v[140:141]
	scratch_load_b128 v[122:125], off, off offset:720
	s_wait_loadcnt_dscnt 0xc01
	v_mul_f64_e32 v[168:169], v[4:5], v[148:149]
	v_mul_f64_e32 v[148:149], v[6:7], v[148:149]
	;; [unrolled: 18-line block ×3, first 2 shown]
	v_add_f64_e32 v[160:161], v[176:177], v[174:175]
	v_add_f64_e32 v[166:167], v[166:167], v[168:169]
	s_wait_loadcnt_dscnt 0xa00
	v_mul_f64_e32 v[168:169], v[138:139], v[10:11]
	v_mul_f64_e32 v[10:11], v[140:141], v[10:11]
	v_fmac_f64_e32 v[170:171], v[6:7], v[162:163]
	v_fma_f64 v[162:163], v[4:5], v[162:163], -v[164:165]
	v_add_f64_e32 v[164:165], v[160:161], v[158:159]
	v_add_f64_e32 v[166:167], v[166:167], v[172:173]
	ds_load_b128 v[4:7], v2 offset:1376
	ds_load_b128 v[158:161], v2 offset:1392
	v_fmac_f64_e32 v[168:169], v[140:141], v[8:9]
	v_fma_f64 v[8:9], v[138:139], v[8:9], -v[10:11]
	s_wait_loadcnt_dscnt 0x901
	v_mul_f64_e32 v[172:173], v[4:5], v[152:153]
	v_mul_f64_e32 v[152:153], v[6:7], v[152:153]
	s_wait_loadcnt_dscnt 0x800
	v_mul_f64_e32 v[140:141], v[158:159], v[18:19]
	v_mul_f64_e32 v[18:19], v[160:161], v[18:19]
	v_add_f64_e32 v[10:11], v[164:165], v[162:163]
	v_add_f64_e32 v[138:139], v[166:167], v[170:171]
	v_fmac_f64_e32 v[172:173], v[6:7], v[150:151]
	v_fma_f64 v[150:151], v[4:5], v[150:151], -v[152:153]
	v_fmac_f64_e32 v[140:141], v[160:161], v[16:17]
	v_fma_f64 v[16:17], v[158:159], v[16:17], -v[18:19]
	v_add_f64_e32 v[152:153], v[10:11], v[8:9]
	v_add_f64_e32 v[138:139], v[138:139], v[168:169]
	ds_load_b128 v[4:7], v2 offset:1408
	ds_load_b128 v[8:11], v2 offset:1424
	s_wait_loadcnt_dscnt 0x701
	v_mul_f64_e32 v[162:163], v[4:5], v[144:145]
	v_mul_f64_e32 v[144:145], v[6:7], v[144:145]
	v_add_f64_e32 v[18:19], v[152:153], v[150:151]
	v_add_f64_e32 v[138:139], v[138:139], v[172:173]
	s_wait_loadcnt_dscnt 0x600
	v_mul_f64_e32 v[150:151], v[8:9], v[14:15]
	v_mul_f64_e32 v[152:153], v[10:11], v[14:15]
	v_fmac_f64_e32 v[162:163], v[6:7], v[142:143]
	v_fma_f64 v[142:143], v[4:5], v[142:143], -v[144:145]
	v_add_f64_e32 v[18:19], v[18:19], v[16:17]
	v_add_f64_e32 v[138:139], v[138:139], v[140:141]
	ds_load_b128 v[4:7], v2 offset:1440
	ds_load_b128 v[14:17], v2 offset:1456
	v_fmac_f64_e32 v[150:151], v[10:11], v[12:13]
	v_fma_f64 v[8:9], v[8:9], v[12:13], -v[152:153]
	s_wait_loadcnt_dscnt 0x501
	v_mul_f64_e32 v[140:141], v[4:5], v[128:129]
	v_mul_f64_e32 v[128:129], v[6:7], v[128:129]
	v_add_f64_e32 v[10:11], v[18:19], v[142:143]
	v_add_f64_e32 v[12:13], v[138:139], v[162:163]
	s_wait_loadcnt_dscnt 0x400
	v_mul_f64_e32 v[18:19], v[14:15], v[22:23]
	v_mul_f64_e32 v[22:23], v[16:17], v[22:23]
	v_fmac_f64_e32 v[140:141], v[6:7], v[126:127]
	v_fma_f64 v[126:127], v[4:5], v[126:127], -v[128:129]
	v_add_f64_e32 v[128:129], v[10:11], v[8:9]
	v_add_f64_e32 v[12:13], v[12:13], v[150:151]
	ds_load_b128 v[4:7], v2 offset:1472
	ds_load_b128 v[8:11], v2 offset:1488
	v_fmac_f64_e32 v[18:19], v[16:17], v[20:21]
	v_fma_f64 v[14:15], v[14:15], v[20:21], -v[22:23]
	s_wait_loadcnt_dscnt 0x301
	v_mul_f64_e32 v[138:139], v[4:5], v[136:137]
	v_mul_f64_e32 v[136:137], v[6:7], v[136:137]
	s_wait_loadcnt_dscnt 0x200
	v_mul_f64_e32 v[20:21], v[8:9], v[124:125]
	v_mul_f64_e32 v[22:23], v[10:11], v[124:125]
	v_add_f64_e32 v[16:17], v[128:129], v[126:127]
	v_add_f64_e32 v[12:13], v[12:13], v[140:141]
	v_fmac_f64_e32 v[138:139], v[6:7], v[134:135]
	v_fma_f64 v[124:125], v[4:5], v[134:135], -v[136:137]
	v_fmac_f64_e32 v[20:21], v[10:11], v[122:123]
	v_fma_f64 v[8:9], v[8:9], v[122:123], -v[22:23]
	v_add_f64_e32 v[16:17], v[16:17], v[14:15]
	v_add_f64_e32 v[18:19], v[12:13], v[18:19]
	ds_load_b128 v[4:7], v2 offset:1504
	ds_load_b128 v[12:15], v2 offset:1520
	s_wait_loadcnt_dscnt 0x101
	v_mul_f64_e32 v[2:3], v[4:5], v[148:149]
	v_mul_f64_e32 v[126:127], v[6:7], v[148:149]
	s_wait_loadcnt_dscnt 0x0
	v_mul_f64_e32 v[22:23], v[14:15], v[132:133]
	v_add_f64_e32 v[10:11], v[16:17], v[124:125]
	v_add_f64_e32 v[16:17], v[18:19], v[138:139]
	v_mul_f64_e32 v[18:19], v[12:13], v[132:133]
	v_fmac_f64_e32 v[2:3], v[6:7], v[146:147]
	v_fma_f64 v[4:5], v[4:5], v[146:147], -v[126:127]
	v_add_f64_e32 v[6:7], v[10:11], v[8:9]
	v_add_f64_e32 v[8:9], v[16:17], v[20:21]
	v_fmac_f64_e32 v[18:19], v[14:15], v[130:131]
	v_fma_f64 v[10:11], v[12:13], v[130:131], -v[22:23]
	s_delay_alu instid0(VALU_DEP_4) | instskip(NEXT) | instid1(VALU_DEP_4)
	v_add_f64_e32 v[4:5], v[6:7], v[4:5]
	v_add_f64_e32 v[2:3], v[8:9], v[2:3]
	s_delay_alu instid0(VALU_DEP_2) | instskip(NEXT) | instid1(VALU_DEP_2)
	v_add_f64_e32 v[4:5], v[4:5], v[10:11]
	v_add_f64_e32 v[6:7], v[2:3], v[18:19]
	s_delay_alu instid0(VALU_DEP_2) | instskip(NEXT) | instid1(VALU_DEP_2)
	v_add_f64_e64 v[2:3], v[154:155], -v[4:5]
	v_add_f64_e64 v[4:5], v[156:157], -v[6:7]
	scratch_store_b128 off, v[2:5], off offset:368
	s_wait_xcnt 0x0
	v_cmpx_lt_u32_e32 22, v1
	s_cbranch_execz .LBB47_257
; %bb.256:
	scratch_load_b128 v[2:5], off, s39
	v_mov_b32_e32 v6, 0
	s_delay_alu instid0(VALU_DEP_1)
	v_dual_mov_b32 v7, v6 :: v_dual_mov_b32 v8, v6
	v_mov_b32_e32 v9, v6
	scratch_store_b128 off, v[6:9], off offset:352
	s_wait_loadcnt 0x0
	ds_store_b128 v120, v[2:5]
.LBB47_257:
	s_wait_xcnt 0x0
	s_or_b32 exec_lo, exec_lo, s2
	s_wait_storecnt_dscnt 0x0
	s_barrier_signal -1
	s_barrier_wait -1
	s_clause 0x9
	scratch_load_b128 v[4:7], off, off offset:368
	scratch_load_b128 v[8:11], off, off offset:384
	;; [unrolled: 1-line block ×10, first 2 shown]
	v_mov_b32_e32 v2, 0
	s_mov_b32 s2, exec_lo
	ds_load_b128 v[142:145], v2 offset:1136
	s_clause 0x2
	scratch_load_b128 v[146:149], off, off offset:528
	scratch_load_b128 v[150:153], off, off offset:352
	scratch_load_b128 v[158:161], off, off offset:544
	s_wait_loadcnt_dscnt 0xc00
	v_mul_f64_e32 v[162:163], v[144:145], v[6:7]
	v_mul_f64_e32 v[166:167], v[142:143], v[6:7]
	ds_load_b128 v[154:157], v2 offset:1152
	v_fma_f64 v[170:171], v[142:143], v[4:5], -v[162:163]
	v_fmac_f64_e32 v[166:167], v[144:145], v[4:5]
	ds_load_b128 v[4:7], v2 offset:1168
	s_wait_loadcnt_dscnt 0xb01
	v_mul_f64_e32 v[168:169], v[154:155], v[10:11]
	v_mul_f64_e32 v[10:11], v[156:157], v[10:11]
	scratch_load_b128 v[142:145], off, off offset:560
	ds_load_b128 v[162:165], v2 offset:1184
	s_wait_loadcnt_dscnt 0xb01
	v_mul_f64_e32 v[172:173], v[4:5], v[14:15]
	v_mul_f64_e32 v[14:15], v[6:7], v[14:15]
	v_add_f64_e32 v[166:167], 0, v[166:167]
	v_fmac_f64_e32 v[168:169], v[156:157], v[8:9]
	v_fma_f64 v[154:155], v[154:155], v[8:9], -v[10:11]
	v_add_f64_e32 v[156:157], 0, v[170:171]
	scratch_load_b128 v[8:11], off, off offset:576
	v_fmac_f64_e32 v[172:173], v[6:7], v[12:13]
	v_fma_f64 v[174:175], v[4:5], v[12:13], -v[14:15]
	ds_load_b128 v[4:7], v2 offset:1200
	s_wait_loadcnt_dscnt 0xb01
	v_mul_f64_e32 v[170:171], v[162:163], v[18:19]
	v_mul_f64_e32 v[18:19], v[164:165], v[18:19]
	scratch_load_b128 v[12:15], off, off offset:592
	v_add_f64_e32 v[166:167], v[166:167], v[168:169]
	v_add_f64_e32 v[176:177], v[156:157], v[154:155]
	ds_load_b128 v[154:157], v2 offset:1216
	s_wait_loadcnt_dscnt 0xb01
	v_mul_f64_e32 v[168:169], v[4:5], v[22:23]
	v_mul_f64_e32 v[22:23], v[6:7], v[22:23]
	v_fmac_f64_e32 v[170:171], v[164:165], v[16:17]
	v_fma_f64 v[162:163], v[162:163], v[16:17], -v[18:19]
	scratch_load_b128 v[16:19], off, off offset:608
	v_add_f64_e32 v[166:167], v[166:167], v[172:173]
	v_add_f64_e32 v[164:165], v[176:177], v[174:175]
	v_fmac_f64_e32 v[168:169], v[6:7], v[20:21]
	v_fma_f64 v[174:175], v[4:5], v[20:21], -v[22:23]
	ds_load_b128 v[4:7], v2 offset:1232
	s_wait_loadcnt_dscnt 0xb01
	v_mul_f64_e32 v[172:173], v[154:155], v[124:125]
	v_mul_f64_e32 v[124:125], v[156:157], v[124:125]
	scratch_load_b128 v[20:23], off, off offset:624
	v_add_f64_e32 v[166:167], v[166:167], v[170:171]
	s_wait_loadcnt_dscnt 0xb00
	v_mul_f64_e32 v[170:171], v[4:5], v[128:129]
	v_add_f64_e32 v[176:177], v[164:165], v[162:163]
	v_mul_f64_e32 v[128:129], v[6:7], v[128:129]
	ds_load_b128 v[162:165], v2 offset:1248
	v_fmac_f64_e32 v[172:173], v[156:157], v[122:123]
	v_fma_f64 v[154:155], v[154:155], v[122:123], -v[124:125]
	scratch_load_b128 v[122:125], off, off offset:640
	v_add_f64_e32 v[166:167], v[166:167], v[168:169]
	v_fmac_f64_e32 v[170:171], v[6:7], v[126:127]
	v_add_f64_e32 v[156:157], v[176:177], v[174:175]
	v_fma_f64 v[174:175], v[4:5], v[126:127], -v[128:129]
	ds_load_b128 v[4:7], v2 offset:1264
	s_wait_loadcnt_dscnt 0xb01
	v_mul_f64_e32 v[168:169], v[162:163], v[132:133]
	v_mul_f64_e32 v[132:133], v[164:165], v[132:133]
	scratch_load_b128 v[126:129], off, off offset:656
	v_add_f64_e32 v[166:167], v[166:167], v[172:173]
	s_wait_loadcnt_dscnt 0xb00
	v_mul_f64_e32 v[172:173], v[4:5], v[136:137]
	v_add_f64_e32 v[176:177], v[156:157], v[154:155]
	v_mul_f64_e32 v[136:137], v[6:7], v[136:137]
	ds_load_b128 v[154:157], v2 offset:1280
	v_fmac_f64_e32 v[168:169], v[164:165], v[130:131]
	v_fma_f64 v[162:163], v[162:163], v[130:131], -v[132:133]
	scratch_load_b128 v[130:133], off, off offset:672
	v_add_f64_e32 v[166:167], v[166:167], v[170:171]
	v_fmac_f64_e32 v[172:173], v[6:7], v[134:135]
	v_add_f64_e32 v[164:165], v[176:177], v[174:175]
	;; [unrolled: 18-line block ×3, first 2 shown]
	v_fma_f64 v[174:175], v[4:5], v[146:147], -v[148:149]
	ds_load_b128 v[4:7], v2 offset:1328
	s_wait_loadcnt_dscnt 0xa01
	v_mul_f64_e32 v[172:173], v[162:163], v[160:161]
	v_mul_f64_e32 v[160:161], v[164:165], v[160:161]
	scratch_load_b128 v[146:149], off, off offset:720
	v_add_f64_e32 v[166:167], v[166:167], v[170:171]
	v_add_f64_e32 v[176:177], v[156:157], v[154:155]
	s_wait_loadcnt_dscnt 0xa00
	v_mul_f64_e32 v[170:171], v[4:5], v[144:145]
	v_mul_f64_e32 v[144:145], v[6:7], v[144:145]
	v_fmac_f64_e32 v[172:173], v[164:165], v[158:159]
	v_fma_f64 v[162:163], v[162:163], v[158:159], -v[160:161]
	ds_load_b128 v[154:157], v2 offset:1344
	scratch_load_b128 v[158:161], off, off offset:736
	v_add_f64_e32 v[166:167], v[166:167], v[168:169]
	v_add_f64_e32 v[164:165], v[176:177], v[174:175]
	v_fmac_f64_e32 v[170:171], v[6:7], v[142:143]
	v_fma_f64 v[174:175], v[4:5], v[142:143], -v[144:145]
	ds_load_b128 v[4:7], v2 offset:1360
	s_wait_loadcnt_dscnt 0xa01
	v_mul_f64_e32 v[168:169], v[154:155], v[10:11]
	v_mul_f64_e32 v[10:11], v[156:157], v[10:11]
	scratch_load_b128 v[142:145], off, off offset:752
	v_add_f64_e32 v[166:167], v[166:167], v[172:173]
	s_wait_loadcnt_dscnt 0xa00
	v_mul_f64_e32 v[172:173], v[4:5], v[14:15]
	v_add_f64_e32 v[176:177], v[164:165], v[162:163]
	v_mul_f64_e32 v[14:15], v[6:7], v[14:15]
	ds_load_b128 v[162:165], v2 offset:1376
	v_fmac_f64_e32 v[168:169], v[156:157], v[8:9]
	v_fma_f64 v[8:9], v[154:155], v[8:9], -v[10:11]
	s_wait_loadcnt_dscnt 0x900
	v_mul_f64_e32 v[156:157], v[162:163], v[18:19]
	v_mul_f64_e32 v[18:19], v[164:165], v[18:19]
	v_add_f64_e32 v[154:155], v[166:167], v[170:171]
	v_fmac_f64_e32 v[172:173], v[6:7], v[12:13]
	v_add_f64_e32 v[10:11], v[176:177], v[174:175]
	v_fma_f64 v[12:13], v[4:5], v[12:13], -v[14:15]
	v_fmac_f64_e32 v[156:157], v[164:165], v[16:17]
	v_fma_f64 v[16:17], v[162:163], v[16:17], -v[18:19]
	v_add_f64_e32 v[154:155], v[154:155], v[168:169]
	v_add_f64_e32 v[14:15], v[10:11], v[8:9]
	ds_load_b128 v[4:7], v2 offset:1392
	ds_load_b128 v[8:11], v2 offset:1408
	s_wait_loadcnt_dscnt 0x801
	v_mul_f64_e32 v[166:167], v[4:5], v[22:23]
	v_mul_f64_e32 v[22:23], v[6:7], v[22:23]
	s_wait_loadcnt_dscnt 0x700
	v_mul_f64_e32 v[18:19], v[8:9], v[124:125]
	v_mul_f64_e32 v[124:125], v[10:11], v[124:125]
	v_add_f64_e32 v[12:13], v[14:15], v[12:13]
	v_add_f64_e32 v[14:15], v[154:155], v[172:173]
	v_fmac_f64_e32 v[166:167], v[6:7], v[20:21]
	v_fma_f64 v[20:21], v[4:5], v[20:21], -v[22:23]
	v_fmac_f64_e32 v[18:19], v[10:11], v[122:123]
	v_fma_f64 v[8:9], v[8:9], v[122:123], -v[124:125]
	v_add_f64_e32 v[16:17], v[12:13], v[16:17]
	v_add_f64_e32 v[22:23], v[14:15], v[156:157]
	ds_load_b128 v[4:7], v2 offset:1424
	ds_load_b128 v[12:15], v2 offset:1440
	s_wait_loadcnt_dscnt 0x601
	v_mul_f64_e32 v[154:155], v[4:5], v[128:129]
	v_mul_f64_e32 v[128:129], v[6:7], v[128:129]
	v_add_f64_e32 v[10:11], v[16:17], v[20:21]
	v_add_f64_e32 v[16:17], v[22:23], v[166:167]
	s_wait_loadcnt_dscnt 0x500
	v_mul_f64_e32 v[20:21], v[12:13], v[132:133]
	v_mul_f64_e32 v[22:23], v[14:15], v[132:133]
	v_fmac_f64_e32 v[154:155], v[6:7], v[126:127]
	v_fma_f64 v[122:123], v[4:5], v[126:127], -v[128:129]
	v_add_f64_e32 v[124:125], v[10:11], v[8:9]
	v_add_f64_e32 v[16:17], v[16:17], v[18:19]
	ds_load_b128 v[4:7], v2 offset:1456
	ds_load_b128 v[8:11], v2 offset:1472
	v_fmac_f64_e32 v[20:21], v[14:15], v[130:131]
	v_fma_f64 v[12:13], v[12:13], v[130:131], -v[22:23]
	s_wait_loadcnt_dscnt 0x401
	v_mul_f64_e32 v[18:19], v[4:5], v[136:137]
	v_mul_f64_e32 v[126:127], v[6:7], v[136:137]
	s_wait_loadcnt_dscnt 0x300
	v_mul_f64_e32 v[22:23], v[8:9], v[140:141]
	v_add_f64_e32 v[14:15], v[124:125], v[122:123]
	v_add_f64_e32 v[16:17], v[16:17], v[154:155]
	v_mul_f64_e32 v[122:123], v[10:11], v[140:141]
	v_fmac_f64_e32 v[18:19], v[6:7], v[134:135]
	v_fma_f64 v[124:125], v[4:5], v[134:135], -v[126:127]
	v_fmac_f64_e32 v[22:23], v[10:11], v[138:139]
	v_add_f64_e32 v[126:127], v[14:15], v[12:13]
	v_add_f64_e32 v[16:17], v[16:17], v[20:21]
	ds_load_b128 v[4:7], v2 offset:1488
	ds_load_b128 v[12:15], v2 offset:1504
	v_fma_f64 v[8:9], v[8:9], v[138:139], -v[122:123]
	s_wait_loadcnt_dscnt 0x201
	v_mul_f64_e32 v[20:21], v[4:5], v[148:149]
	v_mul_f64_e32 v[128:129], v[6:7], v[148:149]
	s_wait_loadcnt_dscnt 0x100
	v_mul_f64_e32 v[122:123], v[14:15], v[160:161]
	v_add_f64_e32 v[10:11], v[126:127], v[124:125]
	v_add_f64_e32 v[16:17], v[16:17], v[18:19]
	v_mul_f64_e32 v[18:19], v[12:13], v[160:161]
	v_fmac_f64_e32 v[20:21], v[6:7], v[146:147]
	v_fma_f64 v[124:125], v[4:5], v[146:147], -v[128:129]
	ds_load_b128 v[4:7], v2 offset:1520
	v_fma_f64 v[12:13], v[12:13], v[158:159], -v[122:123]
	v_add_f64_e32 v[8:9], v[10:11], v[8:9]
	v_add_f64_e32 v[10:11], v[16:17], v[22:23]
	v_fmac_f64_e32 v[18:19], v[14:15], v[158:159]
	s_wait_loadcnt_dscnt 0x0
	v_mul_f64_e32 v[16:17], v[4:5], v[144:145]
	v_mul_f64_e32 v[22:23], v[6:7], v[144:145]
	v_add_f64_e32 v[8:9], v[8:9], v[124:125]
	v_add_f64_e32 v[10:11], v[10:11], v[20:21]
	s_delay_alu instid0(VALU_DEP_4) | instskip(NEXT) | instid1(VALU_DEP_4)
	v_fmac_f64_e32 v[16:17], v[6:7], v[142:143]
	v_fma_f64 v[4:5], v[4:5], v[142:143], -v[22:23]
	s_delay_alu instid0(VALU_DEP_4) | instskip(NEXT) | instid1(VALU_DEP_4)
	v_add_f64_e32 v[6:7], v[8:9], v[12:13]
	v_add_f64_e32 v[8:9], v[10:11], v[18:19]
	s_delay_alu instid0(VALU_DEP_2) | instskip(NEXT) | instid1(VALU_DEP_2)
	v_add_f64_e32 v[4:5], v[6:7], v[4:5]
	v_add_f64_e32 v[6:7], v[8:9], v[16:17]
	s_delay_alu instid0(VALU_DEP_2) | instskip(NEXT) | instid1(VALU_DEP_2)
	v_add_f64_e64 v[4:5], v[150:151], -v[4:5]
	v_add_f64_e64 v[6:7], v[152:153], -v[6:7]
	scratch_store_b128 off, v[4:7], off offset:352
	s_wait_xcnt 0x0
	v_cmpx_lt_u32_e32 21, v1
	s_cbranch_execz .LBB47_259
; %bb.258:
	scratch_load_b128 v[6:9], off, s37
	v_dual_mov_b32 v3, v2 :: v_dual_mov_b32 v4, v2
	v_mov_b32_e32 v5, v2
	scratch_store_b128 off, v[2:5], off offset:336
	s_wait_loadcnt 0x0
	ds_store_b128 v120, v[6:9]
.LBB47_259:
	s_wait_xcnt 0x0
	s_or_b32 exec_lo, exec_lo, s2
	s_wait_storecnt_dscnt 0x0
	s_barrier_signal -1
	s_barrier_wait -1
	s_clause 0x9
	scratch_load_b128 v[4:7], off, off offset:352
	scratch_load_b128 v[8:11], off, off offset:368
	;; [unrolled: 1-line block ×10, first 2 shown]
	ds_load_b128 v[142:145], v2 offset:1120
	ds_load_b128 v[150:153], v2 offset:1136
	s_clause 0x2
	scratch_load_b128 v[146:149], off, off offset:512
	scratch_load_b128 v[154:157], off, off offset:336
	;; [unrolled: 1-line block ×3, first 2 shown]
	s_mov_b32 s2, exec_lo
	s_wait_loadcnt_dscnt 0xc01
	v_mul_f64_e32 v[162:163], v[144:145], v[6:7]
	v_mul_f64_e32 v[166:167], v[142:143], v[6:7]
	s_wait_loadcnt_dscnt 0xb00
	v_mul_f64_e32 v[168:169], v[150:151], v[10:11]
	v_mul_f64_e32 v[10:11], v[152:153], v[10:11]
	s_delay_alu instid0(VALU_DEP_4) | instskip(NEXT) | instid1(VALU_DEP_4)
	v_fma_f64 v[170:171], v[142:143], v[4:5], -v[162:163]
	v_fmac_f64_e32 v[166:167], v[144:145], v[4:5]
	ds_load_b128 v[4:7], v2 offset:1152
	ds_load_b128 v[142:145], v2 offset:1168
	scratch_load_b128 v[162:165], off, off offset:544
	v_fmac_f64_e32 v[168:169], v[152:153], v[8:9]
	v_fma_f64 v[150:151], v[150:151], v[8:9], -v[10:11]
	scratch_load_b128 v[8:11], off, off offset:560
	s_wait_loadcnt_dscnt 0xc01
	v_mul_f64_e32 v[172:173], v[4:5], v[14:15]
	v_mul_f64_e32 v[14:15], v[6:7], v[14:15]
	v_add_f64_e32 v[152:153], 0, v[170:171]
	v_add_f64_e32 v[166:167], 0, v[166:167]
	s_wait_loadcnt_dscnt 0xb00
	v_mul_f64_e32 v[170:171], v[142:143], v[18:19]
	v_mul_f64_e32 v[18:19], v[144:145], v[18:19]
	v_fmac_f64_e32 v[172:173], v[6:7], v[12:13]
	v_fma_f64 v[174:175], v[4:5], v[12:13], -v[14:15]
	ds_load_b128 v[4:7], v2 offset:1184
	ds_load_b128 v[12:15], v2 offset:1200
	v_add_f64_e32 v[176:177], v[152:153], v[150:151]
	v_add_f64_e32 v[166:167], v[166:167], v[168:169]
	scratch_load_b128 v[150:153], off, off offset:576
	v_fmac_f64_e32 v[170:171], v[144:145], v[16:17]
	v_fma_f64 v[142:143], v[142:143], v[16:17], -v[18:19]
	scratch_load_b128 v[16:19], off, off offset:592
	s_wait_loadcnt_dscnt 0xc01
	v_mul_f64_e32 v[168:169], v[4:5], v[22:23]
	v_mul_f64_e32 v[22:23], v[6:7], v[22:23]
	v_add_f64_e32 v[144:145], v[176:177], v[174:175]
	v_add_f64_e32 v[166:167], v[166:167], v[172:173]
	s_wait_loadcnt_dscnt 0xb00
	v_mul_f64_e32 v[172:173], v[12:13], v[124:125]
	v_mul_f64_e32 v[124:125], v[14:15], v[124:125]
	v_fmac_f64_e32 v[168:169], v[6:7], v[20:21]
	v_fma_f64 v[174:175], v[4:5], v[20:21], -v[22:23]
	ds_load_b128 v[4:7], v2 offset:1216
	ds_load_b128 v[20:23], v2 offset:1232
	v_add_f64_e32 v[176:177], v[144:145], v[142:143]
	v_add_f64_e32 v[166:167], v[166:167], v[170:171]
	scratch_load_b128 v[142:145], off, off offset:608
	s_wait_loadcnt_dscnt 0xb01
	v_mul_f64_e32 v[170:171], v[4:5], v[128:129]
	v_mul_f64_e32 v[128:129], v[6:7], v[128:129]
	v_fmac_f64_e32 v[172:173], v[14:15], v[122:123]
	v_fma_f64 v[122:123], v[12:13], v[122:123], -v[124:125]
	scratch_load_b128 v[12:15], off, off offset:624
	v_add_f64_e32 v[124:125], v[176:177], v[174:175]
	v_add_f64_e32 v[166:167], v[166:167], v[168:169]
	s_wait_loadcnt_dscnt 0xb00
	v_mul_f64_e32 v[168:169], v[20:21], v[132:133]
	v_mul_f64_e32 v[132:133], v[22:23], v[132:133]
	v_fmac_f64_e32 v[170:171], v[6:7], v[126:127]
	v_fma_f64 v[174:175], v[4:5], v[126:127], -v[128:129]
	v_add_f64_e32 v[176:177], v[124:125], v[122:123]
	v_add_f64_e32 v[166:167], v[166:167], v[172:173]
	ds_load_b128 v[4:7], v2 offset:1248
	ds_load_b128 v[122:125], v2 offset:1264
	scratch_load_b128 v[126:129], off, off offset:640
	v_fmac_f64_e32 v[168:169], v[22:23], v[130:131]
	v_fma_f64 v[130:131], v[20:21], v[130:131], -v[132:133]
	scratch_load_b128 v[20:23], off, off offset:656
	s_wait_loadcnt_dscnt 0xc01
	v_mul_f64_e32 v[172:173], v[4:5], v[136:137]
	v_mul_f64_e32 v[136:137], v[6:7], v[136:137]
	v_add_f64_e32 v[132:133], v[176:177], v[174:175]
	v_add_f64_e32 v[166:167], v[166:167], v[170:171]
	s_wait_loadcnt_dscnt 0xb00
	v_mul_f64_e32 v[170:171], v[122:123], v[140:141]
	v_mul_f64_e32 v[140:141], v[124:125], v[140:141]
	v_fmac_f64_e32 v[172:173], v[6:7], v[134:135]
	v_fma_f64 v[174:175], v[4:5], v[134:135], -v[136:137]
	v_add_f64_e32 v[176:177], v[132:133], v[130:131]
	v_add_f64_e32 v[166:167], v[166:167], v[168:169]
	ds_load_b128 v[4:7], v2 offset:1280
	ds_load_b128 v[130:133], v2 offset:1296
	scratch_load_b128 v[134:137], off, off offset:672
	v_fmac_f64_e32 v[170:171], v[124:125], v[138:139]
	v_fma_f64 v[138:139], v[122:123], v[138:139], -v[140:141]
	scratch_load_b128 v[122:125], off, off offset:688
	s_wait_loadcnt_dscnt 0xc01
	v_mul_f64_e32 v[168:169], v[4:5], v[148:149]
	v_mul_f64_e32 v[148:149], v[6:7], v[148:149]
	;; [unrolled: 18-line block ×4, first 2 shown]
	v_add_f64_e32 v[140:141], v[176:177], v[174:175]
	v_add_f64_e32 v[166:167], v[166:167], v[170:171]
	s_wait_loadcnt_dscnt 0xa00
	v_mul_f64_e32 v[170:171], v[158:159], v[18:19]
	v_mul_f64_e32 v[18:19], v[160:161], v[18:19]
	v_fmac_f64_e32 v[172:173], v[6:7], v[150:151]
	v_fma_f64 v[150:151], v[4:5], v[150:151], -v[152:153]
	v_add_f64_e32 v[152:153], v[140:141], v[138:139]
	v_add_f64_e32 v[166:167], v[166:167], v[168:169]
	ds_load_b128 v[4:7], v2 offset:1376
	ds_load_b128 v[138:141], v2 offset:1392
	v_fmac_f64_e32 v[170:171], v[160:161], v[16:17]
	v_fma_f64 v[16:17], v[158:159], v[16:17], -v[18:19]
	s_wait_loadcnt_dscnt 0x901
	v_mul_f64_e32 v[168:169], v[4:5], v[144:145]
	v_mul_f64_e32 v[144:145], v[6:7], v[144:145]
	s_wait_loadcnt_dscnt 0x800
	v_mul_f64_e32 v[158:159], v[140:141], v[14:15]
	v_add_f64_e32 v[18:19], v[152:153], v[150:151]
	v_add_f64_e32 v[150:151], v[166:167], v[172:173]
	v_mul_f64_e32 v[152:153], v[138:139], v[14:15]
	v_fmac_f64_e32 v[168:169], v[6:7], v[142:143]
	v_fma_f64 v[142:143], v[4:5], v[142:143], -v[144:145]
	v_add_f64_e32 v[18:19], v[18:19], v[16:17]
	v_add_f64_e32 v[144:145], v[150:151], v[170:171]
	ds_load_b128 v[4:7], v2 offset:1408
	ds_load_b128 v[14:17], v2 offset:1424
	v_fmac_f64_e32 v[152:153], v[140:141], v[12:13]
	v_fma_f64 v[12:13], v[138:139], v[12:13], -v[158:159]
	s_wait_loadcnt_dscnt 0x701
	v_mul_f64_e32 v[150:151], v[4:5], v[128:129]
	v_mul_f64_e32 v[128:129], v[6:7], v[128:129]
	s_wait_loadcnt_dscnt 0x600
	v_mul_f64_e32 v[140:141], v[14:15], v[22:23]
	v_mul_f64_e32 v[22:23], v[16:17], v[22:23]
	v_add_f64_e32 v[18:19], v[18:19], v[142:143]
	v_add_f64_e32 v[138:139], v[144:145], v[168:169]
	v_fmac_f64_e32 v[150:151], v[6:7], v[126:127]
	v_fma_f64 v[142:143], v[4:5], v[126:127], -v[128:129]
	ds_load_b128 v[4:7], v2 offset:1440
	ds_load_b128 v[126:129], v2 offset:1456
	v_fmac_f64_e32 v[140:141], v[16:17], v[20:21]
	v_fma_f64 v[14:15], v[14:15], v[20:21], -v[22:23]
	v_add_f64_e32 v[12:13], v[18:19], v[12:13]
	v_add_f64_e32 v[18:19], v[138:139], v[152:153]
	s_wait_loadcnt_dscnt 0x501
	v_mul_f64_e32 v[138:139], v[4:5], v[136:137]
	v_mul_f64_e32 v[136:137], v[6:7], v[136:137]
	s_wait_loadcnt_dscnt 0x400
	v_mul_f64_e32 v[20:21], v[128:129], v[124:125]
	v_add_f64_e32 v[12:13], v[12:13], v[142:143]
	v_add_f64_e32 v[16:17], v[18:19], v[150:151]
	v_mul_f64_e32 v[18:19], v[126:127], v[124:125]
	v_fmac_f64_e32 v[138:139], v[6:7], v[134:135]
	v_fma_f64 v[22:23], v[4:5], v[134:135], -v[136:137]
	v_fma_f64 v[20:21], v[126:127], v[122:123], -v[20:21]
	v_add_f64_e32 v[124:125], v[12:13], v[14:15]
	v_add_f64_e32 v[16:17], v[16:17], v[140:141]
	ds_load_b128 v[4:7], v2 offset:1472
	ds_load_b128 v[12:15], v2 offset:1488
	v_fmac_f64_e32 v[18:19], v[128:129], v[122:123]
	s_wait_loadcnt_dscnt 0x301
	v_mul_f64_e32 v[134:135], v[4:5], v[148:149]
	v_mul_f64_e32 v[136:137], v[6:7], v[148:149]
	s_wait_loadcnt_dscnt 0x200
	v_mul_f64_e32 v[122:123], v[12:13], v[132:133]
	v_add_f64_e32 v[22:23], v[124:125], v[22:23]
	v_add_f64_e32 v[16:17], v[16:17], v[138:139]
	v_mul_f64_e32 v[124:125], v[14:15], v[132:133]
	v_fmac_f64_e32 v[134:135], v[6:7], v[146:147]
	v_fma_f64 v[126:127], v[4:5], v[146:147], -v[136:137]
	v_fmac_f64_e32 v[122:123], v[14:15], v[130:131]
	v_add_f64_e32 v[20:21], v[22:23], v[20:21]
	v_add_f64_e32 v[22:23], v[16:17], v[18:19]
	ds_load_b128 v[4:7], v2 offset:1504
	ds_load_b128 v[16:19], v2 offset:1520
	v_fma_f64 v[12:13], v[12:13], v[130:131], -v[124:125]
	s_wait_loadcnt_dscnt 0x101
	v_mul_f64_e32 v[2:3], v[4:5], v[164:165]
	v_mul_f64_e32 v[128:129], v[6:7], v[164:165]
	v_add_f64_e32 v[14:15], v[20:21], v[126:127]
	v_add_f64_e32 v[20:21], v[22:23], v[134:135]
	s_wait_loadcnt_dscnt 0x0
	v_mul_f64_e32 v[22:23], v[16:17], v[10:11]
	v_mul_f64_e32 v[10:11], v[18:19], v[10:11]
	v_fmac_f64_e32 v[2:3], v[6:7], v[162:163]
	v_fma_f64 v[4:5], v[4:5], v[162:163], -v[128:129]
	v_add_f64_e32 v[6:7], v[14:15], v[12:13]
	v_add_f64_e32 v[12:13], v[20:21], v[122:123]
	v_fmac_f64_e32 v[22:23], v[18:19], v[8:9]
	v_fma_f64 v[8:9], v[16:17], v[8:9], -v[10:11]
	s_delay_alu instid0(VALU_DEP_4) | instskip(NEXT) | instid1(VALU_DEP_4)
	v_add_f64_e32 v[4:5], v[6:7], v[4:5]
	v_add_f64_e32 v[2:3], v[12:13], v[2:3]
	s_delay_alu instid0(VALU_DEP_2) | instskip(NEXT) | instid1(VALU_DEP_2)
	v_add_f64_e32 v[4:5], v[4:5], v[8:9]
	v_add_f64_e32 v[6:7], v[2:3], v[22:23]
	s_delay_alu instid0(VALU_DEP_2) | instskip(NEXT) | instid1(VALU_DEP_2)
	v_add_f64_e64 v[2:3], v[154:155], -v[4:5]
	v_add_f64_e64 v[4:5], v[156:157], -v[6:7]
	scratch_store_b128 off, v[2:5], off offset:336
	s_wait_xcnt 0x0
	v_cmpx_lt_u32_e32 20, v1
	s_cbranch_execz .LBB47_261
; %bb.260:
	scratch_load_b128 v[2:5], off, s43
	v_mov_b32_e32 v6, 0
	s_delay_alu instid0(VALU_DEP_1)
	v_dual_mov_b32 v7, v6 :: v_dual_mov_b32 v8, v6
	v_mov_b32_e32 v9, v6
	scratch_store_b128 off, v[6:9], off offset:320
	s_wait_loadcnt 0x0
	ds_store_b128 v120, v[2:5]
.LBB47_261:
	s_wait_xcnt 0x0
	s_or_b32 exec_lo, exec_lo, s2
	s_wait_storecnt_dscnt 0x0
	s_barrier_signal -1
	s_barrier_wait -1
	s_clause 0x9
	scratch_load_b128 v[4:7], off, off offset:336
	scratch_load_b128 v[8:11], off, off offset:352
	;; [unrolled: 1-line block ×10, first 2 shown]
	v_mov_b32_e32 v2, 0
	s_mov_b32 s2, exec_lo
	ds_load_b128 v[142:145], v2 offset:1104
	s_clause 0x2
	scratch_load_b128 v[146:149], off, off offset:496
	scratch_load_b128 v[150:153], off, off offset:320
	;; [unrolled: 1-line block ×3, first 2 shown]
	s_wait_loadcnt_dscnt 0xc00
	v_mul_f64_e32 v[162:163], v[144:145], v[6:7]
	v_mul_f64_e32 v[166:167], v[142:143], v[6:7]
	ds_load_b128 v[154:157], v2 offset:1120
	v_fma_f64 v[170:171], v[142:143], v[4:5], -v[162:163]
	v_fmac_f64_e32 v[166:167], v[144:145], v[4:5]
	ds_load_b128 v[4:7], v2 offset:1136
	s_wait_loadcnt_dscnt 0xb01
	v_mul_f64_e32 v[168:169], v[154:155], v[10:11]
	v_mul_f64_e32 v[10:11], v[156:157], v[10:11]
	scratch_load_b128 v[142:145], off, off offset:528
	ds_load_b128 v[162:165], v2 offset:1152
	s_wait_loadcnt_dscnt 0xb01
	v_mul_f64_e32 v[172:173], v[4:5], v[14:15]
	v_mul_f64_e32 v[14:15], v[6:7], v[14:15]
	v_add_f64_e32 v[166:167], 0, v[166:167]
	v_fmac_f64_e32 v[168:169], v[156:157], v[8:9]
	v_fma_f64 v[154:155], v[154:155], v[8:9], -v[10:11]
	v_add_f64_e32 v[156:157], 0, v[170:171]
	scratch_load_b128 v[8:11], off, off offset:544
	v_fmac_f64_e32 v[172:173], v[6:7], v[12:13]
	v_fma_f64 v[174:175], v[4:5], v[12:13], -v[14:15]
	ds_load_b128 v[4:7], v2 offset:1168
	s_wait_loadcnt_dscnt 0xb01
	v_mul_f64_e32 v[170:171], v[162:163], v[18:19]
	v_mul_f64_e32 v[18:19], v[164:165], v[18:19]
	scratch_load_b128 v[12:15], off, off offset:560
	v_add_f64_e32 v[166:167], v[166:167], v[168:169]
	v_add_f64_e32 v[176:177], v[156:157], v[154:155]
	ds_load_b128 v[154:157], v2 offset:1184
	s_wait_loadcnt_dscnt 0xb01
	v_mul_f64_e32 v[168:169], v[4:5], v[22:23]
	v_mul_f64_e32 v[22:23], v[6:7], v[22:23]
	v_fmac_f64_e32 v[170:171], v[164:165], v[16:17]
	v_fma_f64 v[162:163], v[162:163], v[16:17], -v[18:19]
	scratch_load_b128 v[16:19], off, off offset:576
	v_add_f64_e32 v[166:167], v[166:167], v[172:173]
	v_add_f64_e32 v[164:165], v[176:177], v[174:175]
	v_fmac_f64_e32 v[168:169], v[6:7], v[20:21]
	v_fma_f64 v[174:175], v[4:5], v[20:21], -v[22:23]
	ds_load_b128 v[4:7], v2 offset:1200
	s_wait_loadcnt_dscnt 0xb01
	v_mul_f64_e32 v[172:173], v[154:155], v[124:125]
	v_mul_f64_e32 v[124:125], v[156:157], v[124:125]
	scratch_load_b128 v[20:23], off, off offset:592
	v_add_f64_e32 v[166:167], v[166:167], v[170:171]
	s_wait_loadcnt_dscnt 0xb00
	v_mul_f64_e32 v[170:171], v[4:5], v[128:129]
	v_add_f64_e32 v[176:177], v[164:165], v[162:163]
	v_mul_f64_e32 v[128:129], v[6:7], v[128:129]
	ds_load_b128 v[162:165], v2 offset:1216
	v_fmac_f64_e32 v[172:173], v[156:157], v[122:123]
	v_fma_f64 v[154:155], v[154:155], v[122:123], -v[124:125]
	scratch_load_b128 v[122:125], off, off offset:608
	v_add_f64_e32 v[166:167], v[166:167], v[168:169]
	v_fmac_f64_e32 v[170:171], v[6:7], v[126:127]
	v_add_f64_e32 v[156:157], v[176:177], v[174:175]
	v_fma_f64 v[174:175], v[4:5], v[126:127], -v[128:129]
	ds_load_b128 v[4:7], v2 offset:1232
	s_wait_loadcnt_dscnt 0xb01
	v_mul_f64_e32 v[168:169], v[162:163], v[132:133]
	v_mul_f64_e32 v[132:133], v[164:165], v[132:133]
	scratch_load_b128 v[126:129], off, off offset:624
	v_add_f64_e32 v[166:167], v[166:167], v[172:173]
	s_wait_loadcnt_dscnt 0xb00
	v_mul_f64_e32 v[172:173], v[4:5], v[136:137]
	v_add_f64_e32 v[176:177], v[156:157], v[154:155]
	v_mul_f64_e32 v[136:137], v[6:7], v[136:137]
	ds_load_b128 v[154:157], v2 offset:1248
	v_fmac_f64_e32 v[168:169], v[164:165], v[130:131]
	v_fma_f64 v[162:163], v[162:163], v[130:131], -v[132:133]
	scratch_load_b128 v[130:133], off, off offset:640
	v_add_f64_e32 v[166:167], v[166:167], v[170:171]
	v_fmac_f64_e32 v[172:173], v[6:7], v[134:135]
	v_add_f64_e32 v[164:165], v[176:177], v[174:175]
	;; [unrolled: 18-line block ×3, first 2 shown]
	v_fma_f64 v[174:175], v[4:5], v[146:147], -v[148:149]
	ds_load_b128 v[4:7], v2 offset:1296
	s_wait_loadcnt_dscnt 0xa01
	v_mul_f64_e32 v[172:173], v[162:163], v[160:161]
	v_mul_f64_e32 v[160:161], v[164:165], v[160:161]
	scratch_load_b128 v[146:149], off, off offset:688
	v_add_f64_e32 v[166:167], v[166:167], v[170:171]
	v_add_f64_e32 v[176:177], v[156:157], v[154:155]
	s_wait_loadcnt_dscnt 0xa00
	v_mul_f64_e32 v[170:171], v[4:5], v[144:145]
	v_mul_f64_e32 v[144:145], v[6:7], v[144:145]
	v_fmac_f64_e32 v[172:173], v[164:165], v[158:159]
	v_fma_f64 v[162:163], v[162:163], v[158:159], -v[160:161]
	ds_load_b128 v[154:157], v2 offset:1312
	scratch_load_b128 v[158:161], off, off offset:704
	v_add_f64_e32 v[166:167], v[166:167], v[168:169]
	v_add_f64_e32 v[164:165], v[176:177], v[174:175]
	v_fmac_f64_e32 v[170:171], v[6:7], v[142:143]
	v_fma_f64 v[174:175], v[4:5], v[142:143], -v[144:145]
	ds_load_b128 v[4:7], v2 offset:1328
	s_wait_loadcnt_dscnt 0xa01
	v_mul_f64_e32 v[168:169], v[154:155], v[10:11]
	v_mul_f64_e32 v[10:11], v[156:157], v[10:11]
	scratch_load_b128 v[142:145], off, off offset:720
	v_add_f64_e32 v[166:167], v[166:167], v[172:173]
	s_wait_loadcnt_dscnt 0xa00
	v_mul_f64_e32 v[172:173], v[4:5], v[14:15]
	v_add_f64_e32 v[176:177], v[164:165], v[162:163]
	v_mul_f64_e32 v[14:15], v[6:7], v[14:15]
	ds_load_b128 v[162:165], v2 offset:1344
	v_fmac_f64_e32 v[168:169], v[156:157], v[8:9]
	v_fma_f64 v[154:155], v[154:155], v[8:9], -v[10:11]
	scratch_load_b128 v[8:11], off, off offset:736
	v_add_f64_e32 v[166:167], v[166:167], v[170:171]
	v_fmac_f64_e32 v[172:173], v[6:7], v[12:13]
	v_add_f64_e32 v[156:157], v[176:177], v[174:175]
	v_fma_f64 v[174:175], v[4:5], v[12:13], -v[14:15]
	ds_load_b128 v[4:7], v2 offset:1360
	s_wait_loadcnt_dscnt 0xa01
	v_mul_f64_e32 v[170:171], v[162:163], v[18:19]
	v_mul_f64_e32 v[18:19], v[164:165], v[18:19]
	scratch_load_b128 v[12:15], off, off offset:752
	v_add_f64_e32 v[166:167], v[166:167], v[168:169]
	s_wait_loadcnt_dscnt 0xa00
	v_mul_f64_e32 v[168:169], v[4:5], v[22:23]
	v_add_f64_e32 v[176:177], v[156:157], v[154:155]
	v_mul_f64_e32 v[22:23], v[6:7], v[22:23]
	ds_load_b128 v[154:157], v2 offset:1376
	v_fmac_f64_e32 v[170:171], v[164:165], v[16:17]
	v_fma_f64 v[16:17], v[162:163], v[16:17], -v[18:19]
	s_wait_loadcnt_dscnt 0x900
	v_mul_f64_e32 v[164:165], v[154:155], v[124:125]
	v_mul_f64_e32 v[124:125], v[156:157], v[124:125]
	v_add_f64_e32 v[162:163], v[166:167], v[172:173]
	v_fmac_f64_e32 v[168:169], v[6:7], v[20:21]
	v_add_f64_e32 v[18:19], v[176:177], v[174:175]
	v_fma_f64 v[20:21], v[4:5], v[20:21], -v[22:23]
	v_fmac_f64_e32 v[164:165], v[156:157], v[122:123]
	v_fma_f64 v[122:123], v[154:155], v[122:123], -v[124:125]
	v_add_f64_e32 v[162:163], v[162:163], v[170:171]
	v_add_f64_e32 v[22:23], v[18:19], v[16:17]
	ds_load_b128 v[4:7], v2 offset:1392
	ds_load_b128 v[16:19], v2 offset:1408
	s_wait_loadcnt_dscnt 0x801
	v_mul_f64_e32 v[166:167], v[4:5], v[128:129]
	v_mul_f64_e32 v[128:129], v[6:7], v[128:129]
	s_wait_loadcnt_dscnt 0x700
	v_mul_f64_e32 v[124:125], v[16:17], v[132:133]
	v_mul_f64_e32 v[132:133], v[18:19], v[132:133]
	v_add_f64_e32 v[20:21], v[22:23], v[20:21]
	v_add_f64_e32 v[22:23], v[162:163], v[168:169]
	v_fmac_f64_e32 v[166:167], v[6:7], v[126:127]
	v_fma_f64 v[126:127], v[4:5], v[126:127], -v[128:129]
	v_fmac_f64_e32 v[124:125], v[18:19], v[130:131]
	v_fma_f64 v[16:17], v[16:17], v[130:131], -v[132:133]
	v_add_f64_e32 v[122:123], v[20:21], v[122:123]
	v_add_f64_e32 v[128:129], v[22:23], v[164:165]
	ds_load_b128 v[4:7], v2 offset:1424
	ds_load_b128 v[20:23], v2 offset:1440
	s_wait_loadcnt_dscnt 0x601
	v_mul_f64_e32 v[154:155], v[4:5], v[136:137]
	v_mul_f64_e32 v[136:137], v[6:7], v[136:137]
	v_add_f64_e32 v[18:19], v[122:123], v[126:127]
	v_add_f64_e32 v[122:123], v[128:129], v[166:167]
	s_wait_loadcnt_dscnt 0x500
	v_mul_f64_e32 v[126:127], v[20:21], v[140:141]
	v_mul_f64_e32 v[128:129], v[22:23], v[140:141]
	v_fmac_f64_e32 v[154:155], v[6:7], v[134:135]
	v_fma_f64 v[130:131], v[4:5], v[134:135], -v[136:137]
	v_add_f64_e32 v[132:133], v[18:19], v[16:17]
	v_add_f64_e32 v[122:123], v[122:123], v[124:125]
	ds_load_b128 v[4:7], v2 offset:1456
	ds_load_b128 v[16:19], v2 offset:1472
	v_fmac_f64_e32 v[126:127], v[22:23], v[138:139]
	v_fma_f64 v[20:21], v[20:21], v[138:139], -v[128:129]
	s_wait_loadcnt_dscnt 0x401
	v_mul_f64_e32 v[124:125], v[4:5], v[148:149]
	v_mul_f64_e32 v[134:135], v[6:7], v[148:149]
	s_wait_loadcnt_dscnt 0x300
	v_mul_f64_e32 v[128:129], v[16:17], v[160:161]
	v_add_f64_e32 v[22:23], v[132:133], v[130:131]
	v_add_f64_e32 v[122:123], v[122:123], v[154:155]
	v_mul_f64_e32 v[130:131], v[18:19], v[160:161]
	v_fmac_f64_e32 v[124:125], v[6:7], v[146:147]
	v_fma_f64 v[132:133], v[4:5], v[146:147], -v[134:135]
	v_fmac_f64_e32 v[128:129], v[18:19], v[158:159]
	v_add_f64_e32 v[134:135], v[22:23], v[20:21]
	v_add_f64_e32 v[122:123], v[122:123], v[126:127]
	ds_load_b128 v[4:7], v2 offset:1488
	ds_load_b128 v[20:23], v2 offset:1504
	v_fma_f64 v[16:17], v[16:17], v[158:159], -v[130:131]
	s_wait_loadcnt_dscnt 0x201
	v_mul_f64_e32 v[126:127], v[4:5], v[144:145]
	v_mul_f64_e32 v[136:137], v[6:7], v[144:145]
	v_add_f64_e32 v[18:19], v[134:135], v[132:133]
	v_add_f64_e32 v[122:123], v[122:123], v[124:125]
	s_wait_loadcnt_dscnt 0x100
	v_mul_f64_e32 v[124:125], v[20:21], v[10:11]
	v_mul_f64_e32 v[10:11], v[22:23], v[10:11]
	v_fmac_f64_e32 v[126:127], v[6:7], v[142:143]
	v_fma_f64 v[130:131], v[4:5], v[142:143], -v[136:137]
	ds_load_b128 v[4:7], v2 offset:1520
	v_add_f64_e32 v[16:17], v[18:19], v[16:17]
	v_add_f64_e32 v[18:19], v[122:123], v[128:129]
	v_fmac_f64_e32 v[124:125], v[22:23], v[8:9]
	v_fma_f64 v[8:9], v[20:21], v[8:9], -v[10:11]
	s_wait_loadcnt_dscnt 0x0
	v_mul_f64_e32 v[122:123], v[4:5], v[14:15]
	v_mul_f64_e32 v[14:15], v[6:7], v[14:15]
	v_add_f64_e32 v[10:11], v[16:17], v[130:131]
	v_add_f64_e32 v[16:17], v[18:19], v[126:127]
	s_delay_alu instid0(VALU_DEP_4) | instskip(NEXT) | instid1(VALU_DEP_4)
	v_fmac_f64_e32 v[122:123], v[6:7], v[12:13]
	v_fma_f64 v[4:5], v[4:5], v[12:13], -v[14:15]
	s_delay_alu instid0(VALU_DEP_4) | instskip(NEXT) | instid1(VALU_DEP_4)
	v_add_f64_e32 v[6:7], v[10:11], v[8:9]
	v_add_f64_e32 v[8:9], v[16:17], v[124:125]
	s_delay_alu instid0(VALU_DEP_2) | instskip(NEXT) | instid1(VALU_DEP_2)
	v_add_f64_e32 v[4:5], v[6:7], v[4:5]
	v_add_f64_e32 v[6:7], v[8:9], v[122:123]
	s_delay_alu instid0(VALU_DEP_2) | instskip(NEXT) | instid1(VALU_DEP_2)
	v_add_f64_e64 v[4:5], v[150:151], -v[4:5]
	v_add_f64_e64 v[6:7], v[152:153], -v[6:7]
	scratch_store_b128 off, v[4:7], off offset:320
	s_wait_xcnt 0x0
	v_cmpx_lt_u32_e32 19, v1
	s_cbranch_execz .LBB47_263
; %bb.262:
	scratch_load_b128 v[6:9], off, s42
	v_dual_mov_b32 v3, v2 :: v_dual_mov_b32 v4, v2
	v_mov_b32_e32 v5, v2
	scratch_store_b128 off, v[2:5], off offset:304
	s_wait_loadcnt 0x0
	ds_store_b128 v120, v[6:9]
.LBB47_263:
	s_wait_xcnt 0x0
	s_or_b32 exec_lo, exec_lo, s2
	s_wait_storecnt_dscnt 0x0
	s_barrier_signal -1
	s_barrier_wait -1
	s_clause 0x9
	scratch_load_b128 v[4:7], off, off offset:320
	scratch_load_b128 v[8:11], off, off offset:336
	;; [unrolled: 1-line block ×10, first 2 shown]
	ds_load_b128 v[142:145], v2 offset:1088
	ds_load_b128 v[150:153], v2 offset:1104
	s_clause 0x2
	scratch_load_b128 v[146:149], off, off offset:480
	scratch_load_b128 v[154:157], off, off offset:304
	;; [unrolled: 1-line block ×3, first 2 shown]
	s_mov_b32 s2, exec_lo
	s_wait_loadcnt_dscnt 0xc01
	v_mul_f64_e32 v[162:163], v[144:145], v[6:7]
	v_mul_f64_e32 v[166:167], v[142:143], v[6:7]
	s_wait_loadcnt_dscnt 0xb00
	v_mul_f64_e32 v[168:169], v[150:151], v[10:11]
	v_mul_f64_e32 v[10:11], v[152:153], v[10:11]
	s_delay_alu instid0(VALU_DEP_4) | instskip(NEXT) | instid1(VALU_DEP_4)
	v_fma_f64 v[170:171], v[142:143], v[4:5], -v[162:163]
	v_fmac_f64_e32 v[166:167], v[144:145], v[4:5]
	ds_load_b128 v[4:7], v2 offset:1120
	ds_load_b128 v[142:145], v2 offset:1136
	scratch_load_b128 v[162:165], off, off offset:512
	v_fmac_f64_e32 v[168:169], v[152:153], v[8:9]
	v_fma_f64 v[150:151], v[150:151], v[8:9], -v[10:11]
	scratch_load_b128 v[8:11], off, off offset:528
	s_wait_loadcnt_dscnt 0xc01
	v_mul_f64_e32 v[172:173], v[4:5], v[14:15]
	v_mul_f64_e32 v[14:15], v[6:7], v[14:15]
	v_add_f64_e32 v[152:153], 0, v[170:171]
	v_add_f64_e32 v[166:167], 0, v[166:167]
	s_wait_loadcnt_dscnt 0xb00
	v_mul_f64_e32 v[170:171], v[142:143], v[18:19]
	v_mul_f64_e32 v[18:19], v[144:145], v[18:19]
	v_fmac_f64_e32 v[172:173], v[6:7], v[12:13]
	v_fma_f64 v[174:175], v[4:5], v[12:13], -v[14:15]
	ds_load_b128 v[4:7], v2 offset:1152
	ds_load_b128 v[12:15], v2 offset:1168
	v_add_f64_e32 v[176:177], v[152:153], v[150:151]
	v_add_f64_e32 v[166:167], v[166:167], v[168:169]
	scratch_load_b128 v[150:153], off, off offset:544
	v_fmac_f64_e32 v[170:171], v[144:145], v[16:17]
	v_fma_f64 v[142:143], v[142:143], v[16:17], -v[18:19]
	scratch_load_b128 v[16:19], off, off offset:560
	s_wait_loadcnt_dscnt 0xc01
	v_mul_f64_e32 v[168:169], v[4:5], v[22:23]
	v_mul_f64_e32 v[22:23], v[6:7], v[22:23]
	v_add_f64_e32 v[144:145], v[176:177], v[174:175]
	v_add_f64_e32 v[166:167], v[166:167], v[172:173]
	s_wait_loadcnt_dscnt 0xb00
	v_mul_f64_e32 v[172:173], v[12:13], v[124:125]
	v_mul_f64_e32 v[124:125], v[14:15], v[124:125]
	v_fmac_f64_e32 v[168:169], v[6:7], v[20:21]
	v_fma_f64 v[174:175], v[4:5], v[20:21], -v[22:23]
	ds_load_b128 v[4:7], v2 offset:1184
	ds_load_b128 v[20:23], v2 offset:1200
	v_add_f64_e32 v[176:177], v[144:145], v[142:143]
	v_add_f64_e32 v[166:167], v[166:167], v[170:171]
	scratch_load_b128 v[142:145], off, off offset:576
	s_wait_loadcnt_dscnt 0xb01
	v_mul_f64_e32 v[170:171], v[4:5], v[128:129]
	v_mul_f64_e32 v[128:129], v[6:7], v[128:129]
	v_fmac_f64_e32 v[172:173], v[14:15], v[122:123]
	v_fma_f64 v[122:123], v[12:13], v[122:123], -v[124:125]
	scratch_load_b128 v[12:15], off, off offset:592
	v_add_f64_e32 v[124:125], v[176:177], v[174:175]
	v_add_f64_e32 v[166:167], v[166:167], v[168:169]
	s_wait_loadcnt_dscnt 0xb00
	v_mul_f64_e32 v[168:169], v[20:21], v[132:133]
	v_mul_f64_e32 v[132:133], v[22:23], v[132:133]
	v_fmac_f64_e32 v[170:171], v[6:7], v[126:127]
	v_fma_f64 v[174:175], v[4:5], v[126:127], -v[128:129]
	v_add_f64_e32 v[176:177], v[124:125], v[122:123]
	v_add_f64_e32 v[166:167], v[166:167], v[172:173]
	ds_load_b128 v[4:7], v2 offset:1216
	ds_load_b128 v[122:125], v2 offset:1232
	scratch_load_b128 v[126:129], off, off offset:608
	v_fmac_f64_e32 v[168:169], v[22:23], v[130:131]
	v_fma_f64 v[130:131], v[20:21], v[130:131], -v[132:133]
	scratch_load_b128 v[20:23], off, off offset:624
	s_wait_loadcnt_dscnt 0xc01
	v_mul_f64_e32 v[172:173], v[4:5], v[136:137]
	v_mul_f64_e32 v[136:137], v[6:7], v[136:137]
	v_add_f64_e32 v[132:133], v[176:177], v[174:175]
	v_add_f64_e32 v[166:167], v[166:167], v[170:171]
	s_wait_loadcnt_dscnt 0xb00
	v_mul_f64_e32 v[170:171], v[122:123], v[140:141]
	v_mul_f64_e32 v[140:141], v[124:125], v[140:141]
	v_fmac_f64_e32 v[172:173], v[6:7], v[134:135]
	v_fma_f64 v[174:175], v[4:5], v[134:135], -v[136:137]
	v_add_f64_e32 v[176:177], v[132:133], v[130:131]
	v_add_f64_e32 v[166:167], v[166:167], v[168:169]
	ds_load_b128 v[4:7], v2 offset:1248
	ds_load_b128 v[130:133], v2 offset:1264
	scratch_load_b128 v[134:137], off, off offset:640
	v_fmac_f64_e32 v[170:171], v[124:125], v[138:139]
	v_fma_f64 v[138:139], v[122:123], v[138:139], -v[140:141]
	scratch_load_b128 v[122:125], off, off offset:656
	s_wait_loadcnt_dscnt 0xc01
	v_mul_f64_e32 v[168:169], v[4:5], v[148:149]
	v_mul_f64_e32 v[148:149], v[6:7], v[148:149]
	;; [unrolled: 18-line block ×5, first 2 shown]
	v_add_f64_e32 v[160:161], v[176:177], v[174:175]
	v_add_f64_e32 v[166:167], v[166:167], v[172:173]
	s_wait_loadcnt_dscnt 0xa00
	v_mul_f64_e32 v[172:173], v[138:139], v[14:15]
	v_mul_f64_e32 v[14:15], v[140:141], v[14:15]
	v_fmac_f64_e32 v[168:169], v[6:7], v[142:143]
	v_fma_f64 v[174:175], v[4:5], v[142:143], -v[144:145]
	ds_load_b128 v[4:7], v2 offset:1376
	ds_load_b128 v[142:145], v2 offset:1392
	v_add_f64_e32 v[158:159], v[160:161], v[158:159]
	v_add_f64_e32 v[160:161], v[166:167], v[170:171]
	v_fmac_f64_e32 v[172:173], v[140:141], v[12:13]
	v_fma_f64 v[12:13], v[138:139], v[12:13], -v[14:15]
	s_wait_loadcnt_dscnt 0x901
	v_mul_f64_e32 v[166:167], v[4:5], v[128:129]
	v_mul_f64_e32 v[128:129], v[6:7], v[128:129]
	s_wait_loadcnt_dscnt 0x800
	v_mul_f64_e32 v[140:141], v[142:143], v[22:23]
	v_mul_f64_e32 v[22:23], v[144:145], v[22:23]
	v_add_f64_e32 v[14:15], v[158:159], v[174:175]
	v_add_f64_e32 v[138:139], v[160:161], v[168:169]
	v_fmac_f64_e32 v[166:167], v[6:7], v[126:127]
	v_fma_f64 v[126:127], v[4:5], v[126:127], -v[128:129]
	v_fmac_f64_e32 v[140:141], v[144:145], v[20:21]
	v_fma_f64 v[20:21], v[142:143], v[20:21], -v[22:23]
	v_add_f64_e32 v[128:129], v[14:15], v[12:13]
	v_add_f64_e32 v[138:139], v[138:139], v[172:173]
	ds_load_b128 v[4:7], v2 offset:1408
	ds_load_b128 v[12:15], v2 offset:1424
	s_wait_loadcnt_dscnt 0x701
	v_mul_f64_e32 v[158:159], v[4:5], v[136:137]
	v_mul_f64_e32 v[136:137], v[6:7], v[136:137]
	v_add_f64_e32 v[22:23], v[128:129], v[126:127]
	v_add_f64_e32 v[126:127], v[138:139], v[166:167]
	s_wait_loadcnt_dscnt 0x600
	v_mul_f64_e32 v[128:129], v[12:13], v[124:125]
	v_mul_f64_e32 v[124:125], v[14:15], v[124:125]
	v_fmac_f64_e32 v[158:159], v[6:7], v[134:135]
	v_fma_f64 v[134:135], v[4:5], v[134:135], -v[136:137]
	v_add_f64_e32 v[136:137], v[22:23], v[20:21]
	v_add_f64_e32 v[126:127], v[126:127], v[140:141]
	ds_load_b128 v[4:7], v2 offset:1440
	ds_load_b128 v[20:23], v2 offset:1456
	v_fmac_f64_e32 v[128:129], v[14:15], v[122:123]
	v_fma_f64 v[12:13], v[12:13], v[122:123], -v[124:125]
	s_wait_loadcnt_dscnt 0x501
	v_mul_f64_e32 v[138:139], v[4:5], v[148:149]
	v_mul_f64_e32 v[140:141], v[6:7], v[148:149]
	s_wait_loadcnt_dscnt 0x400
	v_mul_f64_e32 v[124:125], v[20:21], v[132:133]
	v_add_f64_e32 v[14:15], v[136:137], v[134:135]
	v_add_f64_e32 v[122:123], v[126:127], v[158:159]
	v_mul_f64_e32 v[126:127], v[22:23], v[132:133]
	v_fmac_f64_e32 v[138:139], v[6:7], v[146:147]
	v_fma_f64 v[132:133], v[4:5], v[146:147], -v[140:141]
	v_fmac_f64_e32 v[124:125], v[22:23], v[130:131]
	v_add_f64_e32 v[134:135], v[14:15], v[12:13]
	v_add_f64_e32 v[122:123], v[122:123], v[128:129]
	ds_load_b128 v[4:7], v2 offset:1472
	ds_load_b128 v[12:15], v2 offset:1488
	v_fma_f64 v[20:21], v[20:21], v[130:131], -v[126:127]
	s_wait_loadcnt_dscnt 0x301
	v_mul_f64_e32 v[128:129], v[4:5], v[164:165]
	v_mul_f64_e32 v[136:137], v[6:7], v[164:165]
	s_wait_loadcnt_dscnt 0x200
	v_mul_f64_e32 v[126:127], v[12:13], v[10:11]
	v_mul_f64_e32 v[10:11], v[14:15], v[10:11]
	v_add_f64_e32 v[22:23], v[134:135], v[132:133]
	v_add_f64_e32 v[122:123], v[122:123], v[138:139]
	v_fmac_f64_e32 v[128:129], v[6:7], v[162:163]
	v_fma_f64 v[130:131], v[4:5], v[162:163], -v[136:137]
	v_fmac_f64_e32 v[126:127], v[14:15], v[8:9]
	v_fma_f64 v[8:9], v[12:13], v[8:9], -v[10:11]
	v_add_f64_e32 v[132:133], v[22:23], v[20:21]
	v_add_f64_e32 v[122:123], v[122:123], v[124:125]
	ds_load_b128 v[4:7], v2 offset:1504
	ds_load_b128 v[20:23], v2 offset:1520
	s_wait_loadcnt_dscnt 0x101
	v_mul_f64_e32 v[2:3], v[4:5], v[152:153]
	v_mul_f64_e32 v[124:125], v[6:7], v[152:153]
	s_wait_loadcnt_dscnt 0x0
	v_mul_f64_e32 v[14:15], v[20:21], v[18:19]
	v_mul_f64_e32 v[18:19], v[22:23], v[18:19]
	v_add_f64_e32 v[10:11], v[132:133], v[130:131]
	v_add_f64_e32 v[12:13], v[122:123], v[128:129]
	v_fmac_f64_e32 v[2:3], v[6:7], v[150:151]
	v_fma_f64 v[4:5], v[4:5], v[150:151], -v[124:125]
	v_fmac_f64_e32 v[14:15], v[22:23], v[16:17]
	v_add_f64_e32 v[6:7], v[10:11], v[8:9]
	v_add_f64_e32 v[8:9], v[12:13], v[126:127]
	v_fma_f64 v[10:11], v[20:21], v[16:17], -v[18:19]
	s_delay_alu instid0(VALU_DEP_3) | instskip(NEXT) | instid1(VALU_DEP_3)
	v_add_f64_e32 v[4:5], v[6:7], v[4:5]
	v_add_f64_e32 v[2:3], v[8:9], v[2:3]
	s_delay_alu instid0(VALU_DEP_2) | instskip(NEXT) | instid1(VALU_DEP_2)
	v_add_f64_e32 v[4:5], v[4:5], v[10:11]
	v_add_f64_e32 v[6:7], v[2:3], v[14:15]
	s_delay_alu instid0(VALU_DEP_2) | instskip(NEXT) | instid1(VALU_DEP_2)
	v_add_f64_e64 v[2:3], v[154:155], -v[4:5]
	v_add_f64_e64 v[4:5], v[156:157], -v[6:7]
	scratch_store_b128 off, v[2:5], off offset:304
	s_wait_xcnt 0x0
	v_cmpx_lt_u32_e32 18, v1
	s_cbranch_execz .LBB47_265
; %bb.264:
	scratch_load_b128 v[2:5], off, s41
	v_mov_b32_e32 v6, 0
	s_delay_alu instid0(VALU_DEP_1)
	v_dual_mov_b32 v7, v6 :: v_dual_mov_b32 v8, v6
	v_mov_b32_e32 v9, v6
	scratch_store_b128 off, v[6:9], off offset:288
	s_wait_loadcnt 0x0
	ds_store_b128 v120, v[2:5]
.LBB47_265:
	s_wait_xcnt 0x0
	s_or_b32 exec_lo, exec_lo, s2
	s_wait_storecnt_dscnt 0x0
	s_barrier_signal -1
	s_barrier_wait -1
	s_clause 0x9
	scratch_load_b128 v[4:7], off, off offset:304
	scratch_load_b128 v[8:11], off, off offset:320
	;; [unrolled: 1-line block ×10, first 2 shown]
	v_mov_b32_e32 v2, 0
	s_mov_b32 s2, exec_lo
	ds_load_b128 v[142:145], v2 offset:1072
	s_clause 0x2
	scratch_load_b128 v[146:149], off, off offset:464
	scratch_load_b128 v[150:153], off, off offset:288
	;; [unrolled: 1-line block ×3, first 2 shown]
	s_wait_loadcnt_dscnt 0xc00
	v_mul_f64_e32 v[162:163], v[144:145], v[6:7]
	v_mul_f64_e32 v[166:167], v[142:143], v[6:7]
	ds_load_b128 v[154:157], v2 offset:1088
	v_fma_f64 v[170:171], v[142:143], v[4:5], -v[162:163]
	v_fmac_f64_e32 v[166:167], v[144:145], v[4:5]
	ds_load_b128 v[4:7], v2 offset:1104
	s_wait_loadcnt_dscnt 0xb01
	v_mul_f64_e32 v[168:169], v[154:155], v[10:11]
	v_mul_f64_e32 v[10:11], v[156:157], v[10:11]
	scratch_load_b128 v[142:145], off, off offset:496
	ds_load_b128 v[162:165], v2 offset:1120
	s_wait_loadcnt_dscnt 0xb01
	v_mul_f64_e32 v[172:173], v[4:5], v[14:15]
	v_mul_f64_e32 v[14:15], v[6:7], v[14:15]
	v_add_f64_e32 v[166:167], 0, v[166:167]
	v_fmac_f64_e32 v[168:169], v[156:157], v[8:9]
	v_fma_f64 v[154:155], v[154:155], v[8:9], -v[10:11]
	v_add_f64_e32 v[156:157], 0, v[170:171]
	scratch_load_b128 v[8:11], off, off offset:512
	v_fmac_f64_e32 v[172:173], v[6:7], v[12:13]
	v_fma_f64 v[174:175], v[4:5], v[12:13], -v[14:15]
	ds_load_b128 v[4:7], v2 offset:1136
	s_wait_loadcnt_dscnt 0xb01
	v_mul_f64_e32 v[170:171], v[162:163], v[18:19]
	v_mul_f64_e32 v[18:19], v[164:165], v[18:19]
	scratch_load_b128 v[12:15], off, off offset:528
	v_add_f64_e32 v[166:167], v[166:167], v[168:169]
	v_add_f64_e32 v[176:177], v[156:157], v[154:155]
	ds_load_b128 v[154:157], v2 offset:1152
	s_wait_loadcnt_dscnt 0xb01
	v_mul_f64_e32 v[168:169], v[4:5], v[22:23]
	v_mul_f64_e32 v[22:23], v[6:7], v[22:23]
	v_fmac_f64_e32 v[170:171], v[164:165], v[16:17]
	v_fma_f64 v[162:163], v[162:163], v[16:17], -v[18:19]
	scratch_load_b128 v[16:19], off, off offset:544
	v_add_f64_e32 v[166:167], v[166:167], v[172:173]
	v_add_f64_e32 v[164:165], v[176:177], v[174:175]
	v_fmac_f64_e32 v[168:169], v[6:7], v[20:21]
	v_fma_f64 v[174:175], v[4:5], v[20:21], -v[22:23]
	ds_load_b128 v[4:7], v2 offset:1168
	s_wait_loadcnt_dscnt 0xb01
	v_mul_f64_e32 v[172:173], v[154:155], v[124:125]
	v_mul_f64_e32 v[124:125], v[156:157], v[124:125]
	scratch_load_b128 v[20:23], off, off offset:560
	v_add_f64_e32 v[166:167], v[166:167], v[170:171]
	s_wait_loadcnt_dscnt 0xb00
	v_mul_f64_e32 v[170:171], v[4:5], v[128:129]
	v_add_f64_e32 v[176:177], v[164:165], v[162:163]
	v_mul_f64_e32 v[128:129], v[6:7], v[128:129]
	ds_load_b128 v[162:165], v2 offset:1184
	v_fmac_f64_e32 v[172:173], v[156:157], v[122:123]
	v_fma_f64 v[154:155], v[154:155], v[122:123], -v[124:125]
	scratch_load_b128 v[122:125], off, off offset:576
	v_add_f64_e32 v[166:167], v[166:167], v[168:169]
	v_fmac_f64_e32 v[170:171], v[6:7], v[126:127]
	v_add_f64_e32 v[156:157], v[176:177], v[174:175]
	v_fma_f64 v[174:175], v[4:5], v[126:127], -v[128:129]
	ds_load_b128 v[4:7], v2 offset:1200
	s_wait_loadcnt_dscnt 0xb01
	v_mul_f64_e32 v[168:169], v[162:163], v[132:133]
	v_mul_f64_e32 v[132:133], v[164:165], v[132:133]
	scratch_load_b128 v[126:129], off, off offset:592
	v_add_f64_e32 v[166:167], v[166:167], v[172:173]
	s_wait_loadcnt_dscnt 0xb00
	v_mul_f64_e32 v[172:173], v[4:5], v[136:137]
	v_add_f64_e32 v[176:177], v[156:157], v[154:155]
	v_mul_f64_e32 v[136:137], v[6:7], v[136:137]
	ds_load_b128 v[154:157], v2 offset:1216
	v_fmac_f64_e32 v[168:169], v[164:165], v[130:131]
	v_fma_f64 v[162:163], v[162:163], v[130:131], -v[132:133]
	scratch_load_b128 v[130:133], off, off offset:608
	v_add_f64_e32 v[166:167], v[166:167], v[170:171]
	v_fmac_f64_e32 v[172:173], v[6:7], v[134:135]
	v_add_f64_e32 v[164:165], v[176:177], v[174:175]
	;; [unrolled: 18-line block ×3, first 2 shown]
	v_fma_f64 v[174:175], v[4:5], v[146:147], -v[148:149]
	ds_load_b128 v[4:7], v2 offset:1264
	s_wait_loadcnt_dscnt 0xa01
	v_mul_f64_e32 v[172:173], v[162:163], v[160:161]
	v_mul_f64_e32 v[160:161], v[164:165], v[160:161]
	scratch_load_b128 v[146:149], off, off offset:656
	v_add_f64_e32 v[166:167], v[166:167], v[170:171]
	v_add_f64_e32 v[176:177], v[156:157], v[154:155]
	s_wait_loadcnt_dscnt 0xa00
	v_mul_f64_e32 v[170:171], v[4:5], v[144:145]
	v_mul_f64_e32 v[144:145], v[6:7], v[144:145]
	v_fmac_f64_e32 v[172:173], v[164:165], v[158:159]
	v_fma_f64 v[162:163], v[162:163], v[158:159], -v[160:161]
	ds_load_b128 v[154:157], v2 offset:1280
	scratch_load_b128 v[158:161], off, off offset:672
	v_add_f64_e32 v[166:167], v[166:167], v[168:169]
	v_add_f64_e32 v[164:165], v[176:177], v[174:175]
	v_fmac_f64_e32 v[170:171], v[6:7], v[142:143]
	v_fma_f64 v[174:175], v[4:5], v[142:143], -v[144:145]
	ds_load_b128 v[4:7], v2 offset:1296
	s_wait_loadcnt_dscnt 0xa01
	v_mul_f64_e32 v[168:169], v[154:155], v[10:11]
	v_mul_f64_e32 v[10:11], v[156:157], v[10:11]
	scratch_load_b128 v[142:145], off, off offset:688
	v_add_f64_e32 v[166:167], v[166:167], v[172:173]
	s_wait_loadcnt_dscnt 0xa00
	v_mul_f64_e32 v[172:173], v[4:5], v[14:15]
	v_add_f64_e32 v[176:177], v[164:165], v[162:163]
	v_mul_f64_e32 v[14:15], v[6:7], v[14:15]
	ds_load_b128 v[162:165], v2 offset:1312
	v_fmac_f64_e32 v[168:169], v[156:157], v[8:9]
	v_fma_f64 v[154:155], v[154:155], v[8:9], -v[10:11]
	scratch_load_b128 v[8:11], off, off offset:704
	v_add_f64_e32 v[166:167], v[166:167], v[170:171]
	v_fmac_f64_e32 v[172:173], v[6:7], v[12:13]
	v_add_f64_e32 v[156:157], v[176:177], v[174:175]
	v_fma_f64 v[174:175], v[4:5], v[12:13], -v[14:15]
	ds_load_b128 v[4:7], v2 offset:1328
	s_wait_loadcnt_dscnt 0xa01
	v_mul_f64_e32 v[170:171], v[162:163], v[18:19]
	v_mul_f64_e32 v[18:19], v[164:165], v[18:19]
	scratch_load_b128 v[12:15], off, off offset:720
	v_add_f64_e32 v[166:167], v[166:167], v[168:169]
	s_wait_loadcnt_dscnt 0xa00
	v_mul_f64_e32 v[168:169], v[4:5], v[22:23]
	v_add_f64_e32 v[176:177], v[156:157], v[154:155]
	v_mul_f64_e32 v[22:23], v[6:7], v[22:23]
	ds_load_b128 v[154:157], v2 offset:1344
	v_fmac_f64_e32 v[170:171], v[164:165], v[16:17]
	v_fma_f64 v[162:163], v[162:163], v[16:17], -v[18:19]
	scratch_load_b128 v[16:19], off, off offset:736
	v_add_f64_e32 v[166:167], v[166:167], v[172:173]
	v_fmac_f64_e32 v[168:169], v[6:7], v[20:21]
	v_add_f64_e32 v[164:165], v[176:177], v[174:175]
	v_fma_f64 v[174:175], v[4:5], v[20:21], -v[22:23]
	ds_load_b128 v[4:7], v2 offset:1360
	s_wait_loadcnt_dscnt 0xa01
	v_mul_f64_e32 v[172:173], v[154:155], v[124:125]
	v_mul_f64_e32 v[124:125], v[156:157], v[124:125]
	scratch_load_b128 v[20:23], off, off offset:752
	v_add_f64_e32 v[166:167], v[166:167], v[170:171]
	s_wait_loadcnt_dscnt 0xa00
	v_mul_f64_e32 v[170:171], v[4:5], v[128:129]
	v_add_f64_e32 v[176:177], v[164:165], v[162:163]
	v_mul_f64_e32 v[128:129], v[6:7], v[128:129]
	ds_load_b128 v[162:165], v2 offset:1376
	v_fmac_f64_e32 v[172:173], v[156:157], v[122:123]
	v_fma_f64 v[122:123], v[154:155], v[122:123], -v[124:125]
	s_wait_loadcnt_dscnt 0x900
	v_mul_f64_e32 v[156:157], v[162:163], v[132:133]
	v_mul_f64_e32 v[132:133], v[164:165], v[132:133]
	v_add_f64_e32 v[154:155], v[166:167], v[168:169]
	v_fmac_f64_e32 v[170:171], v[6:7], v[126:127]
	v_add_f64_e32 v[124:125], v[176:177], v[174:175]
	v_fma_f64 v[126:127], v[4:5], v[126:127], -v[128:129]
	v_fmac_f64_e32 v[156:157], v[164:165], v[130:131]
	v_fma_f64 v[130:131], v[162:163], v[130:131], -v[132:133]
	v_add_f64_e32 v[154:155], v[154:155], v[172:173]
	v_add_f64_e32 v[128:129], v[124:125], v[122:123]
	ds_load_b128 v[4:7], v2 offset:1392
	ds_load_b128 v[122:125], v2 offset:1408
	s_wait_loadcnt_dscnt 0x801
	v_mul_f64_e32 v[166:167], v[4:5], v[136:137]
	v_mul_f64_e32 v[136:137], v[6:7], v[136:137]
	s_wait_loadcnt_dscnt 0x700
	v_mul_f64_e32 v[132:133], v[122:123], v[140:141]
	v_mul_f64_e32 v[140:141], v[124:125], v[140:141]
	v_add_f64_e32 v[126:127], v[128:129], v[126:127]
	v_add_f64_e32 v[128:129], v[154:155], v[170:171]
	v_fmac_f64_e32 v[166:167], v[6:7], v[134:135]
	v_fma_f64 v[134:135], v[4:5], v[134:135], -v[136:137]
	v_fmac_f64_e32 v[132:133], v[124:125], v[138:139]
	v_fma_f64 v[122:123], v[122:123], v[138:139], -v[140:141]
	v_add_f64_e32 v[130:131], v[126:127], v[130:131]
	v_add_f64_e32 v[136:137], v[128:129], v[156:157]
	ds_load_b128 v[4:7], v2 offset:1424
	ds_load_b128 v[126:129], v2 offset:1440
	s_wait_loadcnt_dscnt 0x601
	v_mul_f64_e32 v[154:155], v[4:5], v[148:149]
	v_mul_f64_e32 v[148:149], v[6:7], v[148:149]
	v_add_f64_e32 v[124:125], v[130:131], v[134:135]
	v_add_f64_e32 v[130:131], v[136:137], v[166:167]
	s_wait_loadcnt_dscnt 0x500
	v_mul_f64_e32 v[134:135], v[126:127], v[160:161]
	v_mul_f64_e32 v[136:137], v[128:129], v[160:161]
	v_fmac_f64_e32 v[154:155], v[6:7], v[146:147]
	v_fma_f64 v[138:139], v[4:5], v[146:147], -v[148:149]
	v_add_f64_e32 v[140:141], v[124:125], v[122:123]
	v_add_f64_e32 v[130:131], v[130:131], v[132:133]
	ds_load_b128 v[4:7], v2 offset:1456
	ds_load_b128 v[122:125], v2 offset:1472
	v_fmac_f64_e32 v[134:135], v[128:129], v[158:159]
	v_fma_f64 v[126:127], v[126:127], v[158:159], -v[136:137]
	s_wait_loadcnt_dscnt 0x401
	v_mul_f64_e32 v[132:133], v[4:5], v[144:145]
	v_mul_f64_e32 v[144:145], v[6:7], v[144:145]
	s_wait_loadcnt_dscnt 0x300
	v_mul_f64_e32 v[136:137], v[122:123], v[10:11]
	v_mul_f64_e32 v[10:11], v[124:125], v[10:11]
	v_add_f64_e32 v[128:129], v[140:141], v[138:139]
	v_add_f64_e32 v[130:131], v[130:131], v[154:155]
	v_fmac_f64_e32 v[132:133], v[6:7], v[142:143]
	v_fma_f64 v[138:139], v[4:5], v[142:143], -v[144:145]
	v_fmac_f64_e32 v[136:137], v[124:125], v[8:9]
	v_fma_f64 v[8:9], v[122:123], v[8:9], -v[10:11]
	v_add_f64_e32 v[140:141], v[128:129], v[126:127]
	v_add_f64_e32 v[130:131], v[130:131], v[134:135]
	ds_load_b128 v[4:7], v2 offset:1488
	ds_load_b128 v[126:129], v2 offset:1504
	s_wait_loadcnt_dscnt 0x201
	v_mul_f64_e32 v[134:135], v[4:5], v[14:15]
	v_mul_f64_e32 v[14:15], v[6:7], v[14:15]
	s_wait_loadcnt_dscnt 0x100
	v_mul_f64_e32 v[124:125], v[126:127], v[18:19]
	v_mul_f64_e32 v[18:19], v[128:129], v[18:19]
	v_add_f64_e32 v[10:11], v[140:141], v[138:139]
	v_add_f64_e32 v[122:123], v[130:131], v[132:133]
	v_fmac_f64_e32 v[134:135], v[6:7], v[12:13]
	v_fma_f64 v[12:13], v[4:5], v[12:13], -v[14:15]
	ds_load_b128 v[4:7], v2 offset:1520
	v_fmac_f64_e32 v[124:125], v[128:129], v[16:17]
	v_fma_f64 v[16:17], v[126:127], v[16:17], -v[18:19]
	v_add_f64_e32 v[8:9], v[10:11], v[8:9]
	v_add_f64_e32 v[10:11], v[122:123], v[136:137]
	s_wait_loadcnt_dscnt 0x0
	v_mul_f64_e32 v[14:15], v[4:5], v[22:23]
	v_mul_f64_e32 v[22:23], v[6:7], v[22:23]
	s_delay_alu instid0(VALU_DEP_4) | instskip(NEXT) | instid1(VALU_DEP_4)
	v_add_f64_e32 v[8:9], v[8:9], v[12:13]
	v_add_f64_e32 v[10:11], v[10:11], v[134:135]
	s_delay_alu instid0(VALU_DEP_4) | instskip(NEXT) | instid1(VALU_DEP_4)
	v_fmac_f64_e32 v[14:15], v[6:7], v[20:21]
	v_fma_f64 v[4:5], v[4:5], v[20:21], -v[22:23]
	s_delay_alu instid0(VALU_DEP_4) | instskip(NEXT) | instid1(VALU_DEP_4)
	v_add_f64_e32 v[6:7], v[8:9], v[16:17]
	v_add_f64_e32 v[8:9], v[10:11], v[124:125]
	s_delay_alu instid0(VALU_DEP_2) | instskip(NEXT) | instid1(VALU_DEP_2)
	v_add_f64_e32 v[4:5], v[6:7], v[4:5]
	v_add_f64_e32 v[6:7], v[8:9], v[14:15]
	s_delay_alu instid0(VALU_DEP_2) | instskip(NEXT) | instid1(VALU_DEP_2)
	v_add_f64_e64 v[4:5], v[150:151], -v[4:5]
	v_add_f64_e64 v[6:7], v[152:153], -v[6:7]
	scratch_store_b128 off, v[4:7], off offset:288
	s_wait_xcnt 0x0
	v_cmpx_lt_u32_e32 17, v1
	s_cbranch_execz .LBB47_267
; %bb.266:
	scratch_load_b128 v[6:9], off, s40
	v_dual_mov_b32 v3, v2 :: v_dual_mov_b32 v4, v2
	v_mov_b32_e32 v5, v2
	scratch_store_b128 off, v[2:5], off offset:272
	s_wait_loadcnt 0x0
	ds_store_b128 v120, v[6:9]
.LBB47_267:
	s_wait_xcnt 0x0
	s_or_b32 exec_lo, exec_lo, s2
	s_wait_storecnt_dscnt 0x0
	s_barrier_signal -1
	s_barrier_wait -1
	s_clause 0x9
	scratch_load_b128 v[4:7], off, off offset:288
	scratch_load_b128 v[8:11], off, off offset:304
	;; [unrolled: 1-line block ×10, first 2 shown]
	ds_load_b128 v[142:145], v2 offset:1056
	ds_load_b128 v[150:153], v2 offset:1072
	s_clause 0x2
	scratch_load_b128 v[146:149], off, off offset:448
	scratch_load_b128 v[154:157], off, off offset:272
	;; [unrolled: 1-line block ×3, first 2 shown]
	s_mov_b32 s2, exec_lo
	s_wait_loadcnt_dscnt 0xc01
	v_mul_f64_e32 v[162:163], v[144:145], v[6:7]
	v_mul_f64_e32 v[166:167], v[142:143], v[6:7]
	s_wait_loadcnt_dscnt 0xb00
	v_mul_f64_e32 v[168:169], v[150:151], v[10:11]
	v_mul_f64_e32 v[10:11], v[152:153], v[10:11]
	s_delay_alu instid0(VALU_DEP_4) | instskip(NEXT) | instid1(VALU_DEP_4)
	v_fma_f64 v[170:171], v[142:143], v[4:5], -v[162:163]
	v_fmac_f64_e32 v[166:167], v[144:145], v[4:5]
	ds_load_b128 v[4:7], v2 offset:1088
	ds_load_b128 v[142:145], v2 offset:1104
	scratch_load_b128 v[162:165], off, off offset:480
	v_fmac_f64_e32 v[168:169], v[152:153], v[8:9]
	v_fma_f64 v[150:151], v[150:151], v[8:9], -v[10:11]
	scratch_load_b128 v[8:11], off, off offset:496
	s_wait_loadcnt_dscnt 0xc01
	v_mul_f64_e32 v[172:173], v[4:5], v[14:15]
	v_mul_f64_e32 v[14:15], v[6:7], v[14:15]
	v_add_f64_e32 v[152:153], 0, v[170:171]
	v_add_f64_e32 v[166:167], 0, v[166:167]
	s_wait_loadcnt_dscnt 0xb00
	v_mul_f64_e32 v[170:171], v[142:143], v[18:19]
	v_mul_f64_e32 v[18:19], v[144:145], v[18:19]
	v_fmac_f64_e32 v[172:173], v[6:7], v[12:13]
	v_fma_f64 v[174:175], v[4:5], v[12:13], -v[14:15]
	ds_load_b128 v[4:7], v2 offset:1120
	ds_load_b128 v[12:15], v2 offset:1136
	v_add_f64_e32 v[176:177], v[152:153], v[150:151]
	v_add_f64_e32 v[166:167], v[166:167], v[168:169]
	scratch_load_b128 v[150:153], off, off offset:512
	v_fmac_f64_e32 v[170:171], v[144:145], v[16:17]
	v_fma_f64 v[142:143], v[142:143], v[16:17], -v[18:19]
	scratch_load_b128 v[16:19], off, off offset:528
	s_wait_loadcnt_dscnt 0xc01
	v_mul_f64_e32 v[168:169], v[4:5], v[22:23]
	v_mul_f64_e32 v[22:23], v[6:7], v[22:23]
	v_add_f64_e32 v[144:145], v[176:177], v[174:175]
	v_add_f64_e32 v[166:167], v[166:167], v[172:173]
	s_wait_loadcnt_dscnt 0xb00
	v_mul_f64_e32 v[172:173], v[12:13], v[124:125]
	v_mul_f64_e32 v[124:125], v[14:15], v[124:125]
	v_fmac_f64_e32 v[168:169], v[6:7], v[20:21]
	v_fma_f64 v[174:175], v[4:5], v[20:21], -v[22:23]
	ds_load_b128 v[4:7], v2 offset:1152
	ds_load_b128 v[20:23], v2 offset:1168
	v_add_f64_e32 v[176:177], v[144:145], v[142:143]
	v_add_f64_e32 v[166:167], v[166:167], v[170:171]
	scratch_load_b128 v[142:145], off, off offset:544
	s_wait_loadcnt_dscnt 0xb01
	v_mul_f64_e32 v[170:171], v[4:5], v[128:129]
	v_mul_f64_e32 v[128:129], v[6:7], v[128:129]
	v_fmac_f64_e32 v[172:173], v[14:15], v[122:123]
	v_fma_f64 v[122:123], v[12:13], v[122:123], -v[124:125]
	scratch_load_b128 v[12:15], off, off offset:560
	v_add_f64_e32 v[124:125], v[176:177], v[174:175]
	v_add_f64_e32 v[166:167], v[166:167], v[168:169]
	s_wait_loadcnt_dscnt 0xb00
	v_mul_f64_e32 v[168:169], v[20:21], v[132:133]
	v_mul_f64_e32 v[132:133], v[22:23], v[132:133]
	v_fmac_f64_e32 v[170:171], v[6:7], v[126:127]
	v_fma_f64 v[174:175], v[4:5], v[126:127], -v[128:129]
	v_add_f64_e32 v[176:177], v[124:125], v[122:123]
	v_add_f64_e32 v[166:167], v[166:167], v[172:173]
	ds_load_b128 v[4:7], v2 offset:1184
	ds_load_b128 v[122:125], v2 offset:1200
	scratch_load_b128 v[126:129], off, off offset:576
	v_fmac_f64_e32 v[168:169], v[22:23], v[130:131]
	v_fma_f64 v[130:131], v[20:21], v[130:131], -v[132:133]
	scratch_load_b128 v[20:23], off, off offset:592
	s_wait_loadcnt_dscnt 0xc01
	v_mul_f64_e32 v[172:173], v[4:5], v[136:137]
	v_mul_f64_e32 v[136:137], v[6:7], v[136:137]
	v_add_f64_e32 v[132:133], v[176:177], v[174:175]
	v_add_f64_e32 v[166:167], v[166:167], v[170:171]
	s_wait_loadcnt_dscnt 0xb00
	v_mul_f64_e32 v[170:171], v[122:123], v[140:141]
	v_mul_f64_e32 v[140:141], v[124:125], v[140:141]
	v_fmac_f64_e32 v[172:173], v[6:7], v[134:135]
	v_fma_f64 v[174:175], v[4:5], v[134:135], -v[136:137]
	v_add_f64_e32 v[176:177], v[132:133], v[130:131]
	v_add_f64_e32 v[166:167], v[166:167], v[168:169]
	ds_load_b128 v[4:7], v2 offset:1216
	ds_load_b128 v[130:133], v2 offset:1232
	scratch_load_b128 v[134:137], off, off offset:608
	v_fmac_f64_e32 v[170:171], v[124:125], v[138:139]
	v_fma_f64 v[138:139], v[122:123], v[138:139], -v[140:141]
	scratch_load_b128 v[122:125], off, off offset:624
	s_wait_loadcnt_dscnt 0xc01
	v_mul_f64_e32 v[168:169], v[4:5], v[148:149]
	v_mul_f64_e32 v[148:149], v[6:7], v[148:149]
	;; [unrolled: 18-line block ×5, first 2 shown]
	v_add_f64_e32 v[160:161], v[176:177], v[174:175]
	v_add_f64_e32 v[166:167], v[166:167], v[172:173]
	s_wait_loadcnt_dscnt 0xa00
	v_mul_f64_e32 v[172:173], v[138:139], v[14:15]
	v_mul_f64_e32 v[14:15], v[140:141], v[14:15]
	v_fmac_f64_e32 v[168:169], v[6:7], v[142:143]
	v_fma_f64 v[174:175], v[4:5], v[142:143], -v[144:145]
	ds_load_b128 v[4:7], v2 offset:1344
	ds_load_b128 v[142:145], v2 offset:1360
	v_add_f64_e32 v[176:177], v[160:161], v[158:159]
	v_add_f64_e32 v[166:167], v[166:167], v[170:171]
	scratch_load_b128 v[158:161], off, off offset:736
	v_fmac_f64_e32 v[172:173], v[140:141], v[12:13]
	v_fma_f64 v[138:139], v[138:139], v[12:13], -v[14:15]
	scratch_load_b128 v[12:15], off, off offset:752
	s_wait_loadcnt_dscnt 0xb01
	v_mul_f64_e32 v[170:171], v[4:5], v[128:129]
	v_mul_f64_e32 v[128:129], v[6:7], v[128:129]
	v_add_f64_e32 v[140:141], v[176:177], v[174:175]
	v_add_f64_e32 v[166:167], v[166:167], v[168:169]
	s_wait_loadcnt_dscnt 0xa00
	v_mul_f64_e32 v[168:169], v[142:143], v[22:23]
	v_mul_f64_e32 v[22:23], v[144:145], v[22:23]
	v_fmac_f64_e32 v[170:171], v[6:7], v[126:127]
	v_fma_f64 v[174:175], v[4:5], v[126:127], -v[128:129]
	ds_load_b128 v[4:7], v2 offset:1376
	ds_load_b128 v[126:129], v2 offset:1392
	v_add_f64_e32 v[138:139], v[140:141], v[138:139]
	v_add_f64_e32 v[140:141], v[166:167], v[172:173]
	v_fmac_f64_e32 v[168:169], v[144:145], v[20:21]
	s_wait_loadcnt_dscnt 0x901
	v_mul_f64_e32 v[166:167], v[4:5], v[136:137]
	v_mul_f64_e32 v[136:137], v[6:7], v[136:137]
	v_fma_f64 v[20:21], v[142:143], v[20:21], -v[22:23]
	v_add_f64_e32 v[22:23], v[138:139], v[174:175]
	v_add_f64_e32 v[138:139], v[140:141], v[170:171]
	s_wait_loadcnt_dscnt 0x800
	v_mul_f64_e32 v[140:141], v[126:127], v[124:125]
	v_mul_f64_e32 v[124:125], v[128:129], v[124:125]
	v_fmac_f64_e32 v[166:167], v[6:7], v[134:135]
	v_fma_f64 v[134:135], v[4:5], v[134:135], -v[136:137]
	v_add_f64_e32 v[136:137], v[22:23], v[20:21]
	v_add_f64_e32 v[138:139], v[138:139], v[168:169]
	ds_load_b128 v[4:7], v2 offset:1408
	ds_load_b128 v[20:23], v2 offset:1424
	v_fmac_f64_e32 v[140:141], v[128:129], v[122:123]
	v_fma_f64 v[122:123], v[126:127], v[122:123], -v[124:125]
	s_wait_loadcnt_dscnt 0x701
	v_mul_f64_e32 v[142:143], v[4:5], v[148:149]
	v_mul_f64_e32 v[144:145], v[6:7], v[148:149]
	s_wait_loadcnt_dscnt 0x600
	v_mul_f64_e32 v[128:129], v[20:21], v[132:133]
	v_mul_f64_e32 v[132:133], v[22:23], v[132:133]
	v_add_f64_e32 v[124:125], v[136:137], v[134:135]
	v_add_f64_e32 v[126:127], v[138:139], v[166:167]
	v_fmac_f64_e32 v[142:143], v[6:7], v[146:147]
	v_fma_f64 v[134:135], v[4:5], v[146:147], -v[144:145]
	v_fmac_f64_e32 v[128:129], v[22:23], v[130:131]
	v_fma_f64 v[20:21], v[20:21], v[130:131], -v[132:133]
	v_add_f64_e32 v[136:137], v[124:125], v[122:123]
	v_add_f64_e32 v[126:127], v[126:127], v[140:141]
	ds_load_b128 v[4:7], v2 offset:1440
	ds_load_b128 v[122:125], v2 offset:1456
	s_wait_loadcnt_dscnt 0x501
	v_mul_f64_e32 v[138:139], v[4:5], v[164:165]
	v_mul_f64_e32 v[140:141], v[6:7], v[164:165]
	s_wait_loadcnt_dscnt 0x400
	v_mul_f64_e32 v[130:131], v[122:123], v[10:11]
	v_mul_f64_e32 v[10:11], v[124:125], v[10:11]
	v_add_f64_e32 v[22:23], v[136:137], v[134:135]
	v_add_f64_e32 v[126:127], v[126:127], v[142:143]
	v_fmac_f64_e32 v[138:139], v[6:7], v[162:163]
	v_fma_f64 v[132:133], v[4:5], v[162:163], -v[140:141]
	v_fmac_f64_e32 v[130:131], v[124:125], v[8:9]
	v_fma_f64 v[8:9], v[122:123], v[8:9], -v[10:11]
	v_add_f64_e32 v[134:135], v[22:23], v[20:21]
	v_add_f64_e32 v[126:127], v[126:127], v[128:129]
	ds_load_b128 v[4:7], v2 offset:1472
	ds_load_b128 v[20:23], v2 offset:1488
	;; [unrolled: 16-line block ×3, first 2 shown]
	s_wait_loadcnt_dscnt 0x101
	v_mul_f64_e32 v[2:3], v[4:5], v[160:161]
	v_mul_f64_e32 v[130:131], v[6:7], v[160:161]
	s_wait_loadcnt_dscnt 0x0
	v_mul_f64_e32 v[22:23], v[8:9], v[14:15]
	v_mul_f64_e32 v[14:15], v[10:11], v[14:15]
	v_add_f64_e32 v[18:19], v[132:133], v[126:127]
	v_add_f64_e32 v[20:21], v[122:123], v[128:129]
	v_fmac_f64_e32 v[2:3], v[6:7], v[158:159]
	v_fma_f64 v[4:5], v[4:5], v[158:159], -v[130:131]
	v_fmac_f64_e32 v[22:23], v[10:11], v[12:13]
	v_fma_f64 v[8:9], v[8:9], v[12:13], -v[14:15]
	v_add_f64_e32 v[6:7], v[18:19], v[16:17]
	v_add_f64_e32 v[16:17], v[20:21], v[124:125]
	s_delay_alu instid0(VALU_DEP_2) | instskip(NEXT) | instid1(VALU_DEP_2)
	v_add_f64_e32 v[4:5], v[6:7], v[4:5]
	v_add_f64_e32 v[2:3], v[16:17], v[2:3]
	s_delay_alu instid0(VALU_DEP_2) | instskip(NEXT) | instid1(VALU_DEP_2)
	;; [unrolled: 3-line block ×3, first 2 shown]
	v_add_f64_e64 v[2:3], v[154:155], -v[4:5]
	v_add_f64_e64 v[4:5], v[156:157], -v[6:7]
	scratch_store_b128 off, v[2:5], off offset:272
	s_wait_xcnt 0x0
	v_cmpx_lt_u32_e32 16, v1
	s_cbranch_execz .LBB47_269
; %bb.268:
	scratch_load_b128 v[2:5], off, s38
	v_mov_b32_e32 v6, 0
	s_delay_alu instid0(VALU_DEP_1)
	v_dual_mov_b32 v7, v6 :: v_dual_mov_b32 v8, v6
	v_mov_b32_e32 v9, v6
	scratch_store_b128 off, v[6:9], off offset:256
	s_wait_loadcnt 0x0
	ds_store_b128 v120, v[2:5]
.LBB47_269:
	s_wait_xcnt 0x0
	s_or_b32 exec_lo, exec_lo, s2
	s_wait_storecnt_dscnt 0x0
	s_barrier_signal -1
	s_barrier_wait -1
	s_clause 0x9
	scratch_load_b128 v[4:7], off, off offset:272
	scratch_load_b128 v[8:11], off, off offset:288
	;; [unrolled: 1-line block ×10, first 2 shown]
	v_mov_b32_e32 v2, 0
	s_mov_b32 s2, exec_lo
	ds_load_b128 v[142:145], v2 offset:1040
	s_clause 0x2
	scratch_load_b128 v[146:149], off, off offset:432
	scratch_load_b128 v[150:153], off, off offset:256
	;; [unrolled: 1-line block ×3, first 2 shown]
	s_wait_loadcnt_dscnt 0xc00
	v_mul_f64_e32 v[162:163], v[144:145], v[6:7]
	v_mul_f64_e32 v[166:167], v[142:143], v[6:7]
	ds_load_b128 v[154:157], v2 offset:1056
	v_fma_f64 v[170:171], v[142:143], v[4:5], -v[162:163]
	v_fmac_f64_e32 v[166:167], v[144:145], v[4:5]
	ds_load_b128 v[4:7], v2 offset:1072
	s_wait_loadcnt_dscnt 0xb01
	v_mul_f64_e32 v[168:169], v[154:155], v[10:11]
	v_mul_f64_e32 v[10:11], v[156:157], v[10:11]
	scratch_load_b128 v[142:145], off, off offset:464
	ds_load_b128 v[162:165], v2 offset:1088
	s_wait_loadcnt_dscnt 0xb01
	v_mul_f64_e32 v[172:173], v[4:5], v[14:15]
	v_mul_f64_e32 v[14:15], v[6:7], v[14:15]
	v_add_f64_e32 v[166:167], 0, v[166:167]
	v_fmac_f64_e32 v[168:169], v[156:157], v[8:9]
	v_fma_f64 v[154:155], v[154:155], v[8:9], -v[10:11]
	v_add_f64_e32 v[156:157], 0, v[170:171]
	scratch_load_b128 v[8:11], off, off offset:480
	v_fmac_f64_e32 v[172:173], v[6:7], v[12:13]
	v_fma_f64 v[174:175], v[4:5], v[12:13], -v[14:15]
	ds_load_b128 v[4:7], v2 offset:1104
	s_wait_loadcnt_dscnt 0xb01
	v_mul_f64_e32 v[170:171], v[162:163], v[18:19]
	v_mul_f64_e32 v[18:19], v[164:165], v[18:19]
	scratch_load_b128 v[12:15], off, off offset:496
	v_add_f64_e32 v[166:167], v[166:167], v[168:169]
	v_add_f64_e32 v[176:177], v[156:157], v[154:155]
	ds_load_b128 v[154:157], v2 offset:1120
	s_wait_loadcnt_dscnt 0xb01
	v_mul_f64_e32 v[168:169], v[4:5], v[22:23]
	v_mul_f64_e32 v[22:23], v[6:7], v[22:23]
	v_fmac_f64_e32 v[170:171], v[164:165], v[16:17]
	v_fma_f64 v[162:163], v[162:163], v[16:17], -v[18:19]
	scratch_load_b128 v[16:19], off, off offset:512
	v_add_f64_e32 v[166:167], v[166:167], v[172:173]
	v_add_f64_e32 v[164:165], v[176:177], v[174:175]
	v_fmac_f64_e32 v[168:169], v[6:7], v[20:21]
	v_fma_f64 v[174:175], v[4:5], v[20:21], -v[22:23]
	ds_load_b128 v[4:7], v2 offset:1136
	s_wait_loadcnt_dscnt 0xb01
	v_mul_f64_e32 v[172:173], v[154:155], v[124:125]
	v_mul_f64_e32 v[124:125], v[156:157], v[124:125]
	scratch_load_b128 v[20:23], off, off offset:528
	v_add_f64_e32 v[166:167], v[166:167], v[170:171]
	s_wait_loadcnt_dscnt 0xb00
	v_mul_f64_e32 v[170:171], v[4:5], v[128:129]
	v_add_f64_e32 v[176:177], v[164:165], v[162:163]
	v_mul_f64_e32 v[128:129], v[6:7], v[128:129]
	ds_load_b128 v[162:165], v2 offset:1152
	v_fmac_f64_e32 v[172:173], v[156:157], v[122:123]
	v_fma_f64 v[154:155], v[154:155], v[122:123], -v[124:125]
	scratch_load_b128 v[122:125], off, off offset:544
	v_add_f64_e32 v[166:167], v[166:167], v[168:169]
	v_fmac_f64_e32 v[170:171], v[6:7], v[126:127]
	v_add_f64_e32 v[156:157], v[176:177], v[174:175]
	v_fma_f64 v[174:175], v[4:5], v[126:127], -v[128:129]
	ds_load_b128 v[4:7], v2 offset:1168
	s_wait_loadcnt_dscnt 0xb01
	v_mul_f64_e32 v[168:169], v[162:163], v[132:133]
	v_mul_f64_e32 v[132:133], v[164:165], v[132:133]
	scratch_load_b128 v[126:129], off, off offset:560
	v_add_f64_e32 v[166:167], v[166:167], v[172:173]
	s_wait_loadcnt_dscnt 0xb00
	v_mul_f64_e32 v[172:173], v[4:5], v[136:137]
	v_add_f64_e32 v[176:177], v[156:157], v[154:155]
	v_mul_f64_e32 v[136:137], v[6:7], v[136:137]
	ds_load_b128 v[154:157], v2 offset:1184
	v_fmac_f64_e32 v[168:169], v[164:165], v[130:131]
	v_fma_f64 v[162:163], v[162:163], v[130:131], -v[132:133]
	scratch_load_b128 v[130:133], off, off offset:576
	v_add_f64_e32 v[166:167], v[166:167], v[170:171]
	v_fmac_f64_e32 v[172:173], v[6:7], v[134:135]
	v_add_f64_e32 v[164:165], v[176:177], v[174:175]
	;; [unrolled: 18-line block ×3, first 2 shown]
	v_fma_f64 v[174:175], v[4:5], v[146:147], -v[148:149]
	ds_load_b128 v[4:7], v2 offset:1232
	s_wait_loadcnt_dscnt 0xa01
	v_mul_f64_e32 v[172:173], v[162:163], v[160:161]
	v_mul_f64_e32 v[160:161], v[164:165], v[160:161]
	scratch_load_b128 v[146:149], off, off offset:624
	v_add_f64_e32 v[166:167], v[166:167], v[170:171]
	v_add_f64_e32 v[176:177], v[156:157], v[154:155]
	s_wait_loadcnt_dscnt 0xa00
	v_mul_f64_e32 v[170:171], v[4:5], v[144:145]
	v_mul_f64_e32 v[144:145], v[6:7], v[144:145]
	v_fmac_f64_e32 v[172:173], v[164:165], v[158:159]
	v_fma_f64 v[162:163], v[162:163], v[158:159], -v[160:161]
	ds_load_b128 v[154:157], v2 offset:1248
	scratch_load_b128 v[158:161], off, off offset:640
	v_add_f64_e32 v[166:167], v[166:167], v[168:169]
	v_add_f64_e32 v[164:165], v[176:177], v[174:175]
	v_fmac_f64_e32 v[170:171], v[6:7], v[142:143]
	v_fma_f64 v[174:175], v[4:5], v[142:143], -v[144:145]
	ds_load_b128 v[4:7], v2 offset:1264
	s_wait_loadcnt_dscnt 0xa01
	v_mul_f64_e32 v[168:169], v[154:155], v[10:11]
	v_mul_f64_e32 v[10:11], v[156:157], v[10:11]
	scratch_load_b128 v[142:145], off, off offset:656
	v_add_f64_e32 v[166:167], v[166:167], v[172:173]
	s_wait_loadcnt_dscnt 0xa00
	v_mul_f64_e32 v[172:173], v[4:5], v[14:15]
	v_add_f64_e32 v[176:177], v[164:165], v[162:163]
	v_mul_f64_e32 v[14:15], v[6:7], v[14:15]
	ds_load_b128 v[162:165], v2 offset:1280
	v_fmac_f64_e32 v[168:169], v[156:157], v[8:9]
	v_fma_f64 v[154:155], v[154:155], v[8:9], -v[10:11]
	scratch_load_b128 v[8:11], off, off offset:672
	v_add_f64_e32 v[166:167], v[166:167], v[170:171]
	v_fmac_f64_e32 v[172:173], v[6:7], v[12:13]
	v_add_f64_e32 v[156:157], v[176:177], v[174:175]
	v_fma_f64 v[174:175], v[4:5], v[12:13], -v[14:15]
	ds_load_b128 v[4:7], v2 offset:1296
	s_wait_loadcnt_dscnt 0xa01
	v_mul_f64_e32 v[170:171], v[162:163], v[18:19]
	v_mul_f64_e32 v[18:19], v[164:165], v[18:19]
	scratch_load_b128 v[12:15], off, off offset:688
	v_add_f64_e32 v[166:167], v[166:167], v[168:169]
	s_wait_loadcnt_dscnt 0xa00
	v_mul_f64_e32 v[168:169], v[4:5], v[22:23]
	v_add_f64_e32 v[176:177], v[156:157], v[154:155]
	v_mul_f64_e32 v[22:23], v[6:7], v[22:23]
	ds_load_b128 v[154:157], v2 offset:1312
	v_fmac_f64_e32 v[170:171], v[164:165], v[16:17]
	v_fma_f64 v[162:163], v[162:163], v[16:17], -v[18:19]
	scratch_load_b128 v[16:19], off, off offset:704
	v_add_f64_e32 v[166:167], v[166:167], v[172:173]
	v_fmac_f64_e32 v[168:169], v[6:7], v[20:21]
	v_add_f64_e32 v[164:165], v[176:177], v[174:175]
	;; [unrolled: 18-line block ×3, first 2 shown]
	v_fma_f64 v[174:175], v[4:5], v[126:127], -v[128:129]
	ds_load_b128 v[4:7], v2 offset:1360
	s_wait_loadcnt_dscnt 0xa01
	v_mul_f64_e32 v[168:169], v[162:163], v[132:133]
	v_mul_f64_e32 v[132:133], v[164:165], v[132:133]
	scratch_load_b128 v[126:129], off, off offset:752
	v_add_f64_e32 v[166:167], v[166:167], v[172:173]
	s_wait_loadcnt_dscnt 0xa00
	v_mul_f64_e32 v[172:173], v[4:5], v[136:137]
	v_add_f64_e32 v[176:177], v[156:157], v[154:155]
	v_mul_f64_e32 v[136:137], v[6:7], v[136:137]
	ds_load_b128 v[154:157], v2 offset:1376
	v_fmac_f64_e32 v[168:169], v[164:165], v[130:131]
	v_fma_f64 v[130:131], v[162:163], v[130:131], -v[132:133]
	s_wait_loadcnt_dscnt 0x900
	v_mul_f64_e32 v[164:165], v[154:155], v[140:141]
	v_mul_f64_e32 v[140:141], v[156:157], v[140:141]
	v_add_f64_e32 v[162:163], v[166:167], v[170:171]
	v_fmac_f64_e32 v[172:173], v[6:7], v[134:135]
	v_add_f64_e32 v[132:133], v[176:177], v[174:175]
	v_fma_f64 v[134:135], v[4:5], v[134:135], -v[136:137]
	v_fmac_f64_e32 v[164:165], v[156:157], v[138:139]
	v_fma_f64 v[138:139], v[154:155], v[138:139], -v[140:141]
	v_add_f64_e32 v[162:163], v[162:163], v[168:169]
	v_add_f64_e32 v[136:137], v[132:133], v[130:131]
	ds_load_b128 v[4:7], v2 offset:1392
	ds_load_b128 v[130:133], v2 offset:1408
	s_wait_loadcnt_dscnt 0x801
	v_mul_f64_e32 v[166:167], v[4:5], v[148:149]
	v_mul_f64_e32 v[148:149], v[6:7], v[148:149]
	s_wait_loadcnt_dscnt 0x700
	v_mul_f64_e32 v[140:141], v[130:131], v[160:161]
	v_mul_f64_e32 v[154:155], v[132:133], v[160:161]
	v_add_f64_e32 v[134:135], v[136:137], v[134:135]
	v_add_f64_e32 v[136:137], v[162:163], v[172:173]
	v_fmac_f64_e32 v[166:167], v[6:7], v[146:147]
	v_fma_f64 v[146:147], v[4:5], v[146:147], -v[148:149]
	v_fmac_f64_e32 v[140:141], v[132:133], v[158:159]
	v_fma_f64 v[130:131], v[130:131], v[158:159], -v[154:155]
	v_add_f64_e32 v[138:139], v[134:135], v[138:139]
	v_add_f64_e32 v[148:149], v[136:137], v[164:165]
	ds_load_b128 v[4:7], v2 offset:1424
	ds_load_b128 v[134:137], v2 offset:1440
	s_wait_loadcnt_dscnt 0x601
	v_mul_f64_e32 v[156:157], v[4:5], v[144:145]
	v_mul_f64_e32 v[144:145], v[6:7], v[144:145]
	v_add_f64_e32 v[132:133], v[138:139], v[146:147]
	v_add_f64_e32 v[138:139], v[148:149], v[166:167]
	s_wait_loadcnt_dscnt 0x500
	v_mul_f64_e32 v[146:147], v[134:135], v[10:11]
	v_mul_f64_e32 v[10:11], v[136:137], v[10:11]
	v_fmac_f64_e32 v[156:157], v[6:7], v[142:143]
	v_fma_f64 v[142:143], v[4:5], v[142:143], -v[144:145]
	v_add_f64_e32 v[144:145], v[132:133], v[130:131]
	v_add_f64_e32 v[138:139], v[138:139], v[140:141]
	ds_load_b128 v[4:7], v2 offset:1456
	ds_load_b128 v[130:133], v2 offset:1472
	v_fmac_f64_e32 v[146:147], v[136:137], v[8:9]
	v_fma_f64 v[8:9], v[134:135], v[8:9], -v[10:11]
	s_wait_loadcnt_dscnt 0x401
	v_mul_f64_e32 v[140:141], v[4:5], v[14:15]
	v_mul_f64_e32 v[14:15], v[6:7], v[14:15]
	s_wait_loadcnt_dscnt 0x300
	v_mul_f64_e32 v[136:137], v[130:131], v[18:19]
	v_mul_f64_e32 v[18:19], v[132:133], v[18:19]
	v_add_f64_e32 v[10:11], v[144:145], v[142:143]
	v_add_f64_e32 v[134:135], v[138:139], v[156:157]
	v_fmac_f64_e32 v[140:141], v[6:7], v[12:13]
	v_fma_f64 v[12:13], v[4:5], v[12:13], -v[14:15]
	v_fmac_f64_e32 v[136:137], v[132:133], v[16:17]
	v_fma_f64 v[16:17], v[130:131], v[16:17], -v[18:19]
	v_add_f64_e32 v[14:15], v[10:11], v[8:9]
	v_add_f64_e32 v[134:135], v[134:135], v[146:147]
	ds_load_b128 v[4:7], v2 offset:1488
	ds_load_b128 v[8:11], v2 offset:1504
	s_wait_loadcnt_dscnt 0x201
	v_mul_f64_e32 v[138:139], v[4:5], v[22:23]
	v_mul_f64_e32 v[22:23], v[6:7], v[22:23]
	s_wait_loadcnt_dscnt 0x100
	v_mul_f64_e32 v[18:19], v[8:9], v[124:125]
	v_mul_f64_e32 v[124:125], v[10:11], v[124:125]
	v_add_f64_e32 v[12:13], v[14:15], v[12:13]
	v_add_f64_e32 v[14:15], v[134:135], v[140:141]
	v_fmac_f64_e32 v[138:139], v[6:7], v[20:21]
	v_fma_f64 v[20:21], v[4:5], v[20:21], -v[22:23]
	ds_load_b128 v[4:7], v2 offset:1520
	v_fmac_f64_e32 v[18:19], v[10:11], v[122:123]
	v_fma_f64 v[8:9], v[8:9], v[122:123], -v[124:125]
	v_add_f64_e32 v[12:13], v[12:13], v[16:17]
	v_add_f64_e32 v[14:15], v[14:15], v[136:137]
	s_wait_loadcnt_dscnt 0x0
	v_mul_f64_e32 v[16:17], v[4:5], v[128:129]
	v_mul_f64_e32 v[22:23], v[6:7], v[128:129]
	s_delay_alu instid0(VALU_DEP_4) | instskip(NEXT) | instid1(VALU_DEP_4)
	v_add_f64_e32 v[10:11], v[12:13], v[20:21]
	v_add_f64_e32 v[12:13], v[14:15], v[138:139]
	s_delay_alu instid0(VALU_DEP_4) | instskip(NEXT) | instid1(VALU_DEP_4)
	v_fmac_f64_e32 v[16:17], v[6:7], v[126:127]
	v_fma_f64 v[4:5], v[4:5], v[126:127], -v[22:23]
	s_delay_alu instid0(VALU_DEP_4) | instskip(NEXT) | instid1(VALU_DEP_4)
	v_add_f64_e32 v[6:7], v[10:11], v[8:9]
	v_add_f64_e32 v[8:9], v[12:13], v[18:19]
	s_delay_alu instid0(VALU_DEP_2) | instskip(NEXT) | instid1(VALU_DEP_2)
	v_add_f64_e32 v[4:5], v[6:7], v[4:5]
	v_add_f64_e32 v[6:7], v[8:9], v[16:17]
	s_delay_alu instid0(VALU_DEP_2) | instskip(NEXT) | instid1(VALU_DEP_2)
	v_add_f64_e64 v[4:5], v[150:151], -v[4:5]
	v_add_f64_e64 v[6:7], v[152:153], -v[6:7]
	scratch_store_b128 off, v[4:7], off offset:256
	s_wait_xcnt 0x0
	v_cmpx_lt_u32_e32 15, v1
	s_cbranch_execz .LBB47_271
; %bb.270:
	scratch_load_b128 v[6:9], off, s54
	v_dual_mov_b32 v3, v2 :: v_dual_mov_b32 v4, v2
	v_mov_b32_e32 v5, v2
	scratch_store_b128 off, v[2:5], off offset:240
	s_wait_loadcnt 0x0
	ds_store_b128 v120, v[6:9]
.LBB47_271:
	s_wait_xcnt 0x0
	s_or_b32 exec_lo, exec_lo, s2
	s_wait_storecnt_dscnt 0x0
	s_barrier_signal -1
	s_barrier_wait -1
	s_clause 0x9
	scratch_load_b128 v[4:7], off, off offset:256
	scratch_load_b128 v[8:11], off, off offset:272
	;; [unrolled: 1-line block ×10, first 2 shown]
	ds_load_b128 v[142:145], v2 offset:1024
	ds_load_b128 v[150:153], v2 offset:1040
	s_clause 0x2
	scratch_load_b128 v[146:149], off, off offset:416
	scratch_load_b128 v[154:157], off, off offset:240
	;; [unrolled: 1-line block ×3, first 2 shown]
	s_mov_b32 s2, exec_lo
	s_wait_loadcnt_dscnt 0xc01
	v_mul_f64_e32 v[162:163], v[144:145], v[6:7]
	v_mul_f64_e32 v[166:167], v[142:143], v[6:7]
	s_wait_loadcnt_dscnt 0xb00
	v_mul_f64_e32 v[168:169], v[150:151], v[10:11]
	v_mul_f64_e32 v[10:11], v[152:153], v[10:11]
	s_delay_alu instid0(VALU_DEP_4) | instskip(NEXT) | instid1(VALU_DEP_4)
	v_fma_f64 v[170:171], v[142:143], v[4:5], -v[162:163]
	v_fmac_f64_e32 v[166:167], v[144:145], v[4:5]
	ds_load_b128 v[4:7], v2 offset:1056
	ds_load_b128 v[142:145], v2 offset:1072
	scratch_load_b128 v[162:165], off, off offset:448
	v_fmac_f64_e32 v[168:169], v[152:153], v[8:9]
	v_fma_f64 v[150:151], v[150:151], v[8:9], -v[10:11]
	scratch_load_b128 v[8:11], off, off offset:464
	s_wait_loadcnt_dscnt 0xc01
	v_mul_f64_e32 v[172:173], v[4:5], v[14:15]
	v_mul_f64_e32 v[14:15], v[6:7], v[14:15]
	v_add_f64_e32 v[152:153], 0, v[170:171]
	v_add_f64_e32 v[166:167], 0, v[166:167]
	s_wait_loadcnt_dscnt 0xb00
	v_mul_f64_e32 v[170:171], v[142:143], v[18:19]
	v_mul_f64_e32 v[18:19], v[144:145], v[18:19]
	v_fmac_f64_e32 v[172:173], v[6:7], v[12:13]
	v_fma_f64 v[174:175], v[4:5], v[12:13], -v[14:15]
	ds_load_b128 v[4:7], v2 offset:1088
	ds_load_b128 v[12:15], v2 offset:1104
	v_add_f64_e32 v[176:177], v[152:153], v[150:151]
	v_add_f64_e32 v[166:167], v[166:167], v[168:169]
	scratch_load_b128 v[150:153], off, off offset:480
	v_fmac_f64_e32 v[170:171], v[144:145], v[16:17]
	v_fma_f64 v[142:143], v[142:143], v[16:17], -v[18:19]
	scratch_load_b128 v[16:19], off, off offset:496
	s_wait_loadcnt_dscnt 0xc01
	v_mul_f64_e32 v[168:169], v[4:5], v[22:23]
	v_mul_f64_e32 v[22:23], v[6:7], v[22:23]
	v_add_f64_e32 v[144:145], v[176:177], v[174:175]
	v_add_f64_e32 v[166:167], v[166:167], v[172:173]
	s_wait_loadcnt_dscnt 0xb00
	v_mul_f64_e32 v[172:173], v[12:13], v[124:125]
	v_mul_f64_e32 v[124:125], v[14:15], v[124:125]
	v_fmac_f64_e32 v[168:169], v[6:7], v[20:21]
	v_fma_f64 v[174:175], v[4:5], v[20:21], -v[22:23]
	ds_load_b128 v[4:7], v2 offset:1120
	ds_load_b128 v[20:23], v2 offset:1136
	v_add_f64_e32 v[176:177], v[144:145], v[142:143]
	v_add_f64_e32 v[166:167], v[166:167], v[170:171]
	scratch_load_b128 v[142:145], off, off offset:512
	s_wait_loadcnt_dscnt 0xb01
	v_mul_f64_e32 v[170:171], v[4:5], v[128:129]
	v_mul_f64_e32 v[128:129], v[6:7], v[128:129]
	v_fmac_f64_e32 v[172:173], v[14:15], v[122:123]
	v_fma_f64 v[122:123], v[12:13], v[122:123], -v[124:125]
	scratch_load_b128 v[12:15], off, off offset:528
	v_add_f64_e32 v[124:125], v[176:177], v[174:175]
	v_add_f64_e32 v[166:167], v[166:167], v[168:169]
	s_wait_loadcnt_dscnt 0xb00
	v_mul_f64_e32 v[168:169], v[20:21], v[132:133]
	v_mul_f64_e32 v[132:133], v[22:23], v[132:133]
	v_fmac_f64_e32 v[170:171], v[6:7], v[126:127]
	v_fma_f64 v[174:175], v[4:5], v[126:127], -v[128:129]
	v_add_f64_e32 v[176:177], v[124:125], v[122:123]
	v_add_f64_e32 v[166:167], v[166:167], v[172:173]
	ds_load_b128 v[4:7], v2 offset:1152
	ds_load_b128 v[122:125], v2 offset:1168
	scratch_load_b128 v[126:129], off, off offset:544
	v_fmac_f64_e32 v[168:169], v[22:23], v[130:131]
	v_fma_f64 v[130:131], v[20:21], v[130:131], -v[132:133]
	scratch_load_b128 v[20:23], off, off offset:560
	s_wait_loadcnt_dscnt 0xc01
	v_mul_f64_e32 v[172:173], v[4:5], v[136:137]
	v_mul_f64_e32 v[136:137], v[6:7], v[136:137]
	v_add_f64_e32 v[132:133], v[176:177], v[174:175]
	v_add_f64_e32 v[166:167], v[166:167], v[170:171]
	s_wait_loadcnt_dscnt 0xb00
	v_mul_f64_e32 v[170:171], v[122:123], v[140:141]
	v_mul_f64_e32 v[140:141], v[124:125], v[140:141]
	v_fmac_f64_e32 v[172:173], v[6:7], v[134:135]
	v_fma_f64 v[174:175], v[4:5], v[134:135], -v[136:137]
	v_add_f64_e32 v[176:177], v[132:133], v[130:131]
	v_add_f64_e32 v[166:167], v[166:167], v[168:169]
	ds_load_b128 v[4:7], v2 offset:1184
	ds_load_b128 v[130:133], v2 offset:1200
	scratch_load_b128 v[134:137], off, off offset:576
	v_fmac_f64_e32 v[170:171], v[124:125], v[138:139]
	v_fma_f64 v[138:139], v[122:123], v[138:139], -v[140:141]
	scratch_load_b128 v[122:125], off, off offset:592
	s_wait_loadcnt_dscnt 0xc01
	v_mul_f64_e32 v[168:169], v[4:5], v[148:149]
	v_mul_f64_e32 v[148:149], v[6:7], v[148:149]
	;; [unrolled: 18-line block ×5, first 2 shown]
	v_add_f64_e32 v[160:161], v[176:177], v[174:175]
	v_add_f64_e32 v[166:167], v[166:167], v[172:173]
	s_wait_loadcnt_dscnt 0xa00
	v_mul_f64_e32 v[172:173], v[138:139], v[14:15]
	v_mul_f64_e32 v[14:15], v[140:141], v[14:15]
	v_fmac_f64_e32 v[168:169], v[6:7], v[142:143]
	v_fma_f64 v[174:175], v[4:5], v[142:143], -v[144:145]
	ds_load_b128 v[4:7], v2 offset:1312
	ds_load_b128 v[142:145], v2 offset:1328
	v_add_f64_e32 v[176:177], v[160:161], v[158:159]
	v_add_f64_e32 v[166:167], v[166:167], v[170:171]
	scratch_load_b128 v[158:161], off, off offset:704
	v_fmac_f64_e32 v[172:173], v[140:141], v[12:13]
	v_fma_f64 v[138:139], v[138:139], v[12:13], -v[14:15]
	scratch_load_b128 v[12:15], off, off offset:720
	s_wait_loadcnt_dscnt 0xb01
	v_mul_f64_e32 v[170:171], v[4:5], v[128:129]
	v_mul_f64_e32 v[128:129], v[6:7], v[128:129]
	v_add_f64_e32 v[140:141], v[176:177], v[174:175]
	v_add_f64_e32 v[166:167], v[166:167], v[168:169]
	s_wait_loadcnt_dscnt 0xa00
	v_mul_f64_e32 v[168:169], v[142:143], v[22:23]
	v_mul_f64_e32 v[22:23], v[144:145], v[22:23]
	v_fmac_f64_e32 v[170:171], v[6:7], v[126:127]
	v_fma_f64 v[174:175], v[4:5], v[126:127], -v[128:129]
	ds_load_b128 v[4:7], v2 offset:1344
	ds_load_b128 v[126:129], v2 offset:1360
	v_add_f64_e32 v[176:177], v[140:141], v[138:139]
	v_add_f64_e32 v[166:167], v[166:167], v[172:173]
	scratch_load_b128 v[138:141], off, off offset:736
	s_wait_loadcnt_dscnt 0xa01
	v_mul_f64_e32 v[172:173], v[4:5], v[136:137]
	v_mul_f64_e32 v[136:137], v[6:7], v[136:137]
	v_fmac_f64_e32 v[168:169], v[144:145], v[20:21]
	v_fma_f64 v[142:143], v[142:143], v[20:21], -v[22:23]
	scratch_load_b128 v[20:23], off, off offset:752
	v_add_f64_e32 v[144:145], v[176:177], v[174:175]
	v_add_f64_e32 v[166:167], v[166:167], v[170:171]
	s_wait_loadcnt_dscnt 0xa00
	v_mul_f64_e32 v[170:171], v[126:127], v[124:125]
	v_mul_f64_e32 v[124:125], v[128:129], v[124:125]
	v_fmac_f64_e32 v[172:173], v[6:7], v[134:135]
	v_fma_f64 v[174:175], v[4:5], v[134:135], -v[136:137]
	ds_load_b128 v[4:7], v2 offset:1376
	ds_load_b128 v[134:137], v2 offset:1392
	v_add_f64_e32 v[142:143], v[144:145], v[142:143]
	v_add_f64_e32 v[144:145], v[166:167], v[168:169]
	v_fmac_f64_e32 v[170:171], v[128:129], v[122:123]
	s_wait_loadcnt_dscnt 0x901
	v_mul_f64_e32 v[166:167], v[4:5], v[148:149]
	v_mul_f64_e32 v[148:149], v[6:7], v[148:149]
	v_fma_f64 v[122:123], v[126:127], v[122:123], -v[124:125]
	s_wait_loadcnt_dscnt 0x800
	v_mul_f64_e32 v[128:129], v[134:135], v[132:133]
	v_mul_f64_e32 v[132:133], v[136:137], v[132:133]
	v_add_f64_e32 v[124:125], v[142:143], v[174:175]
	v_add_f64_e32 v[126:127], v[144:145], v[172:173]
	v_fmac_f64_e32 v[166:167], v[6:7], v[146:147]
	v_fma_f64 v[142:143], v[4:5], v[146:147], -v[148:149]
	v_fmac_f64_e32 v[128:129], v[136:137], v[130:131]
	v_fma_f64 v[130:131], v[134:135], v[130:131], -v[132:133]
	v_add_f64_e32 v[144:145], v[124:125], v[122:123]
	v_add_f64_e32 v[126:127], v[126:127], v[170:171]
	ds_load_b128 v[4:7], v2 offset:1408
	ds_load_b128 v[122:125], v2 offset:1424
	s_wait_loadcnt_dscnt 0x701
	v_mul_f64_e32 v[146:147], v[4:5], v[164:165]
	v_mul_f64_e32 v[148:149], v[6:7], v[164:165]
	s_wait_loadcnt_dscnt 0x600
	v_mul_f64_e32 v[134:135], v[122:123], v[10:11]
	v_mul_f64_e32 v[10:11], v[124:125], v[10:11]
	v_add_f64_e32 v[132:133], v[144:145], v[142:143]
	v_add_f64_e32 v[126:127], v[126:127], v[166:167]
	v_fmac_f64_e32 v[146:147], v[6:7], v[162:163]
	v_fma_f64 v[136:137], v[4:5], v[162:163], -v[148:149]
	v_fmac_f64_e32 v[134:135], v[124:125], v[8:9]
	v_fma_f64 v[8:9], v[122:123], v[8:9], -v[10:11]
	v_add_f64_e32 v[130:131], v[132:133], v[130:131]
	v_add_f64_e32 v[132:133], v[126:127], v[128:129]
	ds_load_b128 v[4:7], v2 offset:1440
	ds_load_b128 v[126:129], v2 offset:1456
	s_wait_loadcnt_dscnt 0x501
	v_mul_f64_e32 v[142:143], v[4:5], v[152:153]
	v_mul_f64_e32 v[144:145], v[6:7], v[152:153]
	;; [unrolled: 16-line block ×4, first 2 shown]
	v_add_f64_e32 v[10:11], v[18:19], v[130:131]
	v_add_f64_e32 v[12:13], v[122:123], v[134:135]
	s_wait_loadcnt_dscnt 0x0
	v_mul_f64_e32 v[18:19], v[14:15], v[22:23]
	v_mul_f64_e32 v[22:23], v[16:17], v[22:23]
	v_fmac_f64_e32 v[2:3], v[6:7], v[138:139]
	v_fma_f64 v[4:5], v[4:5], v[138:139], -v[124:125]
	v_add_f64_e32 v[6:7], v[10:11], v[8:9]
	v_add_f64_e32 v[8:9], v[12:13], v[126:127]
	v_fmac_f64_e32 v[18:19], v[16:17], v[20:21]
	v_fma_f64 v[10:11], v[14:15], v[20:21], -v[22:23]
	s_delay_alu instid0(VALU_DEP_4) | instskip(NEXT) | instid1(VALU_DEP_4)
	v_add_f64_e32 v[4:5], v[6:7], v[4:5]
	v_add_f64_e32 v[2:3], v[8:9], v[2:3]
	s_delay_alu instid0(VALU_DEP_2) | instskip(NEXT) | instid1(VALU_DEP_2)
	v_add_f64_e32 v[4:5], v[4:5], v[10:11]
	v_add_f64_e32 v[6:7], v[2:3], v[18:19]
	s_delay_alu instid0(VALU_DEP_2) | instskip(NEXT) | instid1(VALU_DEP_2)
	v_add_f64_e64 v[2:3], v[154:155], -v[4:5]
	v_add_f64_e64 v[4:5], v[156:157], -v[6:7]
	scratch_store_b128 off, v[2:5], off offset:240
	s_wait_xcnt 0x0
	v_cmpx_lt_u32_e32 14, v1
	s_cbranch_execz .LBB47_273
; %bb.272:
	scratch_load_b128 v[2:5], off, s59
	v_mov_b32_e32 v6, 0
	s_delay_alu instid0(VALU_DEP_1)
	v_dual_mov_b32 v7, v6 :: v_dual_mov_b32 v8, v6
	v_mov_b32_e32 v9, v6
	scratch_store_b128 off, v[6:9], off offset:224
	s_wait_loadcnt 0x0
	ds_store_b128 v120, v[2:5]
.LBB47_273:
	s_wait_xcnt 0x0
	s_or_b32 exec_lo, exec_lo, s2
	s_wait_storecnt_dscnt 0x0
	s_barrier_signal -1
	s_barrier_wait -1
	s_clause 0x9
	scratch_load_b128 v[4:7], off, off offset:240
	scratch_load_b128 v[8:11], off, off offset:256
	;; [unrolled: 1-line block ×10, first 2 shown]
	v_mov_b32_e32 v2, 0
	s_mov_b32 s2, exec_lo
	ds_load_b128 v[142:145], v2 offset:1008
	s_clause 0x2
	scratch_load_b128 v[146:149], off, off offset:400
	scratch_load_b128 v[150:153], off, off offset:224
	;; [unrolled: 1-line block ×3, first 2 shown]
	s_wait_loadcnt_dscnt 0xc00
	v_mul_f64_e32 v[162:163], v[144:145], v[6:7]
	v_mul_f64_e32 v[166:167], v[142:143], v[6:7]
	ds_load_b128 v[154:157], v2 offset:1024
	v_fma_f64 v[170:171], v[142:143], v[4:5], -v[162:163]
	v_fmac_f64_e32 v[166:167], v[144:145], v[4:5]
	ds_load_b128 v[4:7], v2 offset:1040
	s_wait_loadcnt_dscnt 0xb01
	v_mul_f64_e32 v[168:169], v[154:155], v[10:11]
	v_mul_f64_e32 v[10:11], v[156:157], v[10:11]
	scratch_load_b128 v[142:145], off, off offset:432
	ds_load_b128 v[162:165], v2 offset:1056
	s_wait_loadcnt_dscnt 0xb01
	v_mul_f64_e32 v[172:173], v[4:5], v[14:15]
	v_mul_f64_e32 v[14:15], v[6:7], v[14:15]
	v_add_f64_e32 v[166:167], 0, v[166:167]
	v_fmac_f64_e32 v[168:169], v[156:157], v[8:9]
	v_fma_f64 v[154:155], v[154:155], v[8:9], -v[10:11]
	v_add_f64_e32 v[156:157], 0, v[170:171]
	scratch_load_b128 v[8:11], off, off offset:448
	v_fmac_f64_e32 v[172:173], v[6:7], v[12:13]
	v_fma_f64 v[174:175], v[4:5], v[12:13], -v[14:15]
	ds_load_b128 v[4:7], v2 offset:1072
	s_wait_loadcnt_dscnt 0xb01
	v_mul_f64_e32 v[170:171], v[162:163], v[18:19]
	v_mul_f64_e32 v[18:19], v[164:165], v[18:19]
	scratch_load_b128 v[12:15], off, off offset:464
	v_add_f64_e32 v[166:167], v[166:167], v[168:169]
	v_add_f64_e32 v[176:177], v[156:157], v[154:155]
	ds_load_b128 v[154:157], v2 offset:1088
	s_wait_loadcnt_dscnt 0xb01
	v_mul_f64_e32 v[168:169], v[4:5], v[22:23]
	v_mul_f64_e32 v[22:23], v[6:7], v[22:23]
	v_fmac_f64_e32 v[170:171], v[164:165], v[16:17]
	v_fma_f64 v[162:163], v[162:163], v[16:17], -v[18:19]
	scratch_load_b128 v[16:19], off, off offset:480
	v_add_f64_e32 v[166:167], v[166:167], v[172:173]
	v_add_f64_e32 v[164:165], v[176:177], v[174:175]
	v_fmac_f64_e32 v[168:169], v[6:7], v[20:21]
	v_fma_f64 v[174:175], v[4:5], v[20:21], -v[22:23]
	ds_load_b128 v[4:7], v2 offset:1104
	s_wait_loadcnt_dscnt 0xb01
	v_mul_f64_e32 v[172:173], v[154:155], v[124:125]
	v_mul_f64_e32 v[124:125], v[156:157], v[124:125]
	scratch_load_b128 v[20:23], off, off offset:496
	v_add_f64_e32 v[166:167], v[166:167], v[170:171]
	s_wait_loadcnt_dscnt 0xb00
	v_mul_f64_e32 v[170:171], v[4:5], v[128:129]
	v_add_f64_e32 v[176:177], v[164:165], v[162:163]
	v_mul_f64_e32 v[128:129], v[6:7], v[128:129]
	ds_load_b128 v[162:165], v2 offset:1120
	v_fmac_f64_e32 v[172:173], v[156:157], v[122:123]
	v_fma_f64 v[154:155], v[154:155], v[122:123], -v[124:125]
	scratch_load_b128 v[122:125], off, off offset:512
	v_add_f64_e32 v[166:167], v[166:167], v[168:169]
	v_fmac_f64_e32 v[170:171], v[6:7], v[126:127]
	v_add_f64_e32 v[156:157], v[176:177], v[174:175]
	v_fma_f64 v[174:175], v[4:5], v[126:127], -v[128:129]
	ds_load_b128 v[4:7], v2 offset:1136
	s_wait_loadcnt_dscnt 0xb01
	v_mul_f64_e32 v[168:169], v[162:163], v[132:133]
	v_mul_f64_e32 v[132:133], v[164:165], v[132:133]
	scratch_load_b128 v[126:129], off, off offset:528
	v_add_f64_e32 v[166:167], v[166:167], v[172:173]
	s_wait_loadcnt_dscnt 0xb00
	v_mul_f64_e32 v[172:173], v[4:5], v[136:137]
	v_add_f64_e32 v[176:177], v[156:157], v[154:155]
	v_mul_f64_e32 v[136:137], v[6:7], v[136:137]
	ds_load_b128 v[154:157], v2 offset:1152
	v_fmac_f64_e32 v[168:169], v[164:165], v[130:131]
	v_fma_f64 v[162:163], v[162:163], v[130:131], -v[132:133]
	scratch_load_b128 v[130:133], off, off offset:544
	v_add_f64_e32 v[166:167], v[166:167], v[170:171]
	v_fmac_f64_e32 v[172:173], v[6:7], v[134:135]
	v_add_f64_e32 v[164:165], v[176:177], v[174:175]
	;; [unrolled: 18-line block ×3, first 2 shown]
	v_fma_f64 v[174:175], v[4:5], v[146:147], -v[148:149]
	ds_load_b128 v[4:7], v2 offset:1200
	s_wait_loadcnt_dscnt 0xa01
	v_mul_f64_e32 v[172:173], v[162:163], v[160:161]
	v_mul_f64_e32 v[160:161], v[164:165], v[160:161]
	scratch_load_b128 v[146:149], off, off offset:592
	v_add_f64_e32 v[166:167], v[166:167], v[170:171]
	v_add_f64_e32 v[176:177], v[156:157], v[154:155]
	s_wait_loadcnt_dscnt 0xa00
	v_mul_f64_e32 v[170:171], v[4:5], v[144:145]
	v_mul_f64_e32 v[144:145], v[6:7], v[144:145]
	v_fmac_f64_e32 v[172:173], v[164:165], v[158:159]
	v_fma_f64 v[162:163], v[162:163], v[158:159], -v[160:161]
	ds_load_b128 v[154:157], v2 offset:1216
	scratch_load_b128 v[158:161], off, off offset:608
	v_add_f64_e32 v[166:167], v[166:167], v[168:169]
	v_add_f64_e32 v[164:165], v[176:177], v[174:175]
	v_fmac_f64_e32 v[170:171], v[6:7], v[142:143]
	v_fma_f64 v[174:175], v[4:5], v[142:143], -v[144:145]
	ds_load_b128 v[4:7], v2 offset:1232
	s_wait_loadcnt_dscnt 0xa01
	v_mul_f64_e32 v[168:169], v[154:155], v[10:11]
	v_mul_f64_e32 v[10:11], v[156:157], v[10:11]
	scratch_load_b128 v[142:145], off, off offset:624
	v_add_f64_e32 v[166:167], v[166:167], v[172:173]
	s_wait_loadcnt_dscnt 0xa00
	v_mul_f64_e32 v[172:173], v[4:5], v[14:15]
	v_add_f64_e32 v[176:177], v[164:165], v[162:163]
	v_mul_f64_e32 v[14:15], v[6:7], v[14:15]
	ds_load_b128 v[162:165], v2 offset:1248
	v_fmac_f64_e32 v[168:169], v[156:157], v[8:9]
	v_fma_f64 v[154:155], v[154:155], v[8:9], -v[10:11]
	scratch_load_b128 v[8:11], off, off offset:640
	v_add_f64_e32 v[166:167], v[166:167], v[170:171]
	v_fmac_f64_e32 v[172:173], v[6:7], v[12:13]
	v_add_f64_e32 v[156:157], v[176:177], v[174:175]
	v_fma_f64 v[174:175], v[4:5], v[12:13], -v[14:15]
	ds_load_b128 v[4:7], v2 offset:1264
	s_wait_loadcnt_dscnt 0xa01
	v_mul_f64_e32 v[170:171], v[162:163], v[18:19]
	v_mul_f64_e32 v[18:19], v[164:165], v[18:19]
	scratch_load_b128 v[12:15], off, off offset:656
	v_add_f64_e32 v[166:167], v[166:167], v[168:169]
	s_wait_loadcnt_dscnt 0xa00
	v_mul_f64_e32 v[168:169], v[4:5], v[22:23]
	v_add_f64_e32 v[176:177], v[156:157], v[154:155]
	v_mul_f64_e32 v[22:23], v[6:7], v[22:23]
	ds_load_b128 v[154:157], v2 offset:1280
	v_fmac_f64_e32 v[170:171], v[164:165], v[16:17]
	v_fma_f64 v[162:163], v[162:163], v[16:17], -v[18:19]
	scratch_load_b128 v[16:19], off, off offset:672
	v_add_f64_e32 v[166:167], v[166:167], v[172:173]
	v_fmac_f64_e32 v[168:169], v[6:7], v[20:21]
	v_add_f64_e32 v[164:165], v[176:177], v[174:175]
	;; [unrolled: 18-line block ×4, first 2 shown]
	v_fma_f64 v[174:175], v[4:5], v[134:135], -v[136:137]
	ds_load_b128 v[4:7], v2 offset:1360
	s_wait_loadcnt_dscnt 0xa01
	v_mul_f64_e32 v[170:171], v[154:155], v[140:141]
	v_mul_f64_e32 v[140:141], v[156:157], v[140:141]
	scratch_load_b128 v[134:137], off, off offset:752
	v_add_f64_e32 v[166:167], v[166:167], v[168:169]
	s_wait_loadcnt_dscnt 0xa00
	v_mul_f64_e32 v[168:169], v[4:5], v[148:149]
	v_add_f64_e32 v[176:177], v[164:165], v[162:163]
	v_mul_f64_e32 v[148:149], v[6:7], v[148:149]
	ds_load_b128 v[162:165], v2 offset:1376
	v_fmac_f64_e32 v[170:171], v[156:157], v[138:139]
	v_fma_f64 v[138:139], v[154:155], v[138:139], -v[140:141]
	s_wait_loadcnt_dscnt 0x900
	v_mul_f64_e32 v[156:157], v[162:163], v[160:161]
	v_mul_f64_e32 v[160:161], v[164:165], v[160:161]
	v_add_f64_e32 v[154:155], v[166:167], v[172:173]
	v_fmac_f64_e32 v[168:169], v[6:7], v[146:147]
	v_add_f64_e32 v[140:141], v[176:177], v[174:175]
	v_fma_f64 v[146:147], v[4:5], v[146:147], -v[148:149]
	v_fmac_f64_e32 v[156:157], v[164:165], v[158:159]
	v_fma_f64 v[158:159], v[162:163], v[158:159], -v[160:161]
	v_add_f64_e32 v[154:155], v[154:155], v[170:171]
	v_add_f64_e32 v[148:149], v[140:141], v[138:139]
	ds_load_b128 v[4:7], v2 offset:1392
	ds_load_b128 v[138:141], v2 offset:1408
	s_wait_loadcnt_dscnt 0x801
	v_mul_f64_e32 v[166:167], v[4:5], v[144:145]
	v_mul_f64_e32 v[144:145], v[6:7], v[144:145]
	v_add_f64_e32 v[146:147], v[148:149], v[146:147]
	v_add_f64_e32 v[148:149], v[154:155], v[168:169]
	s_wait_loadcnt_dscnt 0x700
	v_mul_f64_e32 v[154:155], v[138:139], v[10:11]
	v_mul_f64_e32 v[10:11], v[140:141], v[10:11]
	v_fmac_f64_e32 v[166:167], v[6:7], v[142:143]
	v_fma_f64 v[160:161], v[4:5], v[142:143], -v[144:145]
	ds_load_b128 v[4:7], v2 offset:1424
	ds_load_b128 v[142:145], v2 offset:1440
	v_add_f64_e32 v[146:147], v[146:147], v[158:159]
	v_add_f64_e32 v[148:149], v[148:149], v[156:157]
	v_fmac_f64_e32 v[154:155], v[140:141], v[8:9]
	v_fma_f64 v[8:9], v[138:139], v[8:9], -v[10:11]
	s_wait_loadcnt_dscnt 0x601
	v_mul_f64_e32 v[156:157], v[4:5], v[14:15]
	v_mul_f64_e32 v[14:15], v[6:7], v[14:15]
	s_wait_loadcnt_dscnt 0x500
	v_mul_f64_e32 v[140:141], v[142:143], v[18:19]
	v_mul_f64_e32 v[18:19], v[144:145], v[18:19]
	v_add_f64_e32 v[10:11], v[146:147], v[160:161]
	v_add_f64_e32 v[138:139], v[148:149], v[166:167]
	v_fmac_f64_e32 v[156:157], v[6:7], v[12:13]
	v_fma_f64 v[12:13], v[4:5], v[12:13], -v[14:15]
	v_fmac_f64_e32 v[140:141], v[144:145], v[16:17]
	v_fma_f64 v[16:17], v[142:143], v[16:17], -v[18:19]
	v_add_f64_e32 v[14:15], v[10:11], v[8:9]
	v_add_f64_e32 v[138:139], v[138:139], v[154:155]
	ds_load_b128 v[4:7], v2 offset:1456
	ds_load_b128 v[8:11], v2 offset:1472
	s_wait_loadcnt_dscnt 0x401
	v_mul_f64_e32 v[146:147], v[4:5], v[22:23]
	v_mul_f64_e32 v[22:23], v[6:7], v[22:23]
	s_wait_loadcnt_dscnt 0x300
	v_mul_f64_e32 v[18:19], v[8:9], v[124:125]
	v_mul_f64_e32 v[124:125], v[10:11], v[124:125]
	v_add_f64_e32 v[12:13], v[14:15], v[12:13]
	v_add_f64_e32 v[14:15], v[138:139], v[156:157]
	v_fmac_f64_e32 v[146:147], v[6:7], v[20:21]
	v_fma_f64 v[20:21], v[4:5], v[20:21], -v[22:23]
	v_fmac_f64_e32 v[18:19], v[10:11], v[122:123]
	v_fma_f64 v[8:9], v[8:9], v[122:123], -v[124:125]
	v_add_f64_e32 v[16:17], v[12:13], v[16:17]
	v_add_f64_e32 v[22:23], v[14:15], v[140:141]
	ds_load_b128 v[4:7], v2 offset:1488
	ds_load_b128 v[12:15], v2 offset:1504
	s_wait_loadcnt_dscnt 0x201
	v_mul_f64_e32 v[138:139], v[4:5], v[128:129]
	v_mul_f64_e32 v[128:129], v[6:7], v[128:129]
	v_add_f64_e32 v[10:11], v[16:17], v[20:21]
	v_add_f64_e32 v[16:17], v[22:23], v[146:147]
	s_wait_loadcnt_dscnt 0x100
	v_mul_f64_e32 v[20:21], v[12:13], v[132:133]
	v_mul_f64_e32 v[22:23], v[14:15], v[132:133]
	v_fmac_f64_e32 v[138:139], v[6:7], v[126:127]
	v_fma_f64 v[122:123], v[4:5], v[126:127], -v[128:129]
	ds_load_b128 v[4:7], v2 offset:1520
	v_add_f64_e32 v[8:9], v[10:11], v[8:9]
	v_add_f64_e32 v[10:11], v[16:17], v[18:19]
	v_fmac_f64_e32 v[20:21], v[14:15], v[130:131]
	v_fma_f64 v[12:13], v[12:13], v[130:131], -v[22:23]
	s_wait_loadcnt_dscnt 0x0
	v_mul_f64_e32 v[16:17], v[4:5], v[136:137]
	v_mul_f64_e32 v[18:19], v[6:7], v[136:137]
	v_add_f64_e32 v[8:9], v[8:9], v[122:123]
	v_add_f64_e32 v[10:11], v[10:11], v[138:139]
	s_delay_alu instid0(VALU_DEP_4) | instskip(NEXT) | instid1(VALU_DEP_4)
	v_fmac_f64_e32 v[16:17], v[6:7], v[134:135]
	v_fma_f64 v[4:5], v[4:5], v[134:135], -v[18:19]
	s_delay_alu instid0(VALU_DEP_4) | instskip(NEXT) | instid1(VALU_DEP_4)
	v_add_f64_e32 v[6:7], v[8:9], v[12:13]
	v_add_f64_e32 v[8:9], v[10:11], v[20:21]
	s_delay_alu instid0(VALU_DEP_2) | instskip(NEXT) | instid1(VALU_DEP_2)
	v_add_f64_e32 v[4:5], v[6:7], v[4:5]
	v_add_f64_e32 v[6:7], v[8:9], v[16:17]
	s_delay_alu instid0(VALU_DEP_2) | instskip(NEXT) | instid1(VALU_DEP_2)
	v_add_f64_e64 v[4:5], v[150:151], -v[4:5]
	v_add_f64_e64 v[6:7], v[152:153], -v[6:7]
	scratch_store_b128 off, v[4:7], off offset:224
	s_wait_xcnt 0x0
	v_cmpx_lt_u32_e32 13, v1
	s_cbranch_execz .LBB47_275
; %bb.274:
	scratch_load_b128 v[6:9], off, s58
	v_dual_mov_b32 v3, v2 :: v_dual_mov_b32 v4, v2
	v_mov_b32_e32 v5, v2
	scratch_store_b128 off, v[2:5], off offset:208
	s_wait_loadcnt 0x0
	ds_store_b128 v120, v[6:9]
.LBB47_275:
	s_wait_xcnt 0x0
	s_or_b32 exec_lo, exec_lo, s2
	s_wait_storecnt_dscnt 0x0
	s_barrier_signal -1
	s_barrier_wait -1
	s_clause 0x9
	scratch_load_b128 v[4:7], off, off offset:224
	scratch_load_b128 v[8:11], off, off offset:240
	;; [unrolled: 1-line block ×10, first 2 shown]
	ds_load_b128 v[142:145], v2 offset:992
	ds_load_b128 v[150:153], v2 offset:1008
	s_clause 0x2
	scratch_load_b128 v[146:149], off, off offset:384
	scratch_load_b128 v[154:157], off, off offset:208
	;; [unrolled: 1-line block ×3, first 2 shown]
	s_mov_b32 s2, exec_lo
	s_wait_loadcnt_dscnt 0xc01
	v_mul_f64_e32 v[162:163], v[144:145], v[6:7]
	v_mul_f64_e32 v[166:167], v[142:143], v[6:7]
	s_wait_loadcnt_dscnt 0xb00
	v_mul_f64_e32 v[168:169], v[150:151], v[10:11]
	v_mul_f64_e32 v[10:11], v[152:153], v[10:11]
	s_delay_alu instid0(VALU_DEP_4) | instskip(NEXT) | instid1(VALU_DEP_4)
	v_fma_f64 v[170:171], v[142:143], v[4:5], -v[162:163]
	v_fmac_f64_e32 v[166:167], v[144:145], v[4:5]
	ds_load_b128 v[4:7], v2 offset:1024
	ds_load_b128 v[142:145], v2 offset:1040
	scratch_load_b128 v[162:165], off, off offset:416
	v_fmac_f64_e32 v[168:169], v[152:153], v[8:9]
	v_fma_f64 v[150:151], v[150:151], v[8:9], -v[10:11]
	scratch_load_b128 v[8:11], off, off offset:432
	s_wait_loadcnt_dscnt 0xc01
	v_mul_f64_e32 v[172:173], v[4:5], v[14:15]
	v_mul_f64_e32 v[14:15], v[6:7], v[14:15]
	v_add_f64_e32 v[152:153], 0, v[170:171]
	v_add_f64_e32 v[166:167], 0, v[166:167]
	s_wait_loadcnt_dscnt 0xb00
	v_mul_f64_e32 v[170:171], v[142:143], v[18:19]
	v_mul_f64_e32 v[18:19], v[144:145], v[18:19]
	v_fmac_f64_e32 v[172:173], v[6:7], v[12:13]
	v_fma_f64 v[174:175], v[4:5], v[12:13], -v[14:15]
	ds_load_b128 v[4:7], v2 offset:1056
	ds_load_b128 v[12:15], v2 offset:1072
	v_add_f64_e32 v[176:177], v[152:153], v[150:151]
	v_add_f64_e32 v[166:167], v[166:167], v[168:169]
	scratch_load_b128 v[150:153], off, off offset:448
	v_fmac_f64_e32 v[170:171], v[144:145], v[16:17]
	v_fma_f64 v[142:143], v[142:143], v[16:17], -v[18:19]
	scratch_load_b128 v[16:19], off, off offset:464
	s_wait_loadcnt_dscnt 0xc01
	v_mul_f64_e32 v[168:169], v[4:5], v[22:23]
	v_mul_f64_e32 v[22:23], v[6:7], v[22:23]
	v_add_f64_e32 v[144:145], v[176:177], v[174:175]
	v_add_f64_e32 v[166:167], v[166:167], v[172:173]
	s_wait_loadcnt_dscnt 0xb00
	v_mul_f64_e32 v[172:173], v[12:13], v[124:125]
	v_mul_f64_e32 v[124:125], v[14:15], v[124:125]
	v_fmac_f64_e32 v[168:169], v[6:7], v[20:21]
	v_fma_f64 v[174:175], v[4:5], v[20:21], -v[22:23]
	ds_load_b128 v[4:7], v2 offset:1088
	ds_load_b128 v[20:23], v2 offset:1104
	v_add_f64_e32 v[176:177], v[144:145], v[142:143]
	v_add_f64_e32 v[166:167], v[166:167], v[170:171]
	scratch_load_b128 v[142:145], off, off offset:480
	s_wait_loadcnt_dscnt 0xb01
	v_mul_f64_e32 v[170:171], v[4:5], v[128:129]
	v_mul_f64_e32 v[128:129], v[6:7], v[128:129]
	v_fmac_f64_e32 v[172:173], v[14:15], v[122:123]
	v_fma_f64 v[122:123], v[12:13], v[122:123], -v[124:125]
	scratch_load_b128 v[12:15], off, off offset:496
	v_add_f64_e32 v[124:125], v[176:177], v[174:175]
	v_add_f64_e32 v[166:167], v[166:167], v[168:169]
	s_wait_loadcnt_dscnt 0xb00
	v_mul_f64_e32 v[168:169], v[20:21], v[132:133]
	v_mul_f64_e32 v[132:133], v[22:23], v[132:133]
	v_fmac_f64_e32 v[170:171], v[6:7], v[126:127]
	v_fma_f64 v[174:175], v[4:5], v[126:127], -v[128:129]
	v_add_f64_e32 v[176:177], v[124:125], v[122:123]
	v_add_f64_e32 v[166:167], v[166:167], v[172:173]
	ds_load_b128 v[4:7], v2 offset:1120
	ds_load_b128 v[122:125], v2 offset:1136
	scratch_load_b128 v[126:129], off, off offset:512
	v_fmac_f64_e32 v[168:169], v[22:23], v[130:131]
	v_fma_f64 v[130:131], v[20:21], v[130:131], -v[132:133]
	scratch_load_b128 v[20:23], off, off offset:528
	s_wait_loadcnt_dscnt 0xc01
	v_mul_f64_e32 v[172:173], v[4:5], v[136:137]
	v_mul_f64_e32 v[136:137], v[6:7], v[136:137]
	v_add_f64_e32 v[132:133], v[176:177], v[174:175]
	v_add_f64_e32 v[166:167], v[166:167], v[170:171]
	s_wait_loadcnt_dscnt 0xb00
	v_mul_f64_e32 v[170:171], v[122:123], v[140:141]
	v_mul_f64_e32 v[140:141], v[124:125], v[140:141]
	v_fmac_f64_e32 v[172:173], v[6:7], v[134:135]
	v_fma_f64 v[174:175], v[4:5], v[134:135], -v[136:137]
	v_add_f64_e32 v[176:177], v[132:133], v[130:131]
	v_add_f64_e32 v[166:167], v[166:167], v[168:169]
	ds_load_b128 v[4:7], v2 offset:1152
	ds_load_b128 v[130:133], v2 offset:1168
	scratch_load_b128 v[134:137], off, off offset:544
	v_fmac_f64_e32 v[170:171], v[124:125], v[138:139]
	v_fma_f64 v[138:139], v[122:123], v[138:139], -v[140:141]
	scratch_load_b128 v[122:125], off, off offset:560
	s_wait_loadcnt_dscnt 0xc01
	v_mul_f64_e32 v[168:169], v[4:5], v[148:149]
	v_mul_f64_e32 v[148:149], v[6:7], v[148:149]
	;; [unrolled: 18-line block ×5, first 2 shown]
	v_add_f64_e32 v[160:161], v[176:177], v[174:175]
	v_add_f64_e32 v[166:167], v[166:167], v[172:173]
	s_wait_loadcnt_dscnt 0xa00
	v_mul_f64_e32 v[172:173], v[138:139], v[14:15]
	v_mul_f64_e32 v[14:15], v[140:141], v[14:15]
	v_fmac_f64_e32 v[168:169], v[6:7], v[142:143]
	v_fma_f64 v[174:175], v[4:5], v[142:143], -v[144:145]
	ds_load_b128 v[4:7], v2 offset:1280
	ds_load_b128 v[142:145], v2 offset:1296
	v_add_f64_e32 v[176:177], v[160:161], v[158:159]
	v_add_f64_e32 v[166:167], v[166:167], v[170:171]
	scratch_load_b128 v[158:161], off, off offset:672
	v_fmac_f64_e32 v[172:173], v[140:141], v[12:13]
	v_fma_f64 v[138:139], v[138:139], v[12:13], -v[14:15]
	scratch_load_b128 v[12:15], off, off offset:688
	s_wait_loadcnt_dscnt 0xb01
	v_mul_f64_e32 v[170:171], v[4:5], v[128:129]
	v_mul_f64_e32 v[128:129], v[6:7], v[128:129]
	v_add_f64_e32 v[140:141], v[176:177], v[174:175]
	v_add_f64_e32 v[166:167], v[166:167], v[168:169]
	s_wait_loadcnt_dscnt 0xa00
	v_mul_f64_e32 v[168:169], v[142:143], v[22:23]
	v_mul_f64_e32 v[22:23], v[144:145], v[22:23]
	v_fmac_f64_e32 v[170:171], v[6:7], v[126:127]
	v_fma_f64 v[174:175], v[4:5], v[126:127], -v[128:129]
	ds_load_b128 v[4:7], v2 offset:1312
	ds_load_b128 v[126:129], v2 offset:1328
	v_add_f64_e32 v[176:177], v[140:141], v[138:139]
	v_add_f64_e32 v[166:167], v[166:167], v[172:173]
	scratch_load_b128 v[138:141], off, off offset:704
	s_wait_loadcnt_dscnt 0xa01
	v_mul_f64_e32 v[172:173], v[4:5], v[136:137]
	v_mul_f64_e32 v[136:137], v[6:7], v[136:137]
	v_fmac_f64_e32 v[168:169], v[144:145], v[20:21]
	v_fma_f64 v[142:143], v[142:143], v[20:21], -v[22:23]
	scratch_load_b128 v[20:23], off, off offset:720
	v_add_f64_e32 v[144:145], v[176:177], v[174:175]
	v_add_f64_e32 v[166:167], v[166:167], v[170:171]
	s_wait_loadcnt_dscnt 0xa00
	v_mul_f64_e32 v[170:171], v[126:127], v[124:125]
	v_mul_f64_e32 v[124:125], v[128:129], v[124:125]
	v_fmac_f64_e32 v[172:173], v[6:7], v[134:135]
	v_fma_f64 v[174:175], v[4:5], v[134:135], -v[136:137]
	ds_load_b128 v[4:7], v2 offset:1344
	ds_load_b128 v[134:137], v2 offset:1360
	v_add_f64_e32 v[176:177], v[144:145], v[142:143]
	v_add_f64_e32 v[166:167], v[166:167], v[168:169]
	scratch_load_b128 v[142:145], off, off offset:736
	s_wait_loadcnt_dscnt 0xa01
	v_mul_f64_e32 v[168:169], v[4:5], v[148:149]
	v_mul_f64_e32 v[148:149], v[6:7], v[148:149]
	v_fmac_f64_e32 v[170:171], v[128:129], v[122:123]
	v_fma_f64 v[126:127], v[126:127], v[122:123], -v[124:125]
	scratch_load_b128 v[122:125], off, off offset:752
	v_add_f64_e32 v[128:129], v[176:177], v[174:175]
	v_add_f64_e32 v[166:167], v[166:167], v[172:173]
	s_wait_loadcnt_dscnt 0xa00
	v_mul_f64_e32 v[172:173], v[134:135], v[132:133]
	v_mul_f64_e32 v[132:133], v[136:137], v[132:133]
	v_fmac_f64_e32 v[168:169], v[6:7], v[146:147]
	v_fma_f64 v[146:147], v[4:5], v[146:147], -v[148:149]
	v_add_f64_e32 v[148:149], v[128:129], v[126:127]
	v_add_f64_e32 v[166:167], v[166:167], v[170:171]
	ds_load_b128 v[4:7], v2 offset:1376
	ds_load_b128 v[126:129], v2 offset:1392
	v_fmac_f64_e32 v[172:173], v[136:137], v[130:131]
	v_fma_f64 v[130:131], v[134:135], v[130:131], -v[132:133]
	s_wait_loadcnt_dscnt 0x901
	v_mul_f64_e32 v[170:171], v[4:5], v[164:165]
	v_mul_f64_e32 v[164:165], v[6:7], v[164:165]
	s_wait_loadcnt_dscnt 0x800
	v_mul_f64_e32 v[136:137], v[126:127], v[10:11]
	v_mul_f64_e32 v[10:11], v[128:129], v[10:11]
	v_add_f64_e32 v[132:133], v[148:149], v[146:147]
	v_add_f64_e32 v[134:135], v[166:167], v[168:169]
	v_fmac_f64_e32 v[170:171], v[6:7], v[162:163]
	v_fma_f64 v[146:147], v[4:5], v[162:163], -v[164:165]
	v_fmac_f64_e32 v[136:137], v[128:129], v[8:9]
	v_fma_f64 v[8:9], v[126:127], v[8:9], -v[10:11]
	v_add_f64_e32 v[148:149], v[132:133], v[130:131]
	v_add_f64_e32 v[134:135], v[134:135], v[172:173]
	ds_load_b128 v[4:7], v2 offset:1408
	ds_load_b128 v[130:133], v2 offset:1424
	s_wait_loadcnt_dscnt 0x701
	v_mul_f64_e32 v[162:163], v[4:5], v[152:153]
	v_mul_f64_e32 v[152:153], v[6:7], v[152:153]
	s_wait_loadcnt_dscnt 0x600
	v_mul_f64_e32 v[128:129], v[130:131], v[18:19]
	v_mul_f64_e32 v[18:19], v[132:133], v[18:19]
	v_add_f64_e32 v[10:11], v[148:149], v[146:147]
	v_add_f64_e32 v[126:127], v[134:135], v[170:171]
	v_fmac_f64_e32 v[162:163], v[6:7], v[150:151]
	v_fma_f64 v[134:135], v[4:5], v[150:151], -v[152:153]
	v_fmac_f64_e32 v[128:129], v[132:133], v[16:17]
	v_fma_f64 v[16:17], v[130:131], v[16:17], -v[18:19]
	v_add_f64_e32 v[146:147], v[10:11], v[8:9]
	v_add_f64_e32 v[126:127], v[126:127], v[136:137]
	ds_load_b128 v[4:7], v2 offset:1440
	ds_load_b128 v[8:11], v2 offset:1456
	;; [unrolled: 16-line block ×3, first 2 shown]
	s_wait_loadcnt_dscnt 0x301
	v_mul_f64_e32 v[128:129], v[4:5], v[140:141]
	v_mul_f64_e32 v[140:141], v[6:7], v[140:141]
	v_add_f64_e32 v[10:11], v[18:19], v[134:135]
	v_add_f64_e32 v[12:13], v[126:127], v[136:137]
	s_wait_loadcnt_dscnt 0x200
	v_mul_f64_e32 v[18:19], v[14:15], v[22:23]
	v_mul_f64_e32 v[22:23], v[16:17], v[22:23]
	v_fmac_f64_e32 v[128:129], v[6:7], v[138:139]
	v_fma_f64 v[126:127], v[4:5], v[138:139], -v[140:141]
	v_add_f64_e32 v[132:133], v[10:11], v[8:9]
	v_add_f64_e32 v[12:13], v[12:13], v[130:131]
	ds_load_b128 v[4:7], v2 offset:1504
	ds_load_b128 v[8:11], v2 offset:1520
	v_fmac_f64_e32 v[18:19], v[16:17], v[20:21]
	v_fma_f64 v[14:15], v[14:15], v[20:21], -v[22:23]
	s_wait_loadcnt_dscnt 0x101
	v_mul_f64_e32 v[2:3], v[4:5], v[144:145]
	v_mul_f64_e32 v[130:131], v[6:7], v[144:145]
	s_wait_loadcnt_dscnt 0x0
	v_mul_f64_e32 v[20:21], v[8:9], v[124:125]
	v_mul_f64_e32 v[22:23], v[10:11], v[124:125]
	v_add_f64_e32 v[16:17], v[132:133], v[126:127]
	v_add_f64_e32 v[12:13], v[12:13], v[128:129]
	v_fmac_f64_e32 v[2:3], v[6:7], v[142:143]
	v_fma_f64 v[4:5], v[4:5], v[142:143], -v[130:131]
	v_fmac_f64_e32 v[20:21], v[10:11], v[122:123]
	v_fma_f64 v[8:9], v[8:9], v[122:123], -v[22:23]
	v_add_f64_e32 v[6:7], v[16:17], v[14:15]
	v_add_f64_e32 v[12:13], v[12:13], v[18:19]
	s_delay_alu instid0(VALU_DEP_2) | instskip(NEXT) | instid1(VALU_DEP_2)
	v_add_f64_e32 v[4:5], v[6:7], v[4:5]
	v_add_f64_e32 v[2:3], v[12:13], v[2:3]
	s_delay_alu instid0(VALU_DEP_2) | instskip(NEXT) | instid1(VALU_DEP_2)
	v_add_f64_e32 v[4:5], v[4:5], v[8:9]
	v_add_f64_e32 v[6:7], v[2:3], v[20:21]
	s_delay_alu instid0(VALU_DEP_2) | instskip(NEXT) | instid1(VALU_DEP_2)
	v_add_f64_e64 v[2:3], v[154:155], -v[4:5]
	v_add_f64_e64 v[4:5], v[156:157], -v[6:7]
	scratch_store_b128 off, v[2:5], off offset:208
	s_wait_xcnt 0x0
	v_cmpx_lt_u32_e32 12, v1
	s_cbranch_execz .LBB47_277
; %bb.276:
	scratch_load_b128 v[2:5], off, s57
	v_mov_b32_e32 v6, 0
	s_delay_alu instid0(VALU_DEP_1)
	v_dual_mov_b32 v7, v6 :: v_dual_mov_b32 v8, v6
	v_mov_b32_e32 v9, v6
	scratch_store_b128 off, v[6:9], off offset:192
	s_wait_loadcnt 0x0
	ds_store_b128 v120, v[2:5]
.LBB47_277:
	s_wait_xcnt 0x0
	s_or_b32 exec_lo, exec_lo, s2
	s_wait_storecnt_dscnt 0x0
	s_barrier_signal -1
	s_barrier_wait -1
	s_clause 0x9
	scratch_load_b128 v[4:7], off, off offset:208
	scratch_load_b128 v[8:11], off, off offset:224
	;; [unrolled: 1-line block ×10, first 2 shown]
	v_mov_b32_e32 v2, 0
	s_mov_b32 s2, exec_lo
	ds_load_b128 v[142:145], v2 offset:976
	s_clause 0x2
	scratch_load_b128 v[146:149], off, off offset:368
	scratch_load_b128 v[150:153], off, off offset:192
	;; [unrolled: 1-line block ×3, first 2 shown]
	s_wait_loadcnt_dscnt 0xc00
	v_mul_f64_e32 v[162:163], v[144:145], v[6:7]
	v_mul_f64_e32 v[166:167], v[142:143], v[6:7]
	ds_load_b128 v[154:157], v2 offset:992
	v_fma_f64 v[170:171], v[142:143], v[4:5], -v[162:163]
	v_fmac_f64_e32 v[166:167], v[144:145], v[4:5]
	ds_load_b128 v[4:7], v2 offset:1008
	s_wait_loadcnt_dscnt 0xb01
	v_mul_f64_e32 v[168:169], v[154:155], v[10:11]
	v_mul_f64_e32 v[10:11], v[156:157], v[10:11]
	scratch_load_b128 v[142:145], off, off offset:400
	ds_load_b128 v[162:165], v2 offset:1024
	s_wait_loadcnt_dscnt 0xb01
	v_mul_f64_e32 v[172:173], v[4:5], v[14:15]
	v_mul_f64_e32 v[14:15], v[6:7], v[14:15]
	v_add_f64_e32 v[166:167], 0, v[166:167]
	v_fmac_f64_e32 v[168:169], v[156:157], v[8:9]
	v_fma_f64 v[154:155], v[154:155], v[8:9], -v[10:11]
	v_add_f64_e32 v[156:157], 0, v[170:171]
	scratch_load_b128 v[8:11], off, off offset:416
	v_fmac_f64_e32 v[172:173], v[6:7], v[12:13]
	v_fma_f64 v[174:175], v[4:5], v[12:13], -v[14:15]
	ds_load_b128 v[4:7], v2 offset:1040
	s_wait_loadcnt_dscnt 0xb01
	v_mul_f64_e32 v[170:171], v[162:163], v[18:19]
	v_mul_f64_e32 v[18:19], v[164:165], v[18:19]
	scratch_load_b128 v[12:15], off, off offset:432
	v_add_f64_e32 v[166:167], v[166:167], v[168:169]
	v_add_f64_e32 v[176:177], v[156:157], v[154:155]
	ds_load_b128 v[154:157], v2 offset:1056
	s_wait_loadcnt_dscnt 0xb01
	v_mul_f64_e32 v[168:169], v[4:5], v[22:23]
	v_mul_f64_e32 v[22:23], v[6:7], v[22:23]
	v_fmac_f64_e32 v[170:171], v[164:165], v[16:17]
	v_fma_f64 v[162:163], v[162:163], v[16:17], -v[18:19]
	scratch_load_b128 v[16:19], off, off offset:448
	v_add_f64_e32 v[166:167], v[166:167], v[172:173]
	v_add_f64_e32 v[164:165], v[176:177], v[174:175]
	v_fmac_f64_e32 v[168:169], v[6:7], v[20:21]
	v_fma_f64 v[174:175], v[4:5], v[20:21], -v[22:23]
	ds_load_b128 v[4:7], v2 offset:1072
	s_wait_loadcnt_dscnt 0xb01
	v_mul_f64_e32 v[172:173], v[154:155], v[124:125]
	v_mul_f64_e32 v[124:125], v[156:157], v[124:125]
	scratch_load_b128 v[20:23], off, off offset:464
	v_add_f64_e32 v[166:167], v[166:167], v[170:171]
	s_wait_loadcnt_dscnt 0xb00
	v_mul_f64_e32 v[170:171], v[4:5], v[128:129]
	v_add_f64_e32 v[176:177], v[164:165], v[162:163]
	v_mul_f64_e32 v[128:129], v[6:7], v[128:129]
	ds_load_b128 v[162:165], v2 offset:1088
	v_fmac_f64_e32 v[172:173], v[156:157], v[122:123]
	v_fma_f64 v[154:155], v[154:155], v[122:123], -v[124:125]
	scratch_load_b128 v[122:125], off, off offset:480
	v_add_f64_e32 v[166:167], v[166:167], v[168:169]
	v_fmac_f64_e32 v[170:171], v[6:7], v[126:127]
	v_add_f64_e32 v[156:157], v[176:177], v[174:175]
	v_fma_f64 v[174:175], v[4:5], v[126:127], -v[128:129]
	ds_load_b128 v[4:7], v2 offset:1104
	s_wait_loadcnt_dscnt 0xb01
	v_mul_f64_e32 v[168:169], v[162:163], v[132:133]
	v_mul_f64_e32 v[132:133], v[164:165], v[132:133]
	scratch_load_b128 v[126:129], off, off offset:496
	v_add_f64_e32 v[166:167], v[166:167], v[172:173]
	s_wait_loadcnt_dscnt 0xb00
	v_mul_f64_e32 v[172:173], v[4:5], v[136:137]
	v_add_f64_e32 v[176:177], v[156:157], v[154:155]
	v_mul_f64_e32 v[136:137], v[6:7], v[136:137]
	ds_load_b128 v[154:157], v2 offset:1120
	v_fmac_f64_e32 v[168:169], v[164:165], v[130:131]
	v_fma_f64 v[162:163], v[162:163], v[130:131], -v[132:133]
	scratch_load_b128 v[130:133], off, off offset:512
	v_add_f64_e32 v[166:167], v[166:167], v[170:171]
	v_fmac_f64_e32 v[172:173], v[6:7], v[134:135]
	v_add_f64_e32 v[164:165], v[176:177], v[174:175]
	;; [unrolled: 18-line block ×3, first 2 shown]
	v_fma_f64 v[174:175], v[4:5], v[146:147], -v[148:149]
	ds_load_b128 v[4:7], v2 offset:1168
	s_wait_loadcnt_dscnt 0xa01
	v_mul_f64_e32 v[172:173], v[162:163], v[160:161]
	v_mul_f64_e32 v[160:161], v[164:165], v[160:161]
	scratch_load_b128 v[146:149], off, off offset:560
	v_add_f64_e32 v[166:167], v[166:167], v[170:171]
	v_add_f64_e32 v[176:177], v[156:157], v[154:155]
	s_wait_loadcnt_dscnt 0xa00
	v_mul_f64_e32 v[170:171], v[4:5], v[144:145]
	v_mul_f64_e32 v[144:145], v[6:7], v[144:145]
	v_fmac_f64_e32 v[172:173], v[164:165], v[158:159]
	v_fma_f64 v[162:163], v[162:163], v[158:159], -v[160:161]
	ds_load_b128 v[154:157], v2 offset:1184
	scratch_load_b128 v[158:161], off, off offset:576
	v_add_f64_e32 v[166:167], v[166:167], v[168:169]
	v_add_f64_e32 v[164:165], v[176:177], v[174:175]
	v_fmac_f64_e32 v[170:171], v[6:7], v[142:143]
	v_fma_f64 v[174:175], v[4:5], v[142:143], -v[144:145]
	ds_load_b128 v[4:7], v2 offset:1200
	s_wait_loadcnt_dscnt 0xa01
	v_mul_f64_e32 v[168:169], v[154:155], v[10:11]
	v_mul_f64_e32 v[10:11], v[156:157], v[10:11]
	scratch_load_b128 v[142:145], off, off offset:592
	v_add_f64_e32 v[166:167], v[166:167], v[172:173]
	s_wait_loadcnt_dscnt 0xa00
	v_mul_f64_e32 v[172:173], v[4:5], v[14:15]
	v_add_f64_e32 v[176:177], v[164:165], v[162:163]
	v_mul_f64_e32 v[14:15], v[6:7], v[14:15]
	ds_load_b128 v[162:165], v2 offset:1216
	v_fmac_f64_e32 v[168:169], v[156:157], v[8:9]
	v_fma_f64 v[154:155], v[154:155], v[8:9], -v[10:11]
	scratch_load_b128 v[8:11], off, off offset:608
	v_add_f64_e32 v[166:167], v[166:167], v[170:171]
	v_fmac_f64_e32 v[172:173], v[6:7], v[12:13]
	v_add_f64_e32 v[156:157], v[176:177], v[174:175]
	v_fma_f64 v[174:175], v[4:5], v[12:13], -v[14:15]
	ds_load_b128 v[4:7], v2 offset:1232
	s_wait_loadcnt_dscnt 0xa01
	v_mul_f64_e32 v[170:171], v[162:163], v[18:19]
	v_mul_f64_e32 v[18:19], v[164:165], v[18:19]
	scratch_load_b128 v[12:15], off, off offset:624
	v_add_f64_e32 v[166:167], v[166:167], v[168:169]
	s_wait_loadcnt_dscnt 0xa00
	v_mul_f64_e32 v[168:169], v[4:5], v[22:23]
	v_add_f64_e32 v[176:177], v[156:157], v[154:155]
	v_mul_f64_e32 v[22:23], v[6:7], v[22:23]
	ds_load_b128 v[154:157], v2 offset:1248
	v_fmac_f64_e32 v[170:171], v[164:165], v[16:17]
	v_fma_f64 v[162:163], v[162:163], v[16:17], -v[18:19]
	scratch_load_b128 v[16:19], off, off offset:640
	v_add_f64_e32 v[166:167], v[166:167], v[172:173]
	v_fmac_f64_e32 v[168:169], v[6:7], v[20:21]
	v_add_f64_e32 v[164:165], v[176:177], v[174:175]
	;; [unrolled: 18-line block ×5, first 2 shown]
	v_fma_f64 v[174:175], v[4:5], v[146:147], -v[148:149]
	ds_load_b128 v[4:7], v2 offset:1360
	s_wait_loadcnt_dscnt 0xa01
	v_mul_f64_e32 v[172:173], v[162:163], v[160:161]
	v_mul_f64_e32 v[160:161], v[164:165], v[160:161]
	scratch_load_b128 v[146:149], off, off offset:752
	v_add_f64_e32 v[166:167], v[166:167], v[170:171]
	s_wait_loadcnt_dscnt 0xa00
	v_mul_f64_e32 v[170:171], v[4:5], v[144:145]
	v_add_f64_e32 v[176:177], v[156:157], v[154:155]
	v_mul_f64_e32 v[144:145], v[6:7], v[144:145]
	ds_load_b128 v[154:157], v2 offset:1376
	v_fmac_f64_e32 v[172:173], v[164:165], v[158:159]
	v_fma_f64 v[158:159], v[162:163], v[158:159], -v[160:161]
	s_wait_loadcnt_dscnt 0x900
	v_mul_f64_e32 v[164:165], v[154:155], v[10:11]
	v_mul_f64_e32 v[10:11], v[156:157], v[10:11]
	v_add_f64_e32 v[162:163], v[166:167], v[168:169]
	v_fmac_f64_e32 v[170:171], v[6:7], v[142:143]
	v_add_f64_e32 v[160:161], v[176:177], v[174:175]
	v_fma_f64 v[166:167], v[4:5], v[142:143], -v[144:145]
	ds_load_b128 v[4:7], v2 offset:1392
	ds_load_b128 v[142:145], v2 offset:1408
	v_fmac_f64_e32 v[164:165], v[156:157], v[8:9]
	v_fma_f64 v[8:9], v[154:155], v[8:9], -v[10:11]
	v_add_f64_e32 v[158:159], v[160:161], v[158:159]
	v_add_f64_e32 v[160:161], v[162:163], v[172:173]
	s_wait_loadcnt_dscnt 0x801
	v_mul_f64_e32 v[162:163], v[4:5], v[14:15]
	v_mul_f64_e32 v[14:15], v[6:7], v[14:15]
	s_wait_loadcnt_dscnt 0x700
	v_mul_f64_e32 v[156:157], v[142:143], v[18:19]
	v_mul_f64_e32 v[18:19], v[144:145], v[18:19]
	v_add_f64_e32 v[10:11], v[158:159], v[166:167]
	v_add_f64_e32 v[154:155], v[160:161], v[170:171]
	v_fmac_f64_e32 v[162:163], v[6:7], v[12:13]
	v_fma_f64 v[12:13], v[4:5], v[12:13], -v[14:15]
	v_fmac_f64_e32 v[156:157], v[144:145], v[16:17]
	v_fma_f64 v[16:17], v[142:143], v[16:17], -v[18:19]
	v_add_f64_e32 v[14:15], v[10:11], v[8:9]
	v_add_f64_e32 v[154:155], v[154:155], v[164:165]
	ds_load_b128 v[4:7], v2 offset:1424
	ds_load_b128 v[8:11], v2 offset:1440
	s_wait_loadcnt_dscnt 0x601
	v_mul_f64_e32 v[158:159], v[4:5], v[22:23]
	v_mul_f64_e32 v[22:23], v[6:7], v[22:23]
	s_wait_loadcnt_dscnt 0x500
	v_mul_f64_e32 v[18:19], v[8:9], v[124:125]
	v_mul_f64_e32 v[124:125], v[10:11], v[124:125]
	v_add_f64_e32 v[12:13], v[14:15], v[12:13]
	v_add_f64_e32 v[14:15], v[154:155], v[162:163]
	v_fmac_f64_e32 v[158:159], v[6:7], v[20:21]
	v_fma_f64 v[20:21], v[4:5], v[20:21], -v[22:23]
	v_fmac_f64_e32 v[18:19], v[10:11], v[122:123]
	v_fma_f64 v[8:9], v[8:9], v[122:123], -v[124:125]
	v_add_f64_e32 v[16:17], v[12:13], v[16:17]
	v_add_f64_e32 v[22:23], v[14:15], v[156:157]
	ds_load_b128 v[4:7], v2 offset:1456
	ds_load_b128 v[12:15], v2 offset:1472
	s_wait_loadcnt_dscnt 0x401
	v_mul_f64_e32 v[142:143], v[4:5], v[128:129]
	v_mul_f64_e32 v[128:129], v[6:7], v[128:129]
	v_add_f64_e32 v[10:11], v[16:17], v[20:21]
	v_add_f64_e32 v[16:17], v[22:23], v[158:159]
	s_wait_loadcnt_dscnt 0x300
	v_mul_f64_e32 v[20:21], v[12:13], v[132:133]
	v_mul_f64_e32 v[22:23], v[14:15], v[132:133]
	v_fmac_f64_e32 v[142:143], v[6:7], v[126:127]
	v_fma_f64 v[122:123], v[4:5], v[126:127], -v[128:129]
	v_add_f64_e32 v[124:125], v[10:11], v[8:9]
	v_add_f64_e32 v[16:17], v[16:17], v[18:19]
	ds_load_b128 v[4:7], v2 offset:1488
	ds_load_b128 v[8:11], v2 offset:1504
	v_fmac_f64_e32 v[20:21], v[14:15], v[130:131]
	v_fma_f64 v[12:13], v[12:13], v[130:131], -v[22:23]
	s_wait_loadcnt_dscnt 0x201
	v_mul_f64_e32 v[18:19], v[4:5], v[136:137]
	v_mul_f64_e32 v[126:127], v[6:7], v[136:137]
	s_wait_loadcnt_dscnt 0x100
	v_mul_f64_e32 v[22:23], v[8:9], v[140:141]
	v_add_f64_e32 v[14:15], v[124:125], v[122:123]
	v_add_f64_e32 v[16:17], v[16:17], v[142:143]
	v_mul_f64_e32 v[122:123], v[10:11], v[140:141]
	v_fmac_f64_e32 v[18:19], v[6:7], v[134:135]
	v_fma_f64 v[124:125], v[4:5], v[134:135], -v[126:127]
	ds_load_b128 v[4:7], v2 offset:1520
	v_fmac_f64_e32 v[22:23], v[10:11], v[138:139]
	v_add_f64_e32 v[12:13], v[14:15], v[12:13]
	v_add_f64_e32 v[14:15], v[16:17], v[20:21]
	v_fma_f64 v[8:9], v[8:9], v[138:139], -v[122:123]
	s_wait_loadcnt_dscnt 0x0
	v_mul_f64_e32 v[16:17], v[4:5], v[148:149]
	v_mul_f64_e32 v[20:21], v[6:7], v[148:149]
	v_add_f64_e32 v[10:11], v[12:13], v[124:125]
	v_add_f64_e32 v[12:13], v[14:15], v[18:19]
	s_delay_alu instid0(VALU_DEP_4) | instskip(NEXT) | instid1(VALU_DEP_4)
	v_fmac_f64_e32 v[16:17], v[6:7], v[146:147]
	v_fma_f64 v[4:5], v[4:5], v[146:147], -v[20:21]
	s_delay_alu instid0(VALU_DEP_4) | instskip(NEXT) | instid1(VALU_DEP_4)
	v_add_f64_e32 v[6:7], v[10:11], v[8:9]
	v_add_f64_e32 v[8:9], v[12:13], v[22:23]
	s_delay_alu instid0(VALU_DEP_2) | instskip(NEXT) | instid1(VALU_DEP_2)
	v_add_f64_e32 v[4:5], v[6:7], v[4:5]
	v_add_f64_e32 v[6:7], v[8:9], v[16:17]
	s_delay_alu instid0(VALU_DEP_2) | instskip(NEXT) | instid1(VALU_DEP_2)
	v_add_f64_e64 v[4:5], v[150:151], -v[4:5]
	v_add_f64_e64 v[6:7], v[152:153], -v[6:7]
	scratch_store_b128 off, v[4:7], off offset:192
	s_wait_xcnt 0x0
	v_cmpx_lt_u32_e32 11, v1
	s_cbranch_execz .LBB47_279
; %bb.278:
	scratch_load_b128 v[6:9], off, s55
	v_dual_mov_b32 v3, v2 :: v_dual_mov_b32 v4, v2
	v_mov_b32_e32 v5, v2
	scratch_store_b128 off, v[2:5], off offset:176
	s_wait_loadcnt 0x0
	ds_store_b128 v120, v[6:9]
.LBB47_279:
	s_wait_xcnt 0x0
	s_or_b32 exec_lo, exec_lo, s2
	s_wait_storecnt_dscnt 0x0
	s_barrier_signal -1
	s_barrier_wait -1
	s_clause 0x9
	scratch_load_b128 v[4:7], off, off offset:192
	scratch_load_b128 v[8:11], off, off offset:208
	;; [unrolled: 1-line block ×10, first 2 shown]
	ds_load_b128 v[142:145], v2 offset:960
	ds_load_b128 v[150:153], v2 offset:976
	s_clause 0x2
	scratch_load_b128 v[146:149], off, off offset:352
	scratch_load_b128 v[154:157], off, off offset:176
	;; [unrolled: 1-line block ×3, first 2 shown]
	s_mov_b32 s2, exec_lo
	s_wait_loadcnt_dscnt 0xc01
	v_mul_f64_e32 v[162:163], v[144:145], v[6:7]
	v_mul_f64_e32 v[166:167], v[142:143], v[6:7]
	s_wait_loadcnt_dscnt 0xb00
	v_mul_f64_e32 v[168:169], v[150:151], v[10:11]
	v_mul_f64_e32 v[10:11], v[152:153], v[10:11]
	s_delay_alu instid0(VALU_DEP_4) | instskip(NEXT) | instid1(VALU_DEP_4)
	v_fma_f64 v[170:171], v[142:143], v[4:5], -v[162:163]
	v_fmac_f64_e32 v[166:167], v[144:145], v[4:5]
	ds_load_b128 v[4:7], v2 offset:992
	ds_load_b128 v[142:145], v2 offset:1008
	scratch_load_b128 v[162:165], off, off offset:384
	v_fmac_f64_e32 v[168:169], v[152:153], v[8:9]
	v_fma_f64 v[150:151], v[150:151], v[8:9], -v[10:11]
	scratch_load_b128 v[8:11], off, off offset:400
	s_wait_loadcnt_dscnt 0xc01
	v_mul_f64_e32 v[172:173], v[4:5], v[14:15]
	v_mul_f64_e32 v[14:15], v[6:7], v[14:15]
	v_add_f64_e32 v[152:153], 0, v[170:171]
	v_add_f64_e32 v[166:167], 0, v[166:167]
	s_wait_loadcnt_dscnt 0xb00
	v_mul_f64_e32 v[170:171], v[142:143], v[18:19]
	v_mul_f64_e32 v[18:19], v[144:145], v[18:19]
	v_fmac_f64_e32 v[172:173], v[6:7], v[12:13]
	v_fma_f64 v[174:175], v[4:5], v[12:13], -v[14:15]
	ds_load_b128 v[4:7], v2 offset:1024
	ds_load_b128 v[12:15], v2 offset:1040
	v_add_f64_e32 v[176:177], v[152:153], v[150:151]
	v_add_f64_e32 v[166:167], v[166:167], v[168:169]
	scratch_load_b128 v[150:153], off, off offset:416
	v_fmac_f64_e32 v[170:171], v[144:145], v[16:17]
	v_fma_f64 v[142:143], v[142:143], v[16:17], -v[18:19]
	scratch_load_b128 v[16:19], off, off offset:432
	s_wait_loadcnt_dscnt 0xc01
	v_mul_f64_e32 v[168:169], v[4:5], v[22:23]
	v_mul_f64_e32 v[22:23], v[6:7], v[22:23]
	v_add_f64_e32 v[144:145], v[176:177], v[174:175]
	v_add_f64_e32 v[166:167], v[166:167], v[172:173]
	s_wait_loadcnt_dscnt 0xb00
	v_mul_f64_e32 v[172:173], v[12:13], v[124:125]
	v_mul_f64_e32 v[124:125], v[14:15], v[124:125]
	v_fmac_f64_e32 v[168:169], v[6:7], v[20:21]
	v_fma_f64 v[174:175], v[4:5], v[20:21], -v[22:23]
	ds_load_b128 v[4:7], v2 offset:1056
	ds_load_b128 v[20:23], v2 offset:1072
	v_add_f64_e32 v[176:177], v[144:145], v[142:143]
	v_add_f64_e32 v[166:167], v[166:167], v[170:171]
	scratch_load_b128 v[142:145], off, off offset:448
	s_wait_loadcnt_dscnt 0xb01
	v_mul_f64_e32 v[170:171], v[4:5], v[128:129]
	v_mul_f64_e32 v[128:129], v[6:7], v[128:129]
	v_fmac_f64_e32 v[172:173], v[14:15], v[122:123]
	v_fma_f64 v[122:123], v[12:13], v[122:123], -v[124:125]
	scratch_load_b128 v[12:15], off, off offset:464
	v_add_f64_e32 v[124:125], v[176:177], v[174:175]
	v_add_f64_e32 v[166:167], v[166:167], v[168:169]
	s_wait_loadcnt_dscnt 0xb00
	v_mul_f64_e32 v[168:169], v[20:21], v[132:133]
	v_mul_f64_e32 v[132:133], v[22:23], v[132:133]
	v_fmac_f64_e32 v[170:171], v[6:7], v[126:127]
	v_fma_f64 v[174:175], v[4:5], v[126:127], -v[128:129]
	v_add_f64_e32 v[176:177], v[124:125], v[122:123]
	v_add_f64_e32 v[166:167], v[166:167], v[172:173]
	ds_load_b128 v[4:7], v2 offset:1088
	ds_load_b128 v[122:125], v2 offset:1104
	scratch_load_b128 v[126:129], off, off offset:480
	v_fmac_f64_e32 v[168:169], v[22:23], v[130:131]
	v_fma_f64 v[130:131], v[20:21], v[130:131], -v[132:133]
	scratch_load_b128 v[20:23], off, off offset:496
	s_wait_loadcnt_dscnt 0xc01
	v_mul_f64_e32 v[172:173], v[4:5], v[136:137]
	v_mul_f64_e32 v[136:137], v[6:7], v[136:137]
	v_add_f64_e32 v[132:133], v[176:177], v[174:175]
	v_add_f64_e32 v[166:167], v[166:167], v[170:171]
	s_wait_loadcnt_dscnt 0xb00
	v_mul_f64_e32 v[170:171], v[122:123], v[140:141]
	v_mul_f64_e32 v[140:141], v[124:125], v[140:141]
	v_fmac_f64_e32 v[172:173], v[6:7], v[134:135]
	v_fma_f64 v[174:175], v[4:5], v[134:135], -v[136:137]
	v_add_f64_e32 v[176:177], v[132:133], v[130:131]
	v_add_f64_e32 v[166:167], v[166:167], v[168:169]
	ds_load_b128 v[4:7], v2 offset:1120
	ds_load_b128 v[130:133], v2 offset:1136
	scratch_load_b128 v[134:137], off, off offset:512
	v_fmac_f64_e32 v[170:171], v[124:125], v[138:139]
	v_fma_f64 v[138:139], v[122:123], v[138:139], -v[140:141]
	scratch_load_b128 v[122:125], off, off offset:528
	s_wait_loadcnt_dscnt 0xc01
	v_mul_f64_e32 v[168:169], v[4:5], v[148:149]
	v_mul_f64_e32 v[148:149], v[6:7], v[148:149]
	;; [unrolled: 18-line block ×5, first 2 shown]
	v_add_f64_e32 v[160:161], v[176:177], v[174:175]
	v_add_f64_e32 v[166:167], v[166:167], v[172:173]
	s_wait_loadcnt_dscnt 0xa00
	v_mul_f64_e32 v[172:173], v[138:139], v[14:15]
	v_mul_f64_e32 v[14:15], v[140:141], v[14:15]
	v_fmac_f64_e32 v[168:169], v[6:7], v[142:143]
	v_fma_f64 v[174:175], v[4:5], v[142:143], -v[144:145]
	ds_load_b128 v[4:7], v2 offset:1248
	ds_load_b128 v[142:145], v2 offset:1264
	v_add_f64_e32 v[176:177], v[160:161], v[158:159]
	v_add_f64_e32 v[166:167], v[166:167], v[170:171]
	scratch_load_b128 v[158:161], off, off offset:640
	v_fmac_f64_e32 v[172:173], v[140:141], v[12:13]
	v_fma_f64 v[138:139], v[138:139], v[12:13], -v[14:15]
	scratch_load_b128 v[12:15], off, off offset:656
	s_wait_loadcnt_dscnt 0xb01
	v_mul_f64_e32 v[170:171], v[4:5], v[128:129]
	v_mul_f64_e32 v[128:129], v[6:7], v[128:129]
	v_add_f64_e32 v[140:141], v[176:177], v[174:175]
	v_add_f64_e32 v[166:167], v[166:167], v[168:169]
	s_wait_loadcnt_dscnt 0xa00
	v_mul_f64_e32 v[168:169], v[142:143], v[22:23]
	v_mul_f64_e32 v[22:23], v[144:145], v[22:23]
	v_fmac_f64_e32 v[170:171], v[6:7], v[126:127]
	v_fma_f64 v[174:175], v[4:5], v[126:127], -v[128:129]
	ds_load_b128 v[4:7], v2 offset:1280
	ds_load_b128 v[126:129], v2 offset:1296
	v_add_f64_e32 v[176:177], v[140:141], v[138:139]
	v_add_f64_e32 v[166:167], v[166:167], v[172:173]
	scratch_load_b128 v[138:141], off, off offset:672
	s_wait_loadcnt_dscnt 0xa01
	v_mul_f64_e32 v[172:173], v[4:5], v[136:137]
	v_mul_f64_e32 v[136:137], v[6:7], v[136:137]
	v_fmac_f64_e32 v[168:169], v[144:145], v[20:21]
	v_fma_f64 v[142:143], v[142:143], v[20:21], -v[22:23]
	scratch_load_b128 v[20:23], off, off offset:688
	v_add_f64_e32 v[144:145], v[176:177], v[174:175]
	v_add_f64_e32 v[166:167], v[166:167], v[170:171]
	s_wait_loadcnt_dscnt 0xa00
	v_mul_f64_e32 v[170:171], v[126:127], v[124:125]
	v_mul_f64_e32 v[124:125], v[128:129], v[124:125]
	v_fmac_f64_e32 v[172:173], v[6:7], v[134:135]
	v_fma_f64 v[174:175], v[4:5], v[134:135], -v[136:137]
	ds_load_b128 v[4:7], v2 offset:1312
	ds_load_b128 v[134:137], v2 offset:1328
	v_add_f64_e32 v[176:177], v[144:145], v[142:143]
	v_add_f64_e32 v[166:167], v[166:167], v[168:169]
	scratch_load_b128 v[142:145], off, off offset:704
	s_wait_loadcnt_dscnt 0xa01
	v_mul_f64_e32 v[168:169], v[4:5], v[148:149]
	v_mul_f64_e32 v[148:149], v[6:7], v[148:149]
	v_fmac_f64_e32 v[170:171], v[128:129], v[122:123]
	v_fma_f64 v[126:127], v[126:127], v[122:123], -v[124:125]
	scratch_load_b128 v[122:125], off, off offset:720
	v_add_f64_e32 v[128:129], v[176:177], v[174:175]
	v_add_f64_e32 v[166:167], v[166:167], v[172:173]
	s_wait_loadcnt_dscnt 0xa00
	v_mul_f64_e32 v[172:173], v[134:135], v[132:133]
	v_mul_f64_e32 v[132:133], v[136:137], v[132:133]
	v_fmac_f64_e32 v[168:169], v[6:7], v[146:147]
	v_fma_f64 v[174:175], v[4:5], v[146:147], -v[148:149]
	v_add_f64_e32 v[176:177], v[128:129], v[126:127]
	v_add_f64_e32 v[166:167], v[166:167], v[170:171]
	ds_load_b128 v[4:7], v2 offset:1344
	ds_load_b128 v[126:129], v2 offset:1360
	scratch_load_b128 v[146:149], off, off offset:736
	v_fmac_f64_e32 v[172:173], v[136:137], v[130:131]
	v_fma_f64 v[134:135], v[134:135], v[130:131], -v[132:133]
	scratch_load_b128 v[130:133], off, off offset:752
	s_wait_loadcnt_dscnt 0xb01
	v_mul_f64_e32 v[170:171], v[4:5], v[164:165]
	v_mul_f64_e32 v[164:165], v[6:7], v[164:165]
	v_add_f64_e32 v[136:137], v[176:177], v[174:175]
	v_add_f64_e32 v[166:167], v[166:167], v[168:169]
	s_wait_loadcnt_dscnt 0xa00
	v_mul_f64_e32 v[168:169], v[126:127], v[10:11]
	v_mul_f64_e32 v[10:11], v[128:129], v[10:11]
	v_fmac_f64_e32 v[170:171], v[6:7], v[162:163]
	v_fma_f64 v[162:163], v[4:5], v[162:163], -v[164:165]
	v_add_f64_e32 v[164:165], v[136:137], v[134:135]
	v_add_f64_e32 v[166:167], v[166:167], v[172:173]
	ds_load_b128 v[4:7], v2 offset:1376
	ds_load_b128 v[134:137], v2 offset:1392
	v_fmac_f64_e32 v[168:169], v[128:129], v[8:9]
	v_fma_f64 v[8:9], v[126:127], v[8:9], -v[10:11]
	s_wait_loadcnt_dscnt 0x901
	v_mul_f64_e32 v[172:173], v[4:5], v[152:153]
	v_mul_f64_e32 v[152:153], v[6:7], v[152:153]
	s_wait_loadcnt_dscnt 0x800
	v_mul_f64_e32 v[128:129], v[134:135], v[18:19]
	v_mul_f64_e32 v[18:19], v[136:137], v[18:19]
	v_add_f64_e32 v[10:11], v[164:165], v[162:163]
	v_add_f64_e32 v[126:127], v[166:167], v[170:171]
	v_fmac_f64_e32 v[172:173], v[6:7], v[150:151]
	v_fma_f64 v[150:151], v[4:5], v[150:151], -v[152:153]
	v_fmac_f64_e32 v[128:129], v[136:137], v[16:17]
	v_fma_f64 v[16:17], v[134:135], v[16:17], -v[18:19]
	v_add_f64_e32 v[152:153], v[10:11], v[8:9]
	v_add_f64_e32 v[126:127], v[126:127], v[168:169]
	ds_load_b128 v[4:7], v2 offset:1408
	ds_load_b128 v[8:11], v2 offset:1424
	s_wait_loadcnt_dscnt 0x701
	v_mul_f64_e32 v[162:163], v[4:5], v[160:161]
	v_mul_f64_e32 v[160:161], v[6:7], v[160:161]
	s_wait_loadcnt_dscnt 0x600
	v_mul_f64_e32 v[134:135], v[8:9], v[14:15]
	v_mul_f64_e32 v[136:137], v[10:11], v[14:15]
	v_add_f64_e32 v[18:19], v[152:153], v[150:151]
	v_add_f64_e32 v[126:127], v[126:127], v[172:173]
	v_fmac_f64_e32 v[162:163], v[6:7], v[158:159]
	v_fma_f64 v[150:151], v[4:5], v[158:159], -v[160:161]
	v_fmac_f64_e32 v[134:135], v[10:11], v[12:13]
	v_fma_f64 v[8:9], v[8:9], v[12:13], -v[136:137]
	v_add_f64_e32 v[18:19], v[18:19], v[16:17]
	v_add_f64_e32 v[126:127], v[126:127], v[128:129]
	ds_load_b128 v[4:7], v2 offset:1440
	ds_load_b128 v[14:17], v2 offset:1456
	s_wait_loadcnt_dscnt 0x501
	v_mul_f64_e32 v[128:129], v[4:5], v[140:141]
	v_mul_f64_e32 v[140:141], v[6:7], v[140:141]
	v_add_f64_e32 v[10:11], v[18:19], v[150:151]
	v_add_f64_e32 v[12:13], v[126:127], v[162:163]
	s_wait_loadcnt_dscnt 0x400
	v_mul_f64_e32 v[18:19], v[14:15], v[22:23]
	v_mul_f64_e32 v[22:23], v[16:17], v[22:23]
	v_fmac_f64_e32 v[128:129], v[6:7], v[138:139]
	v_fma_f64 v[126:127], v[4:5], v[138:139], -v[140:141]
	v_add_f64_e32 v[136:137], v[10:11], v[8:9]
	v_add_f64_e32 v[12:13], v[12:13], v[134:135]
	ds_load_b128 v[4:7], v2 offset:1472
	ds_load_b128 v[8:11], v2 offset:1488
	v_fmac_f64_e32 v[18:19], v[16:17], v[20:21]
	v_fma_f64 v[14:15], v[14:15], v[20:21], -v[22:23]
	s_wait_loadcnt_dscnt 0x301
	v_mul_f64_e32 v[134:135], v[4:5], v[144:145]
	v_mul_f64_e32 v[138:139], v[6:7], v[144:145]
	s_wait_loadcnt_dscnt 0x200
	v_mul_f64_e32 v[20:21], v[8:9], v[124:125]
	v_mul_f64_e32 v[22:23], v[10:11], v[124:125]
	v_add_f64_e32 v[16:17], v[136:137], v[126:127]
	v_add_f64_e32 v[12:13], v[12:13], v[128:129]
	v_fmac_f64_e32 v[134:135], v[6:7], v[142:143]
	v_fma_f64 v[124:125], v[4:5], v[142:143], -v[138:139]
	v_fmac_f64_e32 v[20:21], v[10:11], v[122:123]
	v_fma_f64 v[8:9], v[8:9], v[122:123], -v[22:23]
	v_add_f64_e32 v[16:17], v[16:17], v[14:15]
	v_add_f64_e32 v[18:19], v[12:13], v[18:19]
	ds_load_b128 v[4:7], v2 offset:1504
	ds_load_b128 v[12:15], v2 offset:1520
	s_wait_loadcnt_dscnt 0x101
	v_mul_f64_e32 v[2:3], v[4:5], v[148:149]
	v_mul_f64_e32 v[126:127], v[6:7], v[148:149]
	s_wait_loadcnt_dscnt 0x0
	v_mul_f64_e32 v[22:23], v[14:15], v[132:133]
	v_add_f64_e32 v[10:11], v[16:17], v[124:125]
	v_add_f64_e32 v[16:17], v[18:19], v[134:135]
	v_mul_f64_e32 v[18:19], v[12:13], v[132:133]
	v_fmac_f64_e32 v[2:3], v[6:7], v[146:147]
	v_fma_f64 v[4:5], v[4:5], v[146:147], -v[126:127]
	v_add_f64_e32 v[6:7], v[10:11], v[8:9]
	v_add_f64_e32 v[8:9], v[16:17], v[20:21]
	v_fmac_f64_e32 v[18:19], v[14:15], v[130:131]
	v_fma_f64 v[10:11], v[12:13], v[130:131], -v[22:23]
	s_delay_alu instid0(VALU_DEP_4) | instskip(NEXT) | instid1(VALU_DEP_4)
	v_add_f64_e32 v[4:5], v[6:7], v[4:5]
	v_add_f64_e32 v[2:3], v[8:9], v[2:3]
	s_delay_alu instid0(VALU_DEP_2) | instskip(NEXT) | instid1(VALU_DEP_2)
	v_add_f64_e32 v[4:5], v[4:5], v[10:11]
	v_add_f64_e32 v[6:7], v[2:3], v[18:19]
	s_delay_alu instid0(VALU_DEP_2) | instskip(NEXT) | instid1(VALU_DEP_2)
	v_add_f64_e64 v[2:3], v[154:155], -v[4:5]
	v_add_f64_e64 v[4:5], v[156:157], -v[6:7]
	scratch_store_b128 off, v[2:5], off offset:176
	s_wait_xcnt 0x0
	v_cmpx_lt_u32_e32 10, v1
	s_cbranch_execz .LBB47_281
; %bb.280:
	scratch_load_b128 v[2:5], off, s52
	v_mov_b32_e32 v6, 0
	s_delay_alu instid0(VALU_DEP_1)
	v_dual_mov_b32 v7, v6 :: v_dual_mov_b32 v8, v6
	v_mov_b32_e32 v9, v6
	scratch_store_b128 off, v[6:9], off offset:160
	s_wait_loadcnt 0x0
	ds_store_b128 v120, v[2:5]
.LBB47_281:
	s_wait_xcnt 0x0
	s_or_b32 exec_lo, exec_lo, s2
	s_wait_storecnt_dscnt 0x0
	s_barrier_signal -1
	s_barrier_wait -1
	s_clause 0x9
	scratch_load_b128 v[4:7], off, off offset:176
	scratch_load_b128 v[8:11], off, off offset:192
	;; [unrolled: 1-line block ×10, first 2 shown]
	v_mov_b32_e32 v2, 0
	s_mov_b32 s2, exec_lo
	ds_load_b128 v[142:145], v2 offset:944
	s_clause 0x2
	scratch_load_b128 v[146:149], off, off offset:336
	scratch_load_b128 v[150:153], off, off offset:160
	;; [unrolled: 1-line block ×3, first 2 shown]
	s_wait_loadcnt_dscnt 0xc00
	v_mul_f64_e32 v[162:163], v[144:145], v[6:7]
	v_mul_f64_e32 v[166:167], v[142:143], v[6:7]
	ds_load_b128 v[154:157], v2 offset:960
	v_fma_f64 v[170:171], v[142:143], v[4:5], -v[162:163]
	v_fmac_f64_e32 v[166:167], v[144:145], v[4:5]
	ds_load_b128 v[4:7], v2 offset:976
	s_wait_loadcnt_dscnt 0xb01
	v_mul_f64_e32 v[168:169], v[154:155], v[10:11]
	v_mul_f64_e32 v[10:11], v[156:157], v[10:11]
	scratch_load_b128 v[142:145], off, off offset:368
	ds_load_b128 v[162:165], v2 offset:992
	s_wait_loadcnt_dscnt 0xb01
	v_mul_f64_e32 v[172:173], v[4:5], v[14:15]
	v_mul_f64_e32 v[14:15], v[6:7], v[14:15]
	v_add_f64_e32 v[166:167], 0, v[166:167]
	v_fmac_f64_e32 v[168:169], v[156:157], v[8:9]
	v_fma_f64 v[154:155], v[154:155], v[8:9], -v[10:11]
	v_add_f64_e32 v[156:157], 0, v[170:171]
	scratch_load_b128 v[8:11], off, off offset:384
	v_fmac_f64_e32 v[172:173], v[6:7], v[12:13]
	v_fma_f64 v[174:175], v[4:5], v[12:13], -v[14:15]
	ds_load_b128 v[4:7], v2 offset:1008
	s_wait_loadcnt_dscnt 0xb01
	v_mul_f64_e32 v[170:171], v[162:163], v[18:19]
	v_mul_f64_e32 v[18:19], v[164:165], v[18:19]
	scratch_load_b128 v[12:15], off, off offset:400
	v_add_f64_e32 v[166:167], v[166:167], v[168:169]
	v_add_f64_e32 v[176:177], v[156:157], v[154:155]
	ds_load_b128 v[154:157], v2 offset:1024
	s_wait_loadcnt_dscnt 0xb01
	v_mul_f64_e32 v[168:169], v[4:5], v[22:23]
	v_mul_f64_e32 v[22:23], v[6:7], v[22:23]
	v_fmac_f64_e32 v[170:171], v[164:165], v[16:17]
	v_fma_f64 v[162:163], v[162:163], v[16:17], -v[18:19]
	scratch_load_b128 v[16:19], off, off offset:416
	v_add_f64_e32 v[166:167], v[166:167], v[172:173]
	v_add_f64_e32 v[164:165], v[176:177], v[174:175]
	v_fmac_f64_e32 v[168:169], v[6:7], v[20:21]
	v_fma_f64 v[174:175], v[4:5], v[20:21], -v[22:23]
	ds_load_b128 v[4:7], v2 offset:1040
	s_wait_loadcnt_dscnt 0xb01
	v_mul_f64_e32 v[172:173], v[154:155], v[124:125]
	v_mul_f64_e32 v[124:125], v[156:157], v[124:125]
	scratch_load_b128 v[20:23], off, off offset:432
	v_add_f64_e32 v[166:167], v[166:167], v[170:171]
	s_wait_loadcnt_dscnt 0xb00
	v_mul_f64_e32 v[170:171], v[4:5], v[128:129]
	v_add_f64_e32 v[176:177], v[164:165], v[162:163]
	v_mul_f64_e32 v[128:129], v[6:7], v[128:129]
	ds_load_b128 v[162:165], v2 offset:1056
	v_fmac_f64_e32 v[172:173], v[156:157], v[122:123]
	v_fma_f64 v[154:155], v[154:155], v[122:123], -v[124:125]
	scratch_load_b128 v[122:125], off, off offset:448
	v_add_f64_e32 v[166:167], v[166:167], v[168:169]
	v_fmac_f64_e32 v[170:171], v[6:7], v[126:127]
	v_add_f64_e32 v[156:157], v[176:177], v[174:175]
	v_fma_f64 v[174:175], v[4:5], v[126:127], -v[128:129]
	ds_load_b128 v[4:7], v2 offset:1072
	s_wait_loadcnt_dscnt 0xb01
	v_mul_f64_e32 v[168:169], v[162:163], v[132:133]
	v_mul_f64_e32 v[132:133], v[164:165], v[132:133]
	scratch_load_b128 v[126:129], off, off offset:464
	v_add_f64_e32 v[166:167], v[166:167], v[172:173]
	s_wait_loadcnt_dscnt 0xb00
	v_mul_f64_e32 v[172:173], v[4:5], v[136:137]
	v_add_f64_e32 v[176:177], v[156:157], v[154:155]
	v_mul_f64_e32 v[136:137], v[6:7], v[136:137]
	ds_load_b128 v[154:157], v2 offset:1088
	v_fmac_f64_e32 v[168:169], v[164:165], v[130:131]
	v_fma_f64 v[162:163], v[162:163], v[130:131], -v[132:133]
	scratch_load_b128 v[130:133], off, off offset:480
	v_add_f64_e32 v[166:167], v[166:167], v[170:171]
	v_fmac_f64_e32 v[172:173], v[6:7], v[134:135]
	v_add_f64_e32 v[164:165], v[176:177], v[174:175]
	;; [unrolled: 18-line block ×3, first 2 shown]
	v_fma_f64 v[174:175], v[4:5], v[146:147], -v[148:149]
	ds_load_b128 v[4:7], v2 offset:1136
	s_wait_loadcnt_dscnt 0xa01
	v_mul_f64_e32 v[172:173], v[162:163], v[160:161]
	v_mul_f64_e32 v[160:161], v[164:165], v[160:161]
	scratch_load_b128 v[146:149], off, off offset:528
	v_add_f64_e32 v[166:167], v[166:167], v[170:171]
	v_add_f64_e32 v[176:177], v[156:157], v[154:155]
	s_wait_loadcnt_dscnt 0xa00
	v_mul_f64_e32 v[170:171], v[4:5], v[144:145]
	v_mul_f64_e32 v[144:145], v[6:7], v[144:145]
	v_fmac_f64_e32 v[172:173], v[164:165], v[158:159]
	v_fma_f64 v[162:163], v[162:163], v[158:159], -v[160:161]
	ds_load_b128 v[154:157], v2 offset:1152
	scratch_load_b128 v[158:161], off, off offset:544
	v_add_f64_e32 v[166:167], v[166:167], v[168:169]
	v_add_f64_e32 v[164:165], v[176:177], v[174:175]
	v_fmac_f64_e32 v[170:171], v[6:7], v[142:143]
	v_fma_f64 v[174:175], v[4:5], v[142:143], -v[144:145]
	ds_load_b128 v[4:7], v2 offset:1168
	s_wait_loadcnt_dscnt 0xa01
	v_mul_f64_e32 v[168:169], v[154:155], v[10:11]
	v_mul_f64_e32 v[10:11], v[156:157], v[10:11]
	scratch_load_b128 v[142:145], off, off offset:560
	v_add_f64_e32 v[166:167], v[166:167], v[172:173]
	s_wait_loadcnt_dscnt 0xa00
	v_mul_f64_e32 v[172:173], v[4:5], v[14:15]
	v_add_f64_e32 v[176:177], v[164:165], v[162:163]
	v_mul_f64_e32 v[14:15], v[6:7], v[14:15]
	ds_load_b128 v[162:165], v2 offset:1184
	v_fmac_f64_e32 v[168:169], v[156:157], v[8:9]
	v_fma_f64 v[154:155], v[154:155], v[8:9], -v[10:11]
	scratch_load_b128 v[8:11], off, off offset:576
	v_add_f64_e32 v[166:167], v[166:167], v[170:171]
	v_fmac_f64_e32 v[172:173], v[6:7], v[12:13]
	v_add_f64_e32 v[156:157], v[176:177], v[174:175]
	v_fma_f64 v[174:175], v[4:5], v[12:13], -v[14:15]
	ds_load_b128 v[4:7], v2 offset:1200
	s_wait_loadcnt_dscnt 0xa01
	v_mul_f64_e32 v[170:171], v[162:163], v[18:19]
	v_mul_f64_e32 v[18:19], v[164:165], v[18:19]
	scratch_load_b128 v[12:15], off, off offset:592
	v_add_f64_e32 v[166:167], v[166:167], v[168:169]
	s_wait_loadcnt_dscnt 0xa00
	v_mul_f64_e32 v[168:169], v[4:5], v[22:23]
	v_add_f64_e32 v[176:177], v[156:157], v[154:155]
	v_mul_f64_e32 v[22:23], v[6:7], v[22:23]
	ds_load_b128 v[154:157], v2 offset:1216
	v_fmac_f64_e32 v[170:171], v[164:165], v[16:17]
	v_fma_f64 v[162:163], v[162:163], v[16:17], -v[18:19]
	scratch_load_b128 v[16:19], off, off offset:608
	v_add_f64_e32 v[166:167], v[166:167], v[172:173]
	v_fmac_f64_e32 v[168:169], v[6:7], v[20:21]
	v_add_f64_e32 v[164:165], v[176:177], v[174:175]
	;; [unrolled: 18-line block ×6, first 2 shown]
	v_fma_f64 v[174:175], v[4:5], v[142:143], -v[144:145]
	ds_load_b128 v[4:7], v2 offset:1360
	s_wait_loadcnt_dscnt 0xa01
	v_mul_f64_e32 v[168:169], v[154:155], v[10:11]
	v_mul_f64_e32 v[10:11], v[156:157], v[10:11]
	scratch_load_b128 v[142:145], off, off offset:752
	v_add_f64_e32 v[166:167], v[166:167], v[172:173]
	s_wait_loadcnt_dscnt 0xa00
	v_mul_f64_e32 v[172:173], v[4:5], v[14:15]
	v_add_f64_e32 v[176:177], v[164:165], v[162:163]
	v_mul_f64_e32 v[14:15], v[6:7], v[14:15]
	ds_load_b128 v[162:165], v2 offset:1376
	v_fmac_f64_e32 v[168:169], v[156:157], v[8:9]
	v_fma_f64 v[8:9], v[154:155], v[8:9], -v[10:11]
	s_wait_loadcnt_dscnt 0x900
	v_mul_f64_e32 v[156:157], v[162:163], v[18:19]
	v_mul_f64_e32 v[18:19], v[164:165], v[18:19]
	v_add_f64_e32 v[154:155], v[166:167], v[170:171]
	v_fmac_f64_e32 v[172:173], v[6:7], v[12:13]
	v_add_f64_e32 v[10:11], v[176:177], v[174:175]
	v_fma_f64 v[12:13], v[4:5], v[12:13], -v[14:15]
	v_fmac_f64_e32 v[156:157], v[164:165], v[16:17]
	v_fma_f64 v[16:17], v[162:163], v[16:17], -v[18:19]
	v_add_f64_e32 v[154:155], v[154:155], v[168:169]
	v_add_f64_e32 v[14:15], v[10:11], v[8:9]
	ds_load_b128 v[4:7], v2 offset:1392
	ds_load_b128 v[8:11], v2 offset:1408
	s_wait_loadcnt_dscnt 0x801
	v_mul_f64_e32 v[166:167], v[4:5], v[22:23]
	v_mul_f64_e32 v[22:23], v[6:7], v[22:23]
	s_wait_loadcnt_dscnt 0x700
	v_mul_f64_e32 v[18:19], v[8:9], v[124:125]
	v_mul_f64_e32 v[124:125], v[10:11], v[124:125]
	v_add_f64_e32 v[12:13], v[14:15], v[12:13]
	v_add_f64_e32 v[14:15], v[154:155], v[172:173]
	v_fmac_f64_e32 v[166:167], v[6:7], v[20:21]
	v_fma_f64 v[20:21], v[4:5], v[20:21], -v[22:23]
	v_fmac_f64_e32 v[18:19], v[10:11], v[122:123]
	v_fma_f64 v[8:9], v[8:9], v[122:123], -v[124:125]
	v_add_f64_e32 v[16:17], v[12:13], v[16:17]
	v_add_f64_e32 v[22:23], v[14:15], v[156:157]
	ds_load_b128 v[4:7], v2 offset:1424
	ds_load_b128 v[12:15], v2 offset:1440
	s_wait_loadcnt_dscnt 0x601
	v_mul_f64_e32 v[154:155], v[4:5], v[128:129]
	v_mul_f64_e32 v[128:129], v[6:7], v[128:129]
	v_add_f64_e32 v[10:11], v[16:17], v[20:21]
	v_add_f64_e32 v[16:17], v[22:23], v[166:167]
	s_wait_loadcnt_dscnt 0x500
	v_mul_f64_e32 v[20:21], v[12:13], v[132:133]
	v_mul_f64_e32 v[22:23], v[14:15], v[132:133]
	v_fmac_f64_e32 v[154:155], v[6:7], v[126:127]
	v_fma_f64 v[122:123], v[4:5], v[126:127], -v[128:129]
	v_add_f64_e32 v[124:125], v[10:11], v[8:9]
	v_add_f64_e32 v[16:17], v[16:17], v[18:19]
	ds_load_b128 v[4:7], v2 offset:1456
	ds_load_b128 v[8:11], v2 offset:1472
	v_fmac_f64_e32 v[20:21], v[14:15], v[130:131]
	v_fma_f64 v[12:13], v[12:13], v[130:131], -v[22:23]
	s_wait_loadcnt_dscnt 0x401
	v_mul_f64_e32 v[18:19], v[4:5], v[136:137]
	v_mul_f64_e32 v[126:127], v[6:7], v[136:137]
	s_wait_loadcnt_dscnt 0x300
	v_mul_f64_e32 v[22:23], v[8:9], v[140:141]
	v_add_f64_e32 v[14:15], v[124:125], v[122:123]
	v_add_f64_e32 v[16:17], v[16:17], v[154:155]
	v_mul_f64_e32 v[122:123], v[10:11], v[140:141]
	v_fmac_f64_e32 v[18:19], v[6:7], v[134:135]
	v_fma_f64 v[124:125], v[4:5], v[134:135], -v[126:127]
	v_fmac_f64_e32 v[22:23], v[10:11], v[138:139]
	v_add_f64_e32 v[126:127], v[14:15], v[12:13]
	v_add_f64_e32 v[16:17], v[16:17], v[20:21]
	ds_load_b128 v[4:7], v2 offset:1488
	ds_load_b128 v[12:15], v2 offset:1504
	v_fma_f64 v[8:9], v[8:9], v[138:139], -v[122:123]
	s_wait_loadcnt_dscnt 0x201
	v_mul_f64_e32 v[20:21], v[4:5], v[148:149]
	v_mul_f64_e32 v[128:129], v[6:7], v[148:149]
	s_wait_loadcnt_dscnt 0x100
	v_mul_f64_e32 v[122:123], v[14:15], v[160:161]
	v_add_f64_e32 v[10:11], v[126:127], v[124:125]
	v_add_f64_e32 v[16:17], v[16:17], v[18:19]
	v_mul_f64_e32 v[18:19], v[12:13], v[160:161]
	v_fmac_f64_e32 v[20:21], v[6:7], v[146:147]
	v_fma_f64 v[124:125], v[4:5], v[146:147], -v[128:129]
	ds_load_b128 v[4:7], v2 offset:1520
	v_fma_f64 v[12:13], v[12:13], v[158:159], -v[122:123]
	v_add_f64_e32 v[8:9], v[10:11], v[8:9]
	v_add_f64_e32 v[10:11], v[16:17], v[22:23]
	v_fmac_f64_e32 v[18:19], v[14:15], v[158:159]
	s_wait_loadcnt_dscnt 0x0
	v_mul_f64_e32 v[16:17], v[4:5], v[144:145]
	v_mul_f64_e32 v[22:23], v[6:7], v[144:145]
	v_add_f64_e32 v[8:9], v[8:9], v[124:125]
	v_add_f64_e32 v[10:11], v[10:11], v[20:21]
	s_delay_alu instid0(VALU_DEP_4) | instskip(NEXT) | instid1(VALU_DEP_4)
	v_fmac_f64_e32 v[16:17], v[6:7], v[142:143]
	v_fma_f64 v[4:5], v[4:5], v[142:143], -v[22:23]
	s_delay_alu instid0(VALU_DEP_4) | instskip(NEXT) | instid1(VALU_DEP_4)
	v_add_f64_e32 v[6:7], v[8:9], v[12:13]
	v_add_f64_e32 v[8:9], v[10:11], v[18:19]
	s_delay_alu instid0(VALU_DEP_2) | instskip(NEXT) | instid1(VALU_DEP_2)
	v_add_f64_e32 v[4:5], v[6:7], v[4:5]
	v_add_f64_e32 v[6:7], v[8:9], v[16:17]
	s_delay_alu instid0(VALU_DEP_2) | instskip(NEXT) | instid1(VALU_DEP_2)
	v_add_f64_e64 v[4:5], v[150:151], -v[4:5]
	v_add_f64_e64 v[6:7], v[152:153], -v[6:7]
	scratch_store_b128 off, v[4:7], off offset:160
	s_wait_xcnt 0x0
	v_cmpx_lt_u32_e32 9, v1
	s_cbranch_execz .LBB47_283
; %bb.282:
	scratch_load_b128 v[6:9], off, s50
	v_dual_mov_b32 v3, v2 :: v_dual_mov_b32 v4, v2
	v_mov_b32_e32 v5, v2
	scratch_store_b128 off, v[2:5], off offset:144
	s_wait_loadcnt 0x0
	ds_store_b128 v120, v[6:9]
.LBB47_283:
	s_wait_xcnt 0x0
	s_or_b32 exec_lo, exec_lo, s2
	s_wait_storecnt_dscnt 0x0
	s_barrier_signal -1
	s_barrier_wait -1
	s_clause 0x9
	scratch_load_b128 v[4:7], off, off offset:160
	scratch_load_b128 v[8:11], off, off offset:176
	;; [unrolled: 1-line block ×10, first 2 shown]
	ds_load_b128 v[142:145], v2 offset:928
	ds_load_b128 v[150:153], v2 offset:944
	s_clause 0x2
	scratch_load_b128 v[146:149], off, off offset:320
	scratch_load_b128 v[154:157], off, off offset:144
	;; [unrolled: 1-line block ×3, first 2 shown]
	s_mov_b32 s2, exec_lo
	s_wait_loadcnt_dscnt 0xc01
	v_mul_f64_e32 v[162:163], v[144:145], v[6:7]
	v_mul_f64_e32 v[166:167], v[142:143], v[6:7]
	s_wait_loadcnt_dscnt 0xb00
	v_mul_f64_e32 v[168:169], v[150:151], v[10:11]
	v_mul_f64_e32 v[10:11], v[152:153], v[10:11]
	s_delay_alu instid0(VALU_DEP_4) | instskip(NEXT) | instid1(VALU_DEP_4)
	v_fma_f64 v[170:171], v[142:143], v[4:5], -v[162:163]
	v_fmac_f64_e32 v[166:167], v[144:145], v[4:5]
	ds_load_b128 v[4:7], v2 offset:960
	ds_load_b128 v[142:145], v2 offset:976
	scratch_load_b128 v[162:165], off, off offset:352
	v_fmac_f64_e32 v[168:169], v[152:153], v[8:9]
	v_fma_f64 v[150:151], v[150:151], v[8:9], -v[10:11]
	scratch_load_b128 v[8:11], off, off offset:368
	s_wait_loadcnt_dscnt 0xc01
	v_mul_f64_e32 v[172:173], v[4:5], v[14:15]
	v_mul_f64_e32 v[14:15], v[6:7], v[14:15]
	v_add_f64_e32 v[152:153], 0, v[170:171]
	v_add_f64_e32 v[166:167], 0, v[166:167]
	s_wait_loadcnt_dscnt 0xb00
	v_mul_f64_e32 v[170:171], v[142:143], v[18:19]
	v_mul_f64_e32 v[18:19], v[144:145], v[18:19]
	v_fmac_f64_e32 v[172:173], v[6:7], v[12:13]
	v_fma_f64 v[174:175], v[4:5], v[12:13], -v[14:15]
	ds_load_b128 v[4:7], v2 offset:992
	ds_load_b128 v[12:15], v2 offset:1008
	v_add_f64_e32 v[176:177], v[152:153], v[150:151]
	v_add_f64_e32 v[166:167], v[166:167], v[168:169]
	scratch_load_b128 v[150:153], off, off offset:384
	v_fmac_f64_e32 v[170:171], v[144:145], v[16:17]
	v_fma_f64 v[142:143], v[142:143], v[16:17], -v[18:19]
	scratch_load_b128 v[16:19], off, off offset:400
	s_wait_loadcnt_dscnt 0xc01
	v_mul_f64_e32 v[168:169], v[4:5], v[22:23]
	v_mul_f64_e32 v[22:23], v[6:7], v[22:23]
	v_add_f64_e32 v[144:145], v[176:177], v[174:175]
	v_add_f64_e32 v[166:167], v[166:167], v[172:173]
	s_wait_loadcnt_dscnt 0xb00
	v_mul_f64_e32 v[172:173], v[12:13], v[124:125]
	v_mul_f64_e32 v[124:125], v[14:15], v[124:125]
	v_fmac_f64_e32 v[168:169], v[6:7], v[20:21]
	v_fma_f64 v[174:175], v[4:5], v[20:21], -v[22:23]
	ds_load_b128 v[4:7], v2 offset:1024
	ds_load_b128 v[20:23], v2 offset:1040
	v_add_f64_e32 v[176:177], v[144:145], v[142:143]
	v_add_f64_e32 v[166:167], v[166:167], v[170:171]
	scratch_load_b128 v[142:145], off, off offset:416
	s_wait_loadcnt_dscnt 0xb01
	v_mul_f64_e32 v[170:171], v[4:5], v[128:129]
	v_mul_f64_e32 v[128:129], v[6:7], v[128:129]
	v_fmac_f64_e32 v[172:173], v[14:15], v[122:123]
	v_fma_f64 v[122:123], v[12:13], v[122:123], -v[124:125]
	scratch_load_b128 v[12:15], off, off offset:432
	v_add_f64_e32 v[124:125], v[176:177], v[174:175]
	v_add_f64_e32 v[166:167], v[166:167], v[168:169]
	s_wait_loadcnt_dscnt 0xb00
	v_mul_f64_e32 v[168:169], v[20:21], v[132:133]
	v_mul_f64_e32 v[132:133], v[22:23], v[132:133]
	v_fmac_f64_e32 v[170:171], v[6:7], v[126:127]
	v_fma_f64 v[174:175], v[4:5], v[126:127], -v[128:129]
	v_add_f64_e32 v[176:177], v[124:125], v[122:123]
	v_add_f64_e32 v[166:167], v[166:167], v[172:173]
	ds_load_b128 v[4:7], v2 offset:1056
	ds_load_b128 v[122:125], v2 offset:1072
	scratch_load_b128 v[126:129], off, off offset:448
	v_fmac_f64_e32 v[168:169], v[22:23], v[130:131]
	v_fma_f64 v[130:131], v[20:21], v[130:131], -v[132:133]
	scratch_load_b128 v[20:23], off, off offset:464
	s_wait_loadcnt_dscnt 0xc01
	v_mul_f64_e32 v[172:173], v[4:5], v[136:137]
	v_mul_f64_e32 v[136:137], v[6:7], v[136:137]
	v_add_f64_e32 v[132:133], v[176:177], v[174:175]
	v_add_f64_e32 v[166:167], v[166:167], v[170:171]
	s_wait_loadcnt_dscnt 0xb00
	v_mul_f64_e32 v[170:171], v[122:123], v[140:141]
	v_mul_f64_e32 v[140:141], v[124:125], v[140:141]
	v_fmac_f64_e32 v[172:173], v[6:7], v[134:135]
	v_fma_f64 v[174:175], v[4:5], v[134:135], -v[136:137]
	v_add_f64_e32 v[176:177], v[132:133], v[130:131]
	v_add_f64_e32 v[166:167], v[166:167], v[168:169]
	ds_load_b128 v[4:7], v2 offset:1088
	ds_load_b128 v[130:133], v2 offset:1104
	scratch_load_b128 v[134:137], off, off offset:480
	v_fmac_f64_e32 v[170:171], v[124:125], v[138:139]
	v_fma_f64 v[138:139], v[122:123], v[138:139], -v[140:141]
	scratch_load_b128 v[122:125], off, off offset:496
	s_wait_loadcnt_dscnt 0xc01
	v_mul_f64_e32 v[168:169], v[4:5], v[148:149]
	v_mul_f64_e32 v[148:149], v[6:7], v[148:149]
	;; [unrolled: 18-line block ×5, first 2 shown]
	v_add_f64_e32 v[160:161], v[176:177], v[174:175]
	v_add_f64_e32 v[166:167], v[166:167], v[172:173]
	s_wait_loadcnt_dscnt 0xa00
	v_mul_f64_e32 v[172:173], v[138:139], v[14:15]
	v_mul_f64_e32 v[14:15], v[140:141], v[14:15]
	v_fmac_f64_e32 v[168:169], v[6:7], v[142:143]
	v_fma_f64 v[174:175], v[4:5], v[142:143], -v[144:145]
	ds_load_b128 v[4:7], v2 offset:1216
	ds_load_b128 v[142:145], v2 offset:1232
	v_add_f64_e32 v[176:177], v[160:161], v[158:159]
	v_add_f64_e32 v[166:167], v[166:167], v[170:171]
	scratch_load_b128 v[158:161], off, off offset:608
	v_fmac_f64_e32 v[172:173], v[140:141], v[12:13]
	v_fma_f64 v[138:139], v[138:139], v[12:13], -v[14:15]
	scratch_load_b128 v[12:15], off, off offset:624
	s_wait_loadcnt_dscnt 0xb01
	v_mul_f64_e32 v[170:171], v[4:5], v[128:129]
	v_mul_f64_e32 v[128:129], v[6:7], v[128:129]
	v_add_f64_e32 v[140:141], v[176:177], v[174:175]
	v_add_f64_e32 v[166:167], v[166:167], v[168:169]
	s_wait_loadcnt_dscnt 0xa00
	v_mul_f64_e32 v[168:169], v[142:143], v[22:23]
	v_mul_f64_e32 v[22:23], v[144:145], v[22:23]
	v_fmac_f64_e32 v[170:171], v[6:7], v[126:127]
	v_fma_f64 v[174:175], v[4:5], v[126:127], -v[128:129]
	ds_load_b128 v[4:7], v2 offset:1248
	ds_load_b128 v[126:129], v2 offset:1264
	v_add_f64_e32 v[176:177], v[140:141], v[138:139]
	v_add_f64_e32 v[166:167], v[166:167], v[172:173]
	scratch_load_b128 v[138:141], off, off offset:640
	s_wait_loadcnt_dscnt 0xa01
	v_mul_f64_e32 v[172:173], v[4:5], v[136:137]
	v_mul_f64_e32 v[136:137], v[6:7], v[136:137]
	v_fmac_f64_e32 v[168:169], v[144:145], v[20:21]
	v_fma_f64 v[142:143], v[142:143], v[20:21], -v[22:23]
	scratch_load_b128 v[20:23], off, off offset:656
	v_add_f64_e32 v[144:145], v[176:177], v[174:175]
	v_add_f64_e32 v[166:167], v[166:167], v[170:171]
	s_wait_loadcnt_dscnt 0xa00
	v_mul_f64_e32 v[170:171], v[126:127], v[124:125]
	v_mul_f64_e32 v[124:125], v[128:129], v[124:125]
	v_fmac_f64_e32 v[172:173], v[6:7], v[134:135]
	v_fma_f64 v[174:175], v[4:5], v[134:135], -v[136:137]
	ds_load_b128 v[4:7], v2 offset:1280
	ds_load_b128 v[134:137], v2 offset:1296
	v_add_f64_e32 v[176:177], v[144:145], v[142:143]
	v_add_f64_e32 v[166:167], v[166:167], v[168:169]
	scratch_load_b128 v[142:145], off, off offset:672
	s_wait_loadcnt_dscnt 0xa01
	v_mul_f64_e32 v[168:169], v[4:5], v[148:149]
	v_mul_f64_e32 v[148:149], v[6:7], v[148:149]
	v_fmac_f64_e32 v[170:171], v[128:129], v[122:123]
	v_fma_f64 v[126:127], v[126:127], v[122:123], -v[124:125]
	scratch_load_b128 v[122:125], off, off offset:688
	v_add_f64_e32 v[128:129], v[176:177], v[174:175]
	v_add_f64_e32 v[166:167], v[166:167], v[172:173]
	s_wait_loadcnt_dscnt 0xa00
	v_mul_f64_e32 v[172:173], v[134:135], v[132:133]
	v_mul_f64_e32 v[132:133], v[136:137], v[132:133]
	v_fmac_f64_e32 v[168:169], v[6:7], v[146:147]
	v_fma_f64 v[174:175], v[4:5], v[146:147], -v[148:149]
	v_add_f64_e32 v[176:177], v[128:129], v[126:127]
	v_add_f64_e32 v[166:167], v[166:167], v[170:171]
	ds_load_b128 v[4:7], v2 offset:1312
	ds_load_b128 v[126:129], v2 offset:1328
	scratch_load_b128 v[146:149], off, off offset:704
	v_fmac_f64_e32 v[172:173], v[136:137], v[130:131]
	v_fma_f64 v[134:135], v[134:135], v[130:131], -v[132:133]
	scratch_load_b128 v[130:133], off, off offset:720
	s_wait_loadcnt_dscnt 0xb01
	v_mul_f64_e32 v[170:171], v[4:5], v[164:165]
	v_mul_f64_e32 v[164:165], v[6:7], v[164:165]
	v_add_f64_e32 v[136:137], v[176:177], v[174:175]
	v_add_f64_e32 v[166:167], v[166:167], v[168:169]
	s_wait_loadcnt_dscnt 0xa00
	v_mul_f64_e32 v[168:169], v[126:127], v[10:11]
	v_mul_f64_e32 v[10:11], v[128:129], v[10:11]
	v_fmac_f64_e32 v[170:171], v[6:7], v[162:163]
	v_fma_f64 v[174:175], v[4:5], v[162:163], -v[164:165]
	v_add_f64_e32 v[176:177], v[136:137], v[134:135]
	v_add_f64_e32 v[166:167], v[166:167], v[172:173]
	ds_load_b128 v[4:7], v2 offset:1344
	ds_load_b128 v[134:137], v2 offset:1360
	scratch_load_b128 v[162:165], off, off offset:736
	v_fmac_f64_e32 v[168:169], v[128:129], v[8:9]
	v_fma_f64 v[126:127], v[126:127], v[8:9], -v[10:11]
	scratch_load_b128 v[8:11], off, off offset:752
	s_wait_loadcnt_dscnt 0xb01
	v_mul_f64_e32 v[172:173], v[4:5], v[152:153]
	v_mul_f64_e32 v[152:153], v[6:7], v[152:153]
	v_add_f64_e32 v[128:129], v[176:177], v[174:175]
	v_add_f64_e32 v[166:167], v[166:167], v[170:171]
	s_wait_loadcnt_dscnt 0xa00
	v_mul_f64_e32 v[170:171], v[134:135], v[18:19]
	v_mul_f64_e32 v[18:19], v[136:137], v[18:19]
	v_fmac_f64_e32 v[172:173], v[6:7], v[150:151]
	v_fma_f64 v[150:151], v[4:5], v[150:151], -v[152:153]
	v_add_f64_e32 v[152:153], v[128:129], v[126:127]
	v_add_f64_e32 v[166:167], v[166:167], v[168:169]
	ds_load_b128 v[4:7], v2 offset:1376
	ds_load_b128 v[126:129], v2 offset:1392
	v_fmac_f64_e32 v[170:171], v[136:137], v[16:17]
	v_fma_f64 v[16:17], v[134:135], v[16:17], -v[18:19]
	s_wait_loadcnt_dscnt 0x901
	v_mul_f64_e32 v[168:169], v[4:5], v[160:161]
	v_mul_f64_e32 v[160:161], v[6:7], v[160:161]
	s_wait_loadcnt_dscnt 0x800
	v_mul_f64_e32 v[136:137], v[126:127], v[14:15]
	v_add_f64_e32 v[18:19], v[152:153], v[150:151]
	v_add_f64_e32 v[134:135], v[166:167], v[172:173]
	v_mul_f64_e32 v[150:151], v[128:129], v[14:15]
	v_fmac_f64_e32 v[168:169], v[6:7], v[158:159]
	v_fma_f64 v[152:153], v[4:5], v[158:159], -v[160:161]
	v_fmac_f64_e32 v[136:137], v[128:129], v[12:13]
	v_add_f64_e32 v[18:19], v[18:19], v[16:17]
	v_add_f64_e32 v[134:135], v[134:135], v[170:171]
	ds_load_b128 v[4:7], v2 offset:1408
	ds_load_b128 v[14:17], v2 offset:1424
	v_fma_f64 v[12:13], v[126:127], v[12:13], -v[150:151]
	s_wait_loadcnt_dscnt 0x701
	v_mul_f64_e32 v[158:159], v[4:5], v[140:141]
	v_mul_f64_e32 v[140:141], v[6:7], v[140:141]
	v_add_f64_e32 v[18:19], v[18:19], v[152:153]
	v_add_f64_e32 v[126:127], v[134:135], v[168:169]
	s_wait_loadcnt_dscnt 0x600
	v_mul_f64_e32 v[134:135], v[14:15], v[22:23]
	v_mul_f64_e32 v[22:23], v[16:17], v[22:23]
	v_fmac_f64_e32 v[158:159], v[6:7], v[138:139]
	v_fma_f64 v[138:139], v[4:5], v[138:139], -v[140:141]
	v_add_f64_e32 v[12:13], v[18:19], v[12:13]
	v_add_f64_e32 v[18:19], v[126:127], v[136:137]
	ds_load_b128 v[4:7], v2 offset:1440
	ds_load_b128 v[126:129], v2 offset:1456
	v_fmac_f64_e32 v[134:135], v[16:17], v[20:21]
	v_fma_f64 v[14:15], v[14:15], v[20:21], -v[22:23]
	s_wait_loadcnt_dscnt 0x501
	v_mul_f64_e32 v[136:137], v[4:5], v[144:145]
	v_mul_f64_e32 v[140:141], v[6:7], v[144:145]
	s_wait_loadcnt_dscnt 0x400
	v_mul_f64_e32 v[20:21], v[128:129], v[124:125]
	v_add_f64_e32 v[12:13], v[12:13], v[138:139]
	v_add_f64_e32 v[16:17], v[18:19], v[158:159]
	v_mul_f64_e32 v[18:19], v[126:127], v[124:125]
	v_fmac_f64_e32 v[136:137], v[6:7], v[142:143]
	v_fma_f64 v[22:23], v[4:5], v[142:143], -v[140:141]
	v_fma_f64 v[20:21], v[126:127], v[122:123], -v[20:21]
	v_add_f64_e32 v[124:125], v[12:13], v[14:15]
	v_add_f64_e32 v[16:17], v[16:17], v[134:135]
	ds_load_b128 v[4:7], v2 offset:1472
	ds_load_b128 v[12:15], v2 offset:1488
	v_fmac_f64_e32 v[18:19], v[128:129], v[122:123]
	s_wait_loadcnt_dscnt 0x301
	v_mul_f64_e32 v[134:135], v[4:5], v[148:149]
	v_mul_f64_e32 v[138:139], v[6:7], v[148:149]
	s_wait_loadcnt_dscnt 0x200
	v_mul_f64_e32 v[122:123], v[12:13], v[132:133]
	v_add_f64_e32 v[22:23], v[124:125], v[22:23]
	v_add_f64_e32 v[16:17], v[16:17], v[136:137]
	v_mul_f64_e32 v[124:125], v[14:15], v[132:133]
	v_fmac_f64_e32 v[134:135], v[6:7], v[146:147]
	v_fma_f64 v[126:127], v[4:5], v[146:147], -v[138:139]
	v_fmac_f64_e32 v[122:123], v[14:15], v[130:131]
	v_add_f64_e32 v[20:21], v[22:23], v[20:21]
	v_add_f64_e32 v[22:23], v[16:17], v[18:19]
	ds_load_b128 v[4:7], v2 offset:1504
	ds_load_b128 v[16:19], v2 offset:1520
	v_fma_f64 v[12:13], v[12:13], v[130:131], -v[124:125]
	s_wait_loadcnt_dscnt 0x101
	v_mul_f64_e32 v[2:3], v[4:5], v[164:165]
	v_mul_f64_e32 v[128:129], v[6:7], v[164:165]
	v_add_f64_e32 v[14:15], v[20:21], v[126:127]
	v_add_f64_e32 v[20:21], v[22:23], v[134:135]
	s_wait_loadcnt_dscnt 0x0
	v_mul_f64_e32 v[22:23], v[16:17], v[10:11]
	v_mul_f64_e32 v[10:11], v[18:19], v[10:11]
	v_fmac_f64_e32 v[2:3], v[6:7], v[162:163]
	v_fma_f64 v[4:5], v[4:5], v[162:163], -v[128:129]
	v_add_f64_e32 v[6:7], v[14:15], v[12:13]
	v_add_f64_e32 v[12:13], v[20:21], v[122:123]
	v_fmac_f64_e32 v[22:23], v[18:19], v[8:9]
	v_fma_f64 v[8:9], v[16:17], v[8:9], -v[10:11]
	s_delay_alu instid0(VALU_DEP_4) | instskip(NEXT) | instid1(VALU_DEP_4)
	v_add_f64_e32 v[4:5], v[6:7], v[4:5]
	v_add_f64_e32 v[2:3], v[12:13], v[2:3]
	s_delay_alu instid0(VALU_DEP_2) | instskip(NEXT) | instid1(VALU_DEP_2)
	v_add_f64_e32 v[4:5], v[4:5], v[8:9]
	v_add_f64_e32 v[6:7], v[2:3], v[22:23]
	s_delay_alu instid0(VALU_DEP_2) | instskip(NEXT) | instid1(VALU_DEP_2)
	v_add_f64_e64 v[2:3], v[154:155], -v[4:5]
	v_add_f64_e64 v[4:5], v[156:157], -v[6:7]
	scratch_store_b128 off, v[2:5], off offset:144
	s_wait_xcnt 0x0
	v_cmpx_lt_u32_e32 8, v1
	s_cbranch_execz .LBB47_285
; %bb.284:
	scratch_load_b128 v[2:5], off, s49
	v_mov_b32_e32 v6, 0
	s_delay_alu instid0(VALU_DEP_1)
	v_dual_mov_b32 v7, v6 :: v_dual_mov_b32 v8, v6
	v_mov_b32_e32 v9, v6
	scratch_store_b128 off, v[6:9], off offset:128
	s_wait_loadcnt 0x0
	ds_store_b128 v120, v[2:5]
.LBB47_285:
	s_wait_xcnt 0x0
	s_or_b32 exec_lo, exec_lo, s2
	s_wait_storecnt_dscnt 0x0
	s_barrier_signal -1
	s_barrier_wait -1
	s_clause 0x9
	scratch_load_b128 v[4:7], off, off offset:144
	scratch_load_b128 v[8:11], off, off offset:160
	;; [unrolled: 1-line block ×10, first 2 shown]
	v_mov_b32_e32 v2, 0
	s_mov_b32 s2, exec_lo
	ds_load_b128 v[142:145], v2 offset:912
	s_clause 0x2
	scratch_load_b128 v[146:149], off, off offset:304
	scratch_load_b128 v[150:153], off, off offset:128
	;; [unrolled: 1-line block ×3, first 2 shown]
	s_wait_loadcnt_dscnt 0xc00
	v_mul_f64_e32 v[162:163], v[144:145], v[6:7]
	v_mul_f64_e32 v[166:167], v[142:143], v[6:7]
	ds_load_b128 v[154:157], v2 offset:928
	v_fma_f64 v[170:171], v[142:143], v[4:5], -v[162:163]
	v_fmac_f64_e32 v[166:167], v[144:145], v[4:5]
	ds_load_b128 v[4:7], v2 offset:944
	s_wait_loadcnt_dscnt 0xb01
	v_mul_f64_e32 v[168:169], v[154:155], v[10:11]
	v_mul_f64_e32 v[10:11], v[156:157], v[10:11]
	scratch_load_b128 v[142:145], off, off offset:336
	ds_load_b128 v[162:165], v2 offset:960
	s_wait_loadcnt_dscnt 0xb01
	v_mul_f64_e32 v[172:173], v[4:5], v[14:15]
	v_mul_f64_e32 v[14:15], v[6:7], v[14:15]
	v_add_f64_e32 v[166:167], 0, v[166:167]
	v_fmac_f64_e32 v[168:169], v[156:157], v[8:9]
	v_fma_f64 v[154:155], v[154:155], v[8:9], -v[10:11]
	v_add_f64_e32 v[156:157], 0, v[170:171]
	scratch_load_b128 v[8:11], off, off offset:352
	v_fmac_f64_e32 v[172:173], v[6:7], v[12:13]
	v_fma_f64 v[174:175], v[4:5], v[12:13], -v[14:15]
	ds_load_b128 v[4:7], v2 offset:976
	s_wait_loadcnt_dscnt 0xb01
	v_mul_f64_e32 v[170:171], v[162:163], v[18:19]
	v_mul_f64_e32 v[18:19], v[164:165], v[18:19]
	scratch_load_b128 v[12:15], off, off offset:368
	v_add_f64_e32 v[166:167], v[166:167], v[168:169]
	v_add_f64_e32 v[176:177], v[156:157], v[154:155]
	ds_load_b128 v[154:157], v2 offset:992
	s_wait_loadcnt_dscnt 0xb01
	v_mul_f64_e32 v[168:169], v[4:5], v[22:23]
	v_mul_f64_e32 v[22:23], v[6:7], v[22:23]
	v_fmac_f64_e32 v[170:171], v[164:165], v[16:17]
	v_fma_f64 v[162:163], v[162:163], v[16:17], -v[18:19]
	scratch_load_b128 v[16:19], off, off offset:384
	v_add_f64_e32 v[166:167], v[166:167], v[172:173]
	v_add_f64_e32 v[164:165], v[176:177], v[174:175]
	v_fmac_f64_e32 v[168:169], v[6:7], v[20:21]
	v_fma_f64 v[174:175], v[4:5], v[20:21], -v[22:23]
	ds_load_b128 v[4:7], v2 offset:1008
	s_wait_loadcnt_dscnt 0xb01
	v_mul_f64_e32 v[172:173], v[154:155], v[124:125]
	v_mul_f64_e32 v[124:125], v[156:157], v[124:125]
	scratch_load_b128 v[20:23], off, off offset:400
	v_add_f64_e32 v[166:167], v[166:167], v[170:171]
	s_wait_loadcnt_dscnt 0xb00
	v_mul_f64_e32 v[170:171], v[4:5], v[128:129]
	v_add_f64_e32 v[176:177], v[164:165], v[162:163]
	v_mul_f64_e32 v[128:129], v[6:7], v[128:129]
	ds_load_b128 v[162:165], v2 offset:1024
	v_fmac_f64_e32 v[172:173], v[156:157], v[122:123]
	v_fma_f64 v[154:155], v[154:155], v[122:123], -v[124:125]
	scratch_load_b128 v[122:125], off, off offset:416
	v_add_f64_e32 v[166:167], v[166:167], v[168:169]
	v_fmac_f64_e32 v[170:171], v[6:7], v[126:127]
	v_add_f64_e32 v[156:157], v[176:177], v[174:175]
	v_fma_f64 v[174:175], v[4:5], v[126:127], -v[128:129]
	ds_load_b128 v[4:7], v2 offset:1040
	s_wait_loadcnt_dscnt 0xb01
	v_mul_f64_e32 v[168:169], v[162:163], v[132:133]
	v_mul_f64_e32 v[132:133], v[164:165], v[132:133]
	scratch_load_b128 v[126:129], off, off offset:432
	v_add_f64_e32 v[166:167], v[166:167], v[172:173]
	s_wait_loadcnt_dscnt 0xb00
	v_mul_f64_e32 v[172:173], v[4:5], v[136:137]
	v_add_f64_e32 v[176:177], v[156:157], v[154:155]
	v_mul_f64_e32 v[136:137], v[6:7], v[136:137]
	ds_load_b128 v[154:157], v2 offset:1056
	v_fmac_f64_e32 v[168:169], v[164:165], v[130:131]
	v_fma_f64 v[162:163], v[162:163], v[130:131], -v[132:133]
	scratch_load_b128 v[130:133], off, off offset:448
	v_add_f64_e32 v[166:167], v[166:167], v[170:171]
	v_fmac_f64_e32 v[172:173], v[6:7], v[134:135]
	v_add_f64_e32 v[164:165], v[176:177], v[174:175]
	;; [unrolled: 18-line block ×3, first 2 shown]
	v_fma_f64 v[174:175], v[4:5], v[146:147], -v[148:149]
	ds_load_b128 v[4:7], v2 offset:1104
	s_wait_loadcnt_dscnt 0xa01
	v_mul_f64_e32 v[172:173], v[162:163], v[160:161]
	v_mul_f64_e32 v[160:161], v[164:165], v[160:161]
	scratch_load_b128 v[146:149], off, off offset:496
	v_add_f64_e32 v[166:167], v[166:167], v[170:171]
	v_add_f64_e32 v[176:177], v[156:157], v[154:155]
	s_wait_loadcnt_dscnt 0xa00
	v_mul_f64_e32 v[170:171], v[4:5], v[144:145]
	v_mul_f64_e32 v[144:145], v[6:7], v[144:145]
	v_fmac_f64_e32 v[172:173], v[164:165], v[158:159]
	v_fma_f64 v[162:163], v[162:163], v[158:159], -v[160:161]
	ds_load_b128 v[154:157], v2 offset:1120
	scratch_load_b128 v[158:161], off, off offset:512
	v_add_f64_e32 v[166:167], v[166:167], v[168:169]
	v_add_f64_e32 v[164:165], v[176:177], v[174:175]
	v_fmac_f64_e32 v[170:171], v[6:7], v[142:143]
	v_fma_f64 v[174:175], v[4:5], v[142:143], -v[144:145]
	ds_load_b128 v[4:7], v2 offset:1136
	s_wait_loadcnt_dscnt 0xa01
	v_mul_f64_e32 v[168:169], v[154:155], v[10:11]
	v_mul_f64_e32 v[10:11], v[156:157], v[10:11]
	scratch_load_b128 v[142:145], off, off offset:528
	v_add_f64_e32 v[166:167], v[166:167], v[172:173]
	s_wait_loadcnt_dscnt 0xa00
	v_mul_f64_e32 v[172:173], v[4:5], v[14:15]
	v_add_f64_e32 v[176:177], v[164:165], v[162:163]
	v_mul_f64_e32 v[14:15], v[6:7], v[14:15]
	ds_load_b128 v[162:165], v2 offset:1152
	v_fmac_f64_e32 v[168:169], v[156:157], v[8:9]
	v_fma_f64 v[154:155], v[154:155], v[8:9], -v[10:11]
	scratch_load_b128 v[8:11], off, off offset:544
	v_add_f64_e32 v[166:167], v[166:167], v[170:171]
	v_fmac_f64_e32 v[172:173], v[6:7], v[12:13]
	v_add_f64_e32 v[156:157], v[176:177], v[174:175]
	v_fma_f64 v[174:175], v[4:5], v[12:13], -v[14:15]
	ds_load_b128 v[4:7], v2 offset:1168
	s_wait_loadcnt_dscnt 0xa01
	v_mul_f64_e32 v[170:171], v[162:163], v[18:19]
	v_mul_f64_e32 v[18:19], v[164:165], v[18:19]
	scratch_load_b128 v[12:15], off, off offset:560
	v_add_f64_e32 v[166:167], v[166:167], v[168:169]
	s_wait_loadcnt_dscnt 0xa00
	v_mul_f64_e32 v[168:169], v[4:5], v[22:23]
	v_add_f64_e32 v[176:177], v[156:157], v[154:155]
	v_mul_f64_e32 v[22:23], v[6:7], v[22:23]
	ds_load_b128 v[154:157], v2 offset:1184
	v_fmac_f64_e32 v[170:171], v[164:165], v[16:17]
	v_fma_f64 v[162:163], v[162:163], v[16:17], -v[18:19]
	scratch_load_b128 v[16:19], off, off offset:576
	v_add_f64_e32 v[166:167], v[166:167], v[172:173]
	v_fmac_f64_e32 v[168:169], v[6:7], v[20:21]
	v_add_f64_e32 v[164:165], v[176:177], v[174:175]
	v_fma_f64 v[174:175], v[4:5], v[20:21], -v[22:23]
	ds_load_b128 v[4:7], v2 offset:1200
	s_wait_loadcnt_dscnt 0xa01
	v_mul_f64_e32 v[172:173], v[154:155], v[124:125]
	v_mul_f64_e32 v[124:125], v[156:157], v[124:125]
	scratch_load_b128 v[20:23], off, off offset:592
	v_add_f64_e32 v[166:167], v[166:167], v[170:171]
	s_wait_loadcnt_dscnt 0xa00
	v_mul_f64_e32 v[170:171], v[4:5], v[128:129]
	v_add_f64_e32 v[176:177], v[164:165], v[162:163]
	v_mul_f64_e32 v[128:129], v[6:7], v[128:129]
	ds_load_b128 v[162:165], v2 offset:1216
	v_fmac_f64_e32 v[172:173], v[156:157], v[122:123]
	v_fma_f64 v[154:155], v[154:155], v[122:123], -v[124:125]
	scratch_load_b128 v[122:125], off, off offset:608
	v_add_f64_e32 v[166:167], v[166:167], v[168:169]
	v_fmac_f64_e32 v[170:171], v[6:7], v[126:127]
	v_add_f64_e32 v[156:157], v[176:177], v[174:175]
	v_fma_f64 v[174:175], v[4:5], v[126:127], -v[128:129]
	ds_load_b128 v[4:7], v2 offset:1232
	s_wait_loadcnt_dscnt 0xa01
	v_mul_f64_e32 v[168:169], v[162:163], v[132:133]
	v_mul_f64_e32 v[132:133], v[164:165], v[132:133]
	scratch_load_b128 v[126:129], off, off offset:624
	v_add_f64_e32 v[166:167], v[166:167], v[172:173]
	s_wait_loadcnt_dscnt 0xa00
	v_mul_f64_e32 v[172:173], v[4:5], v[136:137]
	v_add_f64_e32 v[176:177], v[156:157], v[154:155]
	v_mul_f64_e32 v[136:137], v[6:7], v[136:137]
	ds_load_b128 v[154:157], v2 offset:1248
	v_fmac_f64_e32 v[168:169], v[164:165], v[130:131]
	v_fma_f64 v[162:163], v[162:163], v[130:131], -v[132:133]
	scratch_load_b128 v[130:133], off, off offset:640
	v_add_f64_e32 v[166:167], v[166:167], v[170:171]
	v_fmac_f64_e32 v[172:173], v[6:7], v[134:135]
	v_add_f64_e32 v[164:165], v[176:177], v[174:175]
	v_fma_f64 v[174:175], v[4:5], v[134:135], -v[136:137]
	ds_load_b128 v[4:7], v2 offset:1264
	s_wait_loadcnt_dscnt 0xa01
	v_mul_f64_e32 v[170:171], v[154:155], v[140:141]
	v_mul_f64_e32 v[140:141], v[156:157], v[140:141]
	scratch_load_b128 v[134:137], off, off offset:656
	v_add_f64_e32 v[166:167], v[166:167], v[168:169]
	s_wait_loadcnt_dscnt 0xa00
	v_mul_f64_e32 v[168:169], v[4:5], v[148:149]
	v_add_f64_e32 v[176:177], v[164:165], v[162:163]
	v_mul_f64_e32 v[148:149], v[6:7], v[148:149]
	ds_load_b128 v[162:165], v2 offset:1280
	v_fmac_f64_e32 v[170:171], v[156:157], v[138:139]
	v_fma_f64 v[154:155], v[154:155], v[138:139], -v[140:141]
	scratch_load_b128 v[138:141], off, off offset:672
	v_add_f64_e32 v[166:167], v[166:167], v[172:173]
	v_fmac_f64_e32 v[168:169], v[6:7], v[146:147]
	v_add_f64_e32 v[156:157], v[176:177], v[174:175]
	v_fma_f64 v[174:175], v[4:5], v[146:147], -v[148:149]
	ds_load_b128 v[4:7], v2 offset:1296
	s_wait_loadcnt_dscnt 0xa01
	v_mul_f64_e32 v[172:173], v[162:163], v[160:161]
	v_mul_f64_e32 v[160:161], v[164:165], v[160:161]
	scratch_load_b128 v[146:149], off, off offset:688
	v_add_f64_e32 v[166:167], v[166:167], v[170:171]
	s_wait_loadcnt_dscnt 0xa00
	v_mul_f64_e32 v[170:171], v[4:5], v[144:145]
	v_add_f64_e32 v[176:177], v[156:157], v[154:155]
	v_mul_f64_e32 v[144:145], v[6:7], v[144:145]
	ds_load_b128 v[154:157], v2 offset:1312
	v_fmac_f64_e32 v[172:173], v[164:165], v[158:159]
	v_fma_f64 v[162:163], v[162:163], v[158:159], -v[160:161]
	scratch_load_b128 v[158:161], off, off offset:704
	v_add_f64_e32 v[166:167], v[166:167], v[168:169]
	v_fmac_f64_e32 v[170:171], v[6:7], v[142:143]
	v_add_f64_e32 v[164:165], v[176:177], v[174:175]
	v_fma_f64 v[174:175], v[4:5], v[142:143], -v[144:145]
	ds_load_b128 v[4:7], v2 offset:1328
	s_wait_loadcnt_dscnt 0xa01
	v_mul_f64_e32 v[168:169], v[154:155], v[10:11]
	v_mul_f64_e32 v[10:11], v[156:157], v[10:11]
	scratch_load_b128 v[142:145], off, off offset:720
	v_add_f64_e32 v[166:167], v[166:167], v[172:173]
	s_wait_loadcnt_dscnt 0xa00
	v_mul_f64_e32 v[172:173], v[4:5], v[14:15]
	v_add_f64_e32 v[176:177], v[164:165], v[162:163]
	v_mul_f64_e32 v[14:15], v[6:7], v[14:15]
	ds_load_b128 v[162:165], v2 offset:1344
	v_fmac_f64_e32 v[168:169], v[156:157], v[8:9]
	v_fma_f64 v[154:155], v[154:155], v[8:9], -v[10:11]
	scratch_load_b128 v[8:11], off, off offset:736
	v_add_f64_e32 v[166:167], v[166:167], v[170:171]
	v_fmac_f64_e32 v[172:173], v[6:7], v[12:13]
	v_add_f64_e32 v[156:157], v[176:177], v[174:175]
	v_fma_f64 v[174:175], v[4:5], v[12:13], -v[14:15]
	ds_load_b128 v[4:7], v2 offset:1360
	s_wait_loadcnt_dscnt 0xa01
	v_mul_f64_e32 v[170:171], v[162:163], v[18:19]
	v_mul_f64_e32 v[18:19], v[164:165], v[18:19]
	scratch_load_b128 v[12:15], off, off offset:752
	v_add_f64_e32 v[166:167], v[166:167], v[168:169]
	s_wait_loadcnt_dscnt 0xa00
	v_mul_f64_e32 v[168:169], v[4:5], v[22:23]
	v_add_f64_e32 v[176:177], v[156:157], v[154:155]
	v_mul_f64_e32 v[22:23], v[6:7], v[22:23]
	ds_load_b128 v[154:157], v2 offset:1376
	v_fmac_f64_e32 v[170:171], v[164:165], v[16:17]
	v_fma_f64 v[16:17], v[162:163], v[16:17], -v[18:19]
	s_wait_loadcnt_dscnt 0x900
	v_mul_f64_e32 v[164:165], v[154:155], v[124:125]
	v_mul_f64_e32 v[124:125], v[156:157], v[124:125]
	v_add_f64_e32 v[162:163], v[166:167], v[172:173]
	v_fmac_f64_e32 v[168:169], v[6:7], v[20:21]
	v_add_f64_e32 v[18:19], v[176:177], v[174:175]
	v_fma_f64 v[20:21], v[4:5], v[20:21], -v[22:23]
	v_fmac_f64_e32 v[164:165], v[156:157], v[122:123]
	v_fma_f64 v[122:123], v[154:155], v[122:123], -v[124:125]
	v_add_f64_e32 v[162:163], v[162:163], v[170:171]
	v_add_f64_e32 v[22:23], v[18:19], v[16:17]
	ds_load_b128 v[4:7], v2 offset:1392
	ds_load_b128 v[16:19], v2 offset:1408
	s_wait_loadcnt_dscnt 0x801
	v_mul_f64_e32 v[166:167], v[4:5], v[128:129]
	v_mul_f64_e32 v[128:129], v[6:7], v[128:129]
	s_wait_loadcnt_dscnt 0x700
	v_mul_f64_e32 v[124:125], v[16:17], v[132:133]
	v_mul_f64_e32 v[132:133], v[18:19], v[132:133]
	v_add_f64_e32 v[20:21], v[22:23], v[20:21]
	v_add_f64_e32 v[22:23], v[162:163], v[168:169]
	v_fmac_f64_e32 v[166:167], v[6:7], v[126:127]
	v_fma_f64 v[126:127], v[4:5], v[126:127], -v[128:129]
	v_fmac_f64_e32 v[124:125], v[18:19], v[130:131]
	v_fma_f64 v[16:17], v[16:17], v[130:131], -v[132:133]
	v_add_f64_e32 v[122:123], v[20:21], v[122:123]
	v_add_f64_e32 v[128:129], v[22:23], v[164:165]
	ds_load_b128 v[4:7], v2 offset:1424
	ds_load_b128 v[20:23], v2 offset:1440
	s_wait_loadcnt_dscnt 0x601
	v_mul_f64_e32 v[154:155], v[4:5], v[136:137]
	v_mul_f64_e32 v[136:137], v[6:7], v[136:137]
	v_add_f64_e32 v[18:19], v[122:123], v[126:127]
	v_add_f64_e32 v[122:123], v[128:129], v[166:167]
	s_wait_loadcnt_dscnt 0x500
	v_mul_f64_e32 v[126:127], v[20:21], v[140:141]
	v_mul_f64_e32 v[128:129], v[22:23], v[140:141]
	v_fmac_f64_e32 v[154:155], v[6:7], v[134:135]
	v_fma_f64 v[130:131], v[4:5], v[134:135], -v[136:137]
	v_add_f64_e32 v[132:133], v[18:19], v[16:17]
	v_add_f64_e32 v[122:123], v[122:123], v[124:125]
	ds_load_b128 v[4:7], v2 offset:1456
	ds_load_b128 v[16:19], v2 offset:1472
	v_fmac_f64_e32 v[126:127], v[22:23], v[138:139]
	v_fma_f64 v[20:21], v[20:21], v[138:139], -v[128:129]
	s_wait_loadcnt_dscnt 0x401
	v_mul_f64_e32 v[124:125], v[4:5], v[148:149]
	v_mul_f64_e32 v[134:135], v[6:7], v[148:149]
	s_wait_loadcnt_dscnt 0x300
	v_mul_f64_e32 v[128:129], v[16:17], v[160:161]
	v_add_f64_e32 v[22:23], v[132:133], v[130:131]
	v_add_f64_e32 v[122:123], v[122:123], v[154:155]
	v_mul_f64_e32 v[130:131], v[18:19], v[160:161]
	v_fmac_f64_e32 v[124:125], v[6:7], v[146:147]
	v_fma_f64 v[132:133], v[4:5], v[146:147], -v[134:135]
	v_fmac_f64_e32 v[128:129], v[18:19], v[158:159]
	v_add_f64_e32 v[134:135], v[22:23], v[20:21]
	v_add_f64_e32 v[122:123], v[122:123], v[126:127]
	ds_load_b128 v[4:7], v2 offset:1488
	ds_load_b128 v[20:23], v2 offset:1504
	v_fma_f64 v[16:17], v[16:17], v[158:159], -v[130:131]
	s_wait_loadcnt_dscnt 0x201
	v_mul_f64_e32 v[126:127], v[4:5], v[144:145]
	v_mul_f64_e32 v[136:137], v[6:7], v[144:145]
	v_add_f64_e32 v[18:19], v[134:135], v[132:133]
	v_add_f64_e32 v[122:123], v[122:123], v[124:125]
	s_wait_loadcnt_dscnt 0x100
	v_mul_f64_e32 v[124:125], v[20:21], v[10:11]
	v_mul_f64_e32 v[10:11], v[22:23], v[10:11]
	v_fmac_f64_e32 v[126:127], v[6:7], v[142:143]
	v_fma_f64 v[130:131], v[4:5], v[142:143], -v[136:137]
	ds_load_b128 v[4:7], v2 offset:1520
	v_add_f64_e32 v[16:17], v[18:19], v[16:17]
	v_add_f64_e32 v[18:19], v[122:123], v[128:129]
	v_fmac_f64_e32 v[124:125], v[22:23], v[8:9]
	v_fma_f64 v[8:9], v[20:21], v[8:9], -v[10:11]
	s_wait_loadcnt_dscnt 0x0
	v_mul_f64_e32 v[122:123], v[4:5], v[14:15]
	v_mul_f64_e32 v[14:15], v[6:7], v[14:15]
	v_add_f64_e32 v[10:11], v[16:17], v[130:131]
	v_add_f64_e32 v[16:17], v[18:19], v[126:127]
	s_delay_alu instid0(VALU_DEP_4) | instskip(NEXT) | instid1(VALU_DEP_4)
	v_fmac_f64_e32 v[122:123], v[6:7], v[12:13]
	v_fma_f64 v[4:5], v[4:5], v[12:13], -v[14:15]
	s_delay_alu instid0(VALU_DEP_4) | instskip(NEXT) | instid1(VALU_DEP_4)
	v_add_f64_e32 v[6:7], v[10:11], v[8:9]
	v_add_f64_e32 v[8:9], v[16:17], v[124:125]
	s_delay_alu instid0(VALU_DEP_2) | instskip(NEXT) | instid1(VALU_DEP_2)
	v_add_f64_e32 v[4:5], v[6:7], v[4:5]
	v_add_f64_e32 v[6:7], v[8:9], v[122:123]
	s_delay_alu instid0(VALU_DEP_2) | instskip(NEXT) | instid1(VALU_DEP_2)
	v_add_f64_e64 v[4:5], v[150:151], -v[4:5]
	v_add_f64_e64 v[6:7], v[152:153], -v[6:7]
	scratch_store_b128 off, v[4:7], off offset:128
	s_wait_xcnt 0x0
	v_cmpx_lt_u32_e32 7, v1
	s_cbranch_execz .LBB47_287
; %bb.286:
	scratch_load_b128 v[6:9], off, s56
	v_dual_mov_b32 v3, v2 :: v_dual_mov_b32 v4, v2
	v_mov_b32_e32 v5, v2
	scratch_store_b128 off, v[2:5], off offset:112
	s_wait_loadcnt 0x0
	ds_store_b128 v120, v[6:9]
.LBB47_287:
	s_wait_xcnt 0x0
	s_or_b32 exec_lo, exec_lo, s2
	s_wait_storecnt_dscnt 0x0
	s_barrier_signal -1
	s_barrier_wait -1
	s_clause 0x9
	scratch_load_b128 v[4:7], off, off offset:128
	scratch_load_b128 v[8:11], off, off offset:144
	;; [unrolled: 1-line block ×10, first 2 shown]
	ds_load_b128 v[142:145], v2 offset:896
	ds_load_b128 v[150:153], v2 offset:912
	s_clause 0x2
	scratch_load_b128 v[146:149], off, off offset:288
	scratch_load_b128 v[154:157], off, off offset:112
	scratch_load_b128 v[158:161], off, off offset:304
	s_mov_b32 s2, exec_lo
	s_wait_loadcnt_dscnt 0xc01
	v_mul_f64_e32 v[162:163], v[144:145], v[6:7]
	v_mul_f64_e32 v[166:167], v[142:143], v[6:7]
	s_wait_loadcnt_dscnt 0xb00
	v_mul_f64_e32 v[168:169], v[150:151], v[10:11]
	v_mul_f64_e32 v[10:11], v[152:153], v[10:11]
	s_delay_alu instid0(VALU_DEP_4) | instskip(NEXT) | instid1(VALU_DEP_4)
	v_fma_f64 v[170:171], v[142:143], v[4:5], -v[162:163]
	v_fmac_f64_e32 v[166:167], v[144:145], v[4:5]
	ds_load_b128 v[4:7], v2 offset:928
	ds_load_b128 v[142:145], v2 offset:944
	scratch_load_b128 v[162:165], off, off offset:320
	v_fmac_f64_e32 v[168:169], v[152:153], v[8:9]
	v_fma_f64 v[150:151], v[150:151], v[8:9], -v[10:11]
	scratch_load_b128 v[8:11], off, off offset:336
	s_wait_loadcnt_dscnt 0xc01
	v_mul_f64_e32 v[172:173], v[4:5], v[14:15]
	v_mul_f64_e32 v[14:15], v[6:7], v[14:15]
	v_add_f64_e32 v[152:153], 0, v[170:171]
	v_add_f64_e32 v[166:167], 0, v[166:167]
	s_wait_loadcnt_dscnt 0xb00
	v_mul_f64_e32 v[170:171], v[142:143], v[18:19]
	v_mul_f64_e32 v[18:19], v[144:145], v[18:19]
	v_fmac_f64_e32 v[172:173], v[6:7], v[12:13]
	v_fma_f64 v[174:175], v[4:5], v[12:13], -v[14:15]
	ds_load_b128 v[4:7], v2 offset:960
	ds_load_b128 v[12:15], v2 offset:976
	v_add_f64_e32 v[176:177], v[152:153], v[150:151]
	v_add_f64_e32 v[166:167], v[166:167], v[168:169]
	scratch_load_b128 v[150:153], off, off offset:352
	v_fmac_f64_e32 v[170:171], v[144:145], v[16:17]
	v_fma_f64 v[142:143], v[142:143], v[16:17], -v[18:19]
	scratch_load_b128 v[16:19], off, off offset:368
	s_wait_loadcnt_dscnt 0xc01
	v_mul_f64_e32 v[168:169], v[4:5], v[22:23]
	v_mul_f64_e32 v[22:23], v[6:7], v[22:23]
	v_add_f64_e32 v[144:145], v[176:177], v[174:175]
	v_add_f64_e32 v[166:167], v[166:167], v[172:173]
	s_wait_loadcnt_dscnt 0xb00
	v_mul_f64_e32 v[172:173], v[12:13], v[124:125]
	v_mul_f64_e32 v[124:125], v[14:15], v[124:125]
	v_fmac_f64_e32 v[168:169], v[6:7], v[20:21]
	v_fma_f64 v[174:175], v[4:5], v[20:21], -v[22:23]
	ds_load_b128 v[4:7], v2 offset:992
	ds_load_b128 v[20:23], v2 offset:1008
	v_add_f64_e32 v[176:177], v[144:145], v[142:143]
	v_add_f64_e32 v[166:167], v[166:167], v[170:171]
	scratch_load_b128 v[142:145], off, off offset:384
	s_wait_loadcnt_dscnt 0xb01
	v_mul_f64_e32 v[170:171], v[4:5], v[128:129]
	v_mul_f64_e32 v[128:129], v[6:7], v[128:129]
	v_fmac_f64_e32 v[172:173], v[14:15], v[122:123]
	v_fma_f64 v[122:123], v[12:13], v[122:123], -v[124:125]
	scratch_load_b128 v[12:15], off, off offset:400
	v_add_f64_e32 v[124:125], v[176:177], v[174:175]
	v_add_f64_e32 v[166:167], v[166:167], v[168:169]
	s_wait_loadcnt_dscnt 0xb00
	v_mul_f64_e32 v[168:169], v[20:21], v[132:133]
	v_mul_f64_e32 v[132:133], v[22:23], v[132:133]
	v_fmac_f64_e32 v[170:171], v[6:7], v[126:127]
	v_fma_f64 v[174:175], v[4:5], v[126:127], -v[128:129]
	v_add_f64_e32 v[176:177], v[124:125], v[122:123]
	v_add_f64_e32 v[166:167], v[166:167], v[172:173]
	ds_load_b128 v[4:7], v2 offset:1024
	ds_load_b128 v[122:125], v2 offset:1040
	scratch_load_b128 v[126:129], off, off offset:416
	v_fmac_f64_e32 v[168:169], v[22:23], v[130:131]
	v_fma_f64 v[130:131], v[20:21], v[130:131], -v[132:133]
	scratch_load_b128 v[20:23], off, off offset:432
	s_wait_loadcnt_dscnt 0xc01
	v_mul_f64_e32 v[172:173], v[4:5], v[136:137]
	v_mul_f64_e32 v[136:137], v[6:7], v[136:137]
	v_add_f64_e32 v[132:133], v[176:177], v[174:175]
	v_add_f64_e32 v[166:167], v[166:167], v[170:171]
	s_wait_loadcnt_dscnt 0xb00
	v_mul_f64_e32 v[170:171], v[122:123], v[140:141]
	v_mul_f64_e32 v[140:141], v[124:125], v[140:141]
	v_fmac_f64_e32 v[172:173], v[6:7], v[134:135]
	v_fma_f64 v[174:175], v[4:5], v[134:135], -v[136:137]
	v_add_f64_e32 v[176:177], v[132:133], v[130:131]
	v_add_f64_e32 v[166:167], v[166:167], v[168:169]
	ds_load_b128 v[4:7], v2 offset:1056
	ds_load_b128 v[130:133], v2 offset:1072
	scratch_load_b128 v[134:137], off, off offset:448
	v_fmac_f64_e32 v[170:171], v[124:125], v[138:139]
	v_fma_f64 v[138:139], v[122:123], v[138:139], -v[140:141]
	scratch_load_b128 v[122:125], off, off offset:464
	s_wait_loadcnt_dscnt 0xc01
	v_mul_f64_e32 v[168:169], v[4:5], v[148:149]
	v_mul_f64_e32 v[148:149], v[6:7], v[148:149]
	;; [unrolled: 18-line block ×5, first 2 shown]
	v_add_f64_e32 v[160:161], v[176:177], v[174:175]
	v_add_f64_e32 v[166:167], v[166:167], v[172:173]
	s_wait_loadcnt_dscnt 0xa00
	v_mul_f64_e32 v[172:173], v[138:139], v[14:15]
	v_mul_f64_e32 v[14:15], v[140:141], v[14:15]
	v_fmac_f64_e32 v[168:169], v[6:7], v[142:143]
	v_fma_f64 v[174:175], v[4:5], v[142:143], -v[144:145]
	ds_load_b128 v[4:7], v2 offset:1184
	ds_load_b128 v[142:145], v2 offset:1200
	v_add_f64_e32 v[176:177], v[160:161], v[158:159]
	v_add_f64_e32 v[166:167], v[166:167], v[170:171]
	scratch_load_b128 v[158:161], off, off offset:576
	v_fmac_f64_e32 v[172:173], v[140:141], v[12:13]
	v_fma_f64 v[138:139], v[138:139], v[12:13], -v[14:15]
	scratch_load_b128 v[12:15], off, off offset:592
	s_wait_loadcnt_dscnt 0xb01
	v_mul_f64_e32 v[170:171], v[4:5], v[128:129]
	v_mul_f64_e32 v[128:129], v[6:7], v[128:129]
	v_add_f64_e32 v[140:141], v[176:177], v[174:175]
	v_add_f64_e32 v[166:167], v[166:167], v[168:169]
	s_wait_loadcnt_dscnt 0xa00
	v_mul_f64_e32 v[168:169], v[142:143], v[22:23]
	v_mul_f64_e32 v[22:23], v[144:145], v[22:23]
	v_fmac_f64_e32 v[170:171], v[6:7], v[126:127]
	v_fma_f64 v[174:175], v[4:5], v[126:127], -v[128:129]
	ds_load_b128 v[4:7], v2 offset:1216
	ds_load_b128 v[126:129], v2 offset:1232
	v_add_f64_e32 v[176:177], v[140:141], v[138:139]
	v_add_f64_e32 v[166:167], v[166:167], v[172:173]
	scratch_load_b128 v[138:141], off, off offset:608
	s_wait_loadcnt_dscnt 0xa01
	v_mul_f64_e32 v[172:173], v[4:5], v[136:137]
	v_mul_f64_e32 v[136:137], v[6:7], v[136:137]
	v_fmac_f64_e32 v[168:169], v[144:145], v[20:21]
	v_fma_f64 v[142:143], v[142:143], v[20:21], -v[22:23]
	scratch_load_b128 v[20:23], off, off offset:624
	v_add_f64_e32 v[144:145], v[176:177], v[174:175]
	v_add_f64_e32 v[166:167], v[166:167], v[170:171]
	s_wait_loadcnt_dscnt 0xa00
	v_mul_f64_e32 v[170:171], v[126:127], v[124:125]
	v_mul_f64_e32 v[124:125], v[128:129], v[124:125]
	v_fmac_f64_e32 v[172:173], v[6:7], v[134:135]
	v_fma_f64 v[174:175], v[4:5], v[134:135], -v[136:137]
	ds_load_b128 v[4:7], v2 offset:1248
	ds_load_b128 v[134:137], v2 offset:1264
	v_add_f64_e32 v[176:177], v[144:145], v[142:143]
	v_add_f64_e32 v[166:167], v[166:167], v[168:169]
	scratch_load_b128 v[142:145], off, off offset:640
	s_wait_loadcnt_dscnt 0xa01
	v_mul_f64_e32 v[168:169], v[4:5], v[148:149]
	v_mul_f64_e32 v[148:149], v[6:7], v[148:149]
	v_fmac_f64_e32 v[170:171], v[128:129], v[122:123]
	v_fma_f64 v[126:127], v[126:127], v[122:123], -v[124:125]
	scratch_load_b128 v[122:125], off, off offset:656
	v_add_f64_e32 v[128:129], v[176:177], v[174:175]
	v_add_f64_e32 v[166:167], v[166:167], v[172:173]
	s_wait_loadcnt_dscnt 0xa00
	v_mul_f64_e32 v[172:173], v[134:135], v[132:133]
	v_mul_f64_e32 v[132:133], v[136:137], v[132:133]
	v_fmac_f64_e32 v[168:169], v[6:7], v[146:147]
	v_fma_f64 v[174:175], v[4:5], v[146:147], -v[148:149]
	v_add_f64_e32 v[176:177], v[128:129], v[126:127]
	v_add_f64_e32 v[166:167], v[166:167], v[170:171]
	ds_load_b128 v[4:7], v2 offset:1280
	ds_load_b128 v[126:129], v2 offset:1296
	scratch_load_b128 v[146:149], off, off offset:672
	v_fmac_f64_e32 v[172:173], v[136:137], v[130:131]
	v_fma_f64 v[134:135], v[134:135], v[130:131], -v[132:133]
	scratch_load_b128 v[130:133], off, off offset:688
	s_wait_loadcnt_dscnt 0xb01
	v_mul_f64_e32 v[170:171], v[4:5], v[164:165]
	v_mul_f64_e32 v[164:165], v[6:7], v[164:165]
	v_add_f64_e32 v[136:137], v[176:177], v[174:175]
	v_add_f64_e32 v[166:167], v[166:167], v[168:169]
	s_wait_loadcnt_dscnt 0xa00
	v_mul_f64_e32 v[168:169], v[126:127], v[10:11]
	v_mul_f64_e32 v[10:11], v[128:129], v[10:11]
	v_fmac_f64_e32 v[170:171], v[6:7], v[162:163]
	v_fma_f64 v[174:175], v[4:5], v[162:163], -v[164:165]
	v_add_f64_e32 v[176:177], v[136:137], v[134:135]
	v_add_f64_e32 v[166:167], v[166:167], v[172:173]
	ds_load_b128 v[4:7], v2 offset:1312
	ds_load_b128 v[134:137], v2 offset:1328
	scratch_load_b128 v[162:165], off, off offset:704
	v_fmac_f64_e32 v[168:169], v[128:129], v[8:9]
	v_fma_f64 v[126:127], v[126:127], v[8:9], -v[10:11]
	scratch_load_b128 v[8:11], off, off offset:720
	s_wait_loadcnt_dscnt 0xb01
	v_mul_f64_e32 v[172:173], v[4:5], v[152:153]
	v_mul_f64_e32 v[152:153], v[6:7], v[152:153]
	;; [unrolled: 18-line block ×3, first 2 shown]
	v_add_f64_e32 v[136:137], v[176:177], v[174:175]
	v_add_f64_e32 v[166:167], v[166:167], v[172:173]
	s_wait_loadcnt_dscnt 0xa00
	v_mul_f64_e32 v[172:173], v[126:127], v[14:15]
	v_mul_f64_e32 v[14:15], v[128:129], v[14:15]
	v_fmac_f64_e32 v[168:169], v[6:7], v[158:159]
	v_fma_f64 v[158:159], v[4:5], v[158:159], -v[160:161]
	v_add_f64_e32 v[160:161], v[136:137], v[134:135]
	v_add_f64_e32 v[166:167], v[166:167], v[170:171]
	ds_load_b128 v[4:7], v2 offset:1376
	ds_load_b128 v[134:137], v2 offset:1392
	v_fmac_f64_e32 v[172:173], v[128:129], v[12:13]
	v_fma_f64 v[12:13], v[126:127], v[12:13], -v[14:15]
	s_wait_loadcnt_dscnt 0x901
	v_mul_f64_e32 v[170:171], v[4:5], v[140:141]
	v_mul_f64_e32 v[140:141], v[6:7], v[140:141]
	s_wait_loadcnt_dscnt 0x800
	v_mul_f64_e32 v[128:129], v[134:135], v[22:23]
	v_mul_f64_e32 v[22:23], v[136:137], v[22:23]
	v_add_f64_e32 v[14:15], v[160:161], v[158:159]
	v_add_f64_e32 v[126:127], v[166:167], v[168:169]
	v_fmac_f64_e32 v[170:171], v[6:7], v[138:139]
	v_fma_f64 v[138:139], v[4:5], v[138:139], -v[140:141]
	v_fmac_f64_e32 v[128:129], v[136:137], v[20:21]
	v_fma_f64 v[20:21], v[134:135], v[20:21], -v[22:23]
	v_add_f64_e32 v[140:141], v[14:15], v[12:13]
	v_add_f64_e32 v[126:127], v[126:127], v[172:173]
	ds_load_b128 v[4:7], v2 offset:1408
	ds_load_b128 v[12:15], v2 offset:1424
	s_wait_loadcnt_dscnt 0x701
	v_mul_f64_e32 v[158:159], v[4:5], v[144:145]
	v_mul_f64_e32 v[144:145], v[6:7], v[144:145]
	s_wait_loadcnt_dscnt 0x600
	v_mul_f64_e32 v[134:135], v[12:13], v[124:125]
	v_mul_f64_e32 v[124:125], v[14:15], v[124:125]
	v_add_f64_e32 v[22:23], v[140:141], v[138:139]
	v_add_f64_e32 v[126:127], v[126:127], v[170:171]
	v_fmac_f64_e32 v[158:159], v[6:7], v[142:143]
	v_fma_f64 v[136:137], v[4:5], v[142:143], -v[144:145]
	v_fmac_f64_e32 v[134:135], v[14:15], v[122:123]
	v_fma_f64 v[12:13], v[12:13], v[122:123], -v[124:125]
	v_add_f64_e32 v[138:139], v[22:23], v[20:21]
	v_add_f64_e32 v[126:127], v[126:127], v[128:129]
	ds_load_b128 v[4:7], v2 offset:1440
	ds_load_b128 v[20:23], v2 offset:1456
	s_wait_loadcnt_dscnt 0x501
	v_mul_f64_e32 v[128:129], v[4:5], v[148:149]
	v_mul_f64_e32 v[140:141], v[6:7], v[148:149]
	s_wait_loadcnt_dscnt 0x400
	v_mul_f64_e32 v[124:125], v[20:21], v[132:133]
	v_add_f64_e32 v[14:15], v[138:139], v[136:137]
	v_add_f64_e32 v[122:123], v[126:127], v[158:159]
	v_mul_f64_e32 v[126:127], v[22:23], v[132:133]
	v_fmac_f64_e32 v[128:129], v[6:7], v[146:147]
	v_fma_f64 v[132:133], v[4:5], v[146:147], -v[140:141]
	v_fmac_f64_e32 v[124:125], v[22:23], v[130:131]
	v_add_f64_e32 v[136:137], v[14:15], v[12:13]
	v_add_f64_e32 v[122:123], v[122:123], v[134:135]
	ds_load_b128 v[4:7], v2 offset:1472
	ds_load_b128 v[12:15], v2 offset:1488
	v_fma_f64 v[20:21], v[20:21], v[130:131], -v[126:127]
	s_wait_loadcnt_dscnt 0x301
	v_mul_f64_e32 v[134:135], v[4:5], v[164:165]
	v_mul_f64_e32 v[138:139], v[6:7], v[164:165]
	s_wait_loadcnt_dscnt 0x200
	v_mul_f64_e32 v[126:127], v[12:13], v[10:11]
	v_mul_f64_e32 v[10:11], v[14:15], v[10:11]
	v_add_f64_e32 v[22:23], v[136:137], v[132:133]
	v_add_f64_e32 v[122:123], v[122:123], v[128:129]
	v_fmac_f64_e32 v[134:135], v[6:7], v[162:163]
	v_fma_f64 v[128:129], v[4:5], v[162:163], -v[138:139]
	v_fmac_f64_e32 v[126:127], v[14:15], v[8:9]
	v_fma_f64 v[8:9], v[12:13], v[8:9], -v[10:11]
	v_add_f64_e32 v[130:131], v[22:23], v[20:21]
	v_add_f64_e32 v[122:123], v[122:123], v[124:125]
	ds_load_b128 v[4:7], v2 offset:1504
	ds_load_b128 v[20:23], v2 offset:1520
	s_wait_loadcnt_dscnt 0x101
	v_mul_f64_e32 v[2:3], v[4:5], v[152:153]
	v_mul_f64_e32 v[124:125], v[6:7], v[152:153]
	s_wait_loadcnt_dscnt 0x0
	v_mul_f64_e32 v[14:15], v[20:21], v[18:19]
	v_mul_f64_e32 v[18:19], v[22:23], v[18:19]
	v_add_f64_e32 v[10:11], v[130:131], v[128:129]
	v_add_f64_e32 v[12:13], v[122:123], v[134:135]
	v_fmac_f64_e32 v[2:3], v[6:7], v[150:151]
	v_fma_f64 v[4:5], v[4:5], v[150:151], -v[124:125]
	v_fmac_f64_e32 v[14:15], v[22:23], v[16:17]
	v_add_f64_e32 v[6:7], v[10:11], v[8:9]
	v_add_f64_e32 v[8:9], v[12:13], v[126:127]
	v_fma_f64 v[10:11], v[20:21], v[16:17], -v[18:19]
	s_delay_alu instid0(VALU_DEP_3) | instskip(NEXT) | instid1(VALU_DEP_3)
	v_add_f64_e32 v[4:5], v[6:7], v[4:5]
	v_add_f64_e32 v[2:3], v[8:9], v[2:3]
	s_delay_alu instid0(VALU_DEP_2) | instskip(NEXT) | instid1(VALU_DEP_2)
	v_add_f64_e32 v[4:5], v[4:5], v[10:11]
	v_add_f64_e32 v[6:7], v[2:3], v[14:15]
	s_delay_alu instid0(VALU_DEP_2) | instskip(NEXT) | instid1(VALU_DEP_2)
	v_add_f64_e64 v[2:3], v[154:155], -v[4:5]
	v_add_f64_e64 v[4:5], v[156:157], -v[6:7]
	scratch_store_b128 off, v[2:5], off offset:112
	s_wait_xcnt 0x0
	v_cmpx_lt_u32_e32 6, v1
	s_cbranch_execz .LBB47_289
; %bb.288:
	scratch_load_b128 v[2:5], off, s53
	v_mov_b32_e32 v6, 0
	s_delay_alu instid0(VALU_DEP_1)
	v_dual_mov_b32 v7, v6 :: v_dual_mov_b32 v8, v6
	v_mov_b32_e32 v9, v6
	scratch_store_b128 off, v[6:9], off offset:96
	s_wait_loadcnt 0x0
	ds_store_b128 v120, v[2:5]
.LBB47_289:
	s_wait_xcnt 0x0
	s_or_b32 exec_lo, exec_lo, s2
	s_wait_storecnt_dscnt 0x0
	s_barrier_signal -1
	s_barrier_wait -1
	s_clause 0x9
	scratch_load_b128 v[4:7], off, off offset:112
	scratch_load_b128 v[8:11], off, off offset:128
	;; [unrolled: 1-line block ×10, first 2 shown]
	v_mov_b32_e32 v2, 0
	s_mov_b32 s2, exec_lo
	ds_load_b128 v[142:145], v2 offset:880
	s_clause 0x2
	scratch_load_b128 v[146:149], off, off offset:272
	scratch_load_b128 v[150:153], off, off offset:96
	;; [unrolled: 1-line block ×3, first 2 shown]
	s_wait_loadcnt_dscnt 0xc00
	v_mul_f64_e32 v[162:163], v[144:145], v[6:7]
	v_mul_f64_e32 v[166:167], v[142:143], v[6:7]
	ds_load_b128 v[154:157], v2 offset:896
	v_fma_f64 v[170:171], v[142:143], v[4:5], -v[162:163]
	v_fmac_f64_e32 v[166:167], v[144:145], v[4:5]
	ds_load_b128 v[4:7], v2 offset:912
	s_wait_loadcnt_dscnt 0xb01
	v_mul_f64_e32 v[168:169], v[154:155], v[10:11]
	v_mul_f64_e32 v[10:11], v[156:157], v[10:11]
	scratch_load_b128 v[142:145], off, off offset:304
	ds_load_b128 v[162:165], v2 offset:928
	s_wait_loadcnt_dscnt 0xb01
	v_mul_f64_e32 v[172:173], v[4:5], v[14:15]
	v_mul_f64_e32 v[14:15], v[6:7], v[14:15]
	v_add_f64_e32 v[166:167], 0, v[166:167]
	v_fmac_f64_e32 v[168:169], v[156:157], v[8:9]
	v_fma_f64 v[154:155], v[154:155], v[8:9], -v[10:11]
	v_add_f64_e32 v[156:157], 0, v[170:171]
	scratch_load_b128 v[8:11], off, off offset:320
	v_fmac_f64_e32 v[172:173], v[6:7], v[12:13]
	v_fma_f64 v[174:175], v[4:5], v[12:13], -v[14:15]
	ds_load_b128 v[4:7], v2 offset:944
	s_wait_loadcnt_dscnt 0xb01
	v_mul_f64_e32 v[170:171], v[162:163], v[18:19]
	v_mul_f64_e32 v[18:19], v[164:165], v[18:19]
	scratch_load_b128 v[12:15], off, off offset:336
	v_add_f64_e32 v[166:167], v[166:167], v[168:169]
	v_add_f64_e32 v[176:177], v[156:157], v[154:155]
	ds_load_b128 v[154:157], v2 offset:960
	s_wait_loadcnt_dscnt 0xb01
	v_mul_f64_e32 v[168:169], v[4:5], v[22:23]
	v_mul_f64_e32 v[22:23], v[6:7], v[22:23]
	v_fmac_f64_e32 v[170:171], v[164:165], v[16:17]
	v_fma_f64 v[162:163], v[162:163], v[16:17], -v[18:19]
	scratch_load_b128 v[16:19], off, off offset:352
	v_add_f64_e32 v[166:167], v[166:167], v[172:173]
	v_add_f64_e32 v[164:165], v[176:177], v[174:175]
	v_fmac_f64_e32 v[168:169], v[6:7], v[20:21]
	v_fma_f64 v[174:175], v[4:5], v[20:21], -v[22:23]
	ds_load_b128 v[4:7], v2 offset:976
	s_wait_loadcnt_dscnt 0xb01
	v_mul_f64_e32 v[172:173], v[154:155], v[124:125]
	v_mul_f64_e32 v[124:125], v[156:157], v[124:125]
	scratch_load_b128 v[20:23], off, off offset:368
	v_add_f64_e32 v[166:167], v[166:167], v[170:171]
	s_wait_loadcnt_dscnt 0xb00
	v_mul_f64_e32 v[170:171], v[4:5], v[128:129]
	v_add_f64_e32 v[176:177], v[164:165], v[162:163]
	v_mul_f64_e32 v[128:129], v[6:7], v[128:129]
	ds_load_b128 v[162:165], v2 offset:992
	v_fmac_f64_e32 v[172:173], v[156:157], v[122:123]
	v_fma_f64 v[154:155], v[154:155], v[122:123], -v[124:125]
	scratch_load_b128 v[122:125], off, off offset:384
	v_add_f64_e32 v[166:167], v[166:167], v[168:169]
	v_fmac_f64_e32 v[170:171], v[6:7], v[126:127]
	v_add_f64_e32 v[156:157], v[176:177], v[174:175]
	v_fma_f64 v[174:175], v[4:5], v[126:127], -v[128:129]
	ds_load_b128 v[4:7], v2 offset:1008
	s_wait_loadcnt_dscnt 0xb01
	v_mul_f64_e32 v[168:169], v[162:163], v[132:133]
	v_mul_f64_e32 v[132:133], v[164:165], v[132:133]
	scratch_load_b128 v[126:129], off, off offset:400
	v_add_f64_e32 v[166:167], v[166:167], v[172:173]
	s_wait_loadcnt_dscnt 0xb00
	v_mul_f64_e32 v[172:173], v[4:5], v[136:137]
	v_add_f64_e32 v[176:177], v[156:157], v[154:155]
	v_mul_f64_e32 v[136:137], v[6:7], v[136:137]
	ds_load_b128 v[154:157], v2 offset:1024
	v_fmac_f64_e32 v[168:169], v[164:165], v[130:131]
	v_fma_f64 v[162:163], v[162:163], v[130:131], -v[132:133]
	scratch_load_b128 v[130:133], off, off offset:416
	v_add_f64_e32 v[166:167], v[166:167], v[170:171]
	v_fmac_f64_e32 v[172:173], v[6:7], v[134:135]
	v_add_f64_e32 v[164:165], v[176:177], v[174:175]
	;; [unrolled: 18-line block ×3, first 2 shown]
	v_fma_f64 v[174:175], v[4:5], v[146:147], -v[148:149]
	ds_load_b128 v[4:7], v2 offset:1072
	s_wait_loadcnt_dscnt 0xa01
	v_mul_f64_e32 v[172:173], v[162:163], v[160:161]
	v_mul_f64_e32 v[160:161], v[164:165], v[160:161]
	scratch_load_b128 v[146:149], off, off offset:464
	v_add_f64_e32 v[166:167], v[166:167], v[170:171]
	v_add_f64_e32 v[176:177], v[156:157], v[154:155]
	s_wait_loadcnt_dscnt 0xa00
	v_mul_f64_e32 v[170:171], v[4:5], v[144:145]
	v_mul_f64_e32 v[144:145], v[6:7], v[144:145]
	v_fmac_f64_e32 v[172:173], v[164:165], v[158:159]
	v_fma_f64 v[162:163], v[162:163], v[158:159], -v[160:161]
	ds_load_b128 v[154:157], v2 offset:1088
	scratch_load_b128 v[158:161], off, off offset:480
	v_add_f64_e32 v[166:167], v[166:167], v[168:169]
	v_add_f64_e32 v[164:165], v[176:177], v[174:175]
	v_fmac_f64_e32 v[170:171], v[6:7], v[142:143]
	v_fma_f64 v[174:175], v[4:5], v[142:143], -v[144:145]
	ds_load_b128 v[4:7], v2 offset:1104
	s_wait_loadcnt_dscnt 0xa01
	v_mul_f64_e32 v[168:169], v[154:155], v[10:11]
	v_mul_f64_e32 v[10:11], v[156:157], v[10:11]
	scratch_load_b128 v[142:145], off, off offset:496
	v_add_f64_e32 v[166:167], v[166:167], v[172:173]
	s_wait_loadcnt_dscnt 0xa00
	v_mul_f64_e32 v[172:173], v[4:5], v[14:15]
	v_add_f64_e32 v[176:177], v[164:165], v[162:163]
	v_mul_f64_e32 v[14:15], v[6:7], v[14:15]
	ds_load_b128 v[162:165], v2 offset:1120
	v_fmac_f64_e32 v[168:169], v[156:157], v[8:9]
	v_fma_f64 v[154:155], v[154:155], v[8:9], -v[10:11]
	scratch_load_b128 v[8:11], off, off offset:512
	v_add_f64_e32 v[166:167], v[166:167], v[170:171]
	v_fmac_f64_e32 v[172:173], v[6:7], v[12:13]
	v_add_f64_e32 v[156:157], v[176:177], v[174:175]
	v_fma_f64 v[174:175], v[4:5], v[12:13], -v[14:15]
	ds_load_b128 v[4:7], v2 offset:1136
	s_wait_loadcnt_dscnt 0xa01
	v_mul_f64_e32 v[170:171], v[162:163], v[18:19]
	v_mul_f64_e32 v[18:19], v[164:165], v[18:19]
	scratch_load_b128 v[12:15], off, off offset:528
	v_add_f64_e32 v[166:167], v[166:167], v[168:169]
	s_wait_loadcnt_dscnt 0xa00
	v_mul_f64_e32 v[168:169], v[4:5], v[22:23]
	v_add_f64_e32 v[176:177], v[156:157], v[154:155]
	v_mul_f64_e32 v[22:23], v[6:7], v[22:23]
	ds_load_b128 v[154:157], v2 offset:1152
	v_fmac_f64_e32 v[170:171], v[164:165], v[16:17]
	v_fma_f64 v[162:163], v[162:163], v[16:17], -v[18:19]
	scratch_load_b128 v[16:19], off, off offset:544
	v_add_f64_e32 v[166:167], v[166:167], v[172:173]
	v_fmac_f64_e32 v[168:169], v[6:7], v[20:21]
	v_add_f64_e32 v[164:165], v[176:177], v[174:175]
	;; [unrolled: 18-line block ×8, first 2 shown]
	v_fma_f64 v[174:175], v[4:5], v[20:21], -v[22:23]
	ds_load_b128 v[4:7], v2 offset:1360
	s_wait_loadcnt_dscnt 0xa01
	v_mul_f64_e32 v[172:173], v[154:155], v[124:125]
	v_mul_f64_e32 v[124:125], v[156:157], v[124:125]
	scratch_load_b128 v[20:23], off, off offset:752
	v_add_f64_e32 v[166:167], v[166:167], v[170:171]
	s_wait_loadcnt_dscnt 0xa00
	v_mul_f64_e32 v[170:171], v[4:5], v[128:129]
	v_add_f64_e32 v[176:177], v[164:165], v[162:163]
	v_mul_f64_e32 v[128:129], v[6:7], v[128:129]
	ds_load_b128 v[162:165], v2 offset:1376
	v_fmac_f64_e32 v[172:173], v[156:157], v[122:123]
	v_fma_f64 v[122:123], v[154:155], v[122:123], -v[124:125]
	s_wait_loadcnt_dscnt 0x900
	v_mul_f64_e32 v[156:157], v[162:163], v[132:133]
	v_mul_f64_e32 v[132:133], v[164:165], v[132:133]
	v_add_f64_e32 v[154:155], v[166:167], v[168:169]
	v_fmac_f64_e32 v[170:171], v[6:7], v[126:127]
	v_add_f64_e32 v[124:125], v[176:177], v[174:175]
	v_fma_f64 v[126:127], v[4:5], v[126:127], -v[128:129]
	v_fmac_f64_e32 v[156:157], v[164:165], v[130:131]
	v_fma_f64 v[130:131], v[162:163], v[130:131], -v[132:133]
	v_add_f64_e32 v[154:155], v[154:155], v[172:173]
	v_add_f64_e32 v[128:129], v[124:125], v[122:123]
	ds_load_b128 v[4:7], v2 offset:1392
	ds_load_b128 v[122:125], v2 offset:1408
	s_wait_loadcnt_dscnt 0x801
	v_mul_f64_e32 v[166:167], v[4:5], v[136:137]
	v_mul_f64_e32 v[136:137], v[6:7], v[136:137]
	s_wait_loadcnt_dscnt 0x700
	v_mul_f64_e32 v[132:133], v[122:123], v[140:141]
	v_mul_f64_e32 v[140:141], v[124:125], v[140:141]
	v_add_f64_e32 v[126:127], v[128:129], v[126:127]
	v_add_f64_e32 v[128:129], v[154:155], v[170:171]
	v_fmac_f64_e32 v[166:167], v[6:7], v[134:135]
	v_fma_f64 v[134:135], v[4:5], v[134:135], -v[136:137]
	v_fmac_f64_e32 v[132:133], v[124:125], v[138:139]
	v_fma_f64 v[122:123], v[122:123], v[138:139], -v[140:141]
	v_add_f64_e32 v[130:131], v[126:127], v[130:131]
	v_add_f64_e32 v[136:137], v[128:129], v[156:157]
	ds_load_b128 v[4:7], v2 offset:1424
	ds_load_b128 v[126:129], v2 offset:1440
	s_wait_loadcnt_dscnt 0x601
	v_mul_f64_e32 v[154:155], v[4:5], v[148:149]
	v_mul_f64_e32 v[148:149], v[6:7], v[148:149]
	v_add_f64_e32 v[124:125], v[130:131], v[134:135]
	v_add_f64_e32 v[130:131], v[136:137], v[166:167]
	s_wait_loadcnt_dscnt 0x500
	v_mul_f64_e32 v[134:135], v[126:127], v[160:161]
	v_mul_f64_e32 v[136:137], v[128:129], v[160:161]
	v_fmac_f64_e32 v[154:155], v[6:7], v[146:147]
	v_fma_f64 v[138:139], v[4:5], v[146:147], -v[148:149]
	v_add_f64_e32 v[140:141], v[124:125], v[122:123]
	v_add_f64_e32 v[130:131], v[130:131], v[132:133]
	ds_load_b128 v[4:7], v2 offset:1456
	ds_load_b128 v[122:125], v2 offset:1472
	v_fmac_f64_e32 v[134:135], v[128:129], v[158:159]
	v_fma_f64 v[126:127], v[126:127], v[158:159], -v[136:137]
	s_wait_loadcnt_dscnt 0x401
	v_mul_f64_e32 v[132:133], v[4:5], v[144:145]
	v_mul_f64_e32 v[144:145], v[6:7], v[144:145]
	s_wait_loadcnt_dscnt 0x300
	v_mul_f64_e32 v[136:137], v[122:123], v[10:11]
	v_mul_f64_e32 v[10:11], v[124:125], v[10:11]
	v_add_f64_e32 v[128:129], v[140:141], v[138:139]
	v_add_f64_e32 v[130:131], v[130:131], v[154:155]
	v_fmac_f64_e32 v[132:133], v[6:7], v[142:143]
	v_fma_f64 v[138:139], v[4:5], v[142:143], -v[144:145]
	v_fmac_f64_e32 v[136:137], v[124:125], v[8:9]
	v_fma_f64 v[8:9], v[122:123], v[8:9], -v[10:11]
	v_add_f64_e32 v[140:141], v[128:129], v[126:127]
	v_add_f64_e32 v[130:131], v[130:131], v[134:135]
	ds_load_b128 v[4:7], v2 offset:1488
	ds_load_b128 v[126:129], v2 offset:1504
	s_wait_loadcnt_dscnt 0x201
	v_mul_f64_e32 v[134:135], v[4:5], v[14:15]
	v_mul_f64_e32 v[14:15], v[6:7], v[14:15]
	s_wait_loadcnt_dscnt 0x100
	v_mul_f64_e32 v[124:125], v[126:127], v[18:19]
	v_mul_f64_e32 v[18:19], v[128:129], v[18:19]
	v_add_f64_e32 v[10:11], v[140:141], v[138:139]
	v_add_f64_e32 v[122:123], v[130:131], v[132:133]
	v_fmac_f64_e32 v[134:135], v[6:7], v[12:13]
	v_fma_f64 v[12:13], v[4:5], v[12:13], -v[14:15]
	ds_load_b128 v[4:7], v2 offset:1520
	v_fmac_f64_e32 v[124:125], v[128:129], v[16:17]
	v_fma_f64 v[16:17], v[126:127], v[16:17], -v[18:19]
	v_add_f64_e32 v[8:9], v[10:11], v[8:9]
	v_add_f64_e32 v[10:11], v[122:123], v[136:137]
	s_wait_loadcnt_dscnt 0x0
	v_mul_f64_e32 v[14:15], v[4:5], v[22:23]
	v_mul_f64_e32 v[22:23], v[6:7], v[22:23]
	s_delay_alu instid0(VALU_DEP_4) | instskip(NEXT) | instid1(VALU_DEP_4)
	v_add_f64_e32 v[8:9], v[8:9], v[12:13]
	v_add_f64_e32 v[10:11], v[10:11], v[134:135]
	s_delay_alu instid0(VALU_DEP_4) | instskip(NEXT) | instid1(VALU_DEP_4)
	v_fmac_f64_e32 v[14:15], v[6:7], v[20:21]
	v_fma_f64 v[4:5], v[4:5], v[20:21], -v[22:23]
	s_delay_alu instid0(VALU_DEP_4) | instskip(NEXT) | instid1(VALU_DEP_4)
	v_add_f64_e32 v[6:7], v[8:9], v[16:17]
	v_add_f64_e32 v[8:9], v[10:11], v[124:125]
	s_delay_alu instid0(VALU_DEP_2) | instskip(NEXT) | instid1(VALU_DEP_2)
	v_add_f64_e32 v[4:5], v[6:7], v[4:5]
	v_add_f64_e32 v[6:7], v[8:9], v[14:15]
	s_delay_alu instid0(VALU_DEP_2) | instskip(NEXT) | instid1(VALU_DEP_2)
	v_add_f64_e64 v[4:5], v[150:151], -v[4:5]
	v_add_f64_e64 v[6:7], v[152:153], -v[6:7]
	scratch_store_b128 off, v[4:7], off offset:96
	s_wait_xcnt 0x0
	v_cmpx_lt_u32_e32 5, v1
	s_cbranch_execz .LBB47_291
; %bb.290:
	scratch_load_b128 v[6:9], off, s51
	v_dual_mov_b32 v3, v2 :: v_dual_mov_b32 v4, v2
	v_mov_b32_e32 v5, v2
	scratch_store_b128 off, v[2:5], off offset:80
	s_wait_loadcnt 0x0
	ds_store_b128 v120, v[6:9]
.LBB47_291:
	s_wait_xcnt 0x0
	s_or_b32 exec_lo, exec_lo, s2
	s_wait_storecnt_dscnt 0x0
	s_barrier_signal -1
	s_barrier_wait -1
	s_clause 0x9
	scratch_load_b128 v[4:7], off, off offset:96
	scratch_load_b128 v[8:11], off, off offset:112
	;; [unrolled: 1-line block ×10, first 2 shown]
	ds_load_b128 v[142:145], v2 offset:864
	ds_load_b128 v[150:153], v2 offset:880
	s_clause 0x2
	scratch_load_b128 v[146:149], off, off offset:256
	scratch_load_b128 v[154:157], off, off offset:80
	scratch_load_b128 v[158:161], off, off offset:272
	s_mov_b32 s2, exec_lo
	s_wait_loadcnt_dscnt 0xc01
	v_mul_f64_e32 v[162:163], v[144:145], v[6:7]
	v_mul_f64_e32 v[166:167], v[142:143], v[6:7]
	s_wait_loadcnt_dscnt 0xb00
	v_mul_f64_e32 v[168:169], v[150:151], v[10:11]
	v_mul_f64_e32 v[10:11], v[152:153], v[10:11]
	s_delay_alu instid0(VALU_DEP_4) | instskip(NEXT) | instid1(VALU_DEP_4)
	v_fma_f64 v[170:171], v[142:143], v[4:5], -v[162:163]
	v_fmac_f64_e32 v[166:167], v[144:145], v[4:5]
	ds_load_b128 v[4:7], v2 offset:896
	ds_load_b128 v[142:145], v2 offset:912
	scratch_load_b128 v[162:165], off, off offset:288
	v_fmac_f64_e32 v[168:169], v[152:153], v[8:9]
	v_fma_f64 v[150:151], v[150:151], v[8:9], -v[10:11]
	scratch_load_b128 v[8:11], off, off offset:304
	s_wait_loadcnt_dscnt 0xc01
	v_mul_f64_e32 v[172:173], v[4:5], v[14:15]
	v_mul_f64_e32 v[14:15], v[6:7], v[14:15]
	v_add_f64_e32 v[152:153], 0, v[170:171]
	v_add_f64_e32 v[166:167], 0, v[166:167]
	s_wait_loadcnt_dscnt 0xb00
	v_mul_f64_e32 v[170:171], v[142:143], v[18:19]
	v_mul_f64_e32 v[18:19], v[144:145], v[18:19]
	v_fmac_f64_e32 v[172:173], v[6:7], v[12:13]
	v_fma_f64 v[174:175], v[4:5], v[12:13], -v[14:15]
	ds_load_b128 v[4:7], v2 offset:928
	ds_load_b128 v[12:15], v2 offset:944
	v_add_f64_e32 v[176:177], v[152:153], v[150:151]
	v_add_f64_e32 v[166:167], v[166:167], v[168:169]
	scratch_load_b128 v[150:153], off, off offset:320
	v_fmac_f64_e32 v[170:171], v[144:145], v[16:17]
	v_fma_f64 v[142:143], v[142:143], v[16:17], -v[18:19]
	scratch_load_b128 v[16:19], off, off offset:336
	s_wait_loadcnt_dscnt 0xc01
	v_mul_f64_e32 v[168:169], v[4:5], v[22:23]
	v_mul_f64_e32 v[22:23], v[6:7], v[22:23]
	v_add_f64_e32 v[144:145], v[176:177], v[174:175]
	v_add_f64_e32 v[166:167], v[166:167], v[172:173]
	s_wait_loadcnt_dscnt 0xb00
	v_mul_f64_e32 v[172:173], v[12:13], v[124:125]
	v_mul_f64_e32 v[124:125], v[14:15], v[124:125]
	v_fmac_f64_e32 v[168:169], v[6:7], v[20:21]
	v_fma_f64 v[174:175], v[4:5], v[20:21], -v[22:23]
	ds_load_b128 v[4:7], v2 offset:960
	ds_load_b128 v[20:23], v2 offset:976
	v_add_f64_e32 v[176:177], v[144:145], v[142:143]
	v_add_f64_e32 v[166:167], v[166:167], v[170:171]
	scratch_load_b128 v[142:145], off, off offset:352
	s_wait_loadcnt_dscnt 0xb01
	v_mul_f64_e32 v[170:171], v[4:5], v[128:129]
	v_mul_f64_e32 v[128:129], v[6:7], v[128:129]
	v_fmac_f64_e32 v[172:173], v[14:15], v[122:123]
	v_fma_f64 v[122:123], v[12:13], v[122:123], -v[124:125]
	scratch_load_b128 v[12:15], off, off offset:368
	v_add_f64_e32 v[124:125], v[176:177], v[174:175]
	v_add_f64_e32 v[166:167], v[166:167], v[168:169]
	s_wait_loadcnt_dscnt 0xb00
	v_mul_f64_e32 v[168:169], v[20:21], v[132:133]
	v_mul_f64_e32 v[132:133], v[22:23], v[132:133]
	v_fmac_f64_e32 v[170:171], v[6:7], v[126:127]
	v_fma_f64 v[174:175], v[4:5], v[126:127], -v[128:129]
	v_add_f64_e32 v[176:177], v[124:125], v[122:123]
	v_add_f64_e32 v[166:167], v[166:167], v[172:173]
	ds_load_b128 v[4:7], v2 offset:992
	ds_load_b128 v[122:125], v2 offset:1008
	scratch_load_b128 v[126:129], off, off offset:384
	v_fmac_f64_e32 v[168:169], v[22:23], v[130:131]
	v_fma_f64 v[130:131], v[20:21], v[130:131], -v[132:133]
	scratch_load_b128 v[20:23], off, off offset:400
	s_wait_loadcnt_dscnt 0xc01
	v_mul_f64_e32 v[172:173], v[4:5], v[136:137]
	v_mul_f64_e32 v[136:137], v[6:7], v[136:137]
	v_add_f64_e32 v[132:133], v[176:177], v[174:175]
	v_add_f64_e32 v[166:167], v[166:167], v[170:171]
	s_wait_loadcnt_dscnt 0xb00
	v_mul_f64_e32 v[170:171], v[122:123], v[140:141]
	v_mul_f64_e32 v[140:141], v[124:125], v[140:141]
	v_fmac_f64_e32 v[172:173], v[6:7], v[134:135]
	v_fma_f64 v[174:175], v[4:5], v[134:135], -v[136:137]
	v_add_f64_e32 v[176:177], v[132:133], v[130:131]
	v_add_f64_e32 v[166:167], v[166:167], v[168:169]
	ds_load_b128 v[4:7], v2 offset:1024
	ds_load_b128 v[130:133], v2 offset:1040
	scratch_load_b128 v[134:137], off, off offset:416
	v_fmac_f64_e32 v[170:171], v[124:125], v[138:139]
	v_fma_f64 v[138:139], v[122:123], v[138:139], -v[140:141]
	scratch_load_b128 v[122:125], off, off offset:432
	s_wait_loadcnt_dscnt 0xc01
	v_mul_f64_e32 v[168:169], v[4:5], v[148:149]
	v_mul_f64_e32 v[148:149], v[6:7], v[148:149]
	;; [unrolled: 18-line block ×5, first 2 shown]
	v_add_f64_e32 v[160:161], v[176:177], v[174:175]
	v_add_f64_e32 v[166:167], v[166:167], v[172:173]
	s_wait_loadcnt_dscnt 0xa00
	v_mul_f64_e32 v[172:173], v[138:139], v[14:15]
	v_mul_f64_e32 v[14:15], v[140:141], v[14:15]
	v_fmac_f64_e32 v[168:169], v[6:7], v[142:143]
	v_fma_f64 v[174:175], v[4:5], v[142:143], -v[144:145]
	ds_load_b128 v[4:7], v2 offset:1152
	ds_load_b128 v[142:145], v2 offset:1168
	v_add_f64_e32 v[176:177], v[160:161], v[158:159]
	v_add_f64_e32 v[166:167], v[166:167], v[170:171]
	scratch_load_b128 v[158:161], off, off offset:544
	v_fmac_f64_e32 v[172:173], v[140:141], v[12:13]
	v_fma_f64 v[138:139], v[138:139], v[12:13], -v[14:15]
	scratch_load_b128 v[12:15], off, off offset:560
	s_wait_loadcnt_dscnt 0xb01
	v_mul_f64_e32 v[170:171], v[4:5], v[128:129]
	v_mul_f64_e32 v[128:129], v[6:7], v[128:129]
	v_add_f64_e32 v[140:141], v[176:177], v[174:175]
	v_add_f64_e32 v[166:167], v[166:167], v[168:169]
	s_wait_loadcnt_dscnt 0xa00
	v_mul_f64_e32 v[168:169], v[142:143], v[22:23]
	v_mul_f64_e32 v[22:23], v[144:145], v[22:23]
	v_fmac_f64_e32 v[170:171], v[6:7], v[126:127]
	v_fma_f64 v[174:175], v[4:5], v[126:127], -v[128:129]
	ds_load_b128 v[4:7], v2 offset:1184
	ds_load_b128 v[126:129], v2 offset:1200
	v_add_f64_e32 v[176:177], v[140:141], v[138:139]
	v_add_f64_e32 v[166:167], v[166:167], v[172:173]
	scratch_load_b128 v[138:141], off, off offset:576
	s_wait_loadcnt_dscnt 0xa01
	v_mul_f64_e32 v[172:173], v[4:5], v[136:137]
	v_mul_f64_e32 v[136:137], v[6:7], v[136:137]
	v_fmac_f64_e32 v[168:169], v[144:145], v[20:21]
	v_fma_f64 v[142:143], v[142:143], v[20:21], -v[22:23]
	scratch_load_b128 v[20:23], off, off offset:592
	v_add_f64_e32 v[144:145], v[176:177], v[174:175]
	v_add_f64_e32 v[166:167], v[166:167], v[170:171]
	s_wait_loadcnt_dscnt 0xa00
	v_mul_f64_e32 v[170:171], v[126:127], v[124:125]
	v_mul_f64_e32 v[124:125], v[128:129], v[124:125]
	v_fmac_f64_e32 v[172:173], v[6:7], v[134:135]
	v_fma_f64 v[174:175], v[4:5], v[134:135], -v[136:137]
	ds_load_b128 v[4:7], v2 offset:1216
	ds_load_b128 v[134:137], v2 offset:1232
	v_add_f64_e32 v[176:177], v[144:145], v[142:143]
	v_add_f64_e32 v[166:167], v[166:167], v[168:169]
	scratch_load_b128 v[142:145], off, off offset:608
	s_wait_loadcnt_dscnt 0xa01
	v_mul_f64_e32 v[168:169], v[4:5], v[148:149]
	v_mul_f64_e32 v[148:149], v[6:7], v[148:149]
	v_fmac_f64_e32 v[170:171], v[128:129], v[122:123]
	v_fma_f64 v[126:127], v[126:127], v[122:123], -v[124:125]
	scratch_load_b128 v[122:125], off, off offset:624
	v_add_f64_e32 v[128:129], v[176:177], v[174:175]
	v_add_f64_e32 v[166:167], v[166:167], v[172:173]
	s_wait_loadcnt_dscnt 0xa00
	v_mul_f64_e32 v[172:173], v[134:135], v[132:133]
	v_mul_f64_e32 v[132:133], v[136:137], v[132:133]
	v_fmac_f64_e32 v[168:169], v[6:7], v[146:147]
	v_fma_f64 v[174:175], v[4:5], v[146:147], -v[148:149]
	v_add_f64_e32 v[176:177], v[128:129], v[126:127]
	v_add_f64_e32 v[166:167], v[166:167], v[170:171]
	ds_load_b128 v[4:7], v2 offset:1248
	ds_load_b128 v[126:129], v2 offset:1264
	scratch_load_b128 v[146:149], off, off offset:640
	v_fmac_f64_e32 v[172:173], v[136:137], v[130:131]
	v_fma_f64 v[134:135], v[134:135], v[130:131], -v[132:133]
	scratch_load_b128 v[130:133], off, off offset:656
	s_wait_loadcnt_dscnt 0xb01
	v_mul_f64_e32 v[170:171], v[4:5], v[164:165]
	v_mul_f64_e32 v[164:165], v[6:7], v[164:165]
	v_add_f64_e32 v[136:137], v[176:177], v[174:175]
	v_add_f64_e32 v[166:167], v[166:167], v[168:169]
	s_wait_loadcnt_dscnt 0xa00
	v_mul_f64_e32 v[168:169], v[126:127], v[10:11]
	v_mul_f64_e32 v[10:11], v[128:129], v[10:11]
	v_fmac_f64_e32 v[170:171], v[6:7], v[162:163]
	v_fma_f64 v[174:175], v[4:5], v[162:163], -v[164:165]
	v_add_f64_e32 v[176:177], v[136:137], v[134:135]
	v_add_f64_e32 v[166:167], v[166:167], v[172:173]
	ds_load_b128 v[4:7], v2 offset:1280
	ds_load_b128 v[134:137], v2 offset:1296
	scratch_load_b128 v[162:165], off, off offset:672
	v_fmac_f64_e32 v[168:169], v[128:129], v[8:9]
	v_fma_f64 v[126:127], v[126:127], v[8:9], -v[10:11]
	scratch_load_b128 v[8:11], off, off offset:688
	s_wait_loadcnt_dscnt 0xb01
	v_mul_f64_e32 v[172:173], v[4:5], v[152:153]
	v_mul_f64_e32 v[152:153], v[6:7], v[152:153]
	;; [unrolled: 18-line block ×4, first 2 shown]
	v_add_f64_e32 v[128:129], v[176:177], v[174:175]
	v_add_f64_e32 v[166:167], v[166:167], v[168:169]
	s_wait_loadcnt_dscnt 0xa00
	v_mul_f64_e32 v[168:169], v[134:135], v[22:23]
	v_mul_f64_e32 v[22:23], v[136:137], v[22:23]
	v_fmac_f64_e32 v[170:171], v[6:7], v[138:139]
	v_fma_f64 v[138:139], v[4:5], v[138:139], -v[140:141]
	v_add_f64_e32 v[140:141], v[128:129], v[126:127]
	v_add_f64_e32 v[166:167], v[166:167], v[172:173]
	ds_load_b128 v[4:7], v2 offset:1376
	ds_load_b128 v[126:129], v2 offset:1392
	v_fmac_f64_e32 v[168:169], v[136:137], v[20:21]
	v_fma_f64 v[20:21], v[134:135], v[20:21], -v[22:23]
	s_wait_loadcnt_dscnt 0x901
	v_mul_f64_e32 v[172:173], v[4:5], v[144:145]
	v_mul_f64_e32 v[144:145], v[6:7], v[144:145]
	s_wait_loadcnt_dscnt 0x800
	v_mul_f64_e32 v[136:137], v[126:127], v[124:125]
	v_mul_f64_e32 v[124:125], v[128:129], v[124:125]
	v_add_f64_e32 v[22:23], v[140:141], v[138:139]
	v_add_f64_e32 v[134:135], v[166:167], v[170:171]
	v_fmac_f64_e32 v[172:173], v[6:7], v[142:143]
	v_fma_f64 v[138:139], v[4:5], v[142:143], -v[144:145]
	v_fmac_f64_e32 v[136:137], v[128:129], v[122:123]
	v_fma_f64 v[122:123], v[126:127], v[122:123], -v[124:125]
	v_add_f64_e32 v[140:141], v[22:23], v[20:21]
	v_add_f64_e32 v[134:135], v[134:135], v[168:169]
	ds_load_b128 v[4:7], v2 offset:1408
	ds_load_b128 v[20:23], v2 offset:1424
	s_wait_loadcnt_dscnt 0x701
	v_mul_f64_e32 v[142:143], v[4:5], v[148:149]
	v_mul_f64_e32 v[144:145], v[6:7], v[148:149]
	s_wait_loadcnt_dscnt 0x600
	v_mul_f64_e32 v[128:129], v[20:21], v[132:133]
	v_mul_f64_e32 v[132:133], v[22:23], v[132:133]
	v_add_f64_e32 v[124:125], v[140:141], v[138:139]
	v_add_f64_e32 v[126:127], v[134:135], v[172:173]
	v_fmac_f64_e32 v[142:143], v[6:7], v[146:147]
	v_fma_f64 v[134:135], v[4:5], v[146:147], -v[144:145]
	v_fmac_f64_e32 v[128:129], v[22:23], v[130:131]
	v_fma_f64 v[20:21], v[20:21], v[130:131], -v[132:133]
	v_add_f64_e32 v[138:139], v[124:125], v[122:123]
	v_add_f64_e32 v[126:127], v[126:127], v[136:137]
	ds_load_b128 v[4:7], v2 offset:1440
	ds_load_b128 v[122:125], v2 offset:1456
	;; [unrolled: 16-line block ×4, first 2 shown]
	s_wait_loadcnt_dscnt 0x101
	v_mul_f64_e32 v[2:3], v[4:5], v[160:161]
	v_mul_f64_e32 v[130:131], v[6:7], v[160:161]
	s_wait_loadcnt_dscnt 0x0
	v_mul_f64_e32 v[22:23], v[8:9], v[14:15]
	v_mul_f64_e32 v[14:15], v[10:11], v[14:15]
	v_add_f64_e32 v[18:19], v[132:133], v[126:127]
	v_add_f64_e32 v[20:21], v[122:123], v[128:129]
	v_fmac_f64_e32 v[2:3], v[6:7], v[158:159]
	v_fma_f64 v[4:5], v[4:5], v[158:159], -v[130:131]
	v_fmac_f64_e32 v[22:23], v[10:11], v[12:13]
	v_fma_f64 v[8:9], v[8:9], v[12:13], -v[14:15]
	v_add_f64_e32 v[6:7], v[18:19], v[16:17]
	v_add_f64_e32 v[16:17], v[20:21], v[124:125]
	s_delay_alu instid0(VALU_DEP_2) | instskip(NEXT) | instid1(VALU_DEP_2)
	v_add_f64_e32 v[4:5], v[6:7], v[4:5]
	v_add_f64_e32 v[2:3], v[16:17], v[2:3]
	s_delay_alu instid0(VALU_DEP_2) | instskip(NEXT) | instid1(VALU_DEP_2)
	;; [unrolled: 3-line block ×3, first 2 shown]
	v_add_f64_e64 v[2:3], v[154:155], -v[4:5]
	v_add_f64_e64 v[4:5], v[156:157], -v[6:7]
	scratch_store_b128 off, v[2:5], off offset:80
	s_wait_xcnt 0x0
	v_cmpx_lt_u32_e32 4, v1
	s_cbranch_execz .LBB47_293
; %bb.292:
	scratch_load_b128 v[2:5], off, s47
	v_mov_b32_e32 v6, 0
	s_delay_alu instid0(VALU_DEP_1)
	v_dual_mov_b32 v7, v6 :: v_dual_mov_b32 v8, v6
	v_mov_b32_e32 v9, v6
	scratch_store_b128 off, v[6:9], off offset:64
	s_wait_loadcnt 0x0
	ds_store_b128 v120, v[2:5]
.LBB47_293:
	s_wait_xcnt 0x0
	s_or_b32 exec_lo, exec_lo, s2
	s_wait_storecnt_dscnt 0x0
	s_barrier_signal -1
	s_barrier_wait -1
	s_clause 0x9
	scratch_load_b128 v[4:7], off, off offset:80
	scratch_load_b128 v[8:11], off, off offset:96
	;; [unrolled: 1-line block ×10, first 2 shown]
	v_mov_b32_e32 v2, 0
	s_mov_b32 s2, exec_lo
	ds_load_b128 v[142:145], v2 offset:848
	s_clause 0x2
	scratch_load_b128 v[146:149], off, off offset:240
	scratch_load_b128 v[150:153], off, off offset:64
	;; [unrolled: 1-line block ×3, first 2 shown]
	s_wait_loadcnt_dscnt 0xc00
	v_mul_f64_e32 v[162:163], v[144:145], v[6:7]
	v_mul_f64_e32 v[166:167], v[142:143], v[6:7]
	ds_load_b128 v[154:157], v2 offset:864
	v_fma_f64 v[170:171], v[142:143], v[4:5], -v[162:163]
	v_fmac_f64_e32 v[166:167], v[144:145], v[4:5]
	ds_load_b128 v[4:7], v2 offset:880
	s_wait_loadcnt_dscnt 0xb01
	v_mul_f64_e32 v[168:169], v[154:155], v[10:11]
	v_mul_f64_e32 v[10:11], v[156:157], v[10:11]
	scratch_load_b128 v[142:145], off, off offset:272
	ds_load_b128 v[162:165], v2 offset:896
	s_wait_loadcnt_dscnt 0xb01
	v_mul_f64_e32 v[172:173], v[4:5], v[14:15]
	v_mul_f64_e32 v[14:15], v[6:7], v[14:15]
	v_add_f64_e32 v[166:167], 0, v[166:167]
	v_fmac_f64_e32 v[168:169], v[156:157], v[8:9]
	v_fma_f64 v[154:155], v[154:155], v[8:9], -v[10:11]
	v_add_f64_e32 v[156:157], 0, v[170:171]
	scratch_load_b128 v[8:11], off, off offset:288
	v_fmac_f64_e32 v[172:173], v[6:7], v[12:13]
	v_fma_f64 v[174:175], v[4:5], v[12:13], -v[14:15]
	ds_load_b128 v[4:7], v2 offset:912
	s_wait_loadcnt_dscnt 0xb01
	v_mul_f64_e32 v[170:171], v[162:163], v[18:19]
	v_mul_f64_e32 v[18:19], v[164:165], v[18:19]
	scratch_load_b128 v[12:15], off, off offset:304
	v_add_f64_e32 v[166:167], v[166:167], v[168:169]
	v_add_f64_e32 v[176:177], v[156:157], v[154:155]
	ds_load_b128 v[154:157], v2 offset:928
	s_wait_loadcnt_dscnt 0xb01
	v_mul_f64_e32 v[168:169], v[4:5], v[22:23]
	v_mul_f64_e32 v[22:23], v[6:7], v[22:23]
	v_fmac_f64_e32 v[170:171], v[164:165], v[16:17]
	v_fma_f64 v[162:163], v[162:163], v[16:17], -v[18:19]
	scratch_load_b128 v[16:19], off, off offset:320
	v_add_f64_e32 v[166:167], v[166:167], v[172:173]
	v_add_f64_e32 v[164:165], v[176:177], v[174:175]
	v_fmac_f64_e32 v[168:169], v[6:7], v[20:21]
	v_fma_f64 v[174:175], v[4:5], v[20:21], -v[22:23]
	ds_load_b128 v[4:7], v2 offset:944
	s_wait_loadcnt_dscnt 0xb01
	v_mul_f64_e32 v[172:173], v[154:155], v[124:125]
	v_mul_f64_e32 v[124:125], v[156:157], v[124:125]
	scratch_load_b128 v[20:23], off, off offset:336
	v_add_f64_e32 v[166:167], v[166:167], v[170:171]
	s_wait_loadcnt_dscnt 0xb00
	v_mul_f64_e32 v[170:171], v[4:5], v[128:129]
	v_add_f64_e32 v[176:177], v[164:165], v[162:163]
	v_mul_f64_e32 v[128:129], v[6:7], v[128:129]
	ds_load_b128 v[162:165], v2 offset:960
	v_fmac_f64_e32 v[172:173], v[156:157], v[122:123]
	v_fma_f64 v[154:155], v[154:155], v[122:123], -v[124:125]
	scratch_load_b128 v[122:125], off, off offset:352
	v_add_f64_e32 v[166:167], v[166:167], v[168:169]
	v_fmac_f64_e32 v[170:171], v[6:7], v[126:127]
	v_add_f64_e32 v[156:157], v[176:177], v[174:175]
	v_fma_f64 v[174:175], v[4:5], v[126:127], -v[128:129]
	ds_load_b128 v[4:7], v2 offset:976
	s_wait_loadcnt_dscnt 0xb01
	v_mul_f64_e32 v[168:169], v[162:163], v[132:133]
	v_mul_f64_e32 v[132:133], v[164:165], v[132:133]
	scratch_load_b128 v[126:129], off, off offset:368
	v_add_f64_e32 v[166:167], v[166:167], v[172:173]
	s_wait_loadcnt_dscnt 0xb00
	v_mul_f64_e32 v[172:173], v[4:5], v[136:137]
	v_add_f64_e32 v[176:177], v[156:157], v[154:155]
	v_mul_f64_e32 v[136:137], v[6:7], v[136:137]
	ds_load_b128 v[154:157], v2 offset:992
	v_fmac_f64_e32 v[168:169], v[164:165], v[130:131]
	v_fma_f64 v[162:163], v[162:163], v[130:131], -v[132:133]
	scratch_load_b128 v[130:133], off, off offset:384
	v_add_f64_e32 v[166:167], v[166:167], v[170:171]
	v_fmac_f64_e32 v[172:173], v[6:7], v[134:135]
	v_add_f64_e32 v[164:165], v[176:177], v[174:175]
	;; [unrolled: 18-line block ×3, first 2 shown]
	v_fma_f64 v[174:175], v[4:5], v[146:147], -v[148:149]
	ds_load_b128 v[4:7], v2 offset:1040
	s_wait_loadcnt_dscnt 0xa01
	v_mul_f64_e32 v[172:173], v[162:163], v[160:161]
	v_mul_f64_e32 v[160:161], v[164:165], v[160:161]
	scratch_load_b128 v[146:149], off, off offset:432
	v_add_f64_e32 v[166:167], v[166:167], v[170:171]
	v_add_f64_e32 v[176:177], v[156:157], v[154:155]
	s_wait_loadcnt_dscnt 0xa00
	v_mul_f64_e32 v[170:171], v[4:5], v[144:145]
	v_mul_f64_e32 v[144:145], v[6:7], v[144:145]
	v_fmac_f64_e32 v[172:173], v[164:165], v[158:159]
	v_fma_f64 v[162:163], v[162:163], v[158:159], -v[160:161]
	ds_load_b128 v[154:157], v2 offset:1056
	scratch_load_b128 v[158:161], off, off offset:448
	v_add_f64_e32 v[166:167], v[166:167], v[168:169]
	v_add_f64_e32 v[164:165], v[176:177], v[174:175]
	v_fmac_f64_e32 v[170:171], v[6:7], v[142:143]
	v_fma_f64 v[174:175], v[4:5], v[142:143], -v[144:145]
	ds_load_b128 v[4:7], v2 offset:1072
	s_wait_loadcnt_dscnt 0xa01
	v_mul_f64_e32 v[168:169], v[154:155], v[10:11]
	v_mul_f64_e32 v[10:11], v[156:157], v[10:11]
	scratch_load_b128 v[142:145], off, off offset:464
	v_add_f64_e32 v[166:167], v[166:167], v[172:173]
	s_wait_loadcnt_dscnt 0xa00
	v_mul_f64_e32 v[172:173], v[4:5], v[14:15]
	v_add_f64_e32 v[176:177], v[164:165], v[162:163]
	v_mul_f64_e32 v[14:15], v[6:7], v[14:15]
	ds_load_b128 v[162:165], v2 offset:1088
	v_fmac_f64_e32 v[168:169], v[156:157], v[8:9]
	v_fma_f64 v[154:155], v[154:155], v[8:9], -v[10:11]
	scratch_load_b128 v[8:11], off, off offset:480
	v_add_f64_e32 v[166:167], v[166:167], v[170:171]
	v_fmac_f64_e32 v[172:173], v[6:7], v[12:13]
	v_add_f64_e32 v[156:157], v[176:177], v[174:175]
	v_fma_f64 v[174:175], v[4:5], v[12:13], -v[14:15]
	ds_load_b128 v[4:7], v2 offset:1104
	s_wait_loadcnt_dscnt 0xa01
	v_mul_f64_e32 v[170:171], v[162:163], v[18:19]
	v_mul_f64_e32 v[18:19], v[164:165], v[18:19]
	scratch_load_b128 v[12:15], off, off offset:496
	v_add_f64_e32 v[166:167], v[166:167], v[168:169]
	s_wait_loadcnt_dscnt 0xa00
	v_mul_f64_e32 v[168:169], v[4:5], v[22:23]
	v_add_f64_e32 v[176:177], v[156:157], v[154:155]
	v_mul_f64_e32 v[22:23], v[6:7], v[22:23]
	ds_load_b128 v[154:157], v2 offset:1120
	v_fmac_f64_e32 v[170:171], v[164:165], v[16:17]
	v_fma_f64 v[162:163], v[162:163], v[16:17], -v[18:19]
	scratch_load_b128 v[16:19], off, off offset:512
	v_add_f64_e32 v[166:167], v[166:167], v[172:173]
	v_fmac_f64_e32 v[168:169], v[6:7], v[20:21]
	v_add_f64_e32 v[164:165], v[176:177], v[174:175]
	;; [unrolled: 18-line block ×9, first 2 shown]
	v_fma_f64 v[174:175], v[4:5], v[126:127], -v[128:129]
	ds_load_b128 v[4:7], v2 offset:1360
	s_wait_loadcnt_dscnt 0xa01
	v_mul_f64_e32 v[168:169], v[162:163], v[132:133]
	v_mul_f64_e32 v[132:133], v[164:165], v[132:133]
	scratch_load_b128 v[126:129], off, off offset:752
	v_add_f64_e32 v[166:167], v[166:167], v[172:173]
	s_wait_loadcnt_dscnt 0xa00
	v_mul_f64_e32 v[172:173], v[4:5], v[136:137]
	v_add_f64_e32 v[176:177], v[156:157], v[154:155]
	v_mul_f64_e32 v[136:137], v[6:7], v[136:137]
	ds_load_b128 v[154:157], v2 offset:1376
	v_fmac_f64_e32 v[168:169], v[164:165], v[130:131]
	v_fma_f64 v[130:131], v[162:163], v[130:131], -v[132:133]
	s_wait_loadcnt_dscnt 0x900
	v_mul_f64_e32 v[164:165], v[154:155], v[140:141]
	v_mul_f64_e32 v[140:141], v[156:157], v[140:141]
	v_add_f64_e32 v[162:163], v[166:167], v[170:171]
	v_fmac_f64_e32 v[172:173], v[6:7], v[134:135]
	v_add_f64_e32 v[132:133], v[176:177], v[174:175]
	v_fma_f64 v[134:135], v[4:5], v[134:135], -v[136:137]
	v_fmac_f64_e32 v[164:165], v[156:157], v[138:139]
	v_fma_f64 v[138:139], v[154:155], v[138:139], -v[140:141]
	v_add_f64_e32 v[162:163], v[162:163], v[168:169]
	v_add_f64_e32 v[136:137], v[132:133], v[130:131]
	ds_load_b128 v[4:7], v2 offset:1392
	ds_load_b128 v[130:133], v2 offset:1408
	s_wait_loadcnt_dscnt 0x801
	v_mul_f64_e32 v[166:167], v[4:5], v[148:149]
	v_mul_f64_e32 v[148:149], v[6:7], v[148:149]
	s_wait_loadcnt_dscnt 0x700
	v_mul_f64_e32 v[140:141], v[130:131], v[160:161]
	v_mul_f64_e32 v[154:155], v[132:133], v[160:161]
	v_add_f64_e32 v[134:135], v[136:137], v[134:135]
	v_add_f64_e32 v[136:137], v[162:163], v[172:173]
	v_fmac_f64_e32 v[166:167], v[6:7], v[146:147]
	v_fma_f64 v[146:147], v[4:5], v[146:147], -v[148:149]
	v_fmac_f64_e32 v[140:141], v[132:133], v[158:159]
	v_fma_f64 v[130:131], v[130:131], v[158:159], -v[154:155]
	v_add_f64_e32 v[138:139], v[134:135], v[138:139]
	v_add_f64_e32 v[148:149], v[136:137], v[164:165]
	ds_load_b128 v[4:7], v2 offset:1424
	ds_load_b128 v[134:137], v2 offset:1440
	s_wait_loadcnt_dscnt 0x601
	v_mul_f64_e32 v[156:157], v[4:5], v[144:145]
	v_mul_f64_e32 v[144:145], v[6:7], v[144:145]
	v_add_f64_e32 v[132:133], v[138:139], v[146:147]
	v_add_f64_e32 v[138:139], v[148:149], v[166:167]
	s_wait_loadcnt_dscnt 0x500
	v_mul_f64_e32 v[146:147], v[134:135], v[10:11]
	v_mul_f64_e32 v[10:11], v[136:137], v[10:11]
	v_fmac_f64_e32 v[156:157], v[6:7], v[142:143]
	v_fma_f64 v[142:143], v[4:5], v[142:143], -v[144:145]
	v_add_f64_e32 v[144:145], v[132:133], v[130:131]
	v_add_f64_e32 v[138:139], v[138:139], v[140:141]
	ds_load_b128 v[4:7], v2 offset:1456
	ds_load_b128 v[130:133], v2 offset:1472
	v_fmac_f64_e32 v[146:147], v[136:137], v[8:9]
	v_fma_f64 v[8:9], v[134:135], v[8:9], -v[10:11]
	s_wait_loadcnt_dscnt 0x401
	v_mul_f64_e32 v[140:141], v[4:5], v[14:15]
	v_mul_f64_e32 v[14:15], v[6:7], v[14:15]
	s_wait_loadcnt_dscnt 0x300
	v_mul_f64_e32 v[136:137], v[130:131], v[18:19]
	v_mul_f64_e32 v[18:19], v[132:133], v[18:19]
	v_add_f64_e32 v[10:11], v[144:145], v[142:143]
	v_add_f64_e32 v[134:135], v[138:139], v[156:157]
	v_fmac_f64_e32 v[140:141], v[6:7], v[12:13]
	v_fma_f64 v[12:13], v[4:5], v[12:13], -v[14:15]
	v_fmac_f64_e32 v[136:137], v[132:133], v[16:17]
	v_fma_f64 v[16:17], v[130:131], v[16:17], -v[18:19]
	v_add_f64_e32 v[14:15], v[10:11], v[8:9]
	v_add_f64_e32 v[134:135], v[134:135], v[146:147]
	ds_load_b128 v[4:7], v2 offset:1488
	ds_load_b128 v[8:11], v2 offset:1504
	s_wait_loadcnt_dscnt 0x201
	v_mul_f64_e32 v[138:139], v[4:5], v[22:23]
	v_mul_f64_e32 v[22:23], v[6:7], v[22:23]
	s_wait_loadcnt_dscnt 0x100
	v_mul_f64_e32 v[18:19], v[8:9], v[124:125]
	v_mul_f64_e32 v[124:125], v[10:11], v[124:125]
	v_add_f64_e32 v[12:13], v[14:15], v[12:13]
	v_add_f64_e32 v[14:15], v[134:135], v[140:141]
	v_fmac_f64_e32 v[138:139], v[6:7], v[20:21]
	v_fma_f64 v[20:21], v[4:5], v[20:21], -v[22:23]
	ds_load_b128 v[4:7], v2 offset:1520
	v_fmac_f64_e32 v[18:19], v[10:11], v[122:123]
	v_fma_f64 v[8:9], v[8:9], v[122:123], -v[124:125]
	v_add_f64_e32 v[12:13], v[12:13], v[16:17]
	v_add_f64_e32 v[14:15], v[14:15], v[136:137]
	s_wait_loadcnt_dscnt 0x0
	v_mul_f64_e32 v[16:17], v[4:5], v[128:129]
	v_mul_f64_e32 v[22:23], v[6:7], v[128:129]
	s_delay_alu instid0(VALU_DEP_4) | instskip(NEXT) | instid1(VALU_DEP_4)
	v_add_f64_e32 v[10:11], v[12:13], v[20:21]
	v_add_f64_e32 v[12:13], v[14:15], v[138:139]
	s_delay_alu instid0(VALU_DEP_4) | instskip(NEXT) | instid1(VALU_DEP_4)
	v_fmac_f64_e32 v[16:17], v[6:7], v[126:127]
	v_fma_f64 v[4:5], v[4:5], v[126:127], -v[22:23]
	s_delay_alu instid0(VALU_DEP_4) | instskip(NEXT) | instid1(VALU_DEP_4)
	v_add_f64_e32 v[6:7], v[10:11], v[8:9]
	v_add_f64_e32 v[8:9], v[12:13], v[18:19]
	s_delay_alu instid0(VALU_DEP_2) | instskip(NEXT) | instid1(VALU_DEP_2)
	v_add_f64_e32 v[4:5], v[6:7], v[4:5]
	v_add_f64_e32 v[6:7], v[8:9], v[16:17]
	s_delay_alu instid0(VALU_DEP_2) | instskip(NEXT) | instid1(VALU_DEP_2)
	v_add_f64_e64 v[4:5], v[150:151], -v[4:5]
	v_add_f64_e64 v[6:7], v[152:153], -v[6:7]
	scratch_store_b128 off, v[4:7], off offset:64
	s_wait_xcnt 0x0
	v_cmpx_lt_u32_e32 3, v1
	s_cbranch_execz .LBB47_295
; %bb.294:
	scratch_load_b128 v[6:9], off, s46
	v_dual_mov_b32 v3, v2 :: v_dual_mov_b32 v4, v2
	v_mov_b32_e32 v5, v2
	scratch_store_b128 off, v[2:5], off offset:48
	s_wait_loadcnt 0x0
	ds_store_b128 v120, v[6:9]
.LBB47_295:
	s_wait_xcnt 0x0
	s_or_b32 exec_lo, exec_lo, s2
	s_wait_storecnt_dscnt 0x0
	s_barrier_signal -1
	s_barrier_wait -1
	s_clause 0x9
	scratch_load_b128 v[4:7], off, off offset:64
	scratch_load_b128 v[8:11], off, off offset:80
	;; [unrolled: 1-line block ×10, first 2 shown]
	ds_load_b128 v[142:145], v2 offset:832
	ds_load_b128 v[150:153], v2 offset:848
	s_clause 0x2
	scratch_load_b128 v[146:149], off, off offset:224
	scratch_load_b128 v[154:157], off, off offset:48
	;; [unrolled: 1-line block ×3, first 2 shown]
	s_mov_b32 s2, exec_lo
	s_wait_loadcnt_dscnt 0xc01
	v_mul_f64_e32 v[162:163], v[144:145], v[6:7]
	v_mul_f64_e32 v[166:167], v[142:143], v[6:7]
	s_wait_loadcnt_dscnt 0xb00
	v_mul_f64_e32 v[168:169], v[150:151], v[10:11]
	v_mul_f64_e32 v[10:11], v[152:153], v[10:11]
	s_delay_alu instid0(VALU_DEP_4) | instskip(NEXT) | instid1(VALU_DEP_4)
	v_fma_f64 v[170:171], v[142:143], v[4:5], -v[162:163]
	v_fmac_f64_e32 v[166:167], v[144:145], v[4:5]
	ds_load_b128 v[4:7], v2 offset:864
	ds_load_b128 v[142:145], v2 offset:880
	scratch_load_b128 v[162:165], off, off offset:256
	v_fmac_f64_e32 v[168:169], v[152:153], v[8:9]
	v_fma_f64 v[150:151], v[150:151], v[8:9], -v[10:11]
	scratch_load_b128 v[8:11], off, off offset:272
	s_wait_loadcnt_dscnt 0xc01
	v_mul_f64_e32 v[172:173], v[4:5], v[14:15]
	v_mul_f64_e32 v[14:15], v[6:7], v[14:15]
	v_add_f64_e32 v[152:153], 0, v[170:171]
	v_add_f64_e32 v[166:167], 0, v[166:167]
	s_wait_loadcnt_dscnt 0xb00
	v_mul_f64_e32 v[170:171], v[142:143], v[18:19]
	v_mul_f64_e32 v[18:19], v[144:145], v[18:19]
	v_fmac_f64_e32 v[172:173], v[6:7], v[12:13]
	v_fma_f64 v[174:175], v[4:5], v[12:13], -v[14:15]
	ds_load_b128 v[4:7], v2 offset:896
	ds_load_b128 v[12:15], v2 offset:912
	v_add_f64_e32 v[176:177], v[152:153], v[150:151]
	v_add_f64_e32 v[166:167], v[166:167], v[168:169]
	scratch_load_b128 v[150:153], off, off offset:288
	v_fmac_f64_e32 v[170:171], v[144:145], v[16:17]
	v_fma_f64 v[142:143], v[142:143], v[16:17], -v[18:19]
	scratch_load_b128 v[16:19], off, off offset:304
	s_wait_loadcnt_dscnt 0xc01
	v_mul_f64_e32 v[168:169], v[4:5], v[22:23]
	v_mul_f64_e32 v[22:23], v[6:7], v[22:23]
	v_add_f64_e32 v[144:145], v[176:177], v[174:175]
	v_add_f64_e32 v[166:167], v[166:167], v[172:173]
	s_wait_loadcnt_dscnt 0xb00
	v_mul_f64_e32 v[172:173], v[12:13], v[124:125]
	v_mul_f64_e32 v[124:125], v[14:15], v[124:125]
	v_fmac_f64_e32 v[168:169], v[6:7], v[20:21]
	v_fma_f64 v[174:175], v[4:5], v[20:21], -v[22:23]
	ds_load_b128 v[4:7], v2 offset:928
	ds_load_b128 v[20:23], v2 offset:944
	v_add_f64_e32 v[176:177], v[144:145], v[142:143]
	v_add_f64_e32 v[166:167], v[166:167], v[170:171]
	scratch_load_b128 v[142:145], off, off offset:320
	s_wait_loadcnt_dscnt 0xb01
	v_mul_f64_e32 v[170:171], v[4:5], v[128:129]
	v_mul_f64_e32 v[128:129], v[6:7], v[128:129]
	v_fmac_f64_e32 v[172:173], v[14:15], v[122:123]
	v_fma_f64 v[122:123], v[12:13], v[122:123], -v[124:125]
	scratch_load_b128 v[12:15], off, off offset:336
	v_add_f64_e32 v[124:125], v[176:177], v[174:175]
	v_add_f64_e32 v[166:167], v[166:167], v[168:169]
	s_wait_loadcnt_dscnt 0xb00
	v_mul_f64_e32 v[168:169], v[20:21], v[132:133]
	v_mul_f64_e32 v[132:133], v[22:23], v[132:133]
	v_fmac_f64_e32 v[170:171], v[6:7], v[126:127]
	v_fma_f64 v[174:175], v[4:5], v[126:127], -v[128:129]
	v_add_f64_e32 v[176:177], v[124:125], v[122:123]
	v_add_f64_e32 v[166:167], v[166:167], v[172:173]
	ds_load_b128 v[4:7], v2 offset:960
	ds_load_b128 v[122:125], v2 offset:976
	scratch_load_b128 v[126:129], off, off offset:352
	v_fmac_f64_e32 v[168:169], v[22:23], v[130:131]
	v_fma_f64 v[130:131], v[20:21], v[130:131], -v[132:133]
	scratch_load_b128 v[20:23], off, off offset:368
	s_wait_loadcnt_dscnt 0xc01
	v_mul_f64_e32 v[172:173], v[4:5], v[136:137]
	v_mul_f64_e32 v[136:137], v[6:7], v[136:137]
	v_add_f64_e32 v[132:133], v[176:177], v[174:175]
	v_add_f64_e32 v[166:167], v[166:167], v[170:171]
	s_wait_loadcnt_dscnt 0xb00
	v_mul_f64_e32 v[170:171], v[122:123], v[140:141]
	v_mul_f64_e32 v[140:141], v[124:125], v[140:141]
	v_fmac_f64_e32 v[172:173], v[6:7], v[134:135]
	v_fma_f64 v[174:175], v[4:5], v[134:135], -v[136:137]
	v_add_f64_e32 v[176:177], v[132:133], v[130:131]
	v_add_f64_e32 v[166:167], v[166:167], v[168:169]
	ds_load_b128 v[4:7], v2 offset:992
	ds_load_b128 v[130:133], v2 offset:1008
	scratch_load_b128 v[134:137], off, off offset:384
	v_fmac_f64_e32 v[170:171], v[124:125], v[138:139]
	v_fma_f64 v[138:139], v[122:123], v[138:139], -v[140:141]
	scratch_load_b128 v[122:125], off, off offset:400
	s_wait_loadcnt_dscnt 0xc01
	v_mul_f64_e32 v[168:169], v[4:5], v[148:149]
	v_mul_f64_e32 v[148:149], v[6:7], v[148:149]
	;; [unrolled: 18-line block ×5, first 2 shown]
	v_add_f64_e32 v[160:161], v[176:177], v[174:175]
	v_add_f64_e32 v[166:167], v[166:167], v[172:173]
	s_wait_loadcnt_dscnt 0xa00
	v_mul_f64_e32 v[172:173], v[138:139], v[14:15]
	v_mul_f64_e32 v[14:15], v[140:141], v[14:15]
	v_fmac_f64_e32 v[168:169], v[6:7], v[142:143]
	v_fma_f64 v[174:175], v[4:5], v[142:143], -v[144:145]
	ds_load_b128 v[4:7], v2 offset:1120
	ds_load_b128 v[142:145], v2 offset:1136
	v_add_f64_e32 v[176:177], v[160:161], v[158:159]
	v_add_f64_e32 v[166:167], v[166:167], v[170:171]
	scratch_load_b128 v[158:161], off, off offset:512
	v_fmac_f64_e32 v[172:173], v[140:141], v[12:13]
	v_fma_f64 v[138:139], v[138:139], v[12:13], -v[14:15]
	scratch_load_b128 v[12:15], off, off offset:528
	s_wait_loadcnt_dscnt 0xb01
	v_mul_f64_e32 v[170:171], v[4:5], v[128:129]
	v_mul_f64_e32 v[128:129], v[6:7], v[128:129]
	v_add_f64_e32 v[140:141], v[176:177], v[174:175]
	v_add_f64_e32 v[166:167], v[166:167], v[168:169]
	s_wait_loadcnt_dscnt 0xa00
	v_mul_f64_e32 v[168:169], v[142:143], v[22:23]
	v_mul_f64_e32 v[22:23], v[144:145], v[22:23]
	v_fmac_f64_e32 v[170:171], v[6:7], v[126:127]
	v_fma_f64 v[174:175], v[4:5], v[126:127], -v[128:129]
	ds_load_b128 v[4:7], v2 offset:1152
	ds_load_b128 v[126:129], v2 offset:1168
	v_add_f64_e32 v[176:177], v[140:141], v[138:139]
	v_add_f64_e32 v[166:167], v[166:167], v[172:173]
	scratch_load_b128 v[138:141], off, off offset:544
	s_wait_loadcnt_dscnt 0xa01
	v_mul_f64_e32 v[172:173], v[4:5], v[136:137]
	v_mul_f64_e32 v[136:137], v[6:7], v[136:137]
	v_fmac_f64_e32 v[168:169], v[144:145], v[20:21]
	v_fma_f64 v[142:143], v[142:143], v[20:21], -v[22:23]
	scratch_load_b128 v[20:23], off, off offset:560
	v_add_f64_e32 v[144:145], v[176:177], v[174:175]
	v_add_f64_e32 v[166:167], v[166:167], v[170:171]
	s_wait_loadcnt_dscnt 0xa00
	v_mul_f64_e32 v[170:171], v[126:127], v[124:125]
	v_mul_f64_e32 v[124:125], v[128:129], v[124:125]
	v_fmac_f64_e32 v[172:173], v[6:7], v[134:135]
	v_fma_f64 v[174:175], v[4:5], v[134:135], -v[136:137]
	ds_load_b128 v[4:7], v2 offset:1184
	ds_load_b128 v[134:137], v2 offset:1200
	v_add_f64_e32 v[176:177], v[144:145], v[142:143]
	v_add_f64_e32 v[166:167], v[166:167], v[168:169]
	scratch_load_b128 v[142:145], off, off offset:576
	s_wait_loadcnt_dscnt 0xa01
	v_mul_f64_e32 v[168:169], v[4:5], v[148:149]
	v_mul_f64_e32 v[148:149], v[6:7], v[148:149]
	v_fmac_f64_e32 v[170:171], v[128:129], v[122:123]
	v_fma_f64 v[126:127], v[126:127], v[122:123], -v[124:125]
	scratch_load_b128 v[122:125], off, off offset:592
	v_add_f64_e32 v[128:129], v[176:177], v[174:175]
	v_add_f64_e32 v[166:167], v[166:167], v[172:173]
	s_wait_loadcnt_dscnt 0xa00
	v_mul_f64_e32 v[172:173], v[134:135], v[132:133]
	v_mul_f64_e32 v[132:133], v[136:137], v[132:133]
	v_fmac_f64_e32 v[168:169], v[6:7], v[146:147]
	v_fma_f64 v[174:175], v[4:5], v[146:147], -v[148:149]
	v_add_f64_e32 v[176:177], v[128:129], v[126:127]
	v_add_f64_e32 v[166:167], v[166:167], v[170:171]
	ds_load_b128 v[4:7], v2 offset:1216
	ds_load_b128 v[126:129], v2 offset:1232
	scratch_load_b128 v[146:149], off, off offset:608
	v_fmac_f64_e32 v[172:173], v[136:137], v[130:131]
	v_fma_f64 v[134:135], v[134:135], v[130:131], -v[132:133]
	scratch_load_b128 v[130:133], off, off offset:624
	s_wait_loadcnt_dscnt 0xb01
	v_mul_f64_e32 v[170:171], v[4:5], v[164:165]
	v_mul_f64_e32 v[164:165], v[6:7], v[164:165]
	v_add_f64_e32 v[136:137], v[176:177], v[174:175]
	v_add_f64_e32 v[166:167], v[166:167], v[168:169]
	s_wait_loadcnt_dscnt 0xa00
	v_mul_f64_e32 v[168:169], v[126:127], v[10:11]
	v_mul_f64_e32 v[10:11], v[128:129], v[10:11]
	v_fmac_f64_e32 v[170:171], v[6:7], v[162:163]
	v_fma_f64 v[174:175], v[4:5], v[162:163], -v[164:165]
	v_add_f64_e32 v[176:177], v[136:137], v[134:135]
	v_add_f64_e32 v[166:167], v[166:167], v[172:173]
	ds_load_b128 v[4:7], v2 offset:1248
	ds_load_b128 v[134:137], v2 offset:1264
	scratch_load_b128 v[162:165], off, off offset:640
	v_fmac_f64_e32 v[168:169], v[128:129], v[8:9]
	v_fma_f64 v[126:127], v[126:127], v[8:9], -v[10:11]
	scratch_load_b128 v[8:11], off, off offset:656
	s_wait_loadcnt_dscnt 0xb01
	v_mul_f64_e32 v[172:173], v[4:5], v[152:153]
	v_mul_f64_e32 v[152:153], v[6:7], v[152:153]
	;; [unrolled: 18-line block ×5, first 2 shown]
	v_add_f64_e32 v[136:137], v[176:177], v[174:175]
	v_add_f64_e32 v[166:167], v[166:167], v[170:171]
	s_wait_loadcnt_dscnt 0xa00
	v_mul_f64_e32 v[170:171], v[126:127], v[124:125]
	v_mul_f64_e32 v[124:125], v[128:129], v[124:125]
	v_fmac_f64_e32 v[172:173], v[6:7], v[142:143]
	v_fma_f64 v[142:143], v[4:5], v[142:143], -v[144:145]
	v_add_f64_e32 v[144:145], v[136:137], v[134:135]
	v_add_f64_e32 v[166:167], v[166:167], v[168:169]
	ds_load_b128 v[4:7], v2 offset:1376
	ds_load_b128 v[134:137], v2 offset:1392
	v_fmac_f64_e32 v[170:171], v[128:129], v[122:123]
	v_fma_f64 v[122:123], v[126:127], v[122:123], -v[124:125]
	s_wait_loadcnt_dscnt 0x901
	v_mul_f64_e32 v[168:169], v[4:5], v[148:149]
	v_mul_f64_e32 v[148:149], v[6:7], v[148:149]
	s_wait_loadcnt_dscnt 0x800
	v_mul_f64_e32 v[128:129], v[134:135], v[132:133]
	v_mul_f64_e32 v[132:133], v[136:137], v[132:133]
	v_add_f64_e32 v[124:125], v[144:145], v[142:143]
	v_add_f64_e32 v[126:127], v[166:167], v[172:173]
	v_fmac_f64_e32 v[168:169], v[6:7], v[146:147]
	v_fma_f64 v[142:143], v[4:5], v[146:147], -v[148:149]
	v_fmac_f64_e32 v[128:129], v[136:137], v[130:131]
	v_fma_f64 v[130:131], v[134:135], v[130:131], -v[132:133]
	v_add_f64_e32 v[144:145], v[124:125], v[122:123]
	v_add_f64_e32 v[126:127], v[126:127], v[170:171]
	ds_load_b128 v[4:7], v2 offset:1408
	ds_load_b128 v[122:125], v2 offset:1424
	s_wait_loadcnt_dscnt 0x701
	v_mul_f64_e32 v[146:147], v[4:5], v[164:165]
	v_mul_f64_e32 v[148:149], v[6:7], v[164:165]
	s_wait_loadcnt_dscnt 0x600
	v_mul_f64_e32 v[134:135], v[122:123], v[10:11]
	v_mul_f64_e32 v[10:11], v[124:125], v[10:11]
	v_add_f64_e32 v[132:133], v[144:145], v[142:143]
	v_add_f64_e32 v[126:127], v[126:127], v[168:169]
	v_fmac_f64_e32 v[146:147], v[6:7], v[162:163]
	v_fma_f64 v[136:137], v[4:5], v[162:163], -v[148:149]
	v_fmac_f64_e32 v[134:135], v[124:125], v[8:9]
	v_fma_f64 v[8:9], v[122:123], v[8:9], -v[10:11]
	v_add_f64_e32 v[130:131], v[132:133], v[130:131]
	v_add_f64_e32 v[132:133], v[126:127], v[128:129]
	ds_load_b128 v[4:7], v2 offset:1440
	ds_load_b128 v[126:129], v2 offset:1456
	;; [unrolled: 16-line block ×4, first 2 shown]
	s_wait_loadcnt_dscnt 0x101
	v_mul_f64_e32 v[2:3], v[4:5], v[140:141]
	v_mul_f64_e32 v[124:125], v[6:7], v[140:141]
	v_add_f64_e32 v[10:11], v[18:19], v[130:131]
	v_add_f64_e32 v[12:13], v[122:123], v[134:135]
	s_wait_loadcnt_dscnt 0x0
	v_mul_f64_e32 v[18:19], v[14:15], v[22:23]
	v_mul_f64_e32 v[22:23], v[16:17], v[22:23]
	v_fmac_f64_e32 v[2:3], v[6:7], v[138:139]
	v_fma_f64 v[4:5], v[4:5], v[138:139], -v[124:125]
	v_add_f64_e32 v[6:7], v[10:11], v[8:9]
	v_add_f64_e32 v[8:9], v[12:13], v[126:127]
	v_fmac_f64_e32 v[18:19], v[16:17], v[20:21]
	v_fma_f64 v[10:11], v[14:15], v[20:21], -v[22:23]
	s_delay_alu instid0(VALU_DEP_4) | instskip(NEXT) | instid1(VALU_DEP_4)
	v_add_f64_e32 v[4:5], v[6:7], v[4:5]
	v_add_f64_e32 v[2:3], v[8:9], v[2:3]
	s_delay_alu instid0(VALU_DEP_2) | instskip(NEXT) | instid1(VALU_DEP_2)
	v_add_f64_e32 v[4:5], v[4:5], v[10:11]
	v_add_f64_e32 v[6:7], v[2:3], v[18:19]
	s_delay_alu instid0(VALU_DEP_2) | instskip(NEXT) | instid1(VALU_DEP_2)
	v_add_f64_e64 v[2:3], v[154:155], -v[4:5]
	v_add_f64_e64 v[4:5], v[156:157], -v[6:7]
	scratch_store_b128 off, v[2:5], off offset:48
	s_wait_xcnt 0x0
	v_cmpx_lt_u32_e32 2, v1
	s_cbranch_execz .LBB47_297
; %bb.296:
	scratch_load_b128 v[2:5], off, s45
	v_mov_b32_e32 v6, 0
	s_delay_alu instid0(VALU_DEP_1)
	v_dual_mov_b32 v7, v6 :: v_dual_mov_b32 v8, v6
	v_mov_b32_e32 v9, v6
	scratch_store_b128 off, v[6:9], off offset:32
	s_wait_loadcnt 0x0
	ds_store_b128 v120, v[2:5]
.LBB47_297:
	s_wait_xcnt 0x0
	s_or_b32 exec_lo, exec_lo, s2
	s_wait_storecnt_dscnt 0x0
	s_barrier_signal -1
	s_barrier_wait -1
	s_clause 0x9
	scratch_load_b128 v[4:7], off, off offset:48
	scratch_load_b128 v[8:11], off, off offset:64
	;; [unrolled: 1-line block ×10, first 2 shown]
	v_mov_b32_e32 v2, 0
	s_mov_b32 s2, exec_lo
	v_dual_ashrrev_i32 v29, 31, v28 :: v_dual_ashrrev_i32 v31, 31, v30
	v_ashrrev_i32_e32 v33, 31, v32
	ds_load_b128 v[142:145], v2 offset:816
	s_clause 0x2
	scratch_load_b128 v[146:149], off, off offset:208
	scratch_load_b128 v[150:153], off, off offset:32
	;; [unrolled: 1-line block ×3, first 2 shown]
	v_ashrrev_i32_e32 v37, 31, v36
	v_ashrrev_i32_e32 v41, 31, v40
	v_dual_ashrrev_i32 v45, 31, v44 :: v_dual_ashrrev_i32 v35, 31, v34
	v_ashrrev_i32_e32 v49, 31, v48
	v_dual_ashrrev_i32 v53, 31, v52 :: v_dual_ashrrev_i32 v39, 31, v38
	;; [unrolled: 2-line block ×3, first 2 shown]
	v_ashrrev_i32_e32 v65, 31, v64
	v_ashrrev_i32_e32 v69, 31, v68
	v_dual_ashrrev_i32 v73, 31, v72 :: v_dual_ashrrev_i32 v47, 31, v46
	v_dual_ashrrev_i32 v51, 31, v50 :: v_dual_ashrrev_i32 v77, 31, v76
	v_ashrrev_i32_e32 v55, 31, v54
	v_ashrrev_i32_e32 v59, 31, v58
	v_dual_ashrrev_i32 v63, 31, v62 :: v_dual_ashrrev_i32 v81, 31, v80
	v_dual_ashrrev_i32 v85, 31, v84 :: v_dual_ashrrev_i32 v67, 31, v66
	;; [unrolled: 1-line block ×4, first 2 shown]
	v_ashrrev_i32_e32 v79, 31, v78
	v_dual_ashrrev_i32 v83, 31, v82 :: v_dual_ashrrev_i32 v97, 31, v96
	v_dual_ashrrev_i32 v87, 31, v86 :: v_dual_ashrrev_i32 v101, 31, v100
	v_ashrrev_i32_e32 v91, 31, v90
	v_dual_ashrrev_i32 v95, 31, v94 :: v_dual_ashrrev_i32 v105, 31, v104
	v_ashrrev_i32_e32 v109, 31, v108
	v_dual_ashrrev_i32 v113, 31, v112 :: v_dual_ashrrev_i32 v99, 31, v98
	v_dual_ashrrev_i32 v103, 31, v102 :: v_dual_ashrrev_i32 v117, 31, v116
	v_ashrrev_i32_e32 v107, 31, v106
	v_ashrrev_i32_e32 v111, 31, v110
	v_ashrrev_i32_e32 v115, 31, v114
	v_ashrrev_i32_e32 v119, 31, v118
	s_wait_loadcnt_dscnt 0xc00
	v_mul_f64_e32 v[162:163], v[144:145], v[6:7]
	v_mul_f64_e32 v[166:167], v[142:143], v[6:7]
	ds_load_b128 v[154:157], v2 offset:832
	v_fma_f64 v[170:171], v[142:143], v[4:5], -v[162:163]
	v_fmac_f64_e32 v[166:167], v[144:145], v[4:5]
	ds_load_b128 v[4:7], v2 offset:848
	s_wait_loadcnt_dscnt 0xb01
	v_mul_f64_e32 v[168:169], v[154:155], v[10:11]
	v_mul_f64_e32 v[10:11], v[156:157], v[10:11]
	scratch_load_b128 v[142:145], off, off offset:240
	ds_load_b128 v[162:165], v2 offset:864
	s_wait_loadcnt_dscnt 0xb01
	v_mul_f64_e32 v[172:173], v[4:5], v[14:15]
	v_mul_f64_e32 v[14:15], v[6:7], v[14:15]
	v_add_f64_e32 v[166:167], 0, v[166:167]
	v_fmac_f64_e32 v[168:169], v[156:157], v[8:9]
	v_fma_f64 v[154:155], v[154:155], v[8:9], -v[10:11]
	v_add_f64_e32 v[156:157], 0, v[170:171]
	scratch_load_b128 v[8:11], off, off offset:256
	v_fmac_f64_e32 v[172:173], v[6:7], v[12:13]
	v_fma_f64 v[174:175], v[4:5], v[12:13], -v[14:15]
	ds_load_b128 v[4:7], v2 offset:880
	s_wait_loadcnt_dscnt 0xb01
	v_mul_f64_e32 v[170:171], v[162:163], v[18:19]
	v_mul_f64_e32 v[18:19], v[164:165], v[18:19]
	scratch_load_b128 v[12:15], off, off offset:272
	v_add_f64_e32 v[166:167], v[166:167], v[168:169]
	v_add_f64_e32 v[176:177], v[156:157], v[154:155]
	ds_load_b128 v[154:157], v2 offset:896
	s_wait_loadcnt_dscnt 0xb01
	v_mul_f64_e32 v[168:169], v[4:5], v[22:23]
	v_mul_f64_e32 v[22:23], v[6:7], v[22:23]
	v_fmac_f64_e32 v[170:171], v[164:165], v[16:17]
	v_fma_f64 v[162:163], v[162:163], v[16:17], -v[18:19]
	scratch_load_b128 v[16:19], off, off offset:288
	v_add_f64_e32 v[166:167], v[166:167], v[172:173]
	v_add_f64_e32 v[164:165], v[176:177], v[174:175]
	v_fmac_f64_e32 v[168:169], v[6:7], v[20:21]
	v_fma_f64 v[174:175], v[4:5], v[20:21], -v[22:23]
	ds_load_b128 v[4:7], v2 offset:912
	s_wait_loadcnt_dscnt 0xb01
	v_mul_f64_e32 v[172:173], v[154:155], v[124:125]
	v_mul_f64_e32 v[124:125], v[156:157], v[124:125]
	scratch_load_b128 v[20:23], off, off offset:304
	v_add_f64_e32 v[166:167], v[166:167], v[170:171]
	s_wait_loadcnt_dscnt 0xb00
	v_mul_f64_e32 v[170:171], v[4:5], v[128:129]
	v_add_f64_e32 v[176:177], v[164:165], v[162:163]
	v_mul_f64_e32 v[128:129], v[6:7], v[128:129]
	ds_load_b128 v[162:165], v2 offset:928
	v_fmac_f64_e32 v[172:173], v[156:157], v[122:123]
	v_fma_f64 v[154:155], v[154:155], v[122:123], -v[124:125]
	scratch_load_b128 v[122:125], off, off offset:320
	v_add_f64_e32 v[166:167], v[166:167], v[168:169]
	v_fmac_f64_e32 v[170:171], v[6:7], v[126:127]
	v_add_f64_e32 v[156:157], v[176:177], v[174:175]
	v_fma_f64 v[174:175], v[4:5], v[126:127], -v[128:129]
	ds_load_b128 v[4:7], v2 offset:944
	s_wait_loadcnt_dscnt 0xb01
	v_mul_f64_e32 v[168:169], v[162:163], v[132:133]
	v_mul_f64_e32 v[132:133], v[164:165], v[132:133]
	scratch_load_b128 v[126:129], off, off offset:336
	v_add_f64_e32 v[166:167], v[166:167], v[172:173]
	s_wait_loadcnt_dscnt 0xb00
	v_mul_f64_e32 v[172:173], v[4:5], v[136:137]
	v_add_f64_e32 v[176:177], v[156:157], v[154:155]
	v_mul_f64_e32 v[136:137], v[6:7], v[136:137]
	ds_load_b128 v[154:157], v2 offset:960
	v_fmac_f64_e32 v[168:169], v[164:165], v[130:131]
	v_fma_f64 v[162:163], v[162:163], v[130:131], -v[132:133]
	scratch_load_b128 v[130:133], off, off offset:352
	v_add_f64_e32 v[166:167], v[166:167], v[170:171]
	v_fmac_f64_e32 v[172:173], v[6:7], v[134:135]
	v_add_f64_e32 v[164:165], v[176:177], v[174:175]
	;; [unrolled: 18-line block ×3, first 2 shown]
	v_fma_f64 v[174:175], v[4:5], v[146:147], -v[148:149]
	ds_load_b128 v[4:7], v2 offset:1008
	s_wait_loadcnt_dscnt 0xa01
	v_mul_f64_e32 v[172:173], v[162:163], v[160:161]
	v_mul_f64_e32 v[160:161], v[164:165], v[160:161]
	scratch_load_b128 v[146:149], off, off offset:400
	v_add_f64_e32 v[166:167], v[166:167], v[170:171]
	v_add_f64_e32 v[176:177], v[156:157], v[154:155]
	s_wait_loadcnt_dscnt 0xa00
	v_mul_f64_e32 v[170:171], v[4:5], v[144:145]
	v_mul_f64_e32 v[144:145], v[6:7], v[144:145]
	v_fmac_f64_e32 v[172:173], v[164:165], v[158:159]
	v_fma_f64 v[162:163], v[162:163], v[158:159], -v[160:161]
	ds_load_b128 v[154:157], v2 offset:1024
	scratch_load_b128 v[158:161], off, off offset:416
	v_add_f64_e32 v[166:167], v[166:167], v[168:169]
	v_add_f64_e32 v[164:165], v[176:177], v[174:175]
	v_fmac_f64_e32 v[170:171], v[6:7], v[142:143]
	v_fma_f64 v[174:175], v[4:5], v[142:143], -v[144:145]
	ds_load_b128 v[4:7], v2 offset:1040
	s_wait_loadcnt_dscnt 0xa01
	v_mul_f64_e32 v[168:169], v[154:155], v[10:11]
	v_mul_f64_e32 v[10:11], v[156:157], v[10:11]
	scratch_load_b128 v[142:145], off, off offset:432
	v_add_f64_e32 v[166:167], v[166:167], v[172:173]
	s_wait_loadcnt_dscnt 0xa00
	v_mul_f64_e32 v[172:173], v[4:5], v[14:15]
	v_add_f64_e32 v[176:177], v[164:165], v[162:163]
	v_mul_f64_e32 v[14:15], v[6:7], v[14:15]
	ds_load_b128 v[162:165], v2 offset:1056
	v_fmac_f64_e32 v[168:169], v[156:157], v[8:9]
	v_fma_f64 v[154:155], v[154:155], v[8:9], -v[10:11]
	scratch_load_b128 v[8:11], off, off offset:448
	v_add_f64_e32 v[166:167], v[166:167], v[170:171]
	v_fmac_f64_e32 v[172:173], v[6:7], v[12:13]
	v_add_f64_e32 v[156:157], v[176:177], v[174:175]
	v_fma_f64 v[174:175], v[4:5], v[12:13], -v[14:15]
	ds_load_b128 v[4:7], v2 offset:1072
	s_wait_loadcnt_dscnt 0xa01
	v_mul_f64_e32 v[170:171], v[162:163], v[18:19]
	v_mul_f64_e32 v[18:19], v[164:165], v[18:19]
	scratch_load_b128 v[12:15], off, off offset:464
	v_add_f64_e32 v[166:167], v[166:167], v[168:169]
	s_wait_loadcnt_dscnt 0xa00
	v_mul_f64_e32 v[168:169], v[4:5], v[22:23]
	v_add_f64_e32 v[176:177], v[156:157], v[154:155]
	v_mul_f64_e32 v[22:23], v[6:7], v[22:23]
	ds_load_b128 v[154:157], v2 offset:1088
	v_fmac_f64_e32 v[170:171], v[164:165], v[16:17]
	v_fma_f64 v[162:163], v[162:163], v[16:17], -v[18:19]
	scratch_load_b128 v[16:19], off, off offset:480
	v_add_f64_e32 v[166:167], v[166:167], v[172:173]
	v_fmac_f64_e32 v[168:169], v[6:7], v[20:21]
	v_add_f64_e32 v[164:165], v[176:177], v[174:175]
	;; [unrolled: 18-line block ×10, first 2 shown]
	v_fma_f64 v[174:175], v[4:5], v[134:135], -v[136:137]
	ds_load_b128 v[4:7], v2 offset:1360
	s_wait_loadcnt_dscnt 0xa01
	v_mul_f64_e32 v[170:171], v[154:155], v[140:141]
	v_mul_f64_e32 v[140:141], v[156:157], v[140:141]
	scratch_load_b128 v[134:137], off, off offset:752
	v_add_f64_e32 v[166:167], v[166:167], v[168:169]
	s_wait_loadcnt_dscnt 0xa00
	v_mul_f64_e32 v[168:169], v[4:5], v[148:149]
	v_add_f64_e32 v[176:177], v[164:165], v[162:163]
	v_mul_f64_e32 v[148:149], v[6:7], v[148:149]
	ds_load_b128 v[162:165], v2 offset:1376
	v_fmac_f64_e32 v[170:171], v[156:157], v[138:139]
	v_fma_f64 v[138:139], v[154:155], v[138:139], -v[140:141]
	s_wait_loadcnt_dscnt 0x900
	v_mul_f64_e32 v[156:157], v[162:163], v[160:161]
	v_mul_f64_e32 v[160:161], v[164:165], v[160:161]
	v_add_f64_e32 v[154:155], v[166:167], v[172:173]
	v_fmac_f64_e32 v[168:169], v[6:7], v[146:147]
	v_add_f64_e32 v[140:141], v[176:177], v[174:175]
	v_fma_f64 v[146:147], v[4:5], v[146:147], -v[148:149]
	v_fmac_f64_e32 v[156:157], v[164:165], v[158:159]
	v_fma_f64 v[158:159], v[162:163], v[158:159], -v[160:161]
	v_add_f64_e32 v[154:155], v[154:155], v[170:171]
	v_add_f64_e32 v[148:149], v[140:141], v[138:139]
	ds_load_b128 v[4:7], v2 offset:1392
	ds_load_b128 v[138:141], v2 offset:1408
	s_wait_loadcnt_dscnt 0x801
	v_mul_f64_e32 v[166:167], v[4:5], v[144:145]
	v_mul_f64_e32 v[144:145], v[6:7], v[144:145]
	v_add_f64_e32 v[146:147], v[148:149], v[146:147]
	v_add_f64_e32 v[148:149], v[154:155], v[168:169]
	s_wait_loadcnt_dscnt 0x700
	v_mul_f64_e32 v[154:155], v[138:139], v[10:11]
	v_mul_f64_e32 v[10:11], v[140:141], v[10:11]
	v_fmac_f64_e32 v[166:167], v[6:7], v[142:143]
	v_fma_f64 v[160:161], v[4:5], v[142:143], -v[144:145]
	ds_load_b128 v[4:7], v2 offset:1424
	ds_load_b128 v[142:145], v2 offset:1440
	v_add_f64_e32 v[146:147], v[146:147], v[158:159]
	v_add_f64_e32 v[148:149], v[148:149], v[156:157]
	v_fmac_f64_e32 v[154:155], v[140:141], v[8:9]
	v_fma_f64 v[8:9], v[138:139], v[8:9], -v[10:11]
	s_wait_loadcnt_dscnt 0x601
	v_mul_f64_e32 v[156:157], v[4:5], v[14:15]
	v_mul_f64_e32 v[14:15], v[6:7], v[14:15]
	s_wait_loadcnt_dscnt 0x500
	v_mul_f64_e32 v[140:141], v[142:143], v[18:19]
	v_mul_f64_e32 v[18:19], v[144:145], v[18:19]
	v_add_f64_e32 v[10:11], v[146:147], v[160:161]
	v_add_f64_e32 v[138:139], v[148:149], v[166:167]
	v_fmac_f64_e32 v[156:157], v[6:7], v[12:13]
	v_fma_f64 v[12:13], v[4:5], v[12:13], -v[14:15]
	v_fmac_f64_e32 v[140:141], v[144:145], v[16:17]
	v_fma_f64 v[16:17], v[142:143], v[16:17], -v[18:19]
	v_add_f64_e32 v[14:15], v[10:11], v[8:9]
	v_add_f64_e32 v[138:139], v[138:139], v[154:155]
	ds_load_b128 v[4:7], v2 offset:1456
	ds_load_b128 v[8:11], v2 offset:1472
	s_wait_loadcnt_dscnt 0x401
	v_mul_f64_e32 v[146:147], v[4:5], v[22:23]
	v_mul_f64_e32 v[22:23], v[6:7], v[22:23]
	s_wait_loadcnt_dscnt 0x300
	v_mul_f64_e32 v[18:19], v[8:9], v[124:125]
	v_mul_f64_e32 v[124:125], v[10:11], v[124:125]
	v_add_f64_e32 v[12:13], v[14:15], v[12:13]
	v_add_f64_e32 v[14:15], v[138:139], v[156:157]
	v_fmac_f64_e32 v[146:147], v[6:7], v[20:21]
	v_fma_f64 v[20:21], v[4:5], v[20:21], -v[22:23]
	v_fmac_f64_e32 v[18:19], v[10:11], v[122:123]
	v_fma_f64 v[8:9], v[8:9], v[122:123], -v[124:125]
	v_add_f64_e32 v[16:17], v[12:13], v[16:17]
	v_add_f64_e32 v[22:23], v[14:15], v[140:141]
	ds_load_b128 v[4:7], v2 offset:1488
	ds_load_b128 v[12:15], v2 offset:1504
	s_wait_loadcnt_dscnt 0x201
	v_mul_f64_e32 v[138:139], v[4:5], v[128:129]
	v_mul_f64_e32 v[128:129], v[6:7], v[128:129]
	v_add_f64_e32 v[10:11], v[16:17], v[20:21]
	v_add_f64_e32 v[16:17], v[22:23], v[146:147]
	s_wait_loadcnt_dscnt 0x100
	v_mul_f64_e32 v[20:21], v[12:13], v[132:133]
	v_mul_f64_e32 v[22:23], v[14:15], v[132:133]
	v_fmac_f64_e32 v[138:139], v[6:7], v[126:127]
	v_fma_f64 v[122:123], v[4:5], v[126:127], -v[128:129]
	ds_load_b128 v[4:7], v2 offset:1520
	v_add_f64_e32 v[8:9], v[10:11], v[8:9]
	v_add_f64_e32 v[10:11], v[16:17], v[18:19]
	v_fmac_f64_e32 v[20:21], v[14:15], v[130:131]
	v_fma_f64 v[12:13], v[12:13], v[130:131], -v[22:23]
	s_wait_loadcnt_dscnt 0x0
	v_mul_f64_e32 v[16:17], v[4:5], v[136:137]
	v_mul_f64_e32 v[18:19], v[6:7], v[136:137]
	v_add_f64_e32 v[8:9], v[8:9], v[122:123]
	v_add_f64_e32 v[10:11], v[10:11], v[138:139]
	s_delay_alu instid0(VALU_DEP_4) | instskip(NEXT) | instid1(VALU_DEP_4)
	v_fmac_f64_e32 v[16:17], v[6:7], v[134:135]
	v_fma_f64 v[4:5], v[4:5], v[134:135], -v[18:19]
	s_delay_alu instid0(VALU_DEP_4) | instskip(NEXT) | instid1(VALU_DEP_4)
	v_add_f64_e32 v[6:7], v[8:9], v[12:13]
	v_add_f64_e32 v[8:9], v[10:11], v[20:21]
	s_delay_alu instid0(VALU_DEP_2) | instskip(NEXT) | instid1(VALU_DEP_2)
	v_add_f64_e32 v[4:5], v[6:7], v[4:5]
	v_add_f64_e32 v[6:7], v[8:9], v[16:17]
	s_delay_alu instid0(VALU_DEP_2) | instskip(NEXT) | instid1(VALU_DEP_2)
	v_add_f64_e64 v[4:5], v[150:151], -v[4:5]
	v_add_f64_e64 v[6:7], v[152:153], -v[6:7]
	scratch_store_b128 off, v[4:7], off offset:32
	s_wait_xcnt 0x0
	v_cmpx_lt_u32_e32 1, v1
	s_cbranch_execz .LBB47_299
; %bb.298:
	scratch_load_b128 v[6:9], off, s48
	v_dual_mov_b32 v3, v2 :: v_dual_mov_b32 v4, v2
	v_mov_b32_e32 v5, v2
	scratch_store_b128 off, v[2:5], off offset:16
	s_wait_loadcnt 0x0
	ds_store_b128 v120, v[6:9]
.LBB47_299:
	s_wait_xcnt 0x0
	s_or_b32 exec_lo, exec_lo, s2
	s_wait_storecnt_dscnt 0x0
	s_barrier_signal -1
	s_barrier_wait -1
	s_clause 0x9
	scratch_load_b128 v[4:7], off, off offset:32
	scratch_load_b128 v[8:11], off, off offset:48
	;; [unrolled: 1-line block ×10, first 2 shown]
	ds_load_b128 v[142:145], v2 offset:800
	ds_load_b128 v[150:153], v2 offset:816
	s_clause 0x2
	scratch_load_b128 v[146:149], off, off offset:192
	scratch_load_b128 v[154:157], off, off offset:16
	;; [unrolled: 1-line block ×3, first 2 shown]
	s_mov_b32 s2, exec_lo
	s_wait_loadcnt_dscnt 0xc01
	v_mul_f64_e32 v[162:163], v[144:145], v[6:7]
	v_mul_f64_e32 v[166:167], v[142:143], v[6:7]
	s_wait_loadcnt_dscnt 0xb00
	v_mul_f64_e32 v[168:169], v[150:151], v[10:11]
	v_mul_f64_e32 v[10:11], v[152:153], v[10:11]
	s_delay_alu instid0(VALU_DEP_4) | instskip(NEXT) | instid1(VALU_DEP_4)
	v_fma_f64 v[170:171], v[142:143], v[4:5], -v[162:163]
	v_fmac_f64_e32 v[166:167], v[144:145], v[4:5]
	ds_load_b128 v[4:7], v2 offset:832
	ds_load_b128 v[142:145], v2 offset:848
	scratch_load_b128 v[162:165], off, off offset:224
	v_fmac_f64_e32 v[168:169], v[152:153], v[8:9]
	v_fma_f64 v[150:151], v[150:151], v[8:9], -v[10:11]
	scratch_load_b128 v[8:11], off, off offset:240
	s_wait_loadcnt_dscnt 0xc01
	v_mul_f64_e32 v[172:173], v[4:5], v[14:15]
	v_mul_f64_e32 v[14:15], v[6:7], v[14:15]
	v_add_f64_e32 v[152:153], 0, v[170:171]
	v_add_f64_e32 v[166:167], 0, v[166:167]
	s_wait_loadcnt_dscnt 0xb00
	v_mul_f64_e32 v[170:171], v[142:143], v[18:19]
	v_mul_f64_e32 v[18:19], v[144:145], v[18:19]
	v_fmac_f64_e32 v[172:173], v[6:7], v[12:13]
	v_fma_f64 v[174:175], v[4:5], v[12:13], -v[14:15]
	ds_load_b128 v[4:7], v2 offset:864
	ds_load_b128 v[12:15], v2 offset:880
	v_add_f64_e32 v[176:177], v[152:153], v[150:151]
	v_add_f64_e32 v[166:167], v[166:167], v[168:169]
	scratch_load_b128 v[150:153], off, off offset:256
	v_fmac_f64_e32 v[170:171], v[144:145], v[16:17]
	v_fma_f64 v[142:143], v[142:143], v[16:17], -v[18:19]
	scratch_load_b128 v[16:19], off, off offset:272
	s_wait_loadcnt_dscnt 0xc01
	v_mul_f64_e32 v[168:169], v[4:5], v[22:23]
	v_mul_f64_e32 v[22:23], v[6:7], v[22:23]
	v_add_f64_e32 v[144:145], v[176:177], v[174:175]
	v_add_f64_e32 v[166:167], v[166:167], v[172:173]
	s_wait_loadcnt_dscnt 0xb00
	v_mul_f64_e32 v[172:173], v[12:13], v[124:125]
	v_mul_f64_e32 v[124:125], v[14:15], v[124:125]
	v_fmac_f64_e32 v[168:169], v[6:7], v[20:21]
	v_fma_f64 v[174:175], v[4:5], v[20:21], -v[22:23]
	ds_load_b128 v[4:7], v2 offset:896
	ds_load_b128 v[20:23], v2 offset:912
	v_add_f64_e32 v[176:177], v[144:145], v[142:143]
	v_add_f64_e32 v[166:167], v[166:167], v[170:171]
	scratch_load_b128 v[142:145], off, off offset:288
	s_wait_loadcnt_dscnt 0xb01
	v_mul_f64_e32 v[170:171], v[4:5], v[128:129]
	v_mul_f64_e32 v[128:129], v[6:7], v[128:129]
	v_fmac_f64_e32 v[172:173], v[14:15], v[122:123]
	v_fma_f64 v[122:123], v[12:13], v[122:123], -v[124:125]
	scratch_load_b128 v[12:15], off, off offset:304
	v_add_f64_e32 v[124:125], v[176:177], v[174:175]
	v_add_f64_e32 v[166:167], v[166:167], v[168:169]
	s_wait_loadcnt_dscnt 0xb00
	v_mul_f64_e32 v[168:169], v[20:21], v[132:133]
	v_mul_f64_e32 v[132:133], v[22:23], v[132:133]
	v_fmac_f64_e32 v[170:171], v[6:7], v[126:127]
	v_fma_f64 v[174:175], v[4:5], v[126:127], -v[128:129]
	v_add_f64_e32 v[176:177], v[124:125], v[122:123]
	v_add_f64_e32 v[166:167], v[166:167], v[172:173]
	ds_load_b128 v[4:7], v2 offset:928
	ds_load_b128 v[122:125], v2 offset:944
	scratch_load_b128 v[126:129], off, off offset:320
	v_fmac_f64_e32 v[168:169], v[22:23], v[130:131]
	v_fma_f64 v[130:131], v[20:21], v[130:131], -v[132:133]
	scratch_load_b128 v[20:23], off, off offset:336
	s_wait_loadcnt_dscnt 0xc01
	v_mul_f64_e32 v[172:173], v[4:5], v[136:137]
	v_mul_f64_e32 v[136:137], v[6:7], v[136:137]
	v_add_f64_e32 v[132:133], v[176:177], v[174:175]
	v_add_f64_e32 v[166:167], v[166:167], v[170:171]
	s_wait_loadcnt_dscnt 0xb00
	v_mul_f64_e32 v[170:171], v[122:123], v[140:141]
	v_mul_f64_e32 v[140:141], v[124:125], v[140:141]
	v_fmac_f64_e32 v[172:173], v[6:7], v[134:135]
	v_fma_f64 v[174:175], v[4:5], v[134:135], -v[136:137]
	v_add_f64_e32 v[176:177], v[132:133], v[130:131]
	v_add_f64_e32 v[166:167], v[166:167], v[168:169]
	ds_load_b128 v[4:7], v2 offset:960
	ds_load_b128 v[130:133], v2 offset:976
	scratch_load_b128 v[134:137], off, off offset:352
	v_fmac_f64_e32 v[170:171], v[124:125], v[138:139]
	v_fma_f64 v[138:139], v[122:123], v[138:139], -v[140:141]
	scratch_load_b128 v[122:125], off, off offset:368
	s_wait_loadcnt_dscnt 0xc01
	v_mul_f64_e32 v[168:169], v[4:5], v[148:149]
	v_mul_f64_e32 v[148:149], v[6:7], v[148:149]
	;; [unrolled: 18-line block ×5, first 2 shown]
	v_add_f64_e32 v[160:161], v[176:177], v[174:175]
	v_add_f64_e32 v[166:167], v[166:167], v[172:173]
	s_wait_loadcnt_dscnt 0xa00
	v_mul_f64_e32 v[172:173], v[138:139], v[14:15]
	v_mul_f64_e32 v[14:15], v[140:141], v[14:15]
	v_fmac_f64_e32 v[168:169], v[6:7], v[142:143]
	v_fma_f64 v[174:175], v[4:5], v[142:143], -v[144:145]
	ds_load_b128 v[4:7], v2 offset:1088
	ds_load_b128 v[142:145], v2 offset:1104
	v_add_f64_e32 v[176:177], v[160:161], v[158:159]
	v_add_f64_e32 v[166:167], v[166:167], v[170:171]
	scratch_load_b128 v[158:161], off, off offset:480
	v_fmac_f64_e32 v[172:173], v[140:141], v[12:13]
	v_fma_f64 v[138:139], v[138:139], v[12:13], -v[14:15]
	scratch_load_b128 v[12:15], off, off offset:496
	s_wait_loadcnt_dscnt 0xb01
	v_mul_f64_e32 v[170:171], v[4:5], v[128:129]
	v_mul_f64_e32 v[128:129], v[6:7], v[128:129]
	v_add_f64_e32 v[140:141], v[176:177], v[174:175]
	v_add_f64_e32 v[166:167], v[166:167], v[168:169]
	s_wait_loadcnt_dscnt 0xa00
	v_mul_f64_e32 v[168:169], v[142:143], v[22:23]
	v_mul_f64_e32 v[22:23], v[144:145], v[22:23]
	v_fmac_f64_e32 v[170:171], v[6:7], v[126:127]
	v_fma_f64 v[174:175], v[4:5], v[126:127], -v[128:129]
	ds_load_b128 v[4:7], v2 offset:1120
	ds_load_b128 v[126:129], v2 offset:1136
	v_add_f64_e32 v[176:177], v[140:141], v[138:139]
	v_add_f64_e32 v[166:167], v[166:167], v[172:173]
	scratch_load_b128 v[138:141], off, off offset:512
	s_wait_loadcnt_dscnt 0xa01
	v_mul_f64_e32 v[172:173], v[4:5], v[136:137]
	v_mul_f64_e32 v[136:137], v[6:7], v[136:137]
	v_fmac_f64_e32 v[168:169], v[144:145], v[20:21]
	v_fma_f64 v[142:143], v[142:143], v[20:21], -v[22:23]
	scratch_load_b128 v[20:23], off, off offset:528
	v_add_f64_e32 v[144:145], v[176:177], v[174:175]
	v_add_f64_e32 v[166:167], v[166:167], v[170:171]
	s_wait_loadcnt_dscnt 0xa00
	v_mul_f64_e32 v[170:171], v[126:127], v[124:125]
	v_mul_f64_e32 v[124:125], v[128:129], v[124:125]
	v_fmac_f64_e32 v[172:173], v[6:7], v[134:135]
	v_fma_f64 v[174:175], v[4:5], v[134:135], -v[136:137]
	ds_load_b128 v[4:7], v2 offset:1152
	ds_load_b128 v[134:137], v2 offset:1168
	v_add_f64_e32 v[176:177], v[144:145], v[142:143]
	v_add_f64_e32 v[166:167], v[166:167], v[168:169]
	scratch_load_b128 v[142:145], off, off offset:544
	s_wait_loadcnt_dscnt 0xa01
	v_mul_f64_e32 v[168:169], v[4:5], v[148:149]
	v_mul_f64_e32 v[148:149], v[6:7], v[148:149]
	v_fmac_f64_e32 v[170:171], v[128:129], v[122:123]
	v_fma_f64 v[126:127], v[126:127], v[122:123], -v[124:125]
	scratch_load_b128 v[122:125], off, off offset:560
	v_add_f64_e32 v[128:129], v[176:177], v[174:175]
	v_add_f64_e32 v[166:167], v[166:167], v[172:173]
	s_wait_loadcnt_dscnt 0xa00
	v_mul_f64_e32 v[172:173], v[134:135], v[132:133]
	v_mul_f64_e32 v[132:133], v[136:137], v[132:133]
	v_fmac_f64_e32 v[168:169], v[6:7], v[146:147]
	v_fma_f64 v[174:175], v[4:5], v[146:147], -v[148:149]
	v_add_f64_e32 v[176:177], v[128:129], v[126:127]
	v_add_f64_e32 v[166:167], v[166:167], v[170:171]
	ds_load_b128 v[4:7], v2 offset:1184
	ds_load_b128 v[126:129], v2 offset:1200
	scratch_load_b128 v[146:149], off, off offset:576
	v_fmac_f64_e32 v[172:173], v[136:137], v[130:131]
	v_fma_f64 v[134:135], v[134:135], v[130:131], -v[132:133]
	scratch_load_b128 v[130:133], off, off offset:592
	s_wait_loadcnt_dscnt 0xb01
	v_mul_f64_e32 v[170:171], v[4:5], v[164:165]
	v_mul_f64_e32 v[164:165], v[6:7], v[164:165]
	v_add_f64_e32 v[136:137], v[176:177], v[174:175]
	v_add_f64_e32 v[166:167], v[166:167], v[168:169]
	s_wait_loadcnt_dscnt 0xa00
	v_mul_f64_e32 v[168:169], v[126:127], v[10:11]
	v_mul_f64_e32 v[10:11], v[128:129], v[10:11]
	v_fmac_f64_e32 v[170:171], v[6:7], v[162:163]
	v_fma_f64 v[174:175], v[4:5], v[162:163], -v[164:165]
	v_add_f64_e32 v[176:177], v[136:137], v[134:135]
	v_add_f64_e32 v[166:167], v[166:167], v[172:173]
	ds_load_b128 v[4:7], v2 offset:1216
	ds_load_b128 v[134:137], v2 offset:1232
	scratch_load_b128 v[162:165], off, off offset:608
	v_fmac_f64_e32 v[168:169], v[128:129], v[8:9]
	v_fma_f64 v[126:127], v[126:127], v[8:9], -v[10:11]
	scratch_load_b128 v[8:11], off, off offset:624
	s_wait_loadcnt_dscnt 0xb01
	v_mul_f64_e32 v[172:173], v[4:5], v[152:153]
	v_mul_f64_e32 v[152:153], v[6:7], v[152:153]
	v_add_f64_e32 v[128:129], v[176:177], v[174:175]
	v_add_f64_e32 v[166:167], v[166:167], v[170:171]
	s_wait_loadcnt_dscnt 0xa00
	v_mul_f64_e32 v[170:171], v[134:135], v[18:19]
	v_mul_f64_e32 v[18:19], v[136:137], v[18:19]
	v_fmac_f64_e32 v[172:173], v[6:7], v[150:151]
	v_fma_f64 v[174:175], v[4:5], v[150:151], -v[152:153]
	v_add_f64_e32 v[176:177], v[128:129], v[126:127]
	v_add_f64_e32 v[166:167], v[166:167], v[168:169]
	ds_load_b128 v[4:7], v2 offset:1248
	ds_load_b128 v[126:129], v2 offset:1264
	scratch_load_b128 v[150:153], off, off offset:640
	v_fmac_f64_e32 v[170:171], v[136:137], v[16:17]
	v_fma_f64 v[134:135], v[134:135], v[16:17], -v[18:19]
	scratch_load_b128 v[16:19], off, off offset:656
	s_wait_loadcnt_dscnt 0xb01
	v_mul_f64_e32 v[168:169], v[4:5], v[160:161]
	v_mul_f64_e32 v[160:161], v[6:7], v[160:161]
	v_add_f64_e32 v[136:137], v[176:177], v[174:175]
	v_add_f64_e32 v[166:167], v[166:167], v[172:173]
	s_wait_loadcnt_dscnt 0xa00
	v_mul_f64_e32 v[172:173], v[126:127], v[14:15]
	v_mul_f64_e32 v[14:15], v[128:129], v[14:15]
	v_fmac_f64_e32 v[168:169], v[6:7], v[158:159]
	v_fma_f64 v[174:175], v[4:5], v[158:159], -v[160:161]
	v_add_f64_e32 v[176:177], v[136:137], v[134:135]
	v_add_f64_e32 v[166:167], v[166:167], v[170:171]
	ds_load_b128 v[4:7], v2 offset:1280
	ds_load_b128 v[134:137], v2 offset:1296
	scratch_load_b128 v[158:161], off, off offset:672
	v_fmac_f64_e32 v[172:173], v[128:129], v[12:13]
	v_fma_f64 v[126:127], v[126:127], v[12:13], -v[14:15]
	scratch_load_b128 v[12:15], off, off offset:688
	s_wait_loadcnt_dscnt 0xb01
	v_mul_f64_e32 v[170:171], v[4:5], v[140:141]
	v_mul_f64_e32 v[140:141], v[6:7], v[140:141]
	v_add_f64_e32 v[128:129], v[176:177], v[174:175]
	v_add_f64_e32 v[166:167], v[166:167], v[168:169]
	s_wait_loadcnt_dscnt 0xa00
	v_mul_f64_e32 v[168:169], v[134:135], v[22:23]
	v_mul_f64_e32 v[22:23], v[136:137], v[22:23]
	v_fmac_f64_e32 v[170:171], v[6:7], v[138:139]
	v_fma_f64 v[174:175], v[4:5], v[138:139], -v[140:141]
	v_add_f64_e32 v[176:177], v[128:129], v[126:127]
	v_add_f64_e32 v[166:167], v[166:167], v[172:173]
	ds_load_b128 v[4:7], v2 offset:1312
	ds_load_b128 v[126:129], v2 offset:1328
	scratch_load_b128 v[138:141], off, off offset:704
	v_fmac_f64_e32 v[168:169], v[136:137], v[20:21]
	v_fma_f64 v[134:135], v[134:135], v[20:21], -v[22:23]
	scratch_load_b128 v[20:23], off, off offset:720
	s_wait_loadcnt_dscnt 0xb01
	v_mul_f64_e32 v[172:173], v[4:5], v[144:145]
	v_mul_f64_e32 v[144:145], v[6:7], v[144:145]
	v_add_f64_e32 v[136:137], v[176:177], v[174:175]
	v_add_f64_e32 v[166:167], v[166:167], v[170:171]
	s_wait_loadcnt_dscnt 0xa00
	v_mul_f64_e32 v[170:171], v[126:127], v[124:125]
	v_mul_f64_e32 v[124:125], v[128:129], v[124:125]
	v_fmac_f64_e32 v[172:173], v[6:7], v[142:143]
	v_fma_f64 v[174:175], v[4:5], v[142:143], -v[144:145]
	v_add_f64_e32 v[176:177], v[136:137], v[134:135]
	v_add_f64_e32 v[166:167], v[166:167], v[168:169]
	ds_load_b128 v[4:7], v2 offset:1344
	ds_load_b128 v[134:137], v2 offset:1360
	scratch_load_b128 v[142:145], off, off offset:736
	v_fmac_f64_e32 v[170:171], v[128:129], v[122:123]
	v_fma_f64 v[126:127], v[126:127], v[122:123], -v[124:125]
	scratch_load_b128 v[122:125], off, off offset:752
	s_wait_loadcnt_dscnt 0xb01
	v_mul_f64_e32 v[168:169], v[4:5], v[148:149]
	v_mul_f64_e32 v[148:149], v[6:7], v[148:149]
	v_add_f64_e32 v[128:129], v[176:177], v[174:175]
	v_add_f64_e32 v[166:167], v[166:167], v[172:173]
	s_wait_loadcnt_dscnt 0xa00
	v_mul_f64_e32 v[172:173], v[134:135], v[132:133]
	v_mul_f64_e32 v[132:133], v[136:137], v[132:133]
	v_fmac_f64_e32 v[168:169], v[6:7], v[146:147]
	v_fma_f64 v[146:147], v[4:5], v[146:147], -v[148:149]
	v_add_f64_e32 v[148:149], v[128:129], v[126:127]
	v_add_f64_e32 v[166:167], v[166:167], v[170:171]
	ds_load_b128 v[4:7], v2 offset:1376
	ds_load_b128 v[126:129], v2 offset:1392
	v_fmac_f64_e32 v[172:173], v[136:137], v[130:131]
	v_fma_f64 v[130:131], v[134:135], v[130:131], -v[132:133]
	s_wait_loadcnt_dscnt 0x901
	v_mul_f64_e32 v[170:171], v[4:5], v[164:165]
	v_mul_f64_e32 v[164:165], v[6:7], v[164:165]
	s_wait_loadcnt_dscnt 0x800
	v_mul_f64_e32 v[136:137], v[126:127], v[10:11]
	v_mul_f64_e32 v[10:11], v[128:129], v[10:11]
	v_add_f64_e32 v[132:133], v[148:149], v[146:147]
	v_add_f64_e32 v[134:135], v[166:167], v[168:169]
	v_fmac_f64_e32 v[170:171], v[6:7], v[162:163]
	v_fma_f64 v[146:147], v[4:5], v[162:163], -v[164:165]
	v_fmac_f64_e32 v[136:137], v[128:129], v[8:9]
	v_fma_f64 v[8:9], v[126:127], v[8:9], -v[10:11]
	v_add_f64_e32 v[148:149], v[132:133], v[130:131]
	v_add_f64_e32 v[134:135], v[134:135], v[172:173]
	ds_load_b128 v[4:7], v2 offset:1408
	ds_load_b128 v[130:133], v2 offset:1424
	s_wait_loadcnt_dscnt 0x701
	v_mul_f64_e32 v[162:163], v[4:5], v[152:153]
	v_mul_f64_e32 v[152:153], v[6:7], v[152:153]
	s_wait_loadcnt_dscnt 0x600
	v_mul_f64_e32 v[128:129], v[130:131], v[18:19]
	v_mul_f64_e32 v[18:19], v[132:133], v[18:19]
	v_add_f64_e32 v[10:11], v[148:149], v[146:147]
	v_add_f64_e32 v[126:127], v[134:135], v[170:171]
	v_fmac_f64_e32 v[162:163], v[6:7], v[150:151]
	v_fma_f64 v[134:135], v[4:5], v[150:151], -v[152:153]
	v_fmac_f64_e32 v[128:129], v[132:133], v[16:17]
	v_fma_f64 v[16:17], v[130:131], v[16:17], -v[18:19]
	v_add_f64_e32 v[146:147], v[10:11], v[8:9]
	v_add_f64_e32 v[126:127], v[126:127], v[136:137]
	ds_load_b128 v[4:7], v2 offset:1440
	ds_load_b128 v[8:11], v2 offset:1456
	;; [unrolled: 16-line block ×3, first 2 shown]
	s_wait_loadcnt_dscnt 0x301
	v_mul_f64_e32 v[128:129], v[4:5], v[140:141]
	v_mul_f64_e32 v[140:141], v[6:7], v[140:141]
	v_add_f64_e32 v[10:11], v[18:19], v[134:135]
	v_add_f64_e32 v[12:13], v[126:127], v[136:137]
	s_wait_loadcnt_dscnt 0x200
	v_mul_f64_e32 v[18:19], v[14:15], v[22:23]
	v_mul_f64_e32 v[22:23], v[16:17], v[22:23]
	v_fmac_f64_e32 v[128:129], v[6:7], v[138:139]
	v_fma_f64 v[126:127], v[4:5], v[138:139], -v[140:141]
	v_add_f64_e32 v[132:133], v[10:11], v[8:9]
	v_add_f64_e32 v[12:13], v[12:13], v[130:131]
	ds_load_b128 v[4:7], v2 offset:1504
	ds_load_b128 v[8:11], v2 offset:1520
	v_fmac_f64_e32 v[18:19], v[16:17], v[20:21]
	v_fma_f64 v[14:15], v[14:15], v[20:21], -v[22:23]
	s_wait_loadcnt_dscnt 0x101
	v_mul_f64_e32 v[2:3], v[4:5], v[144:145]
	v_mul_f64_e32 v[130:131], v[6:7], v[144:145]
	s_wait_loadcnt_dscnt 0x0
	v_mul_f64_e32 v[20:21], v[8:9], v[124:125]
	v_mul_f64_e32 v[22:23], v[10:11], v[124:125]
	v_add_f64_e32 v[16:17], v[132:133], v[126:127]
	v_add_f64_e32 v[12:13], v[12:13], v[128:129]
	v_fmac_f64_e32 v[2:3], v[6:7], v[142:143]
	v_fma_f64 v[4:5], v[4:5], v[142:143], -v[130:131]
	v_fmac_f64_e32 v[20:21], v[10:11], v[122:123]
	v_fma_f64 v[8:9], v[8:9], v[122:123], -v[22:23]
	v_add_f64_e32 v[6:7], v[16:17], v[14:15]
	v_add_f64_e32 v[12:13], v[12:13], v[18:19]
	s_delay_alu instid0(VALU_DEP_2) | instskip(NEXT) | instid1(VALU_DEP_2)
	v_add_f64_e32 v[4:5], v[6:7], v[4:5]
	v_add_f64_e32 v[2:3], v[12:13], v[2:3]
	s_delay_alu instid0(VALU_DEP_2) | instskip(NEXT) | instid1(VALU_DEP_2)
	;; [unrolled: 3-line block ×3, first 2 shown]
	v_add_f64_e64 v[2:3], v[154:155], -v[4:5]
	v_add_f64_e64 v[4:5], v[156:157], -v[6:7]
	scratch_store_b128 off, v[2:5], off offset:16
	s_wait_xcnt 0x0
	v_cmpx_ne_u32_e32 0, v1
	s_cbranch_execz .LBB47_301
; %bb.300:
	scratch_load_b128 v[2:5], off, off
	v_mov_b32_e32 v6, 0
	s_delay_alu instid0(VALU_DEP_1)
	v_dual_mov_b32 v7, v6 :: v_dual_mov_b32 v8, v6
	v_mov_b32_e32 v9, v6
	scratch_store_b128 off, v[6:9], off
	s_wait_loadcnt 0x0
	ds_store_b128 v120, v[2:5]
.LBB47_301:
	s_wait_xcnt 0x0
	s_or_b32 exec_lo, exec_lo, s2
	s_wait_storecnt_dscnt 0x0
	s_barrier_signal -1
	s_barrier_wait -1
	s_clause 0x9
	scratch_load_b128 v[2:5], off, off offset:16
	scratch_load_b128 v[6:9], off, off offset:32
	;; [unrolled: 1-line block ×10, first 2 shown]
	v_mov_b32_e32 v148, 0
	s_and_b32 vcc_lo, exec_lo, s60
	ds_load_b128 v[140:143], v148 offset:784
	s_clause 0x2
	scratch_load_b128 v[144:147], off, off offset:176
	scratch_load_b128 v[150:153], off, off
	scratch_load_b128 v[158:161], off, off offset:192
	s_wait_loadcnt_dscnt 0xc00
	v_mul_f64_e32 v[22:23], v[142:143], v[4:5]
	v_mul_f64_e32 v[166:167], v[140:141], v[4:5]
	ds_load_b128 v[154:157], v148 offset:800
	ds_load_b128 v[162:165], v148 offset:832
	v_fma_f64 v[22:23], v[140:141], v[2:3], -v[22:23]
	v_fmac_f64_e32 v[166:167], v[142:143], v[2:3]
	ds_load_b128 v[2:5], v148 offset:816
	s_wait_loadcnt_dscnt 0xb02
	v_mul_f64_e32 v[168:169], v[154:155], v[8:9]
	v_mul_f64_e32 v[8:9], v[156:157], v[8:9]
	scratch_load_b128 v[140:143], off, off offset:208
	s_wait_loadcnt_dscnt 0xb00
	v_mul_f64_e32 v[170:171], v[2:3], v[12:13]
	v_mul_f64_e32 v[12:13], v[4:5], v[12:13]
	v_add_f64_e32 v[22:23], 0, v[22:23]
	v_fmac_f64_e32 v[168:169], v[156:157], v[6:7]
	v_fma_f64 v[154:155], v[154:155], v[6:7], -v[8:9]
	v_add_f64_e32 v[156:157], 0, v[166:167]
	scratch_load_b128 v[6:9], off, off offset:224
	v_fmac_f64_e32 v[170:171], v[4:5], v[10:11]
	v_fma_f64 v[172:173], v[2:3], v[10:11], -v[12:13]
	ds_load_b128 v[2:5], v148 offset:848
	s_wait_loadcnt 0xb
	v_mul_f64_e32 v[166:167], v[162:163], v[16:17]
	v_mul_f64_e32 v[16:17], v[164:165], v[16:17]
	scratch_load_b128 v[10:13], off, off offset:240
	v_add_f64_e32 v[22:23], v[22:23], v[154:155]
	v_add_f64_e32 v[168:169], v[156:157], v[168:169]
	ds_load_b128 v[154:157], v148 offset:864
	s_wait_loadcnt_dscnt 0xb01
	v_mul_f64_e32 v[174:175], v[2:3], v[20:21]
	v_mul_f64_e32 v[20:21], v[4:5], v[20:21]
	v_fmac_f64_e32 v[166:167], v[164:165], v[14:15]
	v_fma_f64 v[162:163], v[162:163], v[14:15], -v[16:17]
	scratch_load_b128 v[14:17], off, off offset:256
	v_add_f64_e32 v[22:23], v[22:23], v[172:173]
	v_add_f64_e32 v[164:165], v[168:169], v[170:171]
	v_fmac_f64_e32 v[174:175], v[4:5], v[18:19]
	v_fma_f64 v[170:171], v[2:3], v[18:19], -v[20:21]
	ds_load_b128 v[2:5], v148 offset:880
	s_wait_loadcnt_dscnt 0xb01
	v_mul_f64_e32 v[168:169], v[154:155], v[122:123]
	v_mul_f64_e32 v[122:123], v[156:157], v[122:123]
	scratch_load_b128 v[18:21], off, off offset:272
	s_wait_loadcnt_dscnt 0xb00
	v_mul_f64_e32 v[172:173], v[2:3], v[126:127]
	v_mul_f64_e32 v[126:127], v[4:5], v[126:127]
	v_add_f64_e32 v[22:23], v[22:23], v[162:163]
	v_add_f64_e32 v[166:167], v[164:165], v[166:167]
	ds_load_b128 v[162:165], v148 offset:896
	v_fmac_f64_e32 v[168:169], v[156:157], v[120:121]
	v_fma_f64 v[154:155], v[154:155], v[120:121], -v[122:123]
	scratch_load_b128 v[120:123], off, off offset:288
	v_fmac_f64_e32 v[172:173], v[4:5], v[124:125]
	v_add_f64_e32 v[22:23], v[22:23], v[170:171]
	v_add_f64_e32 v[156:157], v[166:167], v[174:175]
	v_fma_f64 v[170:171], v[2:3], v[124:125], -v[126:127]
	ds_load_b128 v[2:5], v148 offset:912
	s_wait_loadcnt_dscnt 0xb01
	v_mul_f64_e32 v[166:167], v[162:163], v[130:131]
	v_mul_f64_e32 v[130:131], v[164:165], v[130:131]
	scratch_load_b128 v[124:127], off, off offset:304
	s_wait_loadcnt_dscnt 0xb00
	v_mul_f64_e32 v[174:175], v[2:3], v[134:135]
	v_mul_f64_e32 v[134:135], v[4:5], v[134:135]
	v_add_f64_e32 v[22:23], v[22:23], v[154:155]
	v_add_f64_e32 v[168:169], v[156:157], v[168:169]
	ds_load_b128 v[154:157], v148 offset:928
	v_fmac_f64_e32 v[166:167], v[164:165], v[128:129]
	v_fma_f64 v[162:163], v[162:163], v[128:129], -v[130:131]
	scratch_load_b128 v[128:131], off, off offset:320
	v_fmac_f64_e32 v[174:175], v[4:5], v[132:133]
	v_add_f64_e32 v[22:23], v[22:23], v[170:171]
	v_add_f64_e32 v[164:165], v[168:169], v[172:173]
	;; [unrolled: 18-line block ×3, first 2 shown]
	v_fma_f64 v[170:171], v[2:3], v[144:145], -v[146:147]
	ds_load_b128 v[2:5], v148 offset:976
	s_wait_loadcnt_dscnt 0xa01
	v_mul_f64_e32 v[166:167], v[162:163], v[160:161]
	v_mul_f64_e32 v[160:161], v[164:165], v[160:161]
	scratch_load_b128 v[144:147], off, off offset:368
	v_add_f64_e32 v[22:23], v[22:23], v[154:155]
	v_add_f64_e32 v[168:169], v[156:157], v[168:169]
	s_wait_loadcnt_dscnt 0xa00
	v_mul_f64_e32 v[174:175], v[2:3], v[142:143]
	v_mul_f64_e32 v[142:143], v[4:5], v[142:143]
	v_fmac_f64_e32 v[166:167], v[164:165], v[158:159]
	v_fma_f64 v[162:163], v[162:163], v[158:159], -v[160:161]
	ds_load_b128 v[154:157], v148 offset:992
	scratch_load_b128 v[158:161], off, off offset:384
	v_add_f64_e32 v[22:23], v[22:23], v[170:171]
	v_add_f64_e32 v[164:165], v[168:169], v[172:173]
	v_fmac_f64_e32 v[174:175], v[4:5], v[140:141]
	v_fma_f64 v[170:171], v[2:3], v[140:141], -v[142:143]
	ds_load_b128 v[2:5], v148 offset:1008
	s_wait_loadcnt_dscnt 0xa01
	v_mul_f64_e32 v[168:169], v[154:155], v[8:9]
	v_mul_f64_e32 v[8:9], v[156:157], v[8:9]
	scratch_load_b128 v[140:143], off, off offset:400
	s_wait_loadcnt_dscnt 0xa00
	v_mul_f64_e32 v[172:173], v[2:3], v[12:13]
	v_mul_f64_e32 v[12:13], v[4:5], v[12:13]
	v_add_f64_e32 v[22:23], v[22:23], v[162:163]
	v_add_f64_e32 v[166:167], v[164:165], v[166:167]
	ds_load_b128 v[162:165], v148 offset:1024
	v_fmac_f64_e32 v[168:169], v[156:157], v[6:7]
	v_fma_f64 v[154:155], v[154:155], v[6:7], -v[8:9]
	scratch_load_b128 v[6:9], off, off offset:416
	v_fmac_f64_e32 v[172:173], v[4:5], v[10:11]
	v_add_f64_e32 v[22:23], v[22:23], v[170:171]
	v_add_f64_e32 v[156:157], v[166:167], v[174:175]
	v_fma_f64 v[170:171], v[2:3], v[10:11], -v[12:13]
	ds_load_b128 v[2:5], v148 offset:1040
	s_wait_loadcnt_dscnt 0xa01
	v_mul_f64_e32 v[166:167], v[162:163], v[16:17]
	v_mul_f64_e32 v[16:17], v[164:165], v[16:17]
	scratch_load_b128 v[10:13], off, off offset:432
	s_wait_loadcnt_dscnt 0xa00
	v_mul_f64_e32 v[174:175], v[2:3], v[20:21]
	v_mul_f64_e32 v[20:21], v[4:5], v[20:21]
	v_add_f64_e32 v[22:23], v[22:23], v[154:155]
	v_add_f64_e32 v[168:169], v[156:157], v[168:169]
	ds_load_b128 v[154:157], v148 offset:1056
	v_fmac_f64_e32 v[166:167], v[164:165], v[14:15]
	v_fma_f64 v[162:163], v[162:163], v[14:15], -v[16:17]
	scratch_load_b128 v[14:17], off, off offset:448
	v_fmac_f64_e32 v[174:175], v[4:5], v[18:19]
	v_add_f64_e32 v[22:23], v[22:23], v[170:171]
	v_add_f64_e32 v[164:165], v[168:169], v[172:173]
	;; [unrolled: 18-line block ×11, first 2 shown]
	v_fma_f64 v[170:171], v[2:3], v[144:145], -v[146:147]
	ds_load_b128 v[2:5], v148 offset:1360
	s_wait_loadcnt_dscnt 0xa01
	v_mul_f64_e32 v[166:167], v[162:163], v[160:161]
	v_mul_f64_e32 v[160:161], v[164:165], v[160:161]
	scratch_load_b128 v[144:147], off, off offset:752
	s_wait_loadcnt_dscnt 0xa00
	v_mul_f64_e32 v[174:175], v[2:3], v[142:143]
	v_mul_f64_e32 v[142:143], v[4:5], v[142:143]
	v_add_f64_e32 v[22:23], v[22:23], v[154:155]
	v_add_f64_e32 v[168:169], v[156:157], v[168:169]
	ds_load_b128 v[154:157], v148 offset:1376
	v_fmac_f64_e32 v[166:167], v[164:165], v[158:159]
	v_fma_f64 v[158:159], v[162:163], v[158:159], -v[160:161]
	s_wait_loadcnt_dscnt 0x900
	v_mul_f64_e32 v[162:163], v[154:155], v[8:9]
	v_mul_f64_e32 v[8:9], v[156:157], v[8:9]
	v_fmac_f64_e32 v[174:175], v[4:5], v[140:141]
	v_fma_f64 v[164:165], v[2:3], v[140:141], -v[142:143]
	ds_load_b128 v[2:5], v148 offset:1392
	ds_load_b128 v[140:143], v148 offset:1408
	v_add_f64_e32 v[22:23], v[22:23], v[170:171]
	v_add_f64_e32 v[160:161], v[168:169], v[172:173]
	v_fmac_f64_e32 v[162:163], v[156:157], v[6:7]
	v_fma_f64 v[6:7], v[154:155], v[6:7], -v[8:9]
	s_delay_alu instid0(VALU_DEP_4) | instskip(NEXT) | instid1(VALU_DEP_4)
	v_add_f64_e32 v[22:23], v[22:23], v[158:159]
	v_add_f64_e32 v[158:159], v[160:161], v[166:167]
	s_wait_loadcnt_dscnt 0x801
	v_mul_f64_e32 v[160:161], v[2:3], v[12:13]
	v_mul_f64_e32 v[12:13], v[4:5], v[12:13]
	s_wait_loadcnt_dscnt 0x700
	v_mul_f64_e32 v[154:155], v[140:141], v[16:17]
	v_mul_f64_e32 v[16:17], v[142:143], v[16:17]
	v_add_f64_e32 v[8:9], v[22:23], v[164:165]
	v_add_f64_e32 v[22:23], v[158:159], v[174:175]
	v_fmac_f64_e32 v[160:161], v[4:5], v[10:11]
	v_fma_f64 v[10:11], v[2:3], v[10:11], -v[12:13]
	v_fmac_f64_e32 v[154:155], v[142:143], v[14:15]
	v_fma_f64 v[14:15], v[140:141], v[14:15], -v[16:17]
	v_lshl_add_u64 v[142:143], v[32:33], 4, s[4:5]
	v_lshl_add_u64 v[140:141], v[34:35], 4, s[4:5]
	;; [unrolled: 1-line block ×4, first 2 shown]
	v_add_f64_e32 v[12:13], v[8:9], v[6:7]
	v_add_f64_e32 v[22:23], v[22:23], v[162:163]
	ds_load_b128 v[2:5], v148 offset:1424
	ds_load_b128 v[6:9], v148 offset:1440
	s_wait_loadcnt_dscnt 0x601
	v_mul_f64_e32 v[156:157], v[2:3], v[20:21]
	v_mul_f64_e32 v[20:21], v[4:5], v[20:21]
	s_wait_loadcnt_dscnt 0x500
	v_mul_f64_e32 v[16:17], v[6:7], v[122:123]
	v_add_f64_e32 v[10:11], v[12:13], v[10:11]
	v_add_f64_e32 v[12:13], v[22:23], v[160:161]
	v_mul_f64_e32 v[22:23], v[8:9], v[122:123]
	v_fmac_f64_e32 v[156:157], v[4:5], v[18:19]
	v_fma_f64 v[18:19], v[2:3], v[18:19], -v[20:21]
	v_fmac_f64_e32 v[16:17], v[8:9], v[120:121]
	v_add_f64_e32 v[14:15], v[10:11], v[14:15]
	v_add_f64_e32 v[20:21], v[12:13], v[154:155]
	ds_load_b128 v[2:5], v148 offset:1456
	ds_load_b128 v[10:13], v148 offset:1472
	v_fma_f64 v[6:7], v[6:7], v[120:121], -v[22:23]
	s_wait_loadcnt_dscnt 0x401
	v_mul_f64_e32 v[122:123], v[2:3], v[126:127]
	v_mul_f64_e32 v[126:127], v[4:5], v[126:127]
	v_add_f64_e32 v[8:9], v[14:15], v[18:19]
	v_add_f64_e32 v[14:15], v[20:21], v[156:157]
	s_wait_loadcnt_dscnt 0x300
	v_mul_f64_e32 v[18:19], v[10:11], v[130:131]
	v_mul_f64_e32 v[20:21], v[12:13], v[130:131]
	v_lshl_add_u64 v[130:131], v[46:47], 4, s[4:5]
	v_lshl_add_u64 v[46:47], v[96:97], 4, s[4:5]
	v_fmac_f64_e32 v[122:123], v[4:5], v[124:125]
	v_fma_f64 v[22:23], v[2:3], v[124:125], -v[126:127]
	v_lshl_add_u64 v[126:127], v[48:49], 4, s[4:5]
	v_lshl_add_u64 v[48:49], v[98:99], 4, s[4:5]
	v_add_f64_e32 v[120:121], v[8:9], v[6:7]
	v_add_f64_e32 v[14:15], v[14:15], v[16:17]
	ds_load_b128 v[2:5], v148 offset:1488
	ds_load_b128 v[6:9], v148 offset:1504
	v_fmac_f64_e32 v[18:19], v[12:13], v[128:129]
	v_fma_f64 v[10:11], v[10:11], v[128:129], -v[20:21]
	v_lshl_add_u64 v[128:129], v[44:45], 4, s[4:5]
	v_lshl_add_u64 v[44:45], v[94:95], 4, s[4:5]
	s_wait_loadcnt_dscnt 0x201
	v_mul_f64_e32 v[16:17], v[2:3], v[134:135]
	v_mul_f64_e32 v[124:125], v[4:5], v[134:135]
	s_wait_loadcnt_dscnt 0x100
	v_mul_f64_e32 v[20:21], v[6:7], v[138:139]
	v_lshl_add_u64 v[134:135], v[40:41], 4, s[4:5]
	v_lshl_add_u64 v[40:41], v[90:91], 4, s[4:5]
	v_add_f64_e32 v[12:13], v[120:121], v[22:23]
	v_add_f64_e32 v[14:15], v[14:15], v[122:123]
	v_mul_f64_e32 v[22:23], v[8:9], v[138:139]
	v_lshl_add_u64 v[138:139], v[38:39], 4, s[4:5]
	v_lshl_add_u64 v[122:123], v[54:55], 4, s[4:5]
	;; [unrolled: 1-line block ×4, first 2 shown]
	v_fmac_f64_e32 v[16:17], v[4:5], v[132:133]
	v_fma_f64 v[120:121], v[2:3], v[132:133], -v[124:125]
	ds_load_b128 v[2:5], v148 offset:1520
	v_fmac_f64_e32 v[20:21], v[8:9], v[136:137]
	v_lshl_add_u64 v[132:133], v[42:43], 4, s[4:5]
	v_lshl_add_u64 v[124:125], v[50:51], 4, s[4:5]
	;; [unrolled: 1-line block ×4, first 2 shown]
	v_add_f64_e32 v[10:11], v[12:13], v[10:11]
	v_add_f64_e32 v[12:13], v[14:15], v[18:19]
	v_fma_f64 v[6:7], v[6:7], v[136:137], -v[22:23]
	v_lshl_add_u64 v[136:137], v[36:37], 4, s[4:5]
	v_lshl_add_u64 v[22:23], v[76:77], 4, s[4:5]
	;; [unrolled: 1-line block ×3, first 2 shown]
	s_wait_loadcnt_dscnt 0x0
	v_mul_f64_e32 v[14:15], v[2:3], v[146:147]
	v_mul_f64_e32 v[18:19], v[4:5], v[146:147]
	v_lshl_add_u64 v[146:147], v[30:31], 4, s[4:5]
	v_lshl_add_u64 v[30:31], v[80:81], 4, s[4:5]
	v_add_f64_e32 v[8:9], v[10:11], v[120:121]
	v_add_f64_e32 v[10:11], v[12:13], v[16:17]
	v_lshl_add_u64 v[120:121], v[52:53], 4, s[4:5]
	v_lshl_add_u64 v[12:13], v[66:67], 4, s[4:5]
	;; [unrolled: 1-line block ×5, first 2 shown]
	v_fmac_f64_e32 v[14:15], v[4:5], v[144:145]
	v_fma_f64 v[2:3], v[2:3], v[144:145], -v[18:19]
	v_lshl_add_u64 v[144:145], v[28:29], 4, s[4:5]
	v_lshl_add_u64 v[18:19], v[72:73], 4, s[4:5]
	;; [unrolled: 1-line block ×3, first 2 shown]
	v_add_f64_e32 v[4:5], v[8:9], v[6:7]
	v_add_f64_e32 v[6:7], v[10:11], v[20:21]
	v_lshl_add_u64 v[10:11], v[64:65], 4, s[4:5]
	v_lshl_add_u64 v[20:21], v[74:75], 4, s[4:5]
	;; [unrolled: 1-line block ×3, first 2 shown]
	v_add_f64_e32 v[8:9], v[4:5], v[2:3]
	v_add_f64_e32 v[6:7], v[6:7], v[14:15]
	v_lshl_add_u64 v[4:5], v[56:57], 4, s[4:5]
	v_lshl_add_u64 v[2:3], v[58:59], 4, s[4:5]
	;; [unrolled: 1-line block ×6, first 2 shown]
	v_add_f64_e64 v[150:151], v[150:151], -v[8:9]
	v_add_f64_e64 v[152:153], v[152:153], -v[6:7]
	v_lshl_add_u64 v[6:7], v[60:61], 4, s[4:5]
	v_lshl_add_u64 v[8:9], v[62:63], 4, s[4:5]
	;; [unrolled: 1-line block ×4, first 2 shown]
	scratch_store_b128 off, v[150:153], off
	s_cbranch_vccz .LBB47_396
; %bb.302:
	global_load_b32 v70, v148, s[16:17] offset:184
	s_load_b64 s[2:3], s[0:1], 0x4
	v_bfe_u32 v71, v0, 10, 10
	v_bfe_u32 v0, v0, 20, 10
	s_wait_kmcnt 0x0
	s_lshr_b32 s0, s2, 16
	s_delay_alu instid0(VALU_DEP_2) | instskip(SKIP_1) | instid1(SALU_CYCLE_1)
	v_mul_u32_u24_e32 v71, s3, v71
	s_mul_i32 s0, s0, s3
	v_mul_u32_u24_e32 v1, s0, v1
	s_delay_alu instid0(VALU_DEP_1) | instskip(NEXT) | instid1(VALU_DEP_1)
	v_add3_u32 v0, v1, v71, v0
	v_lshl_add_u32 v0, v0, 4, 0x608
	s_wait_loadcnt 0x0
	v_cmp_ne_u32_e32 vcc_lo, 47, v70
	s_cbranch_vccz .LBB47_304
; %bb.303:
	v_lshlrev_b32_e32 v1, 4, v70
	s_clause 0x1
	scratch_load_b128 v[70:73], off, s21
	scratch_load_b128 v[74:77], v1, off offset:-16
	s_wait_loadcnt 0x1
	ds_store_2addr_b64 v0, v[70:71], v[72:73] offset1:1
	s_wait_loadcnt 0x0
	s_clause 0x1
	scratch_store_b128 off, v[74:77], s21
	scratch_store_b128 v1, v[70:73], off offset:-16
.LBB47_304:
	s_wait_xcnt 0x0
	v_mov_b32_e32 v1, 0
	global_load_b32 v70, v1, s[16:17] offset:180
	s_wait_loadcnt 0x0
	v_cmp_eq_u32_e32 vcc_lo, 46, v70
	s_cbranch_vccnz .LBB47_306
; %bb.305:
	v_lshlrev_b32_e32 v70, 4, v70
	s_delay_alu instid0(VALU_DEP_1)
	v_mov_b32_e32 v78, v70
	s_clause 0x1
	scratch_load_b128 v[70:73], off, s14
	scratch_load_b128 v[74:77], v78, off offset:-16
	s_wait_loadcnt 0x1
	ds_store_2addr_b64 v0, v[70:71], v[72:73] offset1:1
	s_wait_loadcnt 0x0
	s_clause 0x1
	scratch_store_b128 off, v[74:77], s14
	scratch_store_b128 v78, v[70:73], off offset:-16
.LBB47_306:
	global_load_b32 v1, v1, s[16:17] offset:176
	s_wait_loadcnt 0x0
	v_cmp_eq_u32_e32 vcc_lo, 45, v1
	s_cbranch_vccnz .LBB47_308
; %bb.307:
	s_wait_xcnt 0x0
	v_lshlrev_b32_e32 v1, 4, v1
	s_clause 0x1
	scratch_load_b128 v[70:73], off, s25
	scratch_load_b128 v[74:77], v1, off offset:-16
	s_wait_loadcnt 0x1
	ds_store_2addr_b64 v0, v[70:71], v[72:73] offset1:1
	s_wait_loadcnt 0x0
	s_clause 0x1
	scratch_store_b128 off, v[74:77], s25
	scratch_store_b128 v1, v[70:73], off offset:-16
.LBB47_308:
	s_wait_xcnt 0x0
	v_mov_b32_e32 v1, 0
	global_load_b32 v70, v1, s[16:17] offset:172
	s_wait_loadcnt 0x0
	v_cmp_eq_u32_e32 vcc_lo, 44, v70
	s_cbranch_vccnz .LBB47_310
; %bb.309:
	v_lshlrev_b32_e32 v70, 4, v70
	s_delay_alu instid0(VALU_DEP_1)
	v_mov_b32_e32 v78, v70
	s_clause 0x1
	scratch_load_b128 v[70:73], off, s23
	scratch_load_b128 v[74:77], v78, off offset:-16
	s_wait_loadcnt 0x1
	ds_store_2addr_b64 v0, v[70:71], v[72:73] offset1:1
	s_wait_loadcnt 0x0
	s_clause 0x1
	scratch_store_b128 off, v[74:77], s23
	scratch_store_b128 v78, v[70:73], off offset:-16
.LBB47_310:
	global_load_b32 v1, v1, s[16:17] offset:168
	s_wait_loadcnt 0x0
	v_cmp_eq_u32_e32 vcc_lo, 43, v1
	s_cbranch_vccnz .LBB47_312
; %bb.311:
	s_wait_xcnt 0x0
	v_lshlrev_b32_e32 v1, 4, v1
	s_clause 0x1
	scratch_load_b128 v[70:73], off, s29
	scratch_load_b128 v[74:77], v1, off offset:-16
	s_wait_loadcnt 0x1
	ds_store_2addr_b64 v0, v[70:71], v[72:73] offset1:1
	s_wait_loadcnt 0x0
	s_clause 0x1
	scratch_store_b128 off, v[74:77], s29
	scratch_store_b128 v1, v[70:73], off offset:-16
.LBB47_312:
	;; [unrolled: 37-line block ×22, first 2 shown]
	s_wait_xcnt 0x0
	v_mov_b32_e32 v1, 0
	global_load_b32 v70, v1, s[16:17] offset:4
	s_wait_loadcnt 0x0
	v_cmp_eq_u32_e32 vcc_lo, 2, v70
	s_cbranch_vccnz .LBB47_394
; %bb.393:
	v_lshlrev_b32_e32 v70, 4, v70
	s_delay_alu instid0(VALU_DEP_1)
	v_mov_b32_e32 v78, v70
	s_clause 0x1
	scratch_load_b128 v[70:73], off, s48
	scratch_load_b128 v[74:77], v78, off offset:-16
	s_wait_loadcnt 0x1
	ds_store_2addr_b64 v0, v[70:71], v[72:73] offset1:1
	s_wait_loadcnt 0x0
	s_clause 0x1
	scratch_store_b128 off, v[74:77], s48
	scratch_store_b128 v78, v[70:73], off offset:-16
.LBB47_394:
	global_load_b32 v1, v1, s[16:17]
	s_wait_loadcnt 0x0
	v_cmp_eq_u32_e32 vcc_lo, 1, v1
	s_cbranch_vccnz .LBB47_396
; %bb.395:
	s_wait_xcnt 0x0
	v_lshlrev_b32_e32 v1, 4, v1
	scratch_load_b128 v[70:73], off, off
	scratch_load_b128 v[74:77], v1, off offset:-16
	s_wait_loadcnt 0x1
	ds_store_2addr_b64 v0, v[70:71], v[72:73] offset1:1
	s_wait_loadcnt 0x0
	scratch_store_b128 off, v[74:77], off
	scratch_store_b128 v1, v[70:73], off offset:-16
.LBB47_396:
	scratch_load_b128 v[70:73], off, off
	s_clause 0x14
	scratch_load_b128 v[74:77], off, s48
	scratch_load_b128 v[78:81], off, s45
	scratch_load_b128 v[82:85], off, s46
	scratch_load_b128 v[86:89], off, s47
	scratch_load_b128 v[90:93], off, s51
	scratch_load_b128 v[94:97], off, s53
	scratch_load_b128 v[98:101], off, s56
	scratch_load_b128 v[102:105], off, s49
	scratch_load_b128 v[106:109], off, s50
	scratch_load_b128 v[110:113], off, s52
	scratch_load_b128 v[114:117], off, s55
	scratch_load_b128 v[148:151], off, s57
	scratch_load_b128 v[152:155], off, s58
	scratch_load_b128 v[156:159], off, s59
	scratch_load_b128 v[160:163], off, s54
	; meta instruction
	; meta instruction
	;; [unrolled: 1-line block ×15, first 2 shown]
	scratch_load_b128 v[164:167], off, s38
	scratch_load_b128 v[168:171], off, s40
	;; [unrolled: 1-line block ×6, first 2 shown]
	s_wait_loadcnt 0x15
	global_store_b128 v[24:25], v[70:73], off
	s_clause 0x1
	scratch_load_b128 v[70:73], off, s37
	scratch_load_b128 v[188:191], off, s39
	s_wait_loadcnt 0x16
	global_store_b128 v[26:27], v[74:77], off
	s_clause 0x1
	scratch_load_b128 v[24:27], off, s35
	scratch_load_b128 v[74:77], off, s36
	s_wait_loadcnt 0x17
	global_store_b128 v[144:145], v[78:81], off
	s_wait_loadcnt 0x16
	global_store_b128 v[146:147], v[82:85], off
	s_clause 0x1
	scratch_load_b128 v[78:81], off, s33
	scratch_load_b128 v[82:85], off, s34
	s_wait_loadcnt 0x17
	global_store_b128 v[142:143], v[86:89], off
	s_clause 0x1
	scratch_load_b128 v[86:89], off, s30
	scratch_load_b128 v[142:145], off, s31
	s_wait_loadcnt 0x18
	global_store_b128 v[140:141], v[90:93], off
	s_clause 0x1
	scratch_load_b128 v[90:93], off, s26
	scratch_load_b128 v[192:195], off, s28
	s_wait_loadcnt 0x19
	global_store_b128 v[136:137], v[94:97], off
	s_wait_loadcnt 0x18
	global_store_b128 v[138:139], v[98:101], off
	s_clause 0x1
	scratch_load_b128 v[94:97], off, s22
	scratch_load_b128 v[98:101], off, s24
	;; [unrolled: 17-line block ×4, first 2 shown]
	s_wait_loadcnt 0x1d
	global_store_b128 v[4:5], v[164:167], off
	s_clause 0x1
	scratch_load_b128 v[154:157], off, s14
	scratch_load_b128 v[158:161], off, s21
	s_wait_loadcnt 0x1e
	global_store_b128 v[2:3], v[168:171], off
	s_wait_loadcnt 0x1d
	global_store_b128 v[6:7], v[172:175], off
	s_wait_loadcnt 0x1c
	global_store_b128 v[8:9], v[176:179], off
	s_wait_loadcnt 0x1b
	global_store_b128 v[10:11], v[180:183], off
	s_wait_loadcnt 0x19
	global_store_b128 v[12:13], v[70:73], off
	s_wait_loadcnt 0x18
	global_store_b128 v[14:15], v[188:191], off
	s_wait_loadcnt 0x17
	global_store_b128 v[16:17], v[24:27], off
	s_wait_loadcnt 0x16
	global_store_b128 v[18:19], v[74:77], off
	s_wait_loadcnt 0x15
	global_store_b128 v[20:21], v[78:81], off
	s_wait_loadcnt 0x14
	global_store_b128 v[22:23], v[82:85], off
	s_wait_loadcnt 0x13
	global_store_b128 v[28:29], v[86:89], off
	s_wait_loadcnt 0x12
	global_store_b128 v[30:31], v[142:145], off
	s_wait_loadcnt 0x11
	global_store_b128 v[32:33], v[90:93], off
	s_wait_loadcnt 0x10
	global_store_b128 v[34:35], v[192:195], off
	s_wait_loadcnt 0xf
	global_store_b128 v[36:37], v[94:97], off
	s_wait_loadcnt 0xe
	global_store_b128 v[38:39], v[98:101], off
	s_wait_loadcnt 0xd
	global_store_b128 v[40:41], v[102:105], off
	s_wait_loadcnt 0xc
	global_store_b128 v[42:43], v[134:137], off
	s_wait_loadcnt 0xb
	global_store_b128 v[44:45], v[106:109], off
	s_wait_loadcnt 0xa
	global_store_b128 v[46:47], v[138:141], off
	s_wait_loadcnt 0x9
	global_store_b128 v[48:49], v[110:113], off
	s_wait_loadcnt 0x8
	global_store_b128 v[50:51], v[114:117], off
	s_wait_loadcnt 0x7
	global_store_b128 v[52:53], v[126:129], off
	s_wait_loadcnt 0x6
	global_store_b128 v[54:55], v[130:133], off
	s_wait_loadcnt 0x5
	global_store_b128 v[56:57], v[146:149], off
	s_wait_loadcnt 0x4
	global_store_b128 v[58:59], v[150:153], off
	s_wait_loadcnt 0x3
	global_store_b128 v[60:61], v[118:121], off
	s_wait_loadcnt 0x2
	global_store_b128 v[62:63], v[122:125], off
	s_wait_loadcnt 0x1
	global_store_b128 v[64:65], v[154:157], off
	s_wait_loadcnt 0x0
	s_clause 0x1
	global_store_b128 v[66:67], v[158:161], off
	global_store_b128 v[68:69], v[184:187], off
	s_sendmsg sendmsg(MSG_DEALLOC_VGPRS)
	s_endpgm
	.section	.rodata,"a",@progbits
	.p2align	6, 0x0
	.amdhsa_kernel _ZN9rocsolver6v33100L18getri_kernel_smallILi48E19rocblas_complex_numIdEPS3_EEvT1_iilPiilS6_bb
		.amdhsa_group_segment_fixed_size 2568
		.amdhsa_private_segment_fixed_size 784
		.amdhsa_kernarg_size 60
		.amdhsa_user_sgpr_count 4
		.amdhsa_user_sgpr_dispatch_ptr 1
		.amdhsa_user_sgpr_queue_ptr 0
		.amdhsa_user_sgpr_kernarg_segment_ptr 1
		.amdhsa_user_sgpr_dispatch_id 0
		.amdhsa_user_sgpr_kernarg_preload_length 0
		.amdhsa_user_sgpr_kernarg_preload_offset 0
		.amdhsa_user_sgpr_private_segment_size 0
		.amdhsa_wavefront_size32 1
		.amdhsa_uses_dynamic_stack 0
		.amdhsa_enable_private_segment 1
		.amdhsa_system_sgpr_workgroup_id_x 1
		.amdhsa_system_sgpr_workgroup_id_y 0
		.amdhsa_system_sgpr_workgroup_id_z 0
		.amdhsa_system_sgpr_workgroup_info 0
		.amdhsa_system_vgpr_workitem_id 2
		.amdhsa_next_free_vgpr 200
		.amdhsa_next_free_sgpr 82
		.amdhsa_named_barrier_count 0
		.amdhsa_reserve_vcc 1
		.amdhsa_float_round_mode_32 0
		.amdhsa_float_round_mode_16_64 0
		.amdhsa_float_denorm_mode_32 3
		.amdhsa_float_denorm_mode_16_64 3
		.amdhsa_fp16_overflow 0
		.amdhsa_memory_ordered 1
		.amdhsa_forward_progress 1
		.amdhsa_inst_pref_size 255
		.amdhsa_round_robin_scheduling 0
		.amdhsa_exception_fp_ieee_invalid_op 0
		.amdhsa_exception_fp_denorm_src 0
		.amdhsa_exception_fp_ieee_div_zero 0
		.amdhsa_exception_fp_ieee_overflow 0
		.amdhsa_exception_fp_ieee_underflow 0
		.amdhsa_exception_fp_ieee_inexact 0
		.amdhsa_exception_int_div_zero 0
	.end_amdhsa_kernel
	.section	.text._ZN9rocsolver6v33100L18getri_kernel_smallILi48E19rocblas_complex_numIdEPS3_EEvT1_iilPiilS6_bb,"axG",@progbits,_ZN9rocsolver6v33100L18getri_kernel_smallILi48E19rocblas_complex_numIdEPS3_EEvT1_iilPiilS6_bb,comdat
.Lfunc_end47:
	.size	_ZN9rocsolver6v33100L18getri_kernel_smallILi48E19rocblas_complex_numIdEPS3_EEvT1_iilPiilS6_bb, .Lfunc_end47-_ZN9rocsolver6v33100L18getri_kernel_smallILi48E19rocblas_complex_numIdEPS3_EEvT1_iilPiilS6_bb
                                        ; -- End function
	.set _ZN9rocsolver6v33100L18getri_kernel_smallILi48E19rocblas_complex_numIdEPS3_EEvT1_iilPiilS6_bb.num_vgpr, 200
	.set _ZN9rocsolver6v33100L18getri_kernel_smallILi48E19rocblas_complex_numIdEPS3_EEvT1_iilPiilS6_bb.num_agpr, 0
	.set _ZN9rocsolver6v33100L18getri_kernel_smallILi48E19rocblas_complex_numIdEPS3_EEvT1_iilPiilS6_bb.numbered_sgpr, 82
	.set _ZN9rocsolver6v33100L18getri_kernel_smallILi48E19rocblas_complex_numIdEPS3_EEvT1_iilPiilS6_bb.num_named_barrier, 0
	.set _ZN9rocsolver6v33100L18getri_kernel_smallILi48E19rocblas_complex_numIdEPS3_EEvT1_iilPiilS6_bb.private_seg_size, 784
	.set _ZN9rocsolver6v33100L18getri_kernel_smallILi48E19rocblas_complex_numIdEPS3_EEvT1_iilPiilS6_bb.uses_vcc, 1
	.set _ZN9rocsolver6v33100L18getri_kernel_smallILi48E19rocblas_complex_numIdEPS3_EEvT1_iilPiilS6_bb.uses_flat_scratch, 1
	.set _ZN9rocsolver6v33100L18getri_kernel_smallILi48E19rocblas_complex_numIdEPS3_EEvT1_iilPiilS6_bb.has_dyn_sized_stack, 0
	.set _ZN9rocsolver6v33100L18getri_kernel_smallILi48E19rocblas_complex_numIdEPS3_EEvT1_iilPiilS6_bb.has_recursion, 0
	.set _ZN9rocsolver6v33100L18getri_kernel_smallILi48E19rocblas_complex_numIdEPS3_EEvT1_iilPiilS6_bb.has_indirect_call, 0
	.section	.AMDGPU.csdata,"",@progbits
; Kernel info:
; codeLenInByte = 88616
; TotalNumSgprs: 84
; NumVgprs: 200
; ScratchSize: 784
; MemoryBound: 0
; FloatMode: 240
; IeeeMode: 1
; LDSByteSize: 2568 bytes/workgroup (compile time only)
; SGPRBlocks: 0
; VGPRBlocks: 12
; NumSGPRsForWavesPerEU: 84
; NumVGPRsForWavesPerEU: 200
; NamedBarCnt: 0
; Occupancy: 4
; WaveLimiterHint : 1
; COMPUTE_PGM_RSRC2:SCRATCH_EN: 1
; COMPUTE_PGM_RSRC2:USER_SGPR: 4
; COMPUTE_PGM_RSRC2:TRAP_HANDLER: 0
; COMPUTE_PGM_RSRC2:TGID_X_EN: 1
; COMPUTE_PGM_RSRC2:TGID_Y_EN: 0
; COMPUTE_PGM_RSRC2:TGID_Z_EN: 0
; COMPUTE_PGM_RSRC2:TIDIG_COMP_CNT: 2
	.section	.text._ZN9rocsolver6v33100L18getri_kernel_smallILi49E19rocblas_complex_numIdEPS3_EEvT1_iilPiilS6_bb,"axG",@progbits,_ZN9rocsolver6v33100L18getri_kernel_smallILi49E19rocblas_complex_numIdEPS3_EEvT1_iilPiilS6_bb,comdat
	.globl	_ZN9rocsolver6v33100L18getri_kernel_smallILi49E19rocblas_complex_numIdEPS3_EEvT1_iilPiilS6_bb ; -- Begin function _ZN9rocsolver6v33100L18getri_kernel_smallILi49E19rocblas_complex_numIdEPS3_EEvT1_iilPiilS6_bb
	.p2align	8
	.type	_ZN9rocsolver6v33100L18getri_kernel_smallILi49E19rocblas_complex_numIdEPS3_EEvT1_iilPiilS6_bb,@function
_ZN9rocsolver6v33100L18getri_kernel_smallILi49E19rocblas_complex_numIdEPS3_EEvT1_iilPiilS6_bb: ; @_ZN9rocsolver6v33100L18getri_kernel_smallILi49E19rocblas_complex_numIdEPS3_EEvT1_iilPiilS6_bb
; %bb.0:
	v_and_b32_e32 v1, 0x3ff, v0
	s_mov_b32 s4, exec_lo
	s_delay_alu instid0(VALU_DEP_1)
	v_cmpx_gt_u32_e32 49, v1
	s_cbranch_execz .LBB48_210
; %bb.1:
	s_clause 0x2
	s_load_b32 s8, s[2:3], 0x38
	s_load_b128 s[12:15], s[2:3], 0x10
	s_load_b128 s[4:7], s[2:3], 0x28
	s_getreg_b32 s11, hwreg(HW_REG_IB_STS2, 6, 4)
                                        ; implicit-def: $sgpr16_sgpr17
	s_wait_kmcnt 0x0
	s_bitcmp1_b32 s8, 8
	s_cselect_b32 s61, -1, 0
	s_bfe_u32 s9, ttmp6, 0x4000c
	s_and_b32 s10, ttmp6, 15
	s_add_co_i32 s9, s9, 1
	s_delay_alu instid0(SALU_CYCLE_1) | instskip(NEXT) | instid1(SALU_CYCLE_1)
	s_mul_i32 s9, ttmp9, s9
	s_add_co_i32 s10, s10, s9
	s_cmp_eq_u32 s11, 0
	s_cselect_b32 s18, ttmp9, s10
	s_bfe_u32 s8, s8, 0x10008
	s_ashr_i32 s19, s18, 31
	s_cmp_eq_u32 s8, 0
	s_cbranch_scc1 .LBB48_3
; %bb.2:
	s_load_b32 s8, s[2:3], 0x20
	s_mul_u64 s[4:5], s[4:5], s[18:19]
	s_delay_alu instid0(SALU_CYCLE_1) | instskip(NEXT) | instid1(SALU_CYCLE_1)
	s_lshl_b64 s[4:5], s[4:5], 2
	s_add_nc_u64 s[4:5], s[14:15], s[4:5]
	s_wait_kmcnt 0x0
	s_ashr_i32 s9, s8, 31
	s_delay_alu instid0(SALU_CYCLE_1) | instskip(NEXT) | instid1(SALU_CYCLE_1)
	s_lshl_b64 s[8:9], s[8:9], 2
	s_add_nc_u64 s[16:17], s[4:5], s[8:9]
.LBB48_3:
	s_clause 0x1
	s_load_b128 s[8:11], s[2:3], 0x0
	s_load_b32 s62, s[2:3], 0x38
	s_wait_xcnt 0x0
	s_mul_u64 s[2:3], s[12:13], s[18:19]
	v_dual_mov_b32 v15, 0 :: v_dual_lshlrev_b32 v14, 4, v1
	s_lshl_b64 s[2:3], s[2:3], 4
	s_movk_i32 s63, 0x1d0
	s_movk_i32 s64, 0x1e0
	;; [unrolled: 1-line block ×14, first 2 shown]
	s_wait_kmcnt 0x0
	v_add3_u32 v28, s11, s11, v1
	s_ashr_i32 s5, s10, 31
	s_mov_b32 s4, s10
	s_add_nc_u64 s[2:3], s[8:9], s[2:3]
	s_lshl_b64 s[4:5], s[4:5], 4
	v_add_nc_u32_e32 v30, s11, v28
	s_add_nc_u64 s[4:5], s[2:3], s[4:5]
	s_ashr_i32 s3, s11, 31
	v_add_nc_u64_e32 v[24:25], s[4:5], v[14:15]
	s_mov_b32 s2, s11
	v_add_nc_u32_e32 v32, s11, v30
	s_clause 0x1
	global_load_b128 v[2:5], v1, s[4:5] scale_offset
	global_load_b128 v[6:9], v28, s[4:5] scale_offset
	s_movk_i32 s77, 0x2b0
	s_movk_i32 s78, 0x2c0
	v_add_nc_u32_e32 v34, s11, v32
	v_lshl_add_u64 v[26:27], s[2:3], 4, v[24:25]
	s_movk_i32 s79, 0x2d0
	s_movk_i32 s80, 0x2e0
	;; [unrolled: 1-line block ×3, first 2 shown]
	v_add_nc_u32_e32 v36, s11, v34
	global_load_b128 v[10:13], v30, s[4:5] scale_offset
	s_movk_i32 s82, 0x300
	s_mov_b32 s46, 16
	s_mov_b32 s39, 32
	v_add_nc_u32_e32 v38, s11, v36
	s_clause 0x1
	global_load_b128 v[16:19], v32, s[4:5] scale_offset
	global_load_b128 v[20:23], v[26:27], off
	s_mov_b32 s41, 48
	s_mov_b32 s43, 64
	s_movk_i32 s52, 0x50
	v_add_nc_u32_e32 v40, s11, v38
	s_clause 0x1
	global_load_b128 v[106:109], v34, s[4:5] scale_offset
	global_load_b128 v[110:113], v36, s[4:5] scale_offset
	s_movk_i32 s54, 0x60
	s_movk_i32 s57, 0x70
	s_movk_i32 s50, 0x80
	v_add_nc_u32_e32 v42, s11, v40
	s_movk_i32 s51, 0x90
	s_movk_i32 s53, 0xa0
	s_movk_i32 s56, 0xb0
	s_movk_i32 s58, 0xc0
	v_add_nc_u32_e32 v44, s11, v42
	s_movk_i32 s59, 0xd0
	;; [unrolled: 5-line block ×3, first 2 shown]
	s_movk_i32 s47, 0x120
	s_movk_i32 s48, 0x130
	;; [unrolled: 1-line block ×3, first 2 shown]
	v_add_nc_u32_e32 v48, s11, v46
	s_clause 0x2
	global_load_b128 v[114:117], v38, s[4:5] scale_offset
	global_load_b128 v[118:121], v40, s[4:5] scale_offset
	;; [unrolled: 1-line block ×3, first 2 shown]
	s_movk_i32 s40, 0x150
	s_movk_i32 s42, 0x160
	s_movk_i32 s37, 0x170
	v_add_nc_u32_e32 v50, s11, v48
	s_movk_i32 s38, 0x180
	s_movk_i32 s35, 0x190
	;; [unrolled: 1-line block ×4, first 2 shown]
	v_add_nc_u32_e32 v52, s11, v50
	s_clause 0x3
	global_load_b128 v[126:129], v44, s[4:5] scale_offset
	global_load_b128 v[130:133], v46, s[4:5] scale_offset
	;; [unrolled: 1-line block ×4, first 2 shown]
	s_movk_i32 s34, 0x1c0
	s_mov_b32 s30, s63
	v_add_nc_u32_e32 v54, s11, v52
	s_mov_b32 s31, s64
	s_mov_b32 s28, s65
	s_mov_b32 s29, s66
	s_mov_b32 s26, s67
	v_add_nc_u32_e32 v56, s11, v54
	s_mov_b32 s27, s68
	s_mov_b32 s24, s69
	s_mov_b32 s25, s70
	;; [unrolled: 5-line block ×4, first 2 shown]
	s_mov_b32 s23, s80
	v_add_nc_u32_e32 v62, s11, v60
	s_clause 0x2
	global_load_b128 v[142:145], v52, s[4:5] scale_offset
	global_load_b128 v[146:149], v54, s[4:5] scale_offset
	;; [unrolled: 1-line block ×3, first 2 shown]
	s_mov_b32 s15, s81
	s_mov_b32 s20, s82
	s_bitcmp0_b32 s62, 0
	v_add_nc_u32_e32 v64, s11, v62
	s_clause 0x1
	global_load_b128 v[154:157], v58, s[4:5] scale_offset
	global_load_b128 v[158:161], v60, s[4:5] scale_offset
	s_mov_b32 s3, -1
	v_add_nc_u32_e32 v66, s11, v64
	s_delay_alu instid0(VALU_DEP_1) | instskip(NEXT) | instid1(VALU_DEP_1)
	v_add_nc_u32_e32 v68, s11, v66
	v_add_nc_u32_e32 v70, s11, v68
	s_delay_alu instid0(VALU_DEP_1)
	v_add_nc_u32_e32 v72, s11, v70
	s_clause 0x2
	global_load_b128 v[162:165], v62, s[4:5] scale_offset
	global_load_b128 v[166:169], v64, s[4:5] scale_offset
	global_load_b128 v[170:173], v66, s[4:5] scale_offset
	v_add_nc_u32_e32 v74, s11, v72
	s_delay_alu instid0(VALU_DEP_1)
	v_add_nc_u32_e32 v76, s11, v74
	s_clause 0x3
	global_load_b128 v[174:177], v68, s[4:5] scale_offset
	global_load_b128 v[178:181], v70, s[4:5] scale_offset
	;; [unrolled: 1-line block ×4, first 2 shown]
	v_add_nc_u32_e32 v78, s11, v76
	s_delay_alu instid0(VALU_DEP_1) | instskip(NEXT) | instid1(VALU_DEP_1)
	v_add_nc_u32_e32 v80, s11, v78
	v_add_nc_u32_e32 v82, s11, v80
	s_delay_alu instid0(VALU_DEP_1) | instskip(SKIP_4) | instid1(VALU_DEP_1)
	v_add_nc_u32_e32 v84, s11, v82
	s_clause 0x1
	global_load_b128 v[190:193], v76, s[4:5] scale_offset
	global_load_b128 v[194:197], v78, s[4:5] scale_offset
	v_add_nc_u32_e32 v86, s11, v84
	v_add_nc_u32_e32 v88, s11, v86
	s_delay_alu instid0(VALU_DEP_1) | instskip(NEXT) | instid1(VALU_DEP_1)
	v_add_nc_u32_e32 v90, s11, v88
	v_add_nc_u32_e32 v92, s11, v90
	s_delay_alu instid0(VALU_DEP_1) | instskip(NEXT) | instid1(VALU_DEP_1)
	;; [unrolled: 3-line block ×4, first 2 shown]
	v_add_nc_u32_e32 v102, s11, v100
	v_add_nc_u32_e32 v104, s11, v102
	s_wait_loadcnt 0x1b
	scratch_store_b128 off, v[2:5], off
	s_wait_loadcnt 0x1a
	scratch_store_b128 off, v[6:9], off offset:32
	s_wait_loadcnt 0x19
	scratch_store_b128 off, v[10:13], off offset:48
	;; [unrolled: 2-line block ×3, first 2 shown]
	s_clause 0x1
	global_load_b128 v[2:5], v80, s[4:5] scale_offset
	global_load_b128 v[6:9], v82, s[4:5] scale_offset
	s_wait_loadcnt 0x19
	scratch_store_b128 off, v[20:23], off offset:16
	s_wait_loadcnt 0x18
	scratch_store_b128 off, v[106:109], off offset:80
	;; [unrolled: 2-line block ×3, first 2 shown]
	s_wait_xcnt 0x1
	v_add_nc_u32_e32 v106, s11, v104
	s_clause 0x1
	global_load_b128 v[10:13], v84, s[4:5] scale_offset
	global_load_b128 v[16:19], v86, s[4:5] scale_offset
	s_wait_loadcnt 0x18
	scratch_store_b128 off, v[114:117], off offset:112
	s_wait_loadcnt 0x17
	scratch_store_b128 off, v[118:121], off offset:128
	v_add_nc_u32_e32 v108, s11, v106
	s_clause 0x1
	global_load_b128 v[20:23], v88, s[4:5] scale_offset
	global_load_b128 v[198:201], v90, s[4:5] scale_offset
	s_wait_loadcnt 0x18
	scratch_store_b128 off, v[122:125], off offset:144
	s_wait_loadcnt 0x17
	scratch_store_b128 off, v[126:129], off offset:160
	;; [unrolled: 2-line block ×3, first 2 shown]
	s_wait_xcnt 0x9
	v_add_nc_u32_e32 v110, s11, v108
	s_clause 0x1
	global_load_b128 v[122:125], v92, s[4:5] scale_offset
	global_load_b128 v[126:129], v94, s[4:5] scale_offset
	s_wait_loadcnt 0x17
	scratch_store_b128 off, v[134:137], off offset:192
	s_wait_loadcnt 0x16
	scratch_store_b128 off, v[138:141], off offset:208
	s_clause 0x1
	global_load_b128 v[130:133], v96, s[4:5] scale_offset
	global_load_b128 v[134:137], v98, s[4:5] scale_offset
	v_add_nc_u32_e32 v112, s11, v110
	s_delay_alu instid0(VALU_DEP_1) | instskip(NEXT) | instid1(VALU_DEP_1)
	v_add_nc_u32_e32 v114, s11, v112
	v_add_nc_u32_e32 v116, s11, v114
	s_delay_alu instid0(VALU_DEP_1)
	v_add_nc_u32_e32 v118, s11, v116
	s_wait_loadcnt 0x17
	scratch_store_b128 off, v[142:145], off offset:224
	s_wait_loadcnt 0x16
	scratch_store_b128 off, v[146:149], off offset:240
	s_wait_loadcnt 0x15
	scratch_store_b128 off, v[150:153], off offset:256
	v_add_nc_u32_e32 v120, s11, v118
	s_clause 0x1
	global_load_b128 v[138:141], v100, s[4:5] scale_offset
	global_load_b128 v[142:145], v102, s[4:5] scale_offset
	s_mov_b32 s11, s75
	s_wait_loadcnt 0x16
	scratch_store_b128 off, v[154:157], off offset:272
	s_wait_loadcnt 0x15
	scratch_store_b128 off, v[158:161], off offset:288
	s_clause 0x1
	global_load_b128 v[146:149], v104, s[4:5] scale_offset
	global_load_b128 v[150:153], v106, s[4:5] scale_offset
	s_wait_loadcnt 0x16
	scratch_store_b128 off, v[162:165], off offset:304
	s_wait_loadcnt 0x15
	scratch_store_b128 off, v[166:169], off offset:320
	;; [unrolled: 2-line block ×3, first 2 shown]
	s_clause 0x1
	global_load_b128 v[154:157], v108, s[4:5] scale_offset
	global_load_b128 v[158:161], v110, s[4:5] scale_offset
	s_wait_loadcnt 0x15
	scratch_store_b128 off, v[174:177], off offset:352
	s_wait_loadcnt 0x14
	scratch_store_b128 off, v[178:181], off offset:368
	s_clause 0x1
	global_load_b128 v[162:165], v112, s[4:5] scale_offset
	global_load_b128 v[166:169], v114, s[4:5] scale_offset
	s_wait_loadcnt 0x15
	scratch_store_b128 off, v[182:185], off offset:384
	s_wait_loadcnt 0x14
	scratch_store_b128 off, v[186:189], off offset:400
	s_clause 0x2
	global_load_b128 v[170:173], v116, s[4:5] scale_offset
	global_load_b128 v[174:177], v118, s[4:5] scale_offset
	;; [unrolled: 1-line block ×3, first 2 shown]
	s_wait_loadcnt 0x16
	scratch_store_b128 off, v[190:193], off offset:416
	s_wait_loadcnt 0x15
	scratch_store_b128 off, v[194:197], off offset:432
	s_wait_loadcnt 0x14
	scratch_store_b128 off, v[2:5], off offset:448
	s_wait_loadcnt 0x13
	scratch_store_b128 off, v[6:9], off offset:464
	s_wait_loadcnt 0x12
	scratch_store_b128 off, v[10:13], off offset:480
	s_wait_loadcnt 0x11
	scratch_store_b128 off, v[16:19], off offset:496
	s_wait_loadcnt 0x10
	scratch_store_b128 off, v[20:23], off offset:512
	s_wait_loadcnt 0xf
	scratch_store_b128 off, v[198:201], off offset:528
	s_wait_loadcnt 0xe
	scratch_store_b128 off, v[122:125], off offset:544
	s_wait_loadcnt 0xd
	scratch_store_b128 off, v[126:129], off offset:560
	s_wait_loadcnt 0xc
	scratch_store_b128 off, v[130:133], off offset:576
	s_wait_loadcnt 0xb
	scratch_store_b128 off, v[134:137], off offset:592
	s_wait_loadcnt 0xa
	scratch_store_b128 off, v[138:141], off offset:608
	s_wait_loadcnt 0x9
	scratch_store_b128 off, v[142:145], off offset:624
	s_wait_loadcnt 0x8
	scratch_store_b128 off, v[146:149], off offset:640
	s_wait_loadcnt 0x7
	scratch_store_b128 off, v[150:153], off offset:656
	s_wait_loadcnt 0x6
	scratch_store_b128 off, v[154:157], off offset:672
	s_wait_loadcnt 0x5
	scratch_store_b128 off, v[158:161], off offset:688
	s_wait_loadcnt 0x4
	scratch_store_b128 off, v[162:165], off offset:704
	s_wait_loadcnt 0x3
	scratch_store_b128 off, v[166:169], off offset:720
	s_wait_loadcnt 0x2
	scratch_store_b128 off, v[170:173], off offset:736
	s_wait_loadcnt 0x1
	scratch_store_b128 off, v[174:177], off offset:752
	s_wait_loadcnt 0x0
	scratch_store_b128 off, v[178:181], off offset:768
	s_cbranch_scc1 .LBB48_208
; %bb.4:
	v_cmp_eq_u32_e64 s2, 0, v1
	s_wait_xcnt 0x0
	s_and_saveexec_b32 s3, s2
; %bb.5:
	v_mov_b32_e32 v2, 0
	ds_store_b32 v2, v2 offset:1568
; %bb.6:
	s_or_b32 exec_lo, exec_lo, s3
	s_wait_storecnt_dscnt 0x0
	s_barrier_signal -1
	s_barrier_wait -1
	scratch_load_b128 v[2:5], v1, off scale_offset
	s_wait_loadcnt 0x0
	v_cmp_eq_f64_e32 vcc_lo, 0, v[2:3]
	v_cmp_eq_f64_e64 s3, 0, v[4:5]
	s_and_b32 s3, vcc_lo, s3
	s_delay_alu instid0(SALU_CYCLE_1)
	s_and_saveexec_b32 s62, s3
	s_cbranch_execz .LBB48_10
; %bb.7:
	v_mov_b32_e32 v2, 0
	s_mov_b32 s63, 0
	ds_load_b32 v3, v2 offset:1568
	s_wait_dscnt 0x0
	v_readfirstlane_b32 s3, v3
	v_add_nc_u32_e32 v3, 1, v1
	s_cmp_eq_u32 s3, 0
	s_delay_alu instid0(VALU_DEP_1) | instskip(SKIP_1) | instid1(SALU_CYCLE_1)
	v_cmp_gt_i32_e32 vcc_lo, s3, v3
	s_cselect_b32 s64, -1, 0
	s_or_b32 s64, s64, vcc_lo
	s_delay_alu instid0(SALU_CYCLE_1)
	s_and_b32 exec_lo, exec_lo, s64
	s_cbranch_execz .LBB48_10
; %bb.8:
	v_mov_b32_e32 v4, s3
.LBB48_9:                               ; =>This Inner Loop Header: Depth=1
	ds_cmpstore_rtn_b32 v4, v2, v3, v4 offset:1568
	s_wait_dscnt 0x0
	v_cmp_ne_u32_e32 vcc_lo, 0, v4
	v_cmp_le_i32_e64 s3, v4, v3
	s_and_b32 s3, vcc_lo, s3
	s_delay_alu instid0(SALU_CYCLE_1) | instskip(NEXT) | instid1(SALU_CYCLE_1)
	s_and_b32 s3, exec_lo, s3
	s_or_b32 s63, s3, s63
	s_delay_alu instid0(SALU_CYCLE_1)
	s_and_not1_b32 exec_lo, exec_lo, s63
	s_cbranch_execnz .LBB48_9
.LBB48_10:
	s_or_b32 exec_lo, exec_lo, s62
	v_mov_b32_e32 v2, 0
	s_barrier_signal -1
	s_barrier_wait -1
	ds_load_b32 v3, v2 offset:1568
	s_and_saveexec_b32 s3, s2
	s_cbranch_execz .LBB48_12
; %bb.11:
	s_lshl_b64 s[62:63], s[18:19], 2
	s_delay_alu instid0(SALU_CYCLE_1)
	s_add_nc_u64 s[62:63], s[6:7], s[62:63]
	s_wait_dscnt 0x0
	global_store_b32 v2, v3, s[62:63]
.LBB48_12:
	s_wait_xcnt 0x0
	s_or_b32 exec_lo, exec_lo, s3
	s_wait_dscnt 0x0
	v_cmp_ne_u32_e32 vcc_lo, 0, v3
	s_mov_b32 s3, 0
	s_cbranch_vccnz .LBB48_208
; %bb.13:
	v_lshl_add_u32 v15, v1, 4, 0
                                        ; implicit-def: $vgpr6_vgpr7
                                        ; implicit-def: $vgpr10_vgpr11
	scratch_load_b128 v[2:5], v15, off
	s_wait_loadcnt 0x0
	v_cmp_ngt_f64_e64 s3, |v[2:3]|, |v[4:5]|
	s_wait_xcnt 0x0
	s_and_saveexec_b32 s62, s3
	s_delay_alu instid0(SALU_CYCLE_1)
	s_xor_b32 s3, exec_lo, s62
	s_cbranch_execz .LBB48_15
; %bb.14:
	v_div_scale_f64 v[6:7], null, v[4:5], v[4:5], v[2:3]
	v_div_scale_f64 v[12:13], vcc_lo, v[2:3], v[4:5], v[2:3]
	s_delay_alu instid0(VALU_DEP_2) | instskip(SKIP_1) | instid1(TRANS32_DEP_1)
	v_rcp_f64_e32 v[8:9], v[6:7]
	v_nop
	v_fma_f64 v[10:11], -v[6:7], v[8:9], 1.0
	s_delay_alu instid0(VALU_DEP_1) | instskip(NEXT) | instid1(VALU_DEP_1)
	v_fmac_f64_e32 v[8:9], v[8:9], v[10:11]
	v_fma_f64 v[10:11], -v[6:7], v[8:9], 1.0
	s_delay_alu instid0(VALU_DEP_1) | instskip(NEXT) | instid1(VALU_DEP_1)
	v_fmac_f64_e32 v[8:9], v[8:9], v[10:11]
	v_mul_f64_e32 v[10:11], v[12:13], v[8:9]
	s_delay_alu instid0(VALU_DEP_1) | instskip(NEXT) | instid1(VALU_DEP_1)
	v_fma_f64 v[6:7], -v[6:7], v[10:11], v[12:13]
	v_div_fmas_f64 v[6:7], v[6:7], v[8:9], v[10:11]
	s_delay_alu instid0(VALU_DEP_1) | instskip(NEXT) | instid1(VALU_DEP_1)
	v_div_fixup_f64 v[6:7], v[6:7], v[4:5], v[2:3]
	v_fmac_f64_e32 v[4:5], v[2:3], v[6:7]
	s_delay_alu instid0(VALU_DEP_1) | instskip(SKIP_1) | instid1(VALU_DEP_2)
	v_div_scale_f64 v[2:3], null, v[4:5], v[4:5], 1.0
	v_div_scale_f64 v[12:13], vcc_lo, 1.0, v[4:5], 1.0
	v_rcp_f64_e32 v[8:9], v[2:3]
	v_nop
	s_delay_alu instid0(TRANS32_DEP_1) | instskip(NEXT) | instid1(VALU_DEP_1)
	v_fma_f64 v[10:11], -v[2:3], v[8:9], 1.0
	v_fmac_f64_e32 v[8:9], v[8:9], v[10:11]
	s_delay_alu instid0(VALU_DEP_1) | instskip(NEXT) | instid1(VALU_DEP_1)
	v_fma_f64 v[10:11], -v[2:3], v[8:9], 1.0
	v_fmac_f64_e32 v[8:9], v[8:9], v[10:11]
	s_delay_alu instid0(VALU_DEP_1) | instskip(NEXT) | instid1(VALU_DEP_1)
	v_mul_f64_e32 v[10:11], v[12:13], v[8:9]
	v_fma_f64 v[2:3], -v[2:3], v[10:11], v[12:13]
	s_delay_alu instid0(VALU_DEP_1) | instskip(NEXT) | instid1(VALU_DEP_1)
	v_div_fmas_f64 v[2:3], v[2:3], v[8:9], v[10:11]
	v_div_fixup_f64 v[8:9], v[2:3], v[4:5], 1.0
                                        ; implicit-def: $vgpr2_vgpr3
	s_delay_alu instid0(VALU_DEP_1) | instskip(SKIP_1) | instid1(VALU_DEP_2)
	v_mul_f64_e32 v[6:7], v[6:7], v[8:9]
	v_xor_b32_e32 v9, 0x80000000, v9
	v_xor_b32_e32 v11, 0x80000000, v7
	s_delay_alu instid0(VALU_DEP_3)
	v_mov_b32_e32 v10, v6
.LBB48_15:
	s_and_not1_saveexec_b32 s3, s3
	s_cbranch_execz .LBB48_17
; %bb.16:
	v_div_scale_f64 v[6:7], null, v[2:3], v[2:3], v[4:5]
	v_div_scale_f64 v[12:13], vcc_lo, v[4:5], v[2:3], v[4:5]
	s_delay_alu instid0(VALU_DEP_2) | instskip(SKIP_1) | instid1(TRANS32_DEP_1)
	v_rcp_f64_e32 v[8:9], v[6:7]
	v_nop
	v_fma_f64 v[10:11], -v[6:7], v[8:9], 1.0
	s_delay_alu instid0(VALU_DEP_1) | instskip(NEXT) | instid1(VALU_DEP_1)
	v_fmac_f64_e32 v[8:9], v[8:9], v[10:11]
	v_fma_f64 v[10:11], -v[6:7], v[8:9], 1.0
	s_delay_alu instid0(VALU_DEP_1) | instskip(NEXT) | instid1(VALU_DEP_1)
	v_fmac_f64_e32 v[8:9], v[8:9], v[10:11]
	v_mul_f64_e32 v[10:11], v[12:13], v[8:9]
	s_delay_alu instid0(VALU_DEP_1) | instskip(NEXT) | instid1(VALU_DEP_1)
	v_fma_f64 v[6:7], -v[6:7], v[10:11], v[12:13]
	v_div_fmas_f64 v[6:7], v[6:7], v[8:9], v[10:11]
	s_delay_alu instid0(VALU_DEP_1) | instskip(NEXT) | instid1(VALU_DEP_1)
	v_div_fixup_f64 v[8:9], v[6:7], v[2:3], v[4:5]
	v_fmac_f64_e32 v[2:3], v[4:5], v[8:9]
	s_delay_alu instid0(VALU_DEP_1) | instskip(NEXT) | instid1(VALU_DEP_1)
	v_div_scale_f64 v[4:5], null, v[2:3], v[2:3], 1.0
	v_rcp_f64_e32 v[6:7], v[4:5]
	v_nop
	s_delay_alu instid0(TRANS32_DEP_1) | instskip(NEXT) | instid1(VALU_DEP_1)
	v_fma_f64 v[10:11], -v[4:5], v[6:7], 1.0
	v_fmac_f64_e32 v[6:7], v[6:7], v[10:11]
	s_delay_alu instid0(VALU_DEP_1) | instskip(NEXT) | instid1(VALU_DEP_1)
	v_fma_f64 v[10:11], -v[4:5], v[6:7], 1.0
	v_fmac_f64_e32 v[6:7], v[6:7], v[10:11]
	v_div_scale_f64 v[10:11], vcc_lo, 1.0, v[2:3], 1.0
	s_delay_alu instid0(VALU_DEP_1) | instskip(NEXT) | instid1(VALU_DEP_1)
	v_mul_f64_e32 v[12:13], v[10:11], v[6:7]
	v_fma_f64 v[4:5], -v[4:5], v[12:13], v[10:11]
	s_delay_alu instid0(VALU_DEP_1) | instskip(NEXT) | instid1(VALU_DEP_1)
	v_div_fmas_f64 v[4:5], v[4:5], v[6:7], v[12:13]
	v_div_fixup_f64 v[6:7], v[4:5], v[2:3], 1.0
	s_delay_alu instid0(VALU_DEP_1)
	v_mul_f64_e64 v[8:9], v[8:9], -v[6:7]
	v_xor_b32_e32 v11, 0x80000000, v7
	v_mov_b32_e32 v10, v6
.LBB48_17:
	s_or_b32 exec_lo, exec_lo, s3
	s_clause 0x1
	scratch_store_b128 v15, v[6:9], off
	scratch_load_b128 v[2:5], off, s46
	v_xor_b32_e32 v13, 0x80000000, v9
	v_mov_b32_e32 v12, v8
	s_wait_xcnt 0x1
	v_add_nc_u32_e32 v6, 0x310, v14
	ds_store_b128 v14, v[10:13]
	s_wait_loadcnt 0x0
	ds_store_b128 v14, v[2:5] offset:784
	s_wait_storecnt_dscnt 0x0
	s_barrier_signal -1
	s_barrier_wait -1
	s_wait_xcnt 0x0
	s_and_saveexec_b32 s3, s2
	s_cbranch_execz .LBB48_19
; %bb.18:
	scratch_load_b128 v[2:5], v15, off
	ds_load_b128 v[8:11], v6
	v_mov_b32_e32 v7, 0
	ds_load_b128 v[16:19], v7 offset:16
	s_wait_loadcnt_dscnt 0x1
	v_mul_f64_e32 v[12:13], v[8:9], v[4:5]
	v_mul_f64_e32 v[4:5], v[10:11], v[4:5]
	s_delay_alu instid0(VALU_DEP_2) | instskip(NEXT) | instid1(VALU_DEP_2)
	v_fmac_f64_e32 v[12:13], v[10:11], v[2:3]
	v_fma_f64 v[2:3], v[8:9], v[2:3], -v[4:5]
	s_delay_alu instid0(VALU_DEP_2) | instskip(NEXT) | instid1(VALU_DEP_2)
	v_add_f64_e32 v[8:9], 0, v[12:13]
	v_add_f64_e32 v[2:3], 0, v[2:3]
	s_wait_dscnt 0x0
	s_delay_alu instid0(VALU_DEP_2) | instskip(NEXT) | instid1(VALU_DEP_2)
	v_mul_f64_e32 v[10:11], v[8:9], v[18:19]
	v_mul_f64_e32 v[4:5], v[2:3], v[18:19]
	s_delay_alu instid0(VALU_DEP_2) | instskip(NEXT) | instid1(VALU_DEP_2)
	v_fma_f64 v[2:3], v[2:3], v[16:17], -v[10:11]
	v_fmac_f64_e32 v[4:5], v[8:9], v[16:17]
	scratch_store_b128 off, v[2:5], off offset:16
.LBB48_19:
	s_wait_xcnt 0x0
	s_or_b32 exec_lo, exec_lo, s3
	s_wait_storecnt 0x0
	s_barrier_signal -1
	s_barrier_wait -1
	scratch_load_b128 v[2:5], off, s39
	s_mov_b32 s3, exec_lo
	s_wait_loadcnt 0x0
	ds_store_b128 v6, v[2:5]
	s_wait_dscnt 0x0
	s_barrier_signal -1
	s_barrier_wait -1
	v_cmpx_gt_u32_e32 2, v1
	s_cbranch_execz .LBB48_23
; %bb.20:
	scratch_load_b128 v[2:5], v15, off
	ds_load_b128 v[8:11], v6
	s_wait_loadcnt_dscnt 0x0
	v_mul_f64_e32 v[12:13], v[10:11], v[4:5]
	v_mul_f64_e32 v[16:17], v[8:9], v[4:5]
	s_delay_alu instid0(VALU_DEP_2) | instskip(NEXT) | instid1(VALU_DEP_2)
	v_fma_f64 v[4:5], v[8:9], v[2:3], -v[12:13]
	v_fmac_f64_e32 v[16:17], v[10:11], v[2:3]
	s_delay_alu instid0(VALU_DEP_2) | instskip(NEXT) | instid1(VALU_DEP_2)
	v_add_f64_e32 v[4:5], 0, v[4:5]
	v_add_f64_e32 v[2:3], 0, v[16:17]
	s_and_saveexec_b32 s62, s2
	s_cbranch_execz .LBB48_22
; %bb.21:
	scratch_load_b128 v[8:11], off, off offset:16
	v_mov_b32_e32 v7, 0
	ds_load_b128 v[16:19], v7 offset:800
	s_wait_loadcnt_dscnt 0x0
	v_mul_f64_e32 v[12:13], v[16:17], v[10:11]
	v_mul_f64_e32 v[10:11], v[18:19], v[10:11]
	s_delay_alu instid0(VALU_DEP_2) | instskip(NEXT) | instid1(VALU_DEP_2)
	v_fmac_f64_e32 v[12:13], v[18:19], v[8:9]
	v_fma_f64 v[8:9], v[16:17], v[8:9], -v[10:11]
	s_delay_alu instid0(VALU_DEP_2) | instskip(NEXT) | instid1(VALU_DEP_2)
	v_add_f64_e32 v[2:3], v[2:3], v[12:13]
	v_add_f64_e32 v[4:5], v[4:5], v[8:9]
.LBB48_22:
	s_or_b32 exec_lo, exec_lo, s62
	v_mov_b32_e32 v7, 0
	ds_load_b128 v[8:11], v7 offset:32
	s_wait_dscnt 0x0
	v_mul_f64_e32 v[16:17], v[2:3], v[10:11]
	v_mul_f64_e32 v[12:13], v[4:5], v[10:11]
	s_delay_alu instid0(VALU_DEP_2) | instskip(NEXT) | instid1(VALU_DEP_2)
	v_fma_f64 v[10:11], v[4:5], v[8:9], -v[16:17]
	v_fmac_f64_e32 v[12:13], v[2:3], v[8:9]
	scratch_store_b128 off, v[10:13], off offset:32
.LBB48_23:
	s_wait_xcnt 0x0
	s_or_b32 exec_lo, exec_lo, s3
	s_wait_storecnt 0x0
	s_barrier_signal -1
	s_barrier_wait -1
	scratch_load_b128 v[2:5], off, s41
	v_add_nc_u32_e32 v7, -1, v1
	s_mov_b32 s2, exec_lo
	s_wait_loadcnt 0x0
	ds_store_b128 v6, v[2:5]
	s_wait_dscnt 0x0
	s_barrier_signal -1
	s_barrier_wait -1
	v_cmpx_gt_u32_e32 3, v1
	s_cbranch_execz .LBB48_27
; %bb.24:
	v_dual_mov_b32 v10, v14 :: v_dual_add_nc_u32 v8, -1, v1
	v_mov_b64_e32 v[2:3], 0
	v_mov_b64_e32 v[4:5], 0
	v_add_nc_u32_e32 v9, 0x310, v14
	s_delay_alu instid0(VALU_DEP_4)
	v_or_b32_e32 v10, 8, v10
	s_mov_b32 s3, 0
.LBB48_25:                              ; =>This Inner Loop Header: Depth=1
	scratch_load_b128 v[16:19], v10, off offset:-8
	ds_load_b128 v[20:23], v9
	v_dual_add_nc_u32 v8, 1, v8 :: v_dual_add_nc_u32 v9, 16, v9
	s_wait_xcnt 0x0
	v_add_nc_u32_e32 v10, 16, v10
	s_delay_alu instid0(VALU_DEP_2) | instskip(SKIP_4) | instid1(VALU_DEP_2)
	v_cmp_lt_u32_e32 vcc_lo, 1, v8
	s_or_b32 s3, vcc_lo, s3
	s_wait_loadcnt_dscnt 0x0
	v_mul_f64_e32 v[12:13], v[22:23], v[18:19]
	v_mul_f64_e32 v[18:19], v[20:21], v[18:19]
	v_fma_f64 v[12:13], v[20:21], v[16:17], -v[12:13]
	s_delay_alu instid0(VALU_DEP_2) | instskip(NEXT) | instid1(VALU_DEP_2)
	v_fmac_f64_e32 v[18:19], v[22:23], v[16:17]
	v_add_f64_e32 v[4:5], v[4:5], v[12:13]
	s_delay_alu instid0(VALU_DEP_2)
	v_add_f64_e32 v[2:3], v[2:3], v[18:19]
	s_and_not1_b32 exec_lo, exec_lo, s3
	s_cbranch_execnz .LBB48_25
; %bb.26:
	s_or_b32 exec_lo, exec_lo, s3
	v_mov_b32_e32 v8, 0
	ds_load_b128 v[8:11], v8 offset:48
	s_wait_dscnt 0x0
	v_mul_f64_e32 v[16:17], v[2:3], v[10:11]
	v_mul_f64_e32 v[12:13], v[4:5], v[10:11]
	s_delay_alu instid0(VALU_DEP_2) | instskip(NEXT) | instid1(VALU_DEP_2)
	v_fma_f64 v[10:11], v[4:5], v[8:9], -v[16:17]
	v_fmac_f64_e32 v[12:13], v[2:3], v[8:9]
	scratch_store_b128 off, v[10:13], off offset:48
.LBB48_27:
	s_wait_xcnt 0x0
	s_or_b32 exec_lo, exec_lo, s2
	s_wait_storecnt 0x0
	s_barrier_signal -1
	s_barrier_wait -1
	scratch_load_b128 v[2:5], off, s43
	s_mov_b32 s2, exec_lo
	s_wait_loadcnt 0x0
	ds_store_b128 v6, v[2:5]
	s_wait_dscnt 0x0
	s_barrier_signal -1
	s_barrier_wait -1
	v_cmpx_gt_u32_e32 4, v1
	s_cbranch_execz .LBB48_31
; %bb.28:
	v_dual_mov_b32 v10, v14 :: v_dual_add_nc_u32 v8, -1, v1
	v_mov_b64_e32 v[2:3], 0
	v_mov_b64_e32 v[4:5], 0
	v_add_nc_u32_e32 v9, 0x310, v14
	s_delay_alu instid0(VALU_DEP_4)
	v_or_b32_e32 v10, 8, v10
	s_mov_b32 s3, 0
.LBB48_29:                              ; =>This Inner Loop Header: Depth=1
	scratch_load_b128 v[16:19], v10, off offset:-8
	ds_load_b128 v[20:23], v9
	v_dual_add_nc_u32 v8, 1, v8 :: v_dual_add_nc_u32 v9, 16, v9
	s_wait_xcnt 0x0
	v_add_nc_u32_e32 v10, 16, v10
	s_delay_alu instid0(VALU_DEP_2) | instskip(SKIP_4) | instid1(VALU_DEP_2)
	v_cmp_lt_u32_e32 vcc_lo, 2, v8
	s_or_b32 s3, vcc_lo, s3
	s_wait_loadcnt_dscnt 0x0
	v_mul_f64_e32 v[12:13], v[22:23], v[18:19]
	v_mul_f64_e32 v[18:19], v[20:21], v[18:19]
	v_fma_f64 v[12:13], v[20:21], v[16:17], -v[12:13]
	s_delay_alu instid0(VALU_DEP_2) | instskip(NEXT) | instid1(VALU_DEP_2)
	v_fmac_f64_e32 v[18:19], v[22:23], v[16:17]
	v_add_f64_e32 v[4:5], v[4:5], v[12:13]
	s_delay_alu instid0(VALU_DEP_2)
	v_add_f64_e32 v[2:3], v[2:3], v[18:19]
	s_and_not1_b32 exec_lo, exec_lo, s3
	s_cbranch_execnz .LBB48_29
; %bb.30:
	s_or_b32 exec_lo, exec_lo, s3
	v_mov_b32_e32 v8, 0
	ds_load_b128 v[8:11], v8 offset:64
	s_wait_dscnt 0x0
	v_mul_f64_e32 v[16:17], v[2:3], v[10:11]
	v_mul_f64_e32 v[12:13], v[4:5], v[10:11]
	s_delay_alu instid0(VALU_DEP_2) | instskip(NEXT) | instid1(VALU_DEP_2)
	v_fma_f64 v[10:11], v[4:5], v[8:9], -v[16:17]
	v_fmac_f64_e32 v[12:13], v[2:3], v[8:9]
	scratch_store_b128 off, v[10:13], off offset:64
.LBB48_31:
	s_wait_xcnt 0x0
	s_or_b32 exec_lo, exec_lo, s2
	s_wait_storecnt 0x0
	s_barrier_signal -1
	s_barrier_wait -1
	scratch_load_b128 v[2:5], off, s52
	;; [unrolled: 54-line block ×19, first 2 shown]
	s_mov_b32 s2, exec_lo
	s_wait_loadcnt 0x0
	ds_store_b128 v6, v[2:5]
	s_wait_dscnt 0x0
	s_barrier_signal -1
	s_barrier_wait -1
	v_cmpx_gt_u32_e32 22, v1
	s_cbranch_execz .LBB48_103
; %bb.100:
	v_dual_mov_b32 v10, v14 :: v_dual_add_nc_u32 v8, -1, v1
	v_mov_b64_e32 v[2:3], 0
	v_mov_b64_e32 v[4:5], 0
	v_add_nc_u32_e32 v9, 0x310, v14
	s_delay_alu instid0(VALU_DEP_4)
	v_or_b32_e32 v10, 8, v10
	s_mov_b32 s3, 0
.LBB48_101:                             ; =>This Inner Loop Header: Depth=1
	scratch_load_b128 v[16:19], v10, off offset:-8
	ds_load_b128 v[20:23], v9
	v_dual_add_nc_u32 v8, 1, v8 :: v_dual_add_nc_u32 v9, 16, v9
	s_wait_xcnt 0x0
	v_add_nc_u32_e32 v10, 16, v10
	s_delay_alu instid0(VALU_DEP_2) | instskip(SKIP_4) | instid1(VALU_DEP_2)
	v_cmp_lt_u32_e32 vcc_lo, 20, v8
	s_or_b32 s3, vcc_lo, s3
	s_wait_loadcnt_dscnt 0x0
	v_mul_f64_e32 v[12:13], v[22:23], v[18:19]
	v_mul_f64_e32 v[18:19], v[20:21], v[18:19]
	v_fma_f64 v[12:13], v[20:21], v[16:17], -v[12:13]
	s_delay_alu instid0(VALU_DEP_2) | instskip(NEXT) | instid1(VALU_DEP_2)
	v_fmac_f64_e32 v[18:19], v[22:23], v[16:17]
	v_add_f64_e32 v[4:5], v[4:5], v[12:13]
	s_delay_alu instid0(VALU_DEP_2)
	v_add_f64_e32 v[2:3], v[2:3], v[18:19]
	s_and_not1_b32 exec_lo, exec_lo, s3
	s_cbranch_execnz .LBB48_101
; %bb.102:
	s_or_b32 exec_lo, exec_lo, s3
	v_mov_b32_e32 v8, 0
	ds_load_b128 v[8:11], v8 offset:352
	s_wait_dscnt 0x0
	v_mul_f64_e32 v[16:17], v[2:3], v[10:11]
	v_mul_f64_e32 v[12:13], v[4:5], v[10:11]
	s_delay_alu instid0(VALU_DEP_2) | instskip(NEXT) | instid1(VALU_DEP_2)
	v_fma_f64 v[10:11], v[4:5], v[8:9], -v[16:17]
	v_fmac_f64_e32 v[12:13], v[2:3], v[8:9]
	scratch_store_b128 off, v[10:13], off offset:352
.LBB48_103:
	s_wait_xcnt 0x0
	s_or_b32 exec_lo, exec_lo, s2
	s_wait_storecnt 0x0
	s_barrier_signal -1
	s_barrier_wait -1
	scratch_load_b128 v[2:5], off, s37
	s_mov_b32 s2, exec_lo
	s_wait_loadcnt 0x0
	ds_store_b128 v6, v[2:5]
	s_wait_dscnt 0x0
	s_barrier_signal -1
	s_barrier_wait -1
	v_cmpx_gt_u32_e32 23, v1
	s_cbranch_execz .LBB48_107
; %bb.104:
	v_dual_mov_b32 v10, v14 :: v_dual_add_nc_u32 v8, -1, v1
	v_mov_b64_e32 v[2:3], 0
	v_mov_b64_e32 v[4:5], 0
	v_add_nc_u32_e32 v9, 0x310, v14
	s_delay_alu instid0(VALU_DEP_4)
	v_or_b32_e32 v10, 8, v10
	s_mov_b32 s3, 0
.LBB48_105:                             ; =>This Inner Loop Header: Depth=1
	scratch_load_b128 v[16:19], v10, off offset:-8
	ds_load_b128 v[20:23], v9
	v_dual_add_nc_u32 v8, 1, v8 :: v_dual_add_nc_u32 v9, 16, v9
	s_wait_xcnt 0x0
	v_add_nc_u32_e32 v10, 16, v10
	s_delay_alu instid0(VALU_DEP_2) | instskip(SKIP_4) | instid1(VALU_DEP_2)
	v_cmp_lt_u32_e32 vcc_lo, 21, v8
	s_or_b32 s3, vcc_lo, s3
	s_wait_loadcnt_dscnt 0x0
	v_mul_f64_e32 v[12:13], v[22:23], v[18:19]
	v_mul_f64_e32 v[18:19], v[20:21], v[18:19]
	v_fma_f64 v[12:13], v[20:21], v[16:17], -v[12:13]
	s_delay_alu instid0(VALU_DEP_2) | instskip(NEXT) | instid1(VALU_DEP_2)
	v_fmac_f64_e32 v[18:19], v[22:23], v[16:17]
	v_add_f64_e32 v[4:5], v[4:5], v[12:13]
	s_delay_alu instid0(VALU_DEP_2)
	v_add_f64_e32 v[2:3], v[2:3], v[18:19]
	s_and_not1_b32 exec_lo, exec_lo, s3
	s_cbranch_execnz .LBB48_105
; %bb.106:
	s_or_b32 exec_lo, exec_lo, s3
	v_mov_b32_e32 v8, 0
	ds_load_b128 v[8:11], v8 offset:368
	s_wait_dscnt 0x0
	v_mul_f64_e32 v[16:17], v[2:3], v[10:11]
	v_mul_f64_e32 v[12:13], v[4:5], v[10:11]
	s_delay_alu instid0(VALU_DEP_2) | instskip(NEXT) | instid1(VALU_DEP_2)
	v_fma_f64 v[10:11], v[4:5], v[8:9], -v[16:17]
	v_fmac_f64_e32 v[12:13], v[2:3], v[8:9]
	scratch_store_b128 off, v[10:13], off offset:368
.LBB48_107:
	s_wait_xcnt 0x0
	s_or_b32 exec_lo, exec_lo, s2
	s_wait_storecnt 0x0
	s_barrier_signal -1
	s_barrier_wait -1
	scratch_load_b128 v[2:5], off, s38
	;; [unrolled: 54-line block ×26, first 2 shown]
	s_mov_b32 s2, exec_lo
	s_wait_loadcnt 0x0
	ds_store_b128 v6, v[2:5]
	s_wait_dscnt 0x0
	s_barrier_signal -1
	s_barrier_wait -1
	v_cmpx_ne_u32_e32 48, v1
	s_cbranch_execz .LBB48_207
; %bb.204:
	v_mov_b32_e32 v8, v14
	v_mov_b64_e32 v[2:3], 0
	v_mov_b64_e32 v[4:5], 0
	s_mov_b32 s3, 0
	s_delay_alu instid0(VALU_DEP_3)
	v_or_b32_e32 v8, 8, v8
.LBB48_205:                             ; =>This Inner Loop Header: Depth=1
	scratch_load_b128 v[10:13], v8, off offset:-8
	ds_load_b128 v[14:17], v6
	v_dual_add_nc_u32 v7, 1, v7 :: v_dual_add_nc_u32 v6, 16, v6
	s_wait_xcnt 0x0
	v_add_nc_u32_e32 v8, 16, v8
	s_delay_alu instid0(VALU_DEP_2) | instskip(SKIP_4) | instid1(VALU_DEP_2)
	v_cmp_lt_u32_e32 vcc_lo, 46, v7
	s_or_b32 s3, vcc_lo, s3
	s_wait_loadcnt_dscnt 0x0
	v_mul_f64_e32 v[18:19], v[16:17], v[12:13]
	v_mul_f64_e32 v[12:13], v[14:15], v[12:13]
	v_fma_f64 v[14:15], v[14:15], v[10:11], -v[18:19]
	s_delay_alu instid0(VALU_DEP_2) | instskip(NEXT) | instid1(VALU_DEP_2)
	v_fmac_f64_e32 v[12:13], v[16:17], v[10:11]
	v_add_f64_e32 v[4:5], v[4:5], v[14:15]
	s_delay_alu instid0(VALU_DEP_2)
	v_add_f64_e32 v[2:3], v[2:3], v[12:13]
	s_and_not1_b32 exec_lo, exec_lo, s3
	s_cbranch_execnz .LBB48_205
; %bb.206:
	s_or_b32 exec_lo, exec_lo, s3
	v_mov_b32_e32 v6, 0
	ds_load_b128 v[6:9], v6 offset:768
	s_wait_dscnt 0x0
	v_mul_f64_e32 v[12:13], v[2:3], v[8:9]
	v_mul_f64_e32 v[10:11], v[4:5], v[8:9]
	s_delay_alu instid0(VALU_DEP_2) | instskip(NEXT) | instid1(VALU_DEP_2)
	v_fma_f64 v[8:9], v[4:5], v[6:7], -v[12:13]
	v_fmac_f64_e32 v[10:11], v[2:3], v[6:7]
	scratch_store_b128 off, v[8:11], off offset:768
.LBB48_207:
	s_wait_xcnt 0x0
	s_or_b32 exec_lo, exec_lo, s2
	s_mov_b32 s3, -1
	s_wait_storecnt 0x0
	s_barrier_signal -1
	s_barrier_wait -1
.LBB48_208:
	s_and_b32 vcc_lo, exec_lo, s3
	s_cbranch_vccz .LBB48_210
; %bb.209:
	s_wait_xcnt 0x14
	v_mov_b32_e32 v2, 0
	s_lshl_b64 s[2:3], s[18:19], 2
	s_delay_alu instid0(SALU_CYCLE_1)
	s_add_nc_u64 s[2:3], s[6:7], s[2:3]
	global_load_b32 v2, v2, s[2:3]
	s_wait_loadcnt 0x0
	v_cmp_ne_u32_e32 vcc_lo, 0, v2
	s_cbranch_vccz .LBB48_211
.LBB48_210:
	s_sendmsg sendmsg(MSG_DEALLOC_VGPRS)
	s_endpgm
.LBB48_211:
	s_wait_xcnt 0xf
	v_lshl_add_u32 v122, v1, 4, 0x310
	s_wait_xcnt 0x0
	s_mov_b32 s2, exec_lo
	v_cmpx_eq_u32_e32 48, v1
	s_cbranch_execz .LBB48_213
; %bb.212:
	scratch_load_b128 v[2:5], off, s15
	v_mov_b32_e32 v6, 0
	s_delay_alu instid0(VALU_DEP_1)
	v_dual_mov_b32 v7, v6 :: v_dual_mov_b32 v8, v6
	v_mov_b32_e32 v9, v6
	scratch_store_b128 off, v[6:9], off offset:752
	s_wait_loadcnt 0x0
	ds_store_b128 v122, v[2:5]
.LBB48_213:
	s_wait_xcnt 0x0
	s_or_b32 exec_lo, exec_lo, s2
	s_wait_storecnt_dscnt 0x0
	s_barrier_signal -1
	s_barrier_wait -1
	s_clause 0x1
	scratch_load_b128 v[4:7], off, off offset:768
	scratch_load_b128 v[8:11], off, off offset:752
	v_mov_b32_e32 v2, 0
	s_mov_b32 s2, exec_lo
	ds_load_b128 v[12:15], v2 offset:1552
	s_wait_loadcnt_dscnt 0x100
	v_mul_f64_e32 v[16:17], v[14:15], v[6:7]
	v_mul_f64_e32 v[6:7], v[12:13], v[6:7]
	s_delay_alu instid0(VALU_DEP_2) | instskip(NEXT) | instid1(VALU_DEP_2)
	v_fma_f64 v[12:13], v[12:13], v[4:5], -v[16:17]
	v_fmac_f64_e32 v[6:7], v[14:15], v[4:5]
	s_delay_alu instid0(VALU_DEP_2) | instskip(NEXT) | instid1(VALU_DEP_2)
	v_add_f64_e32 v[4:5], 0, v[12:13]
	v_add_f64_e32 v[6:7], 0, v[6:7]
	s_wait_loadcnt 0x0
	s_delay_alu instid0(VALU_DEP_2) | instskip(NEXT) | instid1(VALU_DEP_2)
	v_add_f64_e64 v[4:5], v[8:9], -v[4:5]
	v_add_f64_e64 v[6:7], v[10:11], -v[6:7]
	scratch_store_b128 off, v[4:7], off offset:752
	s_wait_xcnt 0x0
	v_cmpx_lt_u32_e32 46, v1
	s_cbranch_execz .LBB48_215
; %bb.214:
	scratch_load_b128 v[6:9], off, s23
	v_dual_mov_b32 v3, v2 :: v_dual_mov_b32 v4, v2
	v_mov_b32_e32 v5, v2
	scratch_store_b128 off, v[2:5], off offset:736
	s_wait_loadcnt 0x0
	ds_store_b128 v122, v[6:9]
.LBB48_215:
	s_wait_xcnt 0x0
	s_or_b32 exec_lo, exec_lo, s2
	s_wait_storecnt_dscnt 0x0
	s_barrier_signal -1
	s_barrier_wait -1
	s_clause 0x2
	scratch_load_b128 v[4:7], off, off offset:752
	scratch_load_b128 v[8:11], off, off offset:768
	scratch_load_b128 v[12:15], off, off offset:736
	ds_load_b128 v[16:19], v2 offset:1536
	ds_load_b128 v[20:23], v2 offset:1552
	s_mov_b32 s2, exec_lo
	s_wait_loadcnt_dscnt 0x201
	v_mul_f64_e32 v[2:3], v[18:19], v[6:7]
	v_mul_f64_e32 v[6:7], v[16:17], v[6:7]
	s_wait_loadcnt_dscnt 0x100
	v_mul_f64_e32 v[124:125], v[20:21], v[10:11]
	v_mul_f64_e32 v[10:11], v[22:23], v[10:11]
	s_delay_alu instid0(VALU_DEP_4) | instskip(NEXT) | instid1(VALU_DEP_4)
	v_fma_f64 v[2:3], v[16:17], v[4:5], -v[2:3]
	v_fmac_f64_e32 v[6:7], v[18:19], v[4:5]
	s_delay_alu instid0(VALU_DEP_4) | instskip(NEXT) | instid1(VALU_DEP_4)
	v_fmac_f64_e32 v[124:125], v[22:23], v[8:9]
	v_fma_f64 v[4:5], v[20:21], v[8:9], -v[10:11]
	s_delay_alu instid0(VALU_DEP_4) | instskip(NEXT) | instid1(VALU_DEP_4)
	v_add_f64_e32 v[2:3], 0, v[2:3]
	v_add_f64_e32 v[6:7], 0, v[6:7]
	s_delay_alu instid0(VALU_DEP_2) | instskip(NEXT) | instid1(VALU_DEP_2)
	v_add_f64_e32 v[2:3], v[2:3], v[4:5]
	v_add_f64_e32 v[4:5], v[6:7], v[124:125]
	s_wait_loadcnt 0x0
	s_delay_alu instid0(VALU_DEP_2) | instskip(NEXT) | instid1(VALU_DEP_2)
	v_add_f64_e64 v[2:3], v[12:13], -v[2:3]
	v_add_f64_e64 v[4:5], v[14:15], -v[4:5]
	scratch_store_b128 off, v[2:5], off offset:736
	s_wait_xcnt 0x0
	v_cmpx_lt_u32_e32 45, v1
	s_cbranch_execz .LBB48_217
; %bb.216:
	scratch_load_b128 v[2:5], off, s8
	v_mov_b32_e32 v6, 0
	s_delay_alu instid0(VALU_DEP_1)
	v_dual_mov_b32 v7, v6 :: v_dual_mov_b32 v8, v6
	v_mov_b32_e32 v9, v6
	scratch_store_b128 off, v[6:9], off offset:720
	s_wait_loadcnt 0x0
	ds_store_b128 v122, v[2:5]
.LBB48_217:
	s_wait_xcnt 0x0
	s_or_b32 exec_lo, exec_lo, s2
	s_wait_storecnt_dscnt 0x0
	s_barrier_signal -1
	s_barrier_wait -1
	s_clause 0x3
	scratch_load_b128 v[4:7], off, off offset:736
	scratch_load_b128 v[8:11], off, off offset:752
	;; [unrolled: 1-line block ×4, first 2 shown]
	v_mov_b32_e32 v2, 0
	ds_load_b128 v[20:23], v2 offset:1520
	ds_load_b128 v[124:127], v2 offset:1536
	s_mov_b32 s2, exec_lo
	s_wait_loadcnt_dscnt 0x301
	v_mul_f64_e32 v[128:129], v[22:23], v[6:7]
	v_mul_f64_e32 v[130:131], v[20:21], v[6:7]
	s_wait_loadcnt_dscnt 0x200
	v_mul_f64_e32 v[132:133], v[124:125], v[10:11]
	v_mul_f64_e32 v[10:11], v[126:127], v[10:11]
	s_delay_alu instid0(VALU_DEP_4) | instskip(NEXT) | instid1(VALU_DEP_4)
	v_fma_f64 v[20:21], v[20:21], v[4:5], -v[128:129]
	v_fmac_f64_e32 v[130:131], v[22:23], v[4:5]
	ds_load_b128 v[4:7], v2 offset:1552
	v_fmac_f64_e32 v[132:133], v[126:127], v[8:9]
	v_fma_f64 v[8:9], v[124:125], v[8:9], -v[10:11]
	s_wait_loadcnt_dscnt 0x100
	v_mul_f64_e32 v[22:23], v[4:5], v[14:15]
	v_mul_f64_e32 v[14:15], v[6:7], v[14:15]
	v_add_f64_e32 v[10:11], 0, v[20:21]
	v_add_f64_e32 v[20:21], 0, v[130:131]
	s_delay_alu instid0(VALU_DEP_4) | instskip(NEXT) | instid1(VALU_DEP_4)
	v_fmac_f64_e32 v[22:23], v[6:7], v[12:13]
	v_fma_f64 v[4:5], v[4:5], v[12:13], -v[14:15]
	s_delay_alu instid0(VALU_DEP_4) | instskip(NEXT) | instid1(VALU_DEP_4)
	v_add_f64_e32 v[6:7], v[10:11], v[8:9]
	v_add_f64_e32 v[8:9], v[20:21], v[132:133]
	s_delay_alu instid0(VALU_DEP_2) | instskip(NEXT) | instid1(VALU_DEP_2)
	v_add_f64_e32 v[4:5], v[6:7], v[4:5]
	v_add_f64_e32 v[6:7], v[8:9], v[22:23]
	s_wait_loadcnt 0x0
	s_delay_alu instid0(VALU_DEP_2) | instskip(NEXT) | instid1(VALU_DEP_2)
	v_add_f64_e64 v[4:5], v[16:17], -v[4:5]
	v_add_f64_e64 v[6:7], v[18:19], -v[6:7]
	scratch_store_b128 off, v[4:7], off offset:720
	s_wait_xcnt 0x0
	v_cmpx_lt_u32_e32 44, v1
	s_cbranch_execz .LBB48_219
; %bb.218:
	scratch_load_b128 v[6:9], off, s10
	v_dual_mov_b32 v3, v2 :: v_dual_mov_b32 v4, v2
	v_mov_b32_e32 v5, v2
	scratch_store_b128 off, v[2:5], off offset:704
	s_wait_loadcnt 0x0
	ds_store_b128 v122, v[6:9]
.LBB48_219:
	s_wait_xcnt 0x0
	s_or_b32 exec_lo, exec_lo, s2
	s_wait_storecnt_dscnt 0x0
	s_barrier_signal -1
	s_barrier_wait -1
	s_clause 0x4
	scratch_load_b128 v[4:7], off, off offset:720
	scratch_load_b128 v[8:11], off, off offset:736
	;; [unrolled: 1-line block ×5, first 2 shown]
	ds_load_b128 v[124:127], v2 offset:1504
	ds_load_b128 v[128:131], v2 offset:1520
	s_mov_b32 s2, exec_lo
	s_wait_loadcnt_dscnt 0x401
	v_mul_f64_e32 v[132:133], v[126:127], v[6:7]
	v_mul_f64_e32 v[134:135], v[124:125], v[6:7]
	s_wait_loadcnt_dscnt 0x300
	v_mul_f64_e32 v[136:137], v[128:129], v[10:11]
	v_mul_f64_e32 v[10:11], v[130:131], v[10:11]
	s_delay_alu instid0(VALU_DEP_4) | instskip(NEXT) | instid1(VALU_DEP_4)
	v_fma_f64 v[132:133], v[124:125], v[4:5], -v[132:133]
	v_fmac_f64_e32 v[134:135], v[126:127], v[4:5]
	ds_load_b128 v[4:7], v2 offset:1536
	ds_load_b128 v[124:127], v2 offset:1552
	v_fmac_f64_e32 v[136:137], v[130:131], v[8:9]
	v_fma_f64 v[8:9], v[128:129], v[8:9], -v[10:11]
	s_wait_loadcnt_dscnt 0x201
	v_mul_f64_e32 v[2:3], v[4:5], v[14:15]
	v_mul_f64_e32 v[14:15], v[6:7], v[14:15]
	s_wait_loadcnt_dscnt 0x100
	v_mul_f64_e32 v[130:131], v[124:125], v[18:19]
	v_mul_f64_e32 v[18:19], v[126:127], v[18:19]
	v_add_f64_e32 v[10:11], 0, v[132:133]
	v_add_f64_e32 v[128:129], 0, v[134:135]
	v_fmac_f64_e32 v[2:3], v[6:7], v[12:13]
	v_fma_f64 v[4:5], v[4:5], v[12:13], -v[14:15]
	v_fmac_f64_e32 v[130:131], v[126:127], v[16:17]
	v_add_f64_e32 v[6:7], v[10:11], v[8:9]
	v_add_f64_e32 v[8:9], v[128:129], v[136:137]
	v_fma_f64 v[10:11], v[124:125], v[16:17], -v[18:19]
	s_delay_alu instid0(VALU_DEP_3) | instskip(NEXT) | instid1(VALU_DEP_3)
	v_add_f64_e32 v[4:5], v[6:7], v[4:5]
	v_add_f64_e32 v[2:3], v[8:9], v[2:3]
	s_delay_alu instid0(VALU_DEP_2) | instskip(NEXT) | instid1(VALU_DEP_2)
	v_add_f64_e32 v[4:5], v[4:5], v[10:11]
	v_add_f64_e32 v[6:7], v[2:3], v[130:131]
	s_wait_loadcnt 0x0
	s_delay_alu instid0(VALU_DEP_2) | instskip(NEXT) | instid1(VALU_DEP_2)
	v_add_f64_e64 v[2:3], v[20:21], -v[4:5]
	v_add_f64_e64 v[4:5], v[22:23], -v[6:7]
	scratch_store_b128 off, v[2:5], off offset:704
	s_wait_xcnt 0x0
	v_cmpx_lt_u32_e32 43, v1
	s_cbranch_execz .LBB48_221
; %bb.220:
	scratch_load_b128 v[2:5], off, s9
	v_mov_b32_e32 v6, 0
	s_delay_alu instid0(VALU_DEP_1)
	v_dual_mov_b32 v7, v6 :: v_dual_mov_b32 v8, v6
	v_mov_b32_e32 v9, v6
	scratch_store_b128 off, v[6:9], off offset:688
	s_wait_loadcnt 0x0
	ds_store_b128 v122, v[2:5]
.LBB48_221:
	s_wait_xcnt 0x0
	s_or_b32 exec_lo, exec_lo, s2
	s_wait_storecnt_dscnt 0x0
	s_barrier_signal -1
	s_barrier_wait -1
	s_clause 0x5
	scratch_load_b128 v[4:7], off, off offset:704
	scratch_load_b128 v[8:11], off, off offset:720
	;; [unrolled: 1-line block ×6, first 2 shown]
	v_mov_b32_e32 v2, 0
	ds_load_b128 v[128:131], v2 offset:1488
	ds_load_b128 v[132:135], v2 offset:1504
	s_mov_b32 s2, exec_lo
	s_wait_loadcnt_dscnt 0x501
	v_mul_f64_e32 v[136:137], v[130:131], v[6:7]
	v_mul_f64_e32 v[138:139], v[128:129], v[6:7]
	s_wait_loadcnt_dscnt 0x400
	v_mul_f64_e32 v[140:141], v[132:133], v[10:11]
	v_mul_f64_e32 v[10:11], v[134:135], v[10:11]
	s_delay_alu instid0(VALU_DEP_4) | instskip(NEXT) | instid1(VALU_DEP_4)
	v_fma_f64 v[136:137], v[128:129], v[4:5], -v[136:137]
	v_fmac_f64_e32 v[138:139], v[130:131], v[4:5]
	ds_load_b128 v[4:7], v2 offset:1520
	ds_load_b128 v[128:131], v2 offset:1536
	v_fmac_f64_e32 v[140:141], v[134:135], v[8:9]
	v_fma_f64 v[8:9], v[132:133], v[8:9], -v[10:11]
	s_wait_loadcnt_dscnt 0x301
	v_mul_f64_e32 v[142:143], v[4:5], v[14:15]
	v_mul_f64_e32 v[14:15], v[6:7], v[14:15]
	s_wait_loadcnt_dscnt 0x200
	v_mul_f64_e32 v[134:135], v[128:129], v[18:19]
	v_mul_f64_e32 v[18:19], v[130:131], v[18:19]
	v_add_f64_e32 v[10:11], 0, v[136:137]
	v_add_f64_e32 v[132:133], 0, v[138:139]
	v_fmac_f64_e32 v[142:143], v[6:7], v[12:13]
	v_fma_f64 v[12:13], v[4:5], v[12:13], -v[14:15]
	ds_load_b128 v[4:7], v2 offset:1552
	v_fmac_f64_e32 v[134:135], v[130:131], v[16:17]
	v_fma_f64 v[16:17], v[128:129], v[16:17], -v[18:19]
	v_add_f64_e32 v[8:9], v[10:11], v[8:9]
	v_add_f64_e32 v[10:11], v[132:133], v[140:141]
	s_wait_loadcnt_dscnt 0x100
	v_mul_f64_e32 v[14:15], v[4:5], v[22:23]
	v_mul_f64_e32 v[22:23], v[6:7], v[22:23]
	s_delay_alu instid0(VALU_DEP_4) | instskip(NEXT) | instid1(VALU_DEP_4)
	v_add_f64_e32 v[8:9], v[8:9], v[12:13]
	v_add_f64_e32 v[10:11], v[10:11], v[142:143]
	s_delay_alu instid0(VALU_DEP_4) | instskip(NEXT) | instid1(VALU_DEP_4)
	v_fmac_f64_e32 v[14:15], v[6:7], v[20:21]
	v_fma_f64 v[4:5], v[4:5], v[20:21], -v[22:23]
	s_delay_alu instid0(VALU_DEP_4) | instskip(NEXT) | instid1(VALU_DEP_4)
	v_add_f64_e32 v[6:7], v[8:9], v[16:17]
	v_add_f64_e32 v[8:9], v[10:11], v[134:135]
	s_delay_alu instid0(VALU_DEP_2) | instskip(NEXT) | instid1(VALU_DEP_2)
	v_add_f64_e32 v[4:5], v[6:7], v[4:5]
	v_add_f64_e32 v[6:7], v[8:9], v[14:15]
	s_wait_loadcnt 0x0
	s_delay_alu instid0(VALU_DEP_2) | instskip(NEXT) | instid1(VALU_DEP_2)
	v_add_f64_e64 v[4:5], v[124:125], -v[4:5]
	v_add_f64_e64 v[6:7], v[126:127], -v[6:7]
	scratch_store_b128 off, v[4:7], off offset:688
	s_wait_xcnt 0x0
	v_cmpx_lt_u32_e32 42, v1
	s_cbranch_execz .LBB48_223
; %bb.222:
	scratch_load_b128 v[6:9], off, s12
	v_dual_mov_b32 v3, v2 :: v_dual_mov_b32 v4, v2
	v_mov_b32_e32 v5, v2
	scratch_store_b128 off, v[2:5], off offset:672
	s_wait_loadcnt 0x0
	ds_store_b128 v122, v[6:9]
.LBB48_223:
	s_wait_xcnt 0x0
	s_or_b32 exec_lo, exec_lo, s2
	s_wait_storecnt_dscnt 0x0
	s_barrier_signal -1
	s_barrier_wait -1
	s_clause 0x6
	scratch_load_b128 v[4:7], off, off offset:688
	scratch_load_b128 v[8:11], off, off offset:704
	;; [unrolled: 1-line block ×7, first 2 shown]
	ds_load_b128 v[132:135], v2 offset:1472
	ds_load_b128 v[136:139], v2 offset:1488
	s_mov_b32 s2, exec_lo
	s_wait_loadcnt_dscnt 0x601
	v_mul_f64_e32 v[140:141], v[134:135], v[6:7]
	v_mul_f64_e32 v[142:143], v[132:133], v[6:7]
	s_wait_loadcnt_dscnt 0x500
	v_mul_f64_e32 v[144:145], v[136:137], v[10:11]
	v_mul_f64_e32 v[10:11], v[138:139], v[10:11]
	s_delay_alu instid0(VALU_DEP_4) | instskip(NEXT) | instid1(VALU_DEP_4)
	v_fma_f64 v[140:141], v[132:133], v[4:5], -v[140:141]
	v_fmac_f64_e32 v[142:143], v[134:135], v[4:5]
	ds_load_b128 v[4:7], v2 offset:1504
	ds_load_b128 v[132:135], v2 offset:1520
	v_fmac_f64_e32 v[144:145], v[138:139], v[8:9]
	v_fma_f64 v[8:9], v[136:137], v[8:9], -v[10:11]
	s_wait_loadcnt_dscnt 0x401
	v_mul_f64_e32 v[146:147], v[4:5], v[14:15]
	v_mul_f64_e32 v[14:15], v[6:7], v[14:15]
	s_wait_loadcnt_dscnt 0x300
	v_mul_f64_e32 v[138:139], v[132:133], v[18:19]
	v_mul_f64_e32 v[18:19], v[134:135], v[18:19]
	v_add_f64_e32 v[10:11], 0, v[140:141]
	v_add_f64_e32 v[136:137], 0, v[142:143]
	v_fmac_f64_e32 v[146:147], v[6:7], v[12:13]
	v_fma_f64 v[12:13], v[4:5], v[12:13], -v[14:15]
	v_fmac_f64_e32 v[138:139], v[134:135], v[16:17]
	v_fma_f64 v[16:17], v[132:133], v[16:17], -v[18:19]
	v_add_f64_e32 v[14:15], v[10:11], v[8:9]
	v_add_f64_e32 v[136:137], v[136:137], v[144:145]
	ds_load_b128 v[4:7], v2 offset:1536
	ds_load_b128 v[8:11], v2 offset:1552
	s_wait_loadcnt_dscnt 0x201
	v_mul_f64_e32 v[2:3], v[4:5], v[22:23]
	v_mul_f64_e32 v[22:23], v[6:7], v[22:23]
	s_wait_loadcnt_dscnt 0x100
	v_mul_f64_e32 v[18:19], v[8:9], v[126:127]
	v_mul_f64_e32 v[126:127], v[10:11], v[126:127]
	v_add_f64_e32 v[12:13], v[14:15], v[12:13]
	v_add_f64_e32 v[14:15], v[136:137], v[146:147]
	v_fmac_f64_e32 v[2:3], v[6:7], v[20:21]
	v_fma_f64 v[4:5], v[4:5], v[20:21], -v[22:23]
	v_fmac_f64_e32 v[18:19], v[10:11], v[124:125]
	v_fma_f64 v[8:9], v[8:9], v[124:125], -v[126:127]
	v_add_f64_e32 v[6:7], v[12:13], v[16:17]
	v_add_f64_e32 v[12:13], v[14:15], v[138:139]
	s_delay_alu instid0(VALU_DEP_2) | instskip(NEXT) | instid1(VALU_DEP_2)
	v_add_f64_e32 v[4:5], v[6:7], v[4:5]
	v_add_f64_e32 v[2:3], v[12:13], v[2:3]
	s_delay_alu instid0(VALU_DEP_2) | instskip(NEXT) | instid1(VALU_DEP_2)
	v_add_f64_e32 v[4:5], v[4:5], v[8:9]
	v_add_f64_e32 v[6:7], v[2:3], v[18:19]
	s_wait_loadcnt 0x0
	s_delay_alu instid0(VALU_DEP_2) | instskip(NEXT) | instid1(VALU_DEP_2)
	v_add_f64_e64 v[2:3], v[128:129], -v[4:5]
	v_add_f64_e64 v[4:5], v[130:131], -v[6:7]
	scratch_store_b128 off, v[2:5], off offset:672
	s_wait_xcnt 0x0
	v_cmpx_lt_u32_e32 41, v1
	s_cbranch_execz .LBB48_225
; %bb.224:
	scratch_load_b128 v[2:5], off, s11
	v_mov_b32_e32 v6, 0
	s_delay_alu instid0(VALU_DEP_1)
	v_dual_mov_b32 v7, v6 :: v_dual_mov_b32 v8, v6
	v_mov_b32_e32 v9, v6
	scratch_store_b128 off, v[6:9], off offset:656
	s_wait_loadcnt 0x0
	ds_store_b128 v122, v[2:5]
.LBB48_225:
	s_wait_xcnt 0x0
	s_or_b32 exec_lo, exec_lo, s2
	s_wait_storecnt_dscnt 0x0
	s_barrier_signal -1
	s_barrier_wait -1
	s_clause 0x7
	scratch_load_b128 v[4:7], off, off offset:672
	scratch_load_b128 v[8:11], off, off offset:688
	;; [unrolled: 1-line block ×8, first 2 shown]
	v_mov_b32_e32 v2, 0
	ds_load_b128 v[136:139], v2 offset:1456
	ds_load_b128 v[140:143], v2 offset:1472
	s_mov_b32 s2, exec_lo
	s_wait_loadcnt_dscnt 0x701
	v_mul_f64_e32 v[144:145], v[138:139], v[6:7]
	v_mul_f64_e32 v[146:147], v[136:137], v[6:7]
	s_wait_loadcnt_dscnt 0x600
	v_mul_f64_e32 v[148:149], v[140:141], v[10:11]
	v_mul_f64_e32 v[10:11], v[142:143], v[10:11]
	s_delay_alu instid0(VALU_DEP_4) | instskip(NEXT) | instid1(VALU_DEP_4)
	v_fma_f64 v[144:145], v[136:137], v[4:5], -v[144:145]
	v_fmac_f64_e32 v[146:147], v[138:139], v[4:5]
	ds_load_b128 v[4:7], v2 offset:1488
	ds_load_b128 v[136:139], v2 offset:1504
	v_fmac_f64_e32 v[148:149], v[142:143], v[8:9]
	v_fma_f64 v[8:9], v[140:141], v[8:9], -v[10:11]
	s_wait_loadcnt_dscnt 0x501
	v_mul_f64_e32 v[150:151], v[4:5], v[14:15]
	v_mul_f64_e32 v[14:15], v[6:7], v[14:15]
	s_wait_loadcnt_dscnt 0x400
	v_mul_f64_e32 v[142:143], v[136:137], v[18:19]
	v_mul_f64_e32 v[18:19], v[138:139], v[18:19]
	v_add_f64_e32 v[10:11], 0, v[144:145]
	v_add_f64_e32 v[140:141], 0, v[146:147]
	v_fmac_f64_e32 v[150:151], v[6:7], v[12:13]
	v_fma_f64 v[12:13], v[4:5], v[12:13], -v[14:15]
	v_fmac_f64_e32 v[142:143], v[138:139], v[16:17]
	v_fma_f64 v[16:17], v[136:137], v[16:17], -v[18:19]
	v_add_f64_e32 v[14:15], v[10:11], v[8:9]
	v_add_f64_e32 v[140:141], v[140:141], v[148:149]
	ds_load_b128 v[4:7], v2 offset:1520
	ds_load_b128 v[8:11], v2 offset:1536
	s_wait_loadcnt_dscnt 0x301
	v_mul_f64_e32 v[144:145], v[4:5], v[22:23]
	v_mul_f64_e32 v[22:23], v[6:7], v[22:23]
	s_wait_loadcnt_dscnt 0x200
	v_mul_f64_e32 v[18:19], v[8:9], v[126:127]
	v_mul_f64_e32 v[126:127], v[10:11], v[126:127]
	v_add_f64_e32 v[12:13], v[14:15], v[12:13]
	v_add_f64_e32 v[14:15], v[140:141], v[150:151]
	v_fmac_f64_e32 v[144:145], v[6:7], v[20:21]
	v_fma_f64 v[20:21], v[4:5], v[20:21], -v[22:23]
	ds_load_b128 v[4:7], v2 offset:1552
	v_fmac_f64_e32 v[18:19], v[10:11], v[124:125]
	v_fma_f64 v[8:9], v[8:9], v[124:125], -v[126:127]
	v_add_f64_e32 v[12:13], v[12:13], v[16:17]
	v_add_f64_e32 v[14:15], v[14:15], v[142:143]
	s_wait_loadcnt_dscnt 0x100
	v_mul_f64_e32 v[16:17], v[4:5], v[130:131]
	v_mul_f64_e32 v[22:23], v[6:7], v[130:131]
	s_delay_alu instid0(VALU_DEP_4) | instskip(NEXT) | instid1(VALU_DEP_4)
	v_add_f64_e32 v[10:11], v[12:13], v[20:21]
	v_add_f64_e32 v[12:13], v[14:15], v[144:145]
	s_delay_alu instid0(VALU_DEP_4) | instskip(NEXT) | instid1(VALU_DEP_4)
	v_fmac_f64_e32 v[16:17], v[6:7], v[128:129]
	v_fma_f64 v[4:5], v[4:5], v[128:129], -v[22:23]
	s_delay_alu instid0(VALU_DEP_4) | instskip(NEXT) | instid1(VALU_DEP_4)
	v_add_f64_e32 v[6:7], v[10:11], v[8:9]
	v_add_f64_e32 v[8:9], v[12:13], v[18:19]
	s_delay_alu instid0(VALU_DEP_2) | instskip(NEXT) | instid1(VALU_DEP_2)
	v_add_f64_e32 v[4:5], v[6:7], v[4:5]
	v_add_f64_e32 v[6:7], v[8:9], v[16:17]
	s_wait_loadcnt 0x0
	s_delay_alu instid0(VALU_DEP_2) | instskip(NEXT) | instid1(VALU_DEP_2)
	v_add_f64_e64 v[4:5], v[132:133], -v[4:5]
	v_add_f64_e64 v[6:7], v[134:135], -v[6:7]
	scratch_store_b128 off, v[4:7], off offset:656
	s_wait_xcnt 0x0
	v_cmpx_lt_u32_e32 40, v1
	s_cbranch_execz .LBB48_227
; %bb.226:
	scratch_load_b128 v[6:9], off, s14
	v_dual_mov_b32 v3, v2 :: v_dual_mov_b32 v4, v2
	v_mov_b32_e32 v5, v2
	scratch_store_b128 off, v[2:5], off offset:640
	s_wait_loadcnt 0x0
	ds_store_b128 v122, v[6:9]
.LBB48_227:
	s_wait_xcnt 0x0
	s_or_b32 exec_lo, exec_lo, s2
	s_wait_storecnt_dscnt 0x0
	s_barrier_signal -1
	s_barrier_wait -1
	s_clause 0x7
	scratch_load_b128 v[4:7], off, off offset:656
	scratch_load_b128 v[8:11], off, off offset:672
	;; [unrolled: 1-line block ×8, first 2 shown]
	ds_load_b128 v[136:139], v2 offset:1440
	ds_load_b128 v[140:143], v2 offset:1456
	scratch_load_b128 v[144:147], off, off offset:640
	s_mov_b32 s2, exec_lo
	s_wait_loadcnt_dscnt 0x801
	v_mul_f64_e32 v[148:149], v[138:139], v[6:7]
	v_mul_f64_e32 v[150:151], v[136:137], v[6:7]
	s_wait_loadcnt_dscnt 0x700
	v_mul_f64_e32 v[152:153], v[140:141], v[10:11]
	v_mul_f64_e32 v[10:11], v[142:143], v[10:11]
	s_delay_alu instid0(VALU_DEP_4) | instskip(NEXT) | instid1(VALU_DEP_4)
	v_fma_f64 v[148:149], v[136:137], v[4:5], -v[148:149]
	v_fmac_f64_e32 v[150:151], v[138:139], v[4:5]
	ds_load_b128 v[4:7], v2 offset:1472
	ds_load_b128 v[136:139], v2 offset:1488
	v_fmac_f64_e32 v[152:153], v[142:143], v[8:9]
	v_fma_f64 v[8:9], v[140:141], v[8:9], -v[10:11]
	s_wait_loadcnt_dscnt 0x601
	v_mul_f64_e32 v[154:155], v[4:5], v[14:15]
	v_mul_f64_e32 v[14:15], v[6:7], v[14:15]
	s_wait_loadcnt_dscnt 0x500
	v_mul_f64_e32 v[142:143], v[136:137], v[18:19]
	v_mul_f64_e32 v[18:19], v[138:139], v[18:19]
	v_add_f64_e32 v[10:11], 0, v[148:149]
	v_add_f64_e32 v[140:141], 0, v[150:151]
	v_fmac_f64_e32 v[154:155], v[6:7], v[12:13]
	v_fma_f64 v[12:13], v[4:5], v[12:13], -v[14:15]
	v_fmac_f64_e32 v[142:143], v[138:139], v[16:17]
	v_fma_f64 v[16:17], v[136:137], v[16:17], -v[18:19]
	v_add_f64_e32 v[14:15], v[10:11], v[8:9]
	v_add_f64_e32 v[140:141], v[140:141], v[152:153]
	ds_load_b128 v[4:7], v2 offset:1504
	ds_load_b128 v[8:11], v2 offset:1520
	s_wait_loadcnt_dscnt 0x401
	v_mul_f64_e32 v[148:149], v[4:5], v[22:23]
	v_mul_f64_e32 v[22:23], v[6:7], v[22:23]
	s_wait_loadcnt_dscnt 0x300
	v_mul_f64_e32 v[18:19], v[8:9], v[126:127]
	v_mul_f64_e32 v[126:127], v[10:11], v[126:127]
	v_add_f64_e32 v[12:13], v[14:15], v[12:13]
	v_add_f64_e32 v[14:15], v[140:141], v[154:155]
	v_fmac_f64_e32 v[148:149], v[6:7], v[20:21]
	v_fma_f64 v[20:21], v[4:5], v[20:21], -v[22:23]
	v_fmac_f64_e32 v[18:19], v[10:11], v[124:125]
	v_fma_f64 v[8:9], v[8:9], v[124:125], -v[126:127]
	v_add_f64_e32 v[16:17], v[12:13], v[16:17]
	v_add_f64_e32 v[22:23], v[14:15], v[142:143]
	ds_load_b128 v[4:7], v2 offset:1536
	ds_load_b128 v[12:15], v2 offset:1552
	s_wait_loadcnt_dscnt 0x201
	v_mul_f64_e32 v[2:3], v[4:5], v[130:131]
	v_mul_f64_e32 v[130:131], v[6:7], v[130:131]
	v_add_f64_e32 v[10:11], v[16:17], v[20:21]
	v_add_f64_e32 v[16:17], v[22:23], v[148:149]
	s_wait_loadcnt_dscnt 0x100
	v_mul_f64_e32 v[20:21], v[12:13], v[134:135]
	v_mul_f64_e32 v[22:23], v[14:15], v[134:135]
	v_fmac_f64_e32 v[2:3], v[6:7], v[128:129]
	v_fma_f64 v[4:5], v[4:5], v[128:129], -v[130:131]
	v_add_f64_e32 v[6:7], v[10:11], v[8:9]
	v_add_f64_e32 v[8:9], v[16:17], v[18:19]
	v_fmac_f64_e32 v[20:21], v[14:15], v[132:133]
	v_fma_f64 v[10:11], v[12:13], v[132:133], -v[22:23]
	s_delay_alu instid0(VALU_DEP_4) | instskip(NEXT) | instid1(VALU_DEP_4)
	v_add_f64_e32 v[4:5], v[6:7], v[4:5]
	v_add_f64_e32 v[2:3], v[8:9], v[2:3]
	s_delay_alu instid0(VALU_DEP_2) | instskip(NEXT) | instid1(VALU_DEP_2)
	v_add_f64_e32 v[4:5], v[4:5], v[10:11]
	v_add_f64_e32 v[6:7], v[2:3], v[20:21]
	s_wait_loadcnt 0x0
	s_delay_alu instid0(VALU_DEP_2) | instskip(NEXT) | instid1(VALU_DEP_2)
	v_add_f64_e64 v[2:3], v[144:145], -v[4:5]
	v_add_f64_e64 v[4:5], v[146:147], -v[6:7]
	scratch_store_b128 off, v[2:5], off offset:640
	s_wait_xcnt 0x0
	v_cmpx_lt_u32_e32 39, v1
	s_cbranch_execz .LBB48_229
; %bb.228:
	scratch_load_b128 v[2:5], off, s13
	v_mov_b32_e32 v6, 0
	s_delay_alu instid0(VALU_DEP_1)
	v_dual_mov_b32 v7, v6 :: v_dual_mov_b32 v8, v6
	v_mov_b32_e32 v9, v6
	scratch_store_b128 off, v[6:9], off offset:624
	s_wait_loadcnt 0x0
	ds_store_b128 v122, v[2:5]
.LBB48_229:
	s_wait_xcnt 0x0
	s_or_b32 exec_lo, exec_lo, s2
	s_wait_storecnt_dscnt 0x0
	s_barrier_signal -1
	s_barrier_wait -1
	s_clause 0x8
	scratch_load_b128 v[4:7], off, off offset:640
	scratch_load_b128 v[8:11], off, off offset:656
	;; [unrolled: 1-line block ×9, first 2 shown]
	v_mov_b32_e32 v2, 0
	scratch_load_b128 v[144:147], off, off offset:624
	s_mov_b32 s2, exec_lo
	ds_load_b128 v[140:143], v2 offset:1424
	ds_load_b128 v[148:151], v2 offset:1440
	s_wait_loadcnt_dscnt 0x901
	v_mul_f64_e32 v[152:153], v[142:143], v[6:7]
	v_mul_f64_e32 v[154:155], v[140:141], v[6:7]
	s_wait_loadcnt_dscnt 0x800
	v_mul_f64_e32 v[156:157], v[148:149], v[10:11]
	v_mul_f64_e32 v[10:11], v[150:151], v[10:11]
	s_delay_alu instid0(VALU_DEP_4) | instskip(NEXT) | instid1(VALU_DEP_4)
	v_fma_f64 v[152:153], v[140:141], v[4:5], -v[152:153]
	v_fmac_f64_e32 v[154:155], v[142:143], v[4:5]
	ds_load_b128 v[4:7], v2 offset:1456
	ds_load_b128 v[140:143], v2 offset:1472
	v_fmac_f64_e32 v[156:157], v[150:151], v[8:9]
	v_fma_f64 v[8:9], v[148:149], v[8:9], -v[10:11]
	s_wait_loadcnt_dscnt 0x701
	v_mul_f64_e32 v[158:159], v[4:5], v[14:15]
	v_mul_f64_e32 v[14:15], v[6:7], v[14:15]
	s_wait_loadcnt_dscnt 0x600
	v_mul_f64_e32 v[150:151], v[140:141], v[18:19]
	v_mul_f64_e32 v[18:19], v[142:143], v[18:19]
	v_add_f64_e32 v[10:11], 0, v[152:153]
	v_add_f64_e32 v[148:149], 0, v[154:155]
	v_fmac_f64_e32 v[158:159], v[6:7], v[12:13]
	v_fma_f64 v[12:13], v[4:5], v[12:13], -v[14:15]
	v_fmac_f64_e32 v[150:151], v[142:143], v[16:17]
	v_fma_f64 v[16:17], v[140:141], v[16:17], -v[18:19]
	v_add_f64_e32 v[14:15], v[10:11], v[8:9]
	v_add_f64_e32 v[148:149], v[148:149], v[156:157]
	ds_load_b128 v[4:7], v2 offset:1488
	ds_load_b128 v[8:11], v2 offset:1504
	s_wait_loadcnt_dscnt 0x501
	v_mul_f64_e32 v[152:153], v[4:5], v[22:23]
	v_mul_f64_e32 v[22:23], v[6:7], v[22:23]
	s_wait_loadcnt_dscnt 0x400
	v_mul_f64_e32 v[18:19], v[8:9], v[126:127]
	v_mul_f64_e32 v[126:127], v[10:11], v[126:127]
	v_add_f64_e32 v[12:13], v[14:15], v[12:13]
	v_add_f64_e32 v[14:15], v[148:149], v[158:159]
	v_fmac_f64_e32 v[152:153], v[6:7], v[20:21]
	v_fma_f64 v[20:21], v[4:5], v[20:21], -v[22:23]
	v_fmac_f64_e32 v[18:19], v[10:11], v[124:125]
	v_fma_f64 v[8:9], v[8:9], v[124:125], -v[126:127]
	v_add_f64_e32 v[16:17], v[12:13], v[16:17]
	v_add_f64_e32 v[22:23], v[14:15], v[150:151]
	ds_load_b128 v[4:7], v2 offset:1520
	ds_load_b128 v[12:15], v2 offset:1536
	s_wait_loadcnt_dscnt 0x301
	v_mul_f64_e32 v[140:141], v[4:5], v[130:131]
	v_mul_f64_e32 v[130:131], v[6:7], v[130:131]
	v_add_f64_e32 v[10:11], v[16:17], v[20:21]
	v_add_f64_e32 v[16:17], v[22:23], v[152:153]
	s_wait_loadcnt_dscnt 0x200
	v_mul_f64_e32 v[20:21], v[12:13], v[134:135]
	v_mul_f64_e32 v[22:23], v[14:15], v[134:135]
	v_fmac_f64_e32 v[140:141], v[6:7], v[128:129]
	v_fma_f64 v[124:125], v[4:5], v[128:129], -v[130:131]
	ds_load_b128 v[4:7], v2 offset:1552
	v_add_f64_e32 v[8:9], v[10:11], v[8:9]
	v_add_f64_e32 v[10:11], v[16:17], v[18:19]
	v_fmac_f64_e32 v[20:21], v[14:15], v[132:133]
	v_fma_f64 v[12:13], v[12:13], v[132:133], -v[22:23]
	s_wait_loadcnt_dscnt 0x100
	v_mul_f64_e32 v[16:17], v[4:5], v[138:139]
	v_mul_f64_e32 v[18:19], v[6:7], v[138:139]
	v_add_f64_e32 v[8:9], v[8:9], v[124:125]
	v_add_f64_e32 v[10:11], v[10:11], v[140:141]
	s_delay_alu instid0(VALU_DEP_4) | instskip(NEXT) | instid1(VALU_DEP_4)
	v_fmac_f64_e32 v[16:17], v[6:7], v[136:137]
	v_fma_f64 v[4:5], v[4:5], v[136:137], -v[18:19]
	s_delay_alu instid0(VALU_DEP_4) | instskip(NEXT) | instid1(VALU_DEP_4)
	v_add_f64_e32 v[6:7], v[8:9], v[12:13]
	v_add_f64_e32 v[8:9], v[10:11], v[20:21]
	s_delay_alu instid0(VALU_DEP_2) | instskip(NEXT) | instid1(VALU_DEP_2)
	v_add_f64_e32 v[4:5], v[6:7], v[4:5]
	v_add_f64_e32 v[6:7], v[8:9], v[16:17]
	s_wait_loadcnt 0x0
	s_delay_alu instid0(VALU_DEP_2) | instskip(NEXT) | instid1(VALU_DEP_2)
	v_add_f64_e64 v[4:5], v[144:145], -v[4:5]
	v_add_f64_e64 v[6:7], v[146:147], -v[6:7]
	scratch_store_b128 off, v[4:7], off offset:624
	s_wait_xcnt 0x0
	v_cmpx_lt_u32_e32 38, v1
	s_cbranch_execz .LBB48_231
; %bb.230:
	scratch_load_b128 v[6:9], off, s22
	v_dual_mov_b32 v3, v2 :: v_dual_mov_b32 v4, v2
	v_mov_b32_e32 v5, v2
	scratch_store_b128 off, v[2:5], off offset:608
	s_wait_loadcnt 0x0
	ds_store_b128 v122, v[6:9]
.LBB48_231:
	s_wait_xcnt 0x0
	s_or_b32 exec_lo, exec_lo, s2
	s_wait_storecnt_dscnt 0x0
	s_barrier_signal -1
	s_barrier_wait -1
	s_clause 0x9
	scratch_load_b128 v[4:7], off, off offset:624
	scratch_load_b128 v[8:11], off, off offset:640
	;; [unrolled: 1-line block ×10, first 2 shown]
	ds_load_b128 v[144:147], v2 offset:1408
	ds_load_b128 v[148:151], v2 offset:1424
	scratch_load_b128 v[152:155], off, off offset:608
	s_mov_b32 s2, exec_lo
	s_wait_loadcnt_dscnt 0xa01
	v_mul_f64_e32 v[156:157], v[146:147], v[6:7]
	v_mul_f64_e32 v[158:159], v[144:145], v[6:7]
	s_wait_loadcnt_dscnt 0x900
	v_mul_f64_e32 v[160:161], v[148:149], v[10:11]
	v_mul_f64_e32 v[10:11], v[150:151], v[10:11]
	s_delay_alu instid0(VALU_DEP_4) | instskip(NEXT) | instid1(VALU_DEP_4)
	v_fma_f64 v[156:157], v[144:145], v[4:5], -v[156:157]
	v_fmac_f64_e32 v[158:159], v[146:147], v[4:5]
	ds_load_b128 v[4:7], v2 offset:1440
	ds_load_b128 v[144:147], v2 offset:1456
	v_fmac_f64_e32 v[160:161], v[150:151], v[8:9]
	v_fma_f64 v[8:9], v[148:149], v[8:9], -v[10:11]
	s_wait_loadcnt_dscnt 0x801
	v_mul_f64_e32 v[162:163], v[4:5], v[14:15]
	v_mul_f64_e32 v[14:15], v[6:7], v[14:15]
	s_wait_loadcnt_dscnt 0x700
	v_mul_f64_e32 v[150:151], v[144:145], v[18:19]
	v_mul_f64_e32 v[18:19], v[146:147], v[18:19]
	v_add_f64_e32 v[10:11], 0, v[156:157]
	v_add_f64_e32 v[148:149], 0, v[158:159]
	v_fmac_f64_e32 v[162:163], v[6:7], v[12:13]
	v_fma_f64 v[12:13], v[4:5], v[12:13], -v[14:15]
	v_fmac_f64_e32 v[150:151], v[146:147], v[16:17]
	v_fma_f64 v[16:17], v[144:145], v[16:17], -v[18:19]
	v_add_f64_e32 v[14:15], v[10:11], v[8:9]
	v_add_f64_e32 v[148:149], v[148:149], v[160:161]
	ds_load_b128 v[4:7], v2 offset:1472
	ds_load_b128 v[8:11], v2 offset:1488
	s_wait_loadcnt_dscnt 0x601
	v_mul_f64_e32 v[156:157], v[4:5], v[22:23]
	v_mul_f64_e32 v[22:23], v[6:7], v[22:23]
	s_wait_loadcnt_dscnt 0x500
	v_mul_f64_e32 v[18:19], v[8:9], v[126:127]
	v_mul_f64_e32 v[126:127], v[10:11], v[126:127]
	v_add_f64_e32 v[12:13], v[14:15], v[12:13]
	v_add_f64_e32 v[14:15], v[148:149], v[162:163]
	v_fmac_f64_e32 v[156:157], v[6:7], v[20:21]
	v_fma_f64 v[20:21], v[4:5], v[20:21], -v[22:23]
	v_fmac_f64_e32 v[18:19], v[10:11], v[124:125]
	v_fma_f64 v[8:9], v[8:9], v[124:125], -v[126:127]
	v_add_f64_e32 v[16:17], v[12:13], v[16:17]
	v_add_f64_e32 v[22:23], v[14:15], v[150:151]
	ds_load_b128 v[4:7], v2 offset:1504
	ds_load_b128 v[12:15], v2 offset:1520
	s_wait_loadcnt_dscnt 0x401
	v_mul_f64_e32 v[144:145], v[4:5], v[130:131]
	v_mul_f64_e32 v[130:131], v[6:7], v[130:131]
	v_add_f64_e32 v[10:11], v[16:17], v[20:21]
	v_add_f64_e32 v[16:17], v[22:23], v[156:157]
	s_wait_loadcnt_dscnt 0x300
	v_mul_f64_e32 v[20:21], v[12:13], v[134:135]
	v_mul_f64_e32 v[22:23], v[14:15], v[134:135]
	v_fmac_f64_e32 v[144:145], v[6:7], v[128:129]
	v_fma_f64 v[124:125], v[4:5], v[128:129], -v[130:131]
	v_add_f64_e32 v[126:127], v[10:11], v[8:9]
	v_add_f64_e32 v[16:17], v[16:17], v[18:19]
	ds_load_b128 v[4:7], v2 offset:1536
	ds_load_b128 v[8:11], v2 offset:1552
	v_fmac_f64_e32 v[20:21], v[14:15], v[132:133]
	v_fma_f64 v[12:13], v[12:13], v[132:133], -v[22:23]
	s_wait_loadcnt_dscnt 0x201
	v_mul_f64_e32 v[2:3], v[4:5], v[138:139]
	v_mul_f64_e32 v[18:19], v[6:7], v[138:139]
	s_wait_loadcnt_dscnt 0x100
	v_mul_f64_e32 v[22:23], v[8:9], v[142:143]
	v_add_f64_e32 v[14:15], v[126:127], v[124:125]
	v_add_f64_e32 v[16:17], v[16:17], v[144:145]
	v_mul_f64_e32 v[124:125], v[10:11], v[142:143]
	v_fmac_f64_e32 v[2:3], v[6:7], v[136:137]
	v_fma_f64 v[4:5], v[4:5], v[136:137], -v[18:19]
	v_fmac_f64_e32 v[22:23], v[10:11], v[140:141]
	v_add_f64_e32 v[6:7], v[14:15], v[12:13]
	v_add_f64_e32 v[12:13], v[16:17], v[20:21]
	v_fma_f64 v[8:9], v[8:9], v[140:141], -v[124:125]
	s_delay_alu instid0(VALU_DEP_3) | instskip(NEXT) | instid1(VALU_DEP_3)
	v_add_f64_e32 v[4:5], v[6:7], v[4:5]
	v_add_f64_e32 v[2:3], v[12:13], v[2:3]
	s_delay_alu instid0(VALU_DEP_2) | instskip(NEXT) | instid1(VALU_DEP_2)
	v_add_f64_e32 v[4:5], v[4:5], v[8:9]
	v_add_f64_e32 v[6:7], v[2:3], v[22:23]
	s_wait_loadcnt 0x0
	s_delay_alu instid0(VALU_DEP_2) | instskip(NEXT) | instid1(VALU_DEP_2)
	v_add_f64_e64 v[2:3], v[152:153], -v[4:5]
	v_add_f64_e64 v[4:5], v[154:155], -v[6:7]
	scratch_store_b128 off, v[2:5], off offset:608
	s_wait_xcnt 0x0
	v_cmpx_lt_u32_e32 37, v1
	s_cbranch_execz .LBB48_233
; %bb.232:
	scratch_load_b128 v[2:5], off, s21
	v_mov_b32_e32 v6, 0
	s_delay_alu instid0(VALU_DEP_1)
	v_dual_mov_b32 v7, v6 :: v_dual_mov_b32 v8, v6
	v_mov_b32_e32 v9, v6
	scratch_store_b128 off, v[6:9], off offset:592
	s_wait_loadcnt 0x0
	ds_store_b128 v122, v[2:5]
.LBB48_233:
	s_wait_xcnt 0x0
	s_or_b32 exec_lo, exec_lo, s2
	s_wait_storecnt_dscnt 0x0
	s_barrier_signal -1
	s_barrier_wait -1
	s_clause 0x9
	scratch_load_b128 v[4:7], off, off offset:608
	scratch_load_b128 v[8:11], off, off offset:624
	scratch_load_b128 v[12:15], off, off offset:640
	scratch_load_b128 v[16:19], off, off offset:656
	scratch_load_b128 v[20:23], off, off offset:672
	scratch_load_b128 v[124:127], off, off offset:688
	scratch_load_b128 v[128:131], off, off offset:704
	scratch_load_b128 v[132:135], off, off offset:720
	scratch_load_b128 v[136:139], off, off offset:736
	scratch_load_b128 v[140:143], off, off offset:752
	v_mov_b32_e32 v2, 0
	s_mov_b32 s2, exec_lo
	ds_load_b128 v[144:147], v2 offset:1392
	s_clause 0x1
	scratch_load_b128 v[148:151], off, off offset:768
	scratch_load_b128 v[152:155], off, off offset:592
	s_wait_loadcnt_dscnt 0xb00
	v_mul_f64_e32 v[160:161], v[146:147], v[6:7]
	v_mul_f64_e32 v[162:163], v[144:145], v[6:7]
	ds_load_b128 v[156:159], v2 offset:1408
	s_wait_loadcnt_dscnt 0xa00
	v_mul_f64_e32 v[164:165], v[156:157], v[10:11]
	v_mul_f64_e32 v[10:11], v[158:159], v[10:11]
	v_fma_f64 v[160:161], v[144:145], v[4:5], -v[160:161]
	v_fmac_f64_e32 v[162:163], v[146:147], v[4:5]
	ds_load_b128 v[4:7], v2 offset:1424
	ds_load_b128 v[144:147], v2 offset:1440
	s_wait_loadcnt_dscnt 0x901
	v_mul_f64_e32 v[166:167], v[4:5], v[14:15]
	v_mul_f64_e32 v[14:15], v[6:7], v[14:15]
	v_fmac_f64_e32 v[164:165], v[158:159], v[8:9]
	v_fma_f64 v[8:9], v[156:157], v[8:9], -v[10:11]
	s_wait_loadcnt_dscnt 0x800
	v_mul_f64_e32 v[158:159], v[144:145], v[18:19]
	v_mul_f64_e32 v[18:19], v[146:147], v[18:19]
	v_add_f64_e32 v[10:11], 0, v[160:161]
	v_add_f64_e32 v[156:157], 0, v[162:163]
	v_fmac_f64_e32 v[166:167], v[6:7], v[12:13]
	v_fma_f64 v[12:13], v[4:5], v[12:13], -v[14:15]
	v_fmac_f64_e32 v[158:159], v[146:147], v[16:17]
	v_fma_f64 v[16:17], v[144:145], v[16:17], -v[18:19]
	v_add_f64_e32 v[14:15], v[10:11], v[8:9]
	v_add_f64_e32 v[156:157], v[156:157], v[164:165]
	ds_load_b128 v[4:7], v2 offset:1456
	ds_load_b128 v[8:11], v2 offset:1472
	s_wait_loadcnt_dscnt 0x701
	v_mul_f64_e32 v[160:161], v[4:5], v[22:23]
	v_mul_f64_e32 v[22:23], v[6:7], v[22:23]
	s_wait_loadcnt_dscnt 0x600
	v_mul_f64_e32 v[18:19], v[8:9], v[126:127]
	v_mul_f64_e32 v[126:127], v[10:11], v[126:127]
	v_add_f64_e32 v[12:13], v[14:15], v[12:13]
	v_add_f64_e32 v[14:15], v[156:157], v[166:167]
	v_fmac_f64_e32 v[160:161], v[6:7], v[20:21]
	v_fma_f64 v[20:21], v[4:5], v[20:21], -v[22:23]
	v_fmac_f64_e32 v[18:19], v[10:11], v[124:125]
	v_fma_f64 v[8:9], v[8:9], v[124:125], -v[126:127]
	v_add_f64_e32 v[16:17], v[12:13], v[16:17]
	v_add_f64_e32 v[22:23], v[14:15], v[158:159]
	ds_load_b128 v[4:7], v2 offset:1488
	ds_load_b128 v[12:15], v2 offset:1504
	s_wait_loadcnt_dscnt 0x501
	v_mul_f64_e32 v[144:145], v[4:5], v[130:131]
	v_mul_f64_e32 v[130:131], v[6:7], v[130:131]
	v_add_f64_e32 v[10:11], v[16:17], v[20:21]
	v_add_f64_e32 v[16:17], v[22:23], v[160:161]
	s_wait_loadcnt_dscnt 0x400
	v_mul_f64_e32 v[20:21], v[12:13], v[134:135]
	v_mul_f64_e32 v[22:23], v[14:15], v[134:135]
	v_fmac_f64_e32 v[144:145], v[6:7], v[128:129]
	v_fma_f64 v[124:125], v[4:5], v[128:129], -v[130:131]
	v_add_f64_e32 v[126:127], v[10:11], v[8:9]
	v_add_f64_e32 v[16:17], v[16:17], v[18:19]
	ds_load_b128 v[4:7], v2 offset:1520
	ds_load_b128 v[8:11], v2 offset:1536
	v_fmac_f64_e32 v[20:21], v[14:15], v[132:133]
	v_fma_f64 v[12:13], v[12:13], v[132:133], -v[22:23]
	s_wait_loadcnt_dscnt 0x301
	v_mul_f64_e32 v[18:19], v[4:5], v[138:139]
	v_mul_f64_e32 v[128:129], v[6:7], v[138:139]
	s_wait_loadcnt_dscnt 0x200
	v_mul_f64_e32 v[22:23], v[8:9], v[142:143]
	v_add_f64_e32 v[14:15], v[126:127], v[124:125]
	v_add_f64_e32 v[16:17], v[16:17], v[144:145]
	v_mul_f64_e32 v[124:125], v[10:11], v[142:143]
	v_fmac_f64_e32 v[18:19], v[6:7], v[136:137]
	v_fma_f64 v[126:127], v[4:5], v[136:137], -v[128:129]
	ds_load_b128 v[4:7], v2 offset:1552
	v_fmac_f64_e32 v[22:23], v[10:11], v[140:141]
	v_add_f64_e32 v[12:13], v[14:15], v[12:13]
	v_add_f64_e32 v[14:15], v[16:17], v[20:21]
	v_fma_f64 v[8:9], v[8:9], v[140:141], -v[124:125]
	s_wait_loadcnt_dscnt 0x100
	v_mul_f64_e32 v[16:17], v[4:5], v[150:151]
	v_mul_f64_e32 v[20:21], v[6:7], v[150:151]
	v_add_f64_e32 v[10:11], v[12:13], v[126:127]
	v_add_f64_e32 v[12:13], v[14:15], v[18:19]
	s_delay_alu instid0(VALU_DEP_4) | instskip(NEXT) | instid1(VALU_DEP_4)
	v_fmac_f64_e32 v[16:17], v[6:7], v[148:149]
	v_fma_f64 v[4:5], v[4:5], v[148:149], -v[20:21]
	s_delay_alu instid0(VALU_DEP_4) | instskip(NEXT) | instid1(VALU_DEP_4)
	v_add_f64_e32 v[6:7], v[10:11], v[8:9]
	v_add_f64_e32 v[8:9], v[12:13], v[22:23]
	s_delay_alu instid0(VALU_DEP_2) | instskip(NEXT) | instid1(VALU_DEP_2)
	v_add_f64_e32 v[4:5], v[6:7], v[4:5]
	v_add_f64_e32 v[6:7], v[8:9], v[16:17]
	s_wait_loadcnt 0x0
	s_delay_alu instid0(VALU_DEP_2) | instskip(NEXT) | instid1(VALU_DEP_2)
	v_add_f64_e64 v[4:5], v[152:153], -v[4:5]
	v_add_f64_e64 v[6:7], v[154:155], -v[6:7]
	scratch_store_b128 off, v[4:7], off offset:592
	s_wait_xcnt 0x0
	v_cmpx_lt_u32_e32 36, v1
	s_cbranch_execz .LBB48_235
; %bb.234:
	scratch_load_b128 v[6:9], off, s25
	v_dual_mov_b32 v3, v2 :: v_dual_mov_b32 v4, v2
	v_mov_b32_e32 v5, v2
	scratch_store_b128 off, v[2:5], off offset:576
	s_wait_loadcnt 0x0
	ds_store_b128 v122, v[6:9]
.LBB48_235:
	s_wait_xcnt 0x0
	s_or_b32 exec_lo, exec_lo, s2
	s_wait_storecnt_dscnt 0x0
	s_barrier_signal -1
	s_barrier_wait -1
	s_clause 0x9
	scratch_load_b128 v[4:7], off, off offset:592
	scratch_load_b128 v[8:11], off, off offset:608
	;; [unrolled: 1-line block ×10, first 2 shown]
	ds_load_b128 v[144:147], v2 offset:1376
	ds_load_b128 v[152:155], v2 offset:1392
	s_clause 0x2
	scratch_load_b128 v[148:151], off, off offset:752
	scratch_load_b128 v[156:159], off, off offset:576
	;; [unrolled: 1-line block ×3, first 2 shown]
	s_mov_b32 s2, exec_lo
	s_wait_loadcnt_dscnt 0xc01
	v_mul_f64_e32 v[164:165], v[146:147], v[6:7]
	v_mul_f64_e32 v[166:167], v[144:145], v[6:7]
	s_wait_loadcnt_dscnt 0xb00
	v_mul_f64_e32 v[168:169], v[152:153], v[10:11]
	v_mul_f64_e32 v[10:11], v[154:155], v[10:11]
	s_delay_alu instid0(VALU_DEP_4) | instskip(NEXT) | instid1(VALU_DEP_4)
	v_fma_f64 v[164:165], v[144:145], v[4:5], -v[164:165]
	v_fmac_f64_e32 v[166:167], v[146:147], v[4:5]
	ds_load_b128 v[4:7], v2 offset:1408
	ds_load_b128 v[144:147], v2 offset:1424
	v_fmac_f64_e32 v[168:169], v[154:155], v[8:9]
	v_fma_f64 v[8:9], v[152:153], v[8:9], -v[10:11]
	s_wait_loadcnt_dscnt 0xa01
	v_mul_f64_e32 v[170:171], v[4:5], v[14:15]
	v_mul_f64_e32 v[14:15], v[6:7], v[14:15]
	s_wait_loadcnt_dscnt 0x900
	v_mul_f64_e32 v[154:155], v[144:145], v[18:19]
	v_mul_f64_e32 v[18:19], v[146:147], v[18:19]
	v_add_f64_e32 v[10:11], 0, v[164:165]
	v_add_f64_e32 v[152:153], 0, v[166:167]
	v_fmac_f64_e32 v[170:171], v[6:7], v[12:13]
	v_fma_f64 v[12:13], v[4:5], v[12:13], -v[14:15]
	v_fmac_f64_e32 v[154:155], v[146:147], v[16:17]
	v_fma_f64 v[16:17], v[144:145], v[16:17], -v[18:19]
	v_add_f64_e32 v[14:15], v[10:11], v[8:9]
	v_add_f64_e32 v[152:153], v[152:153], v[168:169]
	ds_load_b128 v[4:7], v2 offset:1440
	ds_load_b128 v[8:11], v2 offset:1456
	s_wait_loadcnt_dscnt 0x801
	v_mul_f64_e32 v[164:165], v[4:5], v[22:23]
	v_mul_f64_e32 v[22:23], v[6:7], v[22:23]
	s_wait_loadcnt_dscnt 0x700
	v_mul_f64_e32 v[18:19], v[8:9], v[126:127]
	v_mul_f64_e32 v[126:127], v[10:11], v[126:127]
	v_add_f64_e32 v[12:13], v[14:15], v[12:13]
	v_add_f64_e32 v[14:15], v[152:153], v[170:171]
	v_fmac_f64_e32 v[164:165], v[6:7], v[20:21]
	v_fma_f64 v[20:21], v[4:5], v[20:21], -v[22:23]
	v_fmac_f64_e32 v[18:19], v[10:11], v[124:125]
	v_fma_f64 v[8:9], v[8:9], v[124:125], -v[126:127]
	v_add_f64_e32 v[16:17], v[12:13], v[16:17]
	v_add_f64_e32 v[22:23], v[14:15], v[154:155]
	ds_load_b128 v[4:7], v2 offset:1472
	ds_load_b128 v[12:15], v2 offset:1488
	s_wait_loadcnt_dscnt 0x601
	v_mul_f64_e32 v[144:145], v[4:5], v[130:131]
	v_mul_f64_e32 v[130:131], v[6:7], v[130:131]
	v_add_f64_e32 v[10:11], v[16:17], v[20:21]
	v_add_f64_e32 v[16:17], v[22:23], v[164:165]
	s_wait_loadcnt_dscnt 0x500
	v_mul_f64_e32 v[20:21], v[12:13], v[134:135]
	v_mul_f64_e32 v[22:23], v[14:15], v[134:135]
	v_fmac_f64_e32 v[144:145], v[6:7], v[128:129]
	v_fma_f64 v[124:125], v[4:5], v[128:129], -v[130:131]
	v_add_f64_e32 v[126:127], v[10:11], v[8:9]
	v_add_f64_e32 v[16:17], v[16:17], v[18:19]
	ds_load_b128 v[4:7], v2 offset:1504
	ds_load_b128 v[8:11], v2 offset:1520
	v_fmac_f64_e32 v[20:21], v[14:15], v[132:133]
	v_fma_f64 v[12:13], v[12:13], v[132:133], -v[22:23]
	s_wait_loadcnt_dscnt 0x401
	v_mul_f64_e32 v[18:19], v[4:5], v[138:139]
	v_mul_f64_e32 v[128:129], v[6:7], v[138:139]
	s_wait_loadcnt_dscnt 0x300
	v_mul_f64_e32 v[22:23], v[8:9], v[142:143]
	v_add_f64_e32 v[14:15], v[126:127], v[124:125]
	v_add_f64_e32 v[16:17], v[16:17], v[144:145]
	v_mul_f64_e32 v[124:125], v[10:11], v[142:143]
	v_fmac_f64_e32 v[18:19], v[6:7], v[136:137]
	v_fma_f64 v[126:127], v[4:5], v[136:137], -v[128:129]
	v_fmac_f64_e32 v[22:23], v[10:11], v[140:141]
	v_add_f64_e32 v[128:129], v[14:15], v[12:13]
	v_add_f64_e32 v[16:17], v[16:17], v[20:21]
	ds_load_b128 v[4:7], v2 offset:1536
	ds_load_b128 v[12:15], v2 offset:1552
	v_fma_f64 v[8:9], v[8:9], v[140:141], -v[124:125]
	s_wait_loadcnt_dscnt 0x201
	v_mul_f64_e32 v[2:3], v[4:5], v[150:151]
	v_mul_f64_e32 v[20:21], v[6:7], v[150:151]
	s_wait_loadcnt_dscnt 0x0
	v_mul_f64_e32 v[124:125], v[14:15], v[162:163]
	v_add_f64_e32 v[10:11], v[128:129], v[126:127]
	v_add_f64_e32 v[16:17], v[16:17], v[18:19]
	v_mul_f64_e32 v[18:19], v[12:13], v[162:163]
	v_fmac_f64_e32 v[2:3], v[6:7], v[148:149]
	v_fma_f64 v[4:5], v[4:5], v[148:149], -v[20:21]
	v_add_f64_e32 v[6:7], v[10:11], v[8:9]
	v_add_f64_e32 v[8:9], v[16:17], v[22:23]
	v_fmac_f64_e32 v[18:19], v[14:15], v[160:161]
	v_fma_f64 v[10:11], v[12:13], v[160:161], -v[124:125]
	s_delay_alu instid0(VALU_DEP_4) | instskip(NEXT) | instid1(VALU_DEP_4)
	v_add_f64_e32 v[4:5], v[6:7], v[4:5]
	v_add_f64_e32 v[2:3], v[8:9], v[2:3]
	s_delay_alu instid0(VALU_DEP_2) | instskip(NEXT) | instid1(VALU_DEP_2)
	v_add_f64_e32 v[4:5], v[4:5], v[10:11]
	v_add_f64_e32 v[6:7], v[2:3], v[18:19]
	s_delay_alu instid0(VALU_DEP_2) | instskip(NEXT) | instid1(VALU_DEP_2)
	v_add_f64_e64 v[2:3], v[156:157], -v[4:5]
	v_add_f64_e64 v[4:5], v[158:159], -v[6:7]
	scratch_store_b128 off, v[2:5], off offset:576
	s_wait_xcnt 0x0
	v_cmpx_lt_u32_e32 35, v1
	s_cbranch_execz .LBB48_237
; %bb.236:
	scratch_load_b128 v[2:5], off, s24
	v_mov_b32_e32 v6, 0
	s_delay_alu instid0(VALU_DEP_1)
	v_dual_mov_b32 v7, v6 :: v_dual_mov_b32 v8, v6
	v_mov_b32_e32 v9, v6
	scratch_store_b128 off, v[6:9], off offset:560
	s_wait_loadcnt 0x0
	ds_store_b128 v122, v[2:5]
.LBB48_237:
	s_wait_xcnt 0x0
	s_or_b32 exec_lo, exec_lo, s2
	s_wait_storecnt_dscnt 0x0
	s_barrier_signal -1
	s_barrier_wait -1
	s_clause 0x9
	scratch_load_b128 v[4:7], off, off offset:576
	scratch_load_b128 v[8:11], off, off offset:592
	;; [unrolled: 1-line block ×10, first 2 shown]
	v_mov_b32_e32 v2, 0
	s_mov_b32 s2, exec_lo
	ds_load_b128 v[144:147], v2 offset:1360
	s_clause 0x2
	scratch_load_b128 v[148:151], off, off offset:736
	scratch_load_b128 v[152:155], off, off offset:560
	;; [unrolled: 1-line block ×3, first 2 shown]
	s_wait_loadcnt_dscnt 0xc00
	v_mul_f64_e32 v[164:165], v[146:147], v[6:7]
	v_mul_f64_e32 v[168:169], v[144:145], v[6:7]
	ds_load_b128 v[156:159], v2 offset:1376
	v_fma_f64 v[172:173], v[144:145], v[4:5], -v[164:165]
	v_fmac_f64_e32 v[168:169], v[146:147], v[4:5]
	ds_load_b128 v[4:7], v2 offset:1392
	s_wait_loadcnt_dscnt 0xb01
	v_mul_f64_e32 v[170:171], v[156:157], v[10:11]
	v_mul_f64_e32 v[10:11], v[158:159], v[10:11]
	scratch_load_b128 v[144:147], off, off offset:768
	ds_load_b128 v[164:167], v2 offset:1408
	s_wait_loadcnt_dscnt 0xb01
	v_mul_f64_e32 v[174:175], v[4:5], v[14:15]
	v_mul_f64_e32 v[14:15], v[6:7], v[14:15]
	v_fmac_f64_e32 v[170:171], v[158:159], v[8:9]
	v_fma_f64 v[8:9], v[156:157], v[8:9], -v[10:11]
	v_add_f64_e32 v[10:11], 0, v[172:173]
	v_add_f64_e32 v[156:157], 0, v[168:169]
	s_wait_loadcnt_dscnt 0xa00
	v_mul_f64_e32 v[158:159], v[164:165], v[18:19]
	v_mul_f64_e32 v[18:19], v[166:167], v[18:19]
	v_fmac_f64_e32 v[174:175], v[6:7], v[12:13]
	v_fma_f64 v[12:13], v[4:5], v[12:13], -v[14:15]
	v_add_f64_e32 v[14:15], v[10:11], v[8:9]
	v_add_f64_e32 v[156:157], v[156:157], v[170:171]
	ds_load_b128 v[4:7], v2 offset:1424
	ds_load_b128 v[8:11], v2 offset:1440
	v_fmac_f64_e32 v[158:159], v[166:167], v[16:17]
	v_fma_f64 v[16:17], v[164:165], v[16:17], -v[18:19]
	s_wait_loadcnt_dscnt 0x901
	v_mul_f64_e32 v[168:169], v[4:5], v[22:23]
	v_mul_f64_e32 v[22:23], v[6:7], v[22:23]
	s_wait_loadcnt_dscnt 0x800
	v_mul_f64_e32 v[18:19], v[8:9], v[126:127]
	v_mul_f64_e32 v[126:127], v[10:11], v[126:127]
	v_add_f64_e32 v[12:13], v[14:15], v[12:13]
	v_add_f64_e32 v[14:15], v[156:157], v[174:175]
	v_fmac_f64_e32 v[168:169], v[6:7], v[20:21]
	v_fma_f64 v[20:21], v[4:5], v[20:21], -v[22:23]
	v_fmac_f64_e32 v[18:19], v[10:11], v[124:125]
	v_fma_f64 v[8:9], v[8:9], v[124:125], -v[126:127]
	v_add_f64_e32 v[16:17], v[12:13], v[16:17]
	v_add_f64_e32 v[22:23], v[14:15], v[158:159]
	ds_load_b128 v[4:7], v2 offset:1456
	ds_load_b128 v[12:15], v2 offset:1472
	s_wait_loadcnt_dscnt 0x701
	v_mul_f64_e32 v[156:157], v[4:5], v[130:131]
	v_mul_f64_e32 v[130:131], v[6:7], v[130:131]
	v_add_f64_e32 v[10:11], v[16:17], v[20:21]
	v_add_f64_e32 v[16:17], v[22:23], v[168:169]
	s_wait_loadcnt_dscnt 0x600
	v_mul_f64_e32 v[20:21], v[12:13], v[134:135]
	v_mul_f64_e32 v[22:23], v[14:15], v[134:135]
	v_fmac_f64_e32 v[156:157], v[6:7], v[128:129]
	v_fma_f64 v[124:125], v[4:5], v[128:129], -v[130:131]
	v_add_f64_e32 v[126:127], v[10:11], v[8:9]
	v_add_f64_e32 v[16:17], v[16:17], v[18:19]
	ds_load_b128 v[4:7], v2 offset:1488
	ds_load_b128 v[8:11], v2 offset:1504
	v_fmac_f64_e32 v[20:21], v[14:15], v[132:133]
	v_fma_f64 v[12:13], v[12:13], v[132:133], -v[22:23]
	s_wait_loadcnt_dscnt 0x501
	v_mul_f64_e32 v[18:19], v[4:5], v[138:139]
	v_mul_f64_e32 v[128:129], v[6:7], v[138:139]
	s_wait_loadcnt_dscnt 0x400
	v_mul_f64_e32 v[22:23], v[8:9], v[142:143]
	v_add_f64_e32 v[14:15], v[126:127], v[124:125]
	v_add_f64_e32 v[16:17], v[16:17], v[156:157]
	v_mul_f64_e32 v[124:125], v[10:11], v[142:143]
	v_fmac_f64_e32 v[18:19], v[6:7], v[136:137]
	v_fma_f64 v[126:127], v[4:5], v[136:137], -v[128:129]
	v_fmac_f64_e32 v[22:23], v[10:11], v[140:141]
	v_add_f64_e32 v[128:129], v[14:15], v[12:13]
	v_add_f64_e32 v[16:17], v[16:17], v[20:21]
	ds_load_b128 v[4:7], v2 offset:1520
	ds_load_b128 v[12:15], v2 offset:1536
	v_fma_f64 v[8:9], v[8:9], v[140:141], -v[124:125]
	s_wait_loadcnt_dscnt 0x301
	v_mul_f64_e32 v[20:21], v[4:5], v[150:151]
	v_mul_f64_e32 v[130:131], v[6:7], v[150:151]
	s_wait_loadcnt_dscnt 0x100
	v_mul_f64_e32 v[124:125], v[14:15], v[162:163]
	v_add_f64_e32 v[10:11], v[128:129], v[126:127]
	v_add_f64_e32 v[16:17], v[16:17], v[18:19]
	v_mul_f64_e32 v[18:19], v[12:13], v[162:163]
	v_fmac_f64_e32 v[20:21], v[6:7], v[148:149]
	v_fma_f64 v[126:127], v[4:5], v[148:149], -v[130:131]
	ds_load_b128 v[4:7], v2 offset:1552
	v_fma_f64 v[12:13], v[12:13], v[160:161], -v[124:125]
	v_add_f64_e32 v[8:9], v[10:11], v[8:9]
	v_add_f64_e32 v[10:11], v[16:17], v[22:23]
	v_fmac_f64_e32 v[18:19], v[14:15], v[160:161]
	s_wait_loadcnt_dscnt 0x0
	v_mul_f64_e32 v[16:17], v[4:5], v[146:147]
	v_mul_f64_e32 v[22:23], v[6:7], v[146:147]
	v_add_f64_e32 v[8:9], v[8:9], v[126:127]
	v_add_f64_e32 v[10:11], v[10:11], v[20:21]
	s_delay_alu instid0(VALU_DEP_4) | instskip(NEXT) | instid1(VALU_DEP_4)
	v_fmac_f64_e32 v[16:17], v[6:7], v[144:145]
	v_fma_f64 v[4:5], v[4:5], v[144:145], -v[22:23]
	s_delay_alu instid0(VALU_DEP_4) | instskip(NEXT) | instid1(VALU_DEP_4)
	v_add_f64_e32 v[6:7], v[8:9], v[12:13]
	v_add_f64_e32 v[8:9], v[10:11], v[18:19]
	s_delay_alu instid0(VALU_DEP_2) | instskip(NEXT) | instid1(VALU_DEP_2)
	v_add_f64_e32 v[4:5], v[6:7], v[4:5]
	v_add_f64_e32 v[6:7], v[8:9], v[16:17]
	s_delay_alu instid0(VALU_DEP_2) | instskip(NEXT) | instid1(VALU_DEP_2)
	v_add_f64_e64 v[4:5], v[152:153], -v[4:5]
	v_add_f64_e64 v[6:7], v[154:155], -v[6:7]
	scratch_store_b128 off, v[4:7], off offset:560
	s_wait_xcnt 0x0
	v_cmpx_lt_u32_e32 34, v1
	s_cbranch_execz .LBB48_239
; %bb.238:
	scratch_load_b128 v[6:9], off, s27
	v_dual_mov_b32 v3, v2 :: v_dual_mov_b32 v4, v2
	v_mov_b32_e32 v5, v2
	scratch_store_b128 off, v[2:5], off offset:544
	s_wait_loadcnt 0x0
	ds_store_b128 v122, v[6:9]
.LBB48_239:
	s_wait_xcnt 0x0
	s_or_b32 exec_lo, exec_lo, s2
	s_wait_storecnt_dscnt 0x0
	s_barrier_signal -1
	s_barrier_wait -1
	s_clause 0x9
	scratch_load_b128 v[4:7], off, off offset:560
	scratch_load_b128 v[8:11], off, off offset:576
	;; [unrolled: 1-line block ×10, first 2 shown]
	ds_load_b128 v[144:147], v2 offset:1344
	ds_load_b128 v[152:155], v2 offset:1360
	s_clause 0x2
	scratch_load_b128 v[148:151], off, off offset:720
	scratch_load_b128 v[156:159], off, off offset:544
	;; [unrolled: 1-line block ×3, first 2 shown]
	s_mov_b32 s2, exec_lo
	s_wait_loadcnt_dscnt 0xc01
	v_mul_f64_e32 v[164:165], v[146:147], v[6:7]
	v_mul_f64_e32 v[168:169], v[144:145], v[6:7]
	s_wait_loadcnt_dscnt 0xb00
	v_mul_f64_e32 v[170:171], v[152:153], v[10:11]
	v_mul_f64_e32 v[10:11], v[154:155], v[10:11]
	s_delay_alu instid0(VALU_DEP_4) | instskip(NEXT) | instid1(VALU_DEP_4)
	v_fma_f64 v[172:173], v[144:145], v[4:5], -v[164:165]
	v_fmac_f64_e32 v[168:169], v[146:147], v[4:5]
	ds_load_b128 v[4:7], v2 offset:1376
	ds_load_b128 v[144:147], v2 offset:1392
	scratch_load_b128 v[164:167], off, off offset:752
	v_fmac_f64_e32 v[170:171], v[154:155], v[8:9]
	v_fma_f64 v[152:153], v[152:153], v[8:9], -v[10:11]
	scratch_load_b128 v[8:11], off, off offset:768
	s_wait_loadcnt_dscnt 0xc01
	v_mul_f64_e32 v[174:175], v[4:5], v[14:15]
	v_mul_f64_e32 v[14:15], v[6:7], v[14:15]
	v_add_f64_e32 v[154:155], 0, v[172:173]
	v_add_f64_e32 v[168:169], 0, v[168:169]
	s_wait_loadcnt_dscnt 0xb00
	v_mul_f64_e32 v[172:173], v[144:145], v[18:19]
	v_mul_f64_e32 v[18:19], v[146:147], v[18:19]
	v_fmac_f64_e32 v[174:175], v[6:7], v[12:13]
	v_fma_f64 v[176:177], v[4:5], v[12:13], -v[14:15]
	ds_load_b128 v[4:7], v2 offset:1408
	ds_load_b128 v[12:15], v2 offset:1424
	v_add_f64_e32 v[152:153], v[154:155], v[152:153]
	v_add_f64_e32 v[154:155], v[168:169], v[170:171]
	v_fmac_f64_e32 v[172:173], v[146:147], v[16:17]
	v_fma_f64 v[16:17], v[144:145], v[16:17], -v[18:19]
	s_wait_loadcnt_dscnt 0xa01
	v_mul_f64_e32 v[168:169], v[4:5], v[22:23]
	v_mul_f64_e32 v[22:23], v[6:7], v[22:23]
	s_wait_loadcnt_dscnt 0x900
	v_mul_f64_e32 v[146:147], v[12:13], v[126:127]
	v_mul_f64_e32 v[126:127], v[14:15], v[126:127]
	v_add_f64_e32 v[18:19], v[152:153], v[176:177]
	v_add_f64_e32 v[144:145], v[154:155], v[174:175]
	v_fmac_f64_e32 v[168:169], v[6:7], v[20:21]
	v_fma_f64 v[20:21], v[4:5], v[20:21], -v[22:23]
	v_fmac_f64_e32 v[146:147], v[14:15], v[124:125]
	v_fma_f64 v[12:13], v[12:13], v[124:125], -v[126:127]
	v_add_f64_e32 v[22:23], v[18:19], v[16:17]
	v_add_f64_e32 v[144:145], v[144:145], v[172:173]
	ds_load_b128 v[4:7], v2 offset:1440
	ds_load_b128 v[16:19], v2 offset:1456
	s_wait_loadcnt_dscnt 0x801
	v_mul_f64_e32 v[152:153], v[4:5], v[130:131]
	v_mul_f64_e32 v[130:131], v[6:7], v[130:131]
	s_wait_loadcnt_dscnt 0x700
	v_mul_f64_e32 v[124:125], v[18:19], v[134:135]
	v_add_f64_e32 v[14:15], v[22:23], v[20:21]
	v_add_f64_e32 v[20:21], v[144:145], v[168:169]
	v_mul_f64_e32 v[22:23], v[16:17], v[134:135]
	v_fmac_f64_e32 v[152:153], v[6:7], v[128:129]
	v_fma_f64 v[126:127], v[4:5], v[128:129], -v[130:131]
	v_fma_f64 v[16:17], v[16:17], v[132:133], -v[124:125]
	v_add_f64_e32 v[128:129], v[14:15], v[12:13]
	v_add_f64_e32 v[20:21], v[20:21], v[146:147]
	ds_load_b128 v[4:7], v2 offset:1472
	ds_load_b128 v[12:15], v2 offset:1488
	v_fmac_f64_e32 v[22:23], v[18:19], v[132:133]
	s_wait_loadcnt_dscnt 0x601
	v_mul_f64_e32 v[130:131], v[4:5], v[138:139]
	v_mul_f64_e32 v[134:135], v[6:7], v[138:139]
	s_wait_loadcnt_dscnt 0x500
	v_mul_f64_e32 v[124:125], v[12:13], v[142:143]
	v_add_f64_e32 v[18:19], v[128:129], v[126:127]
	v_add_f64_e32 v[20:21], v[20:21], v[152:153]
	v_mul_f64_e32 v[126:127], v[14:15], v[142:143]
	v_fmac_f64_e32 v[130:131], v[6:7], v[136:137]
	v_fma_f64 v[128:129], v[4:5], v[136:137], -v[134:135]
	v_fmac_f64_e32 v[124:125], v[14:15], v[140:141]
	v_add_f64_e32 v[132:133], v[18:19], v[16:17]
	v_add_f64_e32 v[20:21], v[20:21], v[22:23]
	ds_load_b128 v[4:7], v2 offset:1504
	ds_load_b128 v[16:19], v2 offset:1520
	v_fma_f64 v[12:13], v[12:13], v[140:141], -v[126:127]
	s_wait_loadcnt_dscnt 0x401
	v_mul_f64_e32 v[22:23], v[4:5], v[150:151]
	v_mul_f64_e32 v[134:135], v[6:7], v[150:151]
	s_wait_loadcnt_dscnt 0x200
	v_mul_f64_e32 v[126:127], v[16:17], v[162:163]
	v_add_f64_e32 v[14:15], v[132:133], v[128:129]
	v_add_f64_e32 v[20:21], v[20:21], v[130:131]
	v_mul_f64_e32 v[128:129], v[18:19], v[162:163]
	v_fmac_f64_e32 v[22:23], v[6:7], v[148:149]
	v_fma_f64 v[130:131], v[4:5], v[148:149], -v[134:135]
	v_fmac_f64_e32 v[126:127], v[18:19], v[160:161]
	v_add_f64_e32 v[132:133], v[14:15], v[12:13]
	v_add_f64_e32 v[20:21], v[20:21], v[124:125]
	ds_load_b128 v[4:7], v2 offset:1536
	ds_load_b128 v[12:15], v2 offset:1552
	v_fma_f64 v[16:17], v[16:17], v[160:161], -v[128:129]
	s_wait_loadcnt_dscnt 0x101
	v_mul_f64_e32 v[2:3], v[4:5], v[166:167]
	v_mul_f64_e32 v[124:125], v[6:7], v[166:167]
	v_add_f64_e32 v[18:19], v[132:133], v[130:131]
	v_add_f64_e32 v[20:21], v[20:21], v[22:23]
	s_wait_loadcnt_dscnt 0x0
	v_mul_f64_e32 v[22:23], v[12:13], v[10:11]
	v_mul_f64_e32 v[10:11], v[14:15], v[10:11]
	v_fmac_f64_e32 v[2:3], v[6:7], v[164:165]
	v_fma_f64 v[4:5], v[4:5], v[164:165], -v[124:125]
	v_add_f64_e32 v[6:7], v[18:19], v[16:17]
	v_add_f64_e32 v[16:17], v[20:21], v[126:127]
	v_fmac_f64_e32 v[22:23], v[14:15], v[8:9]
	v_fma_f64 v[8:9], v[12:13], v[8:9], -v[10:11]
	s_delay_alu instid0(VALU_DEP_4) | instskip(NEXT) | instid1(VALU_DEP_4)
	v_add_f64_e32 v[4:5], v[6:7], v[4:5]
	v_add_f64_e32 v[2:3], v[16:17], v[2:3]
	s_delay_alu instid0(VALU_DEP_2) | instskip(NEXT) | instid1(VALU_DEP_2)
	v_add_f64_e32 v[4:5], v[4:5], v[8:9]
	v_add_f64_e32 v[6:7], v[2:3], v[22:23]
	s_delay_alu instid0(VALU_DEP_2) | instskip(NEXT) | instid1(VALU_DEP_2)
	v_add_f64_e64 v[2:3], v[156:157], -v[4:5]
	v_add_f64_e64 v[4:5], v[158:159], -v[6:7]
	scratch_store_b128 off, v[2:5], off offset:544
	s_wait_xcnt 0x0
	v_cmpx_lt_u32_e32 33, v1
	s_cbranch_execz .LBB48_241
; %bb.240:
	scratch_load_b128 v[2:5], off, s26
	v_mov_b32_e32 v6, 0
	s_delay_alu instid0(VALU_DEP_1)
	v_dual_mov_b32 v7, v6 :: v_dual_mov_b32 v8, v6
	v_mov_b32_e32 v9, v6
	scratch_store_b128 off, v[6:9], off offset:528
	s_wait_loadcnt 0x0
	ds_store_b128 v122, v[2:5]
.LBB48_241:
	s_wait_xcnt 0x0
	s_or_b32 exec_lo, exec_lo, s2
	s_wait_storecnt_dscnt 0x0
	s_barrier_signal -1
	s_barrier_wait -1
	s_clause 0x9
	scratch_load_b128 v[4:7], off, off offset:544
	scratch_load_b128 v[8:11], off, off offset:560
	;; [unrolled: 1-line block ×10, first 2 shown]
	v_mov_b32_e32 v2, 0
	s_mov_b32 s2, exec_lo
	ds_load_b128 v[144:147], v2 offset:1328
	s_clause 0x2
	scratch_load_b128 v[148:151], off, off offset:704
	scratch_load_b128 v[152:155], off, off offset:528
	;; [unrolled: 1-line block ×3, first 2 shown]
	s_wait_loadcnt_dscnt 0xc00
	v_mul_f64_e32 v[164:165], v[146:147], v[6:7]
	v_mul_f64_e32 v[168:169], v[144:145], v[6:7]
	ds_load_b128 v[156:159], v2 offset:1344
	v_fma_f64 v[172:173], v[144:145], v[4:5], -v[164:165]
	v_fmac_f64_e32 v[168:169], v[146:147], v[4:5]
	ds_load_b128 v[4:7], v2 offset:1360
	s_wait_loadcnt_dscnt 0xb01
	v_mul_f64_e32 v[170:171], v[156:157], v[10:11]
	v_mul_f64_e32 v[10:11], v[158:159], v[10:11]
	scratch_load_b128 v[144:147], off, off offset:736
	ds_load_b128 v[164:167], v2 offset:1376
	s_wait_loadcnt_dscnt 0xb01
	v_mul_f64_e32 v[174:175], v[4:5], v[14:15]
	v_mul_f64_e32 v[14:15], v[6:7], v[14:15]
	v_add_f64_e32 v[168:169], 0, v[168:169]
	v_fmac_f64_e32 v[170:171], v[158:159], v[8:9]
	v_fma_f64 v[156:157], v[156:157], v[8:9], -v[10:11]
	v_add_f64_e32 v[158:159], 0, v[172:173]
	scratch_load_b128 v[8:11], off, off offset:752
	v_fmac_f64_e32 v[174:175], v[6:7], v[12:13]
	v_fma_f64 v[176:177], v[4:5], v[12:13], -v[14:15]
	ds_load_b128 v[4:7], v2 offset:1392
	s_wait_loadcnt_dscnt 0xb01
	v_mul_f64_e32 v[172:173], v[164:165], v[18:19]
	v_mul_f64_e32 v[18:19], v[166:167], v[18:19]
	scratch_load_b128 v[12:15], off, off offset:768
	v_add_f64_e32 v[168:169], v[168:169], v[170:171]
	v_add_f64_e32 v[178:179], v[158:159], v[156:157]
	ds_load_b128 v[156:159], v2 offset:1408
	s_wait_loadcnt_dscnt 0xb01
	v_mul_f64_e32 v[170:171], v[4:5], v[22:23]
	v_mul_f64_e32 v[22:23], v[6:7], v[22:23]
	v_fmac_f64_e32 v[172:173], v[166:167], v[16:17]
	v_fma_f64 v[16:17], v[164:165], v[16:17], -v[18:19]
	s_wait_loadcnt_dscnt 0xa00
	v_mul_f64_e32 v[166:167], v[156:157], v[126:127]
	v_mul_f64_e32 v[126:127], v[158:159], v[126:127]
	v_add_f64_e32 v[164:165], v[168:169], v[174:175]
	v_add_f64_e32 v[18:19], v[178:179], v[176:177]
	v_fmac_f64_e32 v[170:171], v[6:7], v[20:21]
	v_fma_f64 v[20:21], v[4:5], v[20:21], -v[22:23]
	v_fmac_f64_e32 v[166:167], v[158:159], v[124:125]
	v_fma_f64 v[124:125], v[156:157], v[124:125], -v[126:127]
	v_add_f64_e32 v[164:165], v[164:165], v[172:173]
	v_add_f64_e32 v[22:23], v[18:19], v[16:17]
	ds_load_b128 v[4:7], v2 offset:1424
	ds_load_b128 v[16:19], v2 offset:1440
	s_wait_loadcnt_dscnt 0x901
	v_mul_f64_e32 v[168:169], v[4:5], v[130:131]
	v_mul_f64_e32 v[130:131], v[6:7], v[130:131]
	s_wait_loadcnt_dscnt 0x800
	v_mul_f64_e32 v[126:127], v[16:17], v[134:135]
	v_mul_f64_e32 v[134:135], v[18:19], v[134:135]
	v_add_f64_e32 v[20:21], v[22:23], v[20:21]
	v_add_f64_e32 v[22:23], v[164:165], v[170:171]
	v_fmac_f64_e32 v[168:169], v[6:7], v[128:129]
	v_fma_f64 v[128:129], v[4:5], v[128:129], -v[130:131]
	v_fmac_f64_e32 v[126:127], v[18:19], v[132:133]
	v_fma_f64 v[16:17], v[16:17], v[132:133], -v[134:135]
	v_add_f64_e32 v[124:125], v[20:21], v[124:125]
	v_add_f64_e32 v[130:131], v[22:23], v[166:167]
	ds_load_b128 v[4:7], v2 offset:1456
	ds_load_b128 v[20:23], v2 offset:1472
	s_wait_loadcnt_dscnt 0x701
	v_mul_f64_e32 v[156:157], v[4:5], v[138:139]
	v_mul_f64_e32 v[138:139], v[6:7], v[138:139]
	v_add_f64_e32 v[18:19], v[124:125], v[128:129]
	v_add_f64_e32 v[124:125], v[130:131], v[168:169]
	s_wait_loadcnt_dscnt 0x600
	v_mul_f64_e32 v[128:129], v[20:21], v[142:143]
	v_mul_f64_e32 v[130:131], v[22:23], v[142:143]
	v_fmac_f64_e32 v[156:157], v[6:7], v[136:137]
	v_fma_f64 v[132:133], v[4:5], v[136:137], -v[138:139]
	v_add_f64_e32 v[134:135], v[18:19], v[16:17]
	v_add_f64_e32 v[124:125], v[124:125], v[126:127]
	ds_load_b128 v[4:7], v2 offset:1488
	ds_load_b128 v[16:19], v2 offset:1504
	v_fmac_f64_e32 v[128:129], v[22:23], v[140:141]
	v_fma_f64 v[20:21], v[20:21], v[140:141], -v[130:131]
	s_wait_loadcnt_dscnt 0x501
	v_mul_f64_e32 v[126:127], v[4:5], v[150:151]
	v_mul_f64_e32 v[136:137], v[6:7], v[150:151]
	s_wait_loadcnt_dscnt 0x300
	v_mul_f64_e32 v[130:131], v[16:17], v[162:163]
	v_add_f64_e32 v[22:23], v[134:135], v[132:133]
	v_add_f64_e32 v[124:125], v[124:125], v[156:157]
	v_mul_f64_e32 v[132:133], v[18:19], v[162:163]
	v_fmac_f64_e32 v[126:127], v[6:7], v[148:149]
	v_fma_f64 v[134:135], v[4:5], v[148:149], -v[136:137]
	v_fmac_f64_e32 v[130:131], v[18:19], v[160:161]
	v_add_f64_e32 v[136:137], v[22:23], v[20:21]
	v_add_f64_e32 v[124:125], v[124:125], v[128:129]
	ds_load_b128 v[4:7], v2 offset:1520
	ds_load_b128 v[20:23], v2 offset:1536
	v_fma_f64 v[16:17], v[16:17], v[160:161], -v[132:133]
	s_wait_loadcnt_dscnt 0x201
	v_mul_f64_e32 v[128:129], v[4:5], v[146:147]
	v_mul_f64_e32 v[138:139], v[6:7], v[146:147]
	v_add_f64_e32 v[18:19], v[136:137], v[134:135]
	v_add_f64_e32 v[124:125], v[124:125], v[126:127]
	s_wait_loadcnt_dscnt 0x100
	v_mul_f64_e32 v[126:127], v[20:21], v[10:11]
	v_mul_f64_e32 v[10:11], v[22:23], v[10:11]
	v_fmac_f64_e32 v[128:129], v[6:7], v[144:145]
	v_fma_f64 v[132:133], v[4:5], v[144:145], -v[138:139]
	ds_load_b128 v[4:7], v2 offset:1552
	v_add_f64_e32 v[16:17], v[18:19], v[16:17]
	v_add_f64_e32 v[18:19], v[124:125], v[130:131]
	v_fmac_f64_e32 v[126:127], v[22:23], v[8:9]
	v_fma_f64 v[8:9], v[20:21], v[8:9], -v[10:11]
	s_wait_loadcnt_dscnt 0x0
	v_mul_f64_e32 v[124:125], v[4:5], v[14:15]
	v_mul_f64_e32 v[14:15], v[6:7], v[14:15]
	v_add_f64_e32 v[10:11], v[16:17], v[132:133]
	v_add_f64_e32 v[16:17], v[18:19], v[128:129]
	s_delay_alu instid0(VALU_DEP_4) | instskip(NEXT) | instid1(VALU_DEP_4)
	v_fmac_f64_e32 v[124:125], v[6:7], v[12:13]
	v_fma_f64 v[4:5], v[4:5], v[12:13], -v[14:15]
	s_delay_alu instid0(VALU_DEP_4) | instskip(NEXT) | instid1(VALU_DEP_4)
	v_add_f64_e32 v[6:7], v[10:11], v[8:9]
	v_add_f64_e32 v[8:9], v[16:17], v[126:127]
	s_delay_alu instid0(VALU_DEP_2) | instskip(NEXT) | instid1(VALU_DEP_2)
	v_add_f64_e32 v[4:5], v[6:7], v[4:5]
	v_add_f64_e32 v[6:7], v[8:9], v[124:125]
	s_delay_alu instid0(VALU_DEP_2) | instskip(NEXT) | instid1(VALU_DEP_2)
	v_add_f64_e64 v[4:5], v[152:153], -v[4:5]
	v_add_f64_e64 v[6:7], v[154:155], -v[6:7]
	scratch_store_b128 off, v[4:7], off offset:528
	s_wait_xcnt 0x0
	v_cmpx_lt_u32_e32 32, v1
	s_cbranch_execz .LBB48_243
; %bb.242:
	scratch_load_b128 v[6:9], off, s29
	v_dual_mov_b32 v3, v2 :: v_dual_mov_b32 v4, v2
	v_mov_b32_e32 v5, v2
	scratch_store_b128 off, v[2:5], off offset:512
	s_wait_loadcnt 0x0
	ds_store_b128 v122, v[6:9]
.LBB48_243:
	s_wait_xcnt 0x0
	s_or_b32 exec_lo, exec_lo, s2
	s_wait_storecnt_dscnt 0x0
	s_barrier_signal -1
	s_barrier_wait -1
	s_clause 0x9
	scratch_load_b128 v[4:7], off, off offset:528
	scratch_load_b128 v[8:11], off, off offset:544
	;; [unrolled: 1-line block ×10, first 2 shown]
	ds_load_b128 v[144:147], v2 offset:1312
	ds_load_b128 v[152:155], v2 offset:1328
	s_clause 0x2
	scratch_load_b128 v[148:151], off, off offset:688
	scratch_load_b128 v[156:159], off, off offset:512
	;; [unrolled: 1-line block ×3, first 2 shown]
	s_mov_b32 s2, exec_lo
	s_wait_loadcnt_dscnt 0xc01
	v_mul_f64_e32 v[164:165], v[146:147], v[6:7]
	v_mul_f64_e32 v[168:169], v[144:145], v[6:7]
	s_wait_loadcnt_dscnt 0xb00
	v_mul_f64_e32 v[170:171], v[152:153], v[10:11]
	v_mul_f64_e32 v[10:11], v[154:155], v[10:11]
	s_delay_alu instid0(VALU_DEP_4) | instskip(NEXT) | instid1(VALU_DEP_4)
	v_fma_f64 v[172:173], v[144:145], v[4:5], -v[164:165]
	v_fmac_f64_e32 v[168:169], v[146:147], v[4:5]
	ds_load_b128 v[4:7], v2 offset:1344
	ds_load_b128 v[144:147], v2 offset:1360
	scratch_load_b128 v[164:167], off, off offset:720
	v_fmac_f64_e32 v[170:171], v[154:155], v[8:9]
	v_fma_f64 v[152:153], v[152:153], v[8:9], -v[10:11]
	scratch_load_b128 v[8:11], off, off offset:736
	s_wait_loadcnt_dscnt 0xc01
	v_mul_f64_e32 v[174:175], v[4:5], v[14:15]
	v_mul_f64_e32 v[14:15], v[6:7], v[14:15]
	v_add_f64_e32 v[154:155], 0, v[172:173]
	v_add_f64_e32 v[168:169], 0, v[168:169]
	s_wait_loadcnt_dscnt 0xb00
	v_mul_f64_e32 v[172:173], v[144:145], v[18:19]
	v_mul_f64_e32 v[18:19], v[146:147], v[18:19]
	v_fmac_f64_e32 v[174:175], v[6:7], v[12:13]
	v_fma_f64 v[176:177], v[4:5], v[12:13], -v[14:15]
	ds_load_b128 v[4:7], v2 offset:1376
	ds_load_b128 v[12:15], v2 offset:1392
	v_add_f64_e32 v[178:179], v[154:155], v[152:153]
	v_add_f64_e32 v[168:169], v[168:169], v[170:171]
	scratch_load_b128 v[152:155], off, off offset:752
	v_fmac_f64_e32 v[172:173], v[146:147], v[16:17]
	v_fma_f64 v[144:145], v[144:145], v[16:17], -v[18:19]
	scratch_load_b128 v[16:19], off, off offset:768
	s_wait_loadcnt_dscnt 0xc01
	v_mul_f64_e32 v[170:171], v[4:5], v[22:23]
	v_mul_f64_e32 v[22:23], v[6:7], v[22:23]
	v_add_f64_e32 v[146:147], v[178:179], v[176:177]
	v_add_f64_e32 v[168:169], v[168:169], v[174:175]
	s_wait_loadcnt_dscnt 0xb00
	v_mul_f64_e32 v[174:175], v[12:13], v[126:127]
	v_mul_f64_e32 v[126:127], v[14:15], v[126:127]
	v_fmac_f64_e32 v[170:171], v[6:7], v[20:21]
	v_fma_f64 v[176:177], v[4:5], v[20:21], -v[22:23]
	ds_load_b128 v[4:7], v2 offset:1408
	ds_load_b128 v[20:23], v2 offset:1424
	v_add_f64_e32 v[144:145], v[146:147], v[144:145]
	v_add_f64_e32 v[146:147], v[168:169], v[172:173]
	s_wait_loadcnt_dscnt 0xa01
	v_mul_f64_e32 v[168:169], v[4:5], v[130:131]
	v_mul_f64_e32 v[130:131], v[6:7], v[130:131]
	v_fmac_f64_e32 v[174:175], v[14:15], v[124:125]
	v_fma_f64 v[12:13], v[12:13], v[124:125], -v[126:127]
	s_wait_loadcnt_dscnt 0x900
	v_mul_f64_e32 v[126:127], v[20:21], v[134:135]
	v_mul_f64_e32 v[134:135], v[22:23], v[134:135]
	v_add_f64_e32 v[14:15], v[144:145], v[176:177]
	v_add_f64_e32 v[124:125], v[146:147], v[170:171]
	v_fmac_f64_e32 v[168:169], v[6:7], v[128:129]
	v_fma_f64 v[128:129], v[4:5], v[128:129], -v[130:131]
	v_fmac_f64_e32 v[126:127], v[22:23], v[132:133]
	v_fma_f64 v[20:21], v[20:21], v[132:133], -v[134:135]
	v_add_f64_e32 v[130:131], v[14:15], v[12:13]
	v_add_f64_e32 v[124:125], v[124:125], v[174:175]
	ds_load_b128 v[4:7], v2 offset:1440
	ds_load_b128 v[12:15], v2 offset:1456
	s_wait_loadcnt_dscnt 0x801
	v_mul_f64_e32 v[144:145], v[4:5], v[138:139]
	v_mul_f64_e32 v[138:139], v[6:7], v[138:139]
	v_add_f64_e32 v[22:23], v[130:131], v[128:129]
	v_add_f64_e32 v[124:125], v[124:125], v[168:169]
	s_wait_loadcnt_dscnt 0x700
	v_mul_f64_e32 v[128:129], v[12:13], v[142:143]
	v_mul_f64_e32 v[130:131], v[14:15], v[142:143]
	v_fmac_f64_e32 v[144:145], v[6:7], v[136:137]
	v_fma_f64 v[132:133], v[4:5], v[136:137], -v[138:139]
	v_add_f64_e32 v[134:135], v[22:23], v[20:21]
	v_add_f64_e32 v[124:125], v[124:125], v[126:127]
	ds_load_b128 v[4:7], v2 offset:1472
	ds_load_b128 v[20:23], v2 offset:1488
	v_fmac_f64_e32 v[128:129], v[14:15], v[140:141]
	v_fma_f64 v[12:13], v[12:13], v[140:141], -v[130:131]
	s_wait_loadcnt_dscnt 0x601
	v_mul_f64_e32 v[126:127], v[4:5], v[150:151]
	v_mul_f64_e32 v[136:137], v[6:7], v[150:151]
	s_wait_loadcnt_dscnt 0x400
	v_mul_f64_e32 v[130:131], v[20:21], v[162:163]
	v_add_f64_e32 v[14:15], v[134:135], v[132:133]
	v_add_f64_e32 v[124:125], v[124:125], v[144:145]
	v_mul_f64_e32 v[132:133], v[22:23], v[162:163]
	v_fmac_f64_e32 v[126:127], v[6:7], v[148:149]
	v_fma_f64 v[134:135], v[4:5], v[148:149], -v[136:137]
	v_fmac_f64_e32 v[130:131], v[22:23], v[160:161]
	v_add_f64_e32 v[136:137], v[14:15], v[12:13]
	v_add_f64_e32 v[124:125], v[124:125], v[128:129]
	ds_load_b128 v[4:7], v2 offset:1504
	ds_load_b128 v[12:15], v2 offset:1520
	v_fma_f64 v[20:21], v[20:21], v[160:161], -v[132:133]
	s_wait_loadcnt_dscnt 0x301
	v_mul_f64_e32 v[128:129], v[4:5], v[166:167]
	v_mul_f64_e32 v[138:139], v[6:7], v[166:167]
	v_add_f64_e32 v[22:23], v[136:137], v[134:135]
	v_add_f64_e32 v[124:125], v[124:125], v[126:127]
	s_wait_loadcnt_dscnt 0x200
	v_mul_f64_e32 v[126:127], v[12:13], v[10:11]
	v_mul_f64_e32 v[10:11], v[14:15], v[10:11]
	v_fmac_f64_e32 v[128:129], v[6:7], v[164:165]
	v_fma_f64 v[132:133], v[4:5], v[164:165], -v[138:139]
	v_add_f64_e32 v[134:135], v[22:23], v[20:21]
	v_add_f64_e32 v[124:125], v[124:125], v[130:131]
	ds_load_b128 v[4:7], v2 offset:1536
	ds_load_b128 v[20:23], v2 offset:1552
	v_fmac_f64_e32 v[126:127], v[14:15], v[8:9]
	v_fma_f64 v[8:9], v[12:13], v[8:9], -v[10:11]
	s_wait_loadcnt_dscnt 0x101
	v_mul_f64_e32 v[2:3], v[4:5], v[154:155]
	v_mul_f64_e32 v[130:131], v[6:7], v[154:155]
	s_wait_loadcnt_dscnt 0x0
	v_mul_f64_e32 v[14:15], v[20:21], v[18:19]
	v_mul_f64_e32 v[18:19], v[22:23], v[18:19]
	v_add_f64_e32 v[10:11], v[134:135], v[132:133]
	v_add_f64_e32 v[12:13], v[124:125], v[128:129]
	v_fmac_f64_e32 v[2:3], v[6:7], v[152:153]
	v_fma_f64 v[4:5], v[4:5], v[152:153], -v[130:131]
	v_fmac_f64_e32 v[14:15], v[22:23], v[16:17]
	v_add_f64_e32 v[6:7], v[10:11], v[8:9]
	v_add_f64_e32 v[8:9], v[12:13], v[126:127]
	v_fma_f64 v[10:11], v[20:21], v[16:17], -v[18:19]
	s_delay_alu instid0(VALU_DEP_3) | instskip(NEXT) | instid1(VALU_DEP_3)
	v_add_f64_e32 v[4:5], v[6:7], v[4:5]
	v_add_f64_e32 v[2:3], v[8:9], v[2:3]
	s_delay_alu instid0(VALU_DEP_2) | instskip(NEXT) | instid1(VALU_DEP_2)
	v_add_f64_e32 v[4:5], v[4:5], v[10:11]
	v_add_f64_e32 v[6:7], v[2:3], v[14:15]
	s_delay_alu instid0(VALU_DEP_2) | instskip(NEXT) | instid1(VALU_DEP_2)
	v_add_f64_e64 v[2:3], v[156:157], -v[4:5]
	v_add_f64_e64 v[4:5], v[158:159], -v[6:7]
	scratch_store_b128 off, v[2:5], off offset:512
	s_wait_xcnt 0x0
	v_cmpx_lt_u32_e32 31, v1
	s_cbranch_execz .LBB48_245
; %bb.244:
	scratch_load_b128 v[2:5], off, s28
	v_mov_b32_e32 v6, 0
	s_delay_alu instid0(VALU_DEP_1)
	v_dual_mov_b32 v7, v6 :: v_dual_mov_b32 v8, v6
	v_mov_b32_e32 v9, v6
	scratch_store_b128 off, v[6:9], off offset:496
	s_wait_loadcnt 0x0
	ds_store_b128 v122, v[2:5]
.LBB48_245:
	s_wait_xcnt 0x0
	s_or_b32 exec_lo, exec_lo, s2
	s_wait_storecnt_dscnt 0x0
	s_barrier_signal -1
	s_barrier_wait -1
	s_clause 0x9
	scratch_load_b128 v[4:7], off, off offset:512
	scratch_load_b128 v[8:11], off, off offset:528
	;; [unrolled: 1-line block ×10, first 2 shown]
	v_mov_b32_e32 v2, 0
	s_mov_b32 s2, exec_lo
	ds_load_b128 v[144:147], v2 offset:1296
	s_clause 0x2
	scratch_load_b128 v[148:151], off, off offset:672
	scratch_load_b128 v[152:155], off, off offset:496
	;; [unrolled: 1-line block ×3, first 2 shown]
	s_wait_loadcnt_dscnt 0xc00
	v_mul_f64_e32 v[164:165], v[146:147], v[6:7]
	v_mul_f64_e32 v[168:169], v[144:145], v[6:7]
	ds_load_b128 v[156:159], v2 offset:1312
	v_fma_f64 v[172:173], v[144:145], v[4:5], -v[164:165]
	v_fmac_f64_e32 v[168:169], v[146:147], v[4:5]
	ds_load_b128 v[4:7], v2 offset:1328
	s_wait_loadcnt_dscnt 0xb01
	v_mul_f64_e32 v[170:171], v[156:157], v[10:11]
	v_mul_f64_e32 v[10:11], v[158:159], v[10:11]
	scratch_load_b128 v[144:147], off, off offset:704
	ds_load_b128 v[164:167], v2 offset:1344
	s_wait_loadcnt_dscnt 0xb01
	v_mul_f64_e32 v[174:175], v[4:5], v[14:15]
	v_mul_f64_e32 v[14:15], v[6:7], v[14:15]
	v_add_f64_e32 v[168:169], 0, v[168:169]
	v_fmac_f64_e32 v[170:171], v[158:159], v[8:9]
	v_fma_f64 v[156:157], v[156:157], v[8:9], -v[10:11]
	v_add_f64_e32 v[158:159], 0, v[172:173]
	scratch_load_b128 v[8:11], off, off offset:720
	v_fmac_f64_e32 v[174:175], v[6:7], v[12:13]
	v_fma_f64 v[176:177], v[4:5], v[12:13], -v[14:15]
	ds_load_b128 v[4:7], v2 offset:1360
	s_wait_loadcnt_dscnt 0xb01
	v_mul_f64_e32 v[172:173], v[164:165], v[18:19]
	v_mul_f64_e32 v[18:19], v[166:167], v[18:19]
	scratch_load_b128 v[12:15], off, off offset:736
	v_add_f64_e32 v[168:169], v[168:169], v[170:171]
	v_add_f64_e32 v[178:179], v[158:159], v[156:157]
	ds_load_b128 v[156:159], v2 offset:1376
	s_wait_loadcnt_dscnt 0xb01
	v_mul_f64_e32 v[170:171], v[4:5], v[22:23]
	v_mul_f64_e32 v[22:23], v[6:7], v[22:23]
	v_fmac_f64_e32 v[172:173], v[166:167], v[16:17]
	v_fma_f64 v[164:165], v[164:165], v[16:17], -v[18:19]
	scratch_load_b128 v[16:19], off, off offset:752
	v_add_f64_e32 v[168:169], v[168:169], v[174:175]
	v_add_f64_e32 v[166:167], v[178:179], v[176:177]
	v_fmac_f64_e32 v[170:171], v[6:7], v[20:21]
	v_fma_f64 v[176:177], v[4:5], v[20:21], -v[22:23]
	ds_load_b128 v[4:7], v2 offset:1392
	s_wait_loadcnt_dscnt 0xb01
	v_mul_f64_e32 v[174:175], v[156:157], v[126:127]
	v_mul_f64_e32 v[126:127], v[158:159], v[126:127]
	scratch_load_b128 v[20:23], off, off offset:768
	v_add_f64_e32 v[168:169], v[168:169], v[172:173]
	s_wait_loadcnt_dscnt 0xb00
	v_mul_f64_e32 v[172:173], v[4:5], v[130:131]
	v_add_f64_e32 v[178:179], v[166:167], v[164:165]
	v_mul_f64_e32 v[130:131], v[6:7], v[130:131]
	ds_load_b128 v[164:167], v2 offset:1408
	v_fmac_f64_e32 v[174:175], v[158:159], v[124:125]
	v_fma_f64 v[124:125], v[156:157], v[124:125], -v[126:127]
	s_wait_loadcnt_dscnt 0xa00
	v_mul_f64_e32 v[158:159], v[164:165], v[134:135]
	v_mul_f64_e32 v[134:135], v[166:167], v[134:135]
	v_add_f64_e32 v[156:157], v[168:169], v[170:171]
	v_fmac_f64_e32 v[172:173], v[6:7], v[128:129]
	v_add_f64_e32 v[126:127], v[178:179], v[176:177]
	v_fma_f64 v[128:129], v[4:5], v[128:129], -v[130:131]
	v_fmac_f64_e32 v[158:159], v[166:167], v[132:133]
	v_fma_f64 v[132:133], v[164:165], v[132:133], -v[134:135]
	v_add_f64_e32 v[156:157], v[156:157], v[174:175]
	v_add_f64_e32 v[130:131], v[126:127], v[124:125]
	ds_load_b128 v[4:7], v2 offset:1424
	ds_load_b128 v[124:127], v2 offset:1440
	s_wait_loadcnt_dscnt 0x901
	v_mul_f64_e32 v[168:169], v[4:5], v[138:139]
	v_mul_f64_e32 v[138:139], v[6:7], v[138:139]
	s_wait_loadcnt_dscnt 0x800
	v_mul_f64_e32 v[134:135], v[124:125], v[142:143]
	v_mul_f64_e32 v[142:143], v[126:127], v[142:143]
	v_add_f64_e32 v[128:129], v[130:131], v[128:129]
	v_add_f64_e32 v[130:131], v[156:157], v[172:173]
	v_fmac_f64_e32 v[168:169], v[6:7], v[136:137]
	v_fma_f64 v[136:137], v[4:5], v[136:137], -v[138:139]
	v_fmac_f64_e32 v[134:135], v[126:127], v[140:141]
	v_fma_f64 v[124:125], v[124:125], v[140:141], -v[142:143]
	v_add_f64_e32 v[132:133], v[128:129], v[132:133]
	v_add_f64_e32 v[138:139], v[130:131], v[158:159]
	ds_load_b128 v[4:7], v2 offset:1456
	ds_load_b128 v[128:131], v2 offset:1472
	s_wait_loadcnt_dscnt 0x701
	v_mul_f64_e32 v[156:157], v[4:5], v[150:151]
	v_mul_f64_e32 v[150:151], v[6:7], v[150:151]
	v_add_f64_e32 v[126:127], v[132:133], v[136:137]
	v_add_f64_e32 v[132:133], v[138:139], v[168:169]
	s_wait_loadcnt_dscnt 0x500
	v_mul_f64_e32 v[136:137], v[128:129], v[162:163]
	v_mul_f64_e32 v[138:139], v[130:131], v[162:163]
	v_fmac_f64_e32 v[156:157], v[6:7], v[148:149]
	v_fma_f64 v[140:141], v[4:5], v[148:149], -v[150:151]
	v_add_f64_e32 v[142:143], v[126:127], v[124:125]
	v_add_f64_e32 v[132:133], v[132:133], v[134:135]
	ds_load_b128 v[4:7], v2 offset:1488
	ds_load_b128 v[124:127], v2 offset:1504
	v_fmac_f64_e32 v[136:137], v[130:131], v[160:161]
	v_fma_f64 v[128:129], v[128:129], v[160:161], -v[138:139]
	s_wait_loadcnt_dscnt 0x401
	v_mul_f64_e32 v[134:135], v[4:5], v[146:147]
	v_mul_f64_e32 v[146:147], v[6:7], v[146:147]
	v_add_f64_e32 v[130:131], v[142:143], v[140:141]
	v_add_f64_e32 v[132:133], v[132:133], v[156:157]
	s_wait_loadcnt_dscnt 0x300
	v_mul_f64_e32 v[138:139], v[124:125], v[10:11]
	v_mul_f64_e32 v[10:11], v[126:127], v[10:11]
	v_fmac_f64_e32 v[134:135], v[6:7], v[144:145]
	v_fma_f64 v[140:141], v[4:5], v[144:145], -v[146:147]
	v_add_f64_e32 v[142:143], v[130:131], v[128:129]
	v_add_f64_e32 v[132:133], v[132:133], v[136:137]
	ds_load_b128 v[4:7], v2 offset:1520
	ds_load_b128 v[128:131], v2 offset:1536
	v_fmac_f64_e32 v[138:139], v[126:127], v[8:9]
	v_fma_f64 v[8:9], v[124:125], v[8:9], -v[10:11]
	s_wait_loadcnt_dscnt 0x201
	v_mul_f64_e32 v[136:137], v[4:5], v[14:15]
	v_mul_f64_e32 v[14:15], v[6:7], v[14:15]
	s_wait_loadcnt_dscnt 0x100
	v_mul_f64_e32 v[126:127], v[128:129], v[18:19]
	v_mul_f64_e32 v[18:19], v[130:131], v[18:19]
	v_add_f64_e32 v[10:11], v[142:143], v[140:141]
	v_add_f64_e32 v[124:125], v[132:133], v[134:135]
	v_fmac_f64_e32 v[136:137], v[6:7], v[12:13]
	v_fma_f64 v[12:13], v[4:5], v[12:13], -v[14:15]
	ds_load_b128 v[4:7], v2 offset:1552
	v_fmac_f64_e32 v[126:127], v[130:131], v[16:17]
	v_fma_f64 v[16:17], v[128:129], v[16:17], -v[18:19]
	v_add_f64_e32 v[8:9], v[10:11], v[8:9]
	v_add_f64_e32 v[10:11], v[124:125], v[138:139]
	s_wait_loadcnt_dscnt 0x0
	v_mul_f64_e32 v[14:15], v[4:5], v[22:23]
	v_mul_f64_e32 v[22:23], v[6:7], v[22:23]
	s_delay_alu instid0(VALU_DEP_4) | instskip(NEXT) | instid1(VALU_DEP_4)
	v_add_f64_e32 v[8:9], v[8:9], v[12:13]
	v_add_f64_e32 v[10:11], v[10:11], v[136:137]
	s_delay_alu instid0(VALU_DEP_4) | instskip(NEXT) | instid1(VALU_DEP_4)
	v_fmac_f64_e32 v[14:15], v[6:7], v[20:21]
	v_fma_f64 v[4:5], v[4:5], v[20:21], -v[22:23]
	s_delay_alu instid0(VALU_DEP_4) | instskip(NEXT) | instid1(VALU_DEP_4)
	v_add_f64_e32 v[6:7], v[8:9], v[16:17]
	v_add_f64_e32 v[8:9], v[10:11], v[126:127]
	s_delay_alu instid0(VALU_DEP_2) | instskip(NEXT) | instid1(VALU_DEP_2)
	v_add_f64_e32 v[4:5], v[6:7], v[4:5]
	v_add_f64_e32 v[6:7], v[8:9], v[14:15]
	s_delay_alu instid0(VALU_DEP_2) | instskip(NEXT) | instid1(VALU_DEP_2)
	v_add_f64_e64 v[4:5], v[152:153], -v[4:5]
	v_add_f64_e64 v[6:7], v[154:155], -v[6:7]
	scratch_store_b128 off, v[4:7], off offset:496
	s_wait_xcnt 0x0
	v_cmpx_lt_u32_e32 30, v1
	s_cbranch_execz .LBB48_247
; %bb.246:
	scratch_load_b128 v[6:9], off, s31
	v_dual_mov_b32 v3, v2 :: v_dual_mov_b32 v4, v2
	v_mov_b32_e32 v5, v2
	scratch_store_b128 off, v[2:5], off offset:480
	s_wait_loadcnt 0x0
	ds_store_b128 v122, v[6:9]
.LBB48_247:
	s_wait_xcnt 0x0
	s_or_b32 exec_lo, exec_lo, s2
	s_wait_storecnt_dscnt 0x0
	s_barrier_signal -1
	s_barrier_wait -1
	s_clause 0x9
	scratch_load_b128 v[4:7], off, off offset:496
	scratch_load_b128 v[8:11], off, off offset:512
	;; [unrolled: 1-line block ×10, first 2 shown]
	ds_load_b128 v[144:147], v2 offset:1280
	ds_load_b128 v[152:155], v2 offset:1296
	s_clause 0x2
	scratch_load_b128 v[148:151], off, off offset:656
	scratch_load_b128 v[156:159], off, off offset:480
	;; [unrolled: 1-line block ×3, first 2 shown]
	s_mov_b32 s2, exec_lo
	s_wait_loadcnt_dscnt 0xc01
	v_mul_f64_e32 v[164:165], v[146:147], v[6:7]
	v_mul_f64_e32 v[168:169], v[144:145], v[6:7]
	s_wait_loadcnt_dscnt 0xb00
	v_mul_f64_e32 v[170:171], v[152:153], v[10:11]
	v_mul_f64_e32 v[10:11], v[154:155], v[10:11]
	s_delay_alu instid0(VALU_DEP_4) | instskip(NEXT) | instid1(VALU_DEP_4)
	v_fma_f64 v[172:173], v[144:145], v[4:5], -v[164:165]
	v_fmac_f64_e32 v[168:169], v[146:147], v[4:5]
	ds_load_b128 v[4:7], v2 offset:1312
	ds_load_b128 v[144:147], v2 offset:1328
	scratch_load_b128 v[164:167], off, off offset:688
	v_fmac_f64_e32 v[170:171], v[154:155], v[8:9]
	v_fma_f64 v[152:153], v[152:153], v[8:9], -v[10:11]
	scratch_load_b128 v[8:11], off, off offset:704
	s_wait_loadcnt_dscnt 0xc01
	v_mul_f64_e32 v[174:175], v[4:5], v[14:15]
	v_mul_f64_e32 v[14:15], v[6:7], v[14:15]
	v_add_f64_e32 v[154:155], 0, v[172:173]
	v_add_f64_e32 v[168:169], 0, v[168:169]
	s_wait_loadcnt_dscnt 0xb00
	v_mul_f64_e32 v[172:173], v[144:145], v[18:19]
	v_mul_f64_e32 v[18:19], v[146:147], v[18:19]
	v_fmac_f64_e32 v[174:175], v[6:7], v[12:13]
	v_fma_f64 v[176:177], v[4:5], v[12:13], -v[14:15]
	ds_load_b128 v[4:7], v2 offset:1344
	ds_load_b128 v[12:15], v2 offset:1360
	v_add_f64_e32 v[178:179], v[154:155], v[152:153]
	v_add_f64_e32 v[168:169], v[168:169], v[170:171]
	scratch_load_b128 v[152:155], off, off offset:720
	v_fmac_f64_e32 v[172:173], v[146:147], v[16:17]
	v_fma_f64 v[144:145], v[144:145], v[16:17], -v[18:19]
	scratch_load_b128 v[16:19], off, off offset:736
	s_wait_loadcnt_dscnt 0xc01
	v_mul_f64_e32 v[170:171], v[4:5], v[22:23]
	v_mul_f64_e32 v[22:23], v[6:7], v[22:23]
	v_add_f64_e32 v[146:147], v[178:179], v[176:177]
	v_add_f64_e32 v[168:169], v[168:169], v[174:175]
	s_wait_loadcnt_dscnt 0xb00
	v_mul_f64_e32 v[174:175], v[12:13], v[126:127]
	v_mul_f64_e32 v[126:127], v[14:15], v[126:127]
	v_fmac_f64_e32 v[170:171], v[6:7], v[20:21]
	v_fma_f64 v[176:177], v[4:5], v[20:21], -v[22:23]
	ds_load_b128 v[4:7], v2 offset:1376
	ds_load_b128 v[20:23], v2 offset:1392
	v_add_f64_e32 v[178:179], v[146:147], v[144:145]
	v_add_f64_e32 v[168:169], v[168:169], v[172:173]
	scratch_load_b128 v[144:147], off, off offset:752
	s_wait_loadcnt_dscnt 0xb01
	v_mul_f64_e32 v[172:173], v[4:5], v[130:131]
	v_mul_f64_e32 v[130:131], v[6:7], v[130:131]
	v_fmac_f64_e32 v[174:175], v[14:15], v[124:125]
	v_fma_f64 v[124:125], v[12:13], v[124:125], -v[126:127]
	scratch_load_b128 v[12:15], off, off offset:768
	v_add_f64_e32 v[126:127], v[178:179], v[176:177]
	v_add_f64_e32 v[168:169], v[168:169], v[170:171]
	s_wait_loadcnt_dscnt 0xb00
	v_mul_f64_e32 v[170:171], v[20:21], v[134:135]
	v_mul_f64_e32 v[134:135], v[22:23], v[134:135]
	v_fmac_f64_e32 v[172:173], v[6:7], v[128:129]
	v_fma_f64 v[128:129], v[4:5], v[128:129], -v[130:131]
	v_add_f64_e32 v[130:131], v[126:127], v[124:125]
	v_add_f64_e32 v[168:169], v[168:169], v[174:175]
	ds_load_b128 v[4:7], v2 offset:1408
	ds_load_b128 v[124:127], v2 offset:1424
	v_fmac_f64_e32 v[170:171], v[22:23], v[132:133]
	v_fma_f64 v[20:21], v[20:21], v[132:133], -v[134:135]
	s_wait_loadcnt_dscnt 0xa01
	v_mul_f64_e32 v[174:175], v[4:5], v[138:139]
	v_mul_f64_e32 v[138:139], v[6:7], v[138:139]
	s_wait_loadcnt_dscnt 0x900
	v_mul_f64_e32 v[132:133], v[126:127], v[142:143]
	v_add_f64_e32 v[22:23], v[130:131], v[128:129]
	v_add_f64_e32 v[128:129], v[168:169], v[172:173]
	v_mul_f64_e32 v[130:131], v[124:125], v[142:143]
	v_fmac_f64_e32 v[174:175], v[6:7], v[136:137]
	v_fma_f64 v[134:135], v[4:5], v[136:137], -v[138:139]
	v_fma_f64 v[124:125], v[124:125], v[140:141], -v[132:133]
	v_add_f64_e32 v[136:137], v[22:23], v[20:21]
	v_add_f64_e32 v[128:129], v[128:129], v[170:171]
	ds_load_b128 v[4:7], v2 offset:1440
	ds_load_b128 v[20:23], v2 offset:1456
	v_fmac_f64_e32 v[130:131], v[126:127], v[140:141]
	s_wait_loadcnt_dscnt 0x801
	v_mul_f64_e32 v[138:139], v[4:5], v[150:151]
	v_mul_f64_e32 v[142:143], v[6:7], v[150:151]
	s_wait_loadcnt_dscnt 0x600
	v_mul_f64_e32 v[132:133], v[20:21], v[162:163]
	v_add_f64_e32 v[126:127], v[136:137], v[134:135]
	v_add_f64_e32 v[128:129], v[128:129], v[174:175]
	v_mul_f64_e32 v[134:135], v[22:23], v[162:163]
	v_fmac_f64_e32 v[138:139], v[6:7], v[148:149]
	v_fma_f64 v[136:137], v[4:5], v[148:149], -v[142:143]
	v_fmac_f64_e32 v[132:133], v[22:23], v[160:161]
	v_add_f64_e32 v[140:141], v[126:127], v[124:125]
	v_add_f64_e32 v[128:129], v[128:129], v[130:131]
	ds_load_b128 v[4:7], v2 offset:1472
	ds_load_b128 v[124:127], v2 offset:1488
	v_fma_f64 v[20:21], v[20:21], v[160:161], -v[134:135]
	s_wait_loadcnt_dscnt 0x501
	v_mul_f64_e32 v[130:131], v[4:5], v[166:167]
	v_mul_f64_e32 v[142:143], v[6:7], v[166:167]
	s_wait_loadcnt_dscnt 0x400
	v_mul_f64_e32 v[134:135], v[124:125], v[10:11]
	v_mul_f64_e32 v[10:11], v[126:127], v[10:11]
	v_add_f64_e32 v[22:23], v[140:141], v[136:137]
	v_add_f64_e32 v[128:129], v[128:129], v[138:139]
	v_fmac_f64_e32 v[130:131], v[6:7], v[164:165]
	v_fma_f64 v[136:137], v[4:5], v[164:165], -v[142:143]
	v_fmac_f64_e32 v[134:135], v[126:127], v[8:9]
	v_fma_f64 v[8:9], v[124:125], v[8:9], -v[10:11]
	v_add_f64_e32 v[138:139], v[22:23], v[20:21]
	v_add_f64_e32 v[128:129], v[128:129], v[132:133]
	ds_load_b128 v[4:7], v2 offset:1504
	ds_load_b128 v[20:23], v2 offset:1520
	s_wait_loadcnt_dscnt 0x301
	v_mul_f64_e32 v[132:133], v[4:5], v[154:155]
	v_mul_f64_e32 v[140:141], v[6:7], v[154:155]
	s_wait_loadcnt_dscnt 0x200
	v_mul_f64_e32 v[126:127], v[20:21], v[18:19]
	v_mul_f64_e32 v[18:19], v[22:23], v[18:19]
	v_add_f64_e32 v[10:11], v[138:139], v[136:137]
	v_add_f64_e32 v[124:125], v[128:129], v[130:131]
	v_fmac_f64_e32 v[132:133], v[6:7], v[152:153]
	v_fma_f64 v[128:129], v[4:5], v[152:153], -v[140:141]
	v_fmac_f64_e32 v[126:127], v[22:23], v[16:17]
	v_fma_f64 v[16:17], v[20:21], v[16:17], -v[18:19]
	v_add_f64_e32 v[130:131], v[10:11], v[8:9]
	v_add_f64_e32 v[124:125], v[124:125], v[134:135]
	ds_load_b128 v[4:7], v2 offset:1536
	ds_load_b128 v[8:11], v2 offset:1552
	s_wait_loadcnt_dscnt 0x101
	v_mul_f64_e32 v[2:3], v[4:5], v[146:147]
	v_mul_f64_e32 v[134:135], v[6:7], v[146:147]
	s_wait_loadcnt_dscnt 0x0
	v_mul_f64_e32 v[22:23], v[8:9], v[14:15]
	v_mul_f64_e32 v[14:15], v[10:11], v[14:15]
	v_add_f64_e32 v[18:19], v[130:131], v[128:129]
	v_add_f64_e32 v[20:21], v[124:125], v[132:133]
	v_fmac_f64_e32 v[2:3], v[6:7], v[144:145]
	v_fma_f64 v[4:5], v[4:5], v[144:145], -v[134:135]
	v_fmac_f64_e32 v[22:23], v[10:11], v[12:13]
	v_fma_f64 v[8:9], v[8:9], v[12:13], -v[14:15]
	v_add_f64_e32 v[6:7], v[18:19], v[16:17]
	v_add_f64_e32 v[16:17], v[20:21], v[126:127]
	s_delay_alu instid0(VALU_DEP_2) | instskip(NEXT) | instid1(VALU_DEP_2)
	v_add_f64_e32 v[4:5], v[6:7], v[4:5]
	v_add_f64_e32 v[2:3], v[16:17], v[2:3]
	s_delay_alu instid0(VALU_DEP_2) | instskip(NEXT) | instid1(VALU_DEP_2)
	;; [unrolled: 3-line block ×3, first 2 shown]
	v_add_f64_e64 v[2:3], v[156:157], -v[4:5]
	v_add_f64_e64 v[4:5], v[158:159], -v[6:7]
	scratch_store_b128 off, v[2:5], off offset:480
	s_wait_xcnt 0x0
	v_cmpx_lt_u32_e32 29, v1
	s_cbranch_execz .LBB48_249
; %bb.248:
	scratch_load_b128 v[2:5], off, s30
	v_mov_b32_e32 v6, 0
	s_delay_alu instid0(VALU_DEP_1)
	v_dual_mov_b32 v7, v6 :: v_dual_mov_b32 v8, v6
	v_mov_b32_e32 v9, v6
	scratch_store_b128 off, v[6:9], off offset:464
	s_wait_loadcnt 0x0
	ds_store_b128 v122, v[2:5]
.LBB48_249:
	s_wait_xcnt 0x0
	s_or_b32 exec_lo, exec_lo, s2
	s_wait_storecnt_dscnt 0x0
	s_barrier_signal -1
	s_barrier_wait -1
	s_clause 0x9
	scratch_load_b128 v[4:7], off, off offset:480
	scratch_load_b128 v[8:11], off, off offset:496
	;; [unrolled: 1-line block ×10, first 2 shown]
	v_mov_b32_e32 v2, 0
	s_mov_b32 s2, exec_lo
	ds_load_b128 v[144:147], v2 offset:1264
	s_clause 0x2
	scratch_load_b128 v[148:151], off, off offset:640
	scratch_load_b128 v[152:155], off, off offset:464
	;; [unrolled: 1-line block ×3, first 2 shown]
	s_wait_loadcnt_dscnt 0xc00
	v_mul_f64_e32 v[164:165], v[146:147], v[6:7]
	v_mul_f64_e32 v[168:169], v[144:145], v[6:7]
	ds_load_b128 v[156:159], v2 offset:1280
	v_fma_f64 v[172:173], v[144:145], v[4:5], -v[164:165]
	v_fmac_f64_e32 v[168:169], v[146:147], v[4:5]
	ds_load_b128 v[4:7], v2 offset:1296
	s_wait_loadcnt_dscnt 0xb01
	v_mul_f64_e32 v[170:171], v[156:157], v[10:11]
	v_mul_f64_e32 v[10:11], v[158:159], v[10:11]
	scratch_load_b128 v[144:147], off, off offset:672
	ds_load_b128 v[164:167], v2 offset:1312
	s_wait_loadcnt_dscnt 0xb01
	v_mul_f64_e32 v[174:175], v[4:5], v[14:15]
	v_mul_f64_e32 v[14:15], v[6:7], v[14:15]
	v_add_f64_e32 v[168:169], 0, v[168:169]
	v_fmac_f64_e32 v[170:171], v[158:159], v[8:9]
	v_fma_f64 v[156:157], v[156:157], v[8:9], -v[10:11]
	v_add_f64_e32 v[158:159], 0, v[172:173]
	scratch_load_b128 v[8:11], off, off offset:688
	v_fmac_f64_e32 v[174:175], v[6:7], v[12:13]
	v_fma_f64 v[176:177], v[4:5], v[12:13], -v[14:15]
	ds_load_b128 v[4:7], v2 offset:1328
	s_wait_loadcnt_dscnt 0xb01
	v_mul_f64_e32 v[172:173], v[164:165], v[18:19]
	v_mul_f64_e32 v[18:19], v[166:167], v[18:19]
	scratch_load_b128 v[12:15], off, off offset:704
	v_add_f64_e32 v[168:169], v[168:169], v[170:171]
	v_add_f64_e32 v[178:179], v[158:159], v[156:157]
	ds_load_b128 v[156:159], v2 offset:1344
	s_wait_loadcnt_dscnt 0xb01
	v_mul_f64_e32 v[170:171], v[4:5], v[22:23]
	v_mul_f64_e32 v[22:23], v[6:7], v[22:23]
	v_fmac_f64_e32 v[172:173], v[166:167], v[16:17]
	v_fma_f64 v[164:165], v[164:165], v[16:17], -v[18:19]
	scratch_load_b128 v[16:19], off, off offset:720
	v_add_f64_e32 v[168:169], v[168:169], v[174:175]
	v_add_f64_e32 v[166:167], v[178:179], v[176:177]
	v_fmac_f64_e32 v[170:171], v[6:7], v[20:21]
	v_fma_f64 v[176:177], v[4:5], v[20:21], -v[22:23]
	ds_load_b128 v[4:7], v2 offset:1360
	s_wait_loadcnt_dscnt 0xb01
	v_mul_f64_e32 v[174:175], v[156:157], v[126:127]
	v_mul_f64_e32 v[126:127], v[158:159], v[126:127]
	scratch_load_b128 v[20:23], off, off offset:736
	v_add_f64_e32 v[168:169], v[168:169], v[172:173]
	s_wait_loadcnt_dscnt 0xb00
	v_mul_f64_e32 v[172:173], v[4:5], v[130:131]
	v_add_f64_e32 v[178:179], v[166:167], v[164:165]
	v_mul_f64_e32 v[130:131], v[6:7], v[130:131]
	ds_load_b128 v[164:167], v2 offset:1376
	v_fmac_f64_e32 v[174:175], v[158:159], v[124:125]
	v_fma_f64 v[156:157], v[156:157], v[124:125], -v[126:127]
	scratch_load_b128 v[124:127], off, off offset:752
	v_add_f64_e32 v[168:169], v[168:169], v[170:171]
	v_fmac_f64_e32 v[172:173], v[6:7], v[128:129]
	v_add_f64_e32 v[158:159], v[178:179], v[176:177]
	v_fma_f64 v[176:177], v[4:5], v[128:129], -v[130:131]
	ds_load_b128 v[4:7], v2 offset:1392
	s_wait_loadcnt_dscnt 0xb01
	v_mul_f64_e32 v[170:171], v[164:165], v[134:135]
	v_mul_f64_e32 v[134:135], v[166:167], v[134:135]
	scratch_load_b128 v[128:131], off, off offset:768
	v_add_f64_e32 v[168:169], v[168:169], v[174:175]
	s_wait_loadcnt_dscnt 0xb00
	v_mul_f64_e32 v[174:175], v[4:5], v[138:139]
	v_add_f64_e32 v[178:179], v[158:159], v[156:157]
	v_mul_f64_e32 v[138:139], v[6:7], v[138:139]
	ds_load_b128 v[156:159], v2 offset:1408
	v_fmac_f64_e32 v[170:171], v[166:167], v[132:133]
	v_fma_f64 v[132:133], v[164:165], v[132:133], -v[134:135]
	s_wait_loadcnt_dscnt 0xa00
	v_mul_f64_e32 v[166:167], v[156:157], v[142:143]
	v_mul_f64_e32 v[142:143], v[158:159], v[142:143]
	v_add_f64_e32 v[164:165], v[168:169], v[172:173]
	v_fmac_f64_e32 v[174:175], v[6:7], v[136:137]
	v_add_f64_e32 v[134:135], v[178:179], v[176:177]
	v_fma_f64 v[136:137], v[4:5], v[136:137], -v[138:139]
	v_fmac_f64_e32 v[166:167], v[158:159], v[140:141]
	v_fma_f64 v[140:141], v[156:157], v[140:141], -v[142:143]
	v_add_f64_e32 v[164:165], v[164:165], v[170:171]
	v_add_f64_e32 v[138:139], v[134:135], v[132:133]
	ds_load_b128 v[4:7], v2 offset:1424
	ds_load_b128 v[132:135], v2 offset:1440
	s_wait_loadcnt_dscnt 0x901
	v_mul_f64_e32 v[168:169], v[4:5], v[150:151]
	v_mul_f64_e32 v[150:151], v[6:7], v[150:151]
	s_wait_loadcnt_dscnt 0x700
	v_mul_f64_e32 v[142:143], v[132:133], v[162:163]
	v_mul_f64_e32 v[156:157], v[134:135], v[162:163]
	v_add_f64_e32 v[136:137], v[138:139], v[136:137]
	v_add_f64_e32 v[138:139], v[164:165], v[174:175]
	v_fmac_f64_e32 v[168:169], v[6:7], v[148:149]
	v_fma_f64 v[148:149], v[4:5], v[148:149], -v[150:151]
	v_fmac_f64_e32 v[142:143], v[134:135], v[160:161]
	v_fma_f64 v[132:133], v[132:133], v[160:161], -v[156:157]
	v_add_f64_e32 v[140:141], v[136:137], v[140:141]
	v_add_f64_e32 v[150:151], v[138:139], v[166:167]
	ds_load_b128 v[4:7], v2 offset:1456
	ds_load_b128 v[136:139], v2 offset:1472
	s_wait_loadcnt_dscnt 0x601
	v_mul_f64_e32 v[158:159], v[4:5], v[146:147]
	v_mul_f64_e32 v[146:147], v[6:7], v[146:147]
	v_add_f64_e32 v[134:135], v[140:141], v[148:149]
	v_add_f64_e32 v[140:141], v[150:151], v[168:169]
	s_wait_loadcnt_dscnt 0x500
	v_mul_f64_e32 v[148:149], v[136:137], v[10:11]
	v_mul_f64_e32 v[10:11], v[138:139], v[10:11]
	v_fmac_f64_e32 v[158:159], v[6:7], v[144:145]
	v_fma_f64 v[144:145], v[4:5], v[144:145], -v[146:147]
	v_add_f64_e32 v[146:147], v[134:135], v[132:133]
	v_add_f64_e32 v[140:141], v[140:141], v[142:143]
	ds_load_b128 v[4:7], v2 offset:1488
	ds_load_b128 v[132:135], v2 offset:1504
	v_fmac_f64_e32 v[148:149], v[138:139], v[8:9]
	v_fma_f64 v[8:9], v[136:137], v[8:9], -v[10:11]
	s_wait_loadcnt_dscnt 0x401
	v_mul_f64_e32 v[142:143], v[4:5], v[14:15]
	v_mul_f64_e32 v[14:15], v[6:7], v[14:15]
	s_wait_loadcnt_dscnt 0x300
	v_mul_f64_e32 v[138:139], v[132:133], v[18:19]
	v_mul_f64_e32 v[18:19], v[134:135], v[18:19]
	v_add_f64_e32 v[10:11], v[146:147], v[144:145]
	v_add_f64_e32 v[136:137], v[140:141], v[158:159]
	v_fmac_f64_e32 v[142:143], v[6:7], v[12:13]
	v_fma_f64 v[12:13], v[4:5], v[12:13], -v[14:15]
	v_fmac_f64_e32 v[138:139], v[134:135], v[16:17]
	v_fma_f64 v[16:17], v[132:133], v[16:17], -v[18:19]
	v_add_f64_e32 v[14:15], v[10:11], v[8:9]
	v_add_f64_e32 v[136:137], v[136:137], v[148:149]
	ds_load_b128 v[4:7], v2 offset:1520
	ds_load_b128 v[8:11], v2 offset:1536
	s_wait_loadcnt_dscnt 0x201
	v_mul_f64_e32 v[140:141], v[4:5], v[22:23]
	v_mul_f64_e32 v[22:23], v[6:7], v[22:23]
	s_wait_loadcnt_dscnt 0x100
	v_mul_f64_e32 v[18:19], v[8:9], v[126:127]
	v_mul_f64_e32 v[126:127], v[10:11], v[126:127]
	v_add_f64_e32 v[12:13], v[14:15], v[12:13]
	v_add_f64_e32 v[14:15], v[136:137], v[142:143]
	v_fmac_f64_e32 v[140:141], v[6:7], v[20:21]
	v_fma_f64 v[20:21], v[4:5], v[20:21], -v[22:23]
	ds_load_b128 v[4:7], v2 offset:1552
	v_fmac_f64_e32 v[18:19], v[10:11], v[124:125]
	v_fma_f64 v[8:9], v[8:9], v[124:125], -v[126:127]
	v_add_f64_e32 v[12:13], v[12:13], v[16:17]
	v_add_f64_e32 v[14:15], v[14:15], v[138:139]
	s_wait_loadcnt_dscnt 0x0
	v_mul_f64_e32 v[16:17], v[4:5], v[130:131]
	v_mul_f64_e32 v[22:23], v[6:7], v[130:131]
	s_delay_alu instid0(VALU_DEP_4) | instskip(NEXT) | instid1(VALU_DEP_4)
	v_add_f64_e32 v[10:11], v[12:13], v[20:21]
	v_add_f64_e32 v[12:13], v[14:15], v[140:141]
	s_delay_alu instid0(VALU_DEP_4) | instskip(NEXT) | instid1(VALU_DEP_4)
	v_fmac_f64_e32 v[16:17], v[6:7], v[128:129]
	v_fma_f64 v[4:5], v[4:5], v[128:129], -v[22:23]
	s_delay_alu instid0(VALU_DEP_4) | instskip(NEXT) | instid1(VALU_DEP_4)
	v_add_f64_e32 v[6:7], v[10:11], v[8:9]
	v_add_f64_e32 v[8:9], v[12:13], v[18:19]
	s_delay_alu instid0(VALU_DEP_2) | instskip(NEXT) | instid1(VALU_DEP_2)
	v_add_f64_e32 v[4:5], v[6:7], v[4:5]
	v_add_f64_e32 v[6:7], v[8:9], v[16:17]
	s_delay_alu instid0(VALU_DEP_2) | instskip(NEXT) | instid1(VALU_DEP_2)
	v_add_f64_e64 v[4:5], v[152:153], -v[4:5]
	v_add_f64_e64 v[6:7], v[154:155], -v[6:7]
	scratch_store_b128 off, v[4:7], off offset:464
	s_wait_xcnt 0x0
	v_cmpx_lt_u32_e32 28, v1
	s_cbranch_execz .LBB48_251
; %bb.250:
	scratch_load_b128 v[6:9], off, s34
	v_dual_mov_b32 v3, v2 :: v_dual_mov_b32 v4, v2
	v_mov_b32_e32 v5, v2
	scratch_store_b128 off, v[2:5], off offset:448
	s_wait_loadcnt 0x0
	ds_store_b128 v122, v[6:9]
.LBB48_251:
	s_wait_xcnt 0x0
	s_or_b32 exec_lo, exec_lo, s2
	s_wait_storecnt_dscnt 0x0
	s_barrier_signal -1
	s_barrier_wait -1
	s_clause 0x9
	scratch_load_b128 v[4:7], off, off offset:464
	scratch_load_b128 v[8:11], off, off offset:480
	;; [unrolled: 1-line block ×10, first 2 shown]
	ds_load_b128 v[144:147], v2 offset:1248
	ds_load_b128 v[152:155], v2 offset:1264
	s_clause 0x2
	scratch_load_b128 v[148:151], off, off offset:624
	scratch_load_b128 v[156:159], off, off offset:448
	;; [unrolled: 1-line block ×3, first 2 shown]
	s_mov_b32 s2, exec_lo
	s_wait_loadcnt_dscnt 0xc01
	v_mul_f64_e32 v[164:165], v[146:147], v[6:7]
	v_mul_f64_e32 v[168:169], v[144:145], v[6:7]
	s_wait_loadcnt_dscnt 0xb00
	v_mul_f64_e32 v[170:171], v[152:153], v[10:11]
	v_mul_f64_e32 v[10:11], v[154:155], v[10:11]
	s_delay_alu instid0(VALU_DEP_4) | instskip(NEXT) | instid1(VALU_DEP_4)
	v_fma_f64 v[172:173], v[144:145], v[4:5], -v[164:165]
	v_fmac_f64_e32 v[168:169], v[146:147], v[4:5]
	ds_load_b128 v[4:7], v2 offset:1280
	ds_load_b128 v[144:147], v2 offset:1296
	scratch_load_b128 v[164:167], off, off offset:656
	v_fmac_f64_e32 v[170:171], v[154:155], v[8:9]
	v_fma_f64 v[152:153], v[152:153], v[8:9], -v[10:11]
	scratch_load_b128 v[8:11], off, off offset:672
	s_wait_loadcnt_dscnt 0xc01
	v_mul_f64_e32 v[174:175], v[4:5], v[14:15]
	v_mul_f64_e32 v[14:15], v[6:7], v[14:15]
	v_add_f64_e32 v[154:155], 0, v[172:173]
	v_add_f64_e32 v[168:169], 0, v[168:169]
	s_wait_loadcnt_dscnt 0xb00
	v_mul_f64_e32 v[172:173], v[144:145], v[18:19]
	v_mul_f64_e32 v[18:19], v[146:147], v[18:19]
	v_fmac_f64_e32 v[174:175], v[6:7], v[12:13]
	v_fma_f64 v[176:177], v[4:5], v[12:13], -v[14:15]
	ds_load_b128 v[4:7], v2 offset:1312
	ds_load_b128 v[12:15], v2 offset:1328
	v_add_f64_e32 v[178:179], v[154:155], v[152:153]
	v_add_f64_e32 v[168:169], v[168:169], v[170:171]
	scratch_load_b128 v[152:155], off, off offset:688
	v_fmac_f64_e32 v[172:173], v[146:147], v[16:17]
	v_fma_f64 v[144:145], v[144:145], v[16:17], -v[18:19]
	scratch_load_b128 v[16:19], off, off offset:704
	s_wait_loadcnt_dscnt 0xc01
	v_mul_f64_e32 v[170:171], v[4:5], v[22:23]
	v_mul_f64_e32 v[22:23], v[6:7], v[22:23]
	v_add_f64_e32 v[146:147], v[178:179], v[176:177]
	v_add_f64_e32 v[168:169], v[168:169], v[174:175]
	s_wait_loadcnt_dscnt 0xb00
	v_mul_f64_e32 v[174:175], v[12:13], v[126:127]
	v_mul_f64_e32 v[126:127], v[14:15], v[126:127]
	v_fmac_f64_e32 v[170:171], v[6:7], v[20:21]
	v_fma_f64 v[176:177], v[4:5], v[20:21], -v[22:23]
	ds_load_b128 v[4:7], v2 offset:1344
	ds_load_b128 v[20:23], v2 offset:1360
	v_add_f64_e32 v[178:179], v[146:147], v[144:145]
	v_add_f64_e32 v[168:169], v[168:169], v[172:173]
	scratch_load_b128 v[144:147], off, off offset:720
	s_wait_loadcnt_dscnt 0xb01
	v_mul_f64_e32 v[172:173], v[4:5], v[130:131]
	v_mul_f64_e32 v[130:131], v[6:7], v[130:131]
	v_fmac_f64_e32 v[174:175], v[14:15], v[124:125]
	v_fma_f64 v[124:125], v[12:13], v[124:125], -v[126:127]
	scratch_load_b128 v[12:15], off, off offset:736
	v_add_f64_e32 v[126:127], v[178:179], v[176:177]
	v_add_f64_e32 v[168:169], v[168:169], v[170:171]
	s_wait_loadcnt_dscnt 0xb00
	v_mul_f64_e32 v[170:171], v[20:21], v[134:135]
	v_mul_f64_e32 v[134:135], v[22:23], v[134:135]
	v_fmac_f64_e32 v[172:173], v[6:7], v[128:129]
	v_fma_f64 v[176:177], v[4:5], v[128:129], -v[130:131]
	v_add_f64_e32 v[178:179], v[126:127], v[124:125]
	v_add_f64_e32 v[168:169], v[168:169], v[174:175]
	ds_load_b128 v[4:7], v2 offset:1376
	ds_load_b128 v[124:127], v2 offset:1392
	scratch_load_b128 v[128:131], off, off offset:752
	v_fmac_f64_e32 v[170:171], v[22:23], v[132:133]
	v_fma_f64 v[132:133], v[20:21], v[132:133], -v[134:135]
	scratch_load_b128 v[20:23], off, off offset:768
	s_wait_loadcnt_dscnt 0xc01
	v_mul_f64_e32 v[174:175], v[4:5], v[138:139]
	v_mul_f64_e32 v[138:139], v[6:7], v[138:139]
	v_add_f64_e32 v[134:135], v[178:179], v[176:177]
	v_add_f64_e32 v[168:169], v[168:169], v[172:173]
	s_wait_loadcnt_dscnt 0xb00
	v_mul_f64_e32 v[172:173], v[124:125], v[142:143]
	v_mul_f64_e32 v[142:143], v[126:127], v[142:143]
	v_fmac_f64_e32 v[174:175], v[6:7], v[136:137]
	v_fma_f64 v[136:137], v[4:5], v[136:137], -v[138:139]
	v_add_f64_e32 v[138:139], v[134:135], v[132:133]
	v_add_f64_e32 v[168:169], v[168:169], v[170:171]
	ds_load_b128 v[4:7], v2 offset:1408
	ds_load_b128 v[132:135], v2 offset:1424
	v_fmac_f64_e32 v[172:173], v[126:127], v[140:141]
	v_fma_f64 v[124:125], v[124:125], v[140:141], -v[142:143]
	s_wait_loadcnt_dscnt 0xa01
	v_mul_f64_e32 v[170:171], v[4:5], v[150:151]
	v_mul_f64_e32 v[150:151], v[6:7], v[150:151]
	s_wait_loadcnt_dscnt 0x800
	v_mul_f64_e32 v[140:141], v[134:135], v[162:163]
	v_add_f64_e32 v[126:127], v[138:139], v[136:137]
	v_add_f64_e32 v[136:137], v[168:169], v[174:175]
	v_mul_f64_e32 v[138:139], v[132:133], v[162:163]
	v_fmac_f64_e32 v[170:171], v[6:7], v[148:149]
	v_fma_f64 v[142:143], v[4:5], v[148:149], -v[150:151]
	v_fma_f64 v[132:133], v[132:133], v[160:161], -v[140:141]
	v_add_f64_e32 v[148:149], v[126:127], v[124:125]
	v_add_f64_e32 v[136:137], v[136:137], v[172:173]
	ds_load_b128 v[4:7], v2 offset:1440
	ds_load_b128 v[124:127], v2 offset:1456
	v_fmac_f64_e32 v[138:139], v[134:135], v[160:161]
	s_wait_loadcnt_dscnt 0x701
	v_mul_f64_e32 v[150:151], v[4:5], v[166:167]
	v_mul_f64_e32 v[162:163], v[6:7], v[166:167]
	s_wait_loadcnt_dscnt 0x600
	v_mul_f64_e32 v[140:141], v[124:125], v[10:11]
	v_mul_f64_e32 v[10:11], v[126:127], v[10:11]
	v_add_f64_e32 v[134:135], v[148:149], v[142:143]
	v_add_f64_e32 v[136:137], v[136:137], v[170:171]
	v_fmac_f64_e32 v[150:151], v[6:7], v[164:165]
	v_fma_f64 v[142:143], v[4:5], v[164:165], -v[162:163]
	v_fmac_f64_e32 v[140:141], v[126:127], v[8:9]
	v_fma_f64 v[8:9], v[124:125], v[8:9], -v[10:11]
	v_add_f64_e32 v[148:149], v[134:135], v[132:133]
	v_add_f64_e32 v[136:137], v[136:137], v[138:139]
	ds_load_b128 v[4:7], v2 offset:1472
	ds_load_b128 v[132:135], v2 offset:1488
	s_wait_loadcnt_dscnt 0x501
	v_mul_f64_e32 v[138:139], v[4:5], v[154:155]
	v_mul_f64_e32 v[154:155], v[6:7], v[154:155]
	s_wait_loadcnt_dscnt 0x400
	v_mul_f64_e32 v[126:127], v[132:133], v[18:19]
	v_mul_f64_e32 v[18:19], v[134:135], v[18:19]
	v_add_f64_e32 v[10:11], v[148:149], v[142:143]
	v_add_f64_e32 v[124:125], v[136:137], v[150:151]
	v_fmac_f64_e32 v[138:139], v[6:7], v[152:153]
	v_fma_f64 v[136:137], v[4:5], v[152:153], -v[154:155]
	v_fmac_f64_e32 v[126:127], v[134:135], v[16:17]
	v_fma_f64 v[16:17], v[132:133], v[16:17], -v[18:19]
	v_add_f64_e32 v[142:143], v[10:11], v[8:9]
	v_add_f64_e32 v[124:125], v[124:125], v[140:141]
	ds_load_b128 v[4:7], v2 offset:1504
	ds_load_b128 v[8:11], v2 offset:1520
	s_wait_loadcnt_dscnt 0x301
	v_mul_f64_e32 v[140:141], v[4:5], v[146:147]
	v_mul_f64_e32 v[146:147], v[6:7], v[146:147]
	s_wait_loadcnt_dscnt 0x200
	v_mul_f64_e32 v[132:133], v[8:9], v[14:15]
	v_mul_f64_e32 v[134:135], v[10:11], v[14:15]
	v_add_f64_e32 v[18:19], v[142:143], v[136:137]
	v_add_f64_e32 v[124:125], v[124:125], v[138:139]
	v_fmac_f64_e32 v[140:141], v[6:7], v[144:145]
	v_fma_f64 v[136:137], v[4:5], v[144:145], -v[146:147]
	v_fmac_f64_e32 v[132:133], v[10:11], v[12:13]
	v_fma_f64 v[8:9], v[8:9], v[12:13], -v[134:135]
	v_add_f64_e32 v[18:19], v[18:19], v[16:17]
	v_add_f64_e32 v[124:125], v[124:125], v[126:127]
	ds_load_b128 v[4:7], v2 offset:1536
	ds_load_b128 v[14:17], v2 offset:1552
	s_wait_loadcnt_dscnt 0x101
	v_mul_f64_e32 v[2:3], v[4:5], v[130:131]
	v_mul_f64_e32 v[126:127], v[6:7], v[130:131]
	v_add_f64_e32 v[10:11], v[18:19], v[136:137]
	v_add_f64_e32 v[12:13], v[124:125], v[140:141]
	s_wait_loadcnt_dscnt 0x0
	v_mul_f64_e32 v[18:19], v[14:15], v[22:23]
	v_mul_f64_e32 v[22:23], v[16:17], v[22:23]
	v_fmac_f64_e32 v[2:3], v[6:7], v[128:129]
	v_fma_f64 v[4:5], v[4:5], v[128:129], -v[126:127]
	v_add_f64_e32 v[6:7], v[10:11], v[8:9]
	v_add_f64_e32 v[8:9], v[12:13], v[132:133]
	v_fmac_f64_e32 v[18:19], v[16:17], v[20:21]
	v_fma_f64 v[10:11], v[14:15], v[20:21], -v[22:23]
	s_delay_alu instid0(VALU_DEP_4) | instskip(NEXT) | instid1(VALU_DEP_4)
	v_add_f64_e32 v[4:5], v[6:7], v[4:5]
	v_add_f64_e32 v[2:3], v[8:9], v[2:3]
	s_delay_alu instid0(VALU_DEP_2) | instskip(NEXT) | instid1(VALU_DEP_2)
	v_add_f64_e32 v[4:5], v[4:5], v[10:11]
	v_add_f64_e32 v[6:7], v[2:3], v[18:19]
	s_delay_alu instid0(VALU_DEP_2) | instskip(NEXT) | instid1(VALU_DEP_2)
	v_add_f64_e64 v[2:3], v[156:157], -v[4:5]
	v_add_f64_e64 v[4:5], v[158:159], -v[6:7]
	scratch_store_b128 off, v[2:5], off offset:448
	s_wait_xcnt 0x0
	v_cmpx_lt_u32_e32 27, v1
	s_cbranch_execz .LBB48_253
; %bb.252:
	scratch_load_b128 v[2:5], off, s33
	v_mov_b32_e32 v6, 0
	s_delay_alu instid0(VALU_DEP_1)
	v_dual_mov_b32 v7, v6 :: v_dual_mov_b32 v8, v6
	v_mov_b32_e32 v9, v6
	scratch_store_b128 off, v[6:9], off offset:432
	s_wait_loadcnt 0x0
	ds_store_b128 v122, v[2:5]
.LBB48_253:
	s_wait_xcnt 0x0
	s_or_b32 exec_lo, exec_lo, s2
	s_wait_storecnt_dscnt 0x0
	s_barrier_signal -1
	s_barrier_wait -1
	s_clause 0x9
	scratch_load_b128 v[4:7], off, off offset:448
	scratch_load_b128 v[8:11], off, off offset:464
	;; [unrolled: 1-line block ×10, first 2 shown]
	v_mov_b32_e32 v2, 0
	s_mov_b32 s2, exec_lo
	ds_load_b128 v[144:147], v2 offset:1232
	s_clause 0x2
	scratch_load_b128 v[148:151], off, off offset:608
	scratch_load_b128 v[152:155], off, off offset:432
	;; [unrolled: 1-line block ×3, first 2 shown]
	s_wait_loadcnt_dscnt 0xc00
	v_mul_f64_e32 v[164:165], v[146:147], v[6:7]
	v_mul_f64_e32 v[168:169], v[144:145], v[6:7]
	ds_load_b128 v[156:159], v2 offset:1248
	v_fma_f64 v[172:173], v[144:145], v[4:5], -v[164:165]
	v_fmac_f64_e32 v[168:169], v[146:147], v[4:5]
	ds_load_b128 v[4:7], v2 offset:1264
	s_wait_loadcnt_dscnt 0xb01
	v_mul_f64_e32 v[170:171], v[156:157], v[10:11]
	v_mul_f64_e32 v[10:11], v[158:159], v[10:11]
	scratch_load_b128 v[144:147], off, off offset:640
	ds_load_b128 v[164:167], v2 offset:1280
	s_wait_loadcnt_dscnt 0xb01
	v_mul_f64_e32 v[174:175], v[4:5], v[14:15]
	v_mul_f64_e32 v[14:15], v[6:7], v[14:15]
	v_add_f64_e32 v[168:169], 0, v[168:169]
	v_fmac_f64_e32 v[170:171], v[158:159], v[8:9]
	v_fma_f64 v[156:157], v[156:157], v[8:9], -v[10:11]
	v_add_f64_e32 v[158:159], 0, v[172:173]
	scratch_load_b128 v[8:11], off, off offset:656
	v_fmac_f64_e32 v[174:175], v[6:7], v[12:13]
	v_fma_f64 v[176:177], v[4:5], v[12:13], -v[14:15]
	ds_load_b128 v[4:7], v2 offset:1296
	s_wait_loadcnt_dscnt 0xb01
	v_mul_f64_e32 v[172:173], v[164:165], v[18:19]
	v_mul_f64_e32 v[18:19], v[166:167], v[18:19]
	scratch_load_b128 v[12:15], off, off offset:672
	v_add_f64_e32 v[168:169], v[168:169], v[170:171]
	v_add_f64_e32 v[178:179], v[158:159], v[156:157]
	ds_load_b128 v[156:159], v2 offset:1312
	s_wait_loadcnt_dscnt 0xb01
	v_mul_f64_e32 v[170:171], v[4:5], v[22:23]
	v_mul_f64_e32 v[22:23], v[6:7], v[22:23]
	v_fmac_f64_e32 v[172:173], v[166:167], v[16:17]
	v_fma_f64 v[164:165], v[164:165], v[16:17], -v[18:19]
	scratch_load_b128 v[16:19], off, off offset:688
	v_add_f64_e32 v[168:169], v[168:169], v[174:175]
	v_add_f64_e32 v[166:167], v[178:179], v[176:177]
	v_fmac_f64_e32 v[170:171], v[6:7], v[20:21]
	v_fma_f64 v[176:177], v[4:5], v[20:21], -v[22:23]
	ds_load_b128 v[4:7], v2 offset:1328
	s_wait_loadcnt_dscnt 0xb01
	v_mul_f64_e32 v[174:175], v[156:157], v[126:127]
	v_mul_f64_e32 v[126:127], v[158:159], v[126:127]
	scratch_load_b128 v[20:23], off, off offset:704
	v_add_f64_e32 v[168:169], v[168:169], v[172:173]
	s_wait_loadcnt_dscnt 0xb00
	v_mul_f64_e32 v[172:173], v[4:5], v[130:131]
	v_add_f64_e32 v[178:179], v[166:167], v[164:165]
	v_mul_f64_e32 v[130:131], v[6:7], v[130:131]
	ds_load_b128 v[164:167], v2 offset:1344
	v_fmac_f64_e32 v[174:175], v[158:159], v[124:125]
	v_fma_f64 v[156:157], v[156:157], v[124:125], -v[126:127]
	scratch_load_b128 v[124:127], off, off offset:720
	v_add_f64_e32 v[168:169], v[168:169], v[170:171]
	v_fmac_f64_e32 v[172:173], v[6:7], v[128:129]
	v_add_f64_e32 v[158:159], v[178:179], v[176:177]
	v_fma_f64 v[176:177], v[4:5], v[128:129], -v[130:131]
	ds_load_b128 v[4:7], v2 offset:1360
	s_wait_loadcnt_dscnt 0xb01
	v_mul_f64_e32 v[170:171], v[164:165], v[134:135]
	v_mul_f64_e32 v[134:135], v[166:167], v[134:135]
	scratch_load_b128 v[128:131], off, off offset:736
	v_add_f64_e32 v[168:169], v[168:169], v[174:175]
	s_wait_loadcnt_dscnt 0xb00
	v_mul_f64_e32 v[174:175], v[4:5], v[138:139]
	v_add_f64_e32 v[178:179], v[158:159], v[156:157]
	v_mul_f64_e32 v[138:139], v[6:7], v[138:139]
	ds_load_b128 v[156:159], v2 offset:1376
	v_fmac_f64_e32 v[170:171], v[166:167], v[132:133]
	v_fma_f64 v[164:165], v[164:165], v[132:133], -v[134:135]
	scratch_load_b128 v[132:135], off, off offset:752
	v_add_f64_e32 v[168:169], v[168:169], v[172:173]
	v_fmac_f64_e32 v[174:175], v[6:7], v[136:137]
	v_add_f64_e32 v[166:167], v[178:179], v[176:177]
	v_fma_f64 v[176:177], v[4:5], v[136:137], -v[138:139]
	ds_load_b128 v[4:7], v2 offset:1392
	s_wait_loadcnt_dscnt 0xb01
	v_mul_f64_e32 v[172:173], v[156:157], v[142:143]
	v_mul_f64_e32 v[142:143], v[158:159], v[142:143]
	scratch_load_b128 v[136:139], off, off offset:768
	v_add_f64_e32 v[168:169], v[168:169], v[170:171]
	s_wait_loadcnt_dscnt 0xb00
	v_mul_f64_e32 v[170:171], v[4:5], v[150:151]
	v_add_f64_e32 v[178:179], v[166:167], v[164:165]
	v_mul_f64_e32 v[150:151], v[6:7], v[150:151]
	ds_load_b128 v[164:167], v2 offset:1408
	v_fmac_f64_e32 v[172:173], v[158:159], v[140:141]
	v_fma_f64 v[140:141], v[156:157], v[140:141], -v[142:143]
	s_wait_loadcnt_dscnt 0x900
	v_mul_f64_e32 v[158:159], v[164:165], v[162:163]
	v_mul_f64_e32 v[162:163], v[166:167], v[162:163]
	v_add_f64_e32 v[156:157], v[168:169], v[174:175]
	v_fmac_f64_e32 v[170:171], v[6:7], v[148:149]
	v_add_f64_e32 v[142:143], v[178:179], v[176:177]
	v_fma_f64 v[148:149], v[4:5], v[148:149], -v[150:151]
	v_fmac_f64_e32 v[158:159], v[166:167], v[160:161]
	v_fma_f64 v[160:161], v[164:165], v[160:161], -v[162:163]
	v_add_f64_e32 v[156:157], v[156:157], v[172:173]
	v_add_f64_e32 v[150:151], v[142:143], v[140:141]
	ds_load_b128 v[4:7], v2 offset:1424
	ds_load_b128 v[140:143], v2 offset:1440
	s_wait_loadcnt_dscnt 0x801
	v_mul_f64_e32 v[168:169], v[4:5], v[146:147]
	v_mul_f64_e32 v[146:147], v[6:7], v[146:147]
	v_add_f64_e32 v[148:149], v[150:151], v[148:149]
	v_add_f64_e32 v[150:151], v[156:157], v[170:171]
	s_wait_loadcnt_dscnt 0x700
	v_mul_f64_e32 v[156:157], v[140:141], v[10:11]
	v_mul_f64_e32 v[10:11], v[142:143], v[10:11]
	v_fmac_f64_e32 v[168:169], v[6:7], v[144:145]
	v_fma_f64 v[162:163], v[4:5], v[144:145], -v[146:147]
	ds_load_b128 v[4:7], v2 offset:1456
	ds_load_b128 v[144:147], v2 offset:1472
	v_add_f64_e32 v[148:149], v[148:149], v[160:161]
	v_add_f64_e32 v[150:151], v[150:151], v[158:159]
	v_fmac_f64_e32 v[156:157], v[142:143], v[8:9]
	v_fma_f64 v[8:9], v[140:141], v[8:9], -v[10:11]
	s_wait_loadcnt_dscnt 0x601
	v_mul_f64_e32 v[158:159], v[4:5], v[14:15]
	v_mul_f64_e32 v[14:15], v[6:7], v[14:15]
	s_wait_loadcnt_dscnt 0x500
	v_mul_f64_e32 v[142:143], v[144:145], v[18:19]
	v_mul_f64_e32 v[18:19], v[146:147], v[18:19]
	v_add_f64_e32 v[10:11], v[148:149], v[162:163]
	v_add_f64_e32 v[140:141], v[150:151], v[168:169]
	v_fmac_f64_e32 v[158:159], v[6:7], v[12:13]
	v_fma_f64 v[12:13], v[4:5], v[12:13], -v[14:15]
	v_fmac_f64_e32 v[142:143], v[146:147], v[16:17]
	v_fma_f64 v[16:17], v[144:145], v[16:17], -v[18:19]
	v_add_f64_e32 v[14:15], v[10:11], v[8:9]
	v_add_f64_e32 v[140:141], v[140:141], v[156:157]
	ds_load_b128 v[4:7], v2 offset:1488
	ds_load_b128 v[8:11], v2 offset:1504
	s_wait_loadcnt_dscnt 0x401
	v_mul_f64_e32 v[148:149], v[4:5], v[22:23]
	v_mul_f64_e32 v[22:23], v[6:7], v[22:23]
	s_wait_loadcnt_dscnt 0x300
	v_mul_f64_e32 v[18:19], v[8:9], v[126:127]
	v_mul_f64_e32 v[126:127], v[10:11], v[126:127]
	v_add_f64_e32 v[12:13], v[14:15], v[12:13]
	v_add_f64_e32 v[14:15], v[140:141], v[158:159]
	v_fmac_f64_e32 v[148:149], v[6:7], v[20:21]
	v_fma_f64 v[20:21], v[4:5], v[20:21], -v[22:23]
	v_fmac_f64_e32 v[18:19], v[10:11], v[124:125]
	v_fma_f64 v[8:9], v[8:9], v[124:125], -v[126:127]
	v_add_f64_e32 v[16:17], v[12:13], v[16:17]
	v_add_f64_e32 v[22:23], v[14:15], v[142:143]
	ds_load_b128 v[4:7], v2 offset:1520
	ds_load_b128 v[12:15], v2 offset:1536
	s_wait_loadcnt_dscnt 0x201
	v_mul_f64_e32 v[140:141], v[4:5], v[130:131]
	v_mul_f64_e32 v[130:131], v[6:7], v[130:131]
	v_add_f64_e32 v[10:11], v[16:17], v[20:21]
	v_add_f64_e32 v[16:17], v[22:23], v[148:149]
	s_wait_loadcnt_dscnt 0x100
	v_mul_f64_e32 v[20:21], v[12:13], v[134:135]
	v_mul_f64_e32 v[22:23], v[14:15], v[134:135]
	v_fmac_f64_e32 v[140:141], v[6:7], v[128:129]
	v_fma_f64 v[124:125], v[4:5], v[128:129], -v[130:131]
	ds_load_b128 v[4:7], v2 offset:1552
	v_add_f64_e32 v[8:9], v[10:11], v[8:9]
	v_add_f64_e32 v[10:11], v[16:17], v[18:19]
	v_fmac_f64_e32 v[20:21], v[14:15], v[132:133]
	v_fma_f64 v[12:13], v[12:13], v[132:133], -v[22:23]
	s_wait_loadcnt_dscnt 0x0
	v_mul_f64_e32 v[16:17], v[4:5], v[138:139]
	v_mul_f64_e32 v[18:19], v[6:7], v[138:139]
	v_add_f64_e32 v[8:9], v[8:9], v[124:125]
	v_add_f64_e32 v[10:11], v[10:11], v[140:141]
	s_delay_alu instid0(VALU_DEP_4) | instskip(NEXT) | instid1(VALU_DEP_4)
	v_fmac_f64_e32 v[16:17], v[6:7], v[136:137]
	v_fma_f64 v[4:5], v[4:5], v[136:137], -v[18:19]
	s_delay_alu instid0(VALU_DEP_4) | instskip(NEXT) | instid1(VALU_DEP_4)
	v_add_f64_e32 v[6:7], v[8:9], v[12:13]
	v_add_f64_e32 v[8:9], v[10:11], v[20:21]
	s_delay_alu instid0(VALU_DEP_2) | instskip(NEXT) | instid1(VALU_DEP_2)
	v_add_f64_e32 v[4:5], v[6:7], v[4:5]
	v_add_f64_e32 v[6:7], v[8:9], v[16:17]
	s_delay_alu instid0(VALU_DEP_2) | instskip(NEXT) | instid1(VALU_DEP_2)
	v_add_f64_e64 v[4:5], v[152:153], -v[4:5]
	v_add_f64_e64 v[6:7], v[154:155], -v[6:7]
	scratch_store_b128 off, v[4:7], off offset:432
	s_wait_xcnt 0x0
	v_cmpx_lt_u32_e32 26, v1
	s_cbranch_execz .LBB48_255
; %bb.254:
	scratch_load_b128 v[6:9], off, s36
	v_dual_mov_b32 v3, v2 :: v_dual_mov_b32 v4, v2
	v_mov_b32_e32 v5, v2
	scratch_store_b128 off, v[2:5], off offset:416
	s_wait_loadcnt 0x0
	ds_store_b128 v122, v[6:9]
.LBB48_255:
	s_wait_xcnt 0x0
	s_or_b32 exec_lo, exec_lo, s2
	s_wait_storecnt_dscnt 0x0
	s_barrier_signal -1
	s_barrier_wait -1
	s_clause 0x9
	scratch_load_b128 v[4:7], off, off offset:432
	scratch_load_b128 v[8:11], off, off offset:448
	;; [unrolled: 1-line block ×10, first 2 shown]
	ds_load_b128 v[144:147], v2 offset:1216
	ds_load_b128 v[152:155], v2 offset:1232
	s_clause 0x2
	scratch_load_b128 v[148:151], off, off offset:592
	scratch_load_b128 v[156:159], off, off offset:416
	;; [unrolled: 1-line block ×3, first 2 shown]
	s_mov_b32 s2, exec_lo
	s_wait_loadcnt_dscnt 0xc01
	v_mul_f64_e32 v[164:165], v[146:147], v[6:7]
	v_mul_f64_e32 v[168:169], v[144:145], v[6:7]
	s_wait_loadcnt_dscnt 0xb00
	v_mul_f64_e32 v[170:171], v[152:153], v[10:11]
	v_mul_f64_e32 v[10:11], v[154:155], v[10:11]
	s_delay_alu instid0(VALU_DEP_4) | instskip(NEXT) | instid1(VALU_DEP_4)
	v_fma_f64 v[172:173], v[144:145], v[4:5], -v[164:165]
	v_fmac_f64_e32 v[168:169], v[146:147], v[4:5]
	ds_load_b128 v[4:7], v2 offset:1248
	ds_load_b128 v[144:147], v2 offset:1264
	scratch_load_b128 v[164:167], off, off offset:624
	v_fmac_f64_e32 v[170:171], v[154:155], v[8:9]
	v_fma_f64 v[152:153], v[152:153], v[8:9], -v[10:11]
	scratch_load_b128 v[8:11], off, off offset:640
	s_wait_loadcnt_dscnt 0xc01
	v_mul_f64_e32 v[174:175], v[4:5], v[14:15]
	v_mul_f64_e32 v[14:15], v[6:7], v[14:15]
	v_add_f64_e32 v[154:155], 0, v[172:173]
	v_add_f64_e32 v[168:169], 0, v[168:169]
	s_wait_loadcnt_dscnt 0xb00
	v_mul_f64_e32 v[172:173], v[144:145], v[18:19]
	v_mul_f64_e32 v[18:19], v[146:147], v[18:19]
	v_fmac_f64_e32 v[174:175], v[6:7], v[12:13]
	v_fma_f64 v[176:177], v[4:5], v[12:13], -v[14:15]
	ds_load_b128 v[4:7], v2 offset:1280
	ds_load_b128 v[12:15], v2 offset:1296
	v_add_f64_e32 v[178:179], v[154:155], v[152:153]
	v_add_f64_e32 v[168:169], v[168:169], v[170:171]
	scratch_load_b128 v[152:155], off, off offset:656
	v_fmac_f64_e32 v[172:173], v[146:147], v[16:17]
	v_fma_f64 v[144:145], v[144:145], v[16:17], -v[18:19]
	scratch_load_b128 v[16:19], off, off offset:672
	s_wait_loadcnt_dscnt 0xc01
	v_mul_f64_e32 v[170:171], v[4:5], v[22:23]
	v_mul_f64_e32 v[22:23], v[6:7], v[22:23]
	v_add_f64_e32 v[146:147], v[178:179], v[176:177]
	v_add_f64_e32 v[168:169], v[168:169], v[174:175]
	s_wait_loadcnt_dscnt 0xb00
	v_mul_f64_e32 v[174:175], v[12:13], v[126:127]
	v_mul_f64_e32 v[126:127], v[14:15], v[126:127]
	v_fmac_f64_e32 v[170:171], v[6:7], v[20:21]
	v_fma_f64 v[176:177], v[4:5], v[20:21], -v[22:23]
	ds_load_b128 v[4:7], v2 offset:1312
	ds_load_b128 v[20:23], v2 offset:1328
	v_add_f64_e32 v[178:179], v[146:147], v[144:145]
	v_add_f64_e32 v[168:169], v[168:169], v[172:173]
	scratch_load_b128 v[144:147], off, off offset:688
	s_wait_loadcnt_dscnt 0xb01
	v_mul_f64_e32 v[172:173], v[4:5], v[130:131]
	v_mul_f64_e32 v[130:131], v[6:7], v[130:131]
	v_fmac_f64_e32 v[174:175], v[14:15], v[124:125]
	v_fma_f64 v[124:125], v[12:13], v[124:125], -v[126:127]
	scratch_load_b128 v[12:15], off, off offset:704
	v_add_f64_e32 v[126:127], v[178:179], v[176:177]
	v_add_f64_e32 v[168:169], v[168:169], v[170:171]
	s_wait_loadcnt_dscnt 0xb00
	v_mul_f64_e32 v[170:171], v[20:21], v[134:135]
	v_mul_f64_e32 v[134:135], v[22:23], v[134:135]
	v_fmac_f64_e32 v[172:173], v[6:7], v[128:129]
	v_fma_f64 v[176:177], v[4:5], v[128:129], -v[130:131]
	v_add_f64_e32 v[178:179], v[126:127], v[124:125]
	v_add_f64_e32 v[168:169], v[168:169], v[174:175]
	ds_load_b128 v[4:7], v2 offset:1344
	ds_load_b128 v[124:127], v2 offset:1360
	scratch_load_b128 v[128:131], off, off offset:720
	v_fmac_f64_e32 v[170:171], v[22:23], v[132:133]
	v_fma_f64 v[132:133], v[20:21], v[132:133], -v[134:135]
	scratch_load_b128 v[20:23], off, off offset:736
	s_wait_loadcnt_dscnt 0xc01
	v_mul_f64_e32 v[174:175], v[4:5], v[138:139]
	v_mul_f64_e32 v[138:139], v[6:7], v[138:139]
	v_add_f64_e32 v[134:135], v[178:179], v[176:177]
	v_add_f64_e32 v[168:169], v[168:169], v[172:173]
	s_wait_loadcnt_dscnt 0xb00
	v_mul_f64_e32 v[172:173], v[124:125], v[142:143]
	v_mul_f64_e32 v[142:143], v[126:127], v[142:143]
	v_fmac_f64_e32 v[174:175], v[6:7], v[136:137]
	v_fma_f64 v[176:177], v[4:5], v[136:137], -v[138:139]
	v_add_f64_e32 v[178:179], v[134:135], v[132:133]
	v_add_f64_e32 v[168:169], v[168:169], v[170:171]
	ds_load_b128 v[4:7], v2 offset:1376
	ds_load_b128 v[132:135], v2 offset:1392
	scratch_load_b128 v[136:139], off, off offset:752
	v_fmac_f64_e32 v[172:173], v[126:127], v[140:141]
	v_fma_f64 v[140:141], v[124:125], v[140:141], -v[142:143]
	scratch_load_b128 v[124:127], off, off offset:768
	s_wait_loadcnt_dscnt 0xc01
	v_mul_f64_e32 v[170:171], v[4:5], v[150:151]
	v_mul_f64_e32 v[150:151], v[6:7], v[150:151]
	v_add_f64_e32 v[142:143], v[178:179], v[176:177]
	v_add_f64_e32 v[168:169], v[168:169], v[174:175]
	s_wait_loadcnt_dscnt 0xa00
	v_mul_f64_e32 v[174:175], v[132:133], v[162:163]
	v_mul_f64_e32 v[162:163], v[134:135], v[162:163]
	v_fmac_f64_e32 v[170:171], v[6:7], v[148:149]
	v_fma_f64 v[148:149], v[4:5], v[148:149], -v[150:151]
	v_add_f64_e32 v[150:151], v[142:143], v[140:141]
	v_add_f64_e32 v[168:169], v[168:169], v[172:173]
	ds_load_b128 v[4:7], v2 offset:1408
	ds_load_b128 v[140:143], v2 offset:1424
	v_fmac_f64_e32 v[174:175], v[134:135], v[160:161]
	v_fma_f64 v[132:133], v[132:133], v[160:161], -v[162:163]
	s_wait_loadcnt_dscnt 0x901
	v_mul_f64_e32 v[172:173], v[4:5], v[166:167]
	v_mul_f64_e32 v[166:167], v[6:7], v[166:167]
	v_add_f64_e32 v[134:135], v[150:151], v[148:149]
	v_add_f64_e32 v[148:149], v[168:169], v[170:171]
	s_wait_loadcnt_dscnt 0x800
	v_mul_f64_e32 v[150:151], v[140:141], v[10:11]
	v_mul_f64_e32 v[10:11], v[142:143], v[10:11]
	v_fmac_f64_e32 v[172:173], v[6:7], v[164:165]
	v_fma_f64 v[160:161], v[4:5], v[164:165], -v[166:167]
	v_add_f64_e32 v[162:163], v[134:135], v[132:133]
	v_add_f64_e32 v[148:149], v[148:149], v[174:175]
	ds_load_b128 v[4:7], v2 offset:1440
	ds_load_b128 v[132:135], v2 offset:1456
	v_fmac_f64_e32 v[150:151], v[142:143], v[8:9]
	v_fma_f64 v[8:9], v[140:141], v[8:9], -v[10:11]
	s_wait_loadcnt_dscnt 0x701
	v_mul_f64_e32 v[164:165], v[4:5], v[154:155]
	v_mul_f64_e32 v[154:155], v[6:7], v[154:155]
	s_wait_loadcnt_dscnt 0x600
	v_mul_f64_e32 v[142:143], v[132:133], v[18:19]
	v_mul_f64_e32 v[18:19], v[134:135], v[18:19]
	v_add_f64_e32 v[10:11], v[162:163], v[160:161]
	v_add_f64_e32 v[140:141], v[148:149], v[172:173]
	v_fmac_f64_e32 v[164:165], v[6:7], v[152:153]
	v_fma_f64 v[148:149], v[4:5], v[152:153], -v[154:155]
	v_fmac_f64_e32 v[142:143], v[134:135], v[16:17]
	v_fma_f64 v[16:17], v[132:133], v[16:17], -v[18:19]
	v_add_f64_e32 v[152:153], v[10:11], v[8:9]
	v_add_f64_e32 v[140:141], v[140:141], v[150:151]
	ds_load_b128 v[4:7], v2 offset:1472
	ds_load_b128 v[8:11], v2 offset:1488
	s_wait_loadcnt_dscnt 0x501
	v_mul_f64_e32 v[150:151], v[4:5], v[146:147]
	v_mul_f64_e32 v[146:147], v[6:7], v[146:147]
	s_wait_loadcnt_dscnt 0x400
	v_mul_f64_e32 v[134:135], v[8:9], v[14:15]
	v_add_f64_e32 v[18:19], v[152:153], v[148:149]
	v_add_f64_e32 v[132:133], v[140:141], v[164:165]
	v_mul_f64_e32 v[140:141], v[10:11], v[14:15]
	v_fmac_f64_e32 v[150:151], v[6:7], v[144:145]
	v_fma_f64 v[144:145], v[4:5], v[144:145], -v[146:147]
	v_fmac_f64_e32 v[134:135], v[10:11], v[12:13]
	v_add_f64_e32 v[18:19], v[18:19], v[16:17]
	v_add_f64_e32 v[132:133], v[132:133], v[142:143]
	ds_load_b128 v[4:7], v2 offset:1504
	ds_load_b128 v[14:17], v2 offset:1520
	v_fma_f64 v[8:9], v[8:9], v[12:13], -v[140:141]
	s_wait_loadcnt_dscnt 0x301
	v_mul_f64_e32 v[142:143], v[4:5], v[130:131]
	v_mul_f64_e32 v[130:131], v[6:7], v[130:131]
	v_add_f64_e32 v[10:11], v[18:19], v[144:145]
	v_add_f64_e32 v[12:13], v[132:133], v[150:151]
	s_wait_loadcnt_dscnt 0x200
	v_mul_f64_e32 v[18:19], v[14:15], v[22:23]
	v_mul_f64_e32 v[22:23], v[16:17], v[22:23]
	v_fmac_f64_e32 v[142:143], v[6:7], v[128:129]
	v_fma_f64 v[128:129], v[4:5], v[128:129], -v[130:131]
	v_add_f64_e32 v[130:131], v[10:11], v[8:9]
	v_add_f64_e32 v[12:13], v[12:13], v[134:135]
	ds_load_b128 v[4:7], v2 offset:1536
	ds_load_b128 v[8:11], v2 offset:1552
	v_fmac_f64_e32 v[18:19], v[16:17], v[20:21]
	v_fma_f64 v[14:15], v[14:15], v[20:21], -v[22:23]
	s_wait_loadcnt_dscnt 0x101
	v_mul_f64_e32 v[2:3], v[4:5], v[138:139]
	v_mul_f64_e32 v[132:133], v[6:7], v[138:139]
	s_wait_loadcnt_dscnt 0x0
	v_mul_f64_e32 v[20:21], v[8:9], v[126:127]
	v_mul_f64_e32 v[22:23], v[10:11], v[126:127]
	v_add_f64_e32 v[16:17], v[130:131], v[128:129]
	v_add_f64_e32 v[12:13], v[12:13], v[142:143]
	v_fmac_f64_e32 v[2:3], v[6:7], v[136:137]
	v_fma_f64 v[4:5], v[4:5], v[136:137], -v[132:133]
	v_fmac_f64_e32 v[20:21], v[10:11], v[124:125]
	v_fma_f64 v[8:9], v[8:9], v[124:125], -v[22:23]
	v_add_f64_e32 v[6:7], v[16:17], v[14:15]
	v_add_f64_e32 v[12:13], v[12:13], v[18:19]
	s_delay_alu instid0(VALU_DEP_2) | instskip(NEXT) | instid1(VALU_DEP_2)
	v_add_f64_e32 v[4:5], v[6:7], v[4:5]
	v_add_f64_e32 v[2:3], v[12:13], v[2:3]
	s_delay_alu instid0(VALU_DEP_2) | instskip(NEXT) | instid1(VALU_DEP_2)
	v_add_f64_e32 v[4:5], v[4:5], v[8:9]
	v_add_f64_e32 v[6:7], v[2:3], v[20:21]
	s_delay_alu instid0(VALU_DEP_2) | instskip(NEXT) | instid1(VALU_DEP_2)
	v_add_f64_e64 v[2:3], v[156:157], -v[4:5]
	v_add_f64_e64 v[4:5], v[158:159], -v[6:7]
	scratch_store_b128 off, v[2:5], off offset:416
	s_wait_xcnt 0x0
	v_cmpx_lt_u32_e32 25, v1
	s_cbranch_execz .LBB48_257
; %bb.256:
	scratch_load_b128 v[2:5], off, s35
	v_mov_b32_e32 v6, 0
	s_delay_alu instid0(VALU_DEP_1)
	v_dual_mov_b32 v7, v6 :: v_dual_mov_b32 v8, v6
	v_mov_b32_e32 v9, v6
	scratch_store_b128 off, v[6:9], off offset:400
	s_wait_loadcnt 0x0
	ds_store_b128 v122, v[2:5]
.LBB48_257:
	s_wait_xcnt 0x0
	s_or_b32 exec_lo, exec_lo, s2
	s_wait_storecnt_dscnt 0x0
	s_barrier_signal -1
	s_barrier_wait -1
	s_clause 0x9
	scratch_load_b128 v[4:7], off, off offset:416
	scratch_load_b128 v[8:11], off, off offset:432
	;; [unrolled: 1-line block ×10, first 2 shown]
	v_mov_b32_e32 v2, 0
	s_mov_b32 s2, exec_lo
	ds_load_b128 v[144:147], v2 offset:1200
	s_clause 0x2
	scratch_load_b128 v[148:151], off, off offset:576
	scratch_load_b128 v[152:155], off, off offset:400
	;; [unrolled: 1-line block ×3, first 2 shown]
	s_wait_loadcnt_dscnt 0xc00
	v_mul_f64_e32 v[164:165], v[146:147], v[6:7]
	v_mul_f64_e32 v[168:169], v[144:145], v[6:7]
	ds_load_b128 v[156:159], v2 offset:1216
	v_fma_f64 v[172:173], v[144:145], v[4:5], -v[164:165]
	v_fmac_f64_e32 v[168:169], v[146:147], v[4:5]
	ds_load_b128 v[4:7], v2 offset:1232
	s_wait_loadcnt_dscnt 0xb01
	v_mul_f64_e32 v[170:171], v[156:157], v[10:11]
	v_mul_f64_e32 v[10:11], v[158:159], v[10:11]
	scratch_load_b128 v[144:147], off, off offset:608
	ds_load_b128 v[164:167], v2 offset:1248
	s_wait_loadcnt_dscnt 0xb01
	v_mul_f64_e32 v[174:175], v[4:5], v[14:15]
	v_mul_f64_e32 v[14:15], v[6:7], v[14:15]
	v_add_f64_e32 v[168:169], 0, v[168:169]
	v_fmac_f64_e32 v[170:171], v[158:159], v[8:9]
	v_fma_f64 v[156:157], v[156:157], v[8:9], -v[10:11]
	v_add_f64_e32 v[158:159], 0, v[172:173]
	scratch_load_b128 v[8:11], off, off offset:624
	v_fmac_f64_e32 v[174:175], v[6:7], v[12:13]
	v_fma_f64 v[176:177], v[4:5], v[12:13], -v[14:15]
	ds_load_b128 v[4:7], v2 offset:1264
	s_wait_loadcnt_dscnt 0xb01
	v_mul_f64_e32 v[172:173], v[164:165], v[18:19]
	v_mul_f64_e32 v[18:19], v[166:167], v[18:19]
	scratch_load_b128 v[12:15], off, off offset:640
	v_add_f64_e32 v[168:169], v[168:169], v[170:171]
	v_add_f64_e32 v[178:179], v[158:159], v[156:157]
	ds_load_b128 v[156:159], v2 offset:1280
	s_wait_loadcnt_dscnt 0xb01
	v_mul_f64_e32 v[170:171], v[4:5], v[22:23]
	v_mul_f64_e32 v[22:23], v[6:7], v[22:23]
	v_fmac_f64_e32 v[172:173], v[166:167], v[16:17]
	v_fma_f64 v[164:165], v[164:165], v[16:17], -v[18:19]
	scratch_load_b128 v[16:19], off, off offset:656
	v_add_f64_e32 v[168:169], v[168:169], v[174:175]
	v_add_f64_e32 v[166:167], v[178:179], v[176:177]
	v_fmac_f64_e32 v[170:171], v[6:7], v[20:21]
	v_fma_f64 v[176:177], v[4:5], v[20:21], -v[22:23]
	ds_load_b128 v[4:7], v2 offset:1296
	s_wait_loadcnt_dscnt 0xb01
	v_mul_f64_e32 v[174:175], v[156:157], v[126:127]
	v_mul_f64_e32 v[126:127], v[158:159], v[126:127]
	scratch_load_b128 v[20:23], off, off offset:672
	v_add_f64_e32 v[168:169], v[168:169], v[172:173]
	s_wait_loadcnt_dscnt 0xb00
	v_mul_f64_e32 v[172:173], v[4:5], v[130:131]
	v_add_f64_e32 v[178:179], v[166:167], v[164:165]
	v_mul_f64_e32 v[130:131], v[6:7], v[130:131]
	ds_load_b128 v[164:167], v2 offset:1312
	v_fmac_f64_e32 v[174:175], v[158:159], v[124:125]
	v_fma_f64 v[156:157], v[156:157], v[124:125], -v[126:127]
	scratch_load_b128 v[124:127], off, off offset:688
	v_add_f64_e32 v[168:169], v[168:169], v[170:171]
	v_fmac_f64_e32 v[172:173], v[6:7], v[128:129]
	v_add_f64_e32 v[158:159], v[178:179], v[176:177]
	v_fma_f64 v[176:177], v[4:5], v[128:129], -v[130:131]
	ds_load_b128 v[4:7], v2 offset:1328
	s_wait_loadcnt_dscnt 0xb01
	v_mul_f64_e32 v[170:171], v[164:165], v[134:135]
	v_mul_f64_e32 v[134:135], v[166:167], v[134:135]
	scratch_load_b128 v[128:131], off, off offset:704
	v_add_f64_e32 v[168:169], v[168:169], v[174:175]
	s_wait_loadcnt_dscnt 0xb00
	v_mul_f64_e32 v[174:175], v[4:5], v[138:139]
	v_add_f64_e32 v[178:179], v[158:159], v[156:157]
	v_mul_f64_e32 v[138:139], v[6:7], v[138:139]
	ds_load_b128 v[156:159], v2 offset:1344
	v_fmac_f64_e32 v[170:171], v[166:167], v[132:133]
	v_fma_f64 v[164:165], v[164:165], v[132:133], -v[134:135]
	scratch_load_b128 v[132:135], off, off offset:720
	v_add_f64_e32 v[168:169], v[168:169], v[172:173]
	v_fmac_f64_e32 v[174:175], v[6:7], v[136:137]
	v_add_f64_e32 v[166:167], v[178:179], v[176:177]
	;; [unrolled: 18-line block ×3, first 2 shown]
	v_fma_f64 v[176:177], v[4:5], v[148:149], -v[150:151]
	ds_load_b128 v[4:7], v2 offset:1392
	s_wait_loadcnt_dscnt 0xa01
	v_mul_f64_e32 v[174:175], v[164:165], v[162:163]
	v_mul_f64_e32 v[162:163], v[166:167], v[162:163]
	scratch_load_b128 v[148:151], off, off offset:768
	v_add_f64_e32 v[168:169], v[168:169], v[172:173]
	v_add_f64_e32 v[178:179], v[158:159], v[156:157]
	s_wait_loadcnt_dscnt 0xa00
	v_mul_f64_e32 v[172:173], v[4:5], v[146:147]
	v_mul_f64_e32 v[146:147], v[6:7], v[146:147]
	v_fmac_f64_e32 v[174:175], v[166:167], v[160:161]
	v_fma_f64 v[160:161], v[164:165], v[160:161], -v[162:163]
	ds_load_b128 v[156:159], v2 offset:1408
	v_add_f64_e32 v[164:165], v[168:169], v[170:171]
	v_add_f64_e32 v[162:163], v[178:179], v[176:177]
	s_wait_loadcnt_dscnt 0x900
	v_mul_f64_e32 v[166:167], v[156:157], v[10:11]
	v_mul_f64_e32 v[10:11], v[158:159], v[10:11]
	v_fmac_f64_e32 v[172:173], v[6:7], v[144:145]
	v_fma_f64 v[168:169], v[4:5], v[144:145], -v[146:147]
	ds_load_b128 v[4:7], v2 offset:1424
	ds_load_b128 v[144:147], v2 offset:1440
	v_add_f64_e32 v[160:161], v[162:163], v[160:161]
	v_add_f64_e32 v[162:163], v[164:165], v[174:175]
	s_wait_loadcnt_dscnt 0x801
	v_mul_f64_e32 v[164:165], v[4:5], v[14:15]
	v_mul_f64_e32 v[14:15], v[6:7], v[14:15]
	v_fmac_f64_e32 v[166:167], v[158:159], v[8:9]
	v_fma_f64 v[8:9], v[156:157], v[8:9], -v[10:11]
	s_wait_loadcnt_dscnt 0x700
	v_mul_f64_e32 v[158:159], v[144:145], v[18:19]
	v_mul_f64_e32 v[18:19], v[146:147], v[18:19]
	v_add_f64_e32 v[10:11], v[160:161], v[168:169]
	v_add_f64_e32 v[156:157], v[162:163], v[172:173]
	v_fmac_f64_e32 v[164:165], v[6:7], v[12:13]
	v_fma_f64 v[12:13], v[4:5], v[12:13], -v[14:15]
	v_fmac_f64_e32 v[158:159], v[146:147], v[16:17]
	v_fma_f64 v[16:17], v[144:145], v[16:17], -v[18:19]
	v_add_f64_e32 v[14:15], v[10:11], v[8:9]
	v_add_f64_e32 v[156:157], v[156:157], v[166:167]
	ds_load_b128 v[4:7], v2 offset:1456
	ds_load_b128 v[8:11], v2 offset:1472
	s_wait_loadcnt_dscnt 0x601
	v_mul_f64_e32 v[160:161], v[4:5], v[22:23]
	v_mul_f64_e32 v[22:23], v[6:7], v[22:23]
	s_wait_loadcnt_dscnt 0x500
	v_mul_f64_e32 v[18:19], v[8:9], v[126:127]
	v_mul_f64_e32 v[126:127], v[10:11], v[126:127]
	v_add_f64_e32 v[12:13], v[14:15], v[12:13]
	v_add_f64_e32 v[14:15], v[156:157], v[164:165]
	v_fmac_f64_e32 v[160:161], v[6:7], v[20:21]
	v_fma_f64 v[20:21], v[4:5], v[20:21], -v[22:23]
	v_fmac_f64_e32 v[18:19], v[10:11], v[124:125]
	v_fma_f64 v[8:9], v[8:9], v[124:125], -v[126:127]
	v_add_f64_e32 v[16:17], v[12:13], v[16:17]
	v_add_f64_e32 v[22:23], v[14:15], v[158:159]
	ds_load_b128 v[4:7], v2 offset:1488
	ds_load_b128 v[12:15], v2 offset:1504
	s_wait_loadcnt_dscnt 0x401
	v_mul_f64_e32 v[144:145], v[4:5], v[130:131]
	v_mul_f64_e32 v[130:131], v[6:7], v[130:131]
	v_add_f64_e32 v[10:11], v[16:17], v[20:21]
	v_add_f64_e32 v[16:17], v[22:23], v[160:161]
	s_wait_loadcnt_dscnt 0x300
	v_mul_f64_e32 v[20:21], v[12:13], v[134:135]
	v_mul_f64_e32 v[22:23], v[14:15], v[134:135]
	v_fmac_f64_e32 v[144:145], v[6:7], v[128:129]
	v_fma_f64 v[124:125], v[4:5], v[128:129], -v[130:131]
	v_add_f64_e32 v[126:127], v[10:11], v[8:9]
	v_add_f64_e32 v[16:17], v[16:17], v[18:19]
	ds_load_b128 v[4:7], v2 offset:1520
	ds_load_b128 v[8:11], v2 offset:1536
	v_fmac_f64_e32 v[20:21], v[14:15], v[132:133]
	v_fma_f64 v[12:13], v[12:13], v[132:133], -v[22:23]
	s_wait_loadcnt_dscnt 0x201
	v_mul_f64_e32 v[18:19], v[4:5], v[138:139]
	v_mul_f64_e32 v[128:129], v[6:7], v[138:139]
	s_wait_loadcnt_dscnt 0x100
	v_mul_f64_e32 v[22:23], v[8:9], v[142:143]
	v_add_f64_e32 v[14:15], v[126:127], v[124:125]
	v_add_f64_e32 v[16:17], v[16:17], v[144:145]
	v_mul_f64_e32 v[124:125], v[10:11], v[142:143]
	v_fmac_f64_e32 v[18:19], v[6:7], v[136:137]
	v_fma_f64 v[126:127], v[4:5], v[136:137], -v[128:129]
	ds_load_b128 v[4:7], v2 offset:1552
	v_fmac_f64_e32 v[22:23], v[10:11], v[140:141]
	v_add_f64_e32 v[12:13], v[14:15], v[12:13]
	v_add_f64_e32 v[14:15], v[16:17], v[20:21]
	v_fma_f64 v[8:9], v[8:9], v[140:141], -v[124:125]
	s_wait_loadcnt_dscnt 0x0
	v_mul_f64_e32 v[16:17], v[4:5], v[150:151]
	v_mul_f64_e32 v[20:21], v[6:7], v[150:151]
	v_add_f64_e32 v[10:11], v[12:13], v[126:127]
	v_add_f64_e32 v[12:13], v[14:15], v[18:19]
	s_delay_alu instid0(VALU_DEP_4) | instskip(NEXT) | instid1(VALU_DEP_4)
	v_fmac_f64_e32 v[16:17], v[6:7], v[148:149]
	v_fma_f64 v[4:5], v[4:5], v[148:149], -v[20:21]
	s_delay_alu instid0(VALU_DEP_4) | instskip(NEXT) | instid1(VALU_DEP_4)
	v_add_f64_e32 v[6:7], v[10:11], v[8:9]
	v_add_f64_e32 v[8:9], v[12:13], v[22:23]
	s_delay_alu instid0(VALU_DEP_2) | instskip(NEXT) | instid1(VALU_DEP_2)
	v_add_f64_e32 v[4:5], v[6:7], v[4:5]
	v_add_f64_e32 v[6:7], v[8:9], v[16:17]
	s_delay_alu instid0(VALU_DEP_2) | instskip(NEXT) | instid1(VALU_DEP_2)
	v_add_f64_e64 v[4:5], v[152:153], -v[4:5]
	v_add_f64_e64 v[6:7], v[154:155], -v[6:7]
	scratch_store_b128 off, v[4:7], off offset:400
	s_wait_xcnt 0x0
	v_cmpx_lt_u32_e32 24, v1
	s_cbranch_execz .LBB48_259
; %bb.258:
	scratch_load_b128 v[6:9], off, s38
	v_dual_mov_b32 v3, v2 :: v_dual_mov_b32 v4, v2
	v_mov_b32_e32 v5, v2
	scratch_store_b128 off, v[2:5], off offset:384
	s_wait_loadcnt 0x0
	ds_store_b128 v122, v[6:9]
.LBB48_259:
	s_wait_xcnt 0x0
	s_or_b32 exec_lo, exec_lo, s2
	s_wait_storecnt_dscnt 0x0
	s_barrier_signal -1
	s_barrier_wait -1
	s_clause 0x9
	scratch_load_b128 v[4:7], off, off offset:400
	scratch_load_b128 v[8:11], off, off offset:416
	;; [unrolled: 1-line block ×10, first 2 shown]
	ds_load_b128 v[144:147], v2 offset:1184
	ds_load_b128 v[152:155], v2 offset:1200
	s_clause 0x2
	scratch_load_b128 v[148:151], off, off offset:560
	scratch_load_b128 v[156:159], off, off offset:384
	;; [unrolled: 1-line block ×3, first 2 shown]
	s_mov_b32 s2, exec_lo
	s_wait_loadcnt_dscnt 0xc01
	v_mul_f64_e32 v[164:165], v[146:147], v[6:7]
	v_mul_f64_e32 v[168:169], v[144:145], v[6:7]
	s_wait_loadcnt_dscnt 0xb00
	v_mul_f64_e32 v[170:171], v[152:153], v[10:11]
	v_mul_f64_e32 v[10:11], v[154:155], v[10:11]
	s_delay_alu instid0(VALU_DEP_4) | instskip(NEXT) | instid1(VALU_DEP_4)
	v_fma_f64 v[172:173], v[144:145], v[4:5], -v[164:165]
	v_fmac_f64_e32 v[168:169], v[146:147], v[4:5]
	ds_load_b128 v[4:7], v2 offset:1216
	ds_load_b128 v[144:147], v2 offset:1232
	scratch_load_b128 v[164:167], off, off offset:592
	v_fmac_f64_e32 v[170:171], v[154:155], v[8:9]
	v_fma_f64 v[152:153], v[152:153], v[8:9], -v[10:11]
	scratch_load_b128 v[8:11], off, off offset:608
	s_wait_loadcnt_dscnt 0xc01
	v_mul_f64_e32 v[174:175], v[4:5], v[14:15]
	v_mul_f64_e32 v[14:15], v[6:7], v[14:15]
	v_add_f64_e32 v[154:155], 0, v[172:173]
	v_add_f64_e32 v[168:169], 0, v[168:169]
	s_wait_loadcnt_dscnt 0xb00
	v_mul_f64_e32 v[172:173], v[144:145], v[18:19]
	v_mul_f64_e32 v[18:19], v[146:147], v[18:19]
	v_fmac_f64_e32 v[174:175], v[6:7], v[12:13]
	v_fma_f64 v[176:177], v[4:5], v[12:13], -v[14:15]
	ds_load_b128 v[4:7], v2 offset:1248
	ds_load_b128 v[12:15], v2 offset:1264
	v_add_f64_e32 v[178:179], v[154:155], v[152:153]
	v_add_f64_e32 v[168:169], v[168:169], v[170:171]
	scratch_load_b128 v[152:155], off, off offset:624
	v_fmac_f64_e32 v[172:173], v[146:147], v[16:17]
	v_fma_f64 v[144:145], v[144:145], v[16:17], -v[18:19]
	scratch_load_b128 v[16:19], off, off offset:640
	s_wait_loadcnt_dscnt 0xc01
	v_mul_f64_e32 v[170:171], v[4:5], v[22:23]
	v_mul_f64_e32 v[22:23], v[6:7], v[22:23]
	v_add_f64_e32 v[146:147], v[178:179], v[176:177]
	v_add_f64_e32 v[168:169], v[168:169], v[174:175]
	s_wait_loadcnt_dscnt 0xb00
	v_mul_f64_e32 v[174:175], v[12:13], v[126:127]
	v_mul_f64_e32 v[126:127], v[14:15], v[126:127]
	v_fmac_f64_e32 v[170:171], v[6:7], v[20:21]
	v_fma_f64 v[176:177], v[4:5], v[20:21], -v[22:23]
	ds_load_b128 v[4:7], v2 offset:1280
	ds_load_b128 v[20:23], v2 offset:1296
	v_add_f64_e32 v[178:179], v[146:147], v[144:145]
	v_add_f64_e32 v[168:169], v[168:169], v[172:173]
	scratch_load_b128 v[144:147], off, off offset:656
	s_wait_loadcnt_dscnt 0xb01
	v_mul_f64_e32 v[172:173], v[4:5], v[130:131]
	v_mul_f64_e32 v[130:131], v[6:7], v[130:131]
	v_fmac_f64_e32 v[174:175], v[14:15], v[124:125]
	v_fma_f64 v[124:125], v[12:13], v[124:125], -v[126:127]
	scratch_load_b128 v[12:15], off, off offset:672
	v_add_f64_e32 v[126:127], v[178:179], v[176:177]
	v_add_f64_e32 v[168:169], v[168:169], v[170:171]
	s_wait_loadcnt_dscnt 0xb00
	v_mul_f64_e32 v[170:171], v[20:21], v[134:135]
	v_mul_f64_e32 v[134:135], v[22:23], v[134:135]
	v_fmac_f64_e32 v[172:173], v[6:7], v[128:129]
	v_fma_f64 v[176:177], v[4:5], v[128:129], -v[130:131]
	v_add_f64_e32 v[178:179], v[126:127], v[124:125]
	v_add_f64_e32 v[168:169], v[168:169], v[174:175]
	ds_load_b128 v[4:7], v2 offset:1312
	ds_load_b128 v[124:127], v2 offset:1328
	scratch_load_b128 v[128:131], off, off offset:688
	v_fmac_f64_e32 v[170:171], v[22:23], v[132:133]
	v_fma_f64 v[132:133], v[20:21], v[132:133], -v[134:135]
	scratch_load_b128 v[20:23], off, off offset:704
	s_wait_loadcnt_dscnt 0xc01
	v_mul_f64_e32 v[174:175], v[4:5], v[138:139]
	v_mul_f64_e32 v[138:139], v[6:7], v[138:139]
	v_add_f64_e32 v[134:135], v[178:179], v[176:177]
	v_add_f64_e32 v[168:169], v[168:169], v[172:173]
	s_wait_loadcnt_dscnt 0xb00
	v_mul_f64_e32 v[172:173], v[124:125], v[142:143]
	v_mul_f64_e32 v[142:143], v[126:127], v[142:143]
	v_fmac_f64_e32 v[174:175], v[6:7], v[136:137]
	v_fma_f64 v[176:177], v[4:5], v[136:137], -v[138:139]
	v_add_f64_e32 v[178:179], v[134:135], v[132:133]
	v_add_f64_e32 v[168:169], v[168:169], v[170:171]
	ds_load_b128 v[4:7], v2 offset:1344
	ds_load_b128 v[132:135], v2 offset:1360
	scratch_load_b128 v[136:139], off, off offset:720
	v_fmac_f64_e32 v[172:173], v[126:127], v[140:141]
	v_fma_f64 v[140:141], v[124:125], v[140:141], -v[142:143]
	scratch_load_b128 v[124:127], off, off offset:736
	s_wait_loadcnt_dscnt 0xc01
	v_mul_f64_e32 v[170:171], v[4:5], v[150:151]
	v_mul_f64_e32 v[150:151], v[6:7], v[150:151]
	;; [unrolled: 18-line block ×3, first 2 shown]
	v_add_f64_e32 v[162:163], v[178:179], v[176:177]
	v_add_f64_e32 v[168:169], v[168:169], v[170:171]
	s_wait_loadcnt_dscnt 0xa00
	v_mul_f64_e32 v[170:171], v[140:141], v[10:11]
	v_mul_f64_e32 v[10:11], v[142:143], v[10:11]
	v_fmac_f64_e32 v[172:173], v[6:7], v[164:165]
	v_fma_f64 v[164:165], v[4:5], v[164:165], -v[166:167]
	v_add_f64_e32 v[166:167], v[162:163], v[160:161]
	v_add_f64_e32 v[168:169], v[168:169], v[174:175]
	ds_load_b128 v[4:7], v2 offset:1408
	ds_load_b128 v[160:163], v2 offset:1424
	v_fmac_f64_e32 v[170:171], v[142:143], v[8:9]
	v_fma_f64 v[8:9], v[140:141], v[8:9], -v[10:11]
	s_wait_loadcnt_dscnt 0x901
	v_mul_f64_e32 v[174:175], v[4:5], v[154:155]
	v_mul_f64_e32 v[154:155], v[6:7], v[154:155]
	s_wait_loadcnt_dscnt 0x800
	v_mul_f64_e32 v[142:143], v[160:161], v[18:19]
	v_mul_f64_e32 v[18:19], v[162:163], v[18:19]
	v_add_f64_e32 v[10:11], v[166:167], v[164:165]
	v_add_f64_e32 v[140:141], v[168:169], v[172:173]
	v_fmac_f64_e32 v[174:175], v[6:7], v[152:153]
	v_fma_f64 v[152:153], v[4:5], v[152:153], -v[154:155]
	v_fmac_f64_e32 v[142:143], v[162:163], v[16:17]
	v_fma_f64 v[16:17], v[160:161], v[16:17], -v[18:19]
	v_add_f64_e32 v[154:155], v[10:11], v[8:9]
	v_add_f64_e32 v[140:141], v[140:141], v[170:171]
	ds_load_b128 v[4:7], v2 offset:1440
	ds_load_b128 v[8:11], v2 offset:1456
	s_wait_loadcnt_dscnt 0x701
	v_mul_f64_e32 v[164:165], v[4:5], v[146:147]
	v_mul_f64_e32 v[146:147], v[6:7], v[146:147]
	v_add_f64_e32 v[18:19], v[154:155], v[152:153]
	v_add_f64_e32 v[140:141], v[140:141], v[174:175]
	s_wait_loadcnt_dscnt 0x600
	v_mul_f64_e32 v[152:153], v[8:9], v[14:15]
	v_mul_f64_e32 v[154:155], v[10:11], v[14:15]
	v_fmac_f64_e32 v[164:165], v[6:7], v[144:145]
	v_fma_f64 v[144:145], v[4:5], v[144:145], -v[146:147]
	v_add_f64_e32 v[18:19], v[18:19], v[16:17]
	v_add_f64_e32 v[140:141], v[140:141], v[142:143]
	ds_load_b128 v[4:7], v2 offset:1472
	ds_load_b128 v[14:17], v2 offset:1488
	v_fmac_f64_e32 v[152:153], v[10:11], v[12:13]
	v_fma_f64 v[8:9], v[8:9], v[12:13], -v[154:155]
	s_wait_loadcnt_dscnt 0x501
	v_mul_f64_e32 v[142:143], v[4:5], v[130:131]
	v_mul_f64_e32 v[130:131], v[6:7], v[130:131]
	v_add_f64_e32 v[10:11], v[18:19], v[144:145]
	v_add_f64_e32 v[12:13], v[140:141], v[164:165]
	s_wait_loadcnt_dscnt 0x400
	v_mul_f64_e32 v[18:19], v[14:15], v[22:23]
	v_mul_f64_e32 v[22:23], v[16:17], v[22:23]
	v_fmac_f64_e32 v[142:143], v[6:7], v[128:129]
	v_fma_f64 v[128:129], v[4:5], v[128:129], -v[130:131]
	v_add_f64_e32 v[130:131], v[10:11], v[8:9]
	v_add_f64_e32 v[12:13], v[12:13], v[152:153]
	ds_load_b128 v[4:7], v2 offset:1504
	ds_load_b128 v[8:11], v2 offset:1520
	v_fmac_f64_e32 v[18:19], v[16:17], v[20:21]
	v_fma_f64 v[14:15], v[14:15], v[20:21], -v[22:23]
	s_wait_loadcnt_dscnt 0x301
	v_mul_f64_e32 v[140:141], v[4:5], v[138:139]
	v_mul_f64_e32 v[138:139], v[6:7], v[138:139]
	s_wait_loadcnt_dscnt 0x200
	v_mul_f64_e32 v[20:21], v[8:9], v[126:127]
	v_mul_f64_e32 v[22:23], v[10:11], v[126:127]
	v_add_f64_e32 v[16:17], v[130:131], v[128:129]
	v_add_f64_e32 v[12:13], v[12:13], v[142:143]
	v_fmac_f64_e32 v[140:141], v[6:7], v[136:137]
	v_fma_f64 v[126:127], v[4:5], v[136:137], -v[138:139]
	v_fmac_f64_e32 v[20:21], v[10:11], v[124:125]
	v_fma_f64 v[8:9], v[8:9], v[124:125], -v[22:23]
	v_add_f64_e32 v[16:17], v[16:17], v[14:15]
	v_add_f64_e32 v[18:19], v[12:13], v[18:19]
	ds_load_b128 v[4:7], v2 offset:1536
	ds_load_b128 v[12:15], v2 offset:1552
	s_wait_loadcnt_dscnt 0x101
	v_mul_f64_e32 v[2:3], v[4:5], v[150:151]
	v_mul_f64_e32 v[128:129], v[6:7], v[150:151]
	s_wait_loadcnt_dscnt 0x0
	v_mul_f64_e32 v[22:23], v[14:15], v[134:135]
	v_add_f64_e32 v[10:11], v[16:17], v[126:127]
	v_add_f64_e32 v[16:17], v[18:19], v[140:141]
	v_mul_f64_e32 v[18:19], v[12:13], v[134:135]
	v_fmac_f64_e32 v[2:3], v[6:7], v[148:149]
	v_fma_f64 v[4:5], v[4:5], v[148:149], -v[128:129]
	v_add_f64_e32 v[6:7], v[10:11], v[8:9]
	v_add_f64_e32 v[8:9], v[16:17], v[20:21]
	v_fmac_f64_e32 v[18:19], v[14:15], v[132:133]
	v_fma_f64 v[10:11], v[12:13], v[132:133], -v[22:23]
	s_delay_alu instid0(VALU_DEP_4) | instskip(NEXT) | instid1(VALU_DEP_4)
	v_add_f64_e32 v[4:5], v[6:7], v[4:5]
	v_add_f64_e32 v[2:3], v[8:9], v[2:3]
	s_delay_alu instid0(VALU_DEP_2) | instskip(NEXT) | instid1(VALU_DEP_2)
	v_add_f64_e32 v[4:5], v[4:5], v[10:11]
	v_add_f64_e32 v[6:7], v[2:3], v[18:19]
	s_delay_alu instid0(VALU_DEP_2) | instskip(NEXT) | instid1(VALU_DEP_2)
	v_add_f64_e64 v[2:3], v[156:157], -v[4:5]
	v_add_f64_e64 v[4:5], v[158:159], -v[6:7]
	scratch_store_b128 off, v[2:5], off offset:384
	s_wait_xcnt 0x0
	v_cmpx_lt_u32_e32 23, v1
	s_cbranch_execz .LBB48_261
; %bb.260:
	scratch_load_b128 v[2:5], off, s37
	v_mov_b32_e32 v6, 0
	s_delay_alu instid0(VALU_DEP_1)
	v_dual_mov_b32 v7, v6 :: v_dual_mov_b32 v8, v6
	v_mov_b32_e32 v9, v6
	scratch_store_b128 off, v[6:9], off offset:368
	s_wait_loadcnt 0x0
	ds_store_b128 v122, v[2:5]
.LBB48_261:
	s_wait_xcnt 0x0
	s_or_b32 exec_lo, exec_lo, s2
	s_wait_storecnt_dscnt 0x0
	s_barrier_signal -1
	s_barrier_wait -1
	s_clause 0x9
	scratch_load_b128 v[4:7], off, off offset:384
	scratch_load_b128 v[8:11], off, off offset:400
	;; [unrolled: 1-line block ×10, first 2 shown]
	v_mov_b32_e32 v2, 0
	s_mov_b32 s2, exec_lo
	ds_load_b128 v[144:147], v2 offset:1168
	s_clause 0x2
	scratch_load_b128 v[148:151], off, off offset:544
	scratch_load_b128 v[152:155], off, off offset:368
	;; [unrolled: 1-line block ×3, first 2 shown]
	s_wait_loadcnt_dscnt 0xc00
	v_mul_f64_e32 v[164:165], v[146:147], v[6:7]
	v_mul_f64_e32 v[168:169], v[144:145], v[6:7]
	ds_load_b128 v[156:159], v2 offset:1184
	v_fma_f64 v[172:173], v[144:145], v[4:5], -v[164:165]
	v_fmac_f64_e32 v[168:169], v[146:147], v[4:5]
	ds_load_b128 v[4:7], v2 offset:1200
	s_wait_loadcnt_dscnt 0xb01
	v_mul_f64_e32 v[170:171], v[156:157], v[10:11]
	v_mul_f64_e32 v[10:11], v[158:159], v[10:11]
	scratch_load_b128 v[144:147], off, off offset:576
	ds_load_b128 v[164:167], v2 offset:1216
	s_wait_loadcnt_dscnt 0xb01
	v_mul_f64_e32 v[174:175], v[4:5], v[14:15]
	v_mul_f64_e32 v[14:15], v[6:7], v[14:15]
	v_add_f64_e32 v[168:169], 0, v[168:169]
	v_fmac_f64_e32 v[170:171], v[158:159], v[8:9]
	v_fma_f64 v[156:157], v[156:157], v[8:9], -v[10:11]
	v_add_f64_e32 v[158:159], 0, v[172:173]
	scratch_load_b128 v[8:11], off, off offset:592
	v_fmac_f64_e32 v[174:175], v[6:7], v[12:13]
	v_fma_f64 v[176:177], v[4:5], v[12:13], -v[14:15]
	ds_load_b128 v[4:7], v2 offset:1232
	s_wait_loadcnt_dscnt 0xb01
	v_mul_f64_e32 v[172:173], v[164:165], v[18:19]
	v_mul_f64_e32 v[18:19], v[166:167], v[18:19]
	scratch_load_b128 v[12:15], off, off offset:608
	v_add_f64_e32 v[168:169], v[168:169], v[170:171]
	v_add_f64_e32 v[178:179], v[158:159], v[156:157]
	ds_load_b128 v[156:159], v2 offset:1248
	s_wait_loadcnt_dscnt 0xb01
	v_mul_f64_e32 v[170:171], v[4:5], v[22:23]
	v_mul_f64_e32 v[22:23], v[6:7], v[22:23]
	v_fmac_f64_e32 v[172:173], v[166:167], v[16:17]
	v_fma_f64 v[164:165], v[164:165], v[16:17], -v[18:19]
	scratch_load_b128 v[16:19], off, off offset:624
	v_add_f64_e32 v[168:169], v[168:169], v[174:175]
	v_add_f64_e32 v[166:167], v[178:179], v[176:177]
	v_fmac_f64_e32 v[170:171], v[6:7], v[20:21]
	v_fma_f64 v[176:177], v[4:5], v[20:21], -v[22:23]
	ds_load_b128 v[4:7], v2 offset:1264
	s_wait_loadcnt_dscnt 0xb01
	v_mul_f64_e32 v[174:175], v[156:157], v[126:127]
	v_mul_f64_e32 v[126:127], v[158:159], v[126:127]
	scratch_load_b128 v[20:23], off, off offset:640
	v_add_f64_e32 v[168:169], v[168:169], v[172:173]
	s_wait_loadcnt_dscnt 0xb00
	v_mul_f64_e32 v[172:173], v[4:5], v[130:131]
	v_add_f64_e32 v[178:179], v[166:167], v[164:165]
	v_mul_f64_e32 v[130:131], v[6:7], v[130:131]
	ds_load_b128 v[164:167], v2 offset:1280
	v_fmac_f64_e32 v[174:175], v[158:159], v[124:125]
	v_fma_f64 v[156:157], v[156:157], v[124:125], -v[126:127]
	scratch_load_b128 v[124:127], off, off offset:656
	v_add_f64_e32 v[168:169], v[168:169], v[170:171]
	v_fmac_f64_e32 v[172:173], v[6:7], v[128:129]
	v_add_f64_e32 v[158:159], v[178:179], v[176:177]
	v_fma_f64 v[176:177], v[4:5], v[128:129], -v[130:131]
	ds_load_b128 v[4:7], v2 offset:1296
	s_wait_loadcnt_dscnt 0xb01
	v_mul_f64_e32 v[170:171], v[164:165], v[134:135]
	v_mul_f64_e32 v[134:135], v[166:167], v[134:135]
	scratch_load_b128 v[128:131], off, off offset:672
	v_add_f64_e32 v[168:169], v[168:169], v[174:175]
	s_wait_loadcnt_dscnt 0xb00
	v_mul_f64_e32 v[174:175], v[4:5], v[138:139]
	v_add_f64_e32 v[178:179], v[158:159], v[156:157]
	v_mul_f64_e32 v[138:139], v[6:7], v[138:139]
	ds_load_b128 v[156:159], v2 offset:1312
	v_fmac_f64_e32 v[170:171], v[166:167], v[132:133]
	v_fma_f64 v[164:165], v[164:165], v[132:133], -v[134:135]
	scratch_load_b128 v[132:135], off, off offset:688
	v_add_f64_e32 v[168:169], v[168:169], v[172:173]
	v_fmac_f64_e32 v[174:175], v[6:7], v[136:137]
	v_add_f64_e32 v[166:167], v[178:179], v[176:177]
	;; [unrolled: 18-line block ×3, first 2 shown]
	v_fma_f64 v[176:177], v[4:5], v[148:149], -v[150:151]
	ds_load_b128 v[4:7], v2 offset:1360
	s_wait_loadcnt_dscnt 0xa01
	v_mul_f64_e32 v[174:175], v[164:165], v[162:163]
	v_mul_f64_e32 v[162:163], v[166:167], v[162:163]
	scratch_load_b128 v[148:151], off, off offset:736
	v_add_f64_e32 v[168:169], v[168:169], v[172:173]
	v_add_f64_e32 v[178:179], v[158:159], v[156:157]
	s_wait_loadcnt_dscnt 0xa00
	v_mul_f64_e32 v[172:173], v[4:5], v[146:147]
	v_mul_f64_e32 v[146:147], v[6:7], v[146:147]
	v_fmac_f64_e32 v[174:175], v[166:167], v[160:161]
	v_fma_f64 v[164:165], v[164:165], v[160:161], -v[162:163]
	ds_load_b128 v[156:159], v2 offset:1376
	scratch_load_b128 v[160:163], off, off offset:752
	v_add_f64_e32 v[168:169], v[168:169], v[170:171]
	v_add_f64_e32 v[166:167], v[178:179], v[176:177]
	v_fmac_f64_e32 v[172:173], v[6:7], v[144:145]
	v_fma_f64 v[176:177], v[4:5], v[144:145], -v[146:147]
	ds_load_b128 v[4:7], v2 offset:1392
	s_wait_loadcnt_dscnt 0xa01
	v_mul_f64_e32 v[170:171], v[156:157], v[10:11]
	v_mul_f64_e32 v[10:11], v[158:159], v[10:11]
	scratch_load_b128 v[144:147], off, off offset:768
	v_add_f64_e32 v[168:169], v[168:169], v[174:175]
	s_wait_loadcnt_dscnt 0xa00
	v_mul_f64_e32 v[174:175], v[4:5], v[14:15]
	v_add_f64_e32 v[178:179], v[166:167], v[164:165]
	v_mul_f64_e32 v[14:15], v[6:7], v[14:15]
	ds_load_b128 v[164:167], v2 offset:1408
	v_fmac_f64_e32 v[170:171], v[158:159], v[8:9]
	v_fma_f64 v[8:9], v[156:157], v[8:9], -v[10:11]
	s_wait_loadcnt_dscnt 0x900
	v_mul_f64_e32 v[158:159], v[164:165], v[18:19]
	v_mul_f64_e32 v[18:19], v[166:167], v[18:19]
	v_add_f64_e32 v[156:157], v[168:169], v[172:173]
	v_fmac_f64_e32 v[174:175], v[6:7], v[12:13]
	v_add_f64_e32 v[10:11], v[178:179], v[176:177]
	v_fma_f64 v[12:13], v[4:5], v[12:13], -v[14:15]
	v_fmac_f64_e32 v[158:159], v[166:167], v[16:17]
	v_fma_f64 v[16:17], v[164:165], v[16:17], -v[18:19]
	v_add_f64_e32 v[156:157], v[156:157], v[170:171]
	v_add_f64_e32 v[14:15], v[10:11], v[8:9]
	ds_load_b128 v[4:7], v2 offset:1424
	ds_load_b128 v[8:11], v2 offset:1440
	s_wait_loadcnt_dscnt 0x801
	v_mul_f64_e32 v[168:169], v[4:5], v[22:23]
	v_mul_f64_e32 v[22:23], v[6:7], v[22:23]
	s_wait_loadcnt_dscnt 0x700
	v_mul_f64_e32 v[18:19], v[8:9], v[126:127]
	v_mul_f64_e32 v[126:127], v[10:11], v[126:127]
	v_add_f64_e32 v[12:13], v[14:15], v[12:13]
	v_add_f64_e32 v[14:15], v[156:157], v[174:175]
	v_fmac_f64_e32 v[168:169], v[6:7], v[20:21]
	v_fma_f64 v[20:21], v[4:5], v[20:21], -v[22:23]
	v_fmac_f64_e32 v[18:19], v[10:11], v[124:125]
	v_fma_f64 v[8:9], v[8:9], v[124:125], -v[126:127]
	v_add_f64_e32 v[16:17], v[12:13], v[16:17]
	v_add_f64_e32 v[22:23], v[14:15], v[158:159]
	ds_load_b128 v[4:7], v2 offset:1456
	ds_load_b128 v[12:15], v2 offset:1472
	s_wait_loadcnt_dscnt 0x601
	v_mul_f64_e32 v[156:157], v[4:5], v[130:131]
	v_mul_f64_e32 v[130:131], v[6:7], v[130:131]
	v_add_f64_e32 v[10:11], v[16:17], v[20:21]
	v_add_f64_e32 v[16:17], v[22:23], v[168:169]
	s_wait_loadcnt_dscnt 0x500
	v_mul_f64_e32 v[20:21], v[12:13], v[134:135]
	v_mul_f64_e32 v[22:23], v[14:15], v[134:135]
	v_fmac_f64_e32 v[156:157], v[6:7], v[128:129]
	v_fma_f64 v[124:125], v[4:5], v[128:129], -v[130:131]
	v_add_f64_e32 v[126:127], v[10:11], v[8:9]
	v_add_f64_e32 v[16:17], v[16:17], v[18:19]
	ds_load_b128 v[4:7], v2 offset:1488
	ds_load_b128 v[8:11], v2 offset:1504
	v_fmac_f64_e32 v[20:21], v[14:15], v[132:133]
	v_fma_f64 v[12:13], v[12:13], v[132:133], -v[22:23]
	s_wait_loadcnt_dscnt 0x401
	v_mul_f64_e32 v[18:19], v[4:5], v[138:139]
	v_mul_f64_e32 v[128:129], v[6:7], v[138:139]
	s_wait_loadcnt_dscnt 0x300
	v_mul_f64_e32 v[22:23], v[8:9], v[142:143]
	v_add_f64_e32 v[14:15], v[126:127], v[124:125]
	v_add_f64_e32 v[16:17], v[16:17], v[156:157]
	v_mul_f64_e32 v[124:125], v[10:11], v[142:143]
	v_fmac_f64_e32 v[18:19], v[6:7], v[136:137]
	v_fma_f64 v[126:127], v[4:5], v[136:137], -v[128:129]
	v_fmac_f64_e32 v[22:23], v[10:11], v[140:141]
	v_add_f64_e32 v[128:129], v[14:15], v[12:13]
	v_add_f64_e32 v[16:17], v[16:17], v[20:21]
	ds_load_b128 v[4:7], v2 offset:1520
	ds_load_b128 v[12:15], v2 offset:1536
	v_fma_f64 v[8:9], v[8:9], v[140:141], -v[124:125]
	s_wait_loadcnt_dscnt 0x201
	v_mul_f64_e32 v[20:21], v[4:5], v[150:151]
	v_mul_f64_e32 v[130:131], v[6:7], v[150:151]
	s_wait_loadcnt_dscnt 0x100
	v_mul_f64_e32 v[124:125], v[14:15], v[162:163]
	v_add_f64_e32 v[10:11], v[128:129], v[126:127]
	v_add_f64_e32 v[16:17], v[16:17], v[18:19]
	v_mul_f64_e32 v[18:19], v[12:13], v[162:163]
	v_fmac_f64_e32 v[20:21], v[6:7], v[148:149]
	v_fma_f64 v[126:127], v[4:5], v[148:149], -v[130:131]
	ds_load_b128 v[4:7], v2 offset:1552
	v_fma_f64 v[12:13], v[12:13], v[160:161], -v[124:125]
	v_add_f64_e32 v[8:9], v[10:11], v[8:9]
	v_add_f64_e32 v[10:11], v[16:17], v[22:23]
	v_fmac_f64_e32 v[18:19], v[14:15], v[160:161]
	s_wait_loadcnt_dscnt 0x0
	v_mul_f64_e32 v[16:17], v[4:5], v[146:147]
	v_mul_f64_e32 v[22:23], v[6:7], v[146:147]
	v_add_f64_e32 v[8:9], v[8:9], v[126:127]
	v_add_f64_e32 v[10:11], v[10:11], v[20:21]
	s_delay_alu instid0(VALU_DEP_4) | instskip(NEXT) | instid1(VALU_DEP_4)
	v_fmac_f64_e32 v[16:17], v[6:7], v[144:145]
	v_fma_f64 v[4:5], v[4:5], v[144:145], -v[22:23]
	s_delay_alu instid0(VALU_DEP_4) | instskip(NEXT) | instid1(VALU_DEP_4)
	v_add_f64_e32 v[6:7], v[8:9], v[12:13]
	v_add_f64_e32 v[8:9], v[10:11], v[18:19]
	s_delay_alu instid0(VALU_DEP_2) | instskip(NEXT) | instid1(VALU_DEP_2)
	v_add_f64_e32 v[4:5], v[6:7], v[4:5]
	v_add_f64_e32 v[6:7], v[8:9], v[16:17]
	s_delay_alu instid0(VALU_DEP_2) | instskip(NEXT) | instid1(VALU_DEP_2)
	v_add_f64_e64 v[4:5], v[152:153], -v[4:5]
	v_add_f64_e64 v[6:7], v[154:155], -v[6:7]
	scratch_store_b128 off, v[4:7], off offset:368
	s_wait_xcnt 0x0
	v_cmpx_lt_u32_e32 22, v1
	s_cbranch_execz .LBB48_263
; %bb.262:
	scratch_load_b128 v[6:9], off, s42
	v_dual_mov_b32 v3, v2 :: v_dual_mov_b32 v4, v2
	v_mov_b32_e32 v5, v2
	scratch_store_b128 off, v[2:5], off offset:352
	s_wait_loadcnt 0x0
	ds_store_b128 v122, v[6:9]
.LBB48_263:
	s_wait_xcnt 0x0
	s_or_b32 exec_lo, exec_lo, s2
	s_wait_storecnt_dscnt 0x0
	s_barrier_signal -1
	s_barrier_wait -1
	s_clause 0x9
	scratch_load_b128 v[4:7], off, off offset:368
	scratch_load_b128 v[8:11], off, off offset:384
	;; [unrolled: 1-line block ×10, first 2 shown]
	ds_load_b128 v[144:147], v2 offset:1152
	ds_load_b128 v[152:155], v2 offset:1168
	s_clause 0x2
	scratch_load_b128 v[148:151], off, off offset:528
	scratch_load_b128 v[156:159], off, off offset:352
	;; [unrolled: 1-line block ×3, first 2 shown]
	s_mov_b32 s2, exec_lo
	s_wait_loadcnt_dscnt 0xc01
	v_mul_f64_e32 v[164:165], v[146:147], v[6:7]
	v_mul_f64_e32 v[168:169], v[144:145], v[6:7]
	s_wait_loadcnt_dscnt 0xb00
	v_mul_f64_e32 v[170:171], v[152:153], v[10:11]
	v_mul_f64_e32 v[10:11], v[154:155], v[10:11]
	s_delay_alu instid0(VALU_DEP_4) | instskip(NEXT) | instid1(VALU_DEP_4)
	v_fma_f64 v[172:173], v[144:145], v[4:5], -v[164:165]
	v_fmac_f64_e32 v[168:169], v[146:147], v[4:5]
	ds_load_b128 v[4:7], v2 offset:1184
	ds_load_b128 v[144:147], v2 offset:1200
	scratch_load_b128 v[164:167], off, off offset:560
	v_fmac_f64_e32 v[170:171], v[154:155], v[8:9]
	v_fma_f64 v[152:153], v[152:153], v[8:9], -v[10:11]
	scratch_load_b128 v[8:11], off, off offset:576
	s_wait_loadcnt_dscnt 0xc01
	v_mul_f64_e32 v[174:175], v[4:5], v[14:15]
	v_mul_f64_e32 v[14:15], v[6:7], v[14:15]
	v_add_f64_e32 v[154:155], 0, v[172:173]
	v_add_f64_e32 v[168:169], 0, v[168:169]
	s_wait_loadcnt_dscnt 0xb00
	v_mul_f64_e32 v[172:173], v[144:145], v[18:19]
	v_mul_f64_e32 v[18:19], v[146:147], v[18:19]
	v_fmac_f64_e32 v[174:175], v[6:7], v[12:13]
	v_fma_f64 v[176:177], v[4:5], v[12:13], -v[14:15]
	ds_load_b128 v[4:7], v2 offset:1216
	ds_load_b128 v[12:15], v2 offset:1232
	v_add_f64_e32 v[178:179], v[154:155], v[152:153]
	v_add_f64_e32 v[168:169], v[168:169], v[170:171]
	scratch_load_b128 v[152:155], off, off offset:592
	v_fmac_f64_e32 v[172:173], v[146:147], v[16:17]
	v_fma_f64 v[144:145], v[144:145], v[16:17], -v[18:19]
	scratch_load_b128 v[16:19], off, off offset:608
	s_wait_loadcnt_dscnt 0xc01
	v_mul_f64_e32 v[170:171], v[4:5], v[22:23]
	v_mul_f64_e32 v[22:23], v[6:7], v[22:23]
	v_add_f64_e32 v[146:147], v[178:179], v[176:177]
	v_add_f64_e32 v[168:169], v[168:169], v[174:175]
	s_wait_loadcnt_dscnt 0xb00
	v_mul_f64_e32 v[174:175], v[12:13], v[126:127]
	v_mul_f64_e32 v[126:127], v[14:15], v[126:127]
	v_fmac_f64_e32 v[170:171], v[6:7], v[20:21]
	v_fma_f64 v[176:177], v[4:5], v[20:21], -v[22:23]
	ds_load_b128 v[4:7], v2 offset:1248
	ds_load_b128 v[20:23], v2 offset:1264
	v_add_f64_e32 v[178:179], v[146:147], v[144:145]
	v_add_f64_e32 v[168:169], v[168:169], v[172:173]
	scratch_load_b128 v[144:147], off, off offset:624
	s_wait_loadcnt_dscnt 0xb01
	v_mul_f64_e32 v[172:173], v[4:5], v[130:131]
	v_mul_f64_e32 v[130:131], v[6:7], v[130:131]
	v_fmac_f64_e32 v[174:175], v[14:15], v[124:125]
	v_fma_f64 v[124:125], v[12:13], v[124:125], -v[126:127]
	scratch_load_b128 v[12:15], off, off offset:640
	v_add_f64_e32 v[126:127], v[178:179], v[176:177]
	v_add_f64_e32 v[168:169], v[168:169], v[170:171]
	s_wait_loadcnt_dscnt 0xb00
	v_mul_f64_e32 v[170:171], v[20:21], v[134:135]
	v_mul_f64_e32 v[134:135], v[22:23], v[134:135]
	v_fmac_f64_e32 v[172:173], v[6:7], v[128:129]
	v_fma_f64 v[176:177], v[4:5], v[128:129], -v[130:131]
	v_add_f64_e32 v[178:179], v[126:127], v[124:125]
	v_add_f64_e32 v[168:169], v[168:169], v[174:175]
	ds_load_b128 v[4:7], v2 offset:1280
	ds_load_b128 v[124:127], v2 offset:1296
	scratch_load_b128 v[128:131], off, off offset:656
	v_fmac_f64_e32 v[170:171], v[22:23], v[132:133]
	v_fma_f64 v[132:133], v[20:21], v[132:133], -v[134:135]
	scratch_load_b128 v[20:23], off, off offset:672
	s_wait_loadcnt_dscnt 0xc01
	v_mul_f64_e32 v[174:175], v[4:5], v[138:139]
	v_mul_f64_e32 v[138:139], v[6:7], v[138:139]
	v_add_f64_e32 v[134:135], v[178:179], v[176:177]
	v_add_f64_e32 v[168:169], v[168:169], v[172:173]
	s_wait_loadcnt_dscnt 0xb00
	v_mul_f64_e32 v[172:173], v[124:125], v[142:143]
	v_mul_f64_e32 v[142:143], v[126:127], v[142:143]
	v_fmac_f64_e32 v[174:175], v[6:7], v[136:137]
	v_fma_f64 v[176:177], v[4:5], v[136:137], -v[138:139]
	v_add_f64_e32 v[178:179], v[134:135], v[132:133]
	v_add_f64_e32 v[168:169], v[168:169], v[170:171]
	ds_load_b128 v[4:7], v2 offset:1312
	ds_load_b128 v[132:135], v2 offset:1328
	scratch_load_b128 v[136:139], off, off offset:688
	v_fmac_f64_e32 v[172:173], v[126:127], v[140:141]
	v_fma_f64 v[140:141], v[124:125], v[140:141], -v[142:143]
	scratch_load_b128 v[124:127], off, off offset:704
	s_wait_loadcnt_dscnt 0xc01
	v_mul_f64_e32 v[170:171], v[4:5], v[150:151]
	v_mul_f64_e32 v[150:151], v[6:7], v[150:151]
	;; [unrolled: 18-line block ×4, first 2 shown]
	v_add_f64_e32 v[142:143], v[178:179], v[176:177]
	v_add_f64_e32 v[168:169], v[168:169], v[172:173]
	s_wait_loadcnt_dscnt 0xa00
	v_mul_f64_e32 v[172:173], v[160:161], v[18:19]
	v_mul_f64_e32 v[18:19], v[162:163], v[18:19]
	v_fmac_f64_e32 v[174:175], v[6:7], v[152:153]
	v_fma_f64 v[152:153], v[4:5], v[152:153], -v[154:155]
	v_add_f64_e32 v[154:155], v[142:143], v[140:141]
	v_add_f64_e32 v[168:169], v[168:169], v[170:171]
	ds_load_b128 v[4:7], v2 offset:1408
	ds_load_b128 v[140:143], v2 offset:1424
	v_fmac_f64_e32 v[172:173], v[162:163], v[16:17]
	v_fma_f64 v[16:17], v[160:161], v[16:17], -v[18:19]
	s_wait_loadcnt_dscnt 0x901
	v_mul_f64_e32 v[170:171], v[4:5], v[146:147]
	v_mul_f64_e32 v[146:147], v[6:7], v[146:147]
	s_wait_loadcnt_dscnt 0x800
	v_mul_f64_e32 v[160:161], v[142:143], v[14:15]
	v_add_f64_e32 v[18:19], v[154:155], v[152:153]
	v_add_f64_e32 v[152:153], v[168:169], v[174:175]
	v_mul_f64_e32 v[154:155], v[140:141], v[14:15]
	v_fmac_f64_e32 v[170:171], v[6:7], v[144:145]
	v_fma_f64 v[144:145], v[4:5], v[144:145], -v[146:147]
	v_add_f64_e32 v[18:19], v[18:19], v[16:17]
	v_add_f64_e32 v[146:147], v[152:153], v[172:173]
	ds_load_b128 v[4:7], v2 offset:1440
	ds_load_b128 v[14:17], v2 offset:1456
	v_fmac_f64_e32 v[154:155], v[142:143], v[12:13]
	v_fma_f64 v[12:13], v[140:141], v[12:13], -v[160:161]
	s_wait_loadcnt_dscnt 0x701
	v_mul_f64_e32 v[152:153], v[4:5], v[130:131]
	v_mul_f64_e32 v[130:131], v[6:7], v[130:131]
	s_wait_loadcnt_dscnt 0x600
	v_mul_f64_e32 v[142:143], v[14:15], v[22:23]
	v_mul_f64_e32 v[22:23], v[16:17], v[22:23]
	v_add_f64_e32 v[18:19], v[18:19], v[144:145]
	v_add_f64_e32 v[140:141], v[146:147], v[170:171]
	v_fmac_f64_e32 v[152:153], v[6:7], v[128:129]
	v_fma_f64 v[144:145], v[4:5], v[128:129], -v[130:131]
	ds_load_b128 v[4:7], v2 offset:1472
	ds_load_b128 v[128:131], v2 offset:1488
	v_fmac_f64_e32 v[142:143], v[16:17], v[20:21]
	v_fma_f64 v[14:15], v[14:15], v[20:21], -v[22:23]
	v_add_f64_e32 v[12:13], v[18:19], v[12:13]
	v_add_f64_e32 v[18:19], v[140:141], v[154:155]
	s_wait_loadcnt_dscnt 0x501
	v_mul_f64_e32 v[140:141], v[4:5], v[138:139]
	v_mul_f64_e32 v[138:139], v[6:7], v[138:139]
	s_wait_loadcnt_dscnt 0x400
	v_mul_f64_e32 v[20:21], v[130:131], v[126:127]
	v_add_f64_e32 v[12:13], v[12:13], v[144:145]
	v_add_f64_e32 v[16:17], v[18:19], v[152:153]
	v_mul_f64_e32 v[18:19], v[128:129], v[126:127]
	v_fmac_f64_e32 v[140:141], v[6:7], v[136:137]
	v_fma_f64 v[22:23], v[4:5], v[136:137], -v[138:139]
	v_fma_f64 v[20:21], v[128:129], v[124:125], -v[20:21]
	v_add_f64_e32 v[126:127], v[12:13], v[14:15]
	v_add_f64_e32 v[16:17], v[16:17], v[142:143]
	ds_load_b128 v[4:7], v2 offset:1504
	ds_load_b128 v[12:15], v2 offset:1520
	v_fmac_f64_e32 v[18:19], v[130:131], v[124:125]
	s_wait_loadcnt_dscnt 0x301
	v_mul_f64_e32 v[136:137], v[4:5], v[150:151]
	v_mul_f64_e32 v[138:139], v[6:7], v[150:151]
	s_wait_loadcnt_dscnt 0x200
	v_mul_f64_e32 v[124:125], v[12:13], v[134:135]
	v_add_f64_e32 v[22:23], v[126:127], v[22:23]
	v_add_f64_e32 v[16:17], v[16:17], v[140:141]
	v_mul_f64_e32 v[126:127], v[14:15], v[134:135]
	v_fmac_f64_e32 v[136:137], v[6:7], v[148:149]
	v_fma_f64 v[128:129], v[4:5], v[148:149], -v[138:139]
	v_fmac_f64_e32 v[124:125], v[14:15], v[132:133]
	v_add_f64_e32 v[20:21], v[22:23], v[20:21]
	v_add_f64_e32 v[22:23], v[16:17], v[18:19]
	ds_load_b128 v[4:7], v2 offset:1536
	ds_load_b128 v[16:19], v2 offset:1552
	v_fma_f64 v[12:13], v[12:13], v[132:133], -v[126:127]
	s_wait_loadcnt_dscnt 0x101
	v_mul_f64_e32 v[2:3], v[4:5], v[166:167]
	v_mul_f64_e32 v[130:131], v[6:7], v[166:167]
	v_add_f64_e32 v[14:15], v[20:21], v[128:129]
	v_add_f64_e32 v[20:21], v[22:23], v[136:137]
	s_wait_loadcnt_dscnt 0x0
	v_mul_f64_e32 v[22:23], v[16:17], v[10:11]
	v_mul_f64_e32 v[10:11], v[18:19], v[10:11]
	v_fmac_f64_e32 v[2:3], v[6:7], v[164:165]
	v_fma_f64 v[4:5], v[4:5], v[164:165], -v[130:131]
	v_add_f64_e32 v[6:7], v[14:15], v[12:13]
	v_add_f64_e32 v[12:13], v[20:21], v[124:125]
	v_fmac_f64_e32 v[22:23], v[18:19], v[8:9]
	v_fma_f64 v[8:9], v[16:17], v[8:9], -v[10:11]
	s_delay_alu instid0(VALU_DEP_4) | instskip(NEXT) | instid1(VALU_DEP_4)
	v_add_f64_e32 v[4:5], v[6:7], v[4:5]
	v_add_f64_e32 v[2:3], v[12:13], v[2:3]
	s_delay_alu instid0(VALU_DEP_2) | instskip(NEXT) | instid1(VALU_DEP_2)
	v_add_f64_e32 v[4:5], v[4:5], v[8:9]
	v_add_f64_e32 v[6:7], v[2:3], v[22:23]
	s_delay_alu instid0(VALU_DEP_2) | instskip(NEXT) | instid1(VALU_DEP_2)
	v_add_f64_e64 v[2:3], v[156:157], -v[4:5]
	v_add_f64_e64 v[4:5], v[158:159], -v[6:7]
	scratch_store_b128 off, v[2:5], off offset:352
	s_wait_xcnt 0x0
	v_cmpx_lt_u32_e32 21, v1
	s_cbranch_execz .LBB48_265
; %bb.264:
	scratch_load_b128 v[2:5], off, s40
	v_mov_b32_e32 v6, 0
	s_delay_alu instid0(VALU_DEP_1)
	v_dual_mov_b32 v7, v6 :: v_dual_mov_b32 v8, v6
	v_mov_b32_e32 v9, v6
	scratch_store_b128 off, v[6:9], off offset:336
	s_wait_loadcnt 0x0
	ds_store_b128 v122, v[2:5]
.LBB48_265:
	s_wait_xcnt 0x0
	s_or_b32 exec_lo, exec_lo, s2
	s_wait_storecnt_dscnt 0x0
	s_barrier_signal -1
	s_barrier_wait -1
	s_clause 0x9
	scratch_load_b128 v[4:7], off, off offset:352
	scratch_load_b128 v[8:11], off, off offset:368
	;; [unrolled: 1-line block ×10, first 2 shown]
	v_mov_b32_e32 v2, 0
	s_mov_b32 s2, exec_lo
	ds_load_b128 v[144:147], v2 offset:1136
	s_clause 0x2
	scratch_load_b128 v[148:151], off, off offset:512
	scratch_load_b128 v[152:155], off, off offset:336
	;; [unrolled: 1-line block ×3, first 2 shown]
	s_wait_loadcnt_dscnt 0xc00
	v_mul_f64_e32 v[164:165], v[146:147], v[6:7]
	v_mul_f64_e32 v[168:169], v[144:145], v[6:7]
	ds_load_b128 v[156:159], v2 offset:1152
	v_fma_f64 v[172:173], v[144:145], v[4:5], -v[164:165]
	v_fmac_f64_e32 v[168:169], v[146:147], v[4:5]
	ds_load_b128 v[4:7], v2 offset:1168
	s_wait_loadcnt_dscnt 0xb01
	v_mul_f64_e32 v[170:171], v[156:157], v[10:11]
	v_mul_f64_e32 v[10:11], v[158:159], v[10:11]
	scratch_load_b128 v[144:147], off, off offset:544
	ds_load_b128 v[164:167], v2 offset:1184
	s_wait_loadcnt_dscnt 0xb01
	v_mul_f64_e32 v[174:175], v[4:5], v[14:15]
	v_mul_f64_e32 v[14:15], v[6:7], v[14:15]
	v_add_f64_e32 v[168:169], 0, v[168:169]
	v_fmac_f64_e32 v[170:171], v[158:159], v[8:9]
	v_fma_f64 v[156:157], v[156:157], v[8:9], -v[10:11]
	v_add_f64_e32 v[158:159], 0, v[172:173]
	scratch_load_b128 v[8:11], off, off offset:560
	v_fmac_f64_e32 v[174:175], v[6:7], v[12:13]
	v_fma_f64 v[176:177], v[4:5], v[12:13], -v[14:15]
	ds_load_b128 v[4:7], v2 offset:1200
	s_wait_loadcnt_dscnt 0xb01
	v_mul_f64_e32 v[172:173], v[164:165], v[18:19]
	v_mul_f64_e32 v[18:19], v[166:167], v[18:19]
	scratch_load_b128 v[12:15], off, off offset:576
	v_add_f64_e32 v[168:169], v[168:169], v[170:171]
	v_add_f64_e32 v[178:179], v[158:159], v[156:157]
	ds_load_b128 v[156:159], v2 offset:1216
	s_wait_loadcnt_dscnt 0xb01
	v_mul_f64_e32 v[170:171], v[4:5], v[22:23]
	v_mul_f64_e32 v[22:23], v[6:7], v[22:23]
	v_fmac_f64_e32 v[172:173], v[166:167], v[16:17]
	v_fma_f64 v[164:165], v[164:165], v[16:17], -v[18:19]
	scratch_load_b128 v[16:19], off, off offset:592
	v_add_f64_e32 v[168:169], v[168:169], v[174:175]
	v_add_f64_e32 v[166:167], v[178:179], v[176:177]
	v_fmac_f64_e32 v[170:171], v[6:7], v[20:21]
	v_fma_f64 v[176:177], v[4:5], v[20:21], -v[22:23]
	ds_load_b128 v[4:7], v2 offset:1232
	s_wait_loadcnt_dscnt 0xb01
	v_mul_f64_e32 v[174:175], v[156:157], v[126:127]
	v_mul_f64_e32 v[126:127], v[158:159], v[126:127]
	scratch_load_b128 v[20:23], off, off offset:608
	v_add_f64_e32 v[168:169], v[168:169], v[172:173]
	s_wait_loadcnt_dscnt 0xb00
	v_mul_f64_e32 v[172:173], v[4:5], v[130:131]
	v_add_f64_e32 v[178:179], v[166:167], v[164:165]
	v_mul_f64_e32 v[130:131], v[6:7], v[130:131]
	ds_load_b128 v[164:167], v2 offset:1248
	v_fmac_f64_e32 v[174:175], v[158:159], v[124:125]
	v_fma_f64 v[156:157], v[156:157], v[124:125], -v[126:127]
	scratch_load_b128 v[124:127], off, off offset:624
	v_add_f64_e32 v[168:169], v[168:169], v[170:171]
	v_fmac_f64_e32 v[172:173], v[6:7], v[128:129]
	v_add_f64_e32 v[158:159], v[178:179], v[176:177]
	v_fma_f64 v[176:177], v[4:5], v[128:129], -v[130:131]
	ds_load_b128 v[4:7], v2 offset:1264
	s_wait_loadcnt_dscnt 0xb01
	v_mul_f64_e32 v[170:171], v[164:165], v[134:135]
	v_mul_f64_e32 v[134:135], v[166:167], v[134:135]
	scratch_load_b128 v[128:131], off, off offset:640
	v_add_f64_e32 v[168:169], v[168:169], v[174:175]
	s_wait_loadcnt_dscnt 0xb00
	v_mul_f64_e32 v[174:175], v[4:5], v[138:139]
	v_add_f64_e32 v[178:179], v[158:159], v[156:157]
	v_mul_f64_e32 v[138:139], v[6:7], v[138:139]
	ds_load_b128 v[156:159], v2 offset:1280
	v_fmac_f64_e32 v[170:171], v[166:167], v[132:133]
	v_fma_f64 v[164:165], v[164:165], v[132:133], -v[134:135]
	scratch_load_b128 v[132:135], off, off offset:656
	v_add_f64_e32 v[168:169], v[168:169], v[172:173]
	v_fmac_f64_e32 v[174:175], v[6:7], v[136:137]
	v_add_f64_e32 v[166:167], v[178:179], v[176:177]
	;; [unrolled: 18-line block ×3, first 2 shown]
	v_fma_f64 v[176:177], v[4:5], v[148:149], -v[150:151]
	ds_load_b128 v[4:7], v2 offset:1328
	s_wait_loadcnt_dscnt 0xa01
	v_mul_f64_e32 v[174:175], v[164:165], v[162:163]
	v_mul_f64_e32 v[162:163], v[166:167], v[162:163]
	scratch_load_b128 v[148:151], off, off offset:704
	v_add_f64_e32 v[168:169], v[168:169], v[172:173]
	v_add_f64_e32 v[178:179], v[158:159], v[156:157]
	s_wait_loadcnt_dscnt 0xa00
	v_mul_f64_e32 v[172:173], v[4:5], v[146:147]
	v_mul_f64_e32 v[146:147], v[6:7], v[146:147]
	v_fmac_f64_e32 v[174:175], v[166:167], v[160:161]
	v_fma_f64 v[164:165], v[164:165], v[160:161], -v[162:163]
	ds_load_b128 v[156:159], v2 offset:1344
	scratch_load_b128 v[160:163], off, off offset:720
	v_add_f64_e32 v[168:169], v[168:169], v[170:171]
	v_add_f64_e32 v[166:167], v[178:179], v[176:177]
	v_fmac_f64_e32 v[172:173], v[6:7], v[144:145]
	v_fma_f64 v[176:177], v[4:5], v[144:145], -v[146:147]
	ds_load_b128 v[4:7], v2 offset:1360
	s_wait_loadcnt_dscnt 0xa01
	v_mul_f64_e32 v[170:171], v[156:157], v[10:11]
	v_mul_f64_e32 v[10:11], v[158:159], v[10:11]
	scratch_load_b128 v[144:147], off, off offset:736
	v_add_f64_e32 v[168:169], v[168:169], v[174:175]
	s_wait_loadcnt_dscnt 0xa00
	v_mul_f64_e32 v[174:175], v[4:5], v[14:15]
	v_add_f64_e32 v[178:179], v[166:167], v[164:165]
	v_mul_f64_e32 v[14:15], v[6:7], v[14:15]
	ds_load_b128 v[164:167], v2 offset:1376
	v_fmac_f64_e32 v[170:171], v[158:159], v[8:9]
	v_fma_f64 v[156:157], v[156:157], v[8:9], -v[10:11]
	scratch_load_b128 v[8:11], off, off offset:752
	v_add_f64_e32 v[168:169], v[168:169], v[172:173]
	v_fmac_f64_e32 v[174:175], v[6:7], v[12:13]
	v_add_f64_e32 v[158:159], v[178:179], v[176:177]
	v_fma_f64 v[176:177], v[4:5], v[12:13], -v[14:15]
	ds_load_b128 v[4:7], v2 offset:1392
	s_wait_loadcnt_dscnt 0xa01
	v_mul_f64_e32 v[172:173], v[164:165], v[18:19]
	v_mul_f64_e32 v[18:19], v[166:167], v[18:19]
	scratch_load_b128 v[12:15], off, off offset:768
	v_add_f64_e32 v[168:169], v[168:169], v[170:171]
	s_wait_loadcnt_dscnt 0xa00
	v_mul_f64_e32 v[170:171], v[4:5], v[22:23]
	v_add_f64_e32 v[178:179], v[158:159], v[156:157]
	v_mul_f64_e32 v[22:23], v[6:7], v[22:23]
	ds_load_b128 v[156:159], v2 offset:1408
	v_fmac_f64_e32 v[172:173], v[166:167], v[16:17]
	v_fma_f64 v[16:17], v[164:165], v[16:17], -v[18:19]
	s_wait_loadcnt_dscnt 0x900
	v_mul_f64_e32 v[166:167], v[156:157], v[126:127]
	v_mul_f64_e32 v[126:127], v[158:159], v[126:127]
	v_add_f64_e32 v[164:165], v[168:169], v[174:175]
	v_fmac_f64_e32 v[170:171], v[6:7], v[20:21]
	v_add_f64_e32 v[18:19], v[178:179], v[176:177]
	v_fma_f64 v[20:21], v[4:5], v[20:21], -v[22:23]
	v_fmac_f64_e32 v[166:167], v[158:159], v[124:125]
	v_fma_f64 v[124:125], v[156:157], v[124:125], -v[126:127]
	v_add_f64_e32 v[164:165], v[164:165], v[172:173]
	v_add_f64_e32 v[22:23], v[18:19], v[16:17]
	ds_load_b128 v[4:7], v2 offset:1424
	ds_load_b128 v[16:19], v2 offset:1440
	s_wait_loadcnt_dscnt 0x801
	v_mul_f64_e32 v[168:169], v[4:5], v[130:131]
	v_mul_f64_e32 v[130:131], v[6:7], v[130:131]
	s_wait_loadcnt_dscnt 0x700
	v_mul_f64_e32 v[126:127], v[16:17], v[134:135]
	v_mul_f64_e32 v[134:135], v[18:19], v[134:135]
	v_add_f64_e32 v[20:21], v[22:23], v[20:21]
	v_add_f64_e32 v[22:23], v[164:165], v[170:171]
	v_fmac_f64_e32 v[168:169], v[6:7], v[128:129]
	v_fma_f64 v[128:129], v[4:5], v[128:129], -v[130:131]
	v_fmac_f64_e32 v[126:127], v[18:19], v[132:133]
	v_fma_f64 v[16:17], v[16:17], v[132:133], -v[134:135]
	v_add_f64_e32 v[124:125], v[20:21], v[124:125]
	v_add_f64_e32 v[130:131], v[22:23], v[166:167]
	ds_load_b128 v[4:7], v2 offset:1456
	ds_load_b128 v[20:23], v2 offset:1472
	s_wait_loadcnt_dscnt 0x601
	v_mul_f64_e32 v[156:157], v[4:5], v[138:139]
	v_mul_f64_e32 v[138:139], v[6:7], v[138:139]
	v_add_f64_e32 v[18:19], v[124:125], v[128:129]
	v_add_f64_e32 v[124:125], v[130:131], v[168:169]
	s_wait_loadcnt_dscnt 0x500
	v_mul_f64_e32 v[128:129], v[20:21], v[142:143]
	v_mul_f64_e32 v[130:131], v[22:23], v[142:143]
	v_fmac_f64_e32 v[156:157], v[6:7], v[136:137]
	v_fma_f64 v[132:133], v[4:5], v[136:137], -v[138:139]
	v_add_f64_e32 v[134:135], v[18:19], v[16:17]
	v_add_f64_e32 v[124:125], v[124:125], v[126:127]
	ds_load_b128 v[4:7], v2 offset:1488
	ds_load_b128 v[16:19], v2 offset:1504
	v_fmac_f64_e32 v[128:129], v[22:23], v[140:141]
	v_fma_f64 v[20:21], v[20:21], v[140:141], -v[130:131]
	s_wait_loadcnt_dscnt 0x401
	v_mul_f64_e32 v[126:127], v[4:5], v[150:151]
	v_mul_f64_e32 v[136:137], v[6:7], v[150:151]
	s_wait_loadcnt_dscnt 0x300
	v_mul_f64_e32 v[130:131], v[16:17], v[162:163]
	v_add_f64_e32 v[22:23], v[134:135], v[132:133]
	v_add_f64_e32 v[124:125], v[124:125], v[156:157]
	v_mul_f64_e32 v[132:133], v[18:19], v[162:163]
	v_fmac_f64_e32 v[126:127], v[6:7], v[148:149]
	v_fma_f64 v[134:135], v[4:5], v[148:149], -v[136:137]
	v_fmac_f64_e32 v[130:131], v[18:19], v[160:161]
	v_add_f64_e32 v[136:137], v[22:23], v[20:21]
	v_add_f64_e32 v[124:125], v[124:125], v[128:129]
	ds_load_b128 v[4:7], v2 offset:1520
	ds_load_b128 v[20:23], v2 offset:1536
	v_fma_f64 v[16:17], v[16:17], v[160:161], -v[132:133]
	s_wait_loadcnt_dscnt 0x201
	v_mul_f64_e32 v[128:129], v[4:5], v[146:147]
	v_mul_f64_e32 v[138:139], v[6:7], v[146:147]
	v_add_f64_e32 v[18:19], v[136:137], v[134:135]
	v_add_f64_e32 v[124:125], v[124:125], v[126:127]
	s_wait_loadcnt_dscnt 0x100
	v_mul_f64_e32 v[126:127], v[20:21], v[10:11]
	v_mul_f64_e32 v[10:11], v[22:23], v[10:11]
	v_fmac_f64_e32 v[128:129], v[6:7], v[144:145]
	v_fma_f64 v[132:133], v[4:5], v[144:145], -v[138:139]
	ds_load_b128 v[4:7], v2 offset:1552
	v_add_f64_e32 v[16:17], v[18:19], v[16:17]
	v_add_f64_e32 v[18:19], v[124:125], v[130:131]
	v_fmac_f64_e32 v[126:127], v[22:23], v[8:9]
	v_fma_f64 v[8:9], v[20:21], v[8:9], -v[10:11]
	s_wait_loadcnt_dscnt 0x0
	v_mul_f64_e32 v[124:125], v[4:5], v[14:15]
	v_mul_f64_e32 v[14:15], v[6:7], v[14:15]
	v_add_f64_e32 v[10:11], v[16:17], v[132:133]
	v_add_f64_e32 v[16:17], v[18:19], v[128:129]
	s_delay_alu instid0(VALU_DEP_4) | instskip(NEXT) | instid1(VALU_DEP_4)
	v_fmac_f64_e32 v[124:125], v[6:7], v[12:13]
	v_fma_f64 v[4:5], v[4:5], v[12:13], -v[14:15]
	s_delay_alu instid0(VALU_DEP_4) | instskip(NEXT) | instid1(VALU_DEP_4)
	v_add_f64_e32 v[6:7], v[10:11], v[8:9]
	v_add_f64_e32 v[8:9], v[16:17], v[126:127]
	s_delay_alu instid0(VALU_DEP_2) | instskip(NEXT) | instid1(VALU_DEP_2)
	v_add_f64_e32 v[4:5], v[6:7], v[4:5]
	v_add_f64_e32 v[6:7], v[8:9], v[124:125]
	s_delay_alu instid0(VALU_DEP_2) | instskip(NEXT) | instid1(VALU_DEP_2)
	v_add_f64_e64 v[4:5], v[152:153], -v[4:5]
	v_add_f64_e64 v[6:7], v[154:155], -v[6:7]
	scratch_store_b128 off, v[4:7], off offset:336
	s_wait_xcnt 0x0
	v_cmpx_lt_u32_e32 20, v1
	s_cbranch_execz .LBB48_267
; %bb.266:
	scratch_load_b128 v[6:9], off, s49
	v_dual_mov_b32 v3, v2 :: v_dual_mov_b32 v4, v2
	v_mov_b32_e32 v5, v2
	scratch_store_b128 off, v[2:5], off offset:320
	s_wait_loadcnt 0x0
	ds_store_b128 v122, v[6:9]
.LBB48_267:
	s_wait_xcnt 0x0
	s_or_b32 exec_lo, exec_lo, s2
	s_wait_storecnt_dscnt 0x0
	s_barrier_signal -1
	s_barrier_wait -1
	s_clause 0x9
	scratch_load_b128 v[4:7], off, off offset:336
	scratch_load_b128 v[8:11], off, off offset:352
	;; [unrolled: 1-line block ×10, first 2 shown]
	ds_load_b128 v[144:147], v2 offset:1120
	ds_load_b128 v[152:155], v2 offset:1136
	s_clause 0x2
	scratch_load_b128 v[148:151], off, off offset:496
	scratch_load_b128 v[156:159], off, off offset:320
	;; [unrolled: 1-line block ×3, first 2 shown]
	s_mov_b32 s2, exec_lo
	s_wait_loadcnt_dscnt 0xc01
	v_mul_f64_e32 v[164:165], v[146:147], v[6:7]
	v_mul_f64_e32 v[168:169], v[144:145], v[6:7]
	s_wait_loadcnt_dscnt 0xb00
	v_mul_f64_e32 v[170:171], v[152:153], v[10:11]
	v_mul_f64_e32 v[10:11], v[154:155], v[10:11]
	s_delay_alu instid0(VALU_DEP_4) | instskip(NEXT) | instid1(VALU_DEP_4)
	v_fma_f64 v[172:173], v[144:145], v[4:5], -v[164:165]
	v_fmac_f64_e32 v[168:169], v[146:147], v[4:5]
	ds_load_b128 v[4:7], v2 offset:1152
	ds_load_b128 v[144:147], v2 offset:1168
	scratch_load_b128 v[164:167], off, off offset:528
	v_fmac_f64_e32 v[170:171], v[154:155], v[8:9]
	v_fma_f64 v[152:153], v[152:153], v[8:9], -v[10:11]
	scratch_load_b128 v[8:11], off, off offset:544
	s_wait_loadcnt_dscnt 0xc01
	v_mul_f64_e32 v[174:175], v[4:5], v[14:15]
	v_mul_f64_e32 v[14:15], v[6:7], v[14:15]
	v_add_f64_e32 v[154:155], 0, v[172:173]
	v_add_f64_e32 v[168:169], 0, v[168:169]
	s_wait_loadcnt_dscnt 0xb00
	v_mul_f64_e32 v[172:173], v[144:145], v[18:19]
	v_mul_f64_e32 v[18:19], v[146:147], v[18:19]
	v_fmac_f64_e32 v[174:175], v[6:7], v[12:13]
	v_fma_f64 v[176:177], v[4:5], v[12:13], -v[14:15]
	ds_load_b128 v[4:7], v2 offset:1184
	ds_load_b128 v[12:15], v2 offset:1200
	v_add_f64_e32 v[178:179], v[154:155], v[152:153]
	v_add_f64_e32 v[168:169], v[168:169], v[170:171]
	scratch_load_b128 v[152:155], off, off offset:560
	v_fmac_f64_e32 v[172:173], v[146:147], v[16:17]
	v_fma_f64 v[144:145], v[144:145], v[16:17], -v[18:19]
	scratch_load_b128 v[16:19], off, off offset:576
	s_wait_loadcnt_dscnt 0xc01
	v_mul_f64_e32 v[170:171], v[4:5], v[22:23]
	v_mul_f64_e32 v[22:23], v[6:7], v[22:23]
	v_add_f64_e32 v[146:147], v[178:179], v[176:177]
	v_add_f64_e32 v[168:169], v[168:169], v[174:175]
	s_wait_loadcnt_dscnt 0xb00
	v_mul_f64_e32 v[174:175], v[12:13], v[126:127]
	v_mul_f64_e32 v[126:127], v[14:15], v[126:127]
	v_fmac_f64_e32 v[170:171], v[6:7], v[20:21]
	v_fma_f64 v[176:177], v[4:5], v[20:21], -v[22:23]
	ds_load_b128 v[4:7], v2 offset:1216
	ds_load_b128 v[20:23], v2 offset:1232
	v_add_f64_e32 v[178:179], v[146:147], v[144:145]
	v_add_f64_e32 v[168:169], v[168:169], v[172:173]
	scratch_load_b128 v[144:147], off, off offset:592
	s_wait_loadcnt_dscnt 0xb01
	v_mul_f64_e32 v[172:173], v[4:5], v[130:131]
	v_mul_f64_e32 v[130:131], v[6:7], v[130:131]
	v_fmac_f64_e32 v[174:175], v[14:15], v[124:125]
	v_fma_f64 v[124:125], v[12:13], v[124:125], -v[126:127]
	scratch_load_b128 v[12:15], off, off offset:608
	v_add_f64_e32 v[126:127], v[178:179], v[176:177]
	v_add_f64_e32 v[168:169], v[168:169], v[170:171]
	s_wait_loadcnt_dscnt 0xb00
	v_mul_f64_e32 v[170:171], v[20:21], v[134:135]
	v_mul_f64_e32 v[134:135], v[22:23], v[134:135]
	v_fmac_f64_e32 v[172:173], v[6:7], v[128:129]
	v_fma_f64 v[176:177], v[4:5], v[128:129], -v[130:131]
	v_add_f64_e32 v[178:179], v[126:127], v[124:125]
	v_add_f64_e32 v[168:169], v[168:169], v[174:175]
	ds_load_b128 v[4:7], v2 offset:1248
	ds_load_b128 v[124:127], v2 offset:1264
	scratch_load_b128 v[128:131], off, off offset:624
	v_fmac_f64_e32 v[170:171], v[22:23], v[132:133]
	v_fma_f64 v[132:133], v[20:21], v[132:133], -v[134:135]
	scratch_load_b128 v[20:23], off, off offset:640
	s_wait_loadcnt_dscnt 0xc01
	v_mul_f64_e32 v[174:175], v[4:5], v[138:139]
	v_mul_f64_e32 v[138:139], v[6:7], v[138:139]
	v_add_f64_e32 v[134:135], v[178:179], v[176:177]
	v_add_f64_e32 v[168:169], v[168:169], v[172:173]
	s_wait_loadcnt_dscnt 0xb00
	v_mul_f64_e32 v[172:173], v[124:125], v[142:143]
	v_mul_f64_e32 v[142:143], v[126:127], v[142:143]
	v_fmac_f64_e32 v[174:175], v[6:7], v[136:137]
	v_fma_f64 v[176:177], v[4:5], v[136:137], -v[138:139]
	v_add_f64_e32 v[178:179], v[134:135], v[132:133]
	v_add_f64_e32 v[168:169], v[168:169], v[170:171]
	ds_load_b128 v[4:7], v2 offset:1280
	ds_load_b128 v[132:135], v2 offset:1296
	scratch_load_b128 v[136:139], off, off offset:656
	v_fmac_f64_e32 v[172:173], v[126:127], v[140:141]
	v_fma_f64 v[140:141], v[124:125], v[140:141], -v[142:143]
	scratch_load_b128 v[124:127], off, off offset:672
	s_wait_loadcnt_dscnt 0xc01
	v_mul_f64_e32 v[170:171], v[4:5], v[150:151]
	v_mul_f64_e32 v[150:151], v[6:7], v[150:151]
	v_add_f64_e32 v[142:143], v[178:179], v[176:177]
	v_add_f64_e32 v[168:169], v[168:169], v[174:175]
	s_wait_loadcnt_dscnt 0xa00
	v_mul_f64_e32 v[174:175], v[132:133], v[162:163]
	v_mul_f64_e32 v[162:163], v[134:135], v[162:163]
	v_fmac_f64_e32 v[170:171], v[6:7], v[148:149]
	v_fma_f64 v[176:177], v[4:5], v[148:149], -v[150:151]
	v_add_f64_e32 v[178:179], v[142:143], v[140:141]
	v_add_f64_e32 v[168:169], v[168:169], v[172:173]
	ds_load_b128 v[4:7], v2 offset:1312
	ds_load_b128 v[140:143], v2 offset:1328
	scratch_load_b128 v[148:151], off, off offset:688
	v_fmac_f64_e32 v[174:175], v[134:135], v[160:161]
	v_fma_f64 v[160:161], v[132:133], v[160:161], -v[162:163]
	scratch_load_b128 v[132:135], off, off offset:704
	s_wait_loadcnt_dscnt 0xb01
	v_mul_f64_e32 v[172:173], v[4:5], v[166:167]
	v_mul_f64_e32 v[166:167], v[6:7], v[166:167]
	v_add_f64_e32 v[162:163], v[178:179], v[176:177]
	v_add_f64_e32 v[168:169], v[168:169], v[170:171]
	s_wait_loadcnt_dscnt 0xa00
	v_mul_f64_e32 v[170:171], v[140:141], v[10:11]
	v_mul_f64_e32 v[10:11], v[142:143], v[10:11]
	v_fmac_f64_e32 v[172:173], v[6:7], v[164:165]
	v_fma_f64 v[176:177], v[4:5], v[164:165], -v[166:167]
	v_add_f64_e32 v[178:179], v[162:163], v[160:161]
	v_add_f64_e32 v[168:169], v[168:169], v[174:175]
	ds_load_b128 v[4:7], v2 offset:1344
	ds_load_b128 v[160:163], v2 offset:1360
	scratch_load_b128 v[164:167], off, off offset:720
	v_fmac_f64_e32 v[170:171], v[142:143], v[8:9]
	v_fma_f64 v[140:141], v[140:141], v[8:9], -v[10:11]
	scratch_load_b128 v[8:11], off, off offset:736
	s_wait_loadcnt_dscnt 0xb01
	v_mul_f64_e32 v[174:175], v[4:5], v[154:155]
	v_mul_f64_e32 v[154:155], v[6:7], v[154:155]
	v_add_f64_e32 v[142:143], v[178:179], v[176:177]
	v_add_f64_e32 v[168:169], v[168:169], v[172:173]
	s_wait_loadcnt_dscnt 0xa00
	v_mul_f64_e32 v[172:173], v[160:161], v[18:19]
	v_mul_f64_e32 v[18:19], v[162:163], v[18:19]
	v_fmac_f64_e32 v[174:175], v[6:7], v[152:153]
	v_fma_f64 v[176:177], v[4:5], v[152:153], -v[154:155]
	v_add_f64_e32 v[178:179], v[142:143], v[140:141]
	v_add_f64_e32 v[168:169], v[168:169], v[170:171]
	ds_load_b128 v[4:7], v2 offset:1376
	ds_load_b128 v[140:143], v2 offset:1392
	scratch_load_b128 v[152:155], off, off offset:752
	v_fmac_f64_e32 v[172:173], v[162:163], v[16:17]
	v_fma_f64 v[160:161], v[160:161], v[16:17], -v[18:19]
	scratch_load_b128 v[16:19], off, off offset:768
	s_wait_loadcnt_dscnt 0xb01
	v_mul_f64_e32 v[170:171], v[4:5], v[146:147]
	v_mul_f64_e32 v[146:147], v[6:7], v[146:147]
	v_add_f64_e32 v[162:163], v[178:179], v[176:177]
	v_add_f64_e32 v[168:169], v[168:169], v[174:175]
	s_wait_loadcnt_dscnt 0xa00
	v_mul_f64_e32 v[174:175], v[140:141], v[14:15]
	v_mul_f64_e32 v[14:15], v[142:143], v[14:15]
	v_fmac_f64_e32 v[170:171], v[6:7], v[144:145]
	v_fma_f64 v[176:177], v[4:5], v[144:145], -v[146:147]
	ds_load_b128 v[4:7], v2 offset:1408
	ds_load_b128 v[144:147], v2 offset:1424
	v_add_f64_e32 v[160:161], v[162:163], v[160:161]
	v_add_f64_e32 v[162:163], v[168:169], v[172:173]
	v_fmac_f64_e32 v[174:175], v[142:143], v[12:13]
	v_fma_f64 v[12:13], v[140:141], v[12:13], -v[14:15]
	s_wait_loadcnt_dscnt 0x901
	v_mul_f64_e32 v[168:169], v[4:5], v[130:131]
	v_mul_f64_e32 v[130:131], v[6:7], v[130:131]
	s_wait_loadcnt_dscnt 0x800
	v_mul_f64_e32 v[142:143], v[144:145], v[22:23]
	v_mul_f64_e32 v[22:23], v[146:147], v[22:23]
	v_add_f64_e32 v[14:15], v[160:161], v[176:177]
	v_add_f64_e32 v[140:141], v[162:163], v[170:171]
	v_fmac_f64_e32 v[168:169], v[6:7], v[128:129]
	v_fma_f64 v[128:129], v[4:5], v[128:129], -v[130:131]
	v_fmac_f64_e32 v[142:143], v[146:147], v[20:21]
	v_fma_f64 v[20:21], v[144:145], v[20:21], -v[22:23]
	v_add_f64_e32 v[130:131], v[14:15], v[12:13]
	v_add_f64_e32 v[140:141], v[140:141], v[174:175]
	ds_load_b128 v[4:7], v2 offset:1440
	ds_load_b128 v[12:15], v2 offset:1456
	s_wait_loadcnt_dscnt 0x701
	v_mul_f64_e32 v[160:161], v[4:5], v[138:139]
	v_mul_f64_e32 v[138:139], v[6:7], v[138:139]
	v_add_f64_e32 v[22:23], v[130:131], v[128:129]
	v_add_f64_e32 v[128:129], v[140:141], v[168:169]
	s_wait_loadcnt_dscnt 0x600
	v_mul_f64_e32 v[130:131], v[12:13], v[126:127]
	v_mul_f64_e32 v[126:127], v[14:15], v[126:127]
	v_fmac_f64_e32 v[160:161], v[6:7], v[136:137]
	v_fma_f64 v[136:137], v[4:5], v[136:137], -v[138:139]
	v_add_f64_e32 v[138:139], v[22:23], v[20:21]
	v_add_f64_e32 v[128:129], v[128:129], v[142:143]
	ds_load_b128 v[4:7], v2 offset:1472
	ds_load_b128 v[20:23], v2 offset:1488
	v_fmac_f64_e32 v[130:131], v[14:15], v[124:125]
	v_fma_f64 v[12:13], v[12:13], v[124:125], -v[126:127]
	s_wait_loadcnt_dscnt 0x501
	v_mul_f64_e32 v[140:141], v[4:5], v[150:151]
	v_mul_f64_e32 v[142:143], v[6:7], v[150:151]
	s_wait_loadcnt_dscnt 0x400
	v_mul_f64_e32 v[126:127], v[20:21], v[134:135]
	v_add_f64_e32 v[14:15], v[138:139], v[136:137]
	v_add_f64_e32 v[124:125], v[128:129], v[160:161]
	v_mul_f64_e32 v[128:129], v[22:23], v[134:135]
	v_fmac_f64_e32 v[140:141], v[6:7], v[148:149]
	v_fma_f64 v[134:135], v[4:5], v[148:149], -v[142:143]
	v_fmac_f64_e32 v[126:127], v[22:23], v[132:133]
	v_add_f64_e32 v[136:137], v[14:15], v[12:13]
	v_add_f64_e32 v[124:125], v[124:125], v[130:131]
	ds_load_b128 v[4:7], v2 offset:1504
	ds_load_b128 v[12:15], v2 offset:1520
	v_fma_f64 v[20:21], v[20:21], v[132:133], -v[128:129]
	s_wait_loadcnt_dscnt 0x301
	v_mul_f64_e32 v[130:131], v[4:5], v[166:167]
	v_mul_f64_e32 v[138:139], v[6:7], v[166:167]
	s_wait_loadcnt_dscnt 0x200
	v_mul_f64_e32 v[128:129], v[12:13], v[10:11]
	v_mul_f64_e32 v[10:11], v[14:15], v[10:11]
	v_add_f64_e32 v[22:23], v[136:137], v[134:135]
	v_add_f64_e32 v[124:125], v[124:125], v[140:141]
	v_fmac_f64_e32 v[130:131], v[6:7], v[164:165]
	v_fma_f64 v[132:133], v[4:5], v[164:165], -v[138:139]
	v_fmac_f64_e32 v[128:129], v[14:15], v[8:9]
	v_fma_f64 v[8:9], v[12:13], v[8:9], -v[10:11]
	v_add_f64_e32 v[134:135], v[22:23], v[20:21]
	v_add_f64_e32 v[124:125], v[124:125], v[126:127]
	ds_load_b128 v[4:7], v2 offset:1536
	ds_load_b128 v[20:23], v2 offset:1552
	s_wait_loadcnt_dscnt 0x101
	v_mul_f64_e32 v[2:3], v[4:5], v[154:155]
	v_mul_f64_e32 v[126:127], v[6:7], v[154:155]
	s_wait_loadcnt_dscnt 0x0
	v_mul_f64_e32 v[14:15], v[20:21], v[18:19]
	v_mul_f64_e32 v[18:19], v[22:23], v[18:19]
	v_add_f64_e32 v[10:11], v[134:135], v[132:133]
	v_add_f64_e32 v[12:13], v[124:125], v[130:131]
	v_fmac_f64_e32 v[2:3], v[6:7], v[152:153]
	v_fma_f64 v[4:5], v[4:5], v[152:153], -v[126:127]
	v_fmac_f64_e32 v[14:15], v[22:23], v[16:17]
	v_add_f64_e32 v[6:7], v[10:11], v[8:9]
	v_add_f64_e32 v[8:9], v[12:13], v[128:129]
	v_fma_f64 v[10:11], v[20:21], v[16:17], -v[18:19]
	s_delay_alu instid0(VALU_DEP_3) | instskip(NEXT) | instid1(VALU_DEP_3)
	v_add_f64_e32 v[4:5], v[6:7], v[4:5]
	v_add_f64_e32 v[2:3], v[8:9], v[2:3]
	s_delay_alu instid0(VALU_DEP_2) | instskip(NEXT) | instid1(VALU_DEP_2)
	v_add_f64_e32 v[4:5], v[4:5], v[10:11]
	v_add_f64_e32 v[6:7], v[2:3], v[14:15]
	s_delay_alu instid0(VALU_DEP_2) | instskip(NEXT) | instid1(VALU_DEP_2)
	v_add_f64_e64 v[2:3], v[156:157], -v[4:5]
	v_add_f64_e64 v[4:5], v[158:159], -v[6:7]
	scratch_store_b128 off, v[2:5], off offset:320
	s_wait_xcnt 0x0
	v_cmpx_lt_u32_e32 19, v1
	s_cbranch_execz .LBB48_269
; %bb.268:
	scratch_load_b128 v[2:5], off, s48
	v_mov_b32_e32 v6, 0
	s_delay_alu instid0(VALU_DEP_1)
	v_dual_mov_b32 v7, v6 :: v_dual_mov_b32 v8, v6
	v_mov_b32_e32 v9, v6
	scratch_store_b128 off, v[6:9], off offset:304
	s_wait_loadcnt 0x0
	ds_store_b128 v122, v[2:5]
.LBB48_269:
	s_wait_xcnt 0x0
	s_or_b32 exec_lo, exec_lo, s2
	s_wait_storecnt_dscnt 0x0
	s_barrier_signal -1
	s_barrier_wait -1
	s_clause 0x9
	scratch_load_b128 v[4:7], off, off offset:320
	scratch_load_b128 v[8:11], off, off offset:336
	;; [unrolled: 1-line block ×10, first 2 shown]
	v_mov_b32_e32 v2, 0
	s_mov_b32 s2, exec_lo
	ds_load_b128 v[144:147], v2 offset:1104
	s_clause 0x2
	scratch_load_b128 v[148:151], off, off offset:480
	scratch_load_b128 v[152:155], off, off offset:304
	;; [unrolled: 1-line block ×3, first 2 shown]
	s_wait_loadcnt_dscnt 0xc00
	v_mul_f64_e32 v[164:165], v[146:147], v[6:7]
	v_mul_f64_e32 v[168:169], v[144:145], v[6:7]
	ds_load_b128 v[156:159], v2 offset:1120
	v_fma_f64 v[172:173], v[144:145], v[4:5], -v[164:165]
	v_fmac_f64_e32 v[168:169], v[146:147], v[4:5]
	ds_load_b128 v[4:7], v2 offset:1136
	s_wait_loadcnt_dscnt 0xb01
	v_mul_f64_e32 v[170:171], v[156:157], v[10:11]
	v_mul_f64_e32 v[10:11], v[158:159], v[10:11]
	scratch_load_b128 v[144:147], off, off offset:512
	ds_load_b128 v[164:167], v2 offset:1152
	s_wait_loadcnt_dscnt 0xb01
	v_mul_f64_e32 v[174:175], v[4:5], v[14:15]
	v_mul_f64_e32 v[14:15], v[6:7], v[14:15]
	v_add_f64_e32 v[168:169], 0, v[168:169]
	v_fmac_f64_e32 v[170:171], v[158:159], v[8:9]
	v_fma_f64 v[156:157], v[156:157], v[8:9], -v[10:11]
	v_add_f64_e32 v[158:159], 0, v[172:173]
	scratch_load_b128 v[8:11], off, off offset:528
	v_fmac_f64_e32 v[174:175], v[6:7], v[12:13]
	v_fma_f64 v[176:177], v[4:5], v[12:13], -v[14:15]
	ds_load_b128 v[4:7], v2 offset:1168
	s_wait_loadcnt_dscnt 0xb01
	v_mul_f64_e32 v[172:173], v[164:165], v[18:19]
	v_mul_f64_e32 v[18:19], v[166:167], v[18:19]
	scratch_load_b128 v[12:15], off, off offset:544
	v_add_f64_e32 v[168:169], v[168:169], v[170:171]
	v_add_f64_e32 v[178:179], v[158:159], v[156:157]
	ds_load_b128 v[156:159], v2 offset:1184
	s_wait_loadcnt_dscnt 0xb01
	v_mul_f64_e32 v[170:171], v[4:5], v[22:23]
	v_mul_f64_e32 v[22:23], v[6:7], v[22:23]
	v_fmac_f64_e32 v[172:173], v[166:167], v[16:17]
	v_fma_f64 v[164:165], v[164:165], v[16:17], -v[18:19]
	scratch_load_b128 v[16:19], off, off offset:560
	v_add_f64_e32 v[168:169], v[168:169], v[174:175]
	v_add_f64_e32 v[166:167], v[178:179], v[176:177]
	v_fmac_f64_e32 v[170:171], v[6:7], v[20:21]
	v_fma_f64 v[176:177], v[4:5], v[20:21], -v[22:23]
	ds_load_b128 v[4:7], v2 offset:1200
	s_wait_loadcnt_dscnt 0xb01
	v_mul_f64_e32 v[174:175], v[156:157], v[126:127]
	v_mul_f64_e32 v[126:127], v[158:159], v[126:127]
	scratch_load_b128 v[20:23], off, off offset:576
	v_add_f64_e32 v[168:169], v[168:169], v[172:173]
	s_wait_loadcnt_dscnt 0xb00
	v_mul_f64_e32 v[172:173], v[4:5], v[130:131]
	v_add_f64_e32 v[178:179], v[166:167], v[164:165]
	v_mul_f64_e32 v[130:131], v[6:7], v[130:131]
	ds_load_b128 v[164:167], v2 offset:1216
	v_fmac_f64_e32 v[174:175], v[158:159], v[124:125]
	v_fma_f64 v[156:157], v[156:157], v[124:125], -v[126:127]
	scratch_load_b128 v[124:127], off, off offset:592
	v_add_f64_e32 v[168:169], v[168:169], v[170:171]
	v_fmac_f64_e32 v[172:173], v[6:7], v[128:129]
	v_add_f64_e32 v[158:159], v[178:179], v[176:177]
	v_fma_f64 v[176:177], v[4:5], v[128:129], -v[130:131]
	ds_load_b128 v[4:7], v2 offset:1232
	s_wait_loadcnt_dscnt 0xb01
	v_mul_f64_e32 v[170:171], v[164:165], v[134:135]
	v_mul_f64_e32 v[134:135], v[166:167], v[134:135]
	scratch_load_b128 v[128:131], off, off offset:608
	v_add_f64_e32 v[168:169], v[168:169], v[174:175]
	s_wait_loadcnt_dscnt 0xb00
	v_mul_f64_e32 v[174:175], v[4:5], v[138:139]
	v_add_f64_e32 v[178:179], v[158:159], v[156:157]
	v_mul_f64_e32 v[138:139], v[6:7], v[138:139]
	ds_load_b128 v[156:159], v2 offset:1248
	v_fmac_f64_e32 v[170:171], v[166:167], v[132:133]
	v_fma_f64 v[164:165], v[164:165], v[132:133], -v[134:135]
	scratch_load_b128 v[132:135], off, off offset:624
	v_add_f64_e32 v[168:169], v[168:169], v[172:173]
	v_fmac_f64_e32 v[174:175], v[6:7], v[136:137]
	v_add_f64_e32 v[166:167], v[178:179], v[176:177]
	;; [unrolled: 18-line block ×3, first 2 shown]
	v_fma_f64 v[176:177], v[4:5], v[148:149], -v[150:151]
	ds_load_b128 v[4:7], v2 offset:1296
	s_wait_loadcnt_dscnt 0xa01
	v_mul_f64_e32 v[174:175], v[164:165], v[162:163]
	v_mul_f64_e32 v[162:163], v[166:167], v[162:163]
	scratch_load_b128 v[148:151], off, off offset:672
	v_add_f64_e32 v[168:169], v[168:169], v[172:173]
	v_add_f64_e32 v[178:179], v[158:159], v[156:157]
	s_wait_loadcnt_dscnt 0xa00
	v_mul_f64_e32 v[172:173], v[4:5], v[146:147]
	v_mul_f64_e32 v[146:147], v[6:7], v[146:147]
	v_fmac_f64_e32 v[174:175], v[166:167], v[160:161]
	v_fma_f64 v[164:165], v[164:165], v[160:161], -v[162:163]
	ds_load_b128 v[156:159], v2 offset:1312
	scratch_load_b128 v[160:163], off, off offset:688
	v_add_f64_e32 v[168:169], v[168:169], v[170:171]
	v_add_f64_e32 v[166:167], v[178:179], v[176:177]
	v_fmac_f64_e32 v[172:173], v[6:7], v[144:145]
	v_fma_f64 v[176:177], v[4:5], v[144:145], -v[146:147]
	ds_load_b128 v[4:7], v2 offset:1328
	s_wait_loadcnt_dscnt 0xa01
	v_mul_f64_e32 v[170:171], v[156:157], v[10:11]
	v_mul_f64_e32 v[10:11], v[158:159], v[10:11]
	scratch_load_b128 v[144:147], off, off offset:704
	v_add_f64_e32 v[168:169], v[168:169], v[174:175]
	s_wait_loadcnt_dscnt 0xa00
	v_mul_f64_e32 v[174:175], v[4:5], v[14:15]
	v_add_f64_e32 v[178:179], v[166:167], v[164:165]
	v_mul_f64_e32 v[14:15], v[6:7], v[14:15]
	ds_load_b128 v[164:167], v2 offset:1344
	v_fmac_f64_e32 v[170:171], v[158:159], v[8:9]
	v_fma_f64 v[156:157], v[156:157], v[8:9], -v[10:11]
	scratch_load_b128 v[8:11], off, off offset:720
	v_add_f64_e32 v[168:169], v[168:169], v[172:173]
	v_fmac_f64_e32 v[174:175], v[6:7], v[12:13]
	v_add_f64_e32 v[158:159], v[178:179], v[176:177]
	v_fma_f64 v[176:177], v[4:5], v[12:13], -v[14:15]
	ds_load_b128 v[4:7], v2 offset:1360
	s_wait_loadcnt_dscnt 0xa01
	v_mul_f64_e32 v[172:173], v[164:165], v[18:19]
	v_mul_f64_e32 v[18:19], v[166:167], v[18:19]
	scratch_load_b128 v[12:15], off, off offset:736
	v_add_f64_e32 v[168:169], v[168:169], v[170:171]
	s_wait_loadcnt_dscnt 0xa00
	v_mul_f64_e32 v[170:171], v[4:5], v[22:23]
	v_add_f64_e32 v[178:179], v[158:159], v[156:157]
	v_mul_f64_e32 v[22:23], v[6:7], v[22:23]
	ds_load_b128 v[156:159], v2 offset:1376
	v_fmac_f64_e32 v[172:173], v[166:167], v[16:17]
	v_fma_f64 v[164:165], v[164:165], v[16:17], -v[18:19]
	scratch_load_b128 v[16:19], off, off offset:752
	v_add_f64_e32 v[168:169], v[168:169], v[174:175]
	v_fmac_f64_e32 v[170:171], v[6:7], v[20:21]
	v_add_f64_e32 v[166:167], v[178:179], v[176:177]
	v_fma_f64 v[176:177], v[4:5], v[20:21], -v[22:23]
	ds_load_b128 v[4:7], v2 offset:1392
	s_wait_loadcnt_dscnt 0xa01
	v_mul_f64_e32 v[174:175], v[156:157], v[126:127]
	v_mul_f64_e32 v[126:127], v[158:159], v[126:127]
	scratch_load_b128 v[20:23], off, off offset:768
	v_add_f64_e32 v[168:169], v[168:169], v[172:173]
	s_wait_loadcnt_dscnt 0xa00
	v_mul_f64_e32 v[172:173], v[4:5], v[130:131]
	v_add_f64_e32 v[178:179], v[166:167], v[164:165]
	v_mul_f64_e32 v[130:131], v[6:7], v[130:131]
	ds_load_b128 v[164:167], v2 offset:1408
	v_fmac_f64_e32 v[174:175], v[158:159], v[124:125]
	v_fma_f64 v[124:125], v[156:157], v[124:125], -v[126:127]
	s_wait_loadcnt_dscnt 0x900
	v_mul_f64_e32 v[158:159], v[164:165], v[134:135]
	v_mul_f64_e32 v[134:135], v[166:167], v[134:135]
	v_add_f64_e32 v[156:157], v[168:169], v[170:171]
	v_fmac_f64_e32 v[172:173], v[6:7], v[128:129]
	v_add_f64_e32 v[126:127], v[178:179], v[176:177]
	v_fma_f64 v[128:129], v[4:5], v[128:129], -v[130:131]
	v_fmac_f64_e32 v[158:159], v[166:167], v[132:133]
	v_fma_f64 v[132:133], v[164:165], v[132:133], -v[134:135]
	v_add_f64_e32 v[156:157], v[156:157], v[174:175]
	v_add_f64_e32 v[130:131], v[126:127], v[124:125]
	ds_load_b128 v[4:7], v2 offset:1424
	ds_load_b128 v[124:127], v2 offset:1440
	s_wait_loadcnt_dscnt 0x801
	v_mul_f64_e32 v[168:169], v[4:5], v[138:139]
	v_mul_f64_e32 v[138:139], v[6:7], v[138:139]
	s_wait_loadcnt_dscnt 0x700
	v_mul_f64_e32 v[134:135], v[124:125], v[142:143]
	v_mul_f64_e32 v[142:143], v[126:127], v[142:143]
	v_add_f64_e32 v[128:129], v[130:131], v[128:129]
	v_add_f64_e32 v[130:131], v[156:157], v[172:173]
	v_fmac_f64_e32 v[168:169], v[6:7], v[136:137]
	v_fma_f64 v[136:137], v[4:5], v[136:137], -v[138:139]
	v_fmac_f64_e32 v[134:135], v[126:127], v[140:141]
	v_fma_f64 v[124:125], v[124:125], v[140:141], -v[142:143]
	v_add_f64_e32 v[132:133], v[128:129], v[132:133]
	v_add_f64_e32 v[138:139], v[130:131], v[158:159]
	ds_load_b128 v[4:7], v2 offset:1456
	ds_load_b128 v[128:131], v2 offset:1472
	s_wait_loadcnt_dscnt 0x601
	v_mul_f64_e32 v[156:157], v[4:5], v[150:151]
	v_mul_f64_e32 v[150:151], v[6:7], v[150:151]
	v_add_f64_e32 v[126:127], v[132:133], v[136:137]
	v_add_f64_e32 v[132:133], v[138:139], v[168:169]
	s_wait_loadcnt_dscnt 0x500
	v_mul_f64_e32 v[136:137], v[128:129], v[162:163]
	v_mul_f64_e32 v[138:139], v[130:131], v[162:163]
	v_fmac_f64_e32 v[156:157], v[6:7], v[148:149]
	v_fma_f64 v[140:141], v[4:5], v[148:149], -v[150:151]
	v_add_f64_e32 v[142:143], v[126:127], v[124:125]
	v_add_f64_e32 v[132:133], v[132:133], v[134:135]
	ds_load_b128 v[4:7], v2 offset:1488
	ds_load_b128 v[124:127], v2 offset:1504
	v_fmac_f64_e32 v[136:137], v[130:131], v[160:161]
	v_fma_f64 v[128:129], v[128:129], v[160:161], -v[138:139]
	s_wait_loadcnt_dscnt 0x401
	v_mul_f64_e32 v[134:135], v[4:5], v[146:147]
	v_mul_f64_e32 v[146:147], v[6:7], v[146:147]
	s_wait_loadcnt_dscnt 0x300
	v_mul_f64_e32 v[138:139], v[124:125], v[10:11]
	v_mul_f64_e32 v[10:11], v[126:127], v[10:11]
	v_add_f64_e32 v[130:131], v[142:143], v[140:141]
	v_add_f64_e32 v[132:133], v[132:133], v[156:157]
	v_fmac_f64_e32 v[134:135], v[6:7], v[144:145]
	v_fma_f64 v[140:141], v[4:5], v[144:145], -v[146:147]
	v_fmac_f64_e32 v[138:139], v[126:127], v[8:9]
	v_fma_f64 v[8:9], v[124:125], v[8:9], -v[10:11]
	v_add_f64_e32 v[142:143], v[130:131], v[128:129]
	v_add_f64_e32 v[132:133], v[132:133], v[136:137]
	ds_load_b128 v[4:7], v2 offset:1520
	ds_load_b128 v[128:131], v2 offset:1536
	s_wait_loadcnt_dscnt 0x201
	v_mul_f64_e32 v[136:137], v[4:5], v[14:15]
	v_mul_f64_e32 v[14:15], v[6:7], v[14:15]
	s_wait_loadcnt_dscnt 0x100
	v_mul_f64_e32 v[126:127], v[128:129], v[18:19]
	v_mul_f64_e32 v[18:19], v[130:131], v[18:19]
	v_add_f64_e32 v[10:11], v[142:143], v[140:141]
	v_add_f64_e32 v[124:125], v[132:133], v[134:135]
	v_fmac_f64_e32 v[136:137], v[6:7], v[12:13]
	v_fma_f64 v[12:13], v[4:5], v[12:13], -v[14:15]
	ds_load_b128 v[4:7], v2 offset:1552
	v_fmac_f64_e32 v[126:127], v[130:131], v[16:17]
	v_fma_f64 v[16:17], v[128:129], v[16:17], -v[18:19]
	v_add_f64_e32 v[8:9], v[10:11], v[8:9]
	v_add_f64_e32 v[10:11], v[124:125], v[138:139]
	s_wait_loadcnt_dscnt 0x0
	v_mul_f64_e32 v[14:15], v[4:5], v[22:23]
	v_mul_f64_e32 v[22:23], v[6:7], v[22:23]
	s_delay_alu instid0(VALU_DEP_4) | instskip(NEXT) | instid1(VALU_DEP_4)
	v_add_f64_e32 v[8:9], v[8:9], v[12:13]
	v_add_f64_e32 v[10:11], v[10:11], v[136:137]
	s_delay_alu instid0(VALU_DEP_4) | instskip(NEXT) | instid1(VALU_DEP_4)
	v_fmac_f64_e32 v[14:15], v[6:7], v[20:21]
	v_fma_f64 v[4:5], v[4:5], v[20:21], -v[22:23]
	s_delay_alu instid0(VALU_DEP_4) | instskip(NEXT) | instid1(VALU_DEP_4)
	v_add_f64_e32 v[6:7], v[8:9], v[16:17]
	v_add_f64_e32 v[8:9], v[10:11], v[126:127]
	s_delay_alu instid0(VALU_DEP_2) | instskip(NEXT) | instid1(VALU_DEP_2)
	v_add_f64_e32 v[4:5], v[6:7], v[4:5]
	v_add_f64_e32 v[6:7], v[8:9], v[14:15]
	s_delay_alu instid0(VALU_DEP_2) | instskip(NEXT) | instid1(VALU_DEP_2)
	v_add_f64_e64 v[4:5], v[152:153], -v[4:5]
	v_add_f64_e64 v[6:7], v[154:155], -v[6:7]
	scratch_store_b128 off, v[4:7], off offset:304
	s_wait_xcnt 0x0
	v_cmpx_lt_u32_e32 18, v1
	s_cbranch_execz .LBB48_271
; %bb.270:
	scratch_load_b128 v[6:9], off, s47
	v_dual_mov_b32 v3, v2 :: v_dual_mov_b32 v4, v2
	v_mov_b32_e32 v5, v2
	scratch_store_b128 off, v[2:5], off offset:288
	s_wait_loadcnt 0x0
	ds_store_b128 v122, v[6:9]
.LBB48_271:
	s_wait_xcnt 0x0
	s_or_b32 exec_lo, exec_lo, s2
	s_wait_storecnt_dscnt 0x0
	s_barrier_signal -1
	s_barrier_wait -1
	s_clause 0x9
	scratch_load_b128 v[4:7], off, off offset:304
	scratch_load_b128 v[8:11], off, off offset:320
	;; [unrolled: 1-line block ×10, first 2 shown]
	ds_load_b128 v[144:147], v2 offset:1088
	ds_load_b128 v[152:155], v2 offset:1104
	s_clause 0x2
	scratch_load_b128 v[148:151], off, off offset:464
	scratch_load_b128 v[156:159], off, off offset:288
	;; [unrolled: 1-line block ×3, first 2 shown]
	s_mov_b32 s2, exec_lo
	s_wait_loadcnt_dscnt 0xc01
	v_mul_f64_e32 v[164:165], v[146:147], v[6:7]
	v_mul_f64_e32 v[168:169], v[144:145], v[6:7]
	s_wait_loadcnt_dscnt 0xb00
	v_mul_f64_e32 v[170:171], v[152:153], v[10:11]
	v_mul_f64_e32 v[10:11], v[154:155], v[10:11]
	s_delay_alu instid0(VALU_DEP_4) | instskip(NEXT) | instid1(VALU_DEP_4)
	v_fma_f64 v[172:173], v[144:145], v[4:5], -v[164:165]
	v_fmac_f64_e32 v[168:169], v[146:147], v[4:5]
	ds_load_b128 v[4:7], v2 offset:1120
	ds_load_b128 v[144:147], v2 offset:1136
	scratch_load_b128 v[164:167], off, off offset:496
	v_fmac_f64_e32 v[170:171], v[154:155], v[8:9]
	v_fma_f64 v[152:153], v[152:153], v[8:9], -v[10:11]
	scratch_load_b128 v[8:11], off, off offset:512
	s_wait_loadcnt_dscnt 0xc01
	v_mul_f64_e32 v[174:175], v[4:5], v[14:15]
	v_mul_f64_e32 v[14:15], v[6:7], v[14:15]
	v_add_f64_e32 v[154:155], 0, v[172:173]
	v_add_f64_e32 v[168:169], 0, v[168:169]
	s_wait_loadcnt_dscnt 0xb00
	v_mul_f64_e32 v[172:173], v[144:145], v[18:19]
	v_mul_f64_e32 v[18:19], v[146:147], v[18:19]
	v_fmac_f64_e32 v[174:175], v[6:7], v[12:13]
	v_fma_f64 v[176:177], v[4:5], v[12:13], -v[14:15]
	ds_load_b128 v[4:7], v2 offset:1152
	ds_load_b128 v[12:15], v2 offset:1168
	v_add_f64_e32 v[178:179], v[154:155], v[152:153]
	v_add_f64_e32 v[168:169], v[168:169], v[170:171]
	scratch_load_b128 v[152:155], off, off offset:528
	v_fmac_f64_e32 v[172:173], v[146:147], v[16:17]
	v_fma_f64 v[144:145], v[144:145], v[16:17], -v[18:19]
	scratch_load_b128 v[16:19], off, off offset:544
	s_wait_loadcnt_dscnt 0xc01
	v_mul_f64_e32 v[170:171], v[4:5], v[22:23]
	v_mul_f64_e32 v[22:23], v[6:7], v[22:23]
	v_add_f64_e32 v[146:147], v[178:179], v[176:177]
	v_add_f64_e32 v[168:169], v[168:169], v[174:175]
	s_wait_loadcnt_dscnt 0xb00
	v_mul_f64_e32 v[174:175], v[12:13], v[126:127]
	v_mul_f64_e32 v[126:127], v[14:15], v[126:127]
	v_fmac_f64_e32 v[170:171], v[6:7], v[20:21]
	v_fma_f64 v[176:177], v[4:5], v[20:21], -v[22:23]
	ds_load_b128 v[4:7], v2 offset:1184
	ds_load_b128 v[20:23], v2 offset:1200
	v_add_f64_e32 v[178:179], v[146:147], v[144:145]
	v_add_f64_e32 v[168:169], v[168:169], v[172:173]
	scratch_load_b128 v[144:147], off, off offset:560
	s_wait_loadcnt_dscnt 0xb01
	v_mul_f64_e32 v[172:173], v[4:5], v[130:131]
	v_mul_f64_e32 v[130:131], v[6:7], v[130:131]
	v_fmac_f64_e32 v[174:175], v[14:15], v[124:125]
	v_fma_f64 v[124:125], v[12:13], v[124:125], -v[126:127]
	scratch_load_b128 v[12:15], off, off offset:576
	v_add_f64_e32 v[126:127], v[178:179], v[176:177]
	v_add_f64_e32 v[168:169], v[168:169], v[170:171]
	s_wait_loadcnt_dscnt 0xb00
	v_mul_f64_e32 v[170:171], v[20:21], v[134:135]
	v_mul_f64_e32 v[134:135], v[22:23], v[134:135]
	v_fmac_f64_e32 v[172:173], v[6:7], v[128:129]
	v_fma_f64 v[176:177], v[4:5], v[128:129], -v[130:131]
	v_add_f64_e32 v[178:179], v[126:127], v[124:125]
	v_add_f64_e32 v[168:169], v[168:169], v[174:175]
	ds_load_b128 v[4:7], v2 offset:1216
	ds_load_b128 v[124:127], v2 offset:1232
	scratch_load_b128 v[128:131], off, off offset:592
	v_fmac_f64_e32 v[170:171], v[22:23], v[132:133]
	v_fma_f64 v[132:133], v[20:21], v[132:133], -v[134:135]
	scratch_load_b128 v[20:23], off, off offset:608
	s_wait_loadcnt_dscnt 0xc01
	v_mul_f64_e32 v[174:175], v[4:5], v[138:139]
	v_mul_f64_e32 v[138:139], v[6:7], v[138:139]
	v_add_f64_e32 v[134:135], v[178:179], v[176:177]
	v_add_f64_e32 v[168:169], v[168:169], v[172:173]
	s_wait_loadcnt_dscnt 0xb00
	v_mul_f64_e32 v[172:173], v[124:125], v[142:143]
	v_mul_f64_e32 v[142:143], v[126:127], v[142:143]
	v_fmac_f64_e32 v[174:175], v[6:7], v[136:137]
	v_fma_f64 v[176:177], v[4:5], v[136:137], -v[138:139]
	v_add_f64_e32 v[178:179], v[134:135], v[132:133]
	v_add_f64_e32 v[168:169], v[168:169], v[170:171]
	ds_load_b128 v[4:7], v2 offset:1248
	ds_load_b128 v[132:135], v2 offset:1264
	scratch_load_b128 v[136:139], off, off offset:624
	v_fmac_f64_e32 v[172:173], v[126:127], v[140:141]
	v_fma_f64 v[140:141], v[124:125], v[140:141], -v[142:143]
	scratch_load_b128 v[124:127], off, off offset:640
	s_wait_loadcnt_dscnt 0xc01
	v_mul_f64_e32 v[170:171], v[4:5], v[150:151]
	v_mul_f64_e32 v[150:151], v[6:7], v[150:151]
	;; [unrolled: 18-line block ×5, first 2 shown]
	v_add_f64_e32 v[162:163], v[178:179], v[176:177]
	v_add_f64_e32 v[168:169], v[168:169], v[174:175]
	s_wait_loadcnt_dscnt 0xa00
	v_mul_f64_e32 v[174:175], v[140:141], v[14:15]
	v_mul_f64_e32 v[14:15], v[142:143], v[14:15]
	v_fmac_f64_e32 v[170:171], v[6:7], v[144:145]
	v_fma_f64 v[176:177], v[4:5], v[144:145], -v[146:147]
	ds_load_b128 v[4:7], v2 offset:1376
	ds_load_b128 v[144:147], v2 offset:1392
	v_add_f64_e32 v[178:179], v[162:163], v[160:161]
	v_add_f64_e32 v[168:169], v[168:169], v[172:173]
	scratch_load_b128 v[160:163], off, off offset:752
	v_fmac_f64_e32 v[174:175], v[142:143], v[12:13]
	v_fma_f64 v[140:141], v[140:141], v[12:13], -v[14:15]
	scratch_load_b128 v[12:15], off, off offset:768
	s_wait_loadcnt_dscnt 0xb01
	v_mul_f64_e32 v[172:173], v[4:5], v[130:131]
	v_mul_f64_e32 v[130:131], v[6:7], v[130:131]
	v_add_f64_e32 v[142:143], v[178:179], v[176:177]
	v_add_f64_e32 v[168:169], v[168:169], v[170:171]
	s_wait_loadcnt_dscnt 0xa00
	v_mul_f64_e32 v[170:171], v[144:145], v[22:23]
	v_mul_f64_e32 v[22:23], v[146:147], v[22:23]
	v_fmac_f64_e32 v[172:173], v[6:7], v[128:129]
	v_fma_f64 v[176:177], v[4:5], v[128:129], -v[130:131]
	ds_load_b128 v[4:7], v2 offset:1408
	ds_load_b128 v[128:131], v2 offset:1424
	v_add_f64_e32 v[140:141], v[142:143], v[140:141]
	v_add_f64_e32 v[142:143], v[168:169], v[174:175]
	v_fmac_f64_e32 v[170:171], v[146:147], v[20:21]
	s_wait_loadcnt_dscnt 0x901
	v_mul_f64_e32 v[168:169], v[4:5], v[138:139]
	v_mul_f64_e32 v[138:139], v[6:7], v[138:139]
	v_fma_f64 v[20:21], v[144:145], v[20:21], -v[22:23]
	v_add_f64_e32 v[22:23], v[140:141], v[176:177]
	v_add_f64_e32 v[140:141], v[142:143], v[172:173]
	s_wait_loadcnt_dscnt 0x800
	v_mul_f64_e32 v[142:143], v[128:129], v[126:127]
	v_mul_f64_e32 v[126:127], v[130:131], v[126:127]
	v_fmac_f64_e32 v[168:169], v[6:7], v[136:137]
	v_fma_f64 v[136:137], v[4:5], v[136:137], -v[138:139]
	v_add_f64_e32 v[138:139], v[22:23], v[20:21]
	v_add_f64_e32 v[140:141], v[140:141], v[170:171]
	ds_load_b128 v[4:7], v2 offset:1440
	ds_load_b128 v[20:23], v2 offset:1456
	v_fmac_f64_e32 v[142:143], v[130:131], v[124:125]
	v_fma_f64 v[124:125], v[128:129], v[124:125], -v[126:127]
	s_wait_loadcnt_dscnt 0x701
	v_mul_f64_e32 v[144:145], v[4:5], v[150:151]
	v_mul_f64_e32 v[146:147], v[6:7], v[150:151]
	s_wait_loadcnt_dscnt 0x600
	v_mul_f64_e32 v[130:131], v[20:21], v[134:135]
	v_mul_f64_e32 v[134:135], v[22:23], v[134:135]
	v_add_f64_e32 v[126:127], v[138:139], v[136:137]
	v_add_f64_e32 v[128:129], v[140:141], v[168:169]
	v_fmac_f64_e32 v[144:145], v[6:7], v[148:149]
	v_fma_f64 v[136:137], v[4:5], v[148:149], -v[146:147]
	v_fmac_f64_e32 v[130:131], v[22:23], v[132:133]
	v_fma_f64 v[20:21], v[20:21], v[132:133], -v[134:135]
	v_add_f64_e32 v[138:139], v[126:127], v[124:125]
	v_add_f64_e32 v[128:129], v[128:129], v[142:143]
	ds_load_b128 v[4:7], v2 offset:1472
	ds_load_b128 v[124:127], v2 offset:1488
	s_wait_loadcnt_dscnt 0x501
	v_mul_f64_e32 v[140:141], v[4:5], v[166:167]
	v_mul_f64_e32 v[142:143], v[6:7], v[166:167]
	s_wait_loadcnt_dscnt 0x400
	v_mul_f64_e32 v[132:133], v[124:125], v[10:11]
	v_mul_f64_e32 v[10:11], v[126:127], v[10:11]
	v_add_f64_e32 v[22:23], v[138:139], v[136:137]
	v_add_f64_e32 v[128:129], v[128:129], v[144:145]
	v_fmac_f64_e32 v[140:141], v[6:7], v[164:165]
	v_fma_f64 v[134:135], v[4:5], v[164:165], -v[142:143]
	v_fmac_f64_e32 v[132:133], v[126:127], v[8:9]
	v_fma_f64 v[8:9], v[124:125], v[8:9], -v[10:11]
	v_add_f64_e32 v[136:137], v[22:23], v[20:21]
	v_add_f64_e32 v[128:129], v[128:129], v[130:131]
	ds_load_b128 v[4:7], v2 offset:1504
	ds_load_b128 v[20:23], v2 offset:1520
	s_wait_loadcnt_dscnt 0x301
	v_mul_f64_e32 v[130:131], v[4:5], v[154:155]
	v_mul_f64_e32 v[138:139], v[6:7], v[154:155]
	s_wait_loadcnt_dscnt 0x200
	v_mul_f64_e32 v[126:127], v[20:21], v[18:19]
	v_mul_f64_e32 v[18:19], v[22:23], v[18:19]
	v_add_f64_e32 v[10:11], v[136:137], v[134:135]
	v_add_f64_e32 v[124:125], v[128:129], v[140:141]
	v_fmac_f64_e32 v[130:131], v[6:7], v[152:153]
	v_fma_f64 v[128:129], v[4:5], v[152:153], -v[138:139]
	v_fmac_f64_e32 v[126:127], v[22:23], v[16:17]
	v_fma_f64 v[16:17], v[20:21], v[16:17], -v[18:19]
	v_add_f64_e32 v[134:135], v[10:11], v[8:9]
	v_add_f64_e32 v[124:125], v[124:125], v[132:133]
	ds_load_b128 v[4:7], v2 offset:1536
	ds_load_b128 v[8:11], v2 offset:1552
	s_wait_loadcnt_dscnt 0x101
	v_mul_f64_e32 v[2:3], v[4:5], v[162:163]
	v_mul_f64_e32 v[132:133], v[6:7], v[162:163]
	s_wait_loadcnt_dscnt 0x0
	v_mul_f64_e32 v[22:23], v[8:9], v[14:15]
	v_mul_f64_e32 v[14:15], v[10:11], v[14:15]
	v_add_f64_e32 v[18:19], v[134:135], v[128:129]
	v_add_f64_e32 v[20:21], v[124:125], v[130:131]
	v_fmac_f64_e32 v[2:3], v[6:7], v[160:161]
	v_fma_f64 v[4:5], v[4:5], v[160:161], -v[132:133]
	v_fmac_f64_e32 v[22:23], v[10:11], v[12:13]
	v_fma_f64 v[8:9], v[8:9], v[12:13], -v[14:15]
	v_add_f64_e32 v[6:7], v[18:19], v[16:17]
	v_add_f64_e32 v[16:17], v[20:21], v[126:127]
	s_delay_alu instid0(VALU_DEP_2) | instskip(NEXT) | instid1(VALU_DEP_2)
	v_add_f64_e32 v[4:5], v[6:7], v[4:5]
	v_add_f64_e32 v[2:3], v[16:17], v[2:3]
	s_delay_alu instid0(VALU_DEP_2) | instskip(NEXT) | instid1(VALU_DEP_2)
	v_add_f64_e32 v[4:5], v[4:5], v[8:9]
	v_add_f64_e32 v[6:7], v[2:3], v[22:23]
	s_delay_alu instid0(VALU_DEP_2) | instskip(NEXT) | instid1(VALU_DEP_2)
	v_add_f64_e64 v[2:3], v[156:157], -v[4:5]
	v_add_f64_e64 v[4:5], v[158:159], -v[6:7]
	scratch_store_b128 off, v[2:5], off offset:288
	s_wait_xcnt 0x0
	v_cmpx_lt_u32_e32 17, v1
	s_cbranch_execz .LBB48_273
; %bb.272:
	scratch_load_b128 v[2:5], off, s45
	v_mov_b32_e32 v6, 0
	s_delay_alu instid0(VALU_DEP_1)
	v_dual_mov_b32 v7, v6 :: v_dual_mov_b32 v8, v6
	v_mov_b32_e32 v9, v6
	scratch_store_b128 off, v[6:9], off offset:272
	s_wait_loadcnt 0x0
	ds_store_b128 v122, v[2:5]
.LBB48_273:
	s_wait_xcnt 0x0
	s_or_b32 exec_lo, exec_lo, s2
	s_wait_storecnt_dscnt 0x0
	s_barrier_signal -1
	s_barrier_wait -1
	s_clause 0x9
	scratch_load_b128 v[4:7], off, off offset:288
	scratch_load_b128 v[8:11], off, off offset:304
	;; [unrolled: 1-line block ×10, first 2 shown]
	v_mov_b32_e32 v2, 0
	s_mov_b32 s2, exec_lo
	ds_load_b128 v[144:147], v2 offset:1072
	s_clause 0x2
	scratch_load_b128 v[148:151], off, off offset:448
	scratch_load_b128 v[152:155], off, off offset:272
	;; [unrolled: 1-line block ×3, first 2 shown]
	s_wait_loadcnt_dscnt 0xc00
	v_mul_f64_e32 v[164:165], v[146:147], v[6:7]
	v_mul_f64_e32 v[168:169], v[144:145], v[6:7]
	ds_load_b128 v[156:159], v2 offset:1088
	v_fma_f64 v[172:173], v[144:145], v[4:5], -v[164:165]
	v_fmac_f64_e32 v[168:169], v[146:147], v[4:5]
	ds_load_b128 v[4:7], v2 offset:1104
	s_wait_loadcnt_dscnt 0xb01
	v_mul_f64_e32 v[170:171], v[156:157], v[10:11]
	v_mul_f64_e32 v[10:11], v[158:159], v[10:11]
	scratch_load_b128 v[144:147], off, off offset:480
	ds_load_b128 v[164:167], v2 offset:1120
	s_wait_loadcnt_dscnt 0xb01
	v_mul_f64_e32 v[174:175], v[4:5], v[14:15]
	v_mul_f64_e32 v[14:15], v[6:7], v[14:15]
	v_add_f64_e32 v[168:169], 0, v[168:169]
	v_fmac_f64_e32 v[170:171], v[158:159], v[8:9]
	v_fma_f64 v[156:157], v[156:157], v[8:9], -v[10:11]
	v_add_f64_e32 v[158:159], 0, v[172:173]
	scratch_load_b128 v[8:11], off, off offset:496
	v_fmac_f64_e32 v[174:175], v[6:7], v[12:13]
	v_fma_f64 v[176:177], v[4:5], v[12:13], -v[14:15]
	ds_load_b128 v[4:7], v2 offset:1136
	s_wait_loadcnt_dscnt 0xb01
	v_mul_f64_e32 v[172:173], v[164:165], v[18:19]
	v_mul_f64_e32 v[18:19], v[166:167], v[18:19]
	scratch_load_b128 v[12:15], off, off offset:512
	v_add_f64_e32 v[168:169], v[168:169], v[170:171]
	v_add_f64_e32 v[178:179], v[158:159], v[156:157]
	ds_load_b128 v[156:159], v2 offset:1152
	s_wait_loadcnt_dscnt 0xb01
	v_mul_f64_e32 v[170:171], v[4:5], v[22:23]
	v_mul_f64_e32 v[22:23], v[6:7], v[22:23]
	v_fmac_f64_e32 v[172:173], v[166:167], v[16:17]
	v_fma_f64 v[164:165], v[164:165], v[16:17], -v[18:19]
	scratch_load_b128 v[16:19], off, off offset:528
	v_add_f64_e32 v[168:169], v[168:169], v[174:175]
	v_add_f64_e32 v[166:167], v[178:179], v[176:177]
	v_fmac_f64_e32 v[170:171], v[6:7], v[20:21]
	v_fma_f64 v[176:177], v[4:5], v[20:21], -v[22:23]
	ds_load_b128 v[4:7], v2 offset:1168
	s_wait_loadcnt_dscnt 0xb01
	v_mul_f64_e32 v[174:175], v[156:157], v[126:127]
	v_mul_f64_e32 v[126:127], v[158:159], v[126:127]
	scratch_load_b128 v[20:23], off, off offset:544
	v_add_f64_e32 v[168:169], v[168:169], v[172:173]
	s_wait_loadcnt_dscnt 0xb00
	v_mul_f64_e32 v[172:173], v[4:5], v[130:131]
	v_add_f64_e32 v[178:179], v[166:167], v[164:165]
	v_mul_f64_e32 v[130:131], v[6:7], v[130:131]
	ds_load_b128 v[164:167], v2 offset:1184
	v_fmac_f64_e32 v[174:175], v[158:159], v[124:125]
	v_fma_f64 v[156:157], v[156:157], v[124:125], -v[126:127]
	scratch_load_b128 v[124:127], off, off offset:560
	v_add_f64_e32 v[168:169], v[168:169], v[170:171]
	v_fmac_f64_e32 v[172:173], v[6:7], v[128:129]
	v_add_f64_e32 v[158:159], v[178:179], v[176:177]
	v_fma_f64 v[176:177], v[4:5], v[128:129], -v[130:131]
	ds_load_b128 v[4:7], v2 offset:1200
	s_wait_loadcnt_dscnt 0xb01
	v_mul_f64_e32 v[170:171], v[164:165], v[134:135]
	v_mul_f64_e32 v[134:135], v[166:167], v[134:135]
	scratch_load_b128 v[128:131], off, off offset:576
	v_add_f64_e32 v[168:169], v[168:169], v[174:175]
	s_wait_loadcnt_dscnt 0xb00
	v_mul_f64_e32 v[174:175], v[4:5], v[138:139]
	v_add_f64_e32 v[178:179], v[158:159], v[156:157]
	v_mul_f64_e32 v[138:139], v[6:7], v[138:139]
	ds_load_b128 v[156:159], v2 offset:1216
	v_fmac_f64_e32 v[170:171], v[166:167], v[132:133]
	v_fma_f64 v[164:165], v[164:165], v[132:133], -v[134:135]
	scratch_load_b128 v[132:135], off, off offset:592
	v_add_f64_e32 v[168:169], v[168:169], v[172:173]
	v_fmac_f64_e32 v[174:175], v[6:7], v[136:137]
	v_add_f64_e32 v[166:167], v[178:179], v[176:177]
	;; [unrolled: 18-line block ×3, first 2 shown]
	v_fma_f64 v[176:177], v[4:5], v[148:149], -v[150:151]
	ds_load_b128 v[4:7], v2 offset:1264
	s_wait_loadcnt_dscnt 0xa01
	v_mul_f64_e32 v[174:175], v[164:165], v[162:163]
	v_mul_f64_e32 v[162:163], v[166:167], v[162:163]
	scratch_load_b128 v[148:151], off, off offset:640
	v_add_f64_e32 v[168:169], v[168:169], v[172:173]
	v_add_f64_e32 v[178:179], v[158:159], v[156:157]
	s_wait_loadcnt_dscnt 0xa00
	v_mul_f64_e32 v[172:173], v[4:5], v[146:147]
	v_mul_f64_e32 v[146:147], v[6:7], v[146:147]
	v_fmac_f64_e32 v[174:175], v[166:167], v[160:161]
	v_fma_f64 v[164:165], v[164:165], v[160:161], -v[162:163]
	ds_load_b128 v[156:159], v2 offset:1280
	scratch_load_b128 v[160:163], off, off offset:656
	v_add_f64_e32 v[168:169], v[168:169], v[170:171]
	v_add_f64_e32 v[166:167], v[178:179], v[176:177]
	v_fmac_f64_e32 v[172:173], v[6:7], v[144:145]
	v_fma_f64 v[176:177], v[4:5], v[144:145], -v[146:147]
	ds_load_b128 v[4:7], v2 offset:1296
	s_wait_loadcnt_dscnt 0xa01
	v_mul_f64_e32 v[170:171], v[156:157], v[10:11]
	v_mul_f64_e32 v[10:11], v[158:159], v[10:11]
	scratch_load_b128 v[144:147], off, off offset:672
	v_add_f64_e32 v[168:169], v[168:169], v[174:175]
	s_wait_loadcnt_dscnt 0xa00
	v_mul_f64_e32 v[174:175], v[4:5], v[14:15]
	v_add_f64_e32 v[178:179], v[166:167], v[164:165]
	v_mul_f64_e32 v[14:15], v[6:7], v[14:15]
	ds_load_b128 v[164:167], v2 offset:1312
	v_fmac_f64_e32 v[170:171], v[158:159], v[8:9]
	v_fma_f64 v[156:157], v[156:157], v[8:9], -v[10:11]
	scratch_load_b128 v[8:11], off, off offset:688
	v_add_f64_e32 v[168:169], v[168:169], v[172:173]
	v_fmac_f64_e32 v[174:175], v[6:7], v[12:13]
	v_add_f64_e32 v[158:159], v[178:179], v[176:177]
	v_fma_f64 v[176:177], v[4:5], v[12:13], -v[14:15]
	ds_load_b128 v[4:7], v2 offset:1328
	s_wait_loadcnt_dscnt 0xa01
	v_mul_f64_e32 v[172:173], v[164:165], v[18:19]
	v_mul_f64_e32 v[18:19], v[166:167], v[18:19]
	scratch_load_b128 v[12:15], off, off offset:704
	v_add_f64_e32 v[168:169], v[168:169], v[170:171]
	s_wait_loadcnt_dscnt 0xa00
	v_mul_f64_e32 v[170:171], v[4:5], v[22:23]
	v_add_f64_e32 v[178:179], v[158:159], v[156:157]
	v_mul_f64_e32 v[22:23], v[6:7], v[22:23]
	ds_load_b128 v[156:159], v2 offset:1344
	v_fmac_f64_e32 v[172:173], v[166:167], v[16:17]
	v_fma_f64 v[164:165], v[164:165], v[16:17], -v[18:19]
	scratch_load_b128 v[16:19], off, off offset:720
	v_add_f64_e32 v[168:169], v[168:169], v[174:175]
	v_fmac_f64_e32 v[170:171], v[6:7], v[20:21]
	v_add_f64_e32 v[166:167], v[178:179], v[176:177]
	;; [unrolled: 18-line block ×3, first 2 shown]
	v_fma_f64 v[176:177], v[4:5], v[128:129], -v[130:131]
	ds_load_b128 v[4:7], v2 offset:1392
	s_wait_loadcnt_dscnt 0xa01
	v_mul_f64_e32 v[170:171], v[164:165], v[134:135]
	v_mul_f64_e32 v[134:135], v[166:167], v[134:135]
	scratch_load_b128 v[128:131], off, off offset:768
	v_add_f64_e32 v[168:169], v[168:169], v[174:175]
	s_wait_loadcnt_dscnt 0xa00
	v_mul_f64_e32 v[174:175], v[4:5], v[138:139]
	v_add_f64_e32 v[178:179], v[158:159], v[156:157]
	v_mul_f64_e32 v[138:139], v[6:7], v[138:139]
	ds_load_b128 v[156:159], v2 offset:1408
	v_fmac_f64_e32 v[170:171], v[166:167], v[132:133]
	v_fma_f64 v[132:133], v[164:165], v[132:133], -v[134:135]
	s_wait_loadcnt_dscnt 0x900
	v_mul_f64_e32 v[166:167], v[156:157], v[142:143]
	v_mul_f64_e32 v[142:143], v[158:159], v[142:143]
	v_add_f64_e32 v[164:165], v[168:169], v[172:173]
	v_fmac_f64_e32 v[174:175], v[6:7], v[136:137]
	v_add_f64_e32 v[134:135], v[178:179], v[176:177]
	v_fma_f64 v[136:137], v[4:5], v[136:137], -v[138:139]
	v_fmac_f64_e32 v[166:167], v[158:159], v[140:141]
	v_fma_f64 v[140:141], v[156:157], v[140:141], -v[142:143]
	v_add_f64_e32 v[164:165], v[164:165], v[170:171]
	v_add_f64_e32 v[138:139], v[134:135], v[132:133]
	ds_load_b128 v[4:7], v2 offset:1424
	ds_load_b128 v[132:135], v2 offset:1440
	s_wait_loadcnt_dscnt 0x801
	v_mul_f64_e32 v[168:169], v[4:5], v[150:151]
	v_mul_f64_e32 v[150:151], v[6:7], v[150:151]
	s_wait_loadcnt_dscnt 0x700
	v_mul_f64_e32 v[142:143], v[132:133], v[162:163]
	v_mul_f64_e32 v[156:157], v[134:135], v[162:163]
	v_add_f64_e32 v[136:137], v[138:139], v[136:137]
	v_add_f64_e32 v[138:139], v[164:165], v[174:175]
	v_fmac_f64_e32 v[168:169], v[6:7], v[148:149]
	v_fma_f64 v[148:149], v[4:5], v[148:149], -v[150:151]
	v_fmac_f64_e32 v[142:143], v[134:135], v[160:161]
	v_fma_f64 v[132:133], v[132:133], v[160:161], -v[156:157]
	v_add_f64_e32 v[140:141], v[136:137], v[140:141]
	v_add_f64_e32 v[150:151], v[138:139], v[166:167]
	ds_load_b128 v[4:7], v2 offset:1456
	ds_load_b128 v[136:139], v2 offset:1472
	s_wait_loadcnt_dscnt 0x601
	v_mul_f64_e32 v[158:159], v[4:5], v[146:147]
	v_mul_f64_e32 v[146:147], v[6:7], v[146:147]
	v_add_f64_e32 v[134:135], v[140:141], v[148:149]
	v_add_f64_e32 v[140:141], v[150:151], v[168:169]
	s_wait_loadcnt_dscnt 0x500
	v_mul_f64_e32 v[148:149], v[136:137], v[10:11]
	v_mul_f64_e32 v[10:11], v[138:139], v[10:11]
	v_fmac_f64_e32 v[158:159], v[6:7], v[144:145]
	v_fma_f64 v[144:145], v[4:5], v[144:145], -v[146:147]
	v_add_f64_e32 v[146:147], v[134:135], v[132:133]
	v_add_f64_e32 v[140:141], v[140:141], v[142:143]
	ds_load_b128 v[4:7], v2 offset:1488
	ds_load_b128 v[132:135], v2 offset:1504
	v_fmac_f64_e32 v[148:149], v[138:139], v[8:9]
	v_fma_f64 v[8:9], v[136:137], v[8:9], -v[10:11]
	s_wait_loadcnt_dscnt 0x401
	v_mul_f64_e32 v[142:143], v[4:5], v[14:15]
	v_mul_f64_e32 v[14:15], v[6:7], v[14:15]
	s_wait_loadcnt_dscnt 0x300
	v_mul_f64_e32 v[138:139], v[132:133], v[18:19]
	v_mul_f64_e32 v[18:19], v[134:135], v[18:19]
	v_add_f64_e32 v[10:11], v[146:147], v[144:145]
	v_add_f64_e32 v[136:137], v[140:141], v[158:159]
	v_fmac_f64_e32 v[142:143], v[6:7], v[12:13]
	v_fma_f64 v[12:13], v[4:5], v[12:13], -v[14:15]
	v_fmac_f64_e32 v[138:139], v[134:135], v[16:17]
	v_fma_f64 v[16:17], v[132:133], v[16:17], -v[18:19]
	v_add_f64_e32 v[14:15], v[10:11], v[8:9]
	v_add_f64_e32 v[136:137], v[136:137], v[148:149]
	ds_load_b128 v[4:7], v2 offset:1520
	ds_load_b128 v[8:11], v2 offset:1536
	s_wait_loadcnt_dscnt 0x201
	v_mul_f64_e32 v[140:141], v[4:5], v[22:23]
	v_mul_f64_e32 v[22:23], v[6:7], v[22:23]
	s_wait_loadcnt_dscnt 0x100
	v_mul_f64_e32 v[18:19], v[8:9], v[126:127]
	v_mul_f64_e32 v[126:127], v[10:11], v[126:127]
	v_add_f64_e32 v[12:13], v[14:15], v[12:13]
	v_add_f64_e32 v[14:15], v[136:137], v[142:143]
	v_fmac_f64_e32 v[140:141], v[6:7], v[20:21]
	v_fma_f64 v[20:21], v[4:5], v[20:21], -v[22:23]
	ds_load_b128 v[4:7], v2 offset:1552
	v_fmac_f64_e32 v[18:19], v[10:11], v[124:125]
	v_fma_f64 v[8:9], v[8:9], v[124:125], -v[126:127]
	v_add_f64_e32 v[12:13], v[12:13], v[16:17]
	v_add_f64_e32 v[14:15], v[14:15], v[138:139]
	s_wait_loadcnt_dscnt 0x0
	v_mul_f64_e32 v[16:17], v[4:5], v[130:131]
	v_mul_f64_e32 v[22:23], v[6:7], v[130:131]
	s_delay_alu instid0(VALU_DEP_4) | instskip(NEXT) | instid1(VALU_DEP_4)
	v_add_f64_e32 v[10:11], v[12:13], v[20:21]
	v_add_f64_e32 v[12:13], v[14:15], v[140:141]
	s_delay_alu instid0(VALU_DEP_4) | instskip(NEXT) | instid1(VALU_DEP_4)
	v_fmac_f64_e32 v[16:17], v[6:7], v[128:129]
	v_fma_f64 v[4:5], v[4:5], v[128:129], -v[22:23]
	s_delay_alu instid0(VALU_DEP_4) | instskip(NEXT) | instid1(VALU_DEP_4)
	v_add_f64_e32 v[6:7], v[10:11], v[8:9]
	v_add_f64_e32 v[8:9], v[12:13], v[18:19]
	s_delay_alu instid0(VALU_DEP_2) | instskip(NEXT) | instid1(VALU_DEP_2)
	v_add_f64_e32 v[4:5], v[6:7], v[4:5]
	v_add_f64_e32 v[6:7], v[8:9], v[16:17]
	s_delay_alu instid0(VALU_DEP_2) | instskip(NEXT) | instid1(VALU_DEP_2)
	v_add_f64_e64 v[4:5], v[152:153], -v[4:5]
	v_add_f64_e64 v[6:7], v[154:155], -v[6:7]
	scratch_store_b128 off, v[4:7], off offset:272
	s_wait_xcnt 0x0
	v_cmpx_lt_u32_e32 16, v1
	s_cbranch_execz .LBB48_275
; %bb.274:
	scratch_load_b128 v[6:9], off, s44
	v_dual_mov_b32 v3, v2 :: v_dual_mov_b32 v4, v2
	v_mov_b32_e32 v5, v2
	scratch_store_b128 off, v[2:5], off offset:256
	s_wait_loadcnt 0x0
	ds_store_b128 v122, v[6:9]
.LBB48_275:
	s_wait_xcnt 0x0
	s_or_b32 exec_lo, exec_lo, s2
	s_wait_storecnt_dscnt 0x0
	s_barrier_signal -1
	s_barrier_wait -1
	s_clause 0x9
	scratch_load_b128 v[4:7], off, off offset:272
	scratch_load_b128 v[8:11], off, off offset:288
	;; [unrolled: 1-line block ×10, first 2 shown]
	ds_load_b128 v[144:147], v2 offset:1056
	ds_load_b128 v[152:155], v2 offset:1072
	s_clause 0x2
	scratch_load_b128 v[148:151], off, off offset:432
	scratch_load_b128 v[156:159], off, off offset:256
	;; [unrolled: 1-line block ×3, first 2 shown]
	s_mov_b32 s2, exec_lo
	s_wait_loadcnt_dscnt 0xc01
	v_mul_f64_e32 v[164:165], v[146:147], v[6:7]
	v_mul_f64_e32 v[168:169], v[144:145], v[6:7]
	s_wait_loadcnt_dscnt 0xb00
	v_mul_f64_e32 v[170:171], v[152:153], v[10:11]
	v_mul_f64_e32 v[10:11], v[154:155], v[10:11]
	s_delay_alu instid0(VALU_DEP_4) | instskip(NEXT) | instid1(VALU_DEP_4)
	v_fma_f64 v[172:173], v[144:145], v[4:5], -v[164:165]
	v_fmac_f64_e32 v[168:169], v[146:147], v[4:5]
	ds_load_b128 v[4:7], v2 offset:1088
	ds_load_b128 v[144:147], v2 offset:1104
	scratch_load_b128 v[164:167], off, off offset:464
	v_fmac_f64_e32 v[170:171], v[154:155], v[8:9]
	v_fma_f64 v[152:153], v[152:153], v[8:9], -v[10:11]
	scratch_load_b128 v[8:11], off, off offset:480
	s_wait_loadcnt_dscnt 0xc01
	v_mul_f64_e32 v[174:175], v[4:5], v[14:15]
	v_mul_f64_e32 v[14:15], v[6:7], v[14:15]
	v_add_f64_e32 v[154:155], 0, v[172:173]
	v_add_f64_e32 v[168:169], 0, v[168:169]
	s_wait_loadcnt_dscnt 0xb00
	v_mul_f64_e32 v[172:173], v[144:145], v[18:19]
	v_mul_f64_e32 v[18:19], v[146:147], v[18:19]
	v_fmac_f64_e32 v[174:175], v[6:7], v[12:13]
	v_fma_f64 v[176:177], v[4:5], v[12:13], -v[14:15]
	ds_load_b128 v[4:7], v2 offset:1120
	ds_load_b128 v[12:15], v2 offset:1136
	v_add_f64_e32 v[178:179], v[154:155], v[152:153]
	v_add_f64_e32 v[168:169], v[168:169], v[170:171]
	scratch_load_b128 v[152:155], off, off offset:496
	v_fmac_f64_e32 v[172:173], v[146:147], v[16:17]
	v_fma_f64 v[144:145], v[144:145], v[16:17], -v[18:19]
	scratch_load_b128 v[16:19], off, off offset:512
	s_wait_loadcnt_dscnt 0xc01
	v_mul_f64_e32 v[170:171], v[4:5], v[22:23]
	v_mul_f64_e32 v[22:23], v[6:7], v[22:23]
	v_add_f64_e32 v[146:147], v[178:179], v[176:177]
	v_add_f64_e32 v[168:169], v[168:169], v[174:175]
	s_wait_loadcnt_dscnt 0xb00
	v_mul_f64_e32 v[174:175], v[12:13], v[126:127]
	v_mul_f64_e32 v[126:127], v[14:15], v[126:127]
	v_fmac_f64_e32 v[170:171], v[6:7], v[20:21]
	v_fma_f64 v[176:177], v[4:5], v[20:21], -v[22:23]
	ds_load_b128 v[4:7], v2 offset:1152
	ds_load_b128 v[20:23], v2 offset:1168
	v_add_f64_e32 v[178:179], v[146:147], v[144:145]
	v_add_f64_e32 v[168:169], v[168:169], v[172:173]
	scratch_load_b128 v[144:147], off, off offset:528
	s_wait_loadcnt_dscnt 0xb01
	v_mul_f64_e32 v[172:173], v[4:5], v[130:131]
	v_mul_f64_e32 v[130:131], v[6:7], v[130:131]
	v_fmac_f64_e32 v[174:175], v[14:15], v[124:125]
	v_fma_f64 v[124:125], v[12:13], v[124:125], -v[126:127]
	scratch_load_b128 v[12:15], off, off offset:544
	v_add_f64_e32 v[126:127], v[178:179], v[176:177]
	v_add_f64_e32 v[168:169], v[168:169], v[170:171]
	s_wait_loadcnt_dscnt 0xb00
	v_mul_f64_e32 v[170:171], v[20:21], v[134:135]
	v_mul_f64_e32 v[134:135], v[22:23], v[134:135]
	v_fmac_f64_e32 v[172:173], v[6:7], v[128:129]
	v_fma_f64 v[176:177], v[4:5], v[128:129], -v[130:131]
	v_add_f64_e32 v[178:179], v[126:127], v[124:125]
	v_add_f64_e32 v[168:169], v[168:169], v[174:175]
	ds_load_b128 v[4:7], v2 offset:1184
	ds_load_b128 v[124:127], v2 offset:1200
	scratch_load_b128 v[128:131], off, off offset:560
	v_fmac_f64_e32 v[170:171], v[22:23], v[132:133]
	v_fma_f64 v[132:133], v[20:21], v[132:133], -v[134:135]
	scratch_load_b128 v[20:23], off, off offset:576
	s_wait_loadcnt_dscnt 0xc01
	v_mul_f64_e32 v[174:175], v[4:5], v[138:139]
	v_mul_f64_e32 v[138:139], v[6:7], v[138:139]
	v_add_f64_e32 v[134:135], v[178:179], v[176:177]
	v_add_f64_e32 v[168:169], v[168:169], v[172:173]
	s_wait_loadcnt_dscnt 0xb00
	v_mul_f64_e32 v[172:173], v[124:125], v[142:143]
	v_mul_f64_e32 v[142:143], v[126:127], v[142:143]
	v_fmac_f64_e32 v[174:175], v[6:7], v[136:137]
	v_fma_f64 v[176:177], v[4:5], v[136:137], -v[138:139]
	v_add_f64_e32 v[178:179], v[134:135], v[132:133]
	v_add_f64_e32 v[168:169], v[168:169], v[170:171]
	ds_load_b128 v[4:7], v2 offset:1216
	ds_load_b128 v[132:135], v2 offset:1232
	scratch_load_b128 v[136:139], off, off offset:592
	v_fmac_f64_e32 v[172:173], v[126:127], v[140:141]
	v_fma_f64 v[140:141], v[124:125], v[140:141], -v[142:143]
	scratch_load_b128 v[124:127], off, off offset:608
	s_wait_loadcnt_dscnt 0xc01
	v_mul_f64_e32 v[170:171], v[4:5], v[150:151]
	v_mul_f64_e32 v[150:151], v[6:7], v[150:151]
	;; [unrolled: 18-line block ×5, first 2 shown]
	v_add_f64_e32 v[162:163], v[178:179], v[176:177]
	v_add_f64_e32 v[168:169], v[168:169], v[174:175]
	s_wait_loadcnt_dscnt 0xa00
	v_mul_f64_e32 v[174:175], v[140:141], v[14:15]
	v_mul_f64_e32 v[14:15], v[142:143], v[14:15]
	v_fmac_f64_e32 v[170:171], v[6:7], v[144:145]
	v_fma_f64 v[176:177], v[4:5], v[144:145], -v[146:147]
	ds_load_b128 v[4:7], v2 offset:1344
	ds_load_b128 v[144:147], v2 offset:1360
	v_add_f64_e32 v[178:179], v[162:163], v[160:161]
	v_add_f64_e32 v[168:169], v[168:169], v[172:173]
	scratch_load_b128 v[160:163], off, off offset:720
	v_fmac_f64_e32 v[174:175], v[142:143], v[12:13]
	v_fma_f64 v[140:141], v[140:141], v[12:13], -v[14:15]
	scratch_load_b128 v[12:15], off, off offset:736
	s_wait_loadcnt_dscnt 0xb01
	v_mul_f64_e32 v[172:173], v[4:5], v[130:131]
	v_mul_f64_e32 v[130:131], v[6:7], v[130:131]
	v_add_f64_e32 v[142:143], v[178:179], v[176:177]
	v_add_f64_e32 v[168:169], v[168:169], v[170:171]
	s_wait_loadcnt_dscnt 0xa00
	v_mul_f64_e32 v[170:171], v[144:145], v[22:23]
	v_mul_f64_e32 v[22:23], v[146:147], v[22:23]
	v_fmac_f64_e32 v[172:173], v[6:7], v[128:129]
	v_fma_f64 v[176:177], v[4:5], v[128:129], -v[130:131]
	ds_load_b128 v[4:7], v2 offset:1376
	ds_load_b128 v[128:131], v2 offset:1392
	v_add_f64_e32 v[178:179], v[142:143], v[140:141]
	v_add_f64_e32 v[168:169], v[168:169], v[174:175]
	scratch_load_b128 v[140:143], off, off offset:752
	s_wait_loadcnt_dscnt 0xa01
	v_mul_f64_e32 v[174:175], v[4:5], v[138:139]
	v_mul_f64_e32 v[138:139], v[6:7], v[138:139]
	v_fmac_f64_e32 v[170:171], v[146:147], v[20:21]
	v_fma_f64 v[144:145], v[144:145], v[20:21], -v[22:23]
	scratch_load_b128 v[20:23], off, off offset:768
	v_add_f64_e32 v[146:147], v[178:179], v[176:177]
	v_add_f64_e32 v[168:169], v[168:169], v[172:173]
	s_wait_loadcnt_dscnt 0xa00
	v_mul_f64_e32 v[172:173], v[128:129], v[126:127]
	v_mul_f64_e32 v[126:127], v[130:131], v[126:127]
	v_fmac_f64_e32 v[174:175], v[6:7], v[136:137]
	v_fma_f64 v[176:177], v[4:5], v[136:137], -v[138:139]
	ds_load_b128 v[4:7], v2 offset:1408
	ds_load_b128 v[136:139], v2 offset:1424
	v_add_f64_e32 v[144:145], v[146:147], v[144:145]
	v_add_f64_e32 v[146:147], v[168:169], v[170:171]
	v_fmac_f64_e32 v[172:173], v[130:131], v[124:125]
	s_wait_loadcnt_dscnt 0x901
	v_mul_f64_e32 v[168:169], v[4:5], v[150:151]
	v_mul_f64_e32 v[150:151], v[6:7], v[150:151]
	v_fma_f64 v[124:125], v[128:129], v[124:125], -v[126:127]
	s_wait_loadcnt_dscnt 0x800
	v_mul_f64_e32 v[130:131], v[136:137], v[134:135]
	v_mul_f64_e32 v[134:135], v[138:139], v[134:135]
	v_add_f64_e32 v[126:127], v[144:145], v[176:177]
	v_add_f64_e32 v[128:129], v[146:147], v[174:175]
	v_fmac_f64_e32 v[168:169], v[6:7], v[148:149]
	v_fma_f64 v[144:145], v[4:5], v[148:149], -v[150:151]
	v_fmac_f64_e32 v[130:131], v[138:139], v[132:133]
	v_fma_f64 v[132:133], v[136:137], v[132:133], -v[134:135]
	v_add_f64_e32 v[146:147], v[126:127], v[124:125]
	v_add_f64_e32 v[128:129], v[128:129], v[172:173]
	ds_load_b128 v[4:7], v2 offset:1440
	ds_load_b128 v[124:127], v2 offset:1456
	s_wait_loadcnt_dscnt 0x701
	v_mul_f64_e32 v[148:149], v[4:5], v[166:167]
	v_mul_f64_e32 v[150:151], v[6:7], v[166:167]
	s_wait_loadcnt_dscnt 0x600
	v_mul_f64_e32 v[136:137], v[124:125], v[10:11]
	v_mul_f64_e32 v[10:11], v[126:127], v[10:11]
	v_add_f64_e32 v[134:135], v[146:147], v[144:145]
	v_add_f64_e32 v[128:129], v[128:129], v[168:169]
	v_fmac_f64_e32 v[148:149], v[6:7], v[164:165]
	v_fma_f64 v[138:139], v[4:5], v[164:165], -v[150:151]
	v_fmac_f64_e32 v[136:137], v[126:127], v[8:9]
	v_fma_f64 v[8:9], v[124:125], v[8:9], -v[10:11]
	v_add_f64_e32 v[132:133], v[134:135], v[132:133]
	v_add_f64_e32 v[134:135], v[128:129], v[130:131]
	ds_load_b128 v[4:7], v2 offset:1472
	ds_load_b128 v[128:131], v2 offset:1488
	s_wait_loadcnt_dscnt 0x501
	v_mul_f64_e32 v[144:145], v[4:5], v[154:155]
	v_mul_f64_e32 v[146:147], v[6:7], v[154:155]
	s_wait_loadcnt_dscnt 0x400
	v_mul_f64_e32 v[126:127], v[128:129], v[18:19]
	v_mul_f64_e32 v[18:19], v[130:131], v[18:19]
	v_add_f64_e32 v[10:11], v[132:133], v[138:139]
	v_add_f64_e32 v[124:125], v[134:135], v[148:149]
	v_fmac_f64_e32 v[144:145], v[6:7], v[152:153]
	v_fma_f64 v[132:133], v[4:5], v[152:153], -v[146:147]
	v_fmac_f64_e32 v[126:127], v[130:131], v[16:17]
	v_fma_f64 v[16:17], v[128:129], v[16:17], -v[18:19]
	v_add_f64_e32 v[134:135], v[10:11], v[8:9]
	v_add_f64_e32 v[124:125], v[124:125], v[136:137]
	ds_load_b128 v[4:7], v2 offset:1504
	ds_load_b128 v[8:11], v2 offset:1520
	s_wait_loadcnt_dscnt 0x301
	v_mul_f64_e32 v[136:137], v[4:5], v[162:163]
	v_mul_f64_e32 v[138:139], v[6:7], v[162:163]
	s_wait_loadcnt_dscnt 0x200
	v_mul_f64_e32 v[128:129], v[8:9], v[14:15]
	v_mul_f64_e32 v[130:131], v[10:11], v[14:15]
	v_add_f64_e32 v[18:19], v[134:135], v[132:133]
	v_add_f64_e32 v[124:125], v[124:125], v[144:145]
	v_fmac_f64_e32 v[136:137], v[6:7], v[160:161]
	v_fma_f64 v[132:133], v[4:5], v[160:161], -v[138:139]
	v_fmac_f64_e32 v[128:129], v[10:11], v[12:13]
	v_fma_f64 v[8:9], v[8:9], v[12:13], -v[130:131]
	v_add_f64_e32 v[18:19], v[18:19], v[16:17]
	v_add_f64_e32 v[124:125], v[124:125], v[126:127]
	ds_load_b128 v[4:7], v2 offset:1536
	ds_load_b128 v[14:17], v2 offset:1552
	s_wait_loadcnt_dscnt 0x101
	v_mul_f64_e32 v[2:3], v[4:5], v[142:143]
	v_mul_f64_e32 v[126:127], v[6:7], v[142:143]
	v_add_f64_e32 v[10:11], v[18:19], v[132:133]
	v_add_f64_e32 v[12:13], v[124:125], v[136:137]
	s_wait_loadcnt_dscnt 0x0
	v_mul_f64_e32 v[18:19], v[14:15], v[22:23]
	v_mul_f64_e32 v[22:23], v[16:17], v[22:23]
	v_fmac_f64_e32 v[2:3], v[6:7], v[140:141]
	v_fma_f64 v[4:5], v[4:5], v[140:141], -v[126:127]
	v_add_f64_e32 v[6:7], v[10:11], v[8:9]
	v_add_f64_e32 v[8:9], v[12:13], v[128:129]
	v_fmac_f64_e32 v[18:19], v[16:17], v[20:21]
	v_fma_f64 v[10:11], v[14:15], v[20:21], -v[22:23]
	s_delay_alu instid0(VALU_DEP_4) | instskip(NEXT) | instid1(VALU_DEP_4)
	v_add_f64_e32 v[4:5], v[6:7], v[4:5]
	v_add_f64_e32 v[2:3], v[8:9], v[2:3]
	s_delay_alu instid0(VALU_DEP_2) | instskip(NEXT) | instid1(VALU_DEP_2)
	v_add_f64_e32 v[4:5], v[4:5], v[10:11]
	v_add_f64_e32 v[6:7], v[2:3], v[18:19]
	s_delay_alu instid0(VALU_DEP_2) | instskip(NEXT) | instid1(VALU_DEP_2)
	v_add_f64_e64 v[2:3], v[156:157], -v[4:5]
	v_add_f64_e64 v[4:5], v[158:159], -v[6:7]
	scratch_store_b128 off, v[2:5], off offset:256
	s_wait_xcnt 0x0
	v_cmpx_lt_u32_e32 15, v1
	s_cbranch_execz .LBB48_277
; %bb.276:
	scratch_load_b128 v[2:5], off, s55
	v_mov_b32_e32 v6, 0
	s_delay_alu instid0(VALU_DEP_1)
	v_dual_mov_b32 v7, v6 :: v_dual_mov_b32 v8, v6
	v_mov_b32_e32 v9, v6
	scratch_store_b128 off, v[6:9], off offset:240
	s_wait_loadcnt 0x0
	ds_store_b128 v122, v[2:5]
.LBB48_277:
	s_wait_xcnt 0x0
	s_or_b32 exec_lo, exec_lo, s2
	s_wait_storecnt_dscnt 0x0
	s_barrier_signal -1
	s_barrier_wait -1
	s_clause 0x9
	scratch_load_b128 v[4:7], off, off offset:256
	scratch_load_b128 v[8:11], off, off offset:272
	;; [unrolled: 1-line block ×10, first 2 shown]
	v_mov_b32_e32 v2, 0
	s_mov_b32 s2, exec_lo
	ds_load_b128 v[144:147], v2 offset:1040
	s_clause 0x2
	scratch_load_b128 v[148:151], off, off offset:416
	scratch_load_b128 v[152:155], off, off offset:240
	;; [unrolled: 1-line block ×3, first 2 shown]
	s_wait_loadcnt_dscnt 0xc00
	v_mul_f64_e32 v[164:165], v[146:147], v[6:7]
	v_mul_f64_e32 v[168:169], v[144:145], v[6:7]
	ds_load_b128 v[156:159], v2 offset:1056
	v_fma_f64 v[172:173], v[144:145], v[4:5], -v[164:165]
	v_fmac_f64_e32 v[168:169], v[146:147], v[4:5]
	ds_load_b128 v[4:7], v2 offset:1072
	s_wait_loadcnt_dscnt 0xb01
	v_mul_f64_e32 v[170:171], v[156:157], v[10:11]
	v_mul_f64_e32 v[10:11], v[158:159], v[10:11]
	scratch_load_b128 v[144:147], off, off offset:448
	ds_load_b128 v[164:167], v2 offset:1088
	s_wait_loadcnt_dscnt 0xb01
	v_mul_f64_e32 v[174:175], v[4:5], v[14:15]
	v_mul_f64_e32 v[14:15], v[6:7], v[14:15]
	v_add_f64_e32 v[168:169], 0, v[168:169]
	v_fmac_f64_e32 v[170:171], v[158:159], v[8:9]
	v_fma_f64 v[156:157], v[156:157], v[8:9], -v[10:11]
	v_add_f64_e32 v[158:159], 0, v[172:173]
	scratch_load_b128 v[8:11], off, off offset:464
	v_fmac_f64_e32 v[174:175], v[6:7], v[12:13]
	v_fma_f64 v[176:177], v[4:5], v[12:13], -v[14:15]
	ds_load_b128 v[4:7], v2 offset:1104
	s_wait_loadcnt_dscnt 0xb01
	v_mul_f64_e32 v[172:173], v[164:165], v[18:19]
	v_mul_f64_e32 v[18:19], v[166:167], v[18:19]
	scratch_load_b128 v[12:15], off, off offset:480
	v_add_f64_e32 v[168:169], v[168:169], v[170:171]
	v_add_f64_e32 v[178:179], v[158:159], v[156:157]
	ds_load_b128 v[156:159], v2 offset:1120
	s_wait_loadcnt_dscnt 0xb01
	v_mul_f64_e32 v[170:171], v[4:5], v[22:23]
	v_mul_f64_e32 v[22:23], v[6:7], v[22:23]
	v_fmac_f64_e32 v[172:173], v[166:167], v[16:17]
	v_fma_f64 v[164:165], v[164:165], v[16:17], -v[18:19]
	scratch_load_b128 v[16:19], off, off offset:496
	v_add_f64_e32 v[168:169], v[168:169], v[174:175]
	v_add_f64_e32 v[166:167], v[178:179], v[176:177]
	v_fmac_f64_e32 v[170:171], v[6:7], v[20:21]
	v_fma_f64 v[176:177], v[4:5], v[20:21], -v[22:23]
	ds_load_b128 v[4:7], v2 offset:1136
	s_wait_loadcnt_dscnt 0xb01
	v_mul_f64_e32 v[174:175], v[156:157], v[126:127]
	v_mul_f64_e32 v[126:127], v[158:159], v[126:127]
	scratch_load_b128 v[20:23], off, off offset:512
	v_add_f64_e32 v[168:169], v[168:169], v[172:173]
	s_wait_loadcnt_dscnt 0xb00
	v_mul_f64_e32 v[172:173], v[4:5], v[130:131]
	v_add_f64_e32 v[178:179], v[166:167], v[164:165]
	v_mul_f64_e32 v[130:131], v[6:7], v[130:131]
	ds_load_b128 v[164:167], v2 offset:1152
	v_fmac_f64_e32 v[174:175], v[158:159], v[124:125]
	v_fma_f64 v[156:157], v[156:157], v[124:125], -v[126:127]
	scratch_load_b128 v[124:127], off, off offset:528
	v_add_f64_e32 v[168:169], v[168:169], v[170:171]
	v_fmac_f64_e32 v[172:173], v[6:7], v[128:129]
	v_add_f64_e32 v[158:159], v[178:179], v[176:177]
	v_fma_f64 v[176:177], v[4:5], v[128:129], -v[130:131]
	ds_load_b128 v[4:7], v2 offset:1168
	s_wait_loadcnt_dscnt 0xb01
	v_mul_f64_e32 v[170:171], v[164:165], v[134:135]
	v_mul_f64_e32 v[134:135], v[166:167], v[134:135]
	scratch_load_b128 v[128:131], off, off offset:544
	v_add_f64_e32 v[168:169], v[168:169], v[174:175]
	s_wait_loadcnt_dscnt 0xb00
	v_mul_f64_e32 v[174:175], v[4:5], v[138:139]
	v_add_f64_e32 v[178:179], v[158:159], v[156:157]
	v_mul_f64_e32 v[138:139], v[6:7], v[138:139]
	ds_load_b128 v[156:159], v2 offset:1184
	v_fmac_f64_e32 v[170:171], v[166:167], v[132:133]
	v_fma_f64 v[164:165], v[164:165], v[132:133], -v[134:135]
	scratch_load_b128 v[132:135], off, off offset:560
	v_add_f64_e32 v[168:169], v[168:169], v[172:173]
	v_fmac_f64_e32 v[174:175], v[6:7], v[136:137]
	v_add_f64_e32 v[166:167], v[178:179], v[176:177]
	;; [unrolled: 18-line block ×3, first 2 shown]
	v_fma_f64 v[176:177], v[4:5], v[148:149], -v[150:151]
	ds_load_b128 v[4:7], v2 offset:1232
	s_wait_loadcnt_dscnt 0xa01
	v_mul_f64_e32 v[174:175], v[164:165], v[162:163]
	v_mul_f64_e32 v[162:163], v[166:167], v[162:163]
	scratch_load_b128 v[148:151], off, off offset:608
	v_add_f64_e32 v[168:169], v[168:169], v[172:173]
	v_add_f64_e32 v[178:179], v[158:159], v[156:157]
	s_wait_loadcnt_dscnt 0xa00
	v_mul_f64_e32 v[172:173], v[4:5], v[146:147]
	v_mul_f64_e32 v[146:147], v[6:7], v[146:147]
	v_fmac_f64_e32 v[174:175], v[166:167], v[160:161]
	v_fma_f64 v[164:165], v[164:165], v[160:161], -v[162:163]
	ds_load_b128 v[156:159], v2 offset:1248
	scratch_load_b128 v[160:163], off, off offset:624
	v_add_f64_e32 v[168:169], v[168:169], v[170:171]
	v_add_f64_e32 v[166:167], v[178:179], v[176:177]
	v_fmac_f64_e32 v[172:173], v[6:7], v[144:145]
	v_fma_f64 v[176:177], v[4:5], v[144:145], -v[146:147]
	ds_load_b128 v[4:7], v2 offset:1264
	s_wait_loadcnt_dscnt 0xa01
	v_mul_f64_e32 v[170:171], v[156:157], v[10:11]
	v_mul_f64_e32 v[10:11], v[158:159], v[10:11]
	scratch_load_b128 v[144:147], off, off offset:640
	v_add_f64_e32 v[168:169], v[168:169], v[174:175]
	s_wait_loadcnt_dscnt 0xa00
	v_mul_f64_e32 v[174:175], v[4:5], v[14:15]
	v_add_f64_e32 v[178:179], v[166:167], v[164:165]
	v_mul_f64_e32 v[14:15], v[6:7], v[14:15]
	ds_load_b128 v[164:167], v2 offset:1280
	v_fmac_f64_e32 v[170:171], v[158:159], v[8:9]
	v_fma_f64 v[156:157], v[156:157], v[8:9], -v[10:11]
	scratch_load_b128 v[8:11], off, off offset:656
	v_add_f64_e32 v[168:169], v[168:169], v[172:173]
	v_fmac_f64_e32 v[174:175], v[6:7], v[12:13]
	v_add_f64_e32 v[158:159], v[178:179], v[176:177]
	v_fma_f64 v[176:177], v[4:5], v[12:13], -v[14:15]
	ds_load_b128 v[4:7], v2 offset:1296
	s_wait_loadcnt_dscnt 0xa01
	v_mul_f64_e32 v[172:173], v[164:165], v[18:19]
	v_mul_f64_e32 v[18:19], v[166:167], v[18:19]
	scratch_load_b128 v[12:15], off, off offset:672
	v_add_f64_e32 v[168:169], v[168:169], v[170:171]
	s_wait_loadcnt_dscnt 0xa00
	v_mul_f64_e32 v[170:171], v[4:5], v[22:23]
	v_add_f64_e32 v[178:179], v[158:159], v[156:157]
	v_mul_f64_e32 v[22:23], v[6:7], v[22:23]
	ds_load_b128 v[156:159], v2 offset:1312
	v_fmac_f64_e32 v[172:173], v[166:167], v[16:17]
	v_fma_f64 v[164:165], v[164:165], v[16:17], -v[18:19]
	scratch_load_b128 v[16:19], off, off offset:688
	v_add_f64_e32 v[168:169], v[168:169], v[174:175]
	v_fmac_f64_e32 v[170:171], v[6:7], v[20:21]
	v_add_f64_e32 v[166:167], v[178:179], v[176:177]
	;; [unrolled: 18-line block ×4, first 2 shown]
	v_fma_f64 v[176:177], v[4:5], v[136:137], -v[138:139]
	ds_load_b128 v[4:7], v2 offset:1392
	s_wait_loadcnt_dscnt 0xa01
	v_mul_f64_e32 v[172:173], v[156:157], v[142:143]
	v_mul_f64_e32 v[142:143], v[158:159], v[142:143]
	scratch_load_b128 v[136:139], off, off offset:768
	v_add_f64_e32 v[168:169], v[168:169], v[170:171]
	s_wait_loadcnt_dscnt 0xa00
	v_mul_f64_e32 v[170:171], v[4:5], v[150:151]
	v_add_f64_e32 v[178:179], v[166:167], v[164:165]
	v_mul_f64_e32 v[150:151], v[6:7], v[150:151]
	ds_load_b128 v[164:167], v2 offset:1408
	v_fmac_f64_e32 v[172:173], v[158:159], v[140:141]
	v_fma_f64 v[140:141], v[156:157], v[140:141], -v[142:143]
	s_wait_loadcnt_dscnt 0x900
	v_mul_f64_e32 v[158:159], v[164:165], v[162:163]
	v_mul_f64_e32 v[162:163], v[166:167], v[162:163]
	v_add_f64_e32 v[156:157], v[168:169], v[174:175]
	v_fmac_f64_e32 v[170:171], v[6:7], v[148:149]
	v_add_f64_e32 v[142:143], v[178:179], v[176:177]
	v_fma_f64 v[148:149], v[4:5], v[148:149], -v[150:151]
	v_fmac_f64_e32 v[158:159], v[166:167], v[160:161]
	v_fma_f64 v[160:161], v[164:165], v[160:161], -v[162:163]
	v_add_f64_e32 v[156:157], v[156:157], v[172:173]
	v_add_f64_e32 v[150:151], v[142:143], v[140:141]
	ds_load_b128 v[4:7], v2 offset:1424
	ds_load_b128 v[140:143], v2 offset:1440
	s_wait_loadcnt_dscnt 0x801
	v_mul_f64_e32 v[168:169], v[4:5], v[146:147]
	v_mul_f64_e32 v[146:147], v[6:7], v[146:147]
	v_add_f64_e32 v[148:149], v[150:151], v[148:149]
	v_add_f64_e32 v[150:151], v[156:157], v[170:171]
	s_wait_loadcnt_dscnt 0x700
	v_mul_f64_e32 v[156:157], v[140:141], v[10:11]
	v_mul_f64_e32 v[10:11], v[142:143], v[10:11]
	v_fmac_f64_e32 v[168:169], v[6:7], v[144:145]
	v_fma_f64 v[162:163], v[4:5], v[144:145], -v[146:147]
	ds_load_b128 v[4:7], v2 offset:1456
	ds_load_b128 v[144:147], v2 offset:1472
	v_add_f64_e32 v[148:149], v[148:149], v[160:161]
	v_add_f64_e32 v[150:151], v[150:151], v[158:159]
	v_fmac_f64_e32 v[156:157], v[142:143], v[8:9]
	v_fma_f64 v[8:9], v[140:141], v[8:9], -v[10:11]
	s_wait_loadcnt_dscnt 0x601
	v_mul_f64_e32 v[158:159], v[4:5], v[14:15]
	v_mul_f64_e32 v[14:15], v[6:7], v[14:15]
	s_wait_loadcnt_dscnt 0x500
	v_mul_f64_e32 v[142:143], v[144:145], v[18:19]
	v_mul_f64_e32 v[18:19], v[146:147], v[18:19]
	v_add_f64_e32 v[10:11], v[148:149], v[162:163]
	v_add_f64_e32 v[140:141], v[150:151], v[168:169]
	v_fmac_f64_e32 v[158:159], v[6:7], v[12:13]
	v_fma_f64 v[12:13], v[4:5], v[12:13], -v[14:15]
	v_fmac_f64_e32 v[142:143], v[146:147], v[16:17]
	v_fma_f64 v[16:17], v[144:145], v[16:17], -v[18:19]
	v_add_f64_e32 v[14:15], v[10:11], v[8:9]
	v_add_f64_e32 v[140:141], v[140:141], v[156:157]
	ds_load_b128 v[4:7], v2 offset:1488
	ds_load_b128 v[8:11], v2 offset:1504
	s_wait_loadcnt_dscnt 0x401
	v_mul_f64_e32 v[148:149], v[4:5], v[22:23]
	v_mul_f64_e32 v[22:23], v[6:7], v[22:23]
	s_wait_loadcnt_dscnt 0x300
	v_mul_f64_e32 v[18:19], v[8:9], v[126:127]
	v_mul_f64_e32 v[126:127], v[10:11], v[126:127]
	v_add_f64_e32 v[12:13], v[14:15], v[12:13]
	v_add_f64_e32 v[14:15], v[140:141], v[158:159]
	v_fmac_f64_e32 v[148:149], v[6:7], v[20:21]
	v_fma_f64 v[20:21], v[4:5], v[20:21], -v[22:23]
	v_fmac_f64_e32 v[18:19], v[10:11], v[124:125]
	v_fma_f64 v[8:9], v[8:9], v[124:125], -v[126:127]
	v_add_f64_e32 v[16:17], v[12:13], v[16:17]
	v_add_f64_e32 v[22:23], v[14:15], v[142:143]
	ds_load_b128 v[4:7], v2 offset:1520
	ds_load_b128 v[12:15], v2 offset:1536
	s_wait_loadcnt_dscnt 0x201
	v_mul_f64_e32 v[140:141], v[4:5], v[130:131]
	v_mul_f64_e32 v[130:131], v[6:7], v[130:131]
	v_add_f64_e32 v[10:11], v[16:17], v[20:21]
	v_add_f64_e32 v[16:17], v[22:23], v[148:149]
	s_wait_loadcnt_dscnt 0x100
	v_mul_f64_e32 v[20:21], v[12:13], v[134:135]
	v_mul_f64_e32 v[22:23], v[14:15], v[134:135]
	v_fmac_f64_e32 v[140:141], v[6:7], v[128:129]
	v_fma_f64 v[124:125], v[4:5], v[128:129], -v[130:131]
	ds_load_b128 v[4:7], v2 offset:1552
	v_add_f64_e32 v[8:9], v[10:11], v[8:9]
	v_add_f64_e32 v[10:11], v[16:17], v[18:19]
	v_fmac_f64_e32 v[20:21], v[14:15], v[132:133]
	v_fma_f64 v[12:13], v[12:13], v[132:133], -v[22:23]
	s_wait_loadcnt_dscnt 0x0
	v_mul_f64_e32 v[16:17], v[4:5], v[138:139]
	v_mul_f64_e32 v[18:19], v[6:7], v[138:139]
	v_add_f64_e32 v[8:9], v[8:9], v[124:125]
	v_add_f64_e32 v[10:11], v[10:11], v[140:141]
	s_delay_alu instid0(VALU_DEP_4) | instskip(NEXT) | instid1(VALU_DEP_4)
	v_fmac_f64_e32 v[16:17], v[6:7], v[136:137]
	v_fma_f64 v[4:5], v[4:5], v[136:137], -v[18:19]
	s_delay_alu instid0(VALU_DEP_4) | instskip(NEXT) | instid1(VALU_DEP_4)
	v_add_f64_e32 v[6:7], v[8:9], v[12:13]
	v_add_f64_e32 v[8:9], v[10:11], v[20:21]
	s_delay_alu instid0(VALU_DEP_2) | instskip(NEXT) | instid1(VALU_DEP_2)
	v_add_f64_e32 v[4:5], v[6:7], v[4:5]
	v_add_f64_e32 v[6:7], v[8:9], v[16:17]
	s_delay_alu instid0(VALU_DEP_2) | instskip(NEXT) | instid1(VALU_DEP_2)
	v_add_f64_e64 v[4:5], v[152:153], -v[4:5]
	v_add_f64_e64 v[6:7], v[154:155], -v[6:7]
	scratch_store_b128 off, v[4:7], off offset:240
	s_wait_xcnt 0x0
	v_cmpx_lt_u32_e32 14, v1
	s_cbranch_execz .LBB48_279
; %bb.278:
	scratch_load_b128 v[6:9], off, s60
	v_dual_mov_b32 v3, v2 :: v_dual_mov_b32 v4, v2
	v_mov_b32_e32 v5, v2
	scratch_store_b128 off, v[2:5], off offset:224
	s_wait_loadcnt 0x0
	ds_store_b128 v122, v[6:9]
.LBB48_279:
	s_wait_xcnt 0x0
	s_or_b32 exec_lo, exec_lo, s2
	s_wait_storecnt_dscnt 0x0
	s_barrier_signal -1
	s_barrier_wait -1
	s_clause 0x9
	scratch_load_b128 v[4:7], off, off offset:240
	scratch_load_b128 v[8:11], off, off offset:256
	;; [unrolled: 1-line block ×10, first 2 shown]
	ds_load_b128 v[144:147], v2 offset:1024
	ds_load_b128 v[152:155], v2 offset:1040
	s_clause 0x2
	scratch_load_b128 v[148:151], off, off offset:400
	scratch_load_b128 v[156:159], off, off offset:224
	;; [unrolled: 1-line block ×3, first 2 shown]
	s_mov_b32 s2, exec_lo
	s_wait_loadcnt_dscnt 0xc01
	v_mul_f64_e32 v[164:165], v[146:147], v[6:7]
	v_mul_f64_e32 v[168:169], v[144:145], v[6:7]
	s_wait_loadcnt_dscnt 0xb00
	v_mul_f64_e32 v[170:171], v[152:153], v[10:11]
	v_mul_f64_e32 v[10:11], v[154:155], v[10:11]
	s_delay_alu instid0(VALU_DEP_4) | instskip(NEXT) | instid1(VALU_DEP_4)
	v_fma_f64 v[172:173], v[144:145], v[4:5], -v[164:165]
	v_fmac_f64_e32 v[168:169], v[146:147], v[4:5]
	ds_load_b128 v[4:7], v2 offset:1056
	ds_load_b128 v[144:147], v2 offset:1072
	scratch_load_b128 v[164:167], off, off offset:432
	v_fmac_f64_e32 v[170:171], v[154:155], v[8:9]
	v_fma_f64 v[152:153], v[152:153], v[8:9], -v[10:11]
	scratch_load_b128 v[8:11], off, off offset:448
	s_wait_loadcnt_dscnt 0xc01
	v_mul_f64_e32 v[174:175], v[4:5], v[14:15]
	v_mul_f64_e32 v[14:15], v[6:7], v[14:15]
	v_add_f64_e32 v[154:155], 0, v[172:173]
	v_add_f64_e32 v[168:169], 0, v[168:169]
	s_wait_loadcnt_dscnt 0xb00
	v_mul_f64_e32 v[172:173], v[144:145], v[18:19]
	v_mul_f64_e32 v[18:19], v[146:147], v[18:19]
	v_fmac_f64_e32 v[174:175], v[6:7], v[12:13]
	v_fma_f64 v[176:177], v[4:5], v[12:13], -v[14:15]
	ds_load_b128 v[4:7], v2 offset:1088
	ds_load_b128 v[12:15], v2 offset:1104
	v_add_f64_e32 v[178:179], v[154:155], v[152:153]
	v_add_f64_e32 v[168:169], v[168:169], v[170:171]
	scratch_load_b128 v[152:155], off, off offset:464
	v_fmac_f64_e32 v[172:173], v[146:147], v[16:17]
	v_fma_f64 v[144:145], v[144:145], v[16:17], -v[18:19]
	scratch_load_b128 v[16:19], off, off offset:480
	s_wait_loadcnt_dscnt 0xc01
	v_mul_f64_e32 v[170:171], v[4:5], v[22:23]
	v_mul_f64_e32 v[22:23], v[6:7], v[22:23]
	v_add_f64_e32 v[146:147], v[178:179], v[176:177]
	v_add_f64_e32 v[168:169], v[168:169], v[174:175]
	s_wait_loadcnt_dscnt 0xb00
	v_mul_f64_e32 v[174:175], v[12:13], v[126:127]
	v_mul_f64_e32 v[126:127], v[14:15], v[126:127]
	v_fmac_f64_e32 v[170:171], v[6:7], v[20:21]
	v_fma_f64 v[176:177], v[4:5], v[20:21], -v[22:23]
	ds_load_b128 v[4:7], v2 offset:1120
	ds_load_b128 v[20:23], v2 offset:1136
	v_add_f64_e32 v[178:179], v[146:147], v[144:145]
	v_add_f64_e32 v[168:169], v[168:169], v[172:173]
	scratch_load_b128 v[144:147], off, off offset:496
	s_wait_loadcnt_dscnt 0xb01
	v_mul_f64_e32 v[172:173], v[4:5], v[130:131]
	v_mul_f64_e32 v[130:131], v[6:7], v[130:131]
	v_fmac_f64_e32 v[174:175], v[14:15], v[124:125]
	v_fma_f64 v[124:125], v[12:13], v[124:125], -v[126:127]
	scratch_load_b128 v[12:15], off, off offset:512
	v_add_f64_e32 v[126:127], v[178:179], v[176:177]
	v_add_f64_e32 v[168:169], v[168:169], v[170:171]
	s_wait_loadcnt_dscnt 0xb00
	v_mul_f64_e32 v[170:171], v[20:21], v[134:135]
	v_mul_f64_e32 v[134:135], v[22:23], v[134:135]
	v_fmac_f64_e32 v[172:173], v[6:7], v[128:129]
	v_fma_f64 v[176:177], v[4:5], v[128:129], -v[130:131]
	v_add_f64_e32 v[178:179], v[126:127], v[124:125]
	v_add_f64_e32 v[168:169], v[168:169], v[174:175]
	ds_load_b128 v[4:7], v2 offset:1152
	ds_load_b128 v[124:127], v2 offset:1168
	scratch_load_b128 v[128:131], off, off offset:528
	v_fmac_f64_e32 v[170:171], v[22:23], v[132:133]
	v_fma_f64 v[132:133], v[20:21], v[132:133], -v[134:135]
	scratch_load_b128 v[20:23], off, off offset:544
	s_wait_loadcnt_dscnt 0xc01
	v_mul_f64_e32 v[174:175], v[4:5], v[138:139]
	v_mul_f64_e32 v[138:139], v[6:7], v[138:139]
	v_add_f64_e32 v[134:135], v[178:179], v[176:177]
	v_add_f64_e32 v[168:169], v[168:169], v[172:173]
	s_wait_loadcnt_dscnt 0xb00
	v_mul_f64_e32 v[172:173], v[124:125], v[142:143]
	v_mul_f64_e32 v[142:143], v[126:127], v[142:143]
	v_fmac_f64_e32 v[174:175], v[6:7], v[136:137]
	v_fma_f64 v[176:177], v[4:5], v[136:137], -v[138:139]
	v_add_f64_e32 v[178:179], v[134:135], v[132:133]
	v_add_f64_e32 v[168:169], v[168:169], v[170:171]
	ds_load_b128 v[4:7], v2 offset:1184
	ds_load_b128 v[132:135], v2 offset:1200
	scratch_load_b128 v[136:139], off, off offset:560
	v_fmac_f64_e32 v[172:173], v[126:127], v[140:141]
	v_fma_f64 v[140:141], v[124:125], v[140:141], -v[142:143]
	scratch_load_b128 v[124:127], off, off offset:576
	s_wait_loadcnt_dscnt 0xc01
	v_mul_f64_e32 v[170:171], v[4:5], v[150:151]
	v_mul_f64_e32 v[150:151], v[6:7], v[150:151]
	;; [unrolled: 18-line block ×5, first 2 shown]
	v_add_f64_e32 v[162:163], v[178:179], v[176:177]
	v_add_f64_e32 v[168:169], v[168:169], v[174:175]
	s_wait_loadcnt_dscnt 0xa00
	v_mul_f64_e32 v[174:175], v[140:141], v[14:15]
	v_mul_f64_e32 v[14:15], v[142:143], v[14:15]
	v_fmac_f64_e32 v[170:171], v[6:7], v[144:145]
	v_fma_f64 v[176:177], v[4:5], v[144:145], -v[146:147]
	ds_load_b128 v[4:7], v2 offset:1312
	ds_load_b128 v[144:147], v2 offset:1328
	v_add_f64_e32 v[178:179], v[162:163], v[160:161]
	v_add_f64_e32 v[168:169], v[168:169], v[172:173]
	scratch_load_b128 v[160:163], off, off offset:688
	v_fmac_f64_e32 v[174:175], v[142:143], v[12:13]
	v_fma_f64 v[140:141], v[140:141], v[12:13], -v[14:15]
	scratch_load_b128 v[12:15], off, off offset:704
	s_wait_loadcnt_dscnt 0xb01
	v_mul_f64_e32 v[172:173], v[4:5], v[130:131]
	v_mul_f64_e32 v[130:131], v[6:7], v[130:131]
	v_add_f64_e32 v[142:143], v[178:179], v[176:177]
	v_add_f64_e32 v[168:169], v[168:169], v[170:171]
	s_wait_loadcnt_dscnt 0xa00
	v_mul_f64_e32 v[170:171], v[144:145], v[22:23]
	v_mul_f64_e32 v[22:23], v[146:147], v[22:23]
	v_fmac_f64_e32 v[172:173], v[6:7], v[128:129]
	v_fma_f64 v[176:177], v[4:5], v[128:129], -v[130:131]
	ds_load_b128 v[4:7], v2 offset:1344
	ds_load_b128 v[128:131], v2 offset:1360
	v_add_f64_e32 v[178:179], v[142:143], v[140:141]
	v_add_f64_e32 v[168:169], v[168:169], v[174:175]
	scratch_load_b128 v[140:143], off, off offset:720
	s_wait_loadcnt_dscnt 0xa01
	v_mul_f64_e32 v[174:175], v[4:5], v[138:139]
	v_mul_f64_e32 v[138:139], v[6:7], v[138:139]
	v_fmac_f64_e32 v[170:171], v[146:147], v[20:21]
	v_fma_f64 v[144:145], v[144:145], v[20:21], -v[22:23]
	scratch_load_b128 v[20:23], off, off offset:736
	v_add_f64_e32 v[146:147], v[178:179], v[176:177]
	v_add_f64_e32 v[168:169], v[168:169], v[172:173]
	s_wait_loadcnt_dscnt 0xa00
	v_mul_f64_e32 v[172:173], v[128:129], v[126:127]
	v_mul_f64_e32 v[126:127], v[130:131], v[126:127]
	v_fmac_f64_e32 v[174:175], v[6:7], v[136:137]
	v_fma_f64 v[176:177], v[4:5], v[136:137], -v[138:139]
	ds_load_b128 v[4:7], v2 offset:1376
	ds_load_b128 v[136:139], v2 offset:1392
	v_add_f64_e32 v[178:179], v[146:147], v[144:145]
	v_add_f64_e32 v[168:169], v[168:169], v[170:171]
	scratch_load_b128 v[144:147], off, off offset:752
	s_wait_loadcnt_dscnt 0xa01
	v_mul_f64_e32 v[170:171], v[4:5], v[150:151]
	v_mul_f64_e32 v[150:151], v[6:7], v[150:151]
	v_fmac_f64_e32 v[172:173], v[130:131], v[124:125]
	v_fma_f64 v[128:129], v[128:129], v[124:125], -v[126:127]
	scratch_load_b128 v[124:127], off, off offset:768
	v_add_f64_e32 v[130:131], v[178:179], v[176:177]
	v_add_f64_e32 v[168:169], v[168:169], v[174:175]
	s_wait_loadcnt_dscnt 0xa00
	v_mul_f64_e32 v[174:175], v[136:137], v[134:135]
	v_mul_f64_e32 v[134:135], v[138:139], v[134:135]
	v_fmac_f64_e32 v[170:171], v[6:7], v[148:149]
	v_fma_f64 v[148:149], v[4:5], v[148:149], -v[150:151]
	v_add_f64_e32 v[150:151], v[130:131], v[128:129]
	v_add_f64_e32 v[168:169], v[168:169], v[172:173]
	ds_load_b128 v[4:7], v2 offset:1408
	ds_load_b128 v[128:131], v2 offset:1424
	v_fmac_f64_e32 v[174:175], v[138:139], v[132:133]
	v_fma_f64 v[132:133], v[136:137], v[132:133], -v[134:135]
	s_wait_loadcnt_dscnt 0x901
	v_mul_f64_e32 v[172:173], v[4:5], v[166:167]
	v_mul_f64_e32 v[166:167], v[6:7], v[166:167]
	s_wait_loadcnt_dscnt 0x800
	v_mul_f64_e32 v[138:139], v[128:129], v[10:11]
	v_mul_f64_e32 v[10:11], v[130:131], v[10:11]
	v_add_f64_e32 v[134:135], v[150:151], v[148:149]
	v_add_f64_e32 v[136:137], v[168:169], v[170:171]
	v_fmac_f64_e32 v[172:173], v[6:7], v[164:165]
	v_fma_f64 v[148:149], v[4:5], v[164:165], -v[166:167]
	v_fmac_f64_e32 v[138:139], v[130:131], v[8:9]
	v_fma_f64 v[8:9], v[128:129], v[8:9], -v[10:11]
	v_add_f64_e32 v[150:151], v[134:135], v[132:133]
	v_add_f64_e32 v[136:137], v[136:137], v[174:175]
	ds_load_b128 v[4:7], v2 offset:1440
	ds_load_b128 v[132:135], v2 offset:1456
	s_wait_loadcnt_dscnt 0x701
	v_mul_f64_e32 v[164:165], v[4:5], v[154:155]
	v_mul_f64_e32 v[154:155], v[6:7], v[154:155]
	s_wait_loadcnt_dscnt 0x600
	v_mul_f64_e32 v[130:131], v[132:133], v[18:19]
	v_mul_f64_e32 v[18:19], v[134:135], v[18:19]
	v_add_f64_e32 v[10:11], v[150:151], v[148:149]
	v_add_f64_e32 v[128:129], v[136:137], v[172:173]
	v_fmac_f64_e32 v[164:165], v[6:7], v[152:153]
	v_fma_f64 v[136:137], v[4:5], v[152:153], -v[154:155]
	v_fmac_f64_e32 v[130:131], v[134:135], v[16:17]
	v_fma_f64 v[16:17], v[132:133], v[16:17], -v[18:19]
	v_add_f64_e32 v[148:149], v[10:11], v[8:9]
	v_add_f64_e32 v[128:129], v[128:129], v[138:139]
	ds_load_b128 v[4:7], v2 offset:1472
	ds_load_b128 v[8:11], v2 offset:1488
	;; [unrolled: 16-line block ×3, first 2 shown]
	s_wait_loadcnt_dscnt 0x301
	v_mul_f64_e32 v[130:131], v[4:5], v[142:143]
	v_mul_f64_e32 v[142:143], v[6:7], v[142:143]
	v_add_f64_e32 v[10:11], v[18:19], v[136:137]
	v_add_f64_e32 v[12:13], v[128:129], v[138:139]
	s_wait_loadcnt_dscnt 0x200
	v_mul_f64_e32 v[18:19], v[14:15], v[22:23]
	v_mul_f64_e32 v[22:23], v[16:17], v[22:23]
	v_fmac_f64_e32 v[130:131], v[6:7], v[140:141]
	v_fma_f64 v[128:129], v[4:5], v[140:141], -v[142:143]
	v_add_f64_e32 v[134:135], v[10:11], v[8:9]
	v_add_f64_e32 v[12:13], v[12:13], v[132:133]
	ds_load_b128 v[4:7], v2 offset:1536
	ds_load_b128 v[8:11], v2 offset:1552
	v_fmac_f64_e32 v[18:19], v[16:17], v[20:21]
	v_fma_f64 v[14:15], v[14:15], v[20:21], -v[22:23]
	s_wait_loadcnt_dscnt 0x101
	v_mul_f64_e32 v[2:3], v[4:5], v[146:147]
	v_mul_f64_e32 v[132:133], v[6:7], v[146:147]
	s_wait_loadcnt_dscnt 0x0
	v_mul_f64_e32 v[20:21], v[8:9], v[126:127]
	v_mul_f64_e32 v[22:23], v[10:11], v[126:127]
	v_add_f64_e32 v[16:17], v[134:135], v[128:129]
	v_add_f64_e32 v[12:13], v[12:13], v[130:131]
	v_fmac_f64_e32 v[2:3], v[6:7], v[144:145]
	v_fma_f64 v[4:5], v[4:5], v[144:145], -v[132:133]
	v_fmac_f64_e32 v[20:21], v[10:11], v[124:125]
	v_fma_f64 v[8:9], v[8:9], v[124:125], -v[22:23]
	v_add_f64_e32 v[6:7], v[16:17], v[14:15]
	v_add_f64_e32 v[12:13], v[12:13], v[18:19]
	s_delay_alu instid0(VALU_DEP_2) | instskip(NEXT) | instid1(VALU_DEP_2)
	v_add_f64_e32 v[4:5], v[6:7], v[4:5]
	v_add_f64_e32 v[2:3], v[12:13], v[2:3]
	s_delay_alu instid0(VALU_DEP_2) | instskip(NEXT) | instid1(VALU_DEP_2)
	;; [unrolled: 3-line block ×3, first 2 shown]
	v_add_f64_e64 v[2:3], v[156:157], -v[4:5]
	v_add_f64_e64 v[4:5], v[158:159], -v[6:7]
	scratch_store_b128 off, v[2:5], off offset:224
	s_wait_xcnt 0x0
	v_cmpx_lt_u32_e32 13, v1
	s_cbranch_execz .LBB48_281
; %bb.280:
	scratch_load_b128 v[2:5], off, s59
	v_mov_b32_e32 v6, 0
	s_delay_alu instid0(VALU_DEP_1)
	v_dual_mov_b32 v7, v6 :: v_dual_mov_b32 v8, v6
	v_mov_b32_e32 v9, v6
	scratch_store_b128 off, v[6:9], off offset:208
	s_wait_loadcnt 0x0
	ds_store_b128 v122, v[2:5]
.LBB48_281:
	s_wait_xcnt 0x0
	s_or_b32 exec_lo, exec_lo, s2
	s_wait_storecnt_dscnt 0x0
	s_barrier_signal -1
	s_barrier_wait -1
	s_clause 0x9
	scratch_load_b128 v[4:7], off, off offset:224
	scratch_load_b128 v[8:11], off, off offset:240
	;; [unrolled: 1-line block ×10, first 2 shown]
	v_mov_b32_e32 v2, 0
	s_mov_b32 s2, exec_lo
	ds_load_b128 v[144:147], v2 offset:1008
	s_clause 0x2
	scratch_load_b128 v[148:151], off, off offset:384
	scratch_load_b128 v[152:155], off, off offset:208
	;; [unrolled: 1-line block ×3, first 2 shown]
	s_wait_loadcnt_dscnt 0xc00
	v_mul_f64_e32 v[164:165], v[146:147], v[6:7]
	v_mul_f64_e32 v[168:169], v[144:145], v[6:7]
	ds_load_b128 v[156:159], v2 offset:1024
	v_fma_f64 v[172:173], v[144:145], v[4:5], -v[164:165]
	v_fmac_f64_e32 v[168:169], v[146:147], v[4:5]
	ds_load_b128 v[4:7], v2 offset:1040
	s_wait_loadcnt_dscnt 0xb01
	v_mul_f64_e32 v[170:171], v[156:157], v[10:11]
	v_mul_f64_e32 v[10:11], v[158:159], v[10:11]
	scratch_load_b128 v[144:147], off, off offset:416
	ds_load_b128 v[164:167], v2 offset:1056
	s_wait_loadcnt_dscnt 0xb01
	v_mul_f64_e32 v[174:175], v[4:5], v[14:15]
	v_mul_f64_e32 v[14:15], v[6:7], v[14:15]
	v_add_f64_e32 v[168:169], 0, v[168:169]
	v_fmac_f64_e32 v[170:171], v[158:159], v[8:9]
	v_fma_f64 v[156:157], v[156:157], v[8:9], -v[10:11]
	v_add_f64_e32 v[158:159], 0, v[172:173]
	scratch_load_b128 v[8:11], off, off offset:432
	v_fmac_f64_e32 v[174:175], v[6:7], v[12:13]
	v_fma_f64 v[176:177], v[4:5], v[12:13], -v[14:15]
	ds_load_b128 v[4:7], v2 offset:1072
	s_wait_loadcnt_dscnt 0xb01
	v_mul_f64_e32 v[172:173], v[164:165], v[18:19]
	v_mul_f64_e32 v[18:19], v[166:167], v[18:19]
	scratch_load_b128 v[12:15], off, off offset:448
	v_add_f64_e32 v[168:169], v[168:169], v[170:171]
	v_add_f64_e32 v[178:179], v[158:159], v[156:157]
	ds_load_b128 v[156:159], v2 offset:1088
	s_wait_loadcnt_dscnt 0xb01
	v_mul_f64_e32 v[170:171], v[4:5], v[22:23]
	v_mul_f64_e32 v[22:23], v[6:7], v[22:23]
	v_fmac_f64_e32 v[172:173], v[166:167], v[16:17]
	v_fma_f64 v[164:165], v[164:165], v[16:17], -v[18:19]
	scratch_load_b128 v[16:19], off, off offset:464
	v_add_f64_e32 v[168:169], v[168:169], v[174:175]
	v_add_f64_e32 v[166:167], v[178:179], v[176:177]
	v_fmac_f64_e32 v[170:171], v[6:7], v[20:21]
	v_fma_f64 v[176:177], v[4:5], v[20:21], -v[22:23]
	ds_load_b128 v[4:7], v2 offset:1104
	s_wait_loadcnt_dscnt 0xb01
	v_mul_f64_e32 v[174:175], v[156:157], v[126:127]
	v_mul_f64_e32 v[126:127], v[158:159], v[126:127]
	scratch_load_b128 v[20:23], off, off offset:480
	v_add_f64_e32 v[168:169], v[168:169], v[172:173]
	s_wait_loadcnt_dscnt 0xb00
	v_mul_f64_e32 v[172:173], v[4:5], v[130:131]
	v_add_f64_e32 v[178:179], v[166:167], v[164:165]
	v_mul_f64_e32 v[130:131], v[6:7], v[130:131]
	ds_load_b128 v[164:167], v2 offset:1120
	v_fmac_f64_e32 v[174:175], v[158:159], v[124:125]
	v_fma_f64 v[156:157], v[156:157], v[124:125], -v[126:127]
	scratch_load_b128 v[124:127], off, off offset:496
	v_add_f64_e32 v[168:169], v[168:169], v[170:171]
	v_fmac_f64_e32 v[172:173], v[6:7], v[128:129]
	v_add_f64_e32 v[158:159], v[178:179], v[176:177]
	v_fma_f64 v[176:177], v[4:5], v[128:129], -v[130:131]
	ds_load_b128 v[4:7], v2 offset:1136
	s_wait_loadcnt_dscnt 0xb01
	v_mul_f64_e32 v[170:171], v[164:165], v[134:135]
	v_mul_f64_e32 v[134:135], v[166:167], v[134:135]
	scratch_load_b128 v[128:131], off, off offset:512
	v_add_f64_e32 v[168:169], v[168:169], v[174:175]
	s_wait_loadcnt_dscnt 0xb00
	v_mul_f64_e32 v[174:175], v[4:5], v[138:139]
	v_add_f64_e32 v[178:179], v[158:159], v[156:157]
	v_mul_f64_e32 v[138:139], v[6:7], v[138:139]
	ds_load_b128 v[156:159], v2 offset:1152
	v_fmac_f64_e32 v[170:171], v[166:167], v[132:133]
	v_fma_f64 v[164:165], v[164:165], v[132:133], -v[134:135]
	scratch_load_b128 v[132:135], off, off offset:528
	v_add_f64_e32 v[168:169], v[168:169], v[172:173]
	v_fmac_f64_e32 v[174:175], v[6:7], v[136:137]
	v_add_f64_e32 v[166:167], v[178:179], v[176:177]
	;; [unrolled: 18-line block ×3, first 2 shown]
	v_fma_f64 v[176:177], v[4:5], v[148:149], -v[150:151]
	ds_load_b128 v[4:7], v2 offset:1200
	s_wait_loadcnt_dscnt 0xa01
	v_mul_f64_e32 v[174:175], v[164:165], v[162:163]
	v_mul_f64_e32 v[162:163], v[166:167], v[162:163]
	scratch_load_b128 v[148:151], off, off offset:576
	v_add_f64_e32 v[168:169], v[168:169], v[172:173]
	v_add_f64_e32 v[178:179], v[158:159], v[156:157]
	s_wait_loadcnt_dscnt 0xa00
	v_mul_f64_e32 v[172:173], v[4:5], v[146:147]
	v_mul_f64_e32 v[146:147], v[6:7], v[146:147]
	v_fmac_f64_e32 v[174:175], v[166:167], v[160:161]
	v_fma_f64 v[164:165], v[164:165], v[160:161], -v[162:163]
	ds_load_b128 v[156:159], v2 offset:1216
	scratch_load_b128 v[160:163], off, off offset:592
	v_add_f64_e32 v[168:169], v[168:169], v[170:171]
	v_add_f64_e32 v[166:167], v[178:179], v[176:177]
	v_fmac_f64_e32 v[172:173], v[6:7], v[144:145]
	v_fma_f64 v[176:177], v[4:5], v[144:145], -v[146:147]
	ds_load_b128 v[4:7], v2 offset:1232
	s_wait_loadcnt_dscnt 0xa01
	v_mul_f64_e32 v[170:171], v[156:157], v[10:11]
	v_mul_f64_e32 v[10:11], v[158:159], v[10:11]
	scratch_load_b128 v[144:147], off, off offset:608
	v_add_f64_e32 v[168:169], v[168:169], v[174:175]
	s_wait_loadcnt_dscnt 0xa00
	v_mul_f64_e32 v[174:175], v[4:5], v[14:15]
	v_add_f64_e32 v[178:179], v[166:167], v[164:165]
	v_mul_f64_e32 v[14:15], v[6:7], v[14:15]
	ds_load_b128 v[164:167], v2 offset:1248
	v_fmac_f64_e32 v[170:171], v[158:159], v[8:9]
	v_fma_f64 v[156:157], v[156:157], v[8:9], -v[10:11]
	scratch_load_b128 v[8:11], off, off offset:624
	v_add_f64_e32 v[168:169], v[168:169], v[172:173]
	v_fmac_f64_e32 v[174:175], v[6:7], v[12:13]
	v_add_f64_e32 v[158:159], v[178:179], v[176:177]
	v_fma_f64 v[176:177], v[4:5], v[12:13], -v[14:15]
	ds_load_b128 v[4:7], v2 offset:1264
	s_wait_loadcnt_dscnt 0xa01
	v_mul_f64_e32 v[172:173], v[164:165], v[18:19]
	v_mul_f64_e32 v[18:19], v[166:167], v[18:19]
	scratch_load_b128 v[12:15], off, off offset:640
	v_add_f64_e32 v[168:169], v[168:169], v[170:171]
	s_wait_loadcnt_dscnt 0xa00
	v_mul_f64_e32 v[170:171], v[4:5], v[22:23]
	v_add_f64_e32 v[178:179], v[158:159], v[156:157]
	v_mul_f64_e32 v[22:23], v[6:7], v[22:23]
	ds_load_b128 v[156:159], v2 offset:1280
	v_fmac_f64_e32 v[172:173], v[166:167], v[16:17]
	v_fma_f64 v[164:165], v[164:165], v[16:17], -v[18:19]
	scratch_load_b128 v[16:19], off, off offset:656
	v_add_f64_e32 v[168:169], v[168:169], v[174:175]
	v_fmac_f64_e32 v[170:171], v[6:7], v[20:21]
	v_add_f64_e32 v[166:167], v[178:179], v[176:177]
	;; [unrolled: 18-line block ×5, first 2 shown]
	v_fma_f64 v[176:177], v[4:5], v[148:149], -v[150:151]
	ds_load_b128 v[4:7], v2 offset:1392
	s_wait_loadcnt_dscnt 0xa01
	v_mul_f64_e32 v[174:175], v[164:165], v[162:163]
	v_mul_f64_e32 v[162:163], v[166:167], v[162:163]
	scratch_load_b128 v[148:151], off, off offset:768
	v_add_f64_e32 v[168:169], v[168:169], v[172:173]
	s_wait_loadcnt_dscnt 0xa00
	v_mul_f64_e32 v[172:173], v[4:5], v[146:147]
	v_add_f64_e32 v[178:179], v[158:159], v[156:157]
	v_mul_f64_e32 v[146:147], v[6:7], v[146:147]
	ds_load_b128 v[156:159], v2 offset:1408
	v_fmac_f64_e32 v[174:175], v[166:167], v[160:161]
	v_fma_f64 v[160:161], v[164:165], v[160:161], -v[162:163]
	s_wait_loadcnt_dscnt 0x900
	v_mul_f64_e32 v[166:167], v[156:157], v[10:11]
	v_mul_f64_e32 v[10:11], v[158:159], v[10:11]
	v_add_f64_e32 v[164:165], v[168:169], v[170:171]
	v_fmac_f64_e32 v[172:173], v[6:7], v[144:145]
	v_add_f64_e32 v[162:163], v[178:179], v[176:177]
	v_fma_f64 v[168:169], v[4:5], v[144:145], -v[146:147]
	ds_load_b128 v[4:7], v2 offset:1424
	ds_load_b128 v[144:147], v2 offset:1440
	v_fmac_f64_e32 v[166:167], v[158:159], v[8:9]
	v_fma_f64 v[8:9], v[156:157], v[8:9], -v[10:11]
	v_add_f64_e32 v[160:161], v[162:163], v[160:161]
	v_add_f64_e32 v[162:163], v[164:165], v[174:175]
	s_wait_loadcnt_dscnt 0x801
	v_mul_f64_e32 v[164:165], v[4:5], v[14:15]
	v_mul_f64_e32 v[14:15], v[6:7], v[14:15]
	s_wait_loadcnt_dscnt 0x700
	v_mul_f64_e32 v[158:159], v[144:145], v[18:19]
	v_mul_f64_e32 v[18:19], v[146:147], v[18:19]
	v_add_f64_e32 v[10:11], v[160:161], v[168:169]
	v_add_f64_e32 v[156:157], v[162:163], v[172:173]
	v_fmac_f64_e32 v[164:165], v[6:7], v[12:13]
	v_fma_f64 v[12:13], v[4:5], v[12:13], -v[14:15]
	v_fmac_f64_e32 v[158:159], v[146:147], v[16:17]
	v_fma_f64 v[16:17], v[144:145], v[16:17], -v[18:19]
	v_add_f64_e32 v[14:15], v[10:11], v[8:9]
	v_add_f64_e32 v[156:157], v[156:157], v[166:167]
	ds_load_b128 v[4:7], v2 offset:1456
	ds_load_b128 v[8:11], v2 offset:1472
	s_wait_loadcnt_dscnt 0x601
	v_mul_f64_e32 v[160:161], v[4:5], v[22:23]
	v_mul_f64_e32 v[22:23], v[6:7], v[22:23]
	s_wait_loadcnt_dscnt 0x500
	v_mul_f64_e32 v[18:19], v[8:9], v[126:127]
	v_mul_f64_e32 v[126:127], v[10:11], v[126:127]
	v_add_f64_e32 v[12:13], v[14:15], v[12:13]
	v_add_f64_e32 v[14:15], v[156:157], v[164:165]
	v_fmac_f64_e32 v[160:161], v[6:7], v[20:21]
	v_fma_f64 v[20:21], v[4:5], v[20:21], -v[22:23]
	v_fmac_f64_e32 v[18:19], v[10:11], v[124:125]
	v_fma_f64 v[8:9], v[8:9], v[124:125], -v[126:127]
	v_add_f64_e32 v[16:17], v[12:13], v[16:17]
	v_add_f64_e32 v[22:23], v[14:15], v[158:159]
	ds_load_b128 v[4:7], v2 offset:1488
	ds_load_b128 v[12:15], v2 offset:1504
	s_wait_loadcnt_dscnt 0x401
	v_mul_f64_e32 v[144:145], v[4:5], v[130:131]
	v_mul_f64_e32 v[130:131], v[6:7], v[130:131]
	v_add_f64_e32 v[10:11], v[16:17], v[20:21]
	v_add_f64_e32 v[16:17], v[22:23], v[160:161]
	s_wait_loadcnt_dscnt 0x300
	v_mul_f64_e32 v[20:21], v[12:13], v[134:135]
	v_mul_f64_e32 v[22:23], v[14:15], v[134:135]
	v_fmac_f64_e32 v[144:145], v[6:7], v[128:129]
	v_fma_f64 v[124:125], v[4:5], v[128:129], -v[130:131]
	v_add_f64_e32 v[126:127], v[10:11], v[8:9]
	v_add_f64_e32 v[16:17], v[16:17], v[18:19]
	ds_load_b128 v[4:7], v2 offset:1520
	ds_load_b128 v[8:11], v2 offset:1536
	v_fmac_f64_e32 v[20:21], v[14:15], v[132:133]
	v_fma_f64 v[12:13], v[12:13], v[132:133], -v[22:23]
	s_wait_loadcnt_dscnt 0x201
	v_mul_f64_e32 v[18:19], v[4:5], v[138:139]
	v_mul_f64_e32 v[128:129], v[6:7], v[138:139]
	s_wait_loadcnt_dscnt 0x100
	v_mul_f64_e32 v[22:23], v[8:9], v[142:143]
	v_add_f64_e32 v[14:15], v[126:127], v[124:125]
	v_add_f64_e32 v[16:17], v[16:17], v[144:145]
	v_mul_f64_e32 v[124:125], v[10:11], v[142:143]
	v_fmac_f64_e32 v[18:19], v[6:7], v[136:137]
	v_fma_f64 v[126:127], v[4:5], v[136:137], -v[128:129]
	ds_load_b128 v[4:7], v2 offset:1552
	v_fmac_f64_e32 v[22:23], v[10:11], v[140:141]
	v_add_f64_e32 v[12:13], v[14:15], v[12:13]
	v_add_f64_e32 v[14:15], v[16:17], v[20:21]
	v_fma_f64 v[8:9], v[8:9], v[140:141], -v[124:125]
	s_wait_loadcnt_dscnt 0x0
	v_mul_f64_e32 v[16:17], v[4:5], v[150:151]
	v_mul_f64_e32 v[20:21], v[6:7], v[150:151]
	v_add_f64_e32 v[10:11], v[12:13], v[126:127]
	v_add_f64_e32 v[12:13], v[14:15], v[18:19]
	s_delay_alu instid0(VALU_DEP_4) | instskip(NEXT) | instid1(VALU_DEP_4)
	v_fmac_f64_e32 v[16:17], v[6:7], v[148:149]
	v_fma_f64 v[4:5], v[4:5], v[148:149], -v[20:21]
	s_delay_alu instid0(VALU_DEP_4) | instskip(NEXT) | instid1(VALU_DEP_4)
	v_add_f64_e32 v[6:7], v[10:11], v[8:9]
	v_add_f64_e32 v[8:9], v[12:13], v[22:23]
	s_delay_alu instid0(VALU_DEP_2) | instskip(NEXT) | instid1(VALU_DEP_2)
	v_add_f64_e32 v[4:5], v[6:7], v[4:5]
	v_add_f64_e32 v[6:7], v[8:9], v[16:17]
	s_delay_alu instid0(VALU_DEP_2) | instskip(NEXT) | instid1(VALU_DEP_2)
	v_add_f64_e64 v[4:5], v[152:153], -v[4:5]
	v_add_f64_e64 v[6:7], v[154:155], -v[6:7]
	scratch_store_b128 off, v[4:7], off offset:208
	s_wait_xcnt 0x0
	v_cmpx_lt_u32_e32 12, v1
	s_cbranch_execz .LBB48_283
; %bb.282:
	scratch_load_b128 v[6:9], off, s58
	v_dual_mov_b32 v3, v2 :: v_dual_mov_b32 v4, v2
	v_mov_b32_e32 v5, v2
	scratch_store_b128 off, v[2:5], off offset:192
	s_wait_loadcnt 0x0
	ds_store_b128 v122, v[6:9]
.LBB48_283:
	s_wait_xcnt 0x0
	s_or_b32 exec_lo, exec_lo, s2
	s_wait_storecnt_dscnt 0x0
	s_barrier_signal -1
	s_barrier_wait -1
	s_clause 0x9
	scratch_load_b128 v[4:7], off, off offset:208
	scratch_load_b128 v[8:11], off, off offset:224
	;; [unrolled: 1-line block ×10, first 2 shown]
	ds_load_b128 v[144:147], v2 offset:992
	ds_load_b128 v[152:155], v2 offset:1008
	s_clause 0x2
	scratch_load_b128 v[148:151], off, off offset:368
	scratch_load_b128 v[156:159], off, off offset:192
	;; [unrolled: 1-line block ×3, first 2 shown]
	s_mov_b32 s2, exec_lo
	s_wait_loadcnt_dscnt 0xc01
	v_mul_f64_e32 v[164:165], v[146:147], v[6:7]
	v_mul_f64_e32 v[168:169], v[144:145], v[6:7]
	s_wait_loadcnt_dscnt 0xb00
	v_mul_f64_e32 v[170:171], v[152:153], v[10:11]
	v_mul_f64_e32 v[10:11], v[154:155], v[10:11]
	s_delay_alu instid0(VALU_DEP_4) | instskip(NEXT) | instid1(VALU_DEP_4)
	v_fma_f64 v[172:173], v[144:145], v[4:5], -v[164:165]
	v_fmac_f64_e32 v[168:169], v[146:147], v[4:5]
	ds_load_b128 v[4:7], v2 offset:1024
	ds_load_b128 v[144:147], v2 offset:1040
	scratch_load_b128 v[164:167], off, off offset:400
	v_fmac_f64_e32 v[170:171], v[154:155], v[8:9]
	v_fma_f64 v[152:153], v[152:153], v[8:9], -v[10:11]
	scratch_load_b128 v[8:11], off, off offset:416
	s_wait_loadcnt_dscnt 0xc01
	v_mul_f64_e32 v[174:175], v[4:5], v[14:15]
	v_mul_f64_e32 v[14:15], v[6:7], v[14:15]
	v_add_f64_e32 v[154:155], 0, v[172:173]
	v_add_f64_e32 v[168:169], 0, v[168:169]
	s_wait_loadcnt_dscnt 0xb00
	v_mul_f64_e32 v[172:173], v[144:145], v[18:19]
	v_mul_f64_e32 v[18:19], v[146:147], v[18:19]
	v_fmac_f64_e32 v[174:175], v[6:7], v[12:13]
	v_fma_f64 v[176:177], v[4:5], v[12:13], -v[14:15]
	ds_load_b128 v[4:7], v2 offset:1056
	ds_load_b128 v[12:15], v2 offset:1072
	v_add_f64_e32 v[178:179], v[154:155], v[152:153]
	v_add_f64_e32 v[168:169], v[168:169], v[170:171]
	scratch_load_b128 v[152:155], off, off offset:432
	v_fmac_f64_e32 v[172:173], v[146:147], v[16:17]
	v_fma_f64 v[144:145], v[144:145], v[16:17], -v[18:19]
	scratch_load_b128 v[16:19], off, off offset:448
	s_wait_loadcnt_dscnt 0xc01
	v_mul_f64_e32 v[170:171], v[4:5], v[22:23]
	v_mul_f64_e32 v[22:23], v[6:7], v[22:23]
	v_add_f64_e32 v[146:147], v[178:179], v[176:177]
	v_add_f64_e32 v[168:169], v[168:169], v[174:175]
	s_wait_loadcnt_dscnt 0xb00
	v_mul_f64_e32 v[174:175], v[12:13], v[126:127]
	v_mul_f64_e32 v[126:127], v[14:15], v[126:127]
	v_fmac_f64_e32 v[170:171], v[6:7], v[20:21]
	v_fma_f64 v[176:177], v[4:5], v[20:21], -v[22:23]
	ds_load_b128 v[4:7], v2 offset:1088
	ds_load_b128 v[20:23], v2 offset:1104
	v_add_f64_e32 v[178:179], v[146:147], v[144:145]
	v_add_f64_e32 v[168:169], v[168:169], v[172:173]
	scratch_load_b128 v[144:147], off, off offset:464
	s_wait_loadcnt_dscnt 0xb01
	v_mul_f64_e32 v[172:173], v[4:5], v[130:131]
	v_mul_f64_e32 v[130:131], v[6:7], v[130:131]
	v_fmac_f64_e32 v[174:175], v[14:15], v[124:125]
	v_fma_f64 v[124:125], v[12:13], v[124:125], -v[126:127]
	scratch_load_b128 v[12:15], off, off offset:480
	v_add_f64_e32 v[126:127], v[178:179], v[176:177]
	v_add_f64_e32 v[168:169], v[168:169], v[170:171]
	s_wait_loadcnt_dscnt 0xb00
	v_mul_f64_e32 v[170:171], v[20:21], v[134:135]
	v_mul_f64_e32 v[134:135], v[22:23], v[134:135]
	v_fmac_f64_e32 v[172:173], v[6:7], v[128:129]
	v_fma_f64 v[176:177], v[4:5], v[128:129], -v[130:131]
	v_add_f64_e32 v[178:179], v[126:127], v[124:125]
	v_add_f64_e32 v[168:169], v[168:169], v[174:175]
	ds_load_b128 v[4:7], v2 offset:1120
	ds_load_b128 v[124:127], v2 offset:1136
	scratch_load_b128 v[128:131], off, off offset:496
	v_fmac_f64_e32 v[170:171], v[22:23], v[132:133]
	v_fma_f64 v[132:133], v[20:21], v[132:133], -v[134:135]
	scratch_load_b128 v[20:23], off, off offset:512
	s_wait_loadcnt_dscnt 0xc01
	v_mul_f64_e32 v[174:175], v[4:5], v[138:139]
	v_mul_f64_e32 v[138:139], v[6:7], v[138:139]
	v_add_f64_e32 v[134:135], v[178:179], v[176:177]
	v_add_f64_e32 v[168:169], v[168:169], v[172:173]
	s_wait_loadcnt_dscnt 0xb00
	v_mul_f64_e32 v[172:173], v[124:125], v[142:143]
	v_mul_f64_e32 v[142:143], v[126:127], v[142:143]
	v_fmac_f64_e32 v[174:175], v[6:7], v[136:137]
	v_fma_f64 v[176:177], v[4:5], v[136:137], -v[138:139]
	v_add_f64_e32 v[178:179], v[134:135], v[132:133]
	v_add_f64_e32 v[168:169], v[168:169], v[170:171]
	ds_load_b128 v[4:7], v2 offset:1152
	ds_load_b128 v[132:135], v2 offset:1168
	scratch_load_b128 v[136:139], off, off offset:528
	v_fmac_f64_e32 v[172:173], v[126:127], v[140:141]
	v_fma_f64 v[140:141], v[124:125], v[140:141], -v[142:143]
	scratch_load_b128 v[124:127], off, off offset:544
	s_wait_loadcnt_dscnt 0xc01
	v_mul_f64_e32 v[170:171], v[4:5], v[150:151]
	v_mul_f64_e32 v[150:151], v[6:7], v[150:151]
	;; [unrolled: 18-line block ×5, first 2 shown]
	v_add_f64_e32 v[162:163], v[178:179], v[176:177]
	v_add_f64_e32 v[168:169], v[168:169], v[174:175]
	s_wait_loadcnt_dscnt 0xa00
	v_mul_f64_e32 v[174:175], v[140:141], v[14:15]
	v_mul_f64_e32 v[14:15], v[142:143], v[14:15]
	v_fmac_f64_e32 v[170:171], v[6:7], v[144:145]
	v_fma_f64 v[176:177], v[4:5], v[144:145], -v[146:147]
	ds_load_b128 v[4:7], v2 offset:1280
	ds_load_b128 v[144:147], v2 offset:1296
	v_add_f64_e32 v[178:179], v[162:163], v[160:161]
	v_add_f64_e32 v[168:169], v[168:169], v[172:173]
	scratch_load_b128 v[160:163], off, off offset:656
	v_fmac_f64_e32 v[174:175], v[142:143], v[12:13]
	v_fma_f64 v[140:141], v[140:141], v[12:13], -v[14:15]
	scratch_load_b128 v[12:15], off, off offset:672
	s_wait_loadcnt_dscnt 0xb01
	v_mul_f64_e32 v[172:173], v[4:5], v[130:131]
	v_mul_f64_e32 v[130:131], v[6:7], v[130:131]
	v_add_f64_e32 v[142:143], v[178:179], v[176:177]
	v_add_f64_e32 v[168:169], v[168:169], v[170:171]
	s_wait_loadcnt_dscnt 0xa00
	v_mul_f64_e32 v[170:171], v[144:145], v[22:23]
	v_mul_f64_e32 v[22:23], v[146:147], v[22:23]
	v_fmac_f64_e32 v[172:173], v[6:7], v[128:129]
	v_fma_f64 v[176:177], v[4:5], v[128:129], -v[130:131]
	ds_load_b128 v[4:7], v2 offset:1312
	ds_load_b128 v[128:131], v2 offset:1328
	v_add_f64_e32 v[178:179], v[142:143], v[140:141]
	v_add_f64_e32 v[168:169], v[168:169], v[174:175]
	scratch_load_b128 v[140:143], off, off offset:688
	s_wait_loadcnt_dscnt 0xa01
	v_mul_f64_e32 v[174:175], v[4:5], v[138:139]
	v_mul_f64_e32 v[138:139], v[6:7], v[138:139]
	v_fmac_f64_e32 v[170:171], v[146:147], v[20:21]
	v_fma_f64 v[144:145], v[144:145], v[20:21], -v[22:23]
	scratch_load_b128 v[20:23], off, off offset:704
	v_add_f64_e32 v[146:147], v[178:179], v[176:177]
	v_add_f64_e32 v[168:169], v[168:169], v[172:173]
	s_wait_loadcnt_dscnt 0xa00
	v_mul_f64_e32 v[172:173], v[128:129], v[126:127]
	v_mul_f64_e32 v[126:127], v[130:131], v[126:127]
	v_fmac_f64_e32 v[174:175], v[6:7], v[136:137]
	v_fma_f64 v[176:177], v[4:5], v[136:137], -v[138:139]
	ds_load_b128 v[4:7], v2 offset:1344
	ds_load_b128 v[136:139], v2 offset:1360
	v_add_f64_e32 v[178:179], v[146:147], v[144:145]
	v_add_f64_e32 v[168:169], v[168:169], v[170:171]
	scratch_load_b128 v[144:147], off, off offset:720
	s_wait_loadcnt_dscnt 0xa01
	v_mul_f64_e32 v[170:171], v[4:5], v[150:151]
	v_mul_f64_e32 v[150:151], v[6:7], v[150:151]
	v_fmac_f64_e32 v[172:173], v[130:131], v[124:125]
	v_fma_f64 v[128:129], v[128:129], v[124:125], -v[126:127]
	scratch_load_b128 v[124:127], off, off offset:736
	v_add_f64_e32 v[130:131], v[178:179], v[176:177]
	v_add_f64_e32 v[168:169], v[168:169], v[174:175]
	s_wait_loadcnt_dscnt 0xa00
	v_mul_f64_e32 v[174:175], v[136:137], v[134:135]
	v_mul_f64_e32 v[134:135], v[138:139], v[134:135]
	v_fmac_f64_e32 v[170:171], v[6:7], v[148:149]
	v_fma_f64 v[176:177], v[4:5], v[148:149], -v[150:151]
	v_add_f64_e32 v[178:179], v[130:131], v[128:129]
	v_add_f64_e32 v[168:169], v[168:169], v[172:173]
	ds_load_b128 v[4:7], v2 offset:1376
	ds_load_b128 v[128:131], v2 offset:1392
	scratch_load_b128 v[148:151], off, off offset:752
	v_fmac_f64_e32 v[174:175], v[138:139], v[132:133]
	v_fma_f64 v[136:137], v[136:137], v[132:133], -v[134:135]
	scratch_load_b128 v[132:135], off, off offset:768
	s_wait_loadcnt_dscnt 0xb01
	v_mul_f64_e32 v[172:173], v[4:5], v[166:167]
	v_mul_f64_e32 v[166:167], v[6:7], v[166:167]
	v_add_f64_e32 v[138:139], v[178:179], v[176:177]
	v_add_f64_e32 v[168:169], v[168:169], v[170:171]
	s_wait_loadcnt_dscnt 0xa00
	v_mul_f64_e32 v[170:171], v[128:129], v[10:11]
	v_mul_f64_e32 v[10:11], v[130:131], v[10:11]
	v_fmac_f64_e32 v[172:173], v[6:7], v[164:165]
	v_fma_f64 v[164:165], v[4:5], v[164:165], -v[166:167]
	v_add_f64_e32 v[166:167], v[138:139], v[136:137]
	v_add_f64_e32 v[168:169], v[168:169], v[174:175]
	ds_load_b128 v[4:7], v2 offset:1408
	ds_load_b128 v[136:139], v2 offset:1424
	v_fmac_f64_e32 v[170:171], v[130:131], v[8:9]
	v_fma_f64 v[8:9], v[128:129], v[8:9], -v[10:11]
	s_wait_loadcnt_dscnt 0x901
	v_mul_f64_e32 v[174:175], v[4:5], v[154:155]
	v_mul_f64_e32 v[154:155], v[6:7], v[154:155]
	s_wait_loadcnt_dscnt 0x800
	v_mul_f64_e32 v[130:131], v[136:137], v[18:19]
	v_mul_f64_e32 v[18:19], v[138:139], v[18:19]
	v_add_f64_e32 v[10:11], v[166:167], v[164:165]
	v_add_f64_e32 v[128:129], v[168:169], v[172:173]
	v_fmac_f64_e32 v[174:175], v[6:7], v[152:153]
	v_fma_f64 v[152:153], v[4:5], v[152:153], -v[154:155]
	v_fmac_f64_e32 v[130:131], v[138:139], v[16:17]
	v_fma_f64 v[16:17], v[136:137], v[16:17], -v[18:19]
	v_add_f64_e32 v[154:155], v[10:11], v[8:9]
	v_add_f64_e32 v[128:129], v[128:129], v[170:171]
	ds_load_b128 v[4:7], v2 offset:1440
	ds_load_b128 v[8:11], v2 offset:1456
	s_wait_loadcnt_dscnt 0x701
	v_mul_f64_e32 v[164:165], v[4:5], v[162:163]
	v_mul_f64_e32 v[162:163], v[6:7], v[162:163]
	s_wait_loadcnt_dscnt 0x600
	v_mul_f64_e32 v[136:137], v[8:9], v[14:15]
	v_mul_f64_e32 v[138:139], v[10:11], v[14:15]
	v_add_f64_e32 v[18:19], v[154:155], v[152:153]
	v_add_f64_e32 v[128:129], v[128:129], v[174:175]
	v_fmac_f64_e32 v[164:165], v[6:7], v[160:161]
	v_fma_f64 v[152:153], v[4:5], v[160:161], -v[162:163]
	v_fmac_f64_e32 v[136:137], v[10:11], v[12:13]
	v_fma_f64 v[8:9], v[8:9], v[12:13], -v[138:139]
	v_add_f64_e32 v[18:19], v[18:19], v[16:17]
	v_add_f64_e32 v[128:129], v[128:129], v[130:131]
	ds_load_b128 v[4:7], v2 offset:1472
	ds_load_b128 v[14:17], v2 offset:1488
	s_wait_loadcnt_dscnt 0x501
	v_mul_f64_e32 v[130:131], v[4:5], v[142:143]
	v_mul_f64_e32 v[142:143], v[6:7], v[142:143]
	v_add_f64_e32 v[10:11], v[18:19], v[152:153]
	v_add_f64_e32 v[12:13], v[128:129], v[164:165]
	s_wait_loadcnt_dscnt 0x400
	v_mul_f64_e32 v[18:19], v[14:15], v[22:23]
	v_mul_f64_e32 v[22:23], v[16:17], v[22:23]
	v_fmac_f64_e32 v[130:131], v[6:7], v[140:141]
	v_fma_f64 v[128:129], v[4:5], v[140:141], -v[142:143]
	v_add_f64_e32 v[138:139], v[10:11], v[8:9]
	v_add_f64_e32 v[12:13], v[12:13], v[136:137]
	ds_load_b128 v[4:7], v2 offset:1504
	ds_load_b128 v[8:11], v2 offset:1520
	v_fmac_f64_e32 v[18:19], v[16:17], v[20:21]
	v_fma_f64 v[14:15], v[14:15], v[20:21], -v[22:23]
	s_wait_loadcnt_dscnt 0x301
	v_mul_f64_e32 v[136:137], v[4:5], v[146:147]
	v_mul_f64_e32 v[140:141], v[6:7], v[146:147]
	s_wait_loadcnt_dscnt 0x200
	v_mul_f64_e32 v[20:21], v[8:9], v[126:127]
	v_mul_f64_e32 v[22:23], v[10:11], v[126:127]
	v_add_f64_e32 v[16:17], v[138:139], v[128:129]
	v_add_f64_e32 v[12:13], v[12:13], v[130:131]
	v_fmac_f64_e32 v[136:137], v[6:7], v[144:145]
	v_fma_f64 v[126:127], v[4:5], v[144:145], -v[140:141]
	v_fmac_f64_e32 v[20:21], v[10:11], v[124:125]
	v_fma_f64 v[8:9], v[8:9], v[124:125], -v[22:23]
	v_add_f64_e32 v[16:17], v[16:17], v[14:15]
	v_add_f64_e32 v[18:19], v[12:13], v[18:19]
	ds_load_b128 v[4:7], v2 offset:1536
	ds_load_b128 v[12:15], v2 offset:1552
	s_wait_loadcnt_dscnt 0x101
	v_mul_f64_e32 v[2:3], v[4:5], v[150:151]
	v_mul_f64_e32 v[128:129], v[6:7], v[150:151]
	s_wait_loadcnt_dscnt 0x0
	v_mul_f64_e32 v[22:23], v[14:15], v[134:135]
	v_add_f64_e32 v[10:11], v[16:17], v[126:127]
	v_add_f64_e32 v[16:17], v[18:19], v[136:137]
	v_mul_f64_e32 v[18:19], v[12:13], v[134:135]
	v_fmac_f64_e32 v[2:3], v[6:7], v[148:149]
	v_fma_f64 v[4:5], v[4:5], v[148:149], -v[128:129]
	v_add_f64_e32 v[6:7], v[10:11], v[8:9]
	v_add_f64_e32 v[8:9], v[16:17], v[20:21]
	v_fmac_f64_e32 v[18:19], v[14:15], v[132:133]
	v_fma_f64 v[10:11], v[12:13], v[132:133], -v[22:23]
	s_delay_alu instid0(VALU_DEP_4) | instskip(NEXT) | instid1(VALU_DEP_4)
	v_add_f64_e32 v[4:5], v[6:7], v[4:5]
	v_add_f64_e32 v[2:3], v[8:9], v[2:3]
	s_delay_alu instid0(VALU_DEP_2) | instskip(NEXT) | instid1(VALU_DEP_2)
	v_add_f64_e32 v[4:5], v[4:5], v[10:11]
	v_add_f64_e32 v[6:7], v[2:3], v[18:19]
	s_delay_alu instid0(VALU_DEP_2) | instskip(NEXT) | instid1(VALU_DEP_2)
	v_add_f64_e64 v[2:3], v[156:157], -v[4:5]
	v_add_f64_e64 v[4:5], v[158:159], -v[6:7]
	scratch_store_b128 off, v[2:5], off offset:192
	s_wait_xcnt 0x0
	v_cmpx_lt_u32_e32 11, v1
	s_cbranch_execz .LBB48_285
; %bb.284:
	scratch_load_b128 v[2:5], off, s56
	v_mov_b32_e32 v6, 0
	s_delay_alu instid0(VALU_DEP_1)
	v_dual_mov_b32 v7, v6 :: v_dual_mov_b32 v8, v6
	v_mov_b32_e32 v9, v6
	scratch_store_b128 off, v[6:9], off offset:176
	s_wait_loadcnt 0x0
	ds_store_b128 v122, v[2:5]
.LBB48_285:
	s_wait_xcnt 0x0
	s_or_b32 exec_lo, exec_lo, s2
	s_wait_storecnt_dscnt 0x0
	s_barrier_signal -1
	s_barrier_wait -1
	s_clause 0x9
	scratch_load_b128 v[4:7], off, off offset:192
	scratch_load_b128 v[8:11], off, off offset:208
	scratch_load_b128 v[12:15], off, off offset:224
	scratch_load_b128 v[16:19], off, off offset:240
	scratch_load_b128 v[20:23], off, off offset:256
	scratch_load_b128 v[124:127], off, off offset:272
	scratch_load_b128 v[128:131], off, off offset:288
	scratch_load_b128 v[132:135], off, off offset:304
	scratch_load_b128 v[136:139], off, off offset:320
	scratch_load_b128 v[140:143], off, off offset:336
	v_mov_b32_e32 v2, 0
	s_mov_b32 s2, exec_lo
	ds_load_b128 v[144:147], v2 offset:976
	s_clause 0x2
	scratch_load_b128 v[148:151], off, off offset:352
	scratch_load_b128 v[152:155], off, off offset:176
	;; [unrolled: 1-line block ×3, first 2 shown]
	s_wait_loadcnt_dscnt 0xc00
	v_mul_f64_e32 v[164:165], v[146:147], v[6:7]
	v_mul_f64_e32 v[168:169], v[144:145], v[6:7]
	ds_load_b128 v[156:159], v2 offset:992
	v_fma_f64 v[172:173], v[144:145], v[4:5], -v[164:165]
	v_fmac_f64_e32 v[168:169], v[146:147], v[4:5]
	ds_load_b128 v[4:7], v2 offset:1008
	s_wait_loadcnt_dscnt 0xb01
	v_mul_f64_e32 v[170:171], v[156:157], v[10:11]
	v_mul_f64_e32 v[10:11], v[158:159], v[10:11]
	scratch_load_b128 v[144:147], off, off offset:384
	ds_load_b128 v[164:167], v2 offset:1024
	s_wait_loadcnt_dscnt 0xb01
	v_mul_f64_e32 v[174:175], v[4:5], v[14:15]
	v_mul_f64_e32 v[14:15], v[6:7], v[14:15]
	v_add_f64_e32 v[168:169], 0, v[168:169]
	v_fmac_f64_e32 v[170:171], v[158:159], v[8:9]
	v_fma_f64 v[156:157], v[156:157], v[8:9], -v[10:11]
	v_add_f64_e32 v[158:159], 0, v[172:173]
	scratch_load_b128 v[8:11], off, off offset:400
	v_fmac_f64_e32 v[174:175], v[6:7], v[12:13]
	v_fma_f64 v[176:177], v[4:5], v[12:13], -v[14:15]
	ds_load_b128 v[4:7], v2 offset:1040
	s_wait_loadcnt_dscnt 0xb01
	v_mul_f64_e32 v[172:173], v[164:165], v[18:19]
	v_mul_f64_e32 v[18:19], v[166:167], v[18:19]
	scratch_load_b128 v[12:15], off, off offset:416
	v_add_f64_e32 v[168:169], v[168:169], v[170:171]
	v_add_f64_e32 v[178:179], v[158:159], v[156:157]
	ds_load_b128 v[156:159], v2 offset:1056
	s_wait_loadcnt_dscnt 0xb01
	v_mul_f64_e32 v[170:171], v[4:5], v[22:23]
	v_mul_f64_e32 v[22:23], v[6:7], v[22:23]
	v_fmac_f64_e32 v[172:173], v[166:167], v[16:17]
	v_fma_f64 v[164:165], v[164:165], v[16:17], -v[18:19]
	scratch_load_b128 v[16:19], off, off offset:432
	v_add_f64_e32 v[168:169], v[168:169], v[174:175]
	v_add_f64_e32 v[166:167], v[178:179], v[176:177]
	v_fmac_f64_e32 v[170:171], v[6:7], v[20:21]
	v_fma_f64 v[176:177], v[4:5], v[20:21], -v[22:23]
	ds_load_b128 v[4:7], v2 offset:1072
	s_wait_loadcnt_dscnt 0xb01
	v_mul_f64_e32 v[174:175], v[156:157], v[126:127]
	v_mul_f64_e32 v[126:127], v[158:159], v[126:127]
	scratch_load_b128 v[20:23], off, off offset:448
	v_add_f64_e32 v[168:169], v[168:169], v[172:173]
	s_wait_loadcnt_dscnt 0xb00
	v_mul_f64_e32 v[172:173], v[4:5], v[130:131]
	v_add_f64_e32 v[178:179], v[166:167], v[164:165]
	v_mul_f64_e32 v[130:131], v[6:7], v[130:131]
	ds_load_b128 v[164:167], v2 offset:1088
	v_fmac_f64_e32 v[174:175], v[158:159], v[124:125]
	v_fma_f64 v[156:157], v[156:157], v[124:125], -v[126:127]
	scratch_load_b128 v[124:127], off, off offset:464
	v_add_f64_e32 v[168:169], v[168:169], v[170:171]
	v_fmac_f64_e32 v[172:173], v[6:7], v[128:129]
	v_add_f64_e32 v[158:159], v[178:179], v[176:177]
	v_fma_f64 v[176:177], v[4:5], v[128:129], -v[130:131]
	ds_load_b128 v[4:7], v2 offset:1104
	s_wait_loadcnt_dscnt 0xb01
	v_mul_f64_e32 v[170:171], v[164:165], v[134:135]
	v_mul_f64_e32 v[134:135], v[166:167], v[134:135]
	scratch_load_b128 v[128:131], off, off offset:480
	v_add_f64_e32 v[168:169], v[168:169], v[174:175]
	s_wait_loadcnt_dscnt 0xb00
	v_mul_f64_e32 v[174:175], v[4:5], v[138:139]
	v_add_f64_e32 v[178:179], v[158:159], v[156:157]
	v_mul_f64_e32 v[138:139], v[6:7], v[138:139]
	ds_load_b128 v[156:159], v2 offset:1120
	v_fmac_f64_e32 v[170:171], v[166:167], v[132:133]
	v_fma_f64 v[164:165], v[164:165], v[132:133], -v[134:135]
	scratch_load_b128 v[132:135], off, off offset:496
	v_add_f64_e32 v[168:169], v[168:169], v[172:173]
	v_fmac_f64_e32 v[174:175], v[6:7], v[136:137]
	v_add_f64_e32 v[166:167], v[178:179], v[176:177]
	;; [unrolled: 18-line block ×3, first 2 shown]
	v_fma_f64 v[176:177], v[4:5], v[148:149], -v[150:151]
	ds_load_b128 v[4:7], v2 offset:1168
	s_wait_loadcnt_dscnt 0xa01
	v_mul_f64_e32 v[174:175], v[164:165], v[162:163]
	v_mul_f64_e32 v[162:163], v[166:167], v[162:163]
	scratch_load_b128 v[148:151], off, off offset:544
	v_add_f64_e32 v[168:169], v[168:169], v[172:173]
	v_add_f64_e32 v[178:179], v[158:159], v[156:157]
	s_wait_loadcnt_dscnt 0xa00
	v_mul_f64_e32 v[172:173], v[4:5], v[146:147]
	v_mul_f64_e32 v[146:147], v[6:7], v[146:147]
	v_fmac_f64_e32 v[174:175], v[166:167], v[160:161]
	v_fma_f64 v[164:165], v[164:165], v[160:161], -v[162:163]
	ds_load_b128 v[156:159], v2 offset:1184
	scratch_load_b128 v[160:163], off, off offset:560
	v_add_f64_e32 v[168:169], v[168:169], v[170:171]
	v_add_f64_e32 v[166:167], v[178:179], v[176:177]
	v_fmac_f64_e32 v[172:173], v[6:7], v[144:145]
	v_fma_f64 v[176:177], v[4:5], v[144:145], -v[146:147]
	ds_load_b128 v[4:7], v2 offset:1200
	s_wait_loadcnt_dscnt 0xa01
	v_mul_f64_e32 v[170:171], v[156:157], v[10:11]
	v_mul_f64_e32 v[10:11], v[158:159], v[10:11]
	scratch_load_b128 v[144:147], off, off offset:576
	v_add_f64_e32 v[168:169], v[168:169], v[174:175]
	s_wait_loadcnt_dscnt 0xa00
	v_mul_f64_e32 v[174:175], v[4:5], v[14:15]
	v_add_f64_e32 v[178:179], v[166:167], v[164:165]
	v_mul_f64_e32 v[14:15], v[6:7], v[14:15]
	ds_load_b128 v[164:167], v2 offset:1216
	v_fmac_f64_e32 v[170:171], v[158:159], v[8:9]
	v_fma_f64 v[156:157], v[156:157], v[8:9], -v[10:11]
	scratch_load_b128 v[8:11], off, off offset:592
	v_add_f64_e32 v[168:169], v[168:169], v[172:173]
	v_fmac_f64_e32 v[174:175], v[6:7], v[12:13]
	v_add_f64_e32 v[158:159], v[178:179], v[176:177]
	v_fma_f64 v[176:177], v[4:5], v[12:13], -v[14:15]
	ds_load_b128 v[4:7], v2 offset:1232
	s_wait_loadcnt_dscnt 0xa01
	v_mul_f64_e32 v[172:173], v[164:165], v[18:19]
	v_mul_f64_e32 v[18:19], v[166:167], v[18:19]
	scratch_load_b128 v[12:15], off, off offset:608
	v_add_f64_e32 v[168:169], v[168:169], v[170:171]
	s_wait_loadcnt_dscnt 0xa00
	v_mul_f64_e32 v[170:171], v[4:5], v[22:23]
	v_add_f64_e32 v[178:179], v[158:159], v[156:157]
	v_mul_f64_e32 v[22:23], v[6:7], v[22:23]
	ds_load_b128 v[156:159], v2 offset:1248
	v_fmac_f64_e32 v[172:173], v[166:167], v[16:17]
	v_fma_f64 v[164:165], v[164:165], v[16:17], -v[18:19]
	scratch_load_b128 v[16:19], off, off offset:624
	v_add_f64_e32 v[168:169], v[168:169], v[174:175]
	v_fmac_f64_e32 v[170:171], v[6:7], v[20:21]
	v_add_f64_e32 v[166:167], v[178:179], v[176:177]
	;; [unrolled: 18-line block ×6, first 2 shown]
	v_fma_f64 v[176:177], v[4:5], v[144:145], -v[146:147]
	ds_load_b128 v[4:7], v2 offset:1392
	s_wait_loadcnt_dscnt 0xa01
	v_mul_f64_e32 v[170:171], v[156:157], v[10:11]
	v_mul_f64_e32 v[10:11], v[158:159], v[10:11]
	scratch_load_b128 v[144:147], off, off offset:768
	v_add_f64_e32 v[168:169], v[168:169], v[174:175]
	s_wait_loadcnt_dscnt 0xa00
	v_mul_f64_e32 v[174:175], v[4:5], v[14:15]
	v_add_f64_e32 v[178:179], v[166:167], v[164:165]
	v_mul_f64_e32 v[14:15], v[6:7], v[14:15]
	ds_load_b128 v[164:167], v2 offset:1408
	v_fmac_f64_e32 v[170:171], v[158:159], v[8:9]
	v_fma_f64 v[8:9], v[156:157], v[8:9], -v[10:11]
	s_wait_loadcnt_dscnt 0x900
	v_mul_f64_e32 v[158:159], v[164:165], v[18:19]
	v_mul_f64_e32 v[18:19], v[166:167], v[18:19]
	v_add_f64_e32 v[156:157], v[168:169], v[172:173]
	v_fmac_f64_e32 v[174:175], v[6:7], v[12:13]
	v_add_f64_e32 v[10:11], v[178:179], v[176:177]
	v_fma_f64 v[12:13], v[4:5], v[12:13], -v[14:15]
	v_fmac_f64_e32 v[158:159], v[166:167], v[16:17]
	v_fma_f64 v[16:17], v[164:165], v[16:17], -v[18:19]
	v_add_f64_e32 v[156:157], v[156:157], v[170:171]
	v_add_f64_e32 v[14:15], v[10:11], v[8:9]
	ds_load_b128 v[4:7], v2 offset:1424
	ds_load_b128 v[8:11], v2 offset:1440
	s_wait_loadcnt_dscnt 0x801
	v_mul_f64_e32 v[168:169], v[4:5], v[22:23]
	v_mul_f64_e32 v[22:23], v[6:7], v[22:23]
	s_wait_loadcnt_dscnt 0x700
	v_mul_f64_e32 v[18:19], v[8:9], v[126:127]
	v_mul_f64_e32 v[126:127], v[10:11], v[126:127]
	v_add_f64_e32 v[12:13], v[14:15], v[12:13]
	v_add_f64_e32 v[14:15], v[156:157], v[174:175]
	v_fmac_f64_e32 v[168:169], v[6:7], v[20:21]
	v_fma_f64 v[20:21], v[4:5], v[20:21], -v[22:23]
	v_fmac_f64_e32 v[18:19], v[10:11], v[124:125]
	v_fma_f64 v[8:9], v[8:9], v[124:125], -v[126:127]
	v_add_f64_e32 v[16:17], v[12:13], v[16:17]
	v_add_f64_e32 v[22:23], v[14:15], v[158:159]
	ds_load_b128 v[4:7], v2 offset:1456
	ds_load_b128 v[12:15], v2 offset:1472
	s_wait_loadcnt_dscnt 0x601
	v_mul_f64_e32 v[156:157], v[4:5], v[130:131]
	v_mul_f64_e32 v[130:131], v[6:7], v[130:131]
	v_add_f64_e32 v[10:11], v[16:17], v[20:21]
	v_add_f64_e32 v[16:17], v[22:23], v[168:169]
	s_wait_loadcnt_dscnt 0x500
	v_mul_f64_e32 v[20:21], v[12:13], v[134:135]
	v_mul_f64_e32 v[22:23], v[14:15], v[134:135]
	v_fmac_f64_e32 v[156:157], v[6:7], v[128:129]
	v_fma_f64 v[124:125], v[4:5], v[128:129], -v[130:131]
	v_add_f64_e32 v[126:127], v[10:11], v[8:9]
	v_add_f64_e32 v[16:17], v[16:17], v[18:19]
	ds_load_b128 v[4:7], v2 offset:1488
	ds_load_b128 v[8:11], v2 offset:1504
	v_fmac_f64_e32 v[20:21], v[14:15], v[132:133]
	v_fma_f64 v[12:13], v[12:13], v[132:133], -v[22:23]
	s_wait_loadcnt_dscnt 0x401
	v_mul_f64_e32 v[18:19], v[4:5], v[138:139]
	v_mul_f64_e32 v[128:129], v[6:7], v[138:139]
	s_wait_loadcnt_dscnt 0x300
	v_mul_f64_e32 v[22:23], v[8:9], v[142:143]
	v_add_f64_e32 v[14:15], v[126:127], v[124:125]
	v_add_f64_e32 v[16:17], v[16:17], v[156:157]
	v_mul_f64_e32 v[124:125], v[10:11], v[142:143]
	v_fmac_f64_e32 v[18:19], v[6:7], v[136:137]
	v_fma_f64 v[126:127], v[4:5], v[136:137], -v[128:129]
	v_fmac_f64_e32 v[22:23], v[10:11], v[140:141]
	v_add_f64_e32 v[128:129], v[14:15], v[12:13]
	v_add_f64_e32 v[16:17], v[16:17], v[20:21]
	ds_load_b128 v[4:7], v2 offset:1520
	ds_load_b128 v[12:15], v2 offset:1536
	v_fma_f64 v[8:9], v[8:9], v[140:141], -v[124:125]
	s_wait_loadcnt_dscnt 0x201
	v_mul_f64_e32 v[20:21], v[4:5], v[150:151]
	v_mul_f64_e32 v[130:131], v[6:7], v[150:151]
	s_wait_loadcnt_dscnt 0x100
	v_mul_f64_e32 v[124:125], v[14:15], v[162:163]
	v_add_f64_e32 v[10:11], v[128:129], v[126:127]
	v_add_f64_e32 v[16:17], v[16:17], v[18:19]
	v_mul_f64_e32 v[18:19], v[12:13], v[162:163]
	v_fmac_f64_e32 v[20:21], v[6:7], v[148:149]
	v_fma_f64 v[126:127], v[4:5], v[148:149], -v[130:131]
	ds_load_b128 v[4:7], v2 offset:1552
	v_fma_f64 v[12:13], v[12:13], v[160:161], -v[124:125]
	v_add_f64_e32 v[8:9], v[10:11], v[8:9]
	v_add_f64_e32 v[10:11], v[16:17], v[22:23]
	v_fmac_f64_e32 v[18:19], v[14:15], v[160:161]
	s_wait_loadcnt_dscnt 0x0
	v_mul_f64_e32 v[16:17], v[4:5], v[146:147]
	v_mul_f64_e32 v[22:23], v[6:7], v[146:147]
	v_add_f64_e32 v[8:9], v[8:9], v[126:127]
	v_add_f64_e32 v[10:11], v[10:11], v[20:21]
	s_delay_alu instid0(VALU_DEP_4) | instskip(NEXT) | instid1(VALU_DEP_4)
	v_fmac_f64_e32 v[16:17], v[6:7], v[144:145]
	v_fma_f64 v[4:5], v[4:5], v[144:145], -v[22:23]
	s_delay_alu instid0(VALU_DEP_4) | instskip(NEXT) | instid1(VALU_DEP_4)
	v_add_f64_e32 v[6:7], v[8:9], v[12:13]
	v_add_f64_e32 v[8:9], v[10:11], v[18:19]
	s_delay_alu instid0(VALU_DEP_2) | instskip(NEXT) | instid1(VALU_DEP_2)
	v_add_f64_e32 v[4:5], v[6:7], v[4:5]
	v_add_f64_e32 v[6:7], v[8:9], v[16:17]
	s_delay_alu instid0(VALU_DEP_2) | instskip(NEXT) | instid1(VALU_DEP_2)
	v_add_f64_e64 v[4:5], v[152:153], -v[4:5]
	v_add_f64_e64 v[6:7], v[154:155], -v[6:7]
	scratch_store_b128 off, v[4:7], off offset:176
	s_wait_xcnt 0x0
	v_cmpx_lt_u32_e32 10, v1
	s_cbranch_execz .LBB48_287
; %bb.286:
	scratch_load_b128 v[6:9], off, s53
	v_dual_mov_b32 v3, v2 :: v_dual_mov_b32 v4, v2
	v_mov_b32_e32 v5, v2
	scratch_store_b128 off, v[2:5], off offset:160
	s_wait_loadcnt 0x0
	ds_store_b128 v122, v[6:9]
.LBB48_287:
	s_wait_xcnt 0x0
	s_or_b32 exec_lo, exec_lo, s2
	s_wait_storecnt_dscnt 0x0
	s_barrier_signal -1
	s_barrier_wait -1
	s_clause 0x9
	scratch_load_b128 v[4:7], off, off offset:176
	scratch_load_b128 v[8:11], off, off offset:192
	;; [unrolled: 1-line block ×10, first 2 shown]
	ds_load_b128 v[144:147], v2 offset:960
	ds_load_b128 v[152:155], v2 offset:976
	s_clause 0x2
	scratch_load_b128 v[148:151], off, off offset:336
	scratch_load_b128 v[156:159], off, off offset:160
	;; [unrolled: 1-line block ×3, first 2 shown]
	s_mov_b32 s2, exec_lo
	s_wait_loadcnt_dscnt 0xc01
	v_mul_f64_e32 v[164:165], v[146:147], v[6:7]
	v_mul_f64_e32 v[168:169], v[144:145], v[6:7]
	s_wait_loadcnt_dscnt 0xb00
	v_mul_f64_e32 v[170:171], v[152:153], v[10:11]
	v_mul_f64_e32 v[10:11], v[154:155], v[10:11]
	s_delay_alu instid0(VALU_DEP_4) | instskip(NEXT) | instid1(VALU_DEP_4)
	v_fma_f64 v[172:173], v[144:145], v[4:5], -v[164:165]
	v_fmac_f64_e32 v[168:169], v[146:147], v[4:5]
	ds_load_b128 v[4:7], v2 offset:992
	ds_load_b128 v[144:147], v2 offset:1008
	scratch_load_b128 v[164:167], off, off offset:368
	v_fmac_f64_e32 v[170:171], v[154:155], v[8:9]
	v_fma_f64 v[152:153], v[152:153], v[8:9], -v[10:11]
	scratch_load_b128 v[8:11], off, off offset:384
	s_wait_loadcnt_dscnt 0xc01
	v_mul_f64_e32 v[174:175], v[4:5], v[14:15]
	v_mul_f64_e32 v[14:15], v[6:7], v[14:15]
	v_add_f64_e32 v[154:155], 0, v[172:173]
	v_add_f64_e32 v[168:169], 0, v[168:169]
	s_wait_loadcnt_dscnt 0xb00
	v_mul_f64_e32 v[172:173], v[144:145], v[18:19]
	v_mul_f64_e32 v[18:19], v[146:147], v[18:19]
	v_fmac_f64_e32 v[174:175], v[6:7], v[12:13]
	v_fma_f64 v[176:177], v[4:5], v[12:13], -v[14:15]
	ds_load_b128 v[4:7], v2 offset:1024
	ds_load_b128 v[12:15], v2 offset:1040
	v_add_f64_e32 v[178:179], v[154:155], v[152:153]
	v_add_f64_e32 v[168:169], v[168:169], v[170:171]
	scratch_load_b128 v[152:155], off, off offset:400
	v_fmac_f64_e32 v[172:173], v[146:147], v[16:17]
	v_fma_f64 v[144:145], v[144:145], v[16:17], -v[18:19]
	scratch_load_b128 v[16:19], off, off offset:416
	s_wait_loadcnt_dscnt 0xc01
	v_mul_f64_e32 v[170:171], v[4:5], v[22:23]
	v_mul_f64_e32 v[22:23], v[6:7], v[22:23]
	v_add_f64_e32 v[146:147], v[178:179], v[176:177]
	v_add_f64_e32 v[168:169], v[168:169], v[174:175]
	s_wait_loadcnt_dscnt 0xb00
	v_mul_f64_e32 v[174:175], v[12:13], v[126:127]
	v_mul_f64_e32 v[126:127], v[14:15], v[126:127]
	v_fmac_f64_e32 v[170:171], v[6:7], v[20:21]
	v_fma_f64 v[176:177], v[4:5], v[20:21], -v[22:23]
	ds_load_b128 v[4:7], v2 offset:1056
	ds_load_b128 v[20:23], v2 offset:1072
	v_add_f64_e32 v[178:179], v[146:147], v[144:145]
	v_add_f64_e32 v[168:169], v[168:169], v[172:173]
	scratch_load_b128 v[144:147], off, off offset:432
	s_wait_loadcnt_dscnt 0xb01
	v_mul_f64_e32 v[172:173], v[4:5], v[130:131]
	v_mul_f64_e32 v[130:131], v[6:7], v[130:131]
	v_fmac_f64_e32 v[174:175], v[14:15], v[124:125]
	v_fma_f64 v[124:125], v[12:13], v[124:125], -v[126:127]
	scratch_load_b128 v[12:15], off, off offset:448
	v_add_f64_e32 v[126:127], v[178:179], v[176:177]
	v_add_f64_e32 v[168:169], v[168:169], v[170:171]
	s_wait_loadcnt_dscnt 0xb00
	v_mul_f64_e32 v[170:171], v[20:21], v[134:135]
	v_mul_f64_e32 v[134:135], v[22:23], v[134:135]
	v_fmac_f64_e32 v[172:173], v[6:7], v[128:129]
	v_fma_f64 v[176:177], v[4:5], v[128:129], -v[130:131]
	v_add_f64_e32 v[178:179], v[126:127], v[124:125]
	v_add_f64_e32 v[168:169], v[168:169], v[174:175]
	ds_load_b128 v[4:7], v2 offset:1088
	ds_load_b128 v[124:127], v2 offset:1104
	scratch_load_b128 v[128:131], off, off offset:464
	v_fmac_f64_e32 v[170:171], v[22:23], v[132:133]
	v_fma_f64 v[132:133], v[20:21], v[132:133], -v[134:135]
	scratch_load_b128 v[20:23], off, off offset:480
	s_wait_loadcnt_dscnt 0xc01
	v_mul_f64_e32 v[174:175], v[4:5], v[138:139]
	v_mul_f64_e32 v[138:139], v[6:7], v[138:139]
	v_add_f64_e32 v[134:135], v[178:179], v[176:177]
	v_add_f64_e32 v[168:169], v[168:169], v[172:173]
	s_wait_loadcnt_dscnt 0xb00
	v_mul_f64_e32 v[172:173], v[124:125], v[142:143]
	v_mul_f64_e32 v[142:143], v[126:127], v[142:143]
	v_fmac_f64_e32 v[174:175], v[6:7], v[136:137]
	v_fma_f64 v[176:177], v[4:5], v[136:137], -v[138:139]
	v_add_f64_e32 v[178:179], v[134:135], v[132:133]
	v_add_f64_e32 v[168:169], v[168:169], v[170:171]
	ds_load_b128 v[4:7], v2 offset:1120
	ds_load_b128 v[132:135], v2 offset:1136
	scratch_load_b128 v[136:139], off, off offset:496
	v_fmac_f64_e32 v[172:173], v[126:127], v[140:141]
	v_fma_f64 v[140:141], v[124:125], v[140:141], -v[142:143]
	scratch_load_b128 v[124:127], off, off offset:512
	s_wait_loadcnt_dscnt 0xc01
	v_mul_f64_e32 v[170:171], v[4:5], v[150:151]
	v_mul_f64_e32 v[150:151], v[6:7], v[150:151]
	;; [unrolled: 18-line block ×5, first 2 shown]
	v_add_f64_e32 v[162:163], v[178:179], v[176:177]
	v_add_f64_e32 v[168:169], v[168:169], v[174:175]
	s_wait_loadcnt_dscnt 0xa00
	v_mul_f64_e32 v[174:175], v[140:141], v[14:15]
	v_mul_f64_e32 v[14:15], v[142:143], v[14:15]
	v_fmac_f64_e32 v[170:171], v[6:7], v[144:145]
	v_fma_f64 v[176:177], v[4:5], v[144:145], -v[146:147]
	ds_load_b128 v[4:7], v2 offset:1248
	ds_load_b128 v[144:147], v2 offset:1264
	v_add_f64_e32 v[178:179], v[162:163], v[160:161]
	v_add_f64_e32 v[168:169], v[168:169], v[172:173]
	scratch_load_b128 v[160:163], off, off offset:624
	v_fmac_f64_e32 v[174:175], v[142:143], v[12:13]
	v_fma_f64 v[140:141], v[140:141], v[12:13], -v[14:15]
	scratch_load_b128 v[12:15], off, off offset:640
	s_wait_loadcnt_dscnt 0xb01
	v_mul_f64_e32 v[172:173], v[4:5], v[130:131]
	v_mul_f64_e32 v[130:131], v[6:7], v[130:131]
	v_add_f64_e32 v[142:143], v[178:179], v[176:177]
	v_add_f64_e32 v[168:169], v[168:169], v[170:171]
	s_wait_loadcnt_dscnt 0xa00
	v_mul_f64_e32 v[170:171], v[144:145], v[22:23]
	v_mul_f64_e32 v[22:23], v[146:147], v[22:23]
	v_fmac_f64_e32 v[172:173], v[6:7], v[128:129]
	v_fma_f64 v[176:177], v[4:5], v[128:129], -v[130:131]
	ds_load_b128 v[4:7], v2 offset:1280
	ds_load_b128 v[128:131], v2 offset:1296
	v_add_f64_e32 v[178:179], v[142:143], v[140:141]
	v_add_f64_e32 v[168:169], v[168:169], v[174:175]
	scratch_load_b128 v[140:143], off, off offset:656
	s_wait_loadcnt_dscnt 0xa01
	v_mul_f64_e32 v[174:175], v[4:5], v[138:139]
	v_mul_f64_e32 v[138:139], v[6:7], v[138:139]
	v_fmac_f64_e32 v[170:171], v[146:147], v[20:21]
	v_fma_f64 v[144:145], v[144:145], v[20:21], -v[22:23]
	scratch_load_b128 v[20:23], off, off offset:672
	v_add_f64_e32 v[146:147], v[178:179], v[176:177]
	v_add_f64_e32 v[168:169], v[168:169], v[172:173]
	s_wait_loadcnt_dscnt 0xa00
	v_mul_f64_e32 v[172:173], v[128:129], v[126:127]
	v_mul_f64_e32 v[126:127], v[130:131], v[126:127]
	v_fmac_f64_e32 v[174:175], v[6:7], v[136:137]
	v_fma_f64 v[176:177], v[4:5], v[136:137], -v[138:139]
	ds_load_b128 v[4:7], v2 offset:1312
	ds_load_b128 v[136:139], v2 offset:1328
	v_add_f64_e32 v[178:179], v[146:147], v[144:145]
	v_add_f64_e32 v[168:169], v[168:169], v[170:171]
	scratch_load_b128 v[144:147], off, off offset:688
	s_wait_loadcnt_dscnt 0xa01
	v_mul_f64_e32 v[170:171], v[4:5], v[150:151]
	v_mul_f64_e32 v[150:151], v[6:7], v[150:151]
	v_fmac_f64_e32 v[172:173], v[130:131], v[124:125]
	v_fma_f64 v[128:129], v[128:129], v[124:125], -v[126:127]
	scratch_load_b128 v[124:127], off, off offset:704
	v_add_f64_e32 v[130:131], v[178:179], v[176:177]
	v_add_f64_e32 v[168:169], v[168:169], v[174:175]
	s_wait_loadcnt_dscnt 0xa00
	v_mul_f64_e32 v[174:175], v[136:137], v[134:135]
	v_mul_f64_e32 v[134:135], v[138:139], v[134:135]
	v_fmac_f64_e32 v[170:171], v[6:7], v[148:149]
	v_fma_f64 v[176:177], v[4:5], v[148:149], -v[150:151]
	v_add_f64_e32 v[178:179], v[130:131], v[128:129]
	v_add_f64_e32 v[168:169], v[168:169], v[172:173]
	ds_load_b128 v[4:7], v2 offset:1344
	ds_load_b128 v[128:131], v2 offset:1360
	scratch_load_b128 v[148:151], off, off offset:720
	v_fmac_f64_e32 v[174:175], v[138:139], v[132:133]
	v_fma_f64 v[136:137], v[136:137], v[132:133], -v[134:135]
	scratch_load_b128 v[132:135], off, off offset:736
	s_wait_loadcnt_dscnt 0xb01
	v_mul_f64_e32 v[172:173], v[4:5], v[166:167]
	v_mul_f64_e32 v[166:167], v[6:7], v[166:167]
	v_add_f64_e32 v[138:139], v[178:179], v[176:177]
	v_add_f64_e32 v[168:169], v[168:169], v[170:171]
	s_wait_loadcnt_dscnt 0xa00
	v_mul_f64_e32 v[170:171], v[128:129], v[10:11]
	v_mul_f64_e32 v[10:11], v[130:131], v[10:11]
	v_fmac_f64_e32 v[172:173], v[6:7], v[164:165]
	v_fma_f64 v[176:177], v[4:5], v[164:165], -v[166:167]
	v_add_f64_e32 v[178:179], v[138:139], v[136:137]
	v_add_f64_e32 v[168:169], v[168:169], v[174:175]
	ds_load_b128 v[4:7], v2 offset:1376
	ds_load_b128 v[136:139], v2 offset:1392
	scratch_load_b128 v[164:167], off, off offset:752
	v_fmac_f64_e32 v[170:171], v[130:131], v[8:9]
	v_fma_f64 v[128:129], v[128:129], v[8:9], -v[10:11]
	scratch_load_b128 v[8:11], off, off offset:768
	s_wait_loadcnt_dscnt 0xb01
	v_mul_f64_e32 v[174:175], v[4:5], v[154:155]
	v_mul_f64_e32 v[154:155], v[6:7], v[154:155]
	v_add_f64_e32 v[130:131], v[178:179], v[176:177]
	v_add_f64_e32 v[168:169], v[168:169], v[172:173]
	s_wait_loadcnt_dscnt 0xa00
	v_mul_f64_e32 v[172:173], v[136:137], v[18:19]
	v_mul_f64_e32 v[18:19], v[138:139], v[18:19]
	v_fmac_f64_e32 v[174:175], v[6:7], v[152:153]
	v_fma_f64 v[152:153], v[4:5], v[152:153], -v[154:155]
	v_add_f64_e32 v[154:155], v[130:131], v[128:129]
	v_add_f64_e32 v[168:169], v[168:169], v[170:171]
	ds_load_b128 v[4:7], v2 offset:1408
	ds_load_b128 v[128:131], v2 offset:1424
	v_fmac_f64_e32 v[172:173], v[138:139], v[16:17]
	v_fma_f64 v[16:17], v[136:137], v[16:17], -v[18:19]
	s_wait_loadcnt_dscnt 0x901
	v_mul_f64_e32 v[170:171], v[4:5], v[162:163]
	v_mul_f64_e32 v[162:163], v[6:7], v[162:163]
	s_wait_loadcnt_dscnt 0x800
	v_mul_f64_e32 v[138:139], v[128:129], v[14:15]
	v_add_f64_e32 v[18:19], v[154:155], v[152:153]
	v_add_f64_e32 v[136:137], v[168:169], v[174:175]
	v_mul_f64_e32 v[152:153], v[130:131], v[14:15]
	v_fmac_f64_e32 v[170:171], v[6:7], v[160:161]
	v_fma_f64 v[154:155], v[4:5], v[160:161], -v[162:163]
	v_fmac_f64_e32 v[138:139], v[130:131], v[12:13]
	v_add_f64_e32 v[18:19], v[18:19], v[16:17]
	v_add_f64_e32 v[136:137], v[136:137], v[172:173]
	ds_load_b128 v[4:7], v2 offset:1440
	ds_load_b128 v[14:17], v2 offset:1456
	v_fma_f64 v[12:13], v[128:129], v[12:13], -v[152:153]
	s_wait_loadcnt_dscnt 0x701
	v_mul_f64_e32 v[160:161], v[4:5], v[142:143]
	v_mul_f64_e32 v[142:143], v[6:7], v[142:143]
	v_add_f64_e32 v[18:19], v[18:19], v[154:155]
	v_add_f64_e32 v[128:129], v[136:137], v[170:171]
	s_wait_loadcnt_dscnt 0x600
	v_mul_f64_e32 v[136:137], v[14:15], v[22:23]
	v_mul_f64_e32 v[22:23], v[16:17], v[22:23]
	v_fmac_f64_e32 v[160:161], v[6:7], v[140:141]
	v_fma_f64 v[140:141], v[4:5], v[140:141], -v[142:143]
	v_add_f64_e32 v[12:13], v[18:19], v[12:13]
	v_add_f64_e32 v[18:19], v[128:129], v[138:139]
	ds_load_b128 v[4:7], v2 offset:1472
	ds_load_b128 v[128:131], v2 offset:1488
	v_fmac_f64_e32 v[136:137], v[16:17], v[20:21]
	v_fma_f64 v[14:15], v[14:15], v[20:21], -v[22:23]
	s_wait_loadcnt_dscnt 0x501
	v_mul_f64_e32 v[138:139], v[4:5], v[146:147]
	v_mul_f64_e32 v[142:143], v[6:7], v[146:147]
	s_wait_loadcnt_dscnt 0x400
	v_mul_f64_e32 v[20:21], v[130:131], v[126:127]
	v_add_f64_e32 v[12:13], v[12:13], v[140:141]
	v_add_f64_e32 v[16:17], v[18:19], v[160:161]
	v_mul_f64_e32 v[18:19], v[128:129], v[126:127]
	v_fmac_f64_e32 v[138:139], v[6:7], v[144:145]
	v_fma_f64 v[22:23], v[4:5], v[144:145], -v[142:143]
	v_fma_f64 v[20:21], v[128:129], v[124:125], -v[20:21]
	v_add_f64_e32 v[126:127], v[12:13], v[14:15]
	v_add_f64_e32 v[16:17], v[16:17], v[136:137]
	ds_load_b128 v[4:7], v2 offset:1504
	ds_load_b128 v[12:15], v2 offset:1520
	v_fmac_f64_e32 v[18:19], v[130:131], v[124:125]
	s_wait_loadcnt_dscnt 0x301
	v_mul_f64_e32 v[136:137], v[4:5], v[150:151]
	v_mul_f64_e32 v[140:141], v[6:7], v[150:151]
	s_wait_loadcnt_dscnt 0x200
	v_mul_f64_e32 v[124:125], v[12:13], v[134:135]
	v_add_f64_e32 v[22:23], v[126:127], v[22:23]
	v_add_f64_e32 v[16:17], v[16:17], v[138:139]
	v_mul_f64_e32 v[126:127], v[14:15], v[134:135]
	v_fmac_f64_e32 v[136:137], v[6:7], v[148:149]
	v_fma_f64 v[128:129], v[4:5], v[148:149], -v[140:141]
	v_fmac_f64_e32 v[124:125], v[14:15], v[132:133]
	v_add_f64_e32 v[20:21], v[22:23], v[20:21]
	v_add_f64_e32 v[22:23], v[16:17], v[18:19]
	ds_load_b128 v[4:7], v2 offset:1536
	ds_load_b128 v[16:19], v2 offset:1552
	v_fma_f64 v[12:13], v[12:13], v[132:133], -v[126:127]
	s_wait_loadcnt_dscnt 0x101
	v_mul_f64_e32 v[2:3], v[4:5], v[166:167]
	v_mul_f64_e32 v[130:131], v[6:7], v[166:167]
	v_add_f64_e32 v[14:15], v[20:21], v[128:129]
	v_add_f64_e32 v[20:21], v[22:23], v[136:137]
	s_wait_loadcnt_dscnt 0x0
	v_mul_f64_e32 v[22:23], v[16:17], v[10:11]
	v_mul_f64_e32 v[10:11], v[18:19], v[10:11]
	v_fmac_f64_e32 v[2:3], v[6:7], v[164:165]
	v_fma_f64 v[4:5], v[4:5], v[164:165], -v[130:131]
	v_add_f64_e32 v[6:7], v[14:15], v[12:13]
	v_add_f64_e32 v[12:13], v[20:21], v[124:125]
	v_fmac_f64_e32 v[22:23], v[18:19], v[8:9]
	v_fma_f64 v[8:9], v[16:17], v[8:9], -v[10:11]
	s_delay_alu instid0(VALU_DEP_4) | instskip(NEXT) | instid1(VALU_DEP_4)
	v_add_f64_e32 v[4:5], v[6:7], v[4:5]
	v_add_f64_e32 v[2:3], v[12:13], v[2:3]
	s_delay_alu instid0(VALU_DEP_2) | instskip(NEXT) | instid1(VALU_DEP_2)
	v_add_f64_e32 v[4:5], v[4:5], v[8:9]
	v_add_f64_e32 v[6:7], v[2:3], v[22:23]
	s_delay_alu instid0(VALU_DEP_2) | instskip(NEXT) | instid1(VALU_DEP_2)
	v_add_f64_e64 v[2:3], v[156:157], -v[4:5]
	v_add_f64_e64 v[4:5], v[158:159], -v[6:7]
	scratch_store_b128 off, v[2:5], off offset:160
	s_wait_xcnt 0x0
	v_cmpx_lt_u32_e32 9, v1
	s_cbranch_execz .LBB48_289
; %bb.288:
	scratch_load_b128 v[2:5], off, s51
	v_mov_b32_e32 v6, 0
	s_delay_alu instid0(VALU_DEP_1)
	v_dual_mov_b32 v7, v6 :: v_dual_mov_b32 v8, v6
	v_mov_b32_e32 v9, v6
	scratch_store_b128 off, v[6:9], off offset:144
	s_wait_loadcnt 0x0
	ds_store_b128 v122, v[2:5]
.LBB48_289:
	s_wait_xcnt 0x0
	s_or_b32 exec_lo, exec_lo, s2
	s_wait_storecnt_dscnt 0x0
	s_barrier_signal -1
	s_barrier_wait -1
	s_clause 0x9
	scratch_load_b128 v[4:7], off, off offset:160
	scratch_load_b128 v[8:11], off, off offset:176
	;; [unrolled: 1-line block ×10, first 2 shown]
	v_mov_b32_e32 v2, 0
	s_mov_b32 s2, exec_lo
	ds_load_b128 v[144:147], v2 offset:944
	s_clause 0x2
	scratch_load_b128 v[148:151], off, off offset:320
	scratch_load_b128 v[152:155], off, off offset:144
	;; [unrolled: 1-line block ×3, first 2 shown]
	s_wait_loadcnt_dscnt 0xc00
	v_mul_f64_e32 v[164:165], v[146:147], v[6:7]
	v_mul_f64_e32 v[168:169], v[144:145], v[6:7]
	ds_load_b128 v[156:159], v2 offset:960
	v_fma_f64 v[172:173], v[144:145], v[4:5], -v[164:165]
	v_fmac_f64_e32 v[168:169], v[146:147], v[4:5]
	ds_load_b128 v[4:7], v2 offset:976
	s_wait_loadcnt_dscnt 0xb01
	v_mul_f64_e32 v[170:171], v[156:157], v[10:11]
	v_mul_f64_e32 v[10:11], v[158:159], v[10:11]
	scratch_load_b128 v[144:147], off, off offset:352
	ds_load_b128 v[164:167], v2 offset:992
	s_wait_loadcnt_dscnt 0xb01
	v_mul_f64_e32 v[174:175], v[4:5], v[14:15]
	v_mul_f64_e32 v[14:15], v[6:7], v[14:15]
	v_add_f64_e32 v[168:169], 0, v[168:169]
	v_fmac_f64_e32 v[170:171], v[158:159], v[8:9]
	v_fma_f64 v[156:157], v[156:157], v[8:9], -v[10:11]
	v_add_f64_e32 v[158:159], 0, v[172:173]
	scratch_load_b128 v[8:11], off, off offset:368
	v_fmac_f64_e32 v[174:175], v[6:7], v[12:13]
	v_fma_f64 v[176:177], v[4:5], v[12:13], -v[14:15]
	ds_load_b128 v[4:7], v2 offset:1008
	s_wait_loadcnt_dscnt 0xb01
	v_mul_f64_e32 v[172:173], v[164:165], v[18:19]
	v_mul_f64_e32 v[18:19], v[166:167], v[18:19]
	scratch_load_b128 v[12:15], off, off offset:384
	v_add_f64_e32 v[168:169], v[168:169], v[170:171]
	v_add_f64_e32 v[178:179], v[158:159], v[156:157]
	ds_load_b128 v[156:159], v2 offset:1024
	s_wait_loadcnt_dscnt 0xb01
	v_mul_f64_e32 v[170:171], v[4:5], v[22:23]
	v_mul_f64_e32 v[22:23], v[6:7], v[22:23]
	v_fmac_f64_e32 v[172:173], v[166:167], v[16:17]
	v_fma_f64 v[164:165], v[164:165], v[16:17], -v[18:19]
	scratch_load_b128 v[16:19], off, off offset:400
	v_add_f64_e32 v[168:169], v[168:169], v[174:175]
	v_add_f64_e32 v[166:167], v[178:179], v[176:177]
	v_fmac_f64_e32 v[170:171], v[6:7], v[20:21]
	v_fma_f64 v[176:177], v[4:5], v[20:21], -v[22:23]
	ds_load_b128 v[4:7], v2 offset:1040
	s_wait_loadcnt_dscnt 0xb01
	v_mul_f64_e32 v[174:175], v[156:157], v[126:127]
	v_mul_f64_e32 v[126:127], v[158:159], v[126:127]
	scratch_load_b128 v[20:23], off, off offset:416
	v_add_f64_e32 v[168:169], v[168:169], v[172:173]
	s_wait_loadcnt_dscnt 0xb00
	v_mul_f64_e32 v[172:173], v[4:5], v[130:131]
	v_add_f64_e32 v[178:179], v[166:167], v[164:165]
	v_mul_f64_e32 v[130:131], v[6:7], v[130:131]
	ds_load_b128 v[164:167], v2 offset:1056
	v_fmac_f64_e32 v[174:175], v[158:159], v[124:125]
	v_fma_f64 v[156:157], v[156:157], v[124:125], -v[126:127]
	scratch_load_b128 v[124:127], off, off offset:432
	v_add_f64_e32 v[168:169], v[168:169], v[170:171]
	v_fmac_f64_e32 v[172:173], v[6:7], v[128:129]
	v_add_f64_e32 v[158:159], v[178:179], v[176:177]
	v_fma_f64 v[176:177], v[4:5], v[128:129], -v[130:131]
	ds_load_b128 v[4:7], v2 offset:1072
	s_wait_loadcnt_dscnt 0xb01
	v_mul_f64_e32 v[170:171], v[164:165], v[134:135]
	v_mul_f64_e32 v[134:135], v[166:167], v[134:135]
	scratch_load_b128 v[128:131], off, off offset:448
	v_add_f64_e32 v[168:169], v[168:169], v[174:175]
	s_wait_loadcnt_dscnt 0xb00
	v_mul_f64_e32 v[174:175], v[4:5], v[138:139]
	v_add_f64_e32 v[178:179], v[158:159], v[156:157]
	v_mul_f64_e32 v[138:139], v[6:7], v[138:139]
	ds_load_b128 v[156:159], v2 offset:1088
	v_fmac_f64_e32 v[170:171], v[166:167], v[132:133]
	v_fma_f64 v[164:165], v[164:165], v[132:133], -v[134:135]
	scratch_load_b128 v[132:135], off, off offset:464
	v_add_f64_e32 v[168:169], v[168:169], v[172:173]
	v_fmac_f64_e32 v[174:175], v[6:7], v[136:137]
	v_add_f64_e32 v[166:167], v[178:179], v[176:177]
	v_fma_f64 v[176:177], v[4:5], v[136:137], -v[138:139]
	ds_load_b128 v[4:7], v2 offset:1104
	s_wait_loadcnt_dscnt 0xb01
	v_mul_f64_e32 v[172:173], v[156:157], v[142:143]
	v_mul_f64_e32 v[142:143], v[158:159], v[142:143]
	scratch_load_b128 v[136:139], off, off offset:480
	v_add_f64_e32 v[168:169], v[168:169], v[170:171]
	s_wait_loadcnt_dscnt 0xb00
	v_mul_f64_e32 v[170:171], v[4:5], v[150:151]
	v_add_f64_e32 v[178:179], v[166:167], v[164:165]
	v_mul_f64_e32 v[150:151], v[6:7], v[150:151]
	ds_load_b128 v[164:167], v2 offset:1120
	v_fmac_f64_e32 v[172:173], v[158:159], v[140:141]
	v_fma_f64 v[156:157], v[156:157], v[140:141], -v[142:143]
	scratch_load_b128 v[140:143], off, off offset:496
	v_add_f64_e32 v[168:169], v[168:169], v[174:175]
	v_fmac_f64_e32 v[170:171], v[6:7], v[148:149]
	v_add_f64_e32 v[158:159], v[178:179], v[176:177]
	v_fma_f64 v[176:177], v[4:5], v[148:149], -v[150:151]
	ds_load_b128 v[4:7], v2 offset:1136
	s_wait_loadcnt_dscnt 0xa01
	v_mul_f64_e32 v[174:175], v[164:165], v[162:163]
	v_mul_f64_e32 v[162:163], v[166:167], v[162:163]
	scratch_load_b128 v[148:151], off, off offset:512
	v_add_f64_e32 v[168:169], v[168:169], v[172:173]
	v_add_f64_e32 v[178:179], v[158:159], v[156:157]
	s_wait_loadcnt_dscnt 0xa00
	v_mul_f64_e32 v[172:173], v[4:5], v[146:147]
	v_mul_f64_e32 v[146:147], v[6:7], v[146:147]
	v_fmac_f64_e32 v[174:175], v[166:167], v[160:161]
	v_fma_f64 v[164:165], v[164:165], v[160:161], -v[162:163]
	ds_load_b128 v[156:159], v2 offset:1152
	scratch_load_b128 v[160:163], off, off offset:528
	v_add_f64_e32 v[168:169], v[168:169], v[170:171]
	v_add_f64_e32 v[166:167], v[178:179], v[176:177]
	v_fmac_f64_e32 v[172:173], v[6:7], v[144:145]
	v_fma_f64 v[176:177], v[4:5], v[144:145], -v[146:147]
	ds_load_b128 v[4:7], v2 offset:1168
	s_wait_loadcnt_dscnt 0xa01
	v_mul_f64_e32 v[170:171], v[156:157], v[10:11]
	v_mul_f64_e32 v[10:11], v[158:159], v[10:11]
	scratch_load_b128 v[144:147], off, off offset:544
	v_add_f64_e32 v[168:169], v[168:169], v[174:175]
	s_wait_loadcnt_dscnt 0xa00
	v_mul_f64_e32 v[174:175], v[4:5], v[14:15]
	v_add_f64_e32 v[178:179], v[166:167], v[164:165]
	v_mul_f64_e32 v[14:15], v[6:7], v[14:15]
	ds_load_b128 v[164:167], v2 offset:1184
	v_fmac_f64_e32 v[170:171], v[158:159], v[8:9]
	v_fma_f64 v[156:157], v[156:157], v[8:9], -v[10:11]
	scratch_load_b128 v[8:11], off, off offset:560
	v_add_f64_e32 v[168:169], v[168:169], v[172:173]
	v_fmac_f64_e32 v[174:175], v[6:7], v[12:13]
	v_add_f64_e32 v[158:159], v[178:179], v[176:177]
	v_fma_f64 v[176:177], v[4:5], v[12:13], -v[14:15]
	ds_load_b128 v[4:7], v2 offset:1200
	s_wait_loadcnt_dscnt 0xa01
	v_mul_f64_e32 v[172:173], v[164:165], v[18:19]
	v_mul_f64_e32 v[18:19], v[166:167], v[18:19]
	scratch_load_b128 v[12:15], off, off offset:576
	v_add_f64_e32 v[168:169], v[168:169], v[170:171]
	s_wait_loadcnt_dscnt 0xa00
	v_mul_f64_e32 v[170:171], v[4:5], v[22:23]
	v_add_f64_e32 v[178:179], v[158:159], v[156:157]
	v_mul_f64_e32 v[22:23], v[6:7], v[22:23]
	ds_load_b128 v[156:159], v2 offset:1216
	v_fmac_f64_e32 v[172:173], v[166:167], v[16:17]
	v_fma_f64 v[164:165], v[164:165], v[16:17], -v[18:19]
	scratch_load_b128 v[16:19], off, off offset:592
	v_add_f64_e32 v[168:169], v[168:169], v[174:175]
	v_fmac_f64_e32 v[170:171], v[6:7], v[20:21]
	v_add_f64_e32 v[166:167], v[178:179], v[176:177]
	;; [unrolled: 18-line block ×7, first 2 shown]
	v_fma_f64 v[176:177], v[4:5], v[12:13], -v[14:15]
	ds_load_b128 v[4:7], v2 offset:1392
	s_wait_loadcnt_dscnt 0xa01
	v_mul_f64_e32 v[172:173], v[164:165], v[18:19]
	v_mul_f64_e32 v[18:19], v[166:167], v[18:19]
	scratch_load_b128 v[12:15], off, off offset:768
	v_add_f64_e32 v[168:169], v[168:169], v[170:171]
	s_wait_loadcnt_dscnt 0xa00
	v_mul_f64_e32 v[170:171], v[4:5], v[22:23]
	v_add_f64_e32 v[178:179], v[158:159], v[156:157]
	v_mul_f64_e32 v[22:23], v[6:7], v[22:23]
	ds_load_b128 v[156:159], v2 offset:1408
	v_fmac_f64_e32 v[172:173], v[166:167], v[16:17]
	v_fma_f64 v[16:17], v[164:165], v[16:17], -v[18:19]
	s_wait_loadcnt_dscnt 0x900
	v_mul_f64_e32 v[166:167], v[156:157], v[126:127]
	v_mul_f64_e32 v[126:127], v[158:159], v[126:127]
	v_add_f64_e32 v[164:165], v[168:169], v[174:175]
	v_fmac_f64_e32 v[170:171], v[6:7], v[20:21]
	v_add_f64_e32 v[18:19], v[178:179], v[176:177]
	v_fma_f64 v[20:21], v[4:5], v[20:21], -v[22:23]
	v_fmac_f64_e32 v[166:167], v[158:159], v[124:125]
	v_fma_f64 v[124:125], v[156:157], v[124:125], -v[126:127]
	v_add_f64_e32 v[164:165], v[164:165], v[172:173]
	v_add_f64_e32 v[22:23], v[18:19], v[16:17]
	ds_load_b128 v[4:7], v2 offset:1424
	ds_load_b128 v[16:19], v2 offset:1440
	s_wait_loadcnt_dscnt 0x801
	v_mul_f64_e32 v[168:169], v[4:5], v[130:131]
	v_mul_f64_e32 v[130:131], v[6:7], v[130:131]
	s_wait_loadcnt_dscnt 0x700
	v_mul_f64_e32 v[126:127], v[16:17], v[134:135]
	v_mul_f64_e32 v[134:135], v[18:19], v[134:135]
	v_add_f64_e32 v[20:21], v[22:23], v[20:21]
	v_add_f64_e32 v[22:23], v[164:165], v[170:171]
	v_fmac_f64_e32 v[168:169], v[6:7], v[128:129]
	v_fma_f64 v[128:129], v[4:5], v[128:129], -v[130:131]
	v_fmac_f64_e32 v[126:127], v[18:19], v[132:133]
	v_fma_f64 v[16:17], v[16:17], v[132:133], -v[134:135]
	v_add_f64_e32 v[124:125], v[20:21], v[124:125]
	v_add_f64_e32 v[130:131], v[22:23], v[166:167]
	ds_load_b128 v[4:7], v2 offset:1456
	ds_load_b128 v[20:23], v2 offset:1472
	s_wait_loadcnt_dscnt 0x601
	v_mul_f64_e32 v[156:157], v[4:5], v[138:139]
	v_mul_f64_e32 v[138:139], v[6:7], v[138:139]
	v_add_f64_e32 v[18:19], v[124:125], v[128:129]
	v_add_f64_e32 v[124:125], v[130:131], v[168:169]
	s_wait_loadcnt_dscnt 0x500
	v_mul_f64_e32 v[128:129], v[20:21], v[142:143]
	v_mul_f64_e32 v[130:131], v[22:23], v[142:143]
	v_fmac_f64_e32 v[156:157], v[6:7], v[136:137]
	v_fma_f64 v[132:133], v[4:5], v[136:137], -v[138:139]
	v_add_f64_e32 v[134:135], v[18:19], v[16:17]
	v_add_f64_e32 v[124:125], v[124:125], v[126:127]
	ds_load_b128 v[4:7], v2 offset:1488
	ds_load_b128 v[16:19], v2 offset:1504
	v_fmac_f64_e32 v[128:129], v[22:23], v[140:141]
	v_fma_f64 v[20:21], v[20:21], v[140:141], -v[130:131]
	s_wait_loadcnt_dscnt 0x401
	v_mul_f64_e32 v[126:127], v[4:5], v[150:151]
	v_mul_f64_e32 v[136:137], v[6:7], v[150:151]
	s_wait_loadcnt_dscnt 0x300
	v_mul_f64_e32 v[130:131], v[16:17], v[162:163]
	v_add_f64_e32 v[22:23], v[134:135], v[132:133]
	v_add_f64_e32 v[124:125], v[124:125], v[156:157]
	v_mul_f64_e32 v[132:133], v[18:19], v[162:163]
	v_fmac_f64_e32 v[126:127], v[6:7], v[148:149]
	v_fma_f64 v[134:135], v[4:5], v[148:149], -v[136:137]
	v_fmac_f64_e32 v[130:131], v[18:19], v[160:161]
	v_add_f64_e32 v[136:137], v[22:23], v[20:21]
	v_add_f64_e32 v[124:125], v[124:125], v[128:129]
	ds_load_b128 v[4:7], v2 offset:1520
	ds_load_b128 v[20:23], v2 offset:1536
	v_fma_f64 v[16:17], v[16:17], v[160:161], -v[132:133]
	s_wait_loadcnt_dscnt 0x201
	v_mul_f64_e32 v[128:129], v[4:5], v[146:147]
	v_mul_f64_e32 v[138:139], v[6:7], v[146:147]
	v_add_f64_e32 v[18:19], v[136:137], v[134:135]
	v_add_f64_e32 v[124:125], v[124:125], v[126:127]
	s_wait_loadcnt_dscnt 0x100
	v_mul_f64_e32 v[126:127], v[20:21], v[10:11]
	v_mul_f64_e32 v[10:11], v[22:23], v[10:11]
	v_fmac_f64_e32 v[128:129], v[6:7], v[144:145]
	v_fma_f64 v[132:133], v[4:5], v[144:145], -v[138:139]
	ds_load_b128 v[4:7], v2 offset:1552
	v_add_f64_e32 v[16:17], v[18:19], v[16:17]
	v_add_f64_e32 v[18:19], v[124:125], v[130:131]
	v_fmac_f64_e32 v[126:127], v[22:23], v[8:9]
	v_fma_f64 v[8:9], v[20:21], v[8:9], -v[10:11]
	s_wait_loadcnt_dscnt 0x0
	v_mul_f64_e32 v[124:125], v[4:5], v[14:15]
	v_mul_f64_e32 v[14:15], v[6:7], v[14:15]
	v_add_f64_e32 v[10:11], v[16:17], v[132:133]
	v_add_f64_e32 v[16:17], v[18:19], v[128:129]
	s_delay_alu instid0(VALU_DEP_4) | instskip(NEXT) | instid1(VALU_DEP_4)
	v_fmac_f64_e32 v[124:125], v[6:7], v[12:13]
	v_fma_f64 v[4:5], v[4:5], v[12:13], -v[14:15]
	s_delay_alu instid0(VALU_DEP_4) | instskip(NEXT) | instid1(VALU_DEP_4)
	v_add_f64_e32 v[6:7], v[10:11], v[8:9]
	v_add_f64_e32 v[8:9], v[16:17], v[126:127]
	s_delay_alu instid0(VALU_DEP_2) | instskip(NEXT) | instid1(VALU_DEP_2)
	v_add_f64_e32 v[4:5], v[6:7], v[4:5]
	v_add_f64_e32 v[6:7], v[8:9], v[124:125]
	s_delay_alu instid0(VALU_DEP_2) | instskip(NEXT) | instid1(VALU_DEP_2)
	v_add_f64_e64 v[4:5], v[152:153], -v[4:5]
	v_add_f64_e64 v[6:7], v[154:155], -v[6:7]
	scratch_store_b128 off, v[4:7], off offset:144
	s_wait_xcnt 0x0
	v_cmpx_lt_u32_e32 8, v1
	s_cbranch_execz .LBB48_291
; %bb.290:
	scratch_load_b128 v[6:9], off, s50
	v_dual_mov_b32 v3, v2 :: v_dual_mov_b32 v4, v2
	v_mov_b32_e32 v5, v2
	scratch_store_b128 off, v[2:5], off offset:128
	s_wait_loadcnt 0x0
	ds_store_b128 v122, v[6:9]
.LBB48_291:
	s_wait_xcnt 0x0
	s_or_b32 exec_lo, exec_lo, s2
	s_wait_storecnt_dscnt 0x0
	s_barrier_signal -1
	s_barrier_wait -1
	s_clause 0x9
	scratch_load_b128 v[4:7], off, off offset:144
	scratch_load_b128 v[8:11], off, off offset:160
	;; [unrolled: 1-line block ×10, first 2 shown]
	ds_load_b128 v[144:147], v2 offset:928
	ds_load_b128 v[152:155], v2 offset:944
	s_clause 0x2
	scratch_load_b128 v[148:151], off, off offset:304
	scratch_load_b128 v[156:159], off, off offset:128
	;; [unrolled: 1-line block ×3, first 2 shown]
	s_mov_b32 s2, exec_lo
	s_wait_loadcnt_dscnt 0xc01
	v_mul_f64_e32 v[164:165], v[146:147], v[6:7]
	v_mul_f64_e32 v[168:169], v[144:145], v[6:7]
	s_wait_loadcnt_dscnt 0xb00
	v_mul_f64_e32 v[170:171], v[152:153], v[10:11]
	v_mul_f64_e32 v[10:11], v[154:155], v[10:11]
	s_delay_alu instid0(VALU_DEP_4) | instskip(NEXT) | instid1(VALU_DEP_4)
	v_fma_f64 v[172:173], v[144:145], v[4:5], -v[164:165]
	v_fmac_f64_e32 v[168:169], v[146:147], v[4:5]
	ds_load_b128 v[4:7], v2 offset:960
	ds_load_b128 v[144:147], v2 offset:976
	scratch_load_b128 v[164:167], off, off offset:336
	v_fmac_f64_e32 v[170:171], v[154:155], v[8:9]
	v_fma_f64 v[152:153], v[152:153], v[8:9], -v[10:11]
	scratch_load_b128 v[8:11], off, off offset:352
	s_wait_loadcnt_dscnt 0xc01
	v_mul_f64_e32 v[174:175], v[4:5], v[14:15]
	v_mul_f64_e32 v[14:15], v[6:7], v[14:15]
	v_add_f64_e32 v[154:155], 0, v[172:173]
	v_add_f64_e32 v[168:169], 0, v[168:169]
	s_wait_loadcnt_dscnt 0xb00
	v_mul_f64_e32 v[172:173], v[144:145], v[18:19]
	v_mul_f64_e32 v[18:19], v[146:147], v[18:19]
	v_fmac_f64_e32 v[174:175], v[6:7], v[12:13]
	v_fma_f64 v[176:177], v[4:5], v[12:13], -v[14:15]
	ds_load_b128 v[4:7], v2 offset:992
	ds_load_b128 v[12:15], v2 offset:1008
	v_add_f64_e32 v[178:179], v[154:155], v[152:153]
	v_add_f64_e32 v[168:169], v[168:169], v[170:171]
	scratch_load_b128 v[152:155], off, off offset:368
	v_fmac_f64_e32 v[172:173], v[146:147], v[16:17]
	v_fma_f64 v[144:145], v[144:145], v[16:17], -v[18:19]
	scratch_load_b128 v[16:19], off, off offset:384
	s_wait_loadcnt_dscnt 0xc01
	v_mul_f64_e32 v[170:171], v[4:5], v[22:23]
	v_mul_f64_e32 v[22:23], v[6:7], v[22:23]
	v_add_f64_e32 v[146:147], v[178:179], v[176:177]
	v_add_f64_e32 v[168:169], v[168:169], v[174:175]
	s_wait_loadcnt_dscnt 0xb00
	v_mul_f64_e32 v[174:175], v[12:13], v[126:127]
	v_mul_f64_e32 v[126:127], v[14:15], v[126:127]
	v_fmac_f64_e32 v[170:171], v[6:7], v[20:21]
	v_fma_f64 v[176:177], v[4:5], v[20:21], -v[22:23]
	ds_load_b128 v[4:7], v2 offset:1024
	ds_load_b128 v[20:23], v2 offset:1040
	v_add_f64_e32 v[178:179], v[146:147], v[144:145]
	v_add_f64_e32 v[168:169], v[168:169], v[172:173]
	scratch_load_b128 v[144:147], off, off offset:400
	s_wait_loadcnt_dscnt 0xb01
	v_mul_f64_e32 v[172:173], v[4:5], v[130:131]
	v_mul_f64_e32 v[130:131], v[6:7], v[130:131]
	v_fmac_f64_e32 v[174:175], v[14:15], v[124:125]
	v_fma_f64 v[124:125], v[12:13], v[124:125], -v[126:127]
	scratch_load_b128 v[12:15], off, off offset:416
	v_add_f64_e32 v[126:127], v[178:179], v[176:177]
	v_add_f64_e32 v[168:169], v[168:169], v[170:171]
	s_wait_loadcnt_dscnt 0xb00
	v_mul_f64_e32 v[170:171], v[20:21], v[134:135]
	v_mul_f64_e32 v[134:135], v[22:23], v[134:135]
	v_fmac_f64_e32 v[172:173], v[6:7], v[128:129]
	v_fma_f64 v[176:177], v[4:5], v[128:129], -v[130:131]
	v_add_f64_e32 v[178:179], v[126:127], v[124:125]
	v_add_f64_e32 v[168:169], v[168:169], v[174:175]
	ds_load_b128 v[4:7], v2 offset:1056
	ds_load_b128 v[124:127], v2 offset:1072
	scratch_load_b128 v[128:131], off, off offset:432
	v_fmac_f64_e32 v[170:171], v[22:23], v[132:133]
	v_fma_f64 v[132:133], v[20:21], v[132:133], -v[134:135]
	scratch_load_b128 v[20:23], off, off offset:448
	s_wait_loadcnt_dscnt 0xc01
	v_mul_f64_e32 v[174:175], v[4:5], v[138:139]
	v_mul_f64_e32 v[138:139], v[6:7], v[138:139]
	v_add_f64_e32 v[134:135], v[178:179], v[176:177]
	v_add_f64_e32 v[168:169], v[168:169], v[172:173]
	s_wait_loadcnt_dscnt 0xb00
	v_mul_f64_e32 v[172:173], v[124:125], v[142:143]
	v_mul_f64_e32 v[142:143], v[126:127], v[142:143]
	v_fmac_f64_e32 v[174:175], v[6:7], v[136:137]
	v_fma_f64 v[176:177], v[4:5], v[136:137], -v[138:139]
	v_add_f64_e32 v[178:179], v[134:135], v[132:133]
	v_add_f64_e32 v[168:169], v[168:169], v[170:171]
	ds_load_b128 v[4:7], v2 offset:1088
	ds_load_b128 v[132:135], v2 offset:1104
	scratch_load_b128 v[136:139], off, off offset:464
	v_fmac_f64_e32 v[172:173], v[126:127], v[140:141]
	v_fma_f64 v[140:141], v[124:125], v[140:141], -v[142:143]
	scratch_load_b128 v[124:127], off, off offset:480
	s_wait_loadcnt_dscnt 0xc01
	v_mul_f64_e32 v[170:171], v[4:5], v[150:151]
	v_mul_f64_e32 v[150:151], v[6:7], v[150:151]
	;; [unrolled: 18-line block ×5, first 2 shown]
	v_add_f64_e32 v[162:163], v[178:179], v[176:177]
	v_add_f64_e32 v[168:169], v[168:169], v[174:175]
	s_wait_loadcnt_dscnt 0xa00
	v_mul_f64_e32 v[174:175], v[140:141], v[14:15]
	v_mul_f64_e32 v[14:15], v[142:143], v[14:15]
	v_fmac_f64_e32 v[170:171], v[6:7], v[144:145]
	v_fma_f64 v[176:177], v[4:5], v[144:145], -v[146:147]
	ds_load_b128 v[4:7], v2 offset:1216
	ds_load_b128 v[144:147], v2 offset:1232
	v_add_f64_e32 v[178:179], v[162:163], v[160:161]
	v_add_f64_e32 v[168:169], v[168:169], v[172:173]
	scratch_load_b128 v[160:163], off, off offset:592
	v_fmac_f64_e32 v[174:175], v[142:143], v[12:13]
	v_fma_f64 v[140:141], v[140:141], v[12:13], -v[14:15]
	scratch_load_b128 v[12:15], off, off offset:608
	s_wait_loadcnt_dscnt 0xb01
	v_mul_f64_e32 v[172:173], v[4:5], v[130:131]
	v_mul_f64_e32 v[130:131], v[6:7], v[130:131]
	v_add_f64_e32 v[142:143], v[178:179], v[176:177]
	v_add_f64_e32 v[168:169], v[168:169], v[170:171]
	s_wait_loadcnt_dscnt 0xa00
	v_mul_f64_e32 v[170:171], v[144:145], v[22:23]
	v_mul_f64_e32 v[22:23], v[146:147], v[22:23]
	v_fmac_f64_e32 v[172:173], v[6:7], v[128:129]
	v_fma_f64 v[176:177], v[4:5], v[128:129], -v[130:131]
	ds_load_b128 v[4:7], v2 offset:1248
	ds_load_b128 v[128:131], v2 offset:1264
	v_add_f64_e32 v[178:179], v[142:143], v[140:141]
	v_add_f64_e32 v[168:169], v[168:169], v[174:175]
	scratch_load_b128 v[140:143], off, off offset:624
	s_wait_loadcnt_dscnt 0xa01
	v_mul_f64_e32 v[174:175], v[4:5], v[138:139]
	v_mul_f64_e32 v[138:139], v[6:7], v[138:139]
	v_fmac_f64_e32 v[170:171], v[146:147], v[20:21]
	v_fma_f64 v[144:145], v[144:145], v[20:21], -v[22:23]
	scratch_load_b128 v[20:23], off, off offset:640
	v_add_f64_e32 v[146:147], v[178:179], v[176:177]
	v_add_f64_e32 v[168:169], v[168:169], v[172:173]
	s_wait_loadcnt_dscnt 0xa00
	v_mul_f64_e32 v[172:173], v[128:129], v[126:127]
	v_mul_f64_e32 v[126:127], v[130:131], v[126:127]
	v_fmac_f64_e32 v[174:175], v[6:7], v[136:137]
	v_fma_f64 v[176:177], v[4:5], v[136:137], -v[138:139]
	ds_load_b128 v[4:7], v2 offset:1280
	ds_load_b128 v[136:139], v2 offset:1296
	v_add_f64_e32 v[178:179], v[146:147], v[144:145]
	v_add_f64_e32 v[168:169], v[168:169], v[170:171]
	scratch_load_b128 v[144:147], off, off offset:656
	s_wait_loadcnt_dscnt 0xa01
	v_mul_f64_e32 v[170:171], v[4:5], v[150:151]
	v_mul_f64_e32 v[150:151], v[6:7], v[150:151]
	v_fmac_f64_e32 v[172:173], v[130:131], v[124:125]
	v_fma_f64 v[128:129], v[128:129], v[124:125], -v[126:127]
	scratch_load_b128 v[124:127], off, off offset:672
	v_add_f64_e32 v[130:131], v[178:179], v[176:177]
	v_add_f64_e32 v[168:169], v[168:169], v[174:175]
	s_wait_loadcnt_dscnt 0xa00
	v_mul_f64_e32 v[174:175], v[136:137], v[134:135]
	v_mul_f64_e32 v[134:135], v[138:139], v[134:135]
	v_fmac_f64_e32 v[170:171], v[6:7], v[148:149]
	v_fma_f64 v[176:177], v[4:5], v[148:149], -v[150:151]
	v_add_f64_e32 v[178:179], v[130:131], v[128:129]
	v_add_f64_e32 v[168:169], v[168:169], v[172:173]
	ds_load_b128 v[4:7], v2 offset:1312
	ds_load_b128 v[128:131], v2 offset:1328
	scratch_load_b128 v[148:151], off, off offset:688
	v_fmac_f64_e32 v[174:175], v[138:139], v[132:133]
	v_fma_f64 v[136:137], v[136:137], v[132:133], -v[134:135]
	scratch_load_b128 v[132:135], off, off offset:704
	s_wait_loadcnt_dscnt 0xb01
	v_mul_f64_e32 v[172:173], v[4:5], v[166:167]
	v_mul_f64_e32 v[166:167], v[6:7], v[166:167]
	v_add_f64_e32 v[138:139], v[178:179], v[176:177]
	v_add_f64_e32 v[168:169], v[168:169], v[170:171]
	s_wait_loadcnt_dscnt 0xa00
	v_mul_f64_e32 v[170:171], v[128:129], v[10:11]
	v_mul_f64_e32 v[10:11], v[130:131], v[10:11]
	v_fmac_f64_e32 v[172:173], v[6:7], v[164:165]
	v_fma_f64 v[176:177], v[4:5], v[164:165], -v[166:167]
	v_add_f64_e32 v[178:179], v[138:139], v[136:137]
	v_add_f64_e32 v[168:169], v[168:169], v[174:175]
	ds_load_b128 v[4:7], v2 offset:1344
	ds_load_b128 v[136:139], v2 offset:1360
	scratch_load_b128 v[164:167], off, off offset:720
	v_fmac_f64_e32 v[170:171], v[130:131], v[8:9]
	v_fma_f64 v[128:129], v[128:129], v[8:9], -v[10:11]
	scratch_load_b128 v[8:11], off, off offset:736
	s_wait_loadcnt_dscnt 0xb01
	v_mul_f64_e32 v[174:175], v[4:5], v[154:155]
	v_mul_f64_e32 v[154:155], v[6:7], v[154:155]
	;; [unrolled: 18-line block ×3, first 2 shown]
	v_add_f64_e32 v[138:139], v[178:179], v[176:177]
	v_add_f64_e32 v[168:169], v[168:169], v[174:175]
	s_wait_loadcnt_dscnt 0xa00
	v_mul_f64_e32 v[174:175], v[128:129], v[14:15]
	v_mul_f64_e32 v[14:15], v[130:131], v[14:15]
	v_fmac_f64_e32 v[170:171], v[6:7], v[160:161]
	v_fma_f64 v[160:161], v[4:5], v[160:161], -v[162:163]
	v_add_f64_e32 v[162:163], v[138:139], v[136:137]
	v_add_f64_e32 v[168:169], v[168:169], v[172:173]
	ds_load_b128 v[4:7], v2 offset:1408
	ds_load_b128 v[136:139], v2 offset:1424
	v_fmac_f64_e32 v[174:175], v[130:131], v[12:13]
	v_fma_f64 v[12:13], v[128:129], v[12:13], -v[14:15]
	s_wait_loadcnt_dscnt 0x901
	v_mul_f64_e32 v[172:173], v[4:5], v[142:143]
	v_mul_f64_e32 v[142:143], v[6:7], v[142:143]
	s_wait_loadcnt_dscnt 0x800
	v_mul_f64_e32 v[130:131], v[136:137], v[22:23]
	v_mul_f64_e32 v[22:23], v[138:139], v[22:23]
	v_add_f64_e32 v[14:15], v[162:163], v[160:161]
	v_add_f64_e32 v[128:129], v[168:169], v[170:171]
	v_fmac_f64_e32 v[172:173], v[6:7], v[140:141]
	v_fma_f64 v[140:141], v[4:5], v[140:141], -v[142:143]
	v_fmac_f64_e32 v[130:131], v[138:139], v[20:21]
	v_fma_f64 v[20:21], v[136:137], v[20:21], -v[22:23]
	v_add_f64_e32 v[142:143], v[14:15], v[12:13]
	v_add_f64_e32 v[128:129], v[128:129], v[174:175]
	ds_load_b128 v[4:7], v2 offset:1440
	ds_load_b128 v[12:15], v2 offset:1456
	s_wait_loadcnt_dscnt 0x701
	v_mul_f64_e32 v[160:161], v[4:5], v[146:147]
	v_mul_f64_e32 v[146:147], v[6:7], v[146:147]
	s_wait_loadcnt_dscnt 0x600
	v_mul_f64_e32 v[136:137], v[12:13], v[126:127]
	v_mul_f64_e32 v[126:127], v[14:15], v[126:127]
	v_add_f64_e32 v[22:23], v[142:143], v[140:141]
	v_add_f64_e32 v[128:129], v[128:129], v[172:173]
	v_fmac_f64_e32 v[160:161], v[6:7], v[144:145]
	v_fma_f64 v[138:139], v[4:5], v[144:145], -v[146:147]
	v_fmac_f64_e32 v[136:137], v[14:15], v[124:125]
	v_fma_f64 v[12:13], v[12:13], v[124:125], -v[126:127]
	v_add_f64_e32 v[140:141], v[22:23], v[20:21]
	v_add_f64_e32 v[128:129], v[128:129], v[130:131]
	ds_load_b128 v[4:7], v2 offset:1472
	ds_load_b128 v[20:23], v2 offset:1488
	s_wait_loadcnt_dscnt 0x501
	v_mul_f64_e32 v[130:131], v[4:5], v[150:151]
	v_mul_f64_e32 v[142:143], v[6:7], v[150:151]
	s_wait_loadcnt_dscnt 0x400
	v_mul_f64_e32 v[126:127], v[20:21], v[134:135]
	v_add_f64_e32 v[14:15], v[140:141], v[138:139]
	v_add_f64_e32 v[124:125], v[128:129], v[160:161]
	v_mul_f64_e32 v[128:129], v[22:23], v[134:135]
	v_fmac_f64_e32 v[130:131], v[6:7], v[148:149]
	v_fma_f64 v[134:135], v[4:5], v[148:149], -v[142:143]
	v_fmac_f64_e32 v[126:127], v[22:23], v[132:133]
	v_add_f64_e32 v[138:139], v[14:15], v[12:13]
	v_add_f64_e32 v[124:125], v[124:125], v[136:137]
	ds_load_b128 v[4:7], v2 offset:1504
	ds_load_b128 v[12:15], v2 offset:1520
	v_fma_f64 v[20:21], v[20:21], v[132:133], -v[128:129]
	s_wait_loadcnt_dscnt 0x301
	v_mul_f64_e32 v[136:137], v[4:5], v[166:167]
	v_mul_f64_e32 v[140:141], v[6:7], v[166:167]
	s_wait_loadcnt_dscnt 0x200
	v_mul_f64_e32 v[128:129], v[12:13], v[10:11]
	v_mul_f64_e32 v[10:11], v[14:15], v[10:11]
	v_add_f64_e32 v[22:23], v[138:139], v[134:135]
	v_add_f64_e32 v[124:125], v[124:125], v[130:131]
	v_fmac_f64_e32 v[136:137], v[6:7], v[164:165]
	v_fma_f64 v[130:131], v[4:5], v[164:165], -v[140:141]
	v_fmac_f64_e32 v[128:129], v[14:15], v[8:9]
	v_fma_f64 v[8:9], v[12:13], v[8:9], -v[10:11]
	v_add_f64_e32 v[132:133], v[22:23], v[20:21]
	v_add_f64_e32 v[124:125], v[124:125], v[126:127]
	ds_load_b128 v[4:7], v2 offset:1536
	ds_load_b128 v[20:23], v2 offset:1552
	s_wait_loadcnt_dscnt 0x101
	v_mul_f64_e32 v[2:3], v[4:5], v[154:155]
	v_mul_f64_e32 v[126:127], v[6:7], v[154:155]
	s_wait_loadcnt_dscnt 0x0
	v_mul_f64_e32 v[14:15], v[20:21], v[18:19]
	v_mul_f64_e32 v[18:19], v[22:23], v[18:19]
	v_add_f64_e32 v[10:11], v[132:133], v[130:131]
	v_add_f64_e32 v[12:13], v[124:125], v[136:137]
	v_fmac_f64_e32 v[2:3], v[6:7], v[152:153]
	v_fma_f64 v[4:5], v[4:5], v[152:153], -v[126:127]
	v_fmac_f64_e32 v[14:15], v[22:23], v[16:17]
	v_add_f64_e32 v[6:7], v[10:11], v[8:9]
	v_add_f64_e32 v[8:9], v[12:13], v[128:129]
	v_fma_f64 v[10:11], v[20:21], v[16:17], -v[18:19]
	s_delay_alu instid0(VALU_DEP_3) | instskip(NEXT) | instid1(VALU_DEP_3)
	v_add_f64_e32 v[4:5], v[6:7], v[4:5]
	v_add_f64_e32 v[2:3], v[8:9], v[2:3]
	s_delay_alu instid0(VALU_DEP_2) | instskip(NEXT) | instid1(VALU_DEP_2)
	v_add_f64_e32 v[4:5], v[4:5], v[10:11]
	v_add_f64_e32 v[6:7], v[2:3], v[14:15]
	s_delay_alu instid0(VALU_DEP_2) | instskip(NEXT) | instid1(VALU_DEP_2)
	v_add_f64_e64 v[2:3], v[156:157], -v[4:5]
	v_add_f64_e64 v[4:5], v[158:159], -v[6:7]
	scratch_store_b128 off, v[2:5], off offset:128
	s_wait_xcnt 0x0
	v_cmpx_lt_u32_e32 7, v1
	s_cbranch_execz .LBB48_293
; %bb.292:
	scratch_load_b128 v[2:5], off, s57
	v_mov_b32_e32 v6, 0
	s_delay_alu instid0(VALU_DEP_1)
	v_dual_mov_b32 v7, v6 :: v_dual_mov_b32 v8, v6
	v_mov_b32_e32 v9, v6
	scratch_store_b128 off, v[6:9], off offset:112
	s_wait_loadcnt 0x0
	ds_store_b128 v122, v[2:5]
.LBB48_293:
	s_wait_xcnt 0x0
	s_or_b32 exec_lo, exec_lo, s2
	s_wait_storecnt_dscnt 0x0
	s_barrier_signal -1
	s_barrier_wait -1
	s_clause 0x9
	scratch_load_b128 v[4:7], off, off offset:128
	scratch_load_b128 v[8:11], off, off offset:144
	;; [unrolled: 1-line block ×10, first 2 shown]
	v_mov_b32_e32 v2, 0
	s_mov_b32 s2, exec_lo
	ds_load_b128 v[144:147], v2 offset:912
	s_clause 0x2
	scratch_load_b128 v[148:151], off, off offset:288
	scratch_load_b128 v[152:155], off, off offset:112
	;; [unrolled: 1-line block ×3, first 2 shown]
	s_wait_loadcnt_dscnt 0xc00
	v_mul_f64_e32 v[164:165], v[146:147], v[6:7]
	v_mul_f64_e32 v[168:169], v[144:145], v[6:7]
	ds_load_b128 v[156:159], v2 offset:928
	v_fma_f64 v[172:173], v[144:145], v[4:5], -v[164:165]
	v_fmac_f64_e32 v[168:169], v[146:147], v[4:5]
	ds_load_b128 v[4:7], v2 offset:944
	s_wait_loadcnt_dscnt 0xb01
	v_mul_f64_e32 v[170:171], v[156:157], v[10:11]
	v_mul_f64_e32 v[10:11], v[158:159], v[10:11]
	scratch_load_b128 v[144:147], off, off offset:320
	ds_load_b128 v[164:167], v2 offset:960
	s_wait_loadcnt_dscnt 0xb01
	v_mul_f64_e32 v[174:175], v[4:5], v[14:15]
	v_mul_f64_e32 v[14:15], v[6:7], v[14:15]
	v_add_f64_e32 v[168:169], 0, v[168:169]
	v_fmac_f64_e32 v[170:171], v[158:159], v[8:9]
	v_fma_f64 v[156:157], v[156:157], v[8:9], -v[10:11]
	v_add_f64_e32 v[158:159], 0, v[172:173]
	scratch_load_b128 v[8:11], off, off offset:336
	v_fmac_f64_e32 v[174:175], v[6:7], v[12:13]
	v_fma_f64 v[176:177], v[4:5], v[12:13], -v[14:15]
	ds_load_b128 v[4:7], v2 offset:976
	s_wait_loadcnt_dscnt 0xb01
	v_mul_f64_e32 v[172:173], v[164:165], v[18:19]
	v_mul_f64_e32 v[18:19], v[166:167], v[18:19]
	scratch_load_b128 v[12:15], off, off offset:352
	v_add_f64_e32 v[168:169], v[168:169], v[170:171]
	v_add_f64_e32 v[178:179], v[158:159], v[156:157]
	ds_load_b128 v[156:159], v2 offset:992
	s_wait_loadcnt_dscnt 0xb01
	v_mul_f64_e32 v[170:171], v[4:5], v[22:23]
	v_mul_f64_e32 v[22:23], v[6:7], v[22:23]
	v_fmac_f64_e32 v[172:173], v[166:167], v[16:17]
	v_fma_f64 v[164:165], v[164:165], v[16:17], -v[18:19]
	scratch_load_b128 v[16:19], off, off offset:368
	v_add_f64_e32 v[168:169], v[168:169], v[174:175]
	v_add_f64_e32 v[166:167], v[178:179], v[176:177]
	v_fmac_f64_e32 v[170:171], v[6:7], v[20:21]
	v_fma_f64 v[176:177], v[4:5], v[20:21], -v[22:23]
	ds_load_b128 v[4:7], v2 offset:1008
	s_wait_loadcnt_dscnt 0xb01
	v_mul_f64_e32 v[174:175], v[156:157], v[126:127]
	v_mul_f64_e32 v[126:127], v[158:159], v[126:127]
	scratch_load_b128 v[20:23], off, off offset:384
	v_add_f64_e32 v[168:169], v[168:169], v[172:173]
	s_wait_loadcnt_dscnt 0xb00
	v_mul_f64_e32 v[172:173], v[4:5], v[130:131]
	v_add_f64_e32 v[178:179], v[166:167], v[164:165]
	v_mul_f64_e32 v[130:131], v[6:7], v[130:131]
	ds_load_b128 v[164:167], v2 offset:1024
	v_fmac_f64_e32 v[174:175], v[158:159], v[124:125]
	v_fma_f64 v[156:157], v[156:157], v[124:125], -v[126:127]
	scratch_load_b128 v[124:127], off, off offset:400
	v_add_f64_e32 v[168:169], v[168:169], v[170:171]
	v_fmac_f64_e32 v[172:173], v[6:7], v[128:129]
	v_add_f64_e32 v[158:159], v[178:179], v[176:177]
	v_fma_f64 v[176:177], v[4:5], v[128:129], -v[130:131]
	ds_load_b128 v[4:7], v2 offset:1040
	s_wait_loadcnt_dscnt 0xb01
	v_mul_f64_e32 v[170:171], v[164:165], v[134:135]
	v_mul_f64_e32 v[134:135], v[166:167], v[134:135]
	scratch_load_b128 v[128:131], off, off offset:416
	v_add_f64_e32 v[168:169], v[168:169], v[174:175]
	s_wait_loadcnt_dscnt 0xb00
	v_mul_f64_e32 v[174:175], v[4:5], v[138:139]
	v_add_f64_e32 v[178:179], v[158:159], v[156:157]
	v_mul_f64_e32 v[138:139], v[6:7], v[138:139]
	ds_load_b128 v[156:159], v2 offset:1056
	v_fmac_f64_e32 v[170:171], v[166:167], v[132:133]
	v_fma_f64 v[164:165], v[164:165], v[132:133], -v[134:135]
	scratch_load_b128 v[132:135], off, off offset:432
	v_add_f64_e32 v[168:169], v[168:169], v[172:173]
	v_fmac_f64_e32 v[174:175], v[6:7], v[136:137]
	v_add_f64_e32 v[166:167], v[178:179], v[176:177]
	;; [unrolled: 18-line block ×3, first 2 shown]
	v_fma_f64 v[176:177], v[4:5], v[148:149], -v[150:151]
	ds_load_b128 v[4:7], v2 offset:1104
	s_wait_loadcnt_dscnt 0xa01
	v_mul_f64_e32 v[174:175], v[164:165], v[162:163]
	v_mul_f64_e32 v[162:163], v[166:167], v[162:163]
	scratch_load_b128 v[148:151], off, off offset:480
	v_add_f64_e32 v[168:169], v[168:169], v[172:173]
	v_add_f64_e32 v[178:179], v[158:159], v[156:157]
	s_wait_loadcnt_dscnt 0xa00
	v_mul_f64_e32 v[172:173], v[4:5], v[146:147]
	v_mul_f64_e32 v[146:147], v[6:7], v[146:147]
	v_fmac_f64_e32 v[174:175], v[166:167], v[160:161]
	v_fma_f64 v[164:165], v[164:165], v[160:161], -v[162:163]
	ds_load_b128 v[156:159], v2 offset:1120
	scratch_load_b128 v[160:163], off, off offset:496
	v_add_f64_e32 v[168:169], v[168:169], v[170:171]
	v_add_f64_e32 v[166:167], v[178:179], v[176:177]
	v_fmac_f64_e32 v[172:173], v[6:7], v[144:145]
	v_fma_f64 v[176:177], v[4:5], v[144:145], -v[146:147]
	ds_load_b128 v[4:7], v2 offset:1136
	s_wait_loadcnt_dscnt 0xa01
	v_mul_f64_e32 v[170:171], v[156:157], v[10:11]
	v_mul_f64_e32 v[10:11], v[158:159], v[10:11]
	scratch_load_b128 v[144:147], off, off offset:512
	v_add_f64_e32 v[168:169], v[168:169], v[174:175]
	s_wait_loadcnt_dscnt 0xa00
	v_mul_f64_e32 v[174:175], v[4:5], v[14:15]
	v_add_f64_e32 v[178:179], v[166:167], v[164:165]
	v_mul_f64_e32 v[14:15], v[6:7], v[14:15]
	ds_load_b128 v[164:167], v2 offset:1152
	v_fmac_f64_e32 v[170:171], v[158:159], v[8:9]
	v_fma_f64 v[156:157], v[156:157], v[8:9], -v[10:11]
	scratch_load_b128 v[8:11], off, off offset:528
	v_add_f64_e32 v[168:169], v[168:169], v[172:173]
	v_fmac_f64_e32 v[174:175], v[6:7], v[12:13]
	v_add_f64_e32 v[158:159], v[178:179], v[176:177]
	v_fma_f64 v[176:177], v[4:5], v[12:13], -v[14:15]
	ds_load_b128 v[4:7], v2 offset:1168
	s_wait_loadcnt_dscnt 0xa01
	v_mul_f64_e32 v[172:173], v[164:165], v[18:19]
	v_mul_f64_e32 v[18:19], v[166:167], v[18:19]
	scratch_load_b128 v[12:15], off, off offset:544
	v_add_f64_e32 v[168:169], v[168:169], v[170:171]
	s_wait_loadcnt_dscnt 0xa00
	v_mul_f64_e32 v[170:171], v[4:5], v[22:23]
	v_add_f64_e32 v[178:179], v[158:159], v[156:157]
	v_mul_f64_e32 v[22:23], v[6:7], v[22:23]
	ds_load_b128 v[156:159], v2 offset:1184
	v_fmac_f64_e32 v[172:173], v[166:167], v[16:17]
	v_fma_f64 v[164:165], v[164:165], v[16:17], -v[18:19]
	scratch_load_b128 v[16:19], off, off offset:560
	v_add_f64_e32 v[168:169], v[168:169], v[174:175]
	v_fmac_f64_e32 v[170:171], v[6:7], v[20:21]
	v_add_f64_e32 v[166:167], v[178:179], v[176:177]
	;; [unrolled: 18-line block ×8, first 2 shown]
	v_fma_f64 v[176:177], v[4:5], v[20:21], -v[22:23]
	ds_load_b128 v[4:7], v2 offset:1392
	s_wait_loadcnt_dscnt 0xa01
	v_mul_f64_e32 v[174:175], v[156:157], v[126:127]
	v_mul_f64_e32 v[126:127], v[158:159], v[126:127]
	scratch_load_b128 v[20:23], off, off offset:768
	v_add_f64_e32 v[168:169], v[168:169], v[172:173]
	s_wait_loadcnt_dscnt 0xa00
	v_mul_f64_e32 v[172:173], v[4:5], v[130:131]
	v_add_f64_e32 v[178:179], v[166:167], v[164:165]
	v_mul_f64_e32 v[130:131], v[6:7], v[130:131]
	ds_load_b128 v[164:167], v2 offset:1408
	v_fmac_f64_e32 v[174:175], v[158:159], v[124:125]
	v_fma_f64 v[124:125], v[156:157], v[124:125], -v[126:127]
	s_wait_loadcnt_dscnt 0x900
	v_mul_f64_e32 v[158:159], v[164:165], v[134:135]
	v_mul_f64_e32 v[134:135], v[166:167], v[134:135]
	v_add_f64_e32 v[156:157], v[168:169], v[170:171]
	v_fmac_f64_e32 v[172:173], v[6:7], v[128:129]
	v_add_f64_e32 v[126:127], v[178:179], v[176:177]
	v_fma_f64 v[128:129], v[4:5], v[128:129], -v[130:131]
	v_fmac_f64_e32 v[158:159], v[166:167], v[132:133]
	v_fma_f64 v[132:133], v[164:165], v[132:133], -v[134:135]
	v_add_f64_e32 v[156:157], v[156:157], v[174:175]
	v_add_f64_e32 v[130:131], v[126:127], v[124:125]
	ds_load_b128 v[4:7], v2 offset:1424
	ds_load_b128 v[124:127], v2 offset:1440
	s_wait_loadcnt_dscnt 0x801
	v_mul_f64_e32 v[168:169], v[4:5], v[138:139]
	v_mul_f64_e32 v[138:139], v[6:7], v[138:139]
	s_wait_loadcnt_dscnt 0x700
	v_mul_f64_e32 v[134:135], v[124:125], v[142:143]
	v_mul_f64_e32 v[142:143], v[126:127], v[142:143]
	v_add_f64_e32 v[128:129], v[130:131], v[128:129]
	v_add_f64_e32 v[130:131], v[156:157], v[172:173]
	v_fmac_f64_e32 v[168:169], v[6:7], v[136:137]
	v_fma_f64 v[136:137], v[4:5], v[136:137], -v[138:139]
	v_fmac_f64_e32 v[134:135], v[126:127], v[140:141]
	v_fma_f64 v[124:125], v[124:125], v[140:141], -v[142:143]
	v_add_f64_e32 v[132:133], v[128:129], v[132:133]
	v_add_f64_e32 v[138:139], v[130:131], v[158:159]
	ds_load_b128 v[4:7], v2 offset:1456
	ds_load_b128 v[128:131], v2 offset:1472
	s_wait_loadcnt_dscnt 0x601
	v_mul_f64_e32 v[156:157], v[4:5], v[150:151]
	v_mul_f64_e32 v[150:151], v[6:7], v[150:151]
	v_add_f64_e32 v[126:127], v[132:133], v[136:137]
	v_add_f64_e32 v[132:133], v[138:139], v[168:169]
	s_wait_loadcnt_dscnt 0x500
	v_mul_f64_e32 v[136:137], v[128:129], v[162:163]
	v_mul_f64_e32 v[138:139], v[130:131], v[162:163]
	v_fmac_f64_e32 v[156:157], v[6:7], v[148:149]
	v_fma_f64 v[140:141], v[4:5], v[148:149], -v[150:151]
	v_add_f64_e32 v[142:143], v[126:127], v[124:125]
	v_add_f64_e32 v[132:133], v[132:133], v[134:135]
	ds_load_b128 v[4:7], v2 offset:1488
	ds_load_b128 v[124:127], v2 offset:1504
	v_fmac_f64_e32 v[136:137], v[130:131], v[160:161]
	v_fma_f64 v[128:129], v[128:129], v[160:161], -v[138:139]
	s_wait_loadcnt_dscnt 0x401
	v_mul_f64_e32 v[134:135], v[4:5], v[146:147]
	v_mul_f64_e32 v[146:147], v[6:7], v[146:147]
	s_wait_loadcnt_dscnt 0x300
	v_mul_f64_e32 v[138:139], v[124:125], v[10:11]
	v_mul_f64_e32 v[10:11], v[126:127], v[10:11]
	v_add_f64_e32 v[130:131], v[142:143], v[140:141]
	v_add_f64_e32 v[132:133], v[132:133], v[156:157]
	v_fmac_f64_e32 v[134:135], v[6:7], v[144:145]
	v_fma_f64 v[140:141], v[4:5], v[144:145], -v[146:147]
	v_fmac_f64_e32 v[138:139], v[126:127], v[8:9]
	v_fma_f64 v[8:9], v[124:125], v[8:9], -v[10:11]
	v_add_f64_e32 v[142:143], v[130:131], v[128:129]
	v_add_f64_e32 v[132:133], v[132:133], v[136:137]
	ds_load_b128 v[4:7], v2 offset:1520
	ds_load_b128 v[128:131], v2 offset:1536
	s_wait_loadcnt_dscnt 0x201
	v_mul_f64_e32 v[136:137], v[4:5], v[14:15]
	v_mul_f64_e32 v[14:15], v[6:7], v[14:15]
	s_wait_loadcnt_dscnt 0x100
	v_mul_f64_e32 v[126:127], v[128:129], v[18:19]
	v_mul_f64_e32 v[18:19], v[130:131], v[18:19]
	v_add_f64_e32 v[10:11], v[142:143], v[140:141]
	v_add_f64_e32 v[124:125], v[132:133], v[134:135]
	v_fmac_f64_e32 v[136:137], v[6:7], v[12:13]
	v_fma_f64 v[12:13], v[4:5], v[12:13], -v[14:15]
	ds_load_b128 v[4:7], v2 offset:1552
	v_fmac_f64_e32 v[126:127], v[130:131], v[16:17]
	v_fma_f64 v[16:17], v[128:129], v[16:17], -v[18:19]
	v_add_f64_e32 v[8:9], v[10:11], v[8:9]
	v_add_f64_e32 v[10:11], v[124:125], v[138:139]
	s_wait_loadcnt_dscnt 0x0
	v_mul_f64_e32 v[14:15], v[4:5], v[22:23]
	v_mul_f64_e32 v[22:23], v[6:7], v[22:23]
	s_delay_alu instid0(VALU_DEP_4) | instskip(NEXT) | instid1(VALU_DEP_4)
	v_add_f64_e32 v[8:9], v[8:9], v[12:13]
	v_add_f64_e32 v[10:11], v[10:11], v[136:137]
	s_delay_alu instid0(VALU_DEP_4) | instskip(NEXT) | instid1(VALU_DEP_4)
	v_fmac_f64_e32 v[14:15], v[6:7], v[20:21]
	v_fma_f64 v[4:5], v[4:5], v[20:21], -v[22:23]
	s_delay_alu instid0(VALU_DEP_4) | instskip(NEXT) | instid1(VALU_DEP_4)
	v_add_f64_e32 v[6:7], v[8:9], v[16:17]
	v_add_f64_e32 v[8:9], v[10:11], v[126:127]
	s_delay_alu instid0(VALU_DEP_2) | instskip(NEXT) | instid1(VALU_DEP_2)
	v_add_f64_e32 v[4:5], v[6:7], v[4:5]
	v_add_f64_e32 v[6:7], v[8:9], v[14:15]
	s_delay_alu instid0(VALU_DEP_2) | instskip(NEXT) | instid1(VALU_DEP_2)
	v_add_f64_e64 v[4:5], v[152:153], -v[4:5]
	v_add_f64_e64 v[6:7], v[154:155], -v[6:7]
	scratch_store_b128 off, v[4:7], off offset:112
	s_wait_xcnt 0x0
	v_cmpx_lt_u32_e32 6, v1
	s_cbranch_execz .LBB48_295
; %bb.294:
	scratch_load_b128 v[6:9], off, s54
	v_dual_mov_b32 v3, v2 :: v_dual_mov_b32 v4, v2
	v_mov_b32_e32 v5, v2
	scratch_store_b128 off, v[2:5], off offset:96
	s_wait_loadcnt 0x0
	ds_store_b128 v122, v[6:9]
.LBB48_295:
	s_wait_xcnt 0x0
	s_or_b32 exec_lo, exec_lo, s2
	s_wait_storecnt_dscnt 0x0
	s_barrier_signal -1
	s_barrier_wait -1
	s_clause 0x9
	scratch_load_b128 v[4:7], off, off offset:112
	scratch_load_b128 v[8:11], off, off offset:128
	scratch_load_b128 v[12:15], off, off offset:144
	scratch_load_b128 v[16:19], off, off offset:160
	scratch_load_b128 v[20:23], off, off offset:176
	scratch_load_b128 v[124:127], off, off offset:192
	scratch_load_b128 v[128:131], off, off offset:208
	scratch_load_b128 v[132:135], off, off offset:224
	scratch_load_b128 v[136:139], off, off offset:240
	scratch_load_b128 v[140:143], off, off offset:256
	ds_load_b128 v[144:147], v2 offset:896
	ds_load_b128 v[152:155], v2 offset:912
	s_clause 0x2
	scratch_load_b128 v[148:151], off, off offset:272
	scratch_load_b128 v[156:159], off, off offset:96
	;; [unrolled: 1-line block ×3, first 2 shown]
	s_mov_b32 s2, exec_lo
	s_wait_loadcnt_dscnt 0xc01
	v_mul_f64_e32 v[164:165], v[146:147], v[6:7]
	v_mul_f64_e32 v[168:169], v[144:145], v[6:7]
	s_wait_loadcnt_dscnt 0xb00
	v_mul_f64_e32 v[170:171], v[152:153], v[10:11]
	v_mul_f64_e32 v[10:11], v[154:155], v[10:11]
	s_delay_alu instid0(VALU_DEP_4) | instskip(NEXT) | instid1(VALU_DEP_4)
	v_fma_f64 v[172:173], v[144:145], v[4:5], -v[164:165]
	v_fmac_f64_e32 v[168:169], v[146:147], v[4:5]
	ds_load_b128 v[4:7], v2 offset:928
	ds_load_b128 v[144:147], v2 offset:944
	scratch_load_b128 v[164:167], off, off offset:304
	v_fmac_f64_e32 v[170:171], v[154:155], v[8:9]
	v_fma_f64 v[152:153], v[152:153], v[8:9], -v[10:11]
	scratch_load_b128 v[8:11], off, off offset:320
	s_wait_loadcnt_dscnt 0xc01
	v_mul_f64_e32 v[174:175], v[4:5], v[14:15]
	v_mul_f64_e32 v[14:15], v[6:7], v[14:15]
	v_add_f64_e32 v[154:155], 0, v[172:173]
	v_add_f64_e32 v[168:169], 0, v[168:169]
	s_wait_loadcnt_dscnt 0xb00
	v_mul_f64_e32 v[172:173], v[144:145], v[18:19]
	v_mul_f64_e32 v[18:19], v[146:147], v[18:19]
	v_fmac_f64_e32 v[174:175], v[6:7], v[12:13]
	v_fma_f64 v[176:177], v[4:5], v[12:13], -v[14:15]
	ds_load_b128 v[4:7], v2 offset:960
	ds_load_b128 v[12:15], v2 offset:976
	v_add_f64_e32 v[178:179], v[154:155], v[152:153]
	v_add_f64_e32 v[168:169], v[168:169], v[170:171]
	scratch_load_b128 v[152:155], off, off offset:336
	v_fmac_f64_e32 v[172:173], v[146:147], v[16:17]
	v_fma_f64 v[144:145], v[144:145], v[16:17], -v[18:19]
	scratch_load_b128 v[16:19], off, off offset:352
	s_wait_loadcnt_dscnt 0xc01
	v_mul_f64_e32 v[170:171], v[4:5], v[22:23]
	v_mul_f64_e32 v[22:23], v[6:7], v[22:23]
	v_add_f64_e32 v[146:147], v[178:179], v[176:177]
	v_add_f64_e32 v[168:169], v[168:169], v[174:175]
	s_wait_loadcnt_dscnt 0xb00
	v_mul_f64_e32 v[174:175], v[12:13], v[126:127]
	v_mul_f64_e32 v[126:127], v[14:15], v[126:127]
	v_fmac_f64_e32 v[170:171], v[6:7], v[20:21]
	v_fma_f64 v[176:177], v[4:5], v[20:21], -v[22:23]
	ds_load_b128 v[4:7], v2 offset:992
	ds_load_b128 v[20:23], v2 offset:1008
	v_add_f64_e32 v[178:179], v[146:147], v[144:145]
	v_add_f64_e32 v[168:169], v[168:169], v[172:173]
	scratch_load_b128 v[144:147], off, off offset:368
	s_wait_loadcnt_dscnt 0xb01
	v_mul_f64_e32 v[172:173], v[4:5], v[130:131]
	v_mul_f64_e32 v[130:131], v[6:7], v[130:131]
	v_fmac_f64_e32 v[174:175], v[14:15], v[124:125]
	v_fma_f64 v[124:125], v[12:13], v[124:125], -v[126:127]
	scratch_load_b128 v[12:15], off, off offset:384
	v_add_f64_e32 v[126:127], v[178:179], v[176:177]
	v_add_f64_e32 v[168:169], v[168:169], v[170:171]
	s_wait_loadcnt_dscnt 0xb00
	v_mul_f64_e32 v[170:171], v[20:21], v[134:135]
	v_mul_f64_e32 v[134:135], v[22:23], v[134:135]
	v_fmac_f64_e32 v[172:173], v[6:7], v[128:129]
	v_fma_f64 v[176:177], v[4:5], v[128:129], -v[130:131]
	v_add_f64_e32 v[178:179], v[126:127], v[124:125]
	v_add_f64_e32 v[168:169], v[168:169], v[174:175]
	ds_load_b128 v[4:7], v2 offset:1024
	ds_load_b128 v[124:127], v2 offset:1040
	scratch_load_b128 v[128:131], off, off offset:400
	v_fmac_f64_e32 v[170:171], v[22:23], v[132:133]
	v_fma_f64 v[132:133], v[20:21], v[132:133], -v[134:135]
	scratch_load_b128 v[20:23], off, off offset:416
	s_wait_loadcnt_dscnt 0xc01
	v_mul_f64_e32 v[174:175], v[4:5], v[138:139]
	v_mul_f64_e32 v[138:139], v[6:7], v[138:139]
	v_add_f64_e32 v[134:135], v[178:179], v[176:177]
	v_add_f64_e32 v[168:169], v[168:169], v[172:173]
	s_wait_loadcnt_dscnt 0xb00
	v_mul_f64_e32 v[172:173], v[124:125], v[142:143]
	v_mul_f64_e32 v[142:143], v[126:127], v[142:143]
	v_fmac_f64_e32 v[174:175], v[6:7], v[136:137]
	v_fma_f64 v[176:177], v[4:5], v[136:137], -v[138:139]
	v_add_f64_e32 v[178:179], v[134:135], v[132:133]
	v_add_f64_e32 v[168:169], v[168:169], v[170:171]
	ds_load_b128 v[4:7], v2 offset:1056
	ds_load_b128 v[132:135], v2 offset:1072
	scratch_load_b128 v[136:139], off, off offset:432
	v_fmac_f64_e32 v[172:173], v[126:127], v[140:141]
	v_fma_f64 v[140:141], v[124:125], v[140:141], -v[142:143]
	scratch_load_b128 v[124:127], off, off offset:448
	s_wait_loadcnt_dscnt 0xc01
	v_mul_f64_e32 v[170:171], v[4:5], v[150:151]
	v_mul_f64_e32 v[150:151], v[6:7], v[150:151]
	;; [unrolled: 18-line block ×5, first 2 shown]
	v_add_f64_e32 v[162:163], v[178:179], v[176:177]
	v_add_f64_e32 v[168:169], v[168:169], v[174:175]
	s_wait_loadcnt_dscnt 0xa00
	v_mul_f64_e32 v[174:175], v[140:141], v[14:15]
	v_mul_f64_e32 v[14:15], v[142:143], v[14:15]
	v_fmac_f64_e32 v[170:171], v[6:7], v[144:145]
	v_fma_f64 v[176:177], v[4:5], v[144:145], -v[146:147]
	ds_load_b128 v[4:7], v2 offset:1184
	ds_load_b128 v[144:147], v2 offset:1200
	v_add_f64_e32 v[178:179], v[162:163], v[160:161]
	v_add_f64_e32 v[168:169], v[168:169], v[172:173]
	scratch_load_b128 v[160:163], off, off offset:560
	v_fmac_f64_e32 v[174:175], v[142:143], v[12:13]
	v_fma_f64 v[140:141], v[140:141], v[12:13], -v[14:15]
	scratch_load_b128 v[12:15], off, off offset:576
	s_wait_loadcnt_dscnt 0xb01
	v_mul_f64_e32 v[172:173], v[4:5], v[130:131]
	v_mul_f64_e32 v[130:131], v[6:7], v[130:131]
	v_add_f64_e32 v[142:143], v[178:179], v[176:177]
	v_add_f64_e32 v[168:169], v[168:169], v[170:171]
	s_wait_loadcnt_dscnt 0xa00
	v_mul_f64_e32 v[170:171], v[144:145], v[22:23]
	v_mul_f64_e32 v[22:23], v[146:147], v[22:23]
	v_fmac_f64_e32 v[172:173], v[6:7], v[128:129]
	v_fma_f64 v[176:177], v[4:5], v[128:129], -v[130:131]
	ds_load_b128 v[4:7], v2 offset:1216
	ds_load_b128 v[128:131], v2 offset:1232
	v_add_f64_e32 v[178:179], v[142:143], v[140:141]
	v_add_f64_e32 v[168:169], v[168:169], v[174:175]
	scratch_load_b128 v[140:143], off, off offset:592
	s_wait_loadcnt_dscnt 0xa01
	v_mul_f64_e32 v[174:175], v[4:5], v[138:139]
	v_mul_f64_e32 v[138:139], v[6:7], v[138:139]
	v_fmac_f64_e32 v[170:171], v[146:147], v[20:21]
	v_fma_f64 v[144:145], v[144:145], v[20:21], -v[22:23]
	scratch_load_b128 v[20:23], off, off offset:608
	v_add_f64_e32 v[146:147], v[178:179], v[176:177]
	v_add_f64_e32 v[168:169], v[168:169], v[172:173]
	s_wait_loadcnt_dscnt 0xa00
	v_mul_f64_e32 v[172:173], v[128:129], v[126:127]
	v_mul_f64_e32 v[126:127], v[130:131], v[126:127]
	v_fmac_f64_e32 v[174:175], v[6:7], v[136:137]
	v_fma_f64 v[176:177], v[4:5], v[136:137], -v[138:139]
	ds_load_b128 v[4:7], v2 offset:1248
	ds_load_b128 v[136:139], v2 offset:1264
	v_add_f64_e32 v[178:179], v[146:147], v[144:145]
	v_add_f64_e32 v[168:169], v[168:169], v[170:171]
	scratch_load_b128 v[144:147], off, off offset:624
	s_wait_loadcnt_dscnt 0xa01
	v_mul_f64_e32 v[170:171], v[4:5], v[150:151]
	v_mul_f64_e32 v[150:151], v[6:7], v[150:151]
	v_fmac_f64_e32 v[172:173], v[130:131], v[124:125]
	v_fma_f64 v[128:129], v[128:129], v[124:125], -v[126:127]
	scratch_load_b128 v[124:127], off, off offset:640
	v_add_f64_e32 v[130:131], v[178:179], v[176:177]
	v_add_f64_e32 v[168:169], v[168:169], v[174:175]
	s_wait_loadcnt_dscnt 0xa00
	v_mul_f64_e32 v[174:175], v[136:137], v[134:135]
	v_mul_f64_e32 v[134:135], v[138:139], v[134:135]
	v_fmac_f64_e32 v[170:171], v[6:7], v[148:149]
	v_fma_f64 v[176:177], v[4:5], v[148:149], -v[150:151]
	v_add_f64_e32 v[178:179], v[130:131], v[128:129]
	v_add_f64_e32 v[168:169], v[168:169], v[172:173]
	ds_load_b128 v[4:7], v2 offset:1280
	ds_load_b128 v[128:131], v2 offset:1296
	scratch_load_b128 v[148:151], off, off offset:656
	v_fmac_f64_e32 v[174:175], v[138:139], v[132:133]
	v_fma_f64 v[136:137], v[136:137], v[132:133], -v[134:135]
	scratch_load_b128 v[132:135], off, off offset:672
	s_wait_loadcnt_dscnt 0xb01
	v_mul_f64_e32 v[172:173], v[4:5], v[166:167]
	v_mul_f64_e32 v[166:167], v[6:7], v[166:167]
	v_add_f64_e32 v[138:139], v[178:179], v[176:177]
	v_add_f64_e32 v[168:169], v[168:169], v[170:171]
	s_wait_loadcnt_dscnt 0xa00
	v_mul_f64_e32 v[170:171], v[128:129], v[10:11]
	v_mul_f64_e32 v[10:11], v[130:131], v[10:11]
	v_fmac_f64_e32 v[172:173], v[6:7], v[164:165]
	v_fma_f64 v[176:177], v[4:5], v[164:165], -v[166:167]
	v_add_f64_e32 v[178:179], v[138:139], v[136:137]
	v_add_f64_e32 v[168:169], v[168:169], v[174:175]
	ds_load_b128 v[4:7], v2 offset:1312
	ds_load_b128 v[136:139], v2 offset:1328
	scratch_load_b128 v[164:167], off, off offset:688
	v_fmac_f64_e32 v[170:171], v[130:131], v[8:9]
	v_fma_f64 v[128:129], v[128:129], v[8:9], -v[10:11]
	scratch_load_b128 v[8:11], off, off offset:704
	s_wait_loadcnt_dscnt 0xb01
	v_mul_f64_e32 v[174:175], v[4:5], v[154:155]
	v_mul_f64_e32 v[154:155], v[6:7], v[154:155]
	;; [unrolled: 18-line block ×4, first 2 shown]
	v_add_f64_e32 v[130:131], v[178:179], v[176:177]
	v_add_f64_e32 v[168:169], v[168:169], v[170:171]
	s_wait_loadcnt_dscnt 0xa00
	v_mul_f64_e32 v[170:171], v[136:137], v[22:23]
	v_mul_f64_e32 v[22:23], v[138:139], v[22:23]
	v_fmac_f64_e32 v[172:173], v[6:7], v[140:141]
	v_fma_f64 v[140:141], v[4:5], v[140:141], -v[142:143]
	v_add_f64_e32 v[142:143], v[130:131], v[128:129]
	v_add_f64_e32 v[168:169], v[168:169], v[174:175]
	ds_load_b128 v[4:7], v2 offset:1408
	ds_load_b128 v[128:131], v2 offset:1424
	v_fmac_f64_e32 v[170:171], v[138:139], v[20:21]
	v_fma_f64 v[20:21], v[136:137], v[20:21], -v[22:23]
	s_wait_loadcnt_dscnt 0x901
	v_mul_f64_e32 v[174:175], v[4:5], v[146:147]
	v_mul_f64_e32 v[146:147], v[6:7], v[146:147]
	s_wait_loadcnt_dscnt 0x800
	v_mul_f64_e32 v[138:139], v[128:129], v[126:127]
	v_mul_f64_e32 v[126:127], v[130:131], v[126:127]
	v_add_f64_e32 v[22:23], v[142:143], v[140:141]
	v_add_f64_e32 v[136:137], v[168:169], v[172:173]
	v_fmac_f64_e32 v[174:175], v[6:7], v[144:145]
	v_fma_f64 v[140:141], v[4:5], v[144:145], -v[146:147]
	v_fmac_f64_e32 v[138:139], v[130:131], v[124:125]
	v_fma_f64 v[124:125], v[128:129], v[124:125], -v[126:127]
	v_add_f64_e32 v[142:143], v[22:23], v[20:21]
	v_add_f64_e32 v[136:137], v[136:137], v[170:171]
	ds_load_b128 v[4:7], v2 offset:1440
	ds_load_b128 v[20:23], v2 offset:1456
	s_wait_loadcnt_dscnt 0x701
	v_mul_f64_e32 v[144:145], v[4:5], v[150:151]
	v_mul_f64_e32 v[146:147], v[6:7], v[150:151]
	s_wait_loadcnt_dscnt 0x600
	v_mul_f64_e32 v[130:131], v[20:21], v[134:135]
	v_mul_f64_e32 v[134:135], v[22:23], v[134:135]
	v_add_f64_e32 v[126:127], v[142:143], v[140:141]
	v_add_f64_e32 v[128:129], v[136:137], v[174:175]
	v_fmac_f64_e32 v[144:145], v[6:7], v[148:149]
	v_fma_f64 v[136:137], v[4:5], v[148:149], -v[146:147]
	v_fmac_f64_e32 v[130:131], v[22:23], v[132:133]
	v_fma_f64 v[20:21], v[20:21], v[132:133], -v[134:135]
	v_add_f64_e32 v[140:141], v[126:127], v[124:125]
	v_add_f64_e32 v[128:129], v[128:129], v[138:139]
	ds_load_b128 v[4:7], v2 offset:1472
	ds_load_b128 v[124:127], v2 offset:1488
	s_wait_loadcnt_dscnt 0x501
	v_mul_f64_e32 v[138:139], v[4:5], v[166:167]
	v_mul_f64_e32 v[142:143], v[6:7], v[166:167]
	s_wait_loadcnt_dscnt 0x400
	v_mul_f64_e32 v[132:133], v[124:125], v[10:11]
	v_mul_f64_e32 v[10:11], v[126:127], v[10:11]
	v_add_f64_e32 v[22:23], v[140:141], v[136:137]
	v_add_f64_e32 v[128:129], v[128:129], v[144:145]
	v_fmac_f64_e32 v[138:139], v[6:7], v[164:165]
	v_fma_f64 v[134:135], v[4:5], v[164:165], -v[142:143]
	v_fmac_f64_e32 v[132:133], v[126:127], v[8:9]
	v_fma_f64 v[8:9], v[124:125], v[8:9], -v[10:11]
	v_add_f64_e32 v[136:137], v[22:23], v[20:21]
	v_add_f64_e32 v[128:129], v[128:129], v[130:131]
	ds_load_b128 v[4:7], v2 offset:1504
	ds_load_b128 v[20:23], v2 offset:1520
	s_wait_loadcnt_dscnt 0x301
	v_mul_f64_e32 v[130:131], v[4:5], v[154:155]
	v_mul_f64_e32 v[140:141], v[6:7], v[154:155]
	s_wait_loadcnt_dscnt 0x200
	v_mul_f64_e32 v[126:127], v[20:21], v[18:19]
	v_mul_f64_e32 v[18:19], v[22:23], v[18:19]
	v_add_f64_e32 v[10:11], v[136:137], v[134:135]
	v_add_f64_e32 v[124:125], v[128:129], v[138:139]
	v_fmac_f64_e32 v[130:131], v[6:7], v[152:153]
	v_fma_f64 v[128:129], v[4:5], v[152:153], -v[140:141]
	v_fmac_f64_e32 v[126:127], v[22:23], v[16:17]
	v_fma_f64 v[16:17], v[20:21], v[16:17], -v[18:19]
	v_add_f64_e32 v[134:135], v[10:11], v[8:9]
	v_add_f64_e32 v[124:125], v[124:125], v[132:133]
	ds_load_b128 v[4:7], v2 offset:1536
	ds_load_b128 v[8:11], v2 offset:1552
	s_wait_loadcnt_dscnt 0x101
	v_mul_f64_e32 v[2:3], v[4:5], v[162:163]
	v_mul_f64_e32 v[132:133], v[6:7], v[162:163]
	s_wait_loadcnt_dscnt 0x0
	v_mul_f64_e32 v[22:23], v[8:9], v[14:15]
	v_mul_f64_e32 v[14:15], v[10:11], v[14:15]
	v_add_f64_e32 v[18:19], v[134:135], v[128:129]
	v_add_f64_e32 v[20:21], v[124:125], v[130:131]
	v_fmac_f64_e32 v[2:3], v[6:7], v[160:161]
	v_fma_f64 v[4:5], v[4:5], v[160:161], -v[132:133]
	v_fmac_f64_e32 v[22:23], v[10:11], v[12:13]
	v_fma_f64 v[8:9], v[8:9], v[12:13], -v[14:15]
	v_add_f64_e32 v[6:7], v[18:19], v[16:17]
	v_add_f64_e32 v[16:17], v[20:21], v[126:127]
	s_delay_alu instid0(VALU_DEP_2) | instskip(NEXT) | instid1(VALU_DEP_2)
	v_add_f64_e32 v[4:5], v[6:7], v[4:5]
	v_add_f64_e32 v[2:3], v[16:17], v[2:3]
	s_delay_alu instid0(VALU_DEP_2) | instskip(NEXT) | instid1(VALU_DEP_2)
	;; [unrolled: 3-line block ×3, first 2 shown]
	v_add_f64_e64 v[2:3], v[156:157], -v[4:5]
	v_add_f64_e64 v[4:5], v[158:159], -v[6:7]
	scratch_store_b128 off, v[2:5], off offset:96
	s_wait_xcnt 0x0
	v_cmpx_lt_u32_e32 5, v1
	s_cbranch_execz .LBB48_297
; %bb.296:
	scratch_load_b128 v[2:5], off, s52
	v_mov_b32_e32 v6, 0
	s_delay_alu instid0(VALU_DEP_1)
	v_dual_mov_b32 v7, v6 :: v_dual_mov_b32 v8, v6
	v_mov_b32_e32 v9, v6
	scratch_store_b128 off, v[6:9], off offset:80
	s_wait_loadcnt 0x0
	ds_store_b128 v122, v[2:5]
.LBB48_297:
	s_wait_xcnt 0x0
	s_or_b32 exec_lo, exec_lo, s2
	s_wait_storecnt_dscnt 0x0
	s_barrier_signal -1
	s_barrier_wait -1
	s_clause 0x9
	scratch_load_b128 v[4:7], off, off offset:96
	scratch_load_b128 v[8:11], off, off offset:112
	;; [unrolled: 1-line block ×10, first 2 shown]
	v_mov_b32_e32 v2, 0
	s_mov_b32 s2, exec_lo
	ds_load_b128 v[144:147], v2 offset:880
	s_clause 0x2
	scratch_load_b128 v[148:151], off, off offset:256
	scratch_load_b128 v[152:155], off, off offset:80
	;; [unrolled: 1-line block ×3, first 2 shown]
	s_wait_loadcnt_dscnt 0xc00
	v_mul_f64_e32 v[164:165], v[146:147], v[6:7]
	v_mul_f64_e32 v[168:169], v[144:145], v[6:7]
	ds_load_b128 v[156:159], v2 offset:896
	v_fma_f64 v[172:173], v[144:145], v[4:5], -v[164:165]
	v_fmac_f64_e32 v[168:169], v[146:147], v[4:5]
	ds_load_b128 v[4:7], v2 offset:912
	s_wait_loadcnt_dscnt 0xb01
	v_mul_f64_e32 v[170:171], v[156:157], v[10:11]
	v_mul_f64_e32 v[10:11], v[158:159], v[10:11]
	scratch_load_b128 v[144:147], off, off offset:288
	ds_load_b128 v[164:167], v2 offset:928
	s_wait_loadcnt_dscnt 0xb01
	v_mul_f64_e32 v[174:175], v[4:5], v[14:15]
	v_mul_f64_e32 v[14:15], v[6:7], v[14:15]
	v_add_f64_e32 v[168:169], 0, v[168:169]
	v_fmac_f64_e32 v[170:171], v[158:159], v[8:9]
	v_fma_f64 v[156:157], v[156:157], v[8:9], -v[10:11]
	v_add_f64_e32 v[158:159], 0, v[172:173]
	scratch_load_b128 v[8:11], off, off offset:304
	v_fmac_f64_e32 v[174:175], v[6:7], v[12:13]
	v_fma_f64 v[176:177], v[4:5], v[12:13], -v[14:15]
	ds_load_b128 v[4:7], v2 offset:944
	s_wait_loadcnt_dscnt 0xb01
	v_mul_f64_e32 v[172:173], v[164:165], v[18:19]
	v_mul_f64_e32 v[18:19], v[166:167], v[18:19]
	scratch_load_b128 v[12:15], off, off offset:320
	v_add_f64_e32 v[168:169], v[168:169], v[170:171]
	v_add_f64_e32 v[178:179], v[158:159], v[156:157]
	ds_load_b128 v[156:159], v2 offset:960
	s_wait_loadcnt_dscnt 0xb01
	v_mul_f64_e32 v[170:171], v[4:5], v[22:23]
	v_mul_f64_e32 v[22:23], v[6:7], v[22:23]
	v_fmac_f64_e32 v[172:173], v[166:167], v[16:17]
	v_fma_f64 v[164:165], v[164:165], v[16:17], -v[18:19]
	scratch_load_b128 v[16:19], off, off offset:336
	v_add_f64_e32 v[168:169], v[168:169], v[174:175]
	v_add_f64_e32 v[166:167], v[178:179], v[176:177]
	v_fmac_f64_e32 v[170:171], v[6:7], v[20:21]
	v_fma_f64 v[176:177], v[4:5], v[20:21], -v[22:23]
	ds_load_b128 v[4:7], v2 offset:976
	s_wait_loadcnt_dscnt 0xb01
	v_mul_f64_e32 v[174:175], v[156:157], v[126:127]
	v_mul_f64_e32 v[126:127], v[158:159], v[126:127]
	scratch_load_b128 v[20:23], off, off offset:352
	v_add_f64_e32 v[168:169], v[168:169], v[172:173]
	s_wait_loadcnt_dscnt 0xb00
	v_mul_f64_e32 v[172:173], v[4:5], v[130:131]
	v_add_f64_e32 v[178:179], v[166:167], v[164:165]
	v_mul_f64_e32 v[130:131], v[6:7], v[130:131]
	ds_load_b128 v[164:167], v2 offset:992
	v_fmac_f64_e32 v[174:175], v[158:159], v[124:125]
	v_fma_f64 v[156:157], v[156:157], v[124:125], -v[126:127]
	scratch_load_b128 v[124:127], off, off offset:368
	v_add_f64_e32 v[168:169], v[168:169], v[170:171]
	v_fmac_f64_e32 v[172:173], v[6:7], v[128:129]
	v_add_f64_e32 v[158:159], v[178:179], v[176:177]
	v_fma_f64 v[176:177], v[4:5], v[128:129], -v[130:131]
	ds_load_b128 v[4:7], v2 offset:1008
	s_wait_loadcnt_dscnt 0xb01
	v_mul_f64_e32 v[170:171], v[164:165], v[134:135]
	v_mul_f64_e32 v[134:135], v[166:167], v[134:135]
	scratch_load_b128 v[128:131], off, off offset:384
	v_add_f64_e32 v[168:169], v[168:169], v[174:175]
	s_wait_loadcnt_dscnt 0xb00
	v_mul_f64_e32 v[174:175], v[4:5], v[138:139]
	v_add_f64_e32 v[178:179], v[158:159], v[156:157]
	v_mul_f64_e32 v[138:139], v[6:7], v[138:139]
	ds_load_b128 v[156:159], v2 offset:1024
	v_fmac_f64_e32 v[170:171], v[166:167], v[132:133]
	v_fma_f64 v[164:165], v[164:165], v[132:133], -v[134:135]
	scratch_load_b128 v[132:135], off, off offset:400
	v_add_f64_e32 v[168:169], v[168:169], v[172:173]
	v_fmac_f64_e32 v[174:175], v[6:7], v[136:137]
	v_add_f64_e32 v[166:167], v[178:179], v[176:177]
	;; [unrolled: 18-line block ×3, first 2 shown]
	v_fma_f64 v[176:177], v[4:5], v[148:149], -v[150:151]
	ds_load_b128 v[4:7], v2 offset:1072
	s_wait_loadcnt_dscnt 0xa01
	v_mul_f64_e32 v[174:175], v[164:165], v[162:163]
	v_mul_f64_e32 v[162:163], v[166:167], v[162:163]
	scratch_load_b128 v[148:151], off, off offset:448
	v_add_f64_e32 v[168:169], v[168:169], v[172:173]
	v_add_f64_e32 v[178:179], v[158:159], v[156:157]
	s_wait_loadcnt_dscnt 0xa00
	v_mul_f64_e32 v[172:173], v[4:5], v[146:147]
	v_mul_f64_e32 v[146:147], v[6:7], v[146:147]
	v_fmac_f64_e32 v[174:175], v[166:167], v[160:161]
	v_fma_f64 v[164:165], v[164:165], v[160:161], -v[162:163]
	ds_load_b128 v[156:159], v2 offset:1088
	scratch_load_b128 v[160:163], off, off offset:464
	v_add_f64_e32 v[168:169], v[168:169], v[170:171]
	v_add_f64_e32 v[166:167], v[178:179], v[176:177]
	v_fmac_f64_e32 v[172:173], v[6:7], v[144:145]
	v_fma_f64 v[176:177], v[4:5], v[144:145], -v[146:147]
	ds_load_b128 v[4:7], v2 offset:1104
	s_wait_loadcnt_dscnt 0xa01
	v_mul_f64_e32 v[170:171], v[156:157], v[10:11]
	v_mul_f64_e32 v[10:11], v[158:159], v[10:11]
	scratch_load_b128 v[144:147], off, off offset:480
	v_add_f64_e32 v[168:169], v[168:169], v[174:175]
	s_wait_loadcnt_dscnt 0xa00
	v_mul_f64_e32 v[174:175], v[4:5], v[14:15]
	v_add_f64_e32 v[178:179], v[166:167], v[164:165]
	v_mul_f64_e32 v[14:15], v[6:7], v[14:15]
	ds_load_b128 v[164:167], v2 offset:1120
	v_fmac_f64_e32 v[170:171], v[158:159], v[8:9]
	v_fma_f64 v[156:157], v[156:157], v[8:9], -v[10:11]
	scratch_load_b128 v[8:11], off, off offset:496
	v_add_f64_e32 v[168:169], v[168:169], v[172:173]
	v_fmac_f64_e32 v[174:175], v[6:7], v[12:13]
	v_add_f64_e32 v[158:159], v[178:179], v[176:177]
	v_fma_f64 v[176:177], v[4:5], v[12:13], -v[14:15]
	ds_load_b128 v[4:7], v2 offset:1136
	s_wait_loadcnt_dscnt 0xa01
	v_mul_f64_e32 v[172:173], v[164:165], v[18:19]
	v_mul_f64_e32 v[18:19], v[166:167], v[18:19]
	scratch_load_b128 v[12:15], off, off offset:512
	v_add_f64_e32 v[168:169], v[168:169], v[170:171]
	s_wait_loadcnt_dscnt 0xa00
	v_mul_f64_e32 v[170:171], v[4:5], v[22:23]
	v_add_f64_e32 v[178:179], v[158:159], v[156:157]
	v_mul_f64_e32 v[22:23], v[6:7], v[22:23]
	ds_load_b128 v[156:159], v2 offset:1152
	v_fmac_f64_e32 v[172:173], v[166:167], v[16:17]
	v_fma_f64 v[164:165], v[164:165], v[16:17], -v[18:19]
	scratch_load_b128 v[16:19], off, off offset:528
	v_add_f64_e32 v[168:169], v[168:169], v[174:175]
	v_fmac_f64_e32 v[170:171], v[6:7], v[20:21]
	v_add_f64_e32 v[166:167], v[178:179], v[176:177]
	;; [unrolled: 18-line block ×9, first 2 shown]
	v_fma_f64 v[176:177], v[4:5], v[128:129], -v[130:131]
	ds_load_b128 v[4:7], v2 offset:1392
	s_wait_loadcnt_dscnt 0xa01
	v_mul_f64_e32 v[170:171], v[164:165], v[134:135]
	v_mul_f64_e32 v[134:135], v[166:167], v[134:135]
	scratch_load_b128 v[128:131], off, off offset:768
	v_add_f64_e32 v[168:169], v[168:169], v[174:175]
	s_wait_loadcnt_dscnt 0xa00
	v_mul_f64_e32 v[174:175], v[4:5], v[138:139]
	v_add_f64_e32 v[178:179], v[158:159], v[156:157]
	v_mul_f64_e32 v[138:139], v[6:7], v[138:139]
	ds_load_b128 v[156:159], v2 offset:1408
	v_fmac_f64_e32 v[170:171], v[166:167], v[132:133]
	v_fma_f64 v[132:133], v[164:165], v[132:133], -v[134:135]
	s_wait_loadcnt_dscnt 0x900
	v_mul_f64_e32 v[166:167], v[156:157], v[142:143]
	v_mul_f64_e32 v[142:143], v[158:159], v[142:143]
	v_add_f64_e32 v[164:165], v[168:169], v[172:173]
	v_fmac_f64_e32 v[174:175], v[6:7], v[136:137]
	v_add_f64_e32 v[134:135], v[178:179], v[176:177]
	v_fma_f64 v[136:137], v[4:5], v[136:137], -v[138:139]
	v_fmac_f64_e32 v[166:167], v[158:159], v[140:141]
	v_fma_f64 v[140:141], v[156:157], v[140:141], -v[142:143]
	v_add_f64_e32 v[164:165], v[164:165], v[170:171]
	v_add_f64_e32 v[138:139], v[134:135], v[132:133]
	ds_load_b128 v[4:7], v2 offset:1424
	ds_load_b128 v[132:135], v2 offset:1440
	s_wait_loadcnt_dscnt 0x801
	v_mul_f64_e32 v[168:169], v[4:5], v[150:151]
	v_mul_f64_e32 v[150:151], v[6:7], v[150:151]
	s_wait_loadcnt_dscnt 0x700
	v_mul_f64_e32 v[142:143], v[132:133], v[162:163]
	v_mul_f64_e32 v[156:157], v[134:135], v[162:163]
	v_add_f64_e32 v[136:137], v[138:139], v[136:137]
	v_add_f64_e32 v[138:139], v[164:165], v[174:175]
	v_fmac_f64_e32 v[168:169], v[6:7], v[148:149]
	v_fma_f64 v[148:149], v[4:5], v[148:149], -v[150:151]
	v_fmac_f64_e32 v[142:143], v[134:135], v[160:161]
	v_fma_f64 v[132:133], v[132:133], v[160:161], -v[156:157]
	v_add_f64_e32 v[140:141], v[136:137], v[140:141]
	v_add_f64_e32 v[150:151], v[138:139], v[166:167]
	ds_load_b128 v[4:7], v2 offset:1456
	ds_load_b128 v[136:139], v2 offset:1472
	s_wait_loadcnt_dscnt 0x601
	v_mul_f64_e32 v[158:159], v[4:5], v[146:147]
	v_mul_f64_e32 v[146:147], v[6:7], v[146:147]
	v_add_f64_e32 v[134:135], v[140:141], v[148:149]
	v_add_f64_e32 v[140:141], v[150:151], v[168:169]
	s_wait_loadcnt_dscnt 0x500
	v_mul_f64_e32 v[148:149], v[136:137], v[10:11]
	v_mul_f64_e32 v[10:11], v[138:139], v[10:11]
	v_fmac_f64_e32 v[158:159], v[6:7], v[144:145]
	v_fma_f64 v[144:145], v[4:5], v[144:145], -v[146:147]
	v_add_f64_e32 v[146:147], v[134:135], v[132:133]
	v_add_f64_e32 v[140:141], v[140:141], v[142:143]
	ds_load_b128 v[4:7], v2 offset:1488
	ds_load_b128 v[132:135], v2 offset:1504
	v_fmac_f64_e32 v[148:149], v[138:139], v[8:9]
	v_fma_f64 v[8:9], v[136:137], v[8:9], -v[10:11]
	s_wait_loadcnt_dscnt 0x401
	v_mul_f64_e32 v[142:143], v[4:5], v[14:15]
	v_mul_f64_e32 v[14:15], v[6:7], v[14:15]
	s_wait_loadcnt_dscnt 0x300
	v_mul_f64_e32 v[138:139], v[132:133], v[18:19]
	v_mul_f64_e32 v[18:19], v[134:135], v[18:19]
	v_add_f64_e32 v[10:11], v[146:147], v[144:145]
	v_add_f64_e32 v[136:137], v[140:141], v[158:159]
	v_fmac_f64_e32 v[142:143], v[6:7], v[12:13]
	v_fma_f64 v[12:13], v[4:5], v[12:13], -v[14:15]
	v_fmac_f64_e32 v[138:139], v[134:135], v[16:17]
	v_fma_f64 v[16:17], v[132:133], v[16:17], -v[18:19]
	v_add_f64_e32 v[14:15], v[10:11], v[8:9]
	v_add_f64_e32 v[136:137], v[136:137], v[148:149]
	ds_load_b128 v[4:7], v2 offset:1520
	ds_load_b128 v[8:11], v2 offset:1536
	s_wait_loadcnt_dscnt 0x201
	v_mul_f64_e32 v[140:141], v[4:5], v[22:23]
	v_mul_f64_e32 v[22:23], v[6:7], v[22:23]
	s_wait_loadcnt_dscnt 0x100
	v_mul_f64_e32 v[18:19], v[8:9], v[126:127]
	v_mul_f64_e32 v[126:127], v[10:11], v[126:127]
	v_add_f64_e32 v[12:13], v[14:15], v[12:13]
	v_add_f64_e32 v[14:15], v[136:137], v[142:143]
	v_fmac_f64_e32 v[140:141], v[6:7], v[20:21]
	v_fma_f64 v[20:21], v[4:5], v[20:21], -v[22:23]
	ds_load_b128 v[4:7], v2 offset:1552
	v_fmac_f64_e32 v[18:19], v[10:11], v[124:125]
	v_fma_f64 v[8:9], v[8:9], v[124:125], -v[126:127]
	v_add_f64_e32 v[12:13], v[12:13], v[16:17]
	v_add_f64_e32 v[14:15], v[14:15], v[138:139]
	s_wait_loadcnt_dscnt 0x0
	v_mul_f64_e32 v[16:17], v[4:5], v[130:131]
	v_mul_f64_e32 v[22:23], v[6:7], v[130:131]
	s_delay_alu instid0(VALU_DEP_4) | instskip(NEXT) | instid1(VALU_DEP_4)
	v_add_f64_e32 v[10:11], v[12:13], v[20:21]
	v_add_f64_e32 v[12:13], v[14:15], v[140:141]
	s_delay_alu instid0(VALU_DEP_4) | instskip(NEXT) | instid1(VALU_DEP_4)
	v_fmac_f64_e32 v[16:17], v[6:7], v[128:129]
	v_fma_f64 v[4:5], v[4:5], v[128:129], -v[22:23]
	s_delay_alu instid0(VALU_DEP_4) | instskip(NEXT) | instid1(VALU_DEP_4)
	v_add_f64_e32 v[6:7], v[10:11], v[8:9]
	v_add_f64_e32 v[8:9], v[12:13], v[18:19]
	s_delay_alu instid0(VALU_DEP_2) | instskip(NEXT) | instid1(VALU_DEP_2)
	v_add_f64_e32 v[4:5], v[6:7], v[4:5]
	v_add_f64_e32 v[6:7], v[8:9], v[16:17]
	s_delay_alu instid0(VALU_DEP_2) | instskip(NEXT) | instid1(VALU_DEP_2)
	v_add_f64_e64 v[4:5], v[152:153], -v[4:5]
	v_add_f64_e64 v[6:7], v[154:155], -v[6:7]
	scratch_store_b128 off, v[4:7], off offset:80
	s_wait_xcnt 0x0
	v_cmpx_lt_u32_e32 4, v1
	s_cbranch_execz .LBB48_299
; %bb.298:
	scratch_load_b128 v[6:9], off, s43
	v_dual_mov_b32 v3, v2 :: v_dual_mov_b32 v4, v2
	v_mov_b32_e32 v5, v2
	scratch_store_b128 off, v[2:5], off offset:64
	s_wait_loadcnt 0x0
	ds_store_b128 v122, v[6:9]
.LBB48_299:
	s_wait_xcnt 0x0
	s_or_b32 exec_lo, exec_lo, s2
	s_wait_storecnt_dscnt 0x0
	s_barrier_signal -1
	s_barrier_wait -1
	s_clause 0x9
	scratch_load_b128 v[4:7], off, off offset:80
	scratch_load_b128 v[8:11], off, off offset:96
	;; [unrolled: 1-line block ×10, first 2 shown]
	ds_load_b128 v[144:147], v2 offset:864
	ds_load_b128 v[152:155], v2 offset:880
	s_clause 0x2
	scratch_load_b128 v[148:151], off, off offset:240
	scratch_load_b128 v[156:159], off, off offset:64
	scratch_load_b128 v[160:163], off, off offset:256
	s_mov_b32 s2, exec_lo
	s_wait_loadcnt_dscnt 0xc01
	v_mul_f64_e32 v[164:165], v[146:147], v[6:7]
	v_mul_f64_e32 v[168:169], v[144:145], v[6:7]
	s_wait_loadcnt_dscnt 0xb00
	v_mul_f64_e32 v[170:171], v[152:153], v[10:11]
	v_mul_f64_e32 v[10:11], v[154:155], v[10:11]
	s_delay_alu instid0(VALU_DEP_4) | instskip(NEXT) | instid1(VALU_DEP_4)
	v_fma_f64 v[172:173], v[144:145], v[4:5], -v[164:165]
	v_fmac_f64_e32 v[168:169], v[146:147], v[4:5]
	ds_load_b128 v[4:7], v2 offset:896
	ds_load_b128 v[144:147], v2 offset:912
	scratch_load_b128 v[164:167], off, off offset:272
	v_fmac_f64_e32 v[170:171], v[154:155], v[8:9]
	v_fma_f64 v[152:153], v[152:153], v[8:9], -v[10:11]
	scratch_load_b128 v[8:11], off, off offset:288
	s_wait_loadcnt_dscnt 0xc01
	v_mul_f64_e32 v[174:175], v[4:5], v[14:15]
	v_mul_f64_e32 v[14:15], v[6:7], v[14:15]
	v_add_f64_e32 v[154:155], 0, v[172:173]
	v_add_f64_e32 v[168:169], 0, v[168:169]
	s_wait_loadcnt_dscnt 0xb00
	v_mul_f64_e32 v[172:173], v[144:145], v[18:19]
	v_mul_f64_e32 v[18:19], v[146:147], v[18:19]
	v_fmac_f64_e32 v[174:175], v[6:7], v[12:13]
	v_fma_f64 v[176:177], v[4:5], v[12:13], -v[14:15]
	ds_load_b128 v[4:7], v2 offset:928
	ds_load_b128 v[12:15], v2 offset:944
	v_add_f64_e32 v[178:179], v[154:155], v[152:153]
	v_add_f64_e32 v[168:169], v[168:169], v[170:171]
	scratch_load_b128 v[152:155], off, off offset:304
	v_fmac_f64_e32 v[172:173], v[146:147], v[16:17]
	v_fma_f64 v[144:145], v[144:145], v[16:17], -v[18:19]
	scratch_load_b128 v[16:19], off, off offset:320
	s_wait_loadcnt_dscnt 0xc01
	v_mul_f64_e32 v[170:171], v[4:5], v[22:23]
	v_mul_f64_e32 v[22:23], v[6:7], v[22:23]
	v_add_f64_e32 v[146:147], v[178:179], v[176:177]
	v_add_f64_e32 v[168:169], v[168:169], v[174:175]
	s_wait_loadcnt_dscnt 0xb00
	v_mul_f64_e32 v[174:175], v[12:13], v[126:127]
	v_mul_f64_e32 v[126:127], v[14:15], v[126:127]
	v_fmac_f64_e32 v[170:171], v[6:7], v[20:21]
	v_fma_f64 v[176:177], v[4:5], v[20:21], -v[22:23]
	ds_load_b128 v[4:7], v2 offset:960
	ds_load_b128 v[20:23], v2 offset:976
	v_add_f64_e32 v[178:179], v[146:147], v[144:145]
	v_add_f64_e32 v[168:169], v[168:169], v[172:173]
	scratch_load_b128 v[144:147], off, off offset:336
	s_wait_loadcnt_dscnt 0xb01
	v_mul_f64_e32 v[172:173], v[4:5], v[130:131]
	v_mul_f64_e32 v[130:131], v[6:7], v[130:131]
	v_fmac_f64_e32 v[174:175], v[14:15], v[124:125]
	v_fma_f64 v[124:125], v[12:13], v[124:125], -v[126:127]
	scratch_load_b128 v[12:15], off, off offset:352
	v_add_f64_e32 v[126:127], v[178:179], v[176:177]
	v_add_f64_e32 v[168:169], v[168:169], v[170:171]
	s_wait_loadcnt_dscnt 0xb00
	v_mul_f64_e32 v[170:171], v[20:21], v[134:135]
	v_mul_f64_e32 v[134:135], v[22:23], v[134:135]
	v_fmac_f64_e32 v[172:173], v[6:7], v[128:129]
	v_fma_f64 v[176:177], v[4:5], v[128:129], -v[130:131]
	v_add_f64_e32 v[178:179], v[126:127], v[124:125]
	v_add_f64_e32 v[168:169], v[168:169], v[174:175]
	ds_load_b128 v[4:7], v2 offset:992
	ds_load_b128 v[124:127], v2 offset:1008
	scratch_load_b128 v[128:131], off, off offset:368
	v_fmac_f64_e32 v[170:171], v[22:23], v[132:133]
	v_fma_f64 v[132:133], v[20:21], v[132:133], -v[134:135]
	scratch_load_b128 v[20:23], off, off offset:384
	s_wait_loadcnt_dscnt 0xc01
	v_mul_f64_e32 v[174:175], v[4:5], v[138:139]
	v_mul_f64_e32 v[138:139], v[6:7], v[138:139]
	v_add_f64_e32 v[134:135], v[178:179], v[176:177]
	v_add_f64_e32 v[168:169], v[168:169], v[172:173]
	s_wait_loadcnt_dscnt 0xb00
	v_mul_f64_e32 v[172:173], v[124:125], v[142:143]
	v_mul_f64_e32 v[142:143], v[126:127], v[142:143]
	v_fmac_f64_e32 v[174:175], v[6:7], v[136:137]
	v_fma_f64 v[176:177], v[4:5], v[136:137], -v[138:139]
	v_add_f64_e32 v[178:179], v[134:135], v[132:133]
	v_add_f64_e32 v[168:169], v[168:169], v[170:171]
	ds_load_b128 v[4:7], v2 offset:1024
	ds_load_b128 v[132:135], v2 offset:1040
	scratch_load_b128 v[136:139], off, off offset:400
	v_fmac_f64_e32 v[172:173], v[126:127], v[140:141]
	v_fma_f64 v[140:141], v[124:125], v[140:141], -v[142:143]
	scratch_load_b128 v[124:127], off, off offset:416
	s_wait_loadcnt_dscnt 0xc01
	v_mul_f64_e32 v[170:171], v[4:5], v[150:151]
	v_mul_f64_e32 v[150:151], v[6:7], v[150:151]
	;; [unrolled: 18-line block ×5, first 2 shown]
	v_add_f64_e32 v[162:163], v[178:179], v[176:177]
	v_add_f64_e32 v[168:169], v[168:169], v[174:175]
	s_wait_loadcnt_dscnt 0xa00
	v_mul_f64_e32 v[174:175], v[140:141], v[14:15]
	v_mul_f64_e32 v[14:15], v[142:143], v[14:15]
	v_fmac_f64_e32 v[170:171], v[6:7], v[144:145]
	v_fma_f64 v[176:177], v[4:5], v[144:145], -v[146:147]
	ds_load_b128 v[4:7], v2 offset:1152
	ds_load_b128 v[144:147], v2 offset:1168
	v_add_f64_e32 v[178:179], v[162:163], v[160:161]
	v_add_f64_e32 v[168:169], v[168:169], v[172:173]
	scratch_load_b128 v[160:163], off, off offset:528
	v_fmac_f64_e32 v[174:175], v[142:143], v[12:13]
	v_fma_f64 v[140:141], v[140:141], v[12:13], -v[14:15]
	scratch_load_b128 v[12:15], off, off offset:544
	s_wait_loadcnt_dscnt 0xb01
	v_mul_f64_e32 v[172:173], v[4:5], v[130:131]
	v_mul_f64_e32 v[130:131], v[6:7], v[130:131]
	v_add_f64_e32 v[142:143], v[178:179], v[176:177]
	v_add_f64_e32 v[168:169], v[168:169], v[170:171]
	s_wait_loadcnt_dscnt 0xa00
	v_mul_f64_e32 v[170:171], v[144:145], v[22:23]
	v_mul_f64_e32 v[22:23], v[146:147], v[22:23]
	v_fmac_f64_e32 v[172:173], v[6:7], v[128:129]
	v_fma_f64 v[176:177], v[4:5], v[128:129], -v[130:131]
	ds_load_b128 v[4:7], v2 offset:1184
	ds_load_b128 v[128:131], v2 offset:1200
	v_add_f64_e32 v[178:179], v[142:143], v[140:141]
	v_add_f64_e32 v[168:169], v[168:169], v[174:175]
	scratch_load_b128 v[140:143], off, off offset:560
	s_wait_loadcnt_dscnt 0xa01
	v_mul_f64_e32 v[174:175], v[4:5], v[138:139]
	v_mul_f64_e32 v[138:139], v[6:7], v[138:139]
	v_fmac_f64_e32 v[170:171], v[146:147], v[20:21]
	v_fma_f64 v[144:145], v[144:145], v[20:21], -v[22:23]
	scratch_load_b128 v[20:23], off, off offset:576
	v_add_f64_e32 v[146:147], v[178:179], v[176:177]
	v_add_f64_e32 v[168:169], v[168:169], v[172:173]
	s_wait_loadcnt_dscnt 0xa00
	v_mul_f64_e32 v[172:173], v[128:129], v[126:127]
	v_mul_f64_e32 v[126:127], v[130:131], v[126:127]
	v_fmac_f64_e32 v[174:175], v[6:7], v[136:137]
	v_fma_f64 v[176:177], v[4:5], v[136:137], -v[138:139]
	ds_load_b128 v[4:7], v2 offset:1216
	ds_load_b128 v[136:139], v2 offset:1232
	v_add_f64_e32 v[178:179], v[146:147], v[144:145]
	v_add_f64_e32 v[168:169], v[168:169], v[170:171]
	scratch_load_b128 v[144:147], off, off offset:592
	s_wait_loadcnt_dscnt 0xa01
	v_mul_f64_e32 v[170:171], v[4:5], v[150:151]
	v_mul_f64_e32 v[150:151], v[6:7], v[150:151]
	v_fmac_f64_e32 v[172:173], v[130:131], v[124:125]
	v_fma_f64 v[128:129], v[128:129], v[124:125], -v[126:127]
	scratch_load_b128 v[124:127], off, off offset:608
	v_add_f64_e32 v[130:131], v[178:179], v[176:177]
	v_add_f64_e32 v[168:169], v[168:169], v[174:175]
	s_wait_loadcnt_dscnt 0xa00
	v_mul_f64_e32 v[174:175], v[136:137], v[134:135]
	v_mul_f64_e32 v[134:135], v[138:139], v[134:135]
	v_fmac_f64_e32 v[170:171], v[6:7], v[148:149]
	v_fma_f64 v[176:177], v[4:5], v[148:149], -v[150:151]
	v_add_f64_e32 v[178:179], v[130:131], v[128:129]
	v_add_f64_e32 v[168:169], v[168:169], v[172:173]
	ds_load_b128 v[4:7], v2 offset:1248
	ds_load_b128 v[128:131], v2 offset:1264
	scratch_load_b128 v[148:151], off, off offset:624
	v_fmac_f64_e32 v[174:175], v[138:139], v[132:133]
	v_fma_f64 v[136:137], v[136:137], v[132:133], -v[134:135]
	scratch_load_b128 v[132:135], off, off offset:640
	s_wait_loadcnt_dscnt 0xb01
	v_mul_f64_e32 v[172:173], v[4:5], v[166:167]
	v_mul_f64_e32 v[166:167], v[6:7], v[166:167]
	v_add_f64_e32 v[138:139], v[178:179], v[176:177]
	v_add_f64_e32 v[168:169], v[168:169], v[170:171]
	s_wait_loadcnt_dscnt 0xa00
	v_mul_f64_e32 v[170:171], v[128:129], v[10:11]
	v_mul_f64_e32 v[10:11], v[130:131], v[10:11]
	v_fmac_f64_e32 v[172:173], v[6:7], v[164:165]
	v_fma_f64 v[176:177], v[4:5], v[164:165], -v[166:167]
	v_add_f64_e32 v[178:179], v[138:139], v[136:137]
	v_add_f64_e32 v[168:169], v[168:169], v[174:175]
	ds_load_b128 v[4:7], v2 offset:1280
	ds_load_b128 v[136:139], v2 offset:1296
	scratch_load_b128 v[164:167], off, off offset:656
	v_fmac_f64_e32 v[170:171], v[130:131], v[8:9]
	v_fma_f64 v[128:129], v[128:129], v[8:9], -v[10:11]
	scratch_load_b128 v[8:11], off, off offset:672
	s_wait_loadcnt_dscnt 0xb01
	v_mul_f64_e32 v[174:175], v[4:5], v[154:155]
	v_mul_f64_e32 v[154:155], v[6:7], v[154:155]
	;; [unrolled: 18-line block ×5, first 2 shown]
	v_add_f64_e32 v[138:139], v[178:179], v[176:177]
	v_add_f64_e32 v[168:169], v[168:169], v[172:173]
	s_wait_loadcnt_dscnt 0xa00
	v_mul_f64_e32 v[172:173], v[128:129], v[126:127]
	v_mul_f64_e32 v[126:127], v[130:131], v[126:127]
	v_fmac_f64_e32 v[174:175], v[6:7], v[144:145]
	v_fma_f64 v[144:145], v[4:5], v[144:145], -v[146:147]
	v_add_f64_e32 v[146:147], v[138:139], v[136:137]
	v_add_f64_e32 v[168:169], v[168:169], v[170:171]
	ds_load_b128 v[4:7], v2 offset:1408
	ds_load_b128 v[136:139], v2 offset:1424
	v_fmac_f64_e32 v[172:173], v[130:131], v[124:125]
	v_fma_f64 v[124:125], v[128:129], v[124:125], -v[126:127]
	s_wait_loadcnt_dscnt 0x901
	v_mul_f64_e32 v[170:171], v[4:5], v[150:151]
	v_mul_f64_e32 v[150:151], v[6:7], v[150:151]
	s_wait_loadcnt_dscnt 0x800
	v_mul_f64_e32 v[130:131], v[136:137], v[134:135]
	v_mul_f64_e32 v[134:135], v[138:139], v[134:135]
	v_add_f64_e32 v[126:127], v[146:147], v[144:145]
	v_add_f64_e32 v[128:129], v[168:169], v[174:175]
	v_fmac_f64_e32 v[170:171], v[6:7], v[148:149]
	v_fma_f64 v[144:145], v[4:5], v[148:149], -v[150:151]
	v_fmac_f64_e32 v[130:131], v[138:139], v[132:133]
	v_fma_f64 v[132:133], v[136:137], v[132:133], -v[134:135]
	v_add_f64_e32 v[146:147], v[126:127], v[124:125]
	v_add_f64_e32 v[128:129], v[128:129], v[172:173]
	ds_load_b128 v[4:7], v2 offset:1440
	ds_load_b128 v[124:127], v2 offset:1456
	s_wait_loadcnt_dscnt 0x701
	v_mul_f64_e32 v[148:149], v[4:5], v[166:167]
	v_mul_f64_e32 v[150:151], v[6:7], v[166:167]
	s_wait_loadcnt_dscnt 0x600
	v_mul_f64_e32 v[136:137], v[124:125], v[10:11]
	v_mul_f64_e32 v[10:11], v[126:127], v[10:11]
	v_add_f64_e32 v[134:135], v[146:147], v[144:145]
	v_add_f64_e32 v[128:129], v[128:129], v[170:171]
	v_fmac_f64_e32 v[148:149], v[6:7], v[164:165]
	v_fma_f64 v[138:139], v[4:5], v[164:165], -v[150:151]
	v_fmac_f64_e32 v[136:137], v[126:127], v[8:9]
	v_fma_f64 v[8:9], v[124:125], v[8:9], -v[10:11]
	v_add_f64_e32 v[132:133], v[134:135], v[132:133]
	v_add_f64_e32 v[134:135], v[128:129], v[130:131]
	ds_load_b128 v[4:7], v2 offset:1472
	ds_load_b128 v[128:131], v2 offset:1488
	;; [unrolled: 16-line block ×4, first 2 shown]
	s_wait_loadcnt_dscnt 0x101
	v_mul_f64_e32 v[2:3], v[4:5], v[142:143]
	v_mul_f64_e32 v[126:127], v[6:7], v[142:143]
	v_add_f64_e32 v[10:11], v[18:19], v[132:133]
	v_add_f64_e32 v[12:13], v[124:125], v[136:137]
	s_wait_loadcnt_dscnt 0x0
	v_mul_f64_e32 v[18:19], v[14:15], v[22:23]
	v_mul_f64_e32 v[22:23], v[16:17], v[22:23]
	v_fmac_f64_e32 v[2:3], v[6:7], v[140:141]
	v_fma_f64 v[4:5], v[4:5], v[140:141], -v[126:127]
	v_add_f64_e32 v[6:7], v[10:11], v[8:9]
	v_add_f64_e32 v[8:9], v[12:13], v[128:129]
	v_fmac_f64_e32 v[18:19], v[16:17], v[20:21]
	v_fma_f64 v[10:11], v[14:15], v[20:21], -v[22:23]
	s_delay_alu instid0(VALU_DEP_4) | instskip(NEXT) | instid1(VALU_DEP_4)
	v_add_f64_e32 v[4:5], v[6:7], v[4:5]
	v_add_f64_e32 v[2:3], v[8:9], v[2:3]
	s_delay_alu instid0(VALU_DEP_2) | instskip(NEXT) | instid1(VALU_DEP_2)
	v_add_f64_e32 v[4:5], v[4:5], v[10:11]
	v_add_f64_e32 v[6:7], v[2:3], v[18:19]
	s_delay_alu instid0(VALU_DEP_2) | instskip(NEXT) | instid1(VALU_DEP_2)
	v_add_f64_e64 v[2:3], v[156:157], -v[4:5]
	v_add_f64_e64 v[4:5], v[158:159], -v[6:7]
	scratch_store_b128 off, v[2:5], off offset:64
	s_wait_xcnt 0x0
	v_cmpx_lt_u32_e32 3, v1
	s_cbranch_execz .LBB48_301
; %bb.300:
	scratch_load_b128 v[2:5], off, s41
	v_mov_b32_e32 v6, 0
	s_delay_alu instid0(VALU_DEP_1)
	v_dual_mov_b32 v7, v6 :: v_dual_mov_b32 v8, v6
	v_mov_b32_e32 v9, v6
	scratch_store_b128 off, v[6:9], off offset:48
	s_wait_loadcnt 0x0
	ds_store_b128 v122, v[2:5]
.LBB48_301:
	s_wait_xcnt 0x0
	s_or_b32 exec_lo, exec_lo, s2
	s_wait_storecnt_dscnt 0x0
	s_barrier_signal -1
	s_barrier_wait -1
	s_clause 0x9
	scratch_load_b128 v[4:7], off, off offset:64
	scratch_load_b128 v[8:11], off, off offset:80
	;; [unrolled: 1-line block ×10, first 2 shown]
	v_mov_b32_e32 v2, 0
	s_mov_b32 s2, exec_lo
	ds_load_b128 v[144:147], v2 offset:848
	s_clause 0x2
	scratch_load_b128 v[148:151], off, off offset:224
	scratch_load_b128 v[152:155], off, off offset:48
	;; [unrolled: 1-line block ×3, first 2 shown]
	s_wait_loadcnt_dscnt 0xc00
	v_mul_f64_e32 v[164:165], v[146:147], v[6:7]
	v_mul_f64_e32 v[168:169], v[144:145], v[6:7]
	ds_load_b128 v[156:159], v2 offset:864
	v_fma_f64 v[172:173], v[144:145], v[4:5], -v[164:165]
	v_fmac_f64_e32 v[168:169], v[146:147], v[4:5]
	ds_load_b128 v[4:7], v2 offset:880
	s_wait_loadcnt_dscnt 0xb01
	v_mul_f64_e32 v[170:171], v[156:157], v[10:11]
	v_mul_f64_e32 v[10:11], v[158:159], v[10:11]
	scratch_load_b128 v[144:147], off, off offset:256
	ds_load_b128 v[164:167], v2 offset:896
	s_wait_loadcnt_dscnt 0xb01
	v_mul_f64_e32 v[174:175], v[4:5], v[14:15]
	v_mul_f64_e32 v[14:15], v[6:7], v[14:15]
	v_add_f64_e32 v[168:169], 0, v[168:169]
	v_fmac_f64_e32 v[170:171], v[158:159], v[8:9]
	v_fma_f64 v[156:157], v[156:157], v[8:9], -v[10:11]
	v_add_f64_e32 v[158:159], 0, v[172:173]
	scratch_load_b128 v[8:11], off, off offset:272
	v_fmac_f64_e32 v[174:175], v[6:7], v[12:13]
	v_fma_f64 v[176:177], v[4:5], v[12:13], -v[14:15]
	ds_load_b128 v[4:7], v2 offset:912
	s_wait_loadcnt_dscnt 0xb01
	v_mul_f64_e32 v[172:173], v[164:165], v[18:19]
	v_mul_f64_e32 v[18:19], v[166:167], v[18:19]
	scratch_load_b128 v[12:15], off, off offset:288
	v_add_f64_e32 v[168:169], v[168:169], v[170:171]
	v_add_f64_e32 v[178:179], v[158:159], v[156:157]
	ds_load_b128 v[156:159], v2 offset:928
	s_wait_loadcnt_dscnt 0xb01
	v_mul_f64_e32 v[170:171], v[4:5], v[22:23]
	v_mul_f64_e32 v[22:23], v[6:7], v[22:23]
	v_fmac_f64_e32 v[172:173], v[166:167], v[16:17]
	v_fma_f64 v[164:165], v[164:165], v[16:17], -v[18:19]
	scratch_load_b128 v[16:19], off, off offset:304
	v_add_f64_e32 v[168:169], v[168:169], v[174:175]
	v_add_f64_e32 v[166:167], v[178:179], v[176:177]
	v_fmac_f64_e32 v[170:171], v[6:7], v[20:21]
	v_fma_f64 v[176:177], v[4:5], v[20:21], -v[22:23]
	ds_load_b128 v[4:7], v2 offset:944
	s_wait_loadcnt_dscnt 0xb01
	v_mul_f64_e32 v[174:175], v[156:157], v[126:127]
	v_mul_f64_e32 v[126:127], v[158:159], v[126:127]
	scratch_load_b128 v[20:23], off, off offset:320
	v_add_f64_e32 v[168:169], v[168:169], v[172:173]
	s_wait_loadcnt_dscnt 0xb00
	v_mul_f64_e32 v[172:173], v[4:5], v[130:131]
	v_add_f64_e32 v[178:179], v[166:167], v[164:165]
	v_mul_f64_e32 v[130:131], v[6:7], v[130:131]
	ds_load_b128 v[164:167], v2 offset:960
	v_fmac_f64_e32 v[174:175], v[158:159], v[124:125]
	v_fma_f64 v[156:157], v[156:157], v[124:125], -v[126:127]
	scratch_load_b128 v[124:127], off, off offset:336
	v_add_f64_e32 v[168:169], v[168:169], v[170:171]
	v_fmac_f64_e32 v[172:173], v[6:7], v[128:129]
	v_add_f64_e32 v[158:159], v[178:179], v[176:177]
	v_fma_f64 v[176:177], v[4:5], v[128:129], -v[130:131]
	ds_load_b128 v[4:7], v2 offset:976
	s_wait_loadcnt_dscnt 0xb01
	v_mul_f64_e32 v[170:171], v[164:165], v[134:135]
	v_mul_f64_e32 v[134:135], v[166:167], v[134:135]
	scratch_load_b128 v[128:131], off, off offset:352
	v_add_f64_e32 v[168:169], v[168:169], v[174:175]
	s_wait_loadcnt_dscnt 0xb00
	v_mul_f64_e32 v[174:175], v[4:5], v[138:139]
	v_add_f64_e32 v[178:179], v[158:159], v[156:157]
	v_mul_f64_e32 v[138:139], v[6:7], v[138:139]
	ds_load_b128 v[156:159], v2 offset:992
	v_fmac_f64_e32 v[170:171], v[166:167], v[132:133]
	v_fma_f64 v[164:165], v[164:165], v[132:133], -v[134:135]
	scratch_load_b128 v[132:135], off, off offset:368
	v_add_f64_e32 v[168:169], v[168:169], v[172:173]
	v_fmac_f64_e32 v[174:175], v[6:7], v[136:137]
	v_add_f64_e32 v[166:167], v[178:179], v[176:177]
	;; [unrolled: 18-line block ×3, first 2 shown]
	v_fma_f64 v[176:177], v[4:5], v[148:149], -v[150:151]
	ds_load_b128 v[4:7], v2 offset:1040
	s_wait_loadcnt_dscnt 0xa01
	v_mul_f64_e32 v[174:175], v[164:165], v[162:163]
	v_mul_f64_e32 v[162:163], v[166:167], v[162:163]
	scratch_load_b128 v[148:151], off, off offset:416
	v_add_f64_e32 v[168:169], v[168:169], v[172:173]
	v_add_f64_e32 v[178:179], v[158:159], v[156:157]
	s_wait_loadcnt_dscnt 0xa00
	v_mul_f64_e32 v[172:173], v[4:5], v[146:147]
	v_mul_f64_e32 v[146:147], v[6:7], v[146:147]
	v_fmac_f64_e32 v[174:175], v[166:167], v[160:161]
	v_fma_f64 v[164:165], v[164:165], v[160:161], -v[162:163]
	ds_load_b128 v[156:159], v2 offset:1056
	scratch_load_b128 v[160:163], off, off offset:432
	v_add_f64_e32 v[168:169], v[168:169], v[170:171]
	v_add_f64_e32 v[166:167], v[178:179], v[176:177]
	v_fmac_f64_e32 v[172:173], v[6:7], v[144:145]
	v_fma_f64 v[176:177], v[4:5], v[144:145], -v[146:147]
	ds_load_b128 v[4:7], v2 offset:1072
	s_wait_loadcnt_dscnt 0xa01
	v_mul_f64_e32 v[170:171], v[156:157], v[10:11]
	v_mul_f64_e32 v[10:11], v[158:159], v[10:11]
	scratch_load_b128 v[144:147], off, off offset:448
	v_add_f64_e32 v[168:169], v[168:169], v[174:175]
	s_wait_loadcnt_dscnt 0xa00
	v_mul_f64_e32 v[174:175], v[4:5], v[14:15]
	v_add_f64_e32 v[178:179], v[166:167], v[164:165]
	v_mul_f64_e32 v[14:15], v[6:7], v[14:15]
	ds_load_b128 v[164:167], v2 offset:1088
	v_fmac_f64_e32 v[170:171], v[158:159], v[8:9]
	v_fma_f64 v[156:157], v[156:157], v[8:9], -v[10:11]
	scratch_load_b128 v[8:11], off, off offset:464
	v_add_f64_e32 v[168:169], v[168:169], v[172:173]
	v_fmac_f64_e32 v[174:175], v[6:7], v[12:13]
	v_add_f64_e32 v[158:159], v[178:179], v[176:177]
	v_fma_f64 v[176:177], v[4:5], v[12:13], -v[14:15]
	ds_load_b128 v[4:7], v2 offset:1104
	s_wait_loadcnt_dscnt 0xa01
	v_mul_f64_e32 v[172:173], v[164:165], v[18:19]
	v_mul_f64_e32 v[18:19], v[166:167], v[18:19]
	scratch_load_b128 v[12:15], off, off offset:480
	v_add_f64_e32 v[168:169], v[168:169], v[170:171]
	s_wait_loadcnt_dscnt 0xa00
	v_mul_f64_e32 v[170:171], v[4:5], v[22:23]
	v_add_f64_e32 v[178:179], v[158:159], v[156:157]
	v_mul_f64_e32 v[22:23], v[6:7], v[22:23]
	ds_load_b128 v[156:159], v2 offset:1120
	v_fmac_f64_e32 v[172:173], v[166:167], v[16:17]
	v_fma_f64 v[164:165], v[164:165], v[16:17], -v[18:19]
	scratch_load_b128 v[16:19], off, off offset:496
	v_add_f64_e32 v[168:169], v[168:169], v[174:175]
	v_fmac_f64_e32 v[170:171], v[6:7], v[20:21]
	v_add_f64_e32 v[166:167], v[178:179], v[176:177]
	;; [unrolled: 18-line block ×10, first 2 shown]
	v_fma_f64 v[176:177], v[4:5], v[136:137], -v[138:139]
	ds_load_b128 v[4:7], v2 offset:1392
	s_wait_loadcnt_dscnt 0xa01
	v_mul_f64_e32 v[172:173], v[156:157], v[142:143]
	v_mul_f64_e32 v[142:143], v[158:159], v[142:143]
	scratch_load_b128 v[136:139], off, off offset:768
	v_add_f64_e32 v[168:169], v[168:169], v[170:171]
	s_wait_loadcnt_dscnt 0xa00
	v_mul_f64_e32 v[170:171], v[4:5], v[150:151]
	v_add_f64_e32 v[178:179], v[166:167], v[164:165]
	v_mul_f64_e32 v[150:151], v[6:7], v[150:151]
	ds_load_b128 v[164:167], v2 offset:1408
	v_fmac_f64_e32 v[172:173], v[158:159], v[140:141]
	v_fma_f64 v[140:141], v[156:157], v[140:141], -v[142:143]
	s_wait_loadcnt_dscnt 0x900
	v_mul_f64_e32 v[158:159], v[164:165], v[162:163]
	v_mul_f64_e32 v[162:163], v[166:167], v[162:163]
	v_add_f64_e32 v[156:157], v[168:169], v[174:175]
	v_fmac_f64_e32 v[170:171], v[6:7], v[148:149]
	v_add_f64_e32 v[142:143], v[178:179], v[176:177]
	v_fma_f64 v[148:149], v[4:5], v[148:149], -v[150:151]
	v_fmac_f64_e32 v[158:159], v[166:167], v[160:161]
	v_fma_f64 v[160:161], v[164:165], v[160:161], -v[162:163]
	v_add_f64_e32 v[156:157], v[156:157], v[172:173]
	v_add_f64_e32 v[150:151], v[142:143], v[140:141]
	ds_load_b128 v[4:7], v2 offset:1424
	ds_load_b128 v[140:143], v2 offset:1440
	s_wait_loadcnt_dscnt 0x801
	v_mul_f64_e32 v[168:169], v[4:5], v[146:147]
	v_mul_f64_e32 v[146:147], v[6:7], v[146:147]
	v_add_f64_e32 v[148:149], v[150:151], v[148:149]
	v_add_f64_e32 v[150:151], v[156:157], v[170:171]
	s_wait_loadcnt_dscnt 0x700
	v_mul_f64_e32 v[156:157], v[140:141], v[10:11]
	v_mul_f64_e32 v[10:11], v[142:143], v[10:11]
	v_fmac_f64_e32 v[168:169], v[6:7], v[144:145]
	v_fma_f64 v[162:163], v[4:5], v[144:145], -v[146:147]
	ds_load_b128 v[4:7], v2 offset:1456
	ds_load_b128 v[144:147], v2 offset:1472
	v_add_f64_e32 v[148:149], v[148:149], v[160:161]
	v_add_f64_e32 v[150:151], v[150:151], v[158:159]
	v_fmac_f64_e32 v[156:157], v[142:143], v[8:9]
	v_fma_f64 v[8:9], v[140:141], v[8:9], -v[10:11]
	s_wait_loadcnt_dscnt 0x601
	v_mul_f64_e32 v[158:159], v[4:5], v[14:15]
	v_mul_f64_e32 v[14:15], v[6:7], v[14:15]
	s_wait_loadcnt_dscnt 0x500
	v_mul_f64_e32 v[142:143], v[144:145], v[18:19]
	v_mul_f64_e32 v[18:19], v[146:147], v[18:19]
	v_add_f64_e32 v[10:11], v[148:149], v[162:163]
	v_add_f64_e32 v[140:141], v[150:151], v[168:169]
	v_fmac_f64_e32 v[158:159], v[6:7], v[12:13]
	v_fma_f64 v[12:13], v[4:5], v[12:13], -v[14:15]
	v_fmac_f64_e32 v[142:143], v[146:147], v[16:17]
	v_fma_f64 v[16:17], v[144:145], v[16:17], -v[18:19]
	v_add_f64_e32 v[14:15], v[10:11], v[8:9]
	v_add_f64_e32 v[140:141], v[140:141], v[156:157]
	ds_load_b128 v[4:7], v2 offset:1488
	ds_load_b128 v[8:11], v2 offset:1504
	s_wait_loadcnt_dscnt 0x401
	v_mul_f64_e32 v[148:149], v[4:5], v[22:23]
	v_mul_f64_e32 v[22:23], v[6:7], v[22:23]
	s_wait_loadcnt_dscnt 0x300
	v_mul_f64_e32 v[18:19], v[8:9], v[126:127]
	v_mul_f64_e32 v[126:127], v[10:11], v[126:127]
	v_add_f64_e32 v[12:13], v[14:15], v[12:13]
	v_add_f64_e32 v[14:15], v[140:141], v[158:159]
	v_fmac_f64_e32 v[148:149], v[6:7], v[20:21]
	v_fma_f64 v[20:21], v[4:5], v[20:21], -v[22:23]
	v_fmac_f64_e32 v[18:19], v[10:11], v[124:125]
	v_fma_f64 v[8:9], v[8:9], v[124:125], -v[126:127]
	v_add_f64_e32 v[16:17], v[12:13], v[16:17]
	v_add_f64_e32 v[22:23], v[14:15], v[142:143]
	ds_load_b128 v[4:7], v2 offset:1520
	ds_load_b128 v[12:15], v2 offset:1536
	s_wait_loadcnt_dscnt 0x201
	v_mul_f64_e32 v[140:141], v[4:5], v[130:131]
	v_mul_f64_e32 v[130:131], v[6:7], v[130:131]
	v_add_f64_e32 v[10:11], v[16:17], v[20:21]
	v_add_f64_e32 v[16:17], v[22:23], v[148:149]
	s_wait_loadcnt_dscnt 0x100
	v_mul_f64_e32 v[20:21], v[12:13], v[134:135]
	v_mul_f64_e32 v[22:23], v[14:15], v[134:135]
	v_fmac_f64_e32 v[140:141], v[6:7], v[128:129]
	v_fma_f64 v[124:125], v[4:5], v[128:129], -v[130:131]
	ds_load_b128 v[4:7], v2 offset:1552
	v_add_f64_e32 v[8:9], v[10:11], v[8:9]
	v_add_f64_e32 v[10:11], v[16:17], v[18:19]
	v_fmac_f64_e32 v[20:21], v[14:15], v[132:133]
	v_fma_f64 v[12:13], v[12:13], v[132:133], -v[22:23]
	s_wait_loadcnt_dscnt 0x0
	v_mul_f64_e32 v[16:17], v[4:5], v[138:139]
	v_mul_f64_e32 v[18:19], v[6:7], v[138:139]
	v_add_f64_e32 v[8:9], v[8:9], v[124:125]
	v_add_f64_e32 v[10:11], v[10:11], v[140:141]
	s_delay_alu instid0(VALU_DEP_4) | instskip(NEXT) | instid1(VALU_DEP_4)
	v_fmac_f64_e32 v[16:17], v[6:7], v[136:137]
	v_fma_f64 v[4:5], v[4:5], v[136:137], -v[18:19]
	s_delay_alu instid0(VALU_DEP_4) | instskip(NEXT) | instid1(VALU_DEP_4)
	v_add_f64_e32 v[6:7], v[8:9], v[12:13]
	v_add_f64_e32 v[8:9], v[10:11], v[20:21]
	s_delay_alu instid0(VALU_DEP_2) | instskip(NEXT) | instid1(VALU_DEP_2)
	v_add_f64_e32 v[4:5], v[6:7], v[4:5]
	v_add_f64_e32 v[6:7], v[8:9], v[16:17]
	s_delay_alu instid0(VALU_DEP_2) | instskip(NEXT) | instid1(VALU_DEP_2)
	v_add_f64_e64 v[4:5], v[152:153], -v[4:5]
	v_add_f64_e64 v[6:7], v[154:155], -v[6:7]
	scratch_store_b128 off, v[4:7], off offset:48
	s_wait_xcnt 0x0
	v_cmpx_lt_u32_e32 2, v1
	s_cbranch_execz .LBB48_303
; %bb.302:
	scratch_load_b128 v[6:9], off, s39
	v_dual_mov_b32 v3, v2 :: v_dual_mov_b32 v4, v2
	v_mov_b32_e32 v5, v2
	scratch_store_b128 off, v[2:5], off offset:32
	s_wait_loadcnt 0x0
	ds_store_b128 v122, v[6:9]
.LBB48_303:
	s_wait_xcnt 0x0
	s_or_b32 exec_lo, exec_lo, s2
	s_wait_storecnt_dscnt 0x0
	s_barrier_signal -1
	s_barrier_wait -1
	s_clause 0x9
	scratch_load_b128 v[4:7], off, off offset:48
	scratch_load_b128 v[8:11], off, off offset:64
	;; [unrolled: 1-line block ×10, first 2 shown]
	ds_load_b128 v[144:147], v2 offset:832
	ds_load_b128 v[152:155], v2 offset:848
	s_clause 0x2
	scratch_load_b128 v[148:151], off, off offset:208
	scratch_load_b128 v[156:159], off, off offset:32
	;; [unrolled: 1-line block ×3, first 2 shown]
	s_mov_b32 s2, exec_lo
	v_ashrrev_i32_e32 v29, 31, v28
	v_ashrrev_i32_e32 v33, 31, v32
	;; [unrolled: 1-line block ×3, first 2 shown]
	v_dual_ashrrev_i32 v41, 31, v40 :: v_dual_ashrrev_i32 v31, 31, v30
	v_dual_ashrrev_i32 v35, 31, v34 :: v_dual_ashrrev_i32 v45, 31, v44
	;; [unrolled: 1-line block ×8, first 2 shown]
	v_ashrrev_i32_e32 v73, 31, v72
	v_ashrrev_i32_e32 v77, 31, v76
	v_dual_ashrrev_i32 v81, 31, v80 :: v_dual_ashrrev_i32 v63, 31, v62
	v_ashrrev_i32_e32 v67, 31, v66
	v_ashrrev_i32_e32 v71, 31, v70
	v_dual_ashrrev_i32 v75, 31, v74 :: v_dual_ashrrev_i32 v85, 31, v84
	v_dual_ashrrev_i32 v89, 31, v88 :: v_dual_ashrrev_i32 v79, 31, v78
	;; [unrolled: 1-line block ×3, first 2 shown]
	v_ashrrev_i32_e32 v97, 31, v96
	v_dual_ashrrev_i32 v101, 31, v100 :: v_dual_ashrrev_i32 v87, 31, v86
	v_dual_ashrrev_i32 v105, 31, v104 :: v_dual_ashrrev_i32 v91, 31, v90
	v_ashrrev_i32_e32 v109, 31, v108
	v_dual_ashrrev_i32 v113, 31, v112 :: v_dual_ashrrev_i32 v95, 31, v94
	v_ashrrev_i32_e32 v99, 31, v98
	v_dual_ashrrev_i32 v103, 31, v102 :: v_dual_ashrrev_i32 v117, 31, v116
	v_dual_ashrrev_i32 v121, 31, v120 :: v_dual_ashrrev_i32 v107, 31, v106
	v_ashrrev_i32_e32 v111, 31, v110
	v_ashrrev_i32_e32 v115, 31, v114
	;; [unrolled: 1-line block ×3, first 2 shown]
	s_wait_loadcnt_dscnt 0xc01
	v_mul_f64_e32 v[164:165], v[146:147], v[6:7]
	v_mul_f64_e32 v[168:169], v[144:145], v[6:7]
	s_wait_loadcnt_dscnt 0xb00
	v_mul_f64_e32 v[170:171], v[152:153], v[10:11]
	v_mul_f64_e32 v[10:11], v[154:155], v[10:11]
	s_delay_alu instid0(VALU_DEP_4) | instskip(NEXT) | instid1(VALU_DEP_4)
	v_fma_f64 v[172:173], v[144:145], v[4:5], -v[164:165]
	v_fmac_f64_e32 v[168:169], v[146:147], v[4:5]
	ds_load_b128 v[4:7], v2 offset:864
	ds_load_b128 v[164:167], v2 offset:880
	scratch_load_b128 v[144:147], off, off offset:240
	v_fmac_f64_e32 v[170:171], v[154:155], v[8:9]
	v_fma_f64 v[152:153], v[152:153], v[8:9], -v[10:11]
	scratch_load_b128 v[8:11], off, off offset:256
	s_wait_loadcnt_dscnt 0xc01
	v_mul_f64_e32 v[174:175], v[4:5], v[14:15]
	v_mul_f64_e32 v[14:15], v[6:7], v[14:15]
	v_add_f64_e32 v[154:155], 0, v[172:173]
	v_add_f64_e32 v[168:169], 0, v[168:169]
	s_wait_loadcnt_dscnt 0xb00
	v_mul_f64_e32 v[172:173], v[164:165], v[18:19]
	v_mul_f64_e32 v[18:19], v[166:167], v[18:19]
	v_fmac_f64_e32 v[174:175], v[6:7], v[12:13]
	v_fma_f64 v[176:177], v[4:5], v[12:13], -v[14:15]
	ds_load_b128 v[4:7], v2 offset:896
	scratch_load_b128 v[12:15], off, off offset:272
	v_add_f64_e32 v[178:179], v[154:155], v[152:153]
	v_add_f64_e32 v[168:169], v[168:169], v[170:171]
	ds_load_b128 v[152:155], v2 offset:912
	v_fmac_f64_e32 v[172:173], v[166:167], v[16:17]
	v_fma_f64 v[164:165], v[164:165], v[16:17], -v[18:19]
	scratch_load_b128 v[16:19], off, off offset:288
	s_wait_loadcnt_dscnt 0xc01
	v_mul_f64_e32 v[170:171], v[4:5], v[22:23]
	v_mul_f64_e32 v[22:23], v[6:7], v[22:23]
	v_add_f64_e32 v[166:167], v[178:179], v[176:177]
	v_add_f64_e32 v[168:169], v[168:169], v[174:175]
	s_wait_loadcnt_dscnt 0xb00
	v_mul_f64_e32 v[174:175], v[152:153], v[126:127]
	v_mul_f64_e32 v[126:127], v[154:155], v[126:127]
	v_fmac_f64_e32 v[170:171], v[6:7], v[20:21]
	v_fma_f64 v[176:177], v[4:5], v[20:21], -v[22:23]
	ds_load_b128 v[4:7], v2 offset:928
	scratch_load_b128 v[20:23], off, off offset:304
	v_add_f64_e32 v[178:179], v[166:167], v[164:165]
	v_add_f64_e32 v[168:169], v[168:169], v[172:173]
	ds_load_b128 v[164:167], v2 offset:944
	s_wait_loadcnt_dscnt 0xb01
	v_mul_f64_e32 v[172:173], v[4:5], v[130:131]
	v_mul_f64_e32 v[130:131], v[6:7], v[130:131]
	v_fmac_f64_e32 v[174:175], v[154:155], v[124:125]
	v_fma_f64 v[152:153], v[152:153], v[124:125], -v[126:127]
	scratch_load_b128 v[124:127], off, off offset:320
	v_add_f64_e32 v[154:155], v[178:179], v[176:177]
	v_add_f64_e32 v[168:169], v[168:169], v[170:171]
	s_wait_loadcnt_dscnt 0xb00
	v_mul_f64_e32 v[170:171], v[164:165], v[134:135]
	v_mul_f64_e32 v[134:135], v[166:167], v[134:135]
	v_fmac_f64_e32 v[172:173], v[6:7], v[128:129]
	v_fma_f64 v[176:177], v[4:5], v[128:129], -v[130:131]
	ds_load_b128 v[4:7], v2 offset:960
	scratch_load_b128 v[128:131], off, off offset:336
	v_add_f64_e32 v[178:179], v[154:155], v[152:153]
	v_add_f64_e32 v[168:169], v[168:169], v[174:175]
	ds_load_b128 v[152:155], v2 offset:976
	s_wait_loadcnt_dscnt 0xb01
	v_mul_f64_e32 v[174:175], v[4:5], v[138:139]
	v_mul_f64_e32 v[138:139], v[6:7], v[138:139]
	v_fmac_f64_e32 v[170:171], v[166:167], v[132:133]
	v_fma_f64 v[164:165], v[164:165], v[132:133], -v[134:135]
	scratch_load_b128 v[132:135], off, off offset:352
	;; [unrolled: 18-line block ×3, first 2 shown]
	v_add_f64_e32 v[154:155], v[178:179], v[176:177]
	v_add_f64_e32 v[168:169], v[168:169], v[174:175]
	s_wait_loadcnt_dscnt 0xa00
	v_mul_f64_e32 v[174:175], v[164:165], v[162:163]
	v_mul_f64_e32 v[162:163], v[166:167], v[162:163]
	v_fmac_f64_e32 v[170:171], v[6:7], v[148:149]
	v_fma_f64 v[176:177], v[4:5], v[148:149], -v[150:151]
	ds_load_b128 v[4:7], v2 offset:1024
	scratch_load_b128 v[148:151], off, off offset:400
	v_add_f64_e32 v[178:179], v[154:155], v[152:153]
	v_add_f64_e32 v[168:169], v[168:169], v[172:173]
	ds_load_b128 v[152:155], v2 offset:1040
	v_fmac_f64_e32 v[174:175], v[166:167], v[160:161]
	s_wait_loadcnt_dscnt 0xa01
	v_mul_f64_e32 v[172:173], v[4:5], v[146:147]
	v_mul_f64_e32 v[146:147], v[6:7], v[146:147]
	v_fma_f64 v[164:165], v[164:165], v[160:161], -v[162:163]
	scratch_load_b128 v[160:163], off, off offset:416
	v_add_f64_e32 v[166:167], v[178:179], v[176:177]
	v_add_f64_e32 v[168:169], v[168:169], v[170:171]
	s_wait_loadcnt_dscnt 0xa00
	v_mul_f64_e32 v[170:171], v[152:153], v[10:11]
	v_mul_f64_e32 v[10:11], v[154:155], v[10:11]
	v_fmac_f64_e32 v[172:173], v[6:7], v[144:145]
	v_fma_f64 v[176:177], v[4:5], v[144:145], -v[146:147]
	ds_load_b128 v[4:7], v2 offset:1056
	scratch_load_b128 v[144:147], off, off offset:432
	v_add_f64_e32 v[178:179], v[166:167], v[164:165]
	v_add_f64_e32 v[168:169], v[168:169], v[174:175]
	ds_load_b128 v[164:167], v2 offset:1072
	s_wait_loadcnt_dscnt 0xa01
	v_mul_f64_e32 v[174:175], v[4:5], v[14:15]
	v_mul_f64_e32 v[14:15], v[6:7], v[14:15]
	v_fmac_f64_e32 v[170:171], v[154:155], v[8:9]
	v_fma_f64 v[152:153], v[152:153], v[8:9], -v[10:11]
	scratch_load_b128 v[8:11], off, off offset:448
	v_add_f64_e32 v[154:155], v[178:179], v[176:177]
	v_add_f64_e32 v[168:169], v[168:169], v[172:173]
	s_wait_loadcnt_dscnt 0xa00
	v_mul_f64_e32 v[172:173], v[164:165], v[18:19]
	v_mul_f64_e32 v[18:19], v[166:167], v[18:19]
	v_fmac_f64_e32 v[174:175], v[6:7], v[12:13]
	v_fma_f64 v[176:177], v[4:5], v[12:13], -v[14:15]
	ds_load_b128 v[4:7], v2 offset:1088
	scratch_load_b128 v[12:15], off, off offset:464
	v_add_f64_e32 v[178:179], v[154:155], v[152:153]
	v_add_f64_e32 v[168:169], v[168:169], v[170:171]
	ds_load_b128 v[152:155], v2 offset:1104
	s_wait_loadcnt_dscnt 0xa01
	v_mul_f64_e32 v[170:171], v[4:5], v[22:23]
	v_mul_f64_e32 v[22:23], v[6:7], v[22:23]
	v_fmac_f64_e32 v[172:173], v[166:167], v[16:17]
	;; [unrolled: 18-line block ×11, first 2 shown]
	v_fma_f64 v[152:153], v[152:153], v[140:141], -v[142:143]
	scratch_load_b128 v[140:143], off, off offset:768
	v_add_f64_e32 v[154:155], v[178:179], v[176:177]
	v_add_f64_e32 v[168:169], v[168:169], v[174:175]
	s_wait_loadcnt_dscnt 0xa00
	v_mul_f64_e32 v[174:175], v[164:165], v[162:163]
	v_mul_f64_e32 v[162:163], v[166:167], v[162:163]
	v_fmac_f64_e32 v[170:171], v[6:7], v[148:149]
	v_fma_f64 v[176:177], v[4:5], v[148:149], -v[150:151]
	ds_load_b128 v[4:7], v2 offset:1408
	ds_load_b128 v[148:151], v2 offset:1424
	v_add_f64_e32 v[152:153], v[154:155], v[152:153]
	v_add_f64_e32 v[154:155], v[168:169], v[172:173]
	s_wait_loadcnt_dscnt 0x901
	v_mul_f64_e32 v[168:169], v[4:5], v[146:147]
	v_mul_f64_e32 v[146:147], v[6:7], v[146:147]
	v_fmac_f64_e32 v[174:175], v[166:167], v[160:161]
	v_fma_f64 v[160:161], v[164:165], v[160:161], -v[162:163]
	s_wait_loadcnt_dscnt 0x800
	v_mul_f64_e32 v[162:163], v[148:149], v[10:11]
	v_mul_f64_e32 v[10:11], v[150:151], v[10:11]
	v_add_f64_e32 v[152:153], v[152:153], v[176:177]
	v_add_f64_e32 v[154:155], v[154:155], v[170:171]
	v_fmac_f64_e32 v[168:169], v[6:7], v[144:145]
	v_fma_f64 v[164:165], v[4:5], v[144:145], -v[146:147]
	ds_load_b128 v[4:7], v2 offset:1440
	ds_load_b128 v[144:147], v2 offset:1456
	v_fmac_f64_e32 v[162:163], v[150:151], v[8:9]
	v_fma_f64 v[8:9], v[148:149], v[8:9], -v[10:11]
	v_add_f64_e32 v[152:153], v[152:153], v[160:161]
	v_add_f64_e32 v[154:155], v[154:155], v[174:175]
	s_wait_loadcnt_dscnt 0x701
	v_mul_f64_e32 v[160:161], v[4:5], v[14:15]
	v_mul_f64_e32 v[14:15], v[6:7], v[14:15]
	s_wait_loadcnt_dscnt 0x600
	v_mul_f64_e32 v[150:151], v[144:145], v[18:19]
	v_mul_f64_e32 v[18:19], v[146:147], v[18:19]
	v_add_f64_e32 v[10:11], v[152:153], v[164:165]
	v_add_f64_e32 v[148:149], v[154:155], v[168:169]
	v_fmac_f64_e32 v[160:161], v[6:7], v[12:13]
	v_fma_f64 v[12:13], v[4:5], v[12:13], -v[14:15]
	v_fmac_f64_e32 v[150:151], v[146:147], v[16:17]
	v_fma_f64 v[16:17], v[144:145], v[16:17], -v[18:19]
	v_add_f64_e32 v[14:15], v[10:11], v[8:9]
	v_add_f64_e32 v[148:149], v[148:149], v[162:163]
	ds_load_b128 v[4:7], v2 offset:1472
	ds_load_b128 v[8:11], v2 offset:1488
	s_wait_loadcnt_dscnt 0x501
	v_mul_f64_e32 v[152:153], v[4:5], v[22:23]
	v_mul_f64_e32 v[22:23], v[6:7], v[22:23]
	s_wait_loadcnt_dscnt 0x400
	v_mul_f64_e32 v[18:19], v[8:9], v[126:127]
	v_mul_f64_e32 v[126:127], v[10:11], v[126:127]
	v_add_f64_e32 v[12:13], v[14:15], v[12:13]
	v_add_f64_e32 v[14:15], v[148:149], v[160:161]
	v_fmac_f64_e32 v[152:153], v[6:7], v[20:21]
	v_fma_f64 v[20:21], v[4:5], v[20:21], -v[22:23]
	v_fmac_f64_e32 v[18:19], v[10:11], v[124:125]
	v_fma_f64 v[8:9], v[8:9], v[124:125], -v[126:127]
	v_add_f64_e32 v[16:17], v[12:13], v[16:17]
	v_add_f64_e32 v[22:23], v[14:15], v[150:151]
	ds_load_b128 v[4:7], v2 offset:1504
	ds_load_b128 v[12:15], v2 offset:1520
	s_wait_loadcnt_dscnt 0x301
	v_mul_f64_e32 v[144:145], v[4:5], v[130:131]
	v_mul_f64_e32 v[130:131], v[6:7], v[130:131]
	v_add_f64_e32 v[10:11], v[16:17], v[20:21]
	v_add_f64_e32 v[16:17], v[22:23], v[152:153]
	s_wait_loadcnt_dscnt 0x200
	v_mul_f64_e32 v[20:21], v[12:13], v[134:135]
	v_mul_f64_e32 v[22:23], v[14:15], v[134:135]
	v_fmac_f64_e32 v[144:145], v[6:7], v[128:129]
	v_fma_f64 v[124:125], v[4:5], v[128:129], -v[130:131]
	v_add_f64_e32 v[126:127], v[10:11], v[8:9]
	v_add_f64_e32 v[16:17], v[16:17], v[18:19]
	ds_load_b128 v[4:7], v2 offset:1536
	ds_load_b128 v[8:11], v2 offset:1552
	v_fmac_f64_e32 v[20:21], v[14:15], v[132:133]
	v_fma_f64 v[12:13], v[12:13], v[132:133], -v[22:23]
	s_wait_loadcnt_dscnt 0x101
	v_mul_f64_e32 v[2:3], v[4:5], v[138:139]
	v_mul_f64_e32 v[18:19], v[6:7], v[138:139]
	s_wait_loadcnt_dscnt 0x0
	v_mul_f64_e32 v[22:23], v[8:9], v[142:143]
	v_add_f64_e32 v[14:15], v[126:127], v[124:125]
	v_add_f64_e32 v[16:17], v[16:17], v[144:145]
	v_mul_f64_e32 v[124:125], v[10:11], v[142:143]
	v_fmac_f64_e32 v[2:3], v[6:7], v[136:137]
	v_fma_f64 v[4:5], v[4:5], v[136:137], -v[18:19]
	v_fmac_f64_e32 v[22:23], v[10:11], v[140:141]
	v_add_f64_e32 v[6:7], v[14:15], v[12:13]
	v_add_f64_e32 v[12:13], v[16:17], v[20:21]
	v_fma_f64 v[8:9], v[8:9], v[140:141], -v[124:125]
	s_delay_alu instid0(VALU_DEP_3) | instskip(NEXT) | instid1(VALU_DEP_3)
	v_add_f64_e32 v[4:5], v[6:7], v[4:5]
	v_add_f64_e32 v[2:3], v[12:13], v[2:3]
	s_delay_alu instid0(VALU_DEP_2) | instskip(NEXT) | instid1(VALU_DEP_2)
	v_add_f64_e32 v[4:5], v[4:5], v[8:9]
	v_add_f64_e32 v[6:7], v[2:3], v[22:23]
	s_delay_alu instid0(VALU_DEP_2) | instskip(NEXT) | instid1(VALU_DEP_2)
	v_add_f64_e64 v[2:3], v[156:157], -v[4:5]
	v_add_f64_e64 v[4:5], v[158:159], -v[6:7]
	scratch_store_b128 off, v[2:5], off offset:32
	s_wait_xcnt 0x0
	v_cmpx_lt_u32_e32 1, v1
	s_cbranch_execz .LBB48_305
; %bb.304:
	scratch_load_b128 v[2:5], off, s46
	v_mov_b32_e32 v6, 0
	s_delay_alu instid0(VALU_DEP_1)
	v_dual_mov_b32 v7, v6 :: v_dual_mov_b32 v8, v6
	v_mov_b32_e32 v9, v6
	scratch_store_b128 off, v[6:9], off offset:16
	s_wait_loadcnt 0x0
	ds_store_b128 v122, v[2:5]
.LBB48_305:
	s_wait_xcnt 0x0
	s_or_b32 exec_lo, exec_lo, s2
	s_wait_storecnt_dscnt 0x0
	s_barrier_signal -1
	s_barrier_wait -1
	s_clause 0x9
	scratch_load_b128 v[4:7], off, off offset:32
	scratch_load_b128 v[8:11], off, off offset:48
	scratch_load_b128 v[12:15], off, off offset:64
	scratch_load_b128 v[16:19], off, off offset:80
	scratch_load_b128 v[20:23], off, off offset:96
	scratch_load_b128 v[124:127], off, off offset:112
	scratch_load_b128 v[128:131], off, off offset:128
	scratch_load_b128 v[132:135], off, off offset:144
	scratch_load_b128 v[136:139], off, off offset:160
	scratch_load_b128 v[140:143], off, off offset:176
	v_mov_b32_e32 v2, 0
	s_mov_b32 s2, exec_lo
	ds_load_b128 v[144:147], v2 offset:816
	s_clause 0x2
	scratch_load_b128 v[148:151], off, off offset:192
	scratch_load_b128 v[152:155], off, off offset:16
	;; [unrolled: 1-line block ×3, first 2 shown]
	s_wait_loadcnt_dscnt 0xc00
	v_mul_f64_e32 v[164:165], v[146:147], v[6:7]
	v_mul_f64_e32 v[168:169], v[144:145], v[6:7]
	ds_load_b128 v[156:159], v2 offset:832
	v_fma_f64 v[172:173], v[144:145], v[4:5], -v[164:165]
	v_fmac_f64_e32 v[168:169], v[146:147], v[4:5]
	ds_load_b128 v[4:7], v2 offset:848
	s_wait_loadcnt_dscnt 0xb01
	v_mul_f64_e32 v[170:171], v[156:157], v[10:11]
	v_mul_f64_e32 v[10:11], v[158:159], v[10:11]
	scratch_load_b128 v[144:147], off, off offset:224
	ds_load_b128 v[164:167], v2 offset:864
	s_wait_loadcnt_dscnt 0xb01
	v_mul_f64_e32 v[174:175], v[4:5], v[14:15]
	v_mul_f64_e32 v[14:15], v[6:7], v[14:15]
	v_add_f64_e32 v[168:169], 0, v[168:169]
	v_fmac_f64_e32 v[170:171], v[158:159], v[8:9]
	v_fma_f64 v[156:157], v[156:157], v[8:9], -v[10:11]
	v_add_f64_e32 v[158:159], 0, v[172:173]
	scratch_load_b128 v[8:11], off, off offset:240
	v_fmac_f64_e32 v[174:175], v[6:7], v[12:13]
	v_fma_f64 v[176:177], v[4:5], v[12:13], -v[14:15]
	ds_load_b128 v[4:7], v2 offset:880
	s_wait_loadcnt_dscnt 0xb01
	v_mul_f64_e32 v[172:173], v[164:165], v[18:19]
	v_mul_f64_e32 v[18:19], v[166:167], v[18:19]
	scratch_load_b128 v[12:15], off, off offset:256
	v_add_f64_e32 v[168:169], v[168:169], v[170:171]
	v_add_f64_e32 v[178:179], v[158:159], v[156:157]
	ds_load_b128 v[156:159], v2 offset:896
	s_wait_loadcnt_dscnt 0xb01
	v_mul_f64_e32 v[170:171], v[4:5], v[22:23]
	v_mul_f64_e32 v[22:23], v[6:7], v[22:23]
	v_fmac_f64_e32 v[172:173], v[166:167], v[16:17]
	v_fma_f64 v[164:165], v[164:165], v[16:17], -v[18:19]
	scratch_load_b128 v[16:19], off, off offset:272
	v_add_f64_e32 v[168:169], v[168:169], v[174:175]
	v_add_f64_e32 v[166:167], v[178:179], v[176:177]
	v_fmac_f64_e32 v[170:171], v[6:7], v[20:21]
	v_fma_f64 v[176:177], v[4:5], v[20:21], -v[22:23]
	ds_load_b128 v[4:7], v2 offset:912
	s_wait_loadcnt_dscnt 0xb01
	v_mul_f64_e32 v[174:175], v[156:157], v[126:127]
	v_mul_f64_e32 v[126:127], v[158:159], v[126:127]
	scratch_load_b128 v[20:23], off, off offset:288
	v_add_f64_e32 v[168:169], v[168:169], v[172:173]
	s_wait_loadcnt_dscnt 0xb00
	v_mul_f64_e32 v[172:173], v[4:5], v[130:131]
	v_add_f64_e32 v[178:179], v[166:167], v[164:165]
	v_mul_f64_e32 v[130:131], v[6:7], v[130:131]
	ds_load_b128 v[164:167], v2 offset:928
	v_fmac_f64_e32 v[174:175], v[158:159], v[124:125]
	v_fma_f64 v[156:157], v[156:157], v[124:125], -v[126:127]
	scratch_load_b128 v[124:127], off, off offset:304
	v_add_f64_e32 v[168:169], v[168:169], v[170:171]
	v_fmac_f64_e32 v[172:173], v[6:7], v[128:129]
	v_add_f64_e32 v[158:159], v[178:179], v[176:177]
	v_fma_f64 v[176:177], v[4:5], v[128:129], -v[130:131]
	ds_load_b128 v[4:7], v2 offset:944
	s_wait_loadcnt_dscnt 0xb01
	v_mul_f64_e32 v[170:171], v[164:165], v[134:135]
	v_mul_f64_e32 v[134:135], v[166:167], v[134:135]
	scratch_load_b128 v[128:131], off, off offset:320
	v_add_f64_e32 v[168:169], v[168:169], v[174:175]
	s_wait_loadcnt_dscnt 0xb00
	v_mul_f64_e32 v[174:175], v[4:5], v[138:139]
	v_add_f64_e32 v[178:179], v[158:159], v[156:157]
	v_mul_f64_e32 v[138:139], v[6:7], v[138:139]
	ds_load_b128 v[156:159], v2 offset:960
	v_fmac_f64_e32 v[170:171], v[166:167], v[132:133]
	v_fma_f64 v[164:165], v[164:165], v[132:133], -v[134:135]
	scratch_load_b128 v[132:135], off, off offset:336
	v_add_f64_e32 v[168:169], v[168:169], v[172:173]
	v_fmac_f64_e32 v[174:175], v[6:7], v[136:137]
	v_add_f64_e32 v[166:167], v[178:179], v[176:177]
	;; [unrolled: 18-line block ×3, first 2 shown]
	v_fma_f64 v[176:177], v[4:5], v[148:149], -v[150:151]
	ds_load_b128 v[4:7], v2 offset:1008
	s_wait_loadcnt_dscnt 0xa01
	v_mul_f64_e32 v[174:175], v[164:165], v[162:163]
	v_mul_f64_e32 v[162:163], v[166:167], v[162:163]
	scratch_load_b128 v[148:151], off, off offset:384
	v_add_f64_e32 v[168:169], v[168:169], v[172:173]
	v_add_f64_e32 v[178:179], v[158:159], v[156:157]
	s_wait_loadcnt_dscnt 0xa00
	v_mul_f64_e32 v[172:173], v[4:5], v[146:147]
	v_mul_f64_e32 v[146:147], v[6:7], v[146:147]
	v_fmac_f64_e32 v[174:175], v[166:167], v[160:161]
	v_fma_f64 v[164:165], v[164:165], v[160:161], -v[162:163]
	ds_load_b128 v[156:159], v2 offset:1024
	scratch_load_b128 v[160:163], off, off offset:400
	v_add_f64_e32 v[168:169], v[168:169], v[170:171]
	v_add_f64_e32 v[166:167], v[178:179], v[176:177]
	v_fmac_f64_e32 v[172:173], v[6:7], v[144:145]
	v_fma_f64 v[176:177], v[4:5], v[144:145], -v[146:147]
	ds_load_b128 v[4:7], v2 offset:1040
	s_wait_loadcnt_dscnt 0xa01
	v_mul_f64_e32 v[170:171], v[156:157], v[10:11]
	v_mul_f64_e32 v[10:11], v[158:159], v[10:11]
	scratch_load_b128 v[144:147], off, off offset:416
	v_add_f64_e32 v[168:169], v[168:169], v[174:175]
	s_wait_loadcnt_dscnt 0xa00
	v_mul_f64_e32 v[174:175], v[4:5], v[14:15]
	v_add_f64_e32 v[178:179], v[166:167], v[164:165]
	v_mul_f64_e32 v[14:15], v[6:7], v[14:15]
	ds_load_b128 v[164:167], v2 offset:1056
	v_fmac_f64_e32 v[170:171], v[158:159], v[8:9]
	v_fma_f64 v[156:157], v[156:157], v[8:9], -v[10:11]
	scratch_load_b128 v[8:11], off, off offset:432
	v_add_f64_e32 v[168:169], v[168:169], v[172:173]
	v_fmac_f64_e32 v[174:175], v[6:7], v[12:13]
	v_add_f64_e32 v[158:159], v[178:179], v[176:177]
	v_fma_f64 v[176:177], v[4:5], v[12:13], -v[14:15]
	ds_load_b128 v[4:7], v2 offset:1072
	s_wait_loadcnt_dscnt 0xa01
	v_mul_f64_e32 v[172:173], v[164:165], v[18:19]
	v_mul_f64_e32 v[18:19], v[166:167], v[18:19]
	scratch_load_b128 v[12:15], off, off offset:448
	v_add_f64_e32 v[168:169], v[168:169], v[170:171]
	s_wait_loadcnt_dscnt 0xa00
	v_mul_f64_e32 v[170:171], v[4:5], v[22:23]
	v_add_f64_e32 v[178:179], v[158:159], v[156:157]
	v_mul_f64_e32 v[22:23], v[6:7], v[22:23]
	ds_load_b128 v[156:159], v2 offset:1088
	v_fmac_f64_e32 v[172:173], v[166:167], v[16:17]
	v_fma_f64 v[164:165], v[164:165], v[16:17], -v[18:19]
	scratch_load_b128 v[16:19], off, off offset:464
	v_add_f64_e32 v[168:169], v[168:169], v[174:175]
	v_fmac_f64_e32 v[170:171], v[6:7], v[20:21]
	v_add_f64_e32 v[166:167], v[178:179], v[176:177]
	v_fma_f64 v[176:177], v[4:5], v[20:21], -v[22:23]
	ds_load_b128 v[4:7], v2 offset:1104
	s_wait_loadcnt_dscnt 0xa01
	v_mul_f64_e32 v[174:175], v[156:157], v[126:127]
	v_mul_f64_e32 v[126:127], v[158:159], v[126:127]
	scratch_load_b128 v[20:23], off, off offset:480
	v_add_f64_e32 v[168:169], v[168:169], v[172:173]
	s_wait_loadcnt_dscnt 0xa00
	v_mul_f64_e32 v[172:173], v[4:5], v[130:131]
	v_add_f64_e32 v[178:179], v[166:167], v[164:165]
	v_mul_f64_e32 v[130:131], v[6:7], v[130:131]
	ds_load_b128 v[164:167], v2 offset:1120
	v_fmac_f64_e32 v[174:175], v[158:159], v[124:125]
	v_fma_f64 v[156:157], v[156:157], v[124:125], -v[126:127]
	scratch_load_b128 v[124:127], off, off offset:496
	v_add_f64_e32 v[168:169], v[168:169], v[170:171]
	v_fmac_f64_e32 v[172:173], v[6:7], v[128:129]
	v_add_f64_e32 v[158:159], v[178:179], v[176:177]
	v_fma_f64 v[176:177], v[4:5], v[128:129], -v[130:131]
	ds_load_b128 v[4:7], v2 offset:1136
	s_wait_loadcnt_dscnt 0xa01
	v_mul_f64_e32 v[170:171], v[164:165], v[134:135]
	v_mul_f64_e32 v[134:135], v[166:167], v[134:135]
	scratch_load_b128 v[128:131], off, off offset:512
	v_add_f64_e32 v[168:169], v[168:169], v[174:175]
	s_wait_loadcnt_dscnt 0xa00
	v_mul_f64_e32 v[174:175], v[4:5], v[138:139]
	v_add_f64_e32 v[178:179], v[158:159], v[156:157]
	v_mul_f64_e32 v[138:139], v[6:7], v[138:139]
	ds_load_b128 v[156:159], v2 offset:1152
	v_fmac_f64_e32 v[170:171], v[166:167], v[132:133]
	v_fma_f64 v[164:165], v[164:165], v[132:133], -v[134:135]
	scratch_load_b128 v[132:135], off, off offset:528
	v_add_f64_e32 v[168:169], v[168:169], v[172:173]
	v_fmac_f64_e32 v[174:175], v[6:7], v[136:137]
	v_add_f64_e32 v[166:167], v[178:179], v[176:177]
	v_fma_f64 v[176:177], v[4:5], v[136:137], -v[138:139]
	ds_load_b128 v[4:7], v2 offset:1168
	s_wait_loadcnt_dscnt 0xa01
	v_mul_f64_e32 v[172:173], v[156:157], v[142:143]
	v_mul_f64_e32 v[142:143], v[158:159], v[142:143]
	scratch_load_b128 v[136:139], off, off offset:544
	v_add_f64_e32 v[168:169], v[168:169], v[170:171]
	s_wait_loadcnt_dscnt 0xa00
	v_mul_f64_e32 v[170:171], v[4:5], v[150:151]
	v_add_f64_e32 v[178:179], v[166:167], v[164:165]
	v_mul_f64_e32 v[150:151], v[6:7], v[150:151]
	ds_load_b128 v[164:167], v2 offset:1184
	v_fmac_f64_e32 v[172:173], v[158:159], v[140:141]
	v_fma_f64 v[156:157], v[156:157], v[140:141], -v[142:143]
	scratch_load_b128 v[140:143], off, off offset:560
	v_add_f64_e32 v[168:169], v[168:169], v[174:175]
	v_fmac_f64_e32 v[170:171], v[6:7], v[148:149]
	v_add_f64_e32 v[158:159], v[178:179], v[176:177]
	v_fma_f64 v[176:177], v[4:5], v[148:149], -v[150:151]
	ds_load_b128 v[4:7], v2 offset:1200
	s_wait_loadcnt_dscnt 0xa01
	v_mul_f64_e32 v[174:175], v[164:165], v[162:163]
	v_mul_f64_e32 v[162:163], v[166:167], v[162:163]
	scratch_load_b128 v[148:151], off, off offset:576
	v_add_f64_e32 v[168:169], v[168:169], v[172:173]
	s_wait_loadcnt_dscnt 0xa00
	v_mul_f64_e32 v[172:173], v[4:5], v[146:147]
	v_add_f64_e32 v[178:179], v[158:159], v[156:157]
	v_mul_f64_e32 v[146:147], v[6:7], v[146:147]
	ds_load_b128 v[156:159], v2 offset:1216
	v_fmac_f64_e32 v[174:175], v[166:167], v[160:161]
	v_fma_f64 v[164:165], v[164:165], v[160:161], -v[162:163]
	scratch_load_b128 v[160:163], off, off offset:592
	v_add_f64_e32 v[168:169], v[168:169], v[170:171]
	v_fmac_f64_e32 v[172:173], v[6:7], v[144:145]
	v_add_f64_e32 v[166:167], v[178:179], v[176:177]
	v_fma_f64 v[176:177], v[4:5], v[144:145], -v[146:147]
	ds_load_b128 v[4:7], v2 offset:1232
	s_wait_loadcnt_dscnt 0xa01
	v_mul_f64_e32 v[170:171], v[156:157], v[10:11]
	v_mul_f64_e32 v[10:11], v[158:159], v[10:11]
	scratch_load_b128 v[144:147], off, off offset:608
	v_add_f64_e32 v[168:169], v[168:169], v[174:175]
	s_wait_loadcnt_dscnt 0xa00
	v_mul_f64_e32 v[174:175], v[4:5], v[14:15]
	v_add_f64_e32 v[178:179], v[166:167], v[164:165]
	v_mul_f64_e32 v[14:15], v[6:7], v[14:15]
	ds_load_b128 v[164:167], v2 offset:1248
	v_fmac_f64_e32 v[170:171], v[158:159], v[8:9]
	v_fma_f64 v[156:157], v[156:157], v[8:9], -v[10:11]
	scratch_load_b128 v[8:11], off, off offset:624
	v_add_f64_e32 v[168:169], v[168:169], v[172:173]
	v_fmac_f64_e32 v[174:175], v[6:7], v[12:13]
	v_add_f64_e32 v[158:159], v[178:179], v[176:177]
	v_fma_f64 v[176:177], v[4:5], v[12:13], -v[14:15]
	ds_load_b128 v[4:7], v2 offset:1264
	s_wait_loadcnt_dscnt 0xa01
	v_mul_f64_e32 v[172:173], v[164:165], v[18:19]
	v_mul_f64_e32 v[18:19], v[166:167], v[18:19]
	scratch_load_b128 v[12:15], off, off offset:640
	v_add_f64_e32 v[168:169], v[168:169], v[170:171]
	s_wait_loadcnt_dscnt 0xa00
	v_mul_f64_e32 v[170:171], v[4:5], v[22:23]
	v_add_f64_e32 v[178:179], v[158:159], v[156:157]
	v_mul_f64_e32 v[22:23], v[6:7], v[22:23]
	ds_load_b128 v[156:159], v2 offset:1280
	v_fmac_f64_e32 v[172:173], v[166:167], v[16:17]
	v_fma_f64 v[164:165], v[164:165], v[16:17], -v[18:19]
	scratch_load_b128 v[16:19], off, off offset:656
	v_add_f64_e32 v[168:169], v[168:169], v[174:175]
	v_fmac_f64_e32 v[170:171], v[6:7], v[20:21]
	v_add_f64_e32 v[166:167], v[178:179], v[176:177]
	v_fma_f64 v[176:177], v[4:5], v[20:21], -v[22:23]
	ds_load_b128 v[4:7], v2 offset:1296
	s_wait_loadcnt_dscnt 0xa01
	v_mul_f64_e32 v[174:175], v[156:157], v[126:127]
	v_mul_f64_e32 v[126:127], v[158:159], v[126:127]
	scratch_load_b128 v[20:23], off, off offset:672
	v_add_f64_e32 v[168:169], v[168:169], v[172:173]
	s_wait_loadcnt_dscnt 0xa00
	v_mul_f64_e32 v[172:173], v[4:5], v[130:131]
	v_add_f64_e32 v[178:179], v[166:167], v[164:165]
	v_mul_f64_e32 v[130:131], v[6:7], v[130:131]
	ds_load_b128 v[164:167], v2 offset:1312
	v_fmac_f64_e32 v[174:175], v[158:159], v[124:125]
	v_fma_f64 v[156:157], v[156:157], v[124:125], -v[126:127]
	scratch_load_b128 v[124:127], off, off offset:688
	v_add_f64_e32 v[168:169], v[168:169], v[170:171]
	v_fmac_f64_e32 v[172:173], v[6:7], v[128:129]
	v_add_f64_e32 v[158:159], v[178:179], v[176:177]
	v_fma_f64 v[176:177], v[4:5], v[128:129], -v[130:131]
	ds_load_b128 v[4:7], v2 offset:1328
	s_wait_loadcnt_dscnt 0xa01
	v_mul_f64_e32 v[170:171], v[164:165], v[134:135]
	v_mul_f64_e32 v[134:135], v[166:167], v[134:135]
	scratch_load_b128 v[128:131], off, off offset:704
	v_add_f64_e32 v[168:169], v[168:169], v[174:175]
	s_wait_loadcnt_dscnt 0xa00
	v_mul_f64_e32 v[174:175], v[4:5], v[138:139]
	v_add_f64_e32 v[178:179], v[158:159], v[156:157]
	v_mul_f64_e32 v[138:139], v[6:7], v[138:139]
	ds_load_b128 v[156:159], v2 offset:1344
	v_fmac_f64_e32 v[170:171], v[166:167], v[132:133]
	v_fma_f64 v[164:165], v[164:165], v[132:133], -v[134:135]
	scratch_load_b128 v[132:135], off, off offset:720
	v_add_f64_e32 v[168:169], v[168:169], v[172:173]
	v_fmac_f64_e32 v[174:175], v[6:7], v[136:137]
	v_add_f64_e32 v[166:167], v[178:179], v[176:177]
	v_fma_f64 v[176:177], v[4:5], v[136:137], -v[138:139]
	ds_load_b128 v[4:7], v2 offset:1360
	s_wait_loadcnt_dscnt 0xa01
	v_mul_f64_e32 v[172:173], v[156:157], v[142:143]
	v_mul_f64_e32 v[142:143], v[158:159], v[142:143]
	scratch_load_b128 v[136:139], off, off offset:736
	v_add_f64_e32 v[168:169], v[168:169], v[170:171]
	s_wait_loadcnt_dscnt 0xa00
	v_mul_f64_e32 v[170:171], v[4:5], v[150:151]
	v_add_f64_e32 v[178:179], v[166:167], v[164:165]
	v_mul_f64_e32 v[150:151], v[6:7], v[150:151]
	ds_load_b128 v[164:167], v2 offset:1376
	v_fmac_f64_e32 v[172:173], v[158:159], v[140:141]
	v_fma_f64 v[156:157], v[156:157], v[140:141], -v[142:143]
	scratch_load_b128 v[140:143], off, off offset:752
	v_add_f64_e32 v[168:169], v[168:169], v[174:175]
	v_fmac_f64_e32 v[170:171], v[6:7], v[148:149]
	v_add_f64_e32 v[158:159], v[178:179], v[176:177]
	v_fma_f64 v[176:177], v[4:5], v[148:149], -v[150:151]
	ds_load_b128 v[4:7], v2 offset:1392
	s_wait_loadcnt_dscnt 0xa01
	v_mul_f64_e32 v[174:175], v[164:165], v[162:163]
	v_mul_f64_e32 v[162:163], v[166:167], v[162:163]
	scratch_load_b128 v[148:151], off, off offset:768
	v_add_f64_e32 v[168:169], v[168:169], v[172:173]
	s_wait_loadcnt_dscnt 0xa00
	v_mul_f64_e32 v[172:173], v[4:5], v[146:147]
	v_add_f64_e32 v[178:179], v[158:159], v[156:157]
	v_mul_f64_e32 v[146:147], v[6:7], v[146:147]
	ds_load_b128 v[156:159], v2 offset:1408
	v_fmac_f64_e32 v[174:175], v[166:167], v[160:161]
	v_fma_f64 v[160:161], v[164:165], v[160:161], -v[162:163]
	s_wait_loadcnt_dscnt 0x900
	v_mul_f64_e32 v[166:167], v[156:157], v[10:11]
	v_mul_f64_e32 v[10:11], v[158:159], v[10:11]
	v_add_f64_e32 v[164:165], v[168:169], v[170:171]
	v_fmac_f64_e32 v[172:173], v[6:7], v[144:145]
	v_add_f64_e32 v[162:163], v[178:179], v[176:177]
	v_fma_f64 v[168:169], v[4:5], v[144:145], -v[146:147]
	ds_load_b128 v[4:7], v2 offset:1424
	ds_load_b128 v[144:147], v2 offset:1440
	v_fmac_f64_e32 v[166:167], v[158:159], v[8:9]
	v_fma_f64 v[8:9], v[156:157], v[8:9], -v[10:11]
	v_add_f64_e32 v[160:161], v[162:163], v[160:161]
	v_add_f64_e32 v[162:163], v[164:165], v[174:175]
	s_wait_loadcnt_dscnt 0x801
	v_mul_f64_e32 v[164:165], v[4:5], v[14:15]
	v_mul_f64_e32 v[14:15], v[6:7], v[14:15]
	s_wait_loadcnt_dscnt 0x700
	v_mul_f64_e32 v[158:159], v[144:145], v[18:19]
	v_mul_f64_e32 v[18:19], v[146:147], v[18:19]
	v_add_f64_e32 v[10:11], v[160:161], v[168:169]
	v_add_f64_e32 v[156:157], v[162:163], v[172:173]
	v_fmac_f64_e32 v[164:165], v[6:7], v[12:13]
	v_fma_f64 v[12:13], v[4:5], v[12:13], -v[14:15]
	v_fmac_f64_e32 v[158:159], v[146:147], v[16:17]
	v_fma_f64 v[16:17], v[144:145], v[16:17], -v[18:19]
	v_add_f64_e32 v[14:15], v[10:11], v[8:9]
	v_add_f64_e32 v[156:157], v[156:157], v[166:167]
	ds_load_b128 v[4:7], v2 offset:1456
	ds_load_b128 v[8:11], v2 offset:1472
	s_wait_loadcnt_dscnt 0x601
	v_mul_f64_e32 v[160:161], v[4:5], v[22:23]
	v_mul_f64_e32 v[22:23], v[6:7], v[22:23]
	s_wait_loadcnt_dscnt 0x500
	v_mul_f64_e32 v[18:19], v[8:9], v[126:127]
	v_mul_f64_e32 v[126:127], v[10:11], v[126:127]
	v_add_f64_e32 v[12:13], v[14:15], v[12:13]
	v_add_f64_e32 v[14:15], v[156:157], v[164:165]
	v_fmac_f64_e32 v[160:161], v[6:7], v[20:21]
	v_fma_f64 v[20:21], v[4:5], v[20:21], -v[22:23]
	v_fmac_f64_e32 v[18:19], v[10:11], v[124:125]
	v_fma_f64 v[8:9], v[8:9], v[124:125], -v[126:127]
	v_add_f64_e32 v[16:17], v[12:13], v[16:17]
	v_add_f64_e32 v[22:23], v[14:15], v[158:159]
	ds_load_b128 v[4:7], v2 offset:1488
	ds_load_b128 v[12:15], v2 offset:1504
	s_wait_loadcnt_dscnt 0x401
	v_mul_f64_e32 v[144:145], v[4:5], v[130:131]
	v_mul_f64_e32 v[130:131], v[6:7], v[130:131]
	v_add_f64_e32 v[10:11], v[16:17], v[20:21]
	v_add_f64_e32 v[16:17], v[22:23], v[160:161]
	s_wait_loadcnt_dscnt 0x300
	v_mul_f64_e32 v[20:21], v[12:13], v[134:135]
	v_mul_f64_e32 v[22:23], v[14:15], v[134:135]
	v_fmac_f64_e32 v[144:145], v[6:7], v[128:129]
	v_fma_f64 v[124:125], v[4:5], v[128:129], -v[130:131]
	v_add_f64_e32 v[126:127], v[10:11], v[8:9]
	v_add_f64_e32 v[16:17], v[16:17], v[18:19]
	ds_load_b128 v[4:7], v2 offset:1520
	ds_load_b128 v[8:11], v2 offset:1536
	v_fmac_f64_e32 v[20:21], v[14:15], v[132:133]
	v_fma_f64 v[12:13], v[12:13], v[132:133], -v[22:23]
	s_wait_loadcnt_dscnt 0x201
	v_mul_f64_e32 v[18:19], v[4:5], v[138:139]
	v_mul_f64_e32 v[128:129], v[6:7], v[138:139]
	s_wait_loadcnt_dscnt 0x100
	v_mul_f64_e32 v[22:23], v[8:9], v[142:143]
	v_add_f64_e32 v[14:15], v[126:127], v[124:125]
	v_add_f64_e32 v[16:17], v[16:17], v[144:145]
	v_mul_f64_e32 v[124:125], v[10:11], v[142:143]
	v_fmac_f64_e32 v[18:19], v[6:7], v[136:137]
	v_fma_f64 v[126:127], v[4:5], v[136:137], -v[128:129]
	ds_load_b128 v[4:7], v2 offset:1552
	v_fmac_f64_e32 v[22:23], v[10:11], v[140:141]
	v_add_f64_e32 v[12:13], v[14:15], v[12:13]
	v_add_f64_e32 v[14:15], v[16:17], v[20:21]
	v_fma_f64 v[8:9], v[8:9], v[140:141], -v[124:125]
	s_wait_loadcnt_dscnt 0x0
	v_mul_f64_e32 v[16:17], v[4:5], v[150:151]
	v_mul_f64_e32 v[20:21], v[6:7], v[150:151]
	v_add_f64_e32 v[10:11], v[12:13], v[126:127]
	v_add_f64_e32 v[12:13], v[14:15], v[18:19]
	s_delay_alu instid0(VALU_DEP_4) | instskip(NEXT) | instid1(VALU_DEP_4)
	v_fmac_f64_e32 v[16:17], v[6:7], v[148:149]
	v_fma_f64 v[4:5], v[4:5], v[148:149], -v[20:21]
	s_delay_alu instid0(VALU_DEP_4) | instskip(NEXT) | instid1(VALU_DEP_4)
	v_add_f64_e32 v[6:7], v[10:11], v[8:9]
	v_add_f64_e32 v[8:9], v[12:13], v[22:23]
	s_delay_alu instid0(VALU_DEP_2) | instskip(NEXT) | instid1(VALU_DEP_2)
	v_add_f64_e32 v[4:5], v[6:7], v[4:5]
	v_add_f64_e32 v[6:7], v[8:9], v[16:17]
	s_delay_alu instid0(VALU_DEP_2) | instskip(NEXT) | instid1(VALU_DEP_2)
	v_add_f64_e64 v[4:5], v[152:153], -v[4:5]
	v_add_f64_e64 v[6:7], v[154:155], -v[6:7]
	scratch_store_b128 off, v[4:7], off offset:16
	s_wait_xcnt 0x0
	v_cmpx_ne_u32_e32 0, v1
	s_cbranch_execz .LBB48_307
; %bb.306:
	scratch_load_b128 v[6:9], off, off
	v_dual_mov_b32 v3, v2 :: v_dual_mov_b32 v4, v2
	v_mov_b32_e32 v5, v2
	scratch_store_b128 off, v[2:5], off
	s_wait_loadcnt 0x0
	ds_store_b128 v122, v[6:9]
.LBB48_307:
	s_wait_xcnt 0x0
	s_or_b32 exec_lo, exec_lo, s2
	s_wait_storecnt_dscnt 0x0
	s_barrier_signal -1
	s_barrier_wait -1
	s_clause 0x9
	scratch_load_b128 v[4:7], off, off offset:16
	scratch_load_b128 v[8:11], off, off offset:32
	;; [unrolled: 1-line block ×10, first 2 shown]
	ds_load_b128 v[142:145], v2 offset:800
	ds_load_b128 v[150:153], v2 offset:816
	s_clause 0x2
	scratch_load_b128 v[146:149], off, off offset:176
	scratch_load_b128 v[154:157], off, off
	scratch_load_b128 v[158:161], off, off offset:192
	s_and_b32 vcc_lo, exec_lo, s61
	s_wait_loadcnt_dscnt 0xc01
	v_mul_f64_e32 v[162:163], v[144:145], v[6:7]
	v_mul_f64_e32 v[166:167], v[142:143], v[6:7]
	s_wait_loadcnt_dscnt 0xb00
	v_mul_f64_e32 v[168:169], v[150:151], v[10:11]
	v_mul_f64_e32 v[10:11], v[152:153], v[10:11]
	s_delay_alu instid0(VALU_DEP_4) | instskip(NEXT) | instid1(VALU_DEP_4)
	v_fma_f64 v[170:171], v[142:143], v[4:5], -v[162:163]
	v_fmac_f64_e32 v[166:167], v[144:145], v[4:5]
	ds_load_b128 v[4:7], v2 offset:832
	ds_load_b128 v[142:145], v2 offset:848
	scratch_load_b128 v[162:165], off, off offset:208
	v_fmac_f64_e32 v[168:169], v[152:153], v[8:9]
	v_fma_f64 v[150:151], v[150:151], v[8:9], -v[10:11]
	scratch_load_b128 v[8:11], off, off offset:224
	s_wait_loadcnt_dscnt 0xc01
	v_mul_f64_e32 v[172:173], v[4:5], v[14:15]
	v_mul_f64_e32 v[14:15], v[6:7], v[14:15]
	v_add_f64_e32 v[152:153], 0, v[170:171]
	v_add_f64_e32 v[166:167], 0, v[166:167]
	s_wait_loadcnt_dscnt 0xb00
	v_mul_f64_e32 v[170:171], v[142:143], v[18:19]
	v_mul_f64_e32 v[18:19], v[144:145], v[18:19]
	v_fmac_f64_e32 v[172:173], v[6:7], v[12:13]
	v_fma_f64 v[174:175], v[4:5], v[12:13], -v[14:15]
	ds_load_b128 v[4:7], v2 offset:864
	ds_load_b128 v[12:15], v2 offset:880
	v_add_f64_e32 v[176:177], v[152:153], v[150:151]
	v_add_f64_e32 v[166:167], v[166:167], v[168:169]
	scratch_load_b128 v[150:153], off, off offset:240
	v_fmac_f64_e32 v[170:171], v[144:145], v[16:17]
	v_fma_f64 v[142:143], v[142:143], v[16:17], -v[18:19]
	scratch_load_b128 v[16:19], off, off offset:256
	s_wait_loadcnt_dscnt 0xc01
	v_mul_f64_e32 v[168:169], v[4:5], v[22:23]
	v_mul_f64_e32 v[22:23], v[6:7], v[22:23]
	v_add_f64_e32 v[144:145], v[176:177], v[174:175]
	v_add_f64_e32 v[166:167], v[166:167], v[172:173]
	s_wait_loadcnt_dscnt 0xb00
	v_mul_f64_e32 v[172:173], v[12:13], v[124:125]
	v_mul_f64_e32 v[124:125], v[14:15], v[124:125]
	v_fmac_f64_e32 v[168:169], v[6:7], v[20:21]
	v_fma_f64 v[174:175], v[4:5], v[20:21], -v[22:23]
	ds_load_b128 v[4:7], v2 offset:896
	ds_load_b128 v[20:23], v2 offset:912
	v_add_f64_e32 v[176:177], v[144:145], v[142:143]
	v_add_f64_e32 v[166:167], v[166:167], v[170:171]
	scratch_load_b128 v[142:145], off, off offset:272
	s_wait_loadcnt_dscnt 0xb01
	v_mul_f64_e32 v[170:171], v[4:5], v[128:129]
	v_mul_f64_e32 v[128:129], v[6:7], v[128:129]
	v_fmac_f64_e32 v[172:173], v[14:15], v[122:123]
	v_fma_f64 v[122:123], v[12:13], v[122:123], -v[124:125]
	scratch_load_b128 v[12:15], off, off offset:288
	v_add_f64_e32 v[124:125], v[176:177], v[174:175]
	v_add_f64_e32 v[166:167], v[166:167], v[168:169]
	s_wait_loadcnt_dscnt 0xb00
	v_mul_f64_e32 v[168:169], v[20:21], v[132:133]
	v_mul_f64_e32 v[132:133], v[22:23], v[132:133]
	v_fmac_f64_e32 v[170:171], v[6:7], v[126:127]
	v_fma_f64 v[174:175], v[4:5], v[126:127], -v[128:129]
	v_add_f64_e32 v[176:177], v[124:125], v[122:123]
	v_add_f64_e32 v[166:167], v[166:167], v[172:173]
	ds_load_b128 v[4:7], v2 offset:928
	ds_load_b128 v[122:125], v2 offset:944
	scratch_load_b128 v[126:129], off, off offset:304
	v_fmac_f64_e32 v[168:169], v[22:23], v[130:131]
	v_fma_f64 v[130:131], v[20:21], v[130:131], -v[132:133]
	scratch_load_b128 v[20:23], off, off offset:320
	s_wait_loadcnt_dscnt 0xc01
	v_mul_f64_e32 v[172:173], v[4:5], v[136:137]
	v_mul_f64_e32 v[136:137], v[6:7], v[136:137]
	v_add_f64_e32 v[132:133], v[176:177], v[174:175]
	v_add_f64_e32 v[166:167], v[166:167], v[170:171]
	s_wait_loadcnt_dscnt 0xb00
	v_mul_f64_e32 v[170:171], v[122:123], v[140:141]
	v_mul_f64_e32 v[140:141], v[124:125], v[140:141]
	v_fmac_f64_e32 v[172:173], v[6:7], v[134:135]
	v_fma_f64 v[174:175], v[4:5], v[134:135], -v[136:137]
	v_add_f64_e32 v[176:177], v[132:133], v[130:131]
	v_add_f64_e32 v[166:167], v[166:167], v[168:169]
	ds_load_b128 v[4:7], v2 offset:960
	ds_load_b128 v[130:133], v2 offset:976
	scratch_load_b128 v[134:137], off, off offset:336
	v_fmac_f64_e32 v[170:171], v[124:125], v[138:139]
	v_fma_f64 v[138:139], v[122:123], v[138:139], -v[140:141]
	scratch_load_b128 v[122:125], off, off offset:352
	s_wait_loadcnt_dscnt 0xc01
	v_mul_f64_e32 v[168:169], v[4:5], v[148:149]
	v_mul_f64_e32 v[148:149], v[6:7], v[148:149]
	;; [unrolled: 18-line block ×5, first 2 shown]
	v_add_f64_e32 v[160:161], v[176:177], v[174:175]
	v_add_f64_e32 v[166:167], v[166:167], v[172:173]
	s_wait_loadcnt_dscnt 0xa00
	v_mul_f64_e32 v[172:173], v[138:139], v[14:15]
	v_mul_f64_e32 v[14:15], v[140:141], v[14:15]
	v_fmac_f64_e32 v[168:169], v[6:7], v[142:143]
	v_fma_f64 v[174:175], v[4:5], v[142:143], -v[144:145]
	ds_load_b128 v[4:7], v2 offset:1088
	ds_load_b128 v[142:145], v2 offset:1104
	v_add_f64_e32 v[176:177], v[160:161], v[158:159]
	v_add_f64_e32 v[166:167], v[166:167], v[170:171]
	scratch_load_b128 v[158:161], off, off offset:464
	v_fmac_f64_e32 v[172:173], v[140:141], v[12:13]
	v_fma_f64 v[138:139], v[138:139], v[12:13], -v[14:15]
	scratch_load_b128 v[12:15], off, off offset:480
	s_wait_loadcnt_dscnt 0xb01
	v_mul_f64_e32 v[170:171], v[4:5], v[128:129]
	v_mul_f64_e32 v[128:129], v[6:7], v[128:129]
	v_add_f64_e32 v[140:141], v[176:177], v[174:175]
	v_add_f64_e32 v[166:167], v[166:167], v[168:169]
	s_wait_loadcnt_dscnt 0xa00
	v_mul_f64_e32 v[168:169], v[142:143], v[22:23]
	v_mul_f64_e32 v[22:23], v[144:145], v[22:23]
	v_fmac_f64_e32 v[170:171], v[6:7], v[126:127]
	v_fma_f64 v[174:175], v[4:5], v[126:127], -v[128:129]
	ds_load_b128 v[4:7], v2 offset:1120
	ds_load_b128 v[126:129], v2 offset:1136
	v_add_f64_e32 v[176:177], v[140:141], v[138:139]
	v_add_f64_e32 v[166:167], v[166:167], v[172:173]
	scratch_load_b128 v[138:141], off, off offset:496
	s_wait_loadcnt_dscnt 0xa01
	v_mul_f64_e32 v[172:173], v[4:5], v[136:137]
	v_mul_f64_e32 v[136:137], v[6:7], v[136:137]
	v_fmac_f64_e32 v[168:169], v[144:145], v[20:21]
	v_fma_f64 v[142:143], v[142:143], v[20:21], -v[22:23]
	scratch_load_b128 v[20:23], off, off offset:512
	v_add_f64_e32 v[144:145], v[176:177], v[174:175]
	v_add_f64_e32 v[166:167], v[166:167], v[170:171]
	s_wait_loadcnt_dscnt 0xa00
	v_mul_f64_e32 v[170:171], v[126:127], v[124:125]
	v_mul_f64_e32 v[124:125], v[128:129], v[124:125]
	v_fmac_f64_e32 v[172:173], v[6:7], v[134:135]
	v_fma_f64 v[174:175], v[4:5], v[134:135], -v[136:137]
	ds_load_b128 v[4:7], v2 offset:1152
	ds_load_b128 v[134:137], v2 offset:1168
	v_add_f64_e32 v[176:177], v[144:145], v[142:143]
	v_add_f64_e32 v[166:167], v[166:167], v[168:169]
	scratch_load_b128 v[142:145], off, off offset:528
	s_wait_loadcnt_dscnt 0xa01
	v_mul_f64_e32 v[168:169], v[4:5], v[148:149]
	v_mul_f64_e32 v[148:149], v[6:7], v[148:149]
	v_fmac_f64_e32 v[170:171], v[128:129], v[122:123]
	v_fma_f64 v[126:127], v[126:127], v[122:123], -v[124:125]
	scratch_load_b128 v[122:125], off, off offset:544
	v_add_f64_e32 v[128:129], v[176:177], v[174:175]
	v_add_f64_e32 v[166:167], v[166:167], v[172:173]
	s_wait_loadcnt_dscnt 0xa00
	v_mul_f64_e32 v[172:173], v[134:135], v[132:133]
	v_mul_f64_e32 v[132:133], v[136:137], v[132:133]
	v_fmac_f64_e32 v[168:169], v[6:7], v[146:147]
	v_fma_f64 v[174:175], v[4:5], v[146:147], -v[148:149]
	v_add_f64_e32 v[176:177], v[128:129], v[126:127]
	v_add_f64_e32 v[166:167], v[166:167], v[170:171]
	ds_load_b128 v[4:7], v2 offset:1184
	ds_load_b128 v[126:129], v2 offset:1200
	scratch_load_b128 v[146:149], off, off offset:560
	v_fmac_f64_e32 v[172:173], v[136:137], v[130:131]
	v_fma_f64 v[134:135], v[134:135], v[130:131], -v[132:133]
	scratch_load_b128 v[130:133], off, off offset:576
	s_wait_loadcnt_dscnt 0xb01
	v_mul_f64_e32 v[170:171], v[4:5], v[164:165]
	v_mul_f64_e32 v[164:165], v[6:7], v[164:165]
	v_add_f64_e32 v[136:137], v[176:177], v[174:175]
	v_add_f64_e32 v[166:167], v[166:167], v[168:169]
	s_wait_loadcnt_dscnt 0xa00
	v_mul_f64_e32 v[168:169], v[126:127], v[10:11]
	v_mul_f64_e32 v[10:11], v[128:129], v[10:11]
	v_fmac_f64_e32 v[170:171], v[6:7], v[162:163]
	v_fma_f64 v[174:175], v[4:5], v[162:163], -v[164:165]
	v_add_f64_e32 v[176:177], v[136:137], v[134:135]
	v_add_f64_e32 v[166:167], v[166:167], v[172:173]
	ds_load_b128 v[4:7], v2 offset:1216
	ds_load_b128 v[134:137], v2 offset:1232
	scratch_load_b128 v[162:165], off, off offset:592
	v_fmac_f64_e32 v[168:169], v[128:129], v[8:9]
	v_fma_f64 v[126:127], v[126:127], v[8:9], -v[10:11]
	scratch_load_b128 v[8:11], off, off offset:608
	s_wait_loadcnt_dscnt 0xb01
	v_mul_f64_e32 v[172:173], v[4:5], v[152:153]
	v_mul_f64_e32 v[152:153], v[6:7], v[152:153]
	;; [unrolled: 18-line block ×7, first 2 shown]
	v_add_f64_e32 v[136:137], v[176:177], v[174:175]
	v_add_f64_e32 v[166:167], v[166:167], v[168:169]
	s_wait_loadcnt_dscnt 0xa00
	v_mul_f64_e32 v[168:169], v[126:127], v[10:11]
	v_mul_f64_e32 v[10:11], v[128:129], v[10:11]
	v_fmac_f64_e32 v[170:171], v[6:7], v[162:163]
	v_fma_f64 v[162:163], v[4:5], v[162:163], -v[164:165]
	v_add_f64_e32 v[164:165], v[136:137], v[134:135]
	v_add_f64_e32 v[166:167], v[166:167], v[172:173]
	ds_load_b128 v[4:7], v2 offset:1408
	ds_load_b128 v[134:137], v2 offset:1424
	v_fmac_f64_e32 v[168:169], v[128:129], v[8:9]
	v_fma_f64 v[8:9], v[126:127], v[8:9], -v[10:11]
	s_wait_loadcnt_dscnt 0x901
	v_mul_f64_e32 v[172:173], v[4:5], v[152:153]
	v_mul_f64_e32 v[152:153], v[6:7], v[152:153]
	s_wait_loadcnt_dscnt 0x800
	v_mul_f64_e32 v[128:129], v[134:135], v[18:19]
	v_mul_f64_e32 v[18:19], v[136:137], v[18:19]
	v_add_f64_e32 v[10:11], v[164:165], v[162:163]
	v_add_f64_e32 v[126:127], v[166:167], v[170:171]
	v_fmac_f64_e32 v[172:173], v[6:7], v[150:151]
	v_fma_f64 v[150:151], v[4:5], v[150:151], -v[152:153]
	v_fmac_f64_e32 v[128:129], v[136:137], v[16:17]
	v_fma_f64 v[16:17], v[134:135], v[16:17], -v[18:19]
	v_add_f64_e32 v[152:153], v[10:11], v[8:9]
	v_add_f64_e32 v[126:127], v[126:127], v[168:169]
	ds_load_b128 v[4:7], v2 offset:1440
	ds_load_b128 v[8:11], v2 offset:1456
	s_wait_loadcnt_dscnt 0x701
	v_mul_f64_e32 v[162:163], v[4:5], v[160:161]
	v_mul_f64_e32 v[160:161], v[6:7], v[160:161]
	s_wait_loadcnt_dscnt 0x600
	v_mul_f64_e32 v[134:135], v[8:9], v[14:15]
	v_mul_f64_e32 v[136:137], v[10:11], v[14:15]
	v_add_f64_e32 v[18:19], v[152:153], v[150:151]
	v_add_f64_e32 v[126:127], v[126:127], v[172:173]
	v_fmac_f64_e32 v[162:163], v[6:7], v[158:159]
	v_fma_f64 v[150:151], v[4:5], v[158:159], -v[160:161]
	v_fmac_f64_e32 v[134:135], v[10:11], v[12:13]
	v_fma_f64 v[8:9], v[8:9], v[12:13], -v[136:137]
	v_add_f64_e32 v[18:19], v[18:19], v[16:17]
	v_add_f64_e32 v[126:127], v[126:127], v[128:129]
	ds_load_b128 v[4:7], v2 offset:1472
	ds_load_b128 v[14:17], v2 offset:1488
	s_wait_loadcnt_dscnt 0x501
	v_mul_f64_e32 v[128:129], v[4:5], v[140:141]
	v_mul_f64_e32 v[140:141], v[6:7], v[140:141]
	v_add_f64_e32 v[10:11], v[18:19], v[150:151]
	v_add_f64_e32 v[12:13], v[126:127], v[162:163]
	s_wait_loadcnt_dscnt 0x400
	v_mul_f64_e32 v[18:19], v[14:15], v[22:23]
	v_mul_f64_e32 v[22:23], v[16:17], v[22:23]
	v_lshl_add_u64 v[150:151], v[28:29], 4, s[4:5]
	v_lshl_add_u64 v[28:29], v[80:81], 4, s[4:5]
	v_fmac_f64_e32 v[128:129], v[6:7], v[138:139]
	v_fma_f64 v[126:127], v[4:5], v[138:139], -v[140:141]
	v_lshl_add_u64 v[140:141], v[40:41], 4, s[4:5]
	v_lshl_add_u64 v[40:41], v[92:93], 4, s[4:5]
	v_add_f64_e32 v[136:137], v[10:11], v[8:9]
	v_add_f64_e32 v[12:13], v[12:13], v[134:135]
	ds_load_b128 v[4:7], v2 offset:1504
	ds_load_b128 v[8:11], v2 offset:1520
	v_fmac_f64_e32 v[18:19], v[16:17], v[20:21]
	v_fma_f64 v[14:15], v[14:15], v[20:21], -v[22:23]
	s_wait_loadcnt_dscnt 0x301
	v_mul_f64_e32 v[134:135], v[4:5], v[144:145]
	v_mul_f64_e32 v[138:139], v[6:7], v[144:145]
	s_wait_loadcnt_dscnt 0x200
	v_mul_f64_e32 v[20:21], v[8:9], v[124:125]
	v_mul_f64_e32 v[22:23], v[10:11], v[124:125]
	v_lshl_add_u64 v[144:145], v[34:35], 4, s[4:5]
	v_lshl_add_u64 v[34:35], v[86:87], 4, s[4:5]
	v_add_f64_e32 v[16:17], v[136:137], v[126:127]
	v_add_f64_e32 v[12:13], v[12:13], v[128:129]
	v_lshl_add_u64 v[136:137], v[42:43], 4, s[4:5]
	v_lshl_add_u64 v[128:129], v[50:51], 4, s[4:5]
	;; [unrolled: 1-line block ×4, first 2 shown]
	v_fmac_f64_e32 v[134:135], v[6:7], v[142:143]
	v_fma_f64 v[124:125], v[4:5], v[142:143], -v[138:139]
	v_fmac_f64_e32 v[20:21], v[10:11], v[122:123]
	v_fma_f64 v[8:9], v[8:9], v[122:123], -v[22:23]
	v_lshl_add_u64 v[142:143], v[36:37], 4, s[4:5]
	v_lshl_add_u64 v[138:139], v[38:39], 4, s[4:5]
	;; [unrolled: 1-line block ×6, first 2 shown]
	v_add_f64_e32 v[16:17], v[16:17], v[14:15]
	v_add_f64_e32 v[18:19], v[12:13], v[18:19]
	ds_load_b128 v[4:7], v2 offset:1536
	ds_load_b128 v[12:15], v2 offset:1552
	s_wait_loadcnt_dscnt 0x101
	v_mul_f64_e32 v[2:3], v[4:5], v[148:149]
	v_mul_f64_e32 v[126:127], v[6:7], v[148:149]
	s_wait_loadcnt_dscnt 0x0
	v_mul_f64_e32 v[22:23], v[14:15], v[132:133]
	v_lshl_add_u64 v[148:149], v[32:33], 4, s[4:5]
	v_lshl_add_u64 v[32:33], v[84:85], 4, s[4:5]
	v_add_f64_e32 v[10:11], v[16:17], v[124:125]
	v_add_f64_e32 v[16:17], v[18:19], v[134:135]
	v_mul_f64_e32 v[18:19], v[12:13], v[132:133]
	v_lshl_add_u64 v[134:135], v[44:45], 4, s[4:5]
	v_lshl_add_u64 v[132:133], v[48:49], 4, s[4:5]
	;; [unrolled: 1-line block ×6, first 2 shown]
	v_fmac_f64_e32 v[2:3], v[6:7], v[146:147]
	v_fma_f64 v[4:5], v[4:5], v[146:147], -v[126:127]
	v_lshl_add_u64 v[146:147], v[30:31], 4, s[4:5]
	v_lshl_add_u64 v[126:127], v[52:53], 4, s[4:5]
	v_lshl_add_u64 v[30:31], v[82:83], 4, s[4:5]
	v_lshl_add_u64 v[52:53], v[104:105], 4, s[4:5]
	v_add_f64_e32 v[6:7], v[10:11], v[8:9]
	v_add_f64_e32 v[8:9], v[16:17], v[20:21]
	v_fmac_f64_e32 v[18:19], v[14:15], v[130:131]
	v_fma_f64 v[10:11], v[12:13], v[130:131], -v[22:23]
	v_lshl_add_u64 v[130:131], v[46:47], 4, s[4:5]
	v_lshl_add_u64 v[12:13], v[68:69], 4, s[4:5]
	;; [unrolled: 1-line block ×8, first 2 shown]
	v_add_f64_e32 v[4:5], v[6:7], v[4:5]
	v_add_f64_e32 v[2:3], v[8:9], v[2:3]
	s_delay_alu instid0(VALU_DEP_2) | instskip(NEXT) | instid1(VALU_DEP_2)
	v_add_f64_e32 v[6:7], v[4:5], v[10:11]
	v_add_f64_e32 v[8:9], v[2:3], v[18:19]
	v_lshl_add_u64 v[4:5], v[58:59], 4, s[4:5]
	v_lshl_add_u64 v[2:3], v[60:61], 4, s[4:5]
	;; [unrolled: 1-line block ×7, first 2 shown]
	v_add_f64_e64 v[152:153], v[154:155], -v[6:7]
	v_add_f64_e64 v[154:155], v[156:157], -v[8:9]
	v_lshl_add_u64 v[6:7], v[62:63], 4, s[4:5]
	v_lshl_add_u64 v[8:9], v[64:65], 4, s[4:5]
	;; [unrolled: 1-line block ×4, first 2 shown]
	scratch_store_b128 off, v[152:155], off
	s_cbranch_vccz .LBB48_404
; %bb.308:
	v_mov_b32_e32 v70, 0
	s_load_b64 s[2:3], s[0:1], 0x4
	v_bfe_u32 v72, v0, 10, 10
	v_bfe_u32 v0, v0, 20, 10
	global_load_b32 v71, v70, s[16:17] offset:188
	s_wait_kmcnt 0x0
	s_lshr_b32 s0, s2, 16
	v_mul_u32_u24_e32 v72, s3, v72
	s_mul_i32 s0, s0, s3
	s_delay_alu instid0(SALU_CYCLE_1) | instskip(NEXT) | instid1(VALU_DEP_1)
	v_mul_u32_u24_e32 v1, s0, v1
	v_add3_u32 v0, v1, v72, v0
	s_delay_alu instid0(VALU_DEP_1)
	v_lshl_add_u32 v0, v0, 4, 0x628
	s_wait_loadcnt 0x0
	v_cmp_ne_u32_e32 vcc_lo, 48, v71
	s_cbranch_vccz .LBB48_310
; %bb.309:
	v_lshlrev_b32_e32 v1, 4, v71
	s_clause 0x1
	scratch_load_b128 v[72:75], off, s15
	scratch_load_b128 v[76:79], v1, off offset:-16
	s_wait_loadcnt 0x1
	ds_store_2addr_b64 v0, v[72:73], v[74:75] offset1:1
	s_wait_loadcnt 0x0
	s_clause 0x1
	scratch_store_b128 off, v[76:79], s15
	scratch_store_b128 v1, v[72:75], off offset:-16
.LBB48_310:
	global_load_b32 v1, v70, s[16:17] offset:184
	s_wait_loadcnt 0x0
	v_cmp_eq_u32_e32 vcc_lo, 47, v1
	s_cbranch_vccnz .LBB48_312
; %bb.311:
	v_lshlrev_b32_e32 v1, 4, v1
	s_clause 0x1
	scratch_load_b128 v[70:73], off, s23
	scratch_load_b128 v[74:77], v1, off offset:-16
	s_wait_loadcnt 0x1
	ds_store_2addr_b64 v0, v[70:71], v[72:73] offset1:1
	s_wait_loadcnt 0x0
	s_clause 0x1
	scratch_store_b128 off, v[74:77], s23
	scratch_store_b128 v1, v[70:73], off offset:-16
.LBB48_312:
	s_wait_xcnt 0x0
	v_mov_b32_e32 v1, 0
	global_load_b32 v70, v1, s[16:17] offset:180
	s_wait_loadcnt 0x0
	v_cmp_eq_u32_e32 vcc_lo, 46, v70
	s_cbranch_vccnz .LBB48_314
; %bb.313:
	v_lshlrev_b32_e32 v70, 4, v70
	s_delay_alu instid0(VALU_DEP_1)
	v_mov_b32_e32 v78, v70
	s_clause 0x1
	scratch_load_b128 v[70:73], off, s8
	scratch_load_b128 v[74:77], v78, off offset:-16
	s_wait_loadcnt 0x1
	ds_store_2addr_b64 v0, v[70:71], v[72:73] offset1:1
	s_wait_loadcnt 0x0
	s_clause 0x1
	scratch_store_b128 off, v[74:77], s8
	scratch_store_b128 v78, v[70:73], off offset:-16
.LBB48_314:
	global_load_b32 v1, v1, s[16:17] offset:176
	s_wait_loadcnt 0x0
	v_cmp_eq_u32_e32 vcc_lo, 45, v1
	s_cbranch_vccnz .LBB48_316
; %bb.315:
	s_wait_xcnt 0x0
	v_lshlrev_b32_e32 v1, 4, v1
	s_clause 0x1
	scratch_load_b128 v[70:73], off, s10
	scratch_load_b128 v[74:77], v1, off offset:-16
	s_wait_loadcnt 0x1
	ds_store_2addr_b64 v0, v[70:71], v[72:73] offset1:1
	s_wait_loadcnt 0x0
	s_clause 0x1
	scratch_store_b128 off, v[74:77], s10
	scratch_store_b128 v1, v[70:73], off offset:-16
.LBB48_316:
	s_wait_xcnt 0x0
	v_mov_b32_e32 v1, 0
	global_load_b32 v70, v1, s[16:17] offset:172
	s_wait_loadcnt 0x0
	v_cmp_eq_u32_e32 vcc_lo, 44, v70
	s_cbranch_vccnz .LBB48_318
; %bb.317:
	v_lshlrev_b32_e32 v70, 4, v70
	s_delay_alu instid0(VALU_DEP_1)
	v_mov_b32_e32 v78, v70
	s_clause 0x1
	scratch_load_b128 v[70:73], off, s9
	scratch_load_b128 v[74:77], v78, off offset:-16
	s_wait_loadcnt 0x1
	ds_store_2addr_b64 v0, v[70:71], v[72:73] offset1:1
	s_wait_loadcnt 0x0
	s_clause 0x1
	scratch_store_b128 off, v[74:77], s9
	scratch_store_b128 v78, v[70:73], off offset:-16
.LBB48_318:
	global_load_b32 v1, v1, s[16:17] offset:168
	s_wait_loadcnt 0x0
	v_cmp_eq_u32_e32 vcc_lo, 43, v1
	s_cbranch_vccnz .LBB48_320
; %bb.319:
	s_wait_xcnt 0x0
	v_lshlrev_b32_e32 v1, 4, v1
	s_clause 0x1
	scratch_load_b128 v[70:73], off, s12
	scratch_load_b128 v[74:77], v1, off offset:-16
	s_wait_loadcnt 0x1
	ds_store_2addr_b64 v0, v[70:71], v[72:73] offset1:1
	s_wait_loadcnt 0x0
	s_clause 0x1
	scratch_store_b128 off, v[74:77], s12
	scratch_store_b128 v1, v[70:73], off offset:-16
.LBB48_320:
	;; [unrolled: 37-line block ×22, first 2 shown]
	s_wait_xcnt 0x0
	v_mov_b32_e32 v1, 0
	global_load_b32 v70, v1, s[16:17] offset:4
	s_wait_loadcnt 0x0
	v_cmp_eq_u32_e32 vcc_lo, 2, v70
	s_cbranch_vccnz .LBB48_402
; %bb.401:
	v_lshlrev_b32_e32 v70, 4, v70
	s_delay_alu instid0(VALU_DEP_1)
	v_mov_b32_e32 v78, v70
	s_clause 0x1
	scratch_load_b128 v[70:73], off, s46
	scratch_load_b128 v[74:77], v78, off offset:-16
	s_wait_loadcnt 0x1
	ds_store_2addr_b64 v0, v[70:71], v[72:73] offset1:1
	s_wait_loadcnt 0x0
	s_clause 0x1
	scratch_store_b128 off, v[74:77], s46
	scratch_store_b128 v78, v[70:73], off offset:-16
.LBB48_402:
	global_load_b32 v1, v1, s[16:17]
	s_wait_loadcnt 0x0
	v_cmp_eq_u32_e32 vcc_lo, 1, v1
	s_cbranch_vccnz .LBB48_404
; %bb.403:
	s_wait_xcnt 0x0
	v_lshlrev_b32_e32 v1, 4, v1
	scratch_load_b128 v[70:73], off, off
	scratch_load_b128 v[74:77], v1, off offset:-16
	s_wait_loadcnt 0x1
	ds_store_2addr_b64 v0, v[70:71], v[72:73] offset1:1
	s_wait_loadcnt 0x0
	scratch_store_b128 off, v[74:77], off
	scratch_store_b128 v1, v[70:73], off offset:-16
.LBB48_404:
	scratch_load_b128 v[70:73], off, off
	s_clause 0x13
	scratch_load_b128 v[74:77], off, s46
	scratch_load_b128 v[78:81], off, s39
	;; [unrolled: 1-line block ×15, first 2 shown]
	; meta instruction
	; meta instruction
	;; [unrolled: 1-line block ×15, first 2 shown]
	scratch_load_b128 v[164:167], off, s44
	scratch_load_b128 v[168:171], off, s45
	;; [unrolled: 1-line block ×5, first 2 shown]
	s_wait_loadcnt 0x14
	global_store_b128 v[24:25], v[70:73], off
	s_clause 0x1
	scratch_load_b128 v[70:73], off, s40
	scratch_load_b128 v[184:187], off, s42
	s_wait_loadcnt 0x15
	global_store_b128 v[26:27], v[74:77], off
	s_clause 0x1
	scratch_load_b128 v[24:27], off, s37
	scratch_load_b128 v[74:77], off, s38
	s_wait_loadcnt 0x16
	global_store_b128 v[150:151], v[78:81], off
	s_clause 0x1
	scratch_load_b128 v[78:81], off, s35
	scratch_load_b128 v[188:191], off, s36
	s_wait_loadcnt 0x17
	global_store_b128 v[146:147], v[82:85], off
	s_wait_loadcnt 0x16
	global_store_b128 v[148:149], v[86:89], off
	s_clause 0x1
	scratch_load_b128 v[82:85], off, s33
	scratch_load_b128 v[86:89], off, s34
	s_wait_loadcnt 0x17
	global_store_b128 v[144:145], v[90:93], off
	s_clause 0x1
	scratch_load_b128 v[90:93], off, s30
	scratch_load_b128 v[144:147], off, s31
	s_wait_loadcnt 0x18
	global_store_b128 v[142:143], v[94:97], off
	s_clause 0x1
	scratch_load_b128 v[94:97], off, s28
	scratch_load_b128 v[148:151], off, s29
	s_wait_loadcnt 0x19
	global_store_b128 v[138:139], v[98:101], off
	;; [unrolled: 17-line block ×4, first 2 shown]
	s_wait_loadcnt 0x1c
	global_store_b128 v[124:125], v[164:167], off
	s_clause 0x1
	scratch_load_b128 v[122:125], off, s8
	scratch_load_b128 v[160:163], off, s23
	s_wait_loadcnt 0x1d
	global_store_b128 v[4:5], v[168:171], off
	s_clause 0x1
	scratch_load_b128 v[164:167], off, s15
	scratch_load_b128 v[168:171], off, s20
	s_wait_loadcnt 0x1e
	global_store_b128 v[2:3], v[172:175], off
	s_wait_loadcnt 0x1d
	global_store_b128 v[6:7], v[176:179], off
	;; [unrolled: 2-line block ×31, first 2 shown]
	s_sendmsg sendmsg(MSG_DEALLOC_VGPRS)
	s_endpgm
	.section	.rodata,"a",@progbits
	.p2align	6, 0x0
	.amdhsa_kernel _ZN9rocsolver6v33100L18getri_kernel_smallILi49E19rocblas_complex_numIdEPS3_EEvT1_iilPiilS6_bb
		.amdhsa_group_segment_fixed_size 2600
		.amdhsa_private_segment_fixed_size 800
		.amdhsa_kernarg_size 60
		.amdhsa_user_sgpr_count 4
		.amdhsa_user_sgpr_dispatch_ptr 1
		.amdhsa_user_sgpr_queue_ptr 0
		.amdhsa_user_sgpr_kernarg_segment_ptr 1
		.amdhsa_user_sgpr_dispatch_id 0
		.amdhsa_user_sgpr_kernarg_preload_length 0
		.amdhsa_user_sgpr_kernarg_preload_offset 0
		.amdhsa_user_sgpr_private_segment_size 0
		.amdhsa_wavefront_size32 1
		.amdhsa_uses_dynamic_stack 0
		.amdhsa_enable_private_segment 1
		.amdhsa_system_sgpr_workgroup_id_x 1
		.amdhsa_system_sgpr_workgroup_id_y 0
		.amdhsa_system_sgpr_workgroup_id_z 0
		.amdhsa_system_sgpr_workgroup_info 0
		.amdhsa_system_vgpr_workitem_id 2
		.amdhsa_next_free_vgpr 202
		.amdhsa_next_free_sgpr 83
		.amdhsa_named_barrier_count 0
		.amdhsa_reserve_vcc 1
		.amdhsa_float_round_mode_32 0
		.amdhsa_float_round_mode_16_64 0
		.amdhsa_float_denorm_mode_32 3
		.amdhsa_float_denorm_mode_16_64 3
		.amdhsa_fp16_overflow 0
		.amdhsa_memory_ordered 1
		.amdhsa_forward_progress 1
		.amdhsa_inst_pref_size 255
		.amdhsa_round_robin_scheduling 0
		.amdhsa_exception_fp_ieee_invalid_op 0
		.amdhsa_exception_fp_denorm_src 0
		.amdhsa_exception_fp_ieee_div_zero 0
		.amdhsa_exception_fp_ieee_overflow 0
		.amdhsa_exception_fp_ieee_underflow 0
		.amdhsa_exception_fp_ieee_inexact 0
		.amdhsa_exception_int_div_zero 0
	.end_amdhsa_kernel
	.section	.text._ZN9rocsolver6v33100L18getri_kernel_smallILi49E19rocblas_complex_numIdEPS3_EEvT1_iilPiilS6_bb,"axG",@progbits,_ZN9rocsolver6v33100L18getri_kernel_smallILi49E19rocblas_complex_numIdEPS3_EEvT1_iilPiilS6_bb,comdat
.Lfunc_end48:
	.size	_ZN9rocsolver6v33100L18getri_kernel_smallILi49E19rocblas_complex_numIdEPS3_EEvT1_iilPiilS6_bb, .Lfunc_end48-_ZN9rocsolver6v33100L18getri_kernel_smallILi49E19rocblas_complex_numIdEPS3_EEvT1_iilPiilS6_bb
                                        ; -- End function
	.set _ZN9rocsolver6v33100L18getri_kernel_smallILi49E19rocblas_complex_numIdEPS3_EEvT1_iilPiilS6_bb.num_vgpr, 202
	.set _ZN9rocsolver6v33100L18getri_kernel_smallILi49E19rocblas_complex_numIdEPS3_EEvT1_iilPiilS6_bb.num_agpr, 0
	.set _ZN9rocsolver6v33100L18getri_kernel_smallILi49E19rocblas_complex_numIdEPS3_EEvT1_iilPiilS6_bb.numbered_sgpr, 83
	.set _ZN9rocsolver6v33100L18getri_kernel_smallILi49E19rocblas_complex_numIdEPS3_EEvT1_iilPiilS6_bb.num_named_barrier, 0
	.set _ZN9rocsolver6v33100L18getri_kernel_smallILi49E19rocblas_complex_numIdEPS3_EEvT1_iilPiilS6_bb.private_seg_size, 800
	.set _ZN9rocsolver6v33100L18getri_kernel_smallILi49E19rocblas_complex_numIdEPS3_EEvT1_iilPiilS6_bb.uses_vcc, 1
	.set _ZN9rocsolver6v33100L18getri_kernel_smallILi49E19rocblas_complex_numIdEPS3_EEvT1_iilPiilS6_bb.uses_flat_scratch, 1
	.set _ZN9rocsolver6v33100L18getri_kernel_smallILi49E19rocblas_complex_numIdEPS3_EEvT1_iilPiilS6_bb.has_dyn_sized_stack, 0
	.set _ZN9rocsolver6v33100L18getri_kernel_smallILi49E19rocblas_complex_numIdEPS3_EEvT1_iilPiilS6_bb.has_recursion, 0
	.set _ZN9rocsolver6v33100L18getri_kernel_smallILi49E19rocblas_complex_numIdEPS3_EEvT1_iilPiilS6_bb.has_indirect_call, 0
	.section	.AMDGPU.csdata,"",@progbits
; Kernel info:
; codeLenInByte = 91728
; TotalNumSgprs: 85
; NumVgprs: 202
; ScratchSize: 800
; MemoryBound: 0
; FloatMode: 240
; IeeeMode: 1
; LDSByteSize: 2600 bytes/workgroup (compile time only)
; SGPRBlocks: 0
; VGPRBlocks: 12
; NumSGPRsForWavesPerEU: 85
; NumVGPRsForWavesPerEU: 202
; NamedBarCnt: 0
; Occupancy: 4
; WaveLimiterHint : 1
; COMPUTE_PGM_RSRC2:SCRATCH_EN: 1
; COMPUTE_PGM_RSRC2:USER_SGPR: 4
; COMPUTE_PGM_RSRC2:TRAP_HANDLER: 0
; COMPUTE_PGM_RSRC2:TGID_X_EN: 1
; COMPUTE_PGM_RSRC2:TGID_Y_EN: 0
; COMPUTE_PGM_RSRC2:TGID_Z_EN: 0
; COMPUTE_PGM_RSRC2:TIDIG_COMP_CNT: 2
	.section	.text._ZN9rocsolver6v33100L18getri_kernel_smallILi50E19rocblas_complex_numIdEPS3_EEvT1_iilPiilS6_bb,"axG",@progbits,_ZN9rocsolver6v33100L18getri_kernel_smallILi50E19rocblas_complex_numIdEPS3_EEvT1_iilPiilS6_bb,comdat
	.globl	_ZN9rocsolver6v33100L18getri_kernel_smallILi50E19rocblas_complex_numIdEPS3_EEvT1_iilPiilS6_bb ; -- Begin function _ZN9rocsolver6v33100L18getri_kernel_smallILi50E19rocblas_complex_numIdEPS3_EEvT1_iilPiilS6_bb
	.p2align	8
	.type	_ZN9rocsolver6v33100L18getri_kernel_smallILi50E19rocblas_complex_numIdEPS3_EEvT1_iilPiilS6_bb,@function
_ZN9rocsolver6v33100L18getri_kernel_smallILi50E19rocblas_complex_numIdEPS3_EEvT1_iilPiilS6_bb: ; @_ZN9rocsolver6v33100L18getri_kernel_smallILi50E19rocblas_complex_numIdEPS3_EEvT1_iilPiilS6_bb
; %bb.0:
	v_and_b32_e32 v1, 0x3ff, v0
	s_mov_b32 s4, exec_lo
	s_delay_alu instid0(VALU_DEP_1)
	v_cmpx_gt_u32_e32 50, v1
	s_cbranch_execz .LBB49_214
; %bb.1:
	s_clause 0x2
	s_load_b32 s8, s[2:3], 0x38
	s_load_b128 s[12:15], s[2:3], 0x10
	s_load_b128 s[4:7], s[2:3], 0x28
	s_getreg_b32 s11, hwreg(HW_REG_IB_STS2, 6, 4)
                                        ; implicit-def: $sgpr16_sgpr17
	s_wait_kmcnt 0x0
	s_bitcmp1_b32 s8, 8
	s_cselect_b32 s62, -1, 0
	s_bfe_u32 s9, ttmp6, 0x4000c
	s_and_b32 s10, ttmp6, 15
	s_add_co_i32 s9, s9, 1
	s_delay_alu instid0(SALU_CYCLE_1) | instskip(NEXT) | instid1(SALU_CYCLE_1)
	s_mul_i32 s9, ttmp9, s9
	s_add_co_i32 s10, s10, s9
	s_cmp_eq_u32 s11, 0
	s_cselect_b32 s18, ttmp9, s10
	s_bfe_u32 s8, s8, 0x10008
	s_ashr_i32 s19, s18, 31
	s_cmp_eq_u32 s8, 0
	s_cbranch_scc1 .LBB49_3
; %bb.2:
	s_load_b32 s8, s[2:3], 0x20
	s_mul_u64 s[4:5], s[4:5], s[18:19]
	s_delay_alu instid0(SALU_CYCLE_1) | instskip(NEXT) | instid1(SALU_CYCLE_1)
	s_lshl_b64 s[4:5], s[4:5], 2
	s_add_nc_u64 s[4:5], s[14:15], s[4:5]
	s_wait_kmcnt 0x0
	s_ashr_i32 s9, s8, 31
	s_delay_alu instid0(SALU_CYCLE_1) | instskip(NEXT) | instid1(SALU_CYCLE_1)
	s_lshl_b64 s[8:9], s[8:9], 2
	s_add_nc_u64 s[16:17], s[4:5], s[8:9]
.LBB49_3:
	s_clause 0x1
	s_load_b128 s[8:11], s[2:3], 0x0
	s_load_b32 s63, s[2:3], 0x38
	s_wait_xcnt 0x0
	s_mul_u64 s[2:3], s[12:13], s[18:19]
	v_dual_mov_b32 v15, 0 :: v_dual_lshlrev_b32 v14, 4, v1
	s_lshl_b64 s[2:3], s[2:3], 4
	s_movk_i32 s46, 0x1d0
	s_movk_i32 s64, 0x1e0
	;; [unrolled: 1-line block ×14, first 2 shown]
	s_wait_kmcnt 0x0
	v_add3_u32 v28, s11, s11, v1
	s_ashr_i32 s5, s10, 31
	s_mov_b32 s4, s10
	s_add_nc_u64 s[2:3], s[8:9], s[2:3]
	s_lshl_b64 s[4:5], s[4:5], 4
	v_add_nc_u32_e32 v30, s11, v28
	s_add_nc_u64 s[4:5], s[2:3], s[4:5]
	s_ashr_i32 s3, s11, 31
	v_add_nc_u64_e32 v[24:25], s[4:5], v[14:15]
	s_mov_b32 s2, s11
	v_add_nc_u32_e32 v32, s11, v30
	s_clause 0x1
	global_load_b128 v[2:5], v1, s[4:5] scale_offset
	global_load_b128 v[6:9], v28, s[4:5] scale_offset
	s_movk_i32 s77, 0x2b0
	s_movk_i32 s78, 0x2c0
	v_add_nc_u32_e32 v34, s11, v32
	v_lshl_add_u64 v[26:27], s[2:3], 4, v[24:25]
	s_movk_i32 s79, 0x2d0
	s_movk_i32 s80, 0x2e0
	;; [unrolled: 1-line block ×3, first 2 shown]
	v_add_nc_u32_e32 v36, s11, v34
	global_load_b128 v[10:13], v30, s[4:5] scale_offset
	s_movk_i32 s82, 0x300
	s_movk_i32 s83, 0x310
	s_mov_b32 s50, 16
	v_add_nc_u32_e32 v38, s11, v36
	s_clause 0x1
	global_load_b128 v[16:19], v32, s[4:5] scale_offset
	global_load_b128 v[20:23], v[26:27], off
	s_mov_b32 s47, 32
	s_mov_b32 s48, 48
	;; [unrolled: 1-line block ×3, first 2 shown]
	v_add_nc_u32_e32 v40, s11, v38
	s_clause 0x1
	global_load_b128 v[106:109], v34, s[4:5] scale_offset
	global_load_b128 v[110:113], v36, s[4:5] scale_offset
	s_movk_i32 s53, 0x50
	s_movk_i32 s55, 0x60
	s_movk_i32 s58, 0x70
	v_add_nc_u32_e32 v42, s11, v40
	s_movk_i32 s51, 0x80
	s_movk_i32 s52, 0x90
	s_movk_i32 s54, 0xa0
	s_movk_i32 s57, 0xb0
	v_add_nc_u32_e32 v44, s11, v42
	s_movk_i32 s59, 0xc0
	;; [unrolled: 5-line block ×3, first 2 shown]
	s_movk_i32 s42, 0x110
	s_movk_i32 s43, 0x120
	;; [unrolled: 1-line block ×3, first 2 shown]
	v_add_nc_u32_e32 v48, s11, v46
	s_clause 0x2
	global_load_b128 v[114:117], v38, s[4:5] scale_offset
	global_load_b128 v[118:121], v40, s[4:5] scale_offset
	;; [unrolled: 1-line block ×3, first 2 shown]
	s_movk_i32 s45, 0x140
	s_movk_i32 s39, 0x150
	;; [unrolled: 1-line block ×3, first 2 shown]
	v_add_nc_u32_e32 v50, s11, v48
	s_movk_i32 s37, 0x170
	s_movk_i32 s38, 0x180
	;; [unrolled: 1-line block ×4, first 2 shown]
	v_add_nc_u32_e32 v52, s11, v50
	s_clause 0x3
	global_load_b128 v[126:129], v44, s[4:5] scale_offset
	global_load_b128 v[130:133], v46, s[4:5] scale_offset
	;; [unrolled: 1-line block ×4, first 2 shown]
	s_movk_i32 s33, 0x1b0
	s_movk_i32 s34, 0x1c0
	v_add_nc_u32_e32 v54, s11, v52
	s_mov_b32 s30, s46
	s_mov_b32 s31, s64
	s_mov_b32 s27, s65
	s_mov_b32 s29, s66
	v_add_nc_u32_e32 v56, s11, v54
	s_mov_b32 s23, s67
	s_mov_b32 s24, s68
	s_mov_b32 s15, s69
	s_mov_b32 s21, s70
	;; [unrolled: 5-line block ×4, first 2 shown]
	v_add_nc_u32_e32 v62, s11, v60
	s_clause 0x2
	global_load_b128 v[142:145], v52, s[4:5] scale_offset
	global_load_b128 v[146:149], v54, s[4:5] scale_offset
	;; [unrolled: 1-line block ×3, first 2 shown]
	s_mov_b32 s25, s80
	s_mov_b32 s14, s81
	;; [unrolled: 1-line block ×3, first 2 shown]
	v_add_nc_u32_e32 v64, s11, v62
	s_clause 0x1
	global_load_b128 v[154:157], v58, s[4:5] scale_offset
	global_load_b128 v[158:161], v60, s[4:5] scale_offset
	s_mov_b32 s46, s83
	s_bitcmp0_b32 s63, 0
	s_mov_b32 s3, -1
	v_add_nc_u32_e32 v66, s11, v64
	s_delay_alu instid0(VALU_DEP_1) | instskip(NEXT) | instid1(VALU_DEP_1)
	v_add_nc_u32_e32 v68, s11, v66
	v_add_nc_u32_e32 v70, s11, v68
	s_delay_alu instid0(VALU_DEP_1)
	v_add_nc_u32_e32 v72, s11, v70
	s_clause 0x2
	global_load_b128 v[162:165], v62, s[4:5] scale_offset
	global_load_b128 v[166:169], v64, s[4:5] scale_offset
	;; [unrolled: 1-line block ×3, first 2 shown]
	v_add_nc_u32_e32 v74, s11, v72
	s_delay_alu instid0(VALU_DEP_1)
	v_add_nc_u32_e32 v76, s11, v74
	s_clause 0x3
	global_load_b128 v[174:177], v68, s[4:5] scale_offset
	global_load_b128 v[178:181], v70, s[4:5] scale_offset
	;; [unrolled: 1-line block ×4, first 2 shown]
	v_add_nc_u32_e32 v78, s11, v76
	global_load_b128 v[190:193], v76, s[4:5] scale_offset
	v_add_nc_u32_e32 v80, s11, v78
	s_delay_alu instid0(VALU_DEP_1) | instskip(NEXT) | instid1(VALU_DEP_1)
	v_add_nc_u32_e32 v82, s11, v80
	v_add_nc_u32_e32 v84, s11, v82
	s_delay_alu instid0(VALU_DEP_1) | instskip(SKIP_4) | instid1(VALU_DEP_1)
	v_add_nc_u32_e32 v86, s11, v84
	s_clause 0x1
	global_load_b128 v[194:197], v78, s[4:5] scale_offset
	global_load_b128 v[198:201], v80, s[4:5] scale_offset
	v_add_nc_u32_e32 v88, s11, v86
	v_add_nc_u32_e32 v90, s11, v88
	s_delay_alu instid0(VALU_DEP_1) | instskip(NEXT) | instid1(VALU_DEP_1)
	v_add_nc_u32_e32 v92, s11, v90
	v_add_nc_u32_e32 v94, s11, v92
	s_delay_alu instid0(VALU_DEP_1) | instskip(NEXT) | instid1(VALU_DEP_1)
	;; [unrolled: 3-line block ×3, first 2 shown]
	v_add_nc_u32_e32 v100, s11, v98
	v_add_nc_u32_e32 v102, s11, v100
	s_delay_alu instid0(VALU_DEP_1)
	v_add_nc_u32_e32 v104, s11, v102
	s_wait_loadcnt 0x1c
	scratch_store_b128 off, v[2:5], off
	s_wait_loadcnt 0x1b
	scratch_store_b128 off, v[6:9], off offset:32
	global_load_b128 v[2:5], v82, s[4:5] scale_offset
	s_wait_loadcnt 0x1b
	scratch_store_b128 off, v[10:13], off offset:48
	s_wait_loadcnt 0x1a
	scratch_store_b128 off, v[16:19], off offset:64
	;; [unrolled: 2-line block ×5, first 2 shown]
	s_wait_xcnt 0x1
	v_add_nc_u32_e32 v106, s11, v104
	s_clause 0x1
	global_load_b128 v[6:9], v84, s[4:5] scale_offset
	global_load_b128 v[10:13], v86, s[4:5] scale_offset
	s_wait_loadcnt 0x18
	scratch_store_b128 off, v[114:117], off offset:112
	s_wait_loadcnt 0x17
	scratch_store_b128 off, v[118:121], off offset:128
	v_add_nc_u32_e32 v108, s11, v106
	s_clause 0x1
	global_load_b128 v[16:19], v88, s[4:5] scale_offset
	global_load_b128 v[20:23], v90, s[4:5] scale_offset
	s_wait_loadcnt 0x18
	scratch_store_b128 off, v[122:125], off offset:144
	s_wait_loadcnt 0x17
	scratch_store_b128 off, v[126:129], off offset:160
	;; [unrolled: 2-line block ×3, first 2 shown]
	s_wait_xcnt 0x9
	v_add_nc_u32_e32 v110, s11, v108
	s_clause 0x1
	global_load_b128 v[124:127], v92, s[4:5] scale_offset
	global_load_b128 v[128:131], v94, s[4:5] scale_offset
	s_wait_loadcnt 0x17
	scratch_store_b128 off, v[134:137], off offset:192
	s_wait_loadcnt 0x16
	scratch_store_b128 off, v[138:141], off offset:208
	s_clause 0x1
	global_load_b128 v[132:135], v96, s[4:5] scale_offset
	global_load_b128 v[136:139], v98, s[4:5] scale_offset
	v_add_nc_u32_e32 v112, s11, v110
	s_delay_alu instid0(VALU_DEP_1) | instskip(NEXT) | instid1(VALU_DEP_1)
	v_add_nc_u32_e32 v114, s11, v112
	v_add_nc_u32_e32 v116, s11, v114
	s_delay_alu instid0(VALU_DEP_1)
	v_add_nc_u32_e32 v118, s11, v116
	s_wait_loadcnt 0x17
	scratch_store_b128 off, v[142:145], off offset:224
	s_wait_loadcnt 0x16
	scratch_store_b128 off, v[146:149], off offset:240
	;; [unrolled: 2-line block ×3, first 2 shown]
	v_add_nc_u32_e32 v120, s11, v118
	s_clause 0x1
	global_load_b128 v[140:143], v100, s[4:5] scale_offset
	global_load_b128 v[144:147], v102, s[4:5] scale_offset
	s_wait_loadcnt 0x16
	scratch_store_b128 off, v[154:157], off offset:272
	s_wait_loadcnt 0x15
	scratch_store_b128 off, v[158:161], off offset:288
	s_clause 0x1
	global_load_b128 v[148:151], v104, s[4:5] scale_offset
	global_load_b128 v[152:155], v106, s[4:5] scale_offset
	v_add_nc_u32_e32 v122, s11, v120
	s_mov_b32 s11, s74
	s_wait_loadcnt 0x16
	scratch_store_b128 off, v[162:165], off offset:304
	s_wait_loadcnt 0x15
	scratch_store_b128 off, v[166:169], off offset:320
	;; [unrolled: 2-line block ×3, first 2 shown]
	s_clause 0x1
	global_load_b128 v[156:159], v108, s[4:5] scale_offset
	global_load_b128 v[160:163], v110, s[4:5] scale_offset
	s_wait_loadcnt 0x15
	scratch_store_b128 off, v[174:177], off offset:352
	s_wait_loadcnt 0x14
	scratch_store_b128 off, v[178:181], off offset:368
	s_clause 0x1
	global_load_b128 v[164:167], v112, s[4:5] scale_offset
	global_load_b128 v[168:171], v114, s[4:5] scale_offset
	s_wait_loadcnt 0x15
	scratch_store_b128 off, v[182:185], off offset:384
	s_wait_loadcnt 0x14
	scratch_store_b128 off, v[186:189], off offset:400
	;; [unrolled: 7-line block ×3, first 2 shown]
	s_wait_loadcnt 0x13
	scratch_store_b128 off, v[198:201], off offset:448
	s_clause 0x1
	global_load_b128 v[180:183], v120, s[4:5] scale_offset
	global_load_b128 v[184:187], v122, s[4:5] scale_offset
	s_wait_loadcnt 0x14
	scratch_store_b128 off, v[2:5], off offset:464
	s_wait_loadcnt 0x13
	scratch_store_b128 off, v[6:9], off offset:480
	;; [unrolled: 2-line block ×21, first 2 shown]
	s_cbranch_scc1 .LBB49_212
; %bb.4:
	v_cmp_eq_u32_e64 s2, 0, v1
	s_wait_xcnt 0x0
	s_and_saveexec_b32 s3, s2
; %bb.5:
	v_mov_b32_e32 v2, 0
	ds_store_b32 v2, v2 offset:1600
; %bb.6:
	s_or_b32 exec_lo, exec_lo, s3
	s_wait_storecnt_dscnt 0x0
	s_barrier_signal -1
	s_barrier_wait -1
	scratch_load_b128 v[2:5], v1, off scale_offset
	s_wait_loadcnt 0x0
	v_cmp_eq_f64_e32 vcc_lo, 0, v[2:3]
	v_cmp_eq_f64_e64 s3, 0, v[4:5]
	s_and_b32 s3, vcc_lo, s3
	s_delay_alu instid0(SALU_CYCLE_1)
	s_and_saveexec_b32 s63, s3
	s_cbranch_execz .LBB49_10
; %bb.7:
	v_mov_b32_e32 v2, 0
	s_mov_b32 s64, 0
	ds_load_b32 v3, v2 offset:1600
	s_wait_dscnt 0x0
	v_readfirstlane_b32 s3, v3
	v_add_nc_u32_e32 v3, 1, v1
	s_cmp_eq_u32 s3, 0
	s_delay_alu instid0(VALU_DEP_1) | instskip(SKIP_1) | instid1(SALU_CYCLE_1)
	v_cmp_gt_i32_e32 vcc_lo, s3, v3
	s_cselect_b32 s65, -1, 0
	s_or_b32 s65, s65, vcc_lo
	s_delay_alu instid0(SALU_CYCLE_1)
	s_and_b32 exec_lo, exec_lo, s65
	s_cbranch_execz .LBB49_10
; %bb.8:
	v_mov_b32_e32 v4, s3
.LBB49_9:                               ; =>This Inner Loop Header: Depth=1
	ds_cmpstore_rtn_b32 v4, v2, v3, v4 offset:1600
	s_wait_dscnt 0x0
	v_cmp_ne_u32_e32 vcc_lo, 0, v4
	v_cmp_le_i32_e64 s3, v4, v3
	s_and_b32 s3, vcc_lo, s3
	s_delay_alu instid0(SALU_CYCLE_1) | instskip(NEXT) | instid1(SALU_CYCLE_1)
	s_and_b32 s3, exec_lo, s3
	s_or_b32 s64, s3, s64
	s_delay_alu instid0(SALU_CYCLE_1)
	s_and_not1_b32 exec_lo, exec_lo, s64
	s_cbranch_execnz .LBB49_9
.LBB49_10:
	s_or_b32 exec_lo, exec_lo, s63
	v_mov_b32_e32 v2, 0
	s_barrier_signal -1
	s_barrier_wait -1
	ds_load_b32 v3, v2 offset:1600
	s_and_saveexec_b32 s3, s2
	s_cbranch_execz .LBB49_12
; %bb.11:
	s_lshl_b64 s[64:65], s[18:19], 2
	s_delay_alu instid0(SALU_CYCLE_1)
	s_add_nc_u64 s[64:65], s[6:7], s[64:65]
	s_wait_dscnt 0x0
	global_store_b32 v2, v3, s[64:65]
.LBB49_12:
	s_wait_xcnt 0x0
	s_or_b32 exec_lo, exec_lo, s3
	s_wait_dscnt 0x0
	v_cmp_ne_u32_e32 vcc_lo, 0, v3
	s_mov_b32 s3, 0
	s_cbranch_vccnz .LBB49_212
; %bb.13:
	v_lshl_add_u32 v15, v1, 4, 0
                                        ; implicit-def: $vgpr6_vgpr7
                                        ; implicit-def: $vgpr10_vgpr11
	scratch_load_b128 v[2:5], v15, off
	s_wait_loadcnt 0x0
	v_cmp_ngt_f64_e64 s3, |v[2:3]|, |v[4:5]|
	s_wait_xcnt 0x0
	s_and_saveexec_b32 s63, s3
	s_delay_alu instid0(SALU_CYCLE_1)
	s_xor_b32 s3, exec_lo, s63
	s_cbranch_execz .LBB49_15
; %bb.14:
	v_div_scale_f64 v[6:7], null, v[4:5], v[4:5], v[2:3]
	v_div_scale_f64 v[12:13], vcc_lo, v[2:3], v[4:5], v[2:3]
	s_delay_alu instid0(VALU_DEP_2) | instskip(SKIP_1) | instid1(TRANS32_DEP_1)
	v_rcp_f64_e32 v[8:9], v[6:7]
	v_nop
	v_fma_f64 v[10:11], -v[6:7], v[8:9], 1.0
	s_delay_alu instid0(VALU_DEP_1) | instskip(NEXT) | instid1(VALU_DEP_1)
	v_fmac_f64_e32 v[8:9], v[8:9], v[10:11]
	v_fma_f64 v[10:11], -v[6:7], v[8:9], 1.0
	s_delay_alu instid0(VALU_DEP_1) | instskip(NEXT) | instid1(VALU_DEP_1)
	v_fmac_f64_e32 v[8:9], v[8:9], v[10:11]
	v_mul_f64_e32 v[10:11], v[12:13], v[8:9]
	s_delay_alu instid0(VALU_DEP_1) | instskip(NEXT) | instid1(VALU_DEP_1)
	v_fma_f64 v[6:7], -v[6:7], v[10:11], v[12:13]
	v_div_fmas_f64 v[6:7], v[6:7], v[8:9], v[10:11]
	s_delay_alu instid0(VALU_DEP_1) | instskip(NEXT) | instid1(VALU_DEP_1)
	v_div_fixup_f64 v[6:7], v[6:7], v[4:5], v[2:3]
	v_fmac_f64_e32 v[4:5], v[2:3], v[6:7]
	s_delay_alu instid0(VALU_DEP_1) | instskip(SKIP_1) | instid1(VALU_DEP_2)
	v_div_scale_f64 v[2:3], null, v[4:5], v[4:5], 1.0
	v_div_scale_f64 v[12:13], vcc_lo, 1.0, v[4:5], 1.0
	v_rcp_f64_e32 v[8:9], v[2:3]
	v_nop
	s_delay_alu instid0(TRANS32_DEP_1) | instskip(NEXT) | instid1(VALU_DEP_1)
	v_fma_f64 v[10:11], -v[2:3], v[8:9], 1.0
	v_fmac_f64_e32 v[8:9], v[8:9], v[10:11]
	s_delay_alu instid0(VALU_DEP_1) | instskip(NEXT) | instid1(VALU_DEP_1)
	v_fma_f64 v[10:11], -v[2:3], v[8:9], 1.0
	v_fmac_f64_e32 v[8:9], v[8:9], v[10:11]
	s_delay_alu instid0(VALU_DEP_1) | instskip(NEXT) | instid1(VALU_DEP_1)
	v_mul_f64_e32 v[10:11], v[12:13], v[8:9]
	v_fma_f64 v[2:3], -v[2:3], v[10:11], v[12:13]
	s_delay_alu instid0(VALU_DEP_1) | instskip(NEXT) | instid1(VALU_DEP_1)
	v_div_fmas_f64 v[2:3], v[2:3], v[8:9], v[10:11]
	v_div_fixup_f64 v[8:9], v[2:3], v[4:5], 1.0
                                        ; implicit-def: $vgpr2_vgpr3
	s_delay_alu instid0(VALU_DEP_1) | instskip(SKIP_1) | instid1(VALU_DEP_2)
	v_mul_f64_e32 v[6:7], v[6:7], v[8:9]
	v_xor_b32_e32 v9, 0x80000000, v9
	v_xor_b32_e32 v11, 0x80000000, v7
	s_delay_alu instid0(VALU_DEP_3)
	v_mov_b32_e32 v10, v6
.LBB49_15:
	s_and_not1_saveexec_b32 s3, s3
	s_cbranch_execz .LBB49_17
; %bb.16:
	v_div_scale_f64 v[6:7], null, v[2:3], v[2:3], v[4:5]
	v_div_scale_f64 v[12:13], vcc_lo, v[4:5], v[2:3], v[4:5]
	s_delay_alu instid0(VALU_DEP_2) | instskip(SKIP_1) | instid1(TRANS32_DEP_1)
	v_rcp_f64_e32 v[8:9], v[6:7]
	v_nop
	v_fma_f64 v[10:11], -v[6:7], v[8:9], 1.0
	s_delay_alu instid0(VALU_DEP_1) | instskip(NEXT) | instid1(VALU_DEP_1)
	v_fmac_f64_e32 v[8:9], v[8:9], v[10:11]
	v_fma_f64 v[10:11], -v[6:7], v[8:9], 1.0
	s_delay_alu instid0(VALU_DEP_1) | instskip(NEXT) | instid1(VALU_DEP_1)
	v_fmac_f64_e32 v[8:9], v[8:9], v[10:11]
	v_mul_f64_e32 v[10:11], v[12:13], v[8:9]
	s_delay_alu instid0(VALU_DEP_1) | instskip(NEXT) | instid1(VALU_DEP_1)
	v_fma_f64 v[6:7], -v[6:7], v[10:11], v[12:13]
	v_div_fmas_f64 v[6:7], v[6:7], v[8:9], v[10:11]
	s_delay_alu instid0(VALU_DEP_1) | instskip(NEXT) | instid1(VALU_DEP_1)
	v_div_fixup_f64 v[8:9], v[6:7], v[2:3], v[4:5]
	v_fmac_f64_e32 v[2:3], v[4:5], v[8:9]
	s_delay_alu instid0(VALU_DEP_1) | instskip(NEXT) | instid1(VALU_DEP_1)
	v_div_scale_f64 v[4:5], null, v[2:3], v[2:3], 1.0
	v_rcp_f64_e32 v[6:7], v[4:5]
	v_nop
	s_delay_alu instid0(TRANS32_DEP_1) | instskip(NEXT) | instid1(VALU_DEP_1)
	v_fma_f64 v[10:11], -v[4:5], v[6:7], 1.0
	v_fmac_f64_e32 v[6:7], v[6:7], v[10:11]
	s_delay_alu instid0(VALU_DEP_1) | instskip(NEXT) | instid1(VALU_DEP_1)
	v_fma_f64 v[10:11], -v[4:5], v[6:7], 1.0
	v_fmac_f64_e32 v[6:7], v[6:7], v[10:11]
	v_div_scale_f64 v[10:11], vcc_lo, 1.0, v[2:3], 1.0
	s_delay_alu instid0(VALU_DEP_1) | instskip(NEXT) | instid1(VALU_DEP_1)
	v_mul_f64_e32 v[12:13], v[10:11], v[6:7]
	v_fma_f64 v[4:5], -v[4:5], v[12:13], v[10:11]
	s_delay_alu instid0(VALU_DEP_1) | instskip(NEXT) | instid1(VALU_DEP_1)
	v_div_fmas_f64 v[4:5], v[4:5], v[6:7], v[12:13]
	v_div_fixup_f64 v[6:7], v[4:5], v[2:3], 1.0
	s_delay_alu instid0(VALU_DEP_1)
	v_mul_f64_e64 v[8:9], v[8:9], -v[6:7]
	v_xor_b32_e32 v11, 0x80000000, v7
	v_mov_b32_e32 v10, v6
.LBB49_17:
	s_or_b32 exec_lo, exec_lo, s3
	s_clause 0x1
	scratch_store_b128 v15, v[6:9], off
	scratch_load_b128 v[2:5], off, s50
	v_xor_b32_e32 v13, 0x80000000, v9
	v_mov_b32_e32 v12, v8
	s_wait_xcnt 0x1
	v_add_nc_u32_e32 v6, 0x320, v14
	ds_store_b128 v14, v[10:13]
	s_wait_loadcnt 0x0
	ds_store_b128 v14, v[2:5] offset:800
	s_wait_storecnt_dscnt 0x0
	s_barrier_signal -1
	s_barrier_wait -1
	s_wait_xcnt 0x0
	s_and_saveexec_b32 s3, s2
	s_cbranch_execz .LBB49_19
; %bb.18:
	scratch_load_b128 v[2:5], v15, off
	ds_load_b128 v[8:11], v6
	v_mov_b32_e32 v7, 0
	ds_load_b128 v[16:19], v7 offset:16
	s_wait_loadcnt_dscnt 0x1
	v_mul_f64_e32 v[12:13], v[8:9], v[4:5]
	v_mul_f64_e32 v[4:5], v[10:11], v[4:5]
	s_delay_alu instid0(VALU_DEP_2) | instskip(NEXT) | instid1(VALU_DEP_2)
	v_fmac_f64_e32 v[12:13], v[10:11], v[2:3]
	v_fma_f64 v[2:3], v[8:9], v[2:3], -v[4:5]
	s_delay_alu instid0(VALU_DEP_2) | instskip(NEXT) | instid1(VALU_DEP_2)
	v_add_f64_e32 v[8:9], 0, v[12:13]
	v_add_f64_e32 v[2:3], 0, v[2:3]
	s_wait_dscnt 0x0
	s_delay_alu instid0(VALU_DEP_2) | instskip(NEXT) | instid1(VALU_DEP_2)
	v_mul_f64_e32 v[10:11], v[8:9], v[18:19]
	v_mul_f64_e32 v[4:5], v[2:3], v[18:19]
	s_delay_alu instid0(VALU_DEP_2) | instskip(NEXT) | instid1(VALU_DEP_2)
	v_fma_f64 v[2:3], v[2:3], v[16:17], -v[10:11]
	v_fmac_f64_e32 v[4:5], v[8:9], v[16:17]
	scratch_store_b128 off, v[2:5], off offset:16
.LBB49_19:
	s_wait_xcnt 0x0
	s_or_b32 exec_lo, exec_lo, s3
	s_wait_storecnt 0x0
	s_barrier_signal -1
	s_barrier_wait -1
	scratch_load_b128 v[2:5], off, s47
	s_mov_b32 s3, exec_lo
	s_wait_loadcnt 0x0
	ds_store_b128 v6, v[2:5]
	s_wait_dscnt 0x0
	s_barrier_signal -1
	s_barrier_wait -1
	v_cmpx_gt_u32_e32 2, v1
	s_cbranch_execz .LBB49_23
; %bb.20:
	scratch_load_b128 v[2:5], v15, off
	ds_load_b128 v[8:11], v6
	s_wait_loadcnt_dscnt 0x0
	v_mul_f64_e32 v[12:13], v[10:11], v[4:5]
	v_mul_f64_e32 v[16:17], v[8:9], v[4:5]
	s_delay_alu instid0(VALU_DEP_2) | instskip(NEXT) | instid1(VALU_DEP_2)
	v_fma_f64 v[4:5], v[8:9], v[2:3], -v[12:13]
	v_fmac_f64_e32 v[16:17], v[10:11], v[2:3]
	s_delay_alu instid0(VALU_DEP_2) | instskip(NEXT) | instid1(VALU_DEP_2)
	v_add_f64_e32 v[4:5], 0, v[4:5]
	v_add_f64_e32 v[2:3], 0, v[16:17]
	s_and_saveexec_b32 s63, s2
	s_cbranch_execz .LBB49_22
; %bb.21:
	scratch_load_b128 v[8:11], off, off offset:16
	v_mov_b32_e32 v7, 0
	ds_load_b128 v[16:19], v7 offset:816
	s_wait_loadcnt_dscnt 0x0
	v_mul_f64_e32 v[12:13], v[16:17], v[10:11]
	v_mul_f64_e32 v[10:11], v[18:19], v[10:11]
	s_delay_alu instid0(VALU_DEP_2) | instskip(NEXT) | instid1(VALU_DEP_2)
	v_fmac_f64_e32 v[12:13], v[18:19], v[8:9]
	v_fma_f64 v[8:9], v[16:17], v[8:9], -v[10:11]
	s_delay_alu instid0(VALU_DEP_2) | instskip(NEXT) | instid1(VALU_DEP_2)
	v_add_f64_e32 v[2:3], v[2:3], v[12:13]
	v_add_f64_e32 v[4:5], v[4:5], v[8:9]
.LBB49_22:
	s_or_b32 exec_lo, exec_lo, s63
	v_mov_b32_e32 v7, 0
	ds_load_b128 v[8:11], v7 offset:32
	s_wait_dscnt 0x0
	v_mul_f64_e32 v[16:17], v[2:3], v[10:11]
	v_mul_f64_e32 v[12:13], v[4:5], v[10:11]
	s_delay_alu instid0(VALU_DEP_2) | instskip(NEXT) | instid1(VALU_DEP_2)
	v_fma_f64 v[10:11], v[4:5], v[8:9], -v[16:17]
	v_fmac_f64_e32 v[12:13], v[2:3], v[8:9]
	scratch_store_b128 off, v[10:13], off offset:32
.LBB49_23:
	s_wait_xcnt 0x0
	s_or_b32 exec_lo, exec_lo, s3
	s_wait_storecnt 0x0
	s_barrier_signal -1
	s_barrier_wait -1
	scratch_load_b128 v[2:5], off, s48
	v_add_nc_u32_e32 v7, -1, v1
	s_mov_b32 s2, exec_lo
	s_wait_loadcnt 0x0
	ds_store_b128 v6, v[2:5]
	s_wait_dscnt 0x0
	s_barrier_signal -1
	s_barrier_wait -1
	v_cmpx_gt_u32_e32 3, v1
	s_cbranch_execz .LBB49_27
; %bb.24:
	v_dual_mov_b32 v10, v14 :: v_dual_add_nc_u32 v8, -1, v1
	v_mov_b64_e32 v[2:3], 0
	v_mov_b64_e32 v[4:5], 0
	v_add_nc_u32_e32 v9, 0x320, v14
	s_delay_alu instid0(VALU_DEP_4)
	v_or_b32_e32 v10, 8, v10
	s_mov_b32 s3, 0
.LBB49_25:                              ; =>This Inner Loop Header: Depth=1
	scratch_load_b128 v[16:19], v10, off offset:-8
	ds_load_b128 v[20:23], v9
	v_dual_add_nc_u32 v8, 1, v8 :: v_dual_add_nc_u32 v9, 16, v9
	s_wait_xcnt 0x0
	v_add_nc_u32_e32 v10, 16, v10
	s_delay_alu instid0(VALU_DEP_2) | instskip(SKIP_4) | instid1(VALU_DEP_2)
	v_cmp_lt_u32_e32 vcc_lo, 1, v8
	s_or_b32 s3, vcc_lo, s3
	s_wait_loadcnt_dscnt 0x0
	v_mul_f64_e32 v[12:13], v[22:23], v[18:19]
	v_mul_f64_e32 v[18:19], v[20:21], v[18:19]
	v_fma_f64 v[12:13], v[20:21], v[16:17], -v[12:13]
	s_delay_alu instid0(VALU_DEP_2) | instskip(NEXT) | instid1(VALU_DEP_2)
	v_fmac_f64_e32 v[18:19], v[22:23], v[16:17]
	v_add_f64_e32 v[4:5], v[4:5], v[12:13]
	s_delay_alu instid0(VALU_DEP_2)
	v_add_f64_e32 v[2:3], v[2:3], v[18:19]
	s_and_not1_b32 exec_lo, exec_lo, s3
	s_cbranch_execnz .LBB49_25
; %bb.26:
	s_or_b32 exec_lo, exec_lo, s3
	v_mov_b32_e32 v8, 0
	ds_load_b128 v[8:11], v8 offset:48
	s_wait_dscnt 0x0
	v_mul_f64_e32 v[16:17], v[2:3], v[10:11]
	v_mul_f64_e32 v[12:13], v[4:5], v[10:11]
	s_delay_alu instid0(VALU_DEP_2) | instskip(NEXT) | instid1(VALU_DEP_2)
	v_fma_f64 v[10:11], v[4:5], v[8:9], -v[16:17]
	v_fmac_f64_e32 v[12:13], v[2:3], v[8:9]
	scratch_store_b128 off, v[10:13], off offset:48
.LBB49_27:
	s_wait_xcnt 0x0
	s_or_b32 exec_lo, exec_lo, s2
	s_wait_storecnt 0x0
	s_barrier_signal -1
	s_barrier_wait -1
	scratch_load_b128 v[2:5], off, s49
	s_mov_b32 s2, exec_lo
	s_wait_loadcnt 0x0
	ds_store_b128 v6, v[2:5]
	s_wait_dscnt 0x0
	s_barrier_signal -1
	s_barrier_wait -1
	v_cmpx_gt_u32_e32 4, v1
	s_cbranch_execz .LBB49_31
; %bb.28:
	v_dual_mov_b32 v10, v14 :: v_dual_add_nc_u32 v8, -1, v1
	v_mov_b64_e32 v[2:3], 0
	v_mov_b64_e32 v[4:5], 0
	v_add_nc_u32_e32 v9, 0x320, v14
	s_delay_alu instid0(VALU_DEP_4)
	v_or_b32_e32 v10, 8, v10
	s_mov_b32 s3, 0
.LBB49_29:                              ; =>This Inner Loop Header: Depth=1
	scratch_load_b128 v[16:19], v10, off offset:-8
	ds_load_b128 v[20:23], v9
	v_dual_add_nc_u32 v8, 1, v8 :: v_dual_add_nc_u32 v9, 16, v9
	s_wait_xcnt 0x0
	v_add_nc_u32_e32 v10, 16, v10
	s_delay_alu instid0(VALU_DEP_2) | instskip(SKIP_4) | instid1(VALU_DEP_2)
	v_cmp_lt_u32_e32 vcc_lo, 2, v8
	s_or_b32 s3, vcc_lo, s3
	s_wait_loadcnt_dscnt 0x0
	v_mul_f64_e32 v[12:13], v[22:23], v[18:19]
	v_mul_f64_e32 v[18:19], v[20:21], v[18:19]
	v_fma_f64 v[12:13], v[20:21], v[16:17], -v[12:13]
	s_delay_alu instid0(VALU_DEP_2) | instskip(NEXT) | instid1(VALU_DEP_2)
	v_fmac_f64_e32 v[18:19], v[22:23], v[16:17]
	v_add_f64_e32 v[4:5], v[4:5], v[12:13]
	s_delay_alu instid0(VALU_DEP_2)
	v_add_f64_e32 v[2:3], v[2:3], v[18:19]
	s_and_not1_b32 exec_lo, exec_lo, s3
	s_cbranch_execnz .LBB49_29
; %bb.30:
	s_or_b32 exec_lo, exec_lo, s3
	v_mov_b32_e32 v8, 0
	ds_load_b128 v[8:11], v8 offset:64
	s_wait_dscnt 0x0
	v_mul_f64_e32 v[16:17], v[2:3], v[10:11]
	v_mul_f64_e32 v[12:13], v[4:5], v[10:11]
	s_delay_alu instid0(VALU_DEP_2) | instskip(NEXT) | instid1(VALU_DEP_2)
	v_fma_f64 v[10:11], v[4:5], v[8:9], -v[16:17]
	v_fmac_f64_e32 v[12:13], v[2:3], v[8:9]
	scratch_store_b128 off, v[10:13], off offset:64
.LBB49_31:
	s_wait_xcnt 0x0
	s_or_b32 exec_lo, exec_lo, s2
	s_wait_storecnt 0x0
	s_barrier_signal -1
	s_barrier_wait -1
	scratch_load_b128 v[2:5], off, s53
	s_mov_b32 s2, exec_lo
	s_wait_loadcnt 0x0
	ds_store_b128 v6, v[2:5]
	s_wait_dscnt 0x0
	s_barrier_signal -1
	s_barrier_wait -1
	v_cmpx_gt_u32_e32 5, v1
	s_cbranch_execz .LBB49_35
; %bb.32:
	v_dual_mov_b32 v10, v14 :: v_dual_add_nc_u32 v8, -1, v1
	v_mov_b64_e32 v[2:3], 0
	v_mov_b64_e32 v[4:5], 0
	v_add_nc_u32_e32 v9, 0x320, v14
	s_delay_alu instid0(VALU_DEP_4)
	v_or_b32_e32 v10, 8, v10
	s_mov_b32 s3, 0
.LBB49_33:                              ; =>This Inner Loop Header: Depth=1
	scratch_load_b128 v[16:19], v10, off offset:-8
	ds_load_b128 v[20:23], v9
	v_dual_add_nc_u32 v8, 1, v8 :: v_dual_add_nc_u32 v9, 16, v9
	s_wait_xcnt 0x0
	v_add_nc_u32_e32 v10, 16, v10
	s_delay_alu instid0(VALU_DEP_2) | instskip(SKIP_4) | instid1(VALU_DEP_2)
	v_cmp_lt_u32_e32 vcc_lo, 3, v8
	s_or_b32 s3, vcc_lo, s3
	s_wait_loadcnt_dscnt 0x0
	v_mul_f64_e32 v[12:13], v[22:23], v[18:19]
	v_mul_f64_e32 v[18:19], v[20:21], v[18:19]
	v_fma_f64 v[12:13], v[20:21], v[16:17], -v[12:13]
	s_delay_alu instid0(VALU_DEP_2) | instskip(NEXT) | instid1(VALU_DEP_2)
	v_fmac_f64_e32 v[18:19], v[22:23], v[16:17]
	v_add_f64_e32 v[4:5], v[4:5], v[12:13]
	s_delay_alu instid0(VALU_DEP_2)
	v_add_f64_e32 v[2:3], v[2:3], v[18:19]
	s_and_not1_b32 exec_lo, exec_lo, s3
	s_cbranch_execnz .LBB49_33
; %bb.34:
	s_or_b32 exec_lo, exec_lo, s3
	v_mov_b32_e32 v8, 0
	ds_load_b128 v[8:11], v8 offset:80
	s_wait_dscnt 0x0
	v_mul_f64_e32 v[16:17], v[2:3], v[10:11]
	v_mul_f64_e32 v[12:13], v[4:5], v[10:11]
	s_delay_alu instid0(VALU_DEP_2) | instskip(NEXT) | instid1(VALU_DEP_2)
	v_fma_f64 v[10:11], v[4:5], v[8:9], -v[16:17]
	v_fmac_f64_e32 v[12:13], v[2:3], v[8:9]
	scratch_store_b128 off, v[10:13], off offset:80
.LBB49_35:
	s_wait_xcnt 0x0
	s_or_b32 exec_lo, exec_lo, s2
	s_wait_storecnt 0x0
	s_barrier_signal -1
	s_barrier_wait -1
	scratch_load_b128 v[2:5], off, s55
	s_mov_b32 s2, exec_lo
	s_wait_loadcnt 0x0
	ds_store_b128 v6, v[2:5]
	s_wait_dscnt 0x0
	s_barrier_signal -1
	s_barrier_wait -1
	v_cmpx_gt_u32_e32 6, v1
	s_cbranch_execz .LBB49_39
; %bb.36:
	v_dual_mov_b32 v10, v14 :: v_dual_add_nc_u32 v8, -1, v1
	v_mov_b64_e32 v[2:3], 0
	v_mov_b64_e32 v[4:5], 0
	v_add_nc_u32_e32 v9, 0x320, v14
	s_delay_alu instid0(VALU_DEP_4)
	v_or_b32_e32 v10, 8, v10
	s_mov_b32 s3, 0
.LBB49_37:                              ; =>This Inner Loop Header: Depth=1
	scratch_load_b128 v[16:19], v10, off offset:-8
	ds_load_b128 v[20:23], v9
	v_dual_add_nc_u32 v8, 1, v8 :: v_dual_add_nc_u32 v9, 16, v9
	s_wait_xcnt 0x0
	v_add_nc_u32_e32 v10, 16, v10
	s_delay_alu instid0(VALU_DEP_2) | instskip(SKIP_4) | instid1(VALU_DEP_2)
	v_cmp_lt_u32_e32 vcc_lo, 4, v8
	s_or_b32 s3, vcc_lo, s3
	s_wait_loadcnt_dscnt 0x0
	v_mul_f64_e32 v[12:13], v[22:23], v[18:19]
	v_mul_f64_e32 v[18:19], v[20:21], v[18:19]
	v_fma_f64 v[12:13], v[20:21], v[16:17], -v[12:13]
	s_delay_alu instid0(VALU_DEP_2) | instskip(NEXT) | instid1(VALU_DEP_2)
	v_fmac_f64_e32 v[18:19], v[22:23], v[16:17]
	v_add_f64_e32 v[4:5], v[4:5], v[12:13]
	s_delay_alu instid0(VALU_DEP_2)
	v_add_f64_e32 v[2:3], v[2:3], v[18:19]
	s_and_not1_b32 exec_lo, exec_lo, s3
	s_cbranch_execnz .LBB49_37
; %bb.38:
	s_or_b32 exec_lo, exec_lo, s3
	v_mov_b32_e32 v8, 0
	ds_load_b128 v[8:11], v8 offset:96
	s_wait_dscnt 0x0
	v_mul_f64_e32 v[16:17], v[2:3], v[10:11]
	v_mul_f64_e32 v[12:13], v[4:5], v[10:11]
	s_delay_alu instid0(VALU_DEP_2) | instskip(NEXT) | instid1(VALU_DEP_2)
	v_fma_f64 v[10:11], v[4:5], v[8:9], -v[16:17]
	v_fmac_f64_e32 v[12:13], v[2:3], v[8:9]
	scratch_store_b128 off, v[10:13], off offset:96
.LBB49_39:
	s_wait_xcnt 0x0
	s_or_b32 exec_lo, exec_lo, s2
	s_wait_storecnt 0x0
	s_barrier_signal -1
	s_barrier_wait -1
	scratch_load_b128 v[2:5], off, s58
	s_mov_b32 s2, exec_lo
	s_wait_loadcnt 0x0
	ds_store_b128 v6, v[2:5]
	s_wait_dscnt 0x0
	s_barrier_signal -1
	s_barrier_wait -1
	v_cmpx_gt_u32_e32 7, v1
	s_cbranch_execz .LBB49_43
; %bb.40:
	v_dual_mov_b32 v10, v14 :: v_dual_add_nc_u32 v8, -1, v1
	v_mov_b64_e32 v[2:3], 0
	v_mov_b64_e32 v[4:5], 0
	v_add_nc_u32_e32 v9, 0x320, v14
	s_delay_alu instid0(VALU_DEP_4)
	v_or_b32_e32 v10, 8, v10
	s_mov_b32 s3, 0
.LBB49_41:                              ; =>This Inner Loop Header: Depth=1
	scratch_load_b128 v[16:19], v10, off offset:-8
	ds_load_b128 v[20:23], v9
	v_dual_add_nc_u32 v8, 1, v8 :: v_dual_add_nc_u32 v9, 16, v9
	s_wait_xcnt 0x0
	v_add_nc_u32_e32 v10, 16, v10
	s_delay_alu instid0(VALU_DEP_2) | instskip(SKIP_4) | instid1(VALU_DEP_2)
	v_cmp_lt_u32_e32 vcc_lo, 5, v8
	s_or_b32 s3, vcc_lo, s3
	s_wait_loadcnt_dscnt 0x0
	v_mul_f64_e32 v[12:13], v[22:23], v[18:19]
	v_mul_f64_e32 v[18:19], v[20:21], v[18:19]
	v_fma_f64 v[12:13], v[20:21], v[16:17], -v[12:13]
	s_delay_alu instid0(VALU_DEP_2) | instskip(NEXT) | instid1(VALU_DEP_2)
	v_fmac_f64_e32 v[18:19], v[22:23], v[16:17]
	v_add_f64_e32 v[4:5], v[4:5], v[12:13]
	s_delay_alu instid0(VALU_DEP_2)
	v_add_f64_e32 v[2:3], v[2:3], v[18:19]
	s_and_not1_b32 exec_lo, exec_lo, s3
	s_cbranch_execnz .LBB49_41
; %bb.42:
	s_or_b32 exec_lo, exec_lo, s3
	v_mov_b32_e32 v8, 0
	ds_load_b128 v[8:11], v8 offset:112
	s_wait_dscnt 0x0
	v_mul_f64_e32 v[16:17], v[2:3], v[10:11]
	v_mul_f64_e32 v[12:13], v[4:5], v[10:11]
	s_delay_alu instid0(VALU_DEP_2) | instskip(NEXT) | instid1(VALU_DEP_2)
	v_fma_f64 v[10:11], v[4:5], v[8:9], -v[16:17]
	v_fmac_f64_e32 v[12:13], v[2:3], v[8:9]
	scratch_store_b128 off, v[10:13], off offset:112
.LBB49_43:
	s_wait_xcnt 0x0
	s_or_b32 exec_lo, exec_lo, s2
	s_wait_storecnt 0x0
	s_barrier_signal -1
	s_barrier_wait -1
	scratch_load_b128 v[2:5], off, s51
	s_mov_b32 s2, exec_lo
	s_wait_loadcnt 0x0
	ds_store_b128 v6, v[2:5]
	s_wait_dscnt 0x0
	s_barrier_signal -1
	s_barrier_wait -1
	v_cmpx_gt_u32_e32 8, v1
	s_cbranch_execz .LBB49_47
; %bb.44:
	v_dual_mov_b32 v10, v14 :: v_dual_add_nc_u32 v8, -1, v1
	v_mov_b64_e32 v[2:3], 0
	v_mov_b64_e32 v[4:5], 0
	v_add_nc_u32_e32 v9, 0x320, v14
	s_delay_alu instid0(VALU_DEP_4)
	v_or_b32_e32 v10, 8, v10
	s_mov_b32 s3, 0
.LBB49_45:                              ; =>This Inner Loop Header: Depth=1
	scratch_load_b128 v[16:19], v10, off offset:-8
	ds_load_b128 v[20:23], v9
	v_dual_add_nc_u32 v8, 1, v8 :: v_dual_add_nc_u32 v9, 16, v9
	s_wait_xcnt 0x0
	v_add_nc_u32_e32 v10, 16, v10
	s_delay_alu instid0(VALU_DEP_2) | instskip(SKIP_4) | instid1(VALU_DEP_2)
	v_cmp_lt_u32_e32 vcc_lo, 6, v8
	s_or_b32 s3, vcc_lo, s3
	s_wait_loadcnt_dscnt 0x0
	v_mul_f64_e32 v[12:13], v[22:23], v[18:19]
	v_mul_f64_e32 v[18:19], v[20:21], v[18:19]
	v_fma_f64 v[12:13], v[20:21], v[16:17], -v[12:13]
	s_delay_alu instid0(VALU_DEP_2) | instskip(NEXT) | instid1(VALU_DEP_2)
	v_fmac_f64_e32 v[18:19], v[22:23], v[16:17]
	v_add_f64_e32 v[4:5], v[4:5], v[12:13]
	s_delay_alu instid0(VALU_DEP_2)
	v_add_f64_e32 v[2:3], v[2:3], v[18:19]
	s_and_not1_b32 exec_lo, exec_lo, s3
	s_cbranch_execnz .LBB49_45
; %bb.46:
	s_or_b32 exec_lo, exec_lo, s3
	v_mov_b32_e32 v8, 0
	ds_load_b128 v[8:11], v8 offset:128
	s_wait_dscnt 0x0
	v_mul_f64_e32 v[16:17], v[2:3], v[10:11]
	v_mul_f64_e32 v[12:13], v[4:5], v[10:11]
	s_delay_alu instid0(VALU_DEP_2) | instskip(NEXT) | instid1(VALU_DEP_2)
	v_fma_f64 v[10:11], v[4:5], v[8:9], -v[16:17]
	v_fmac_f64_e32 v[12:13], v[2:3], v[8:9]
	scratch_store_b128 off, v[10:13], off offset:128
.LBB49_47:
	s_wait_xcnt 0x0
	s_or_b32 exec_lo, exec_lo, s2
	s_wait_storecnt 0x0
	s_barrier_signal -1
	s_barrier_wait -1
	scratch_load_b128 v[2:5], off, s52
	s_mov_b32 s2, exec_lo
	s_wait_loadcnt 0x0
	ds_store_b128 v6, v[2:5]
	s_wait_dscnt 0x0
	s_barrier_signal -1
	s_barrier_wait -1
	v_cmpx_gt_u32_e32 9, v1
	s_cbranch_execz .LBB49_51
; %bb.48:
	v_dual_mov_b32 v10, v14 :: v_dual_add_nc_u32 v8, -1, v1
	v_mov_b64_e32 v[2:3], 0
	v_mov_b64_e32 v[4:5], 0
	v_add_nc_u32_e32 v9, 0x320, v14
	s_delay_alu instid0(VALU_DEP_4)
	v_or_b32_e32 v10, 8, v10
	s_mov_b32 s3, 0
.LBB49_49:                              ; =>This Inner Loop Header: Depth=1
	scratch_load_b128 v[16:19], v10, off offset:-8
	ds_load_b128 v[20:23], v9
	v_dual_add_nc_u32 v8, 1, v8 :: v_dual_add_nc_u32 v9, 16, v9
	s_wait_xcnt 0x0
	v_add_nc_u32_e32 v10, 16, v10
	s_delay_alu instid0(VALU_DEP_2) | instskip(SKIP_4) | instid1(VALU_DEP_2)
	v_cmp_lt_u32_e32 vcc_lo, 7, v8
	s_or_b32 s3, vcc_lo, s3
	s_wait_loadcnt_dscnt 0x0
	v_mul_f64_e32 v[12:13], v[22:23], v[18:19]
	v_mul_f64_e32 v[18:19], v[20:21], v[18:19]
	v_fma_f64 v[12:13], v[20:21], v[16:17], -v[12:13]
	s_delay_alu instid0(VALU_DEP_2) | instskip(NEXT) | instid1(VALU_DEP_2)
	v_fmac_f64_e32 v[18:19], v[22:23], v[16:17]
	v_add_f64_e32 v[4:5], v[4:5], v[12:13]
	s_delay_alu instid0(VALU_DEP_2)
	v_add_f64_e32 v[2:3], v[2:3], v[18:19]
	s_and_not1_b32 exec_lo, exec_lo, s3
	s_cbranch_execnz .LBB49_49
; %bb.50:
	s_or_b32 exec_lo, exec_lo, s3
	v_mov_b32_e32 v8, 0
	ds_load_b128 v[8:11], v8 offset:144
	s_wait_dscnt 0x0
	v_mul_f64_e32 v[16:17], v[2:3], v[10:11]
	v_mul_f64_e32 v[12:13], v[4:5], v[10:11]
	s_delay_alu instid0(VALU_DEP_2) | instskip(NEXT) | instid1(VALU_DEP_2)
	v_fma_f64 v[10:11], v[4:5], v[8:9], -v[16:17]
	v_fmac_f64_e32 v[12:13], v[2:3], v[8:9]
	scratch_store_b128 off, v[10:13], off offset:144
.LBB49_51:
	s_wait_xcnt 0x0
	s_or_b32 exec_lo, exec_lo, s2
	s_wait_storecnt 0x0
	s_barrier_signal -1
	s_barrier_wait -1
	scratch_load_b128 v[2:5], off, s54
	s_mov_b32 s2, exec_lo
	s_wait_loadcnt 0x0
	ds_store_b128 v6, v[2:5]
	s_wait_dscnt 0x0
	s_barrier_signal -1
	s_barrier_wait -1
	v_cmpx_gt_u32_e32 10, v1
	s_cbranch_execz .LBB49_55
; %bb.52:
	v_dual_mov_b32 v10, v14 :: v_dual_add_nc_u32 v8, -1, v1
	v_mov_b64_e32 v[2:3], 0
	v_mov_b64_e32 v[4:5], 0
	v_add_nc_u32_e32 v9, 0x320, v14
	s_delay_alu instid0(VALU_DEP_4)
	v_or_b32_e32 v10, 8, v10
	s_mov_b32 s3, 0
.LBB49_53:                              ; =>This Inner Loop Header: Depth=1
	scratch_load_b128 v[16:19], v10, off offset:-8
	ds_load_b128 v[20:23], v9
	v_dual_add_nc_u32 v8, 1, v8 :: v_dual_add_nc_u32 v9, 16, v9
	s_wait_xcnt 0x0
	v_add_nc_u32_e32 v10, 16, v10
	s_delay_alu instid0(VALU_DEP_2) | instskip(SKIP_4) | instid1(VALU_DEP_2)
	v_cmp_lt_u32_e32 vcc_lo, 8, v8
	s_or_b32 s3, vcc_lo, s3
	s_wait_loadcnt_dscnt 0x0
	v_mul_f64_e32 v[12:13], v[22:23], v[18:19]
	v_mul_f64_e32 v[18:19], v[20:21], v[18:19]
	v_fma_f64 v[12:13], v[20:21], v[16:17], -v[12:13]
	s_delay_alu instid0(VALU_DEP_2) | instskip(NEXT) | instid1(VALU_DEP_2)
	v_fmac_f64_e32 v[18:19], v[22:23], v[16:17]
	v_add_f64_e32 v[4:5], v[4:5], v[12:13]
	s_delay_alu instid0(VALU_DEP_2)
	v_add_f64_e32 v[2:3], v[2:3], v[18:19]
	s_and_not1_b32 exec_lo, exec_lo, s3
	s_cbranch_execnz .LBB49_53
; %bb.54:
	s_or_b32 exec_lo, exec_lo, s3
	v_mov_b32_e32 v8, 0
	ds_load_b128 v[8:11], v8 offset:160
	s_wait_dscnt 0x0
	v_mul_f64_e32 v[16:17], v[2:3], v[10:11]
	v_mul_f64_e32 v[12:13], v[4:5], v[10:11]
	s_delay_alu instid0(VALU_DEP_2) | instskip(NEXT) | instid1(VALU_DEP_2)
	v_fma_f64 v[10:11], v[4:5], v[8:9], -v[16:17]
	v_fmac_f64_e32 v[12:13], v[2:3], v[8:9]
	scratch_store_b128 off, v[10:13], off offset:160
.LBB49_55:
	s_wait_xcnt 0x0
	s_or_b32 exec_lo, exec_lo, s2
	s_wait_storecnt 0x0
	s_barrier_signal -1
	s_barrier_wait -1
	scratch_load_b128 v[2:5], off, s57
	s_mov_b32 s2, exec_lo
	s_wait_loadcnt 0x0
	ds_store_b128 v6, v[2:5]
	s_wait_dscnt 0x0
	s_barrier_signal -1
	s_barrier_wait -1
	v_cmpx_gt_u32_e32 11, v1
	s_cbranch_execz .LBB49_59
; %bb.56:
	v_dual_mov_b32 v10, v14 :: v_dual_add_nc_u32 v8, -1, v1
	v_mov_b64_e32 v[2:3], 0
	v_mov_b64_e32 v[4:5], 0
	v_add_nc_u32_e32 v9, 0x320, v14
	s_delay_alu instid0(VALU_DEP_4)
	v_or_b32_e32 v10, 8, v10
	s_mov_b32 s3, 0
.LBB49_57:                              ; =>This Inner Loop Header: Depth=1
	scratch_load_b128 v[16:19], v10, off offset:-8
	ds_load_b128 v[20:23], v9
	v_dual_add_nc_u32 v8, 1, v8 :: v_dual_add_nc_u32 v9, 16, v9
	s_wait_xcnt 0x0
	v_add_nc_u32_e32 v10, 16, v10
	s_delay_alu instid0(VALU_DEP_2) | instskip(SKIP_4) | instid1(VALU_DEP_2)
	v_cmp_lt_u32_e32 vcc_lo, 9, v8
	s_or_b32 s3, vcc_lo, s3
	s_wait_loadcnt_dscnt 0x0
	v_mul_f64_e32 v[12:13], v[22:23], v[18:19]
	v_mul_f64_e32 v[18:19], v[20:21], v[18:19]
	v_fma_f64 v[12:13], v[20:21], v[16:17], -v[12:13]
	s_delay_alu instid0(VALU_DEP_2) | instskip(NEXT) | instid1(VALU_DEP_2)
	v_fmac_f64_e32 v[18:19], v[22:23], v[16:17]
	v_add_f64_e32 v[4:5], v[4:5], v[12:13]
	s_delay_alu instid0(VALU_DEP_2)
	v_add_f64_e32 v[2:3], v[2:3], v[18:19]
	s_and_not1_b32 exec_lo, exec_lo, s3
	s_cbranch_execnz .LBB49_57
; %bb.58:
	s_or_b32 exec_lo, exec_lo, s3
	v_mov_b32_e32 v8, 0
	ds_load_b128 v[8:11], v8 offset:176
	s_wait_dscnt 0x0
	v_mul_f64_e32 v[16:17], v[2:3], v[10:11]
	v_mul_f64_e32 v[12:13], v[4:5], v[10:11]
	s_delay_alu instid0(VALU_DEP_2) | instskip(NEXT) | instid1(VALU_DEP_2)
	v_fma_f64 v[10:11], v[4:5], v[8:9], -v[16:17]
	v_fmac_f64_e32 v[12:13], v[2:3], v[8:9]
	scratch_store_b128 off, v[10:13], off offset:176
.LBB49_59:
	s_wait_xcnt 0x0
	s_or_b32 exec_lo, exec_lo, s2
	s_wait_storecnt 0x0
	s_barrier_signal -1
	s_barrier_wait -1
	scratch_load_b128 v[2:5], off, s59
	s_mov_b32 s2, exec_lo
	s_wait_loadcnt 0x0
	ds_store_b128 v6, v[2:5]
	s_wait_dscnt 0x0
	s_barrier_signal -1
	s_barrier_wait -1
	v_cmpx_gt_u32_e32 12, v1
	s_cbranch_execz .LBB49_63
; %bb.60:
	v_dual_mov_b32 v10, v14 :: v_dual_add_nc_u32 v8, -1, v1
	v_mov_b64_e32 v[2:3], 0
	v_mov_b64_e32 v[4:5], 0
	v_add_nc_u32_e32 v9, 0x320, v14
	s_delay_alu instid0(VALU_DEP_4)
	v_or_b32_e32 v10, 8, v10
	s_mov_b32 s3, 0
.LBB49_61:                              ; =>This Inner Loop Header: Depth=1
	scratch_load_b128 v[16:19], v10, off offset:-8
	ds_load_b128 v[20:23], v9
	v_dual_add_nc_u32 v8, 1, v8 :: v_dual_add_nc_u32 v9, 16, v9
	s_wait_xcnt 0x0
	v_add_nc_u32_e32 v10, 16, v10
	s_delay_alu instid0(VALU_DEP_2) | instskip(SKIP_4) | instid1(VALU_DEP_2)
	v_cmp_lt_u32_e32 vcc_lo, 10, v8
	s_or_b32 s3, vcc_lo, s3
	s_wait_loadcnt_dscnt 0x0
	v_mul_f64_e32 v[12:13], v[22:23], v[18:19]
	v_mul_f64_e32 v[18:19], v[20:21], v[18:19]
	v_fma_f64 v[12:13], v[20:21], v[16:17], -v[12:13]
	s_delay_alu instid0(VALU_DEP_2) | instskip(NEXT) | instid1(VALU_DEP_2)
	v_fmac_f64_e32 v[18:19], v[22:23], v[16:17]
	v_add_f64_e32 v[4:5], v[4:5], v[12:13]
	s_delay_alu instid0(VALU_DEP_2)
	v_add_f64_e32 v[2:3], v[2:3], v[18:19]
	s_and_not1_b32 exec_lo, exec_lo, s3
	s_cbranch_execnz .LBB49_61
; %bb.62:
	s_or_b32 exec_lo, exec_lo, s3
	v_mov_b32_e32 v8, 0
	ds_load_b128 v[8:11], v8 offset:192
	s_wait_dscnt 0x0
	v_mul_f64_e32 v[16:17], v[2:3], v[10:11]
	v_mul_f64_e32 v[12:13], v[4:5], v[10:11]
	s_delay_alu instid0(VALU_DEP_2) | instskip(NEXT) | instid1(VALU_DEP_2)
	v_fma_f64 v[10:11], v[4:5], v[8:9], -v[16:17]
	v_fmac_f64_e32 v[12:13], v[2:3], v[8:9]
	scratch_store_b128 off, v[10:13], off offset:192
.LBB49_63:
	s_wait_xcnt 0x0
	s_or_b32 exec_lo, exec_lo, s2
	s_wait_storecnt 0x0
	s_barrier_signal -1
	s_barrier_wait -1
	scratch_load_b128 v[2:5], off, s60
	s_mov_b32 s2, exec_lo
	s_wait_loadcnt 0x0
	ds_store_b128 v6, v[2:5]
	s_wait_dscnt 0x0
	s_barrier_signal -1
	s_barrier_wait -1
	v_cmpx_gt_u32_e32 13, v1
	s_cbranch_execz .LBB49_67
; %bb.64:
	v_dual_mov_b32 v10, v14 :: v_dual_add_nc_u32 v8, -1, v1
	v_mov_b64_e32 v[2:3], 0
	v_mov_b64_e32 v[4:5], 0
	v_add_nc_u32_e32 v9, 0x320, v14
	s_delay_alu instid0(VALU_DEP_4)
	v_or_b32_e32 v10, 8, v10
	s_mov_b32 s3, 0
.LBB49_65:                              ; =>This Inner Loop Header: Depth=1
	scratch_load_b128 v[16:19], v10, off offset:-8
	ds_load_b128 v[20:23], v9
	v_dual_add_nc_u32 v8, 1, v8 :: v_dual_add_nc_u32 v9, 16, v9
	s_wait_xcnt 0x0
	v_add_nc_u32_e32 v10, 16, v10
	s_delay_alu instid0(VALU_DEP_2) | instskip(SKIP_4) | instid1(VALU_DEP_2)
	v_cmp_lt_u32_e32 vcc_lo, 11, v8
	s_or_b32 s3, vcc_lo, s3
	s_wait_loadcnt_dscnt 0x0
	v_mul_f64_e32 v[12:13], v[22:23], v[18:19]
	v_mul_f64_e32 v[18:19], v[20:21], v[18:19]
	v_fma_f64 v[12:13], v[20:21], v[16:17], -v[12:13]
	s_delay_alu instid0(VALU_DEP_2) | instskip(NEXT) | instid1(VALU_DEP_2)
	v_fmac_f64_e32 v[18:19], v[22:23], v[16:17]
	v_add_f64_e32 v[4:5], v[4:5], v[12:13]
	s_delay_alu instid0(VALU_DEP_2)
	v_add_f64_e32 v[2:3], v[2:3], v[18:19]
	s_and_not1_b32 exec_lo, exec_lo, s3
	s_cbranch_execnz .LBB49_65
; %bb.66:
	s_or_b32 exec_lo, exec_lo, s3
	v_mov_b32_e32 v8, 0
	ds_load_b128 v[8:11], v8 offset:208
	s_wait_dscnt 0x0
	v_mul_f64_e32 v[16:17], v[2:3], v[10:11]
	v_mul_f64_e32 v[12:13], v[4:5], v[10:11]
	s_delay_alu instid0(VALU_DEP_2) | instskip(NEXT) | instid1(VALU_DEP_2)
	v_fma_f64 v[10:11], v[4:5], v[8:9], -v[16:17]
	v_fmac_f64_e32 v[12:13], v[2:3], v[8:9]
	scratch_store_b128 off, v[10:13], off offset:208
.LBB49_67:
	s_wait_xcnt 0x0
	s_or_b32 exec_lo, exec_lo, s2
	s_wait_storecnt 0x0
	s_barrier_signal -1
	s_barrier_wait -1
	scratch_load_b128 v[2:5], off, s61
	s_mov_b32 s2, exec_lo
	s_wait_loadcnt 0x0
	ds_store_b128 v6, v[2:5]
	s_wait_dscnt 0x0
	s_barrier_signal -1
	s_barrier_wait -1
	v_cmpx_gt_u32_e32 14, v1
	s_cbranch_execz .LBB49_71
; %bb.68:
	v_dual_mov_b32 v10, v14 :: v_dual_add_nc_u32 v8, -1, v1
	v_mov_b64_e32 v[2:3], 0
	v_mov_b64_e32 v[4:5], 0
	v_add_nc_u32_e32 v9, 0x320, v14
	s_delay_alu instid0(VALU_DEP_4)
	v_or_b32_e32 v10, 8, v10
	s_mov_b32 s3, 0
.LBB49_69:                              ; =>This Inner Loop Header: Depth=1
	scratch_load_b128 v[16:19], v10, off offset:-8
	ds_load_b128 v[20:23], v9
	v_dual_add_nc_u32 v8, 1, v8 :: v_dual_add_nc_u32 v9, 16, v9
	s_wait_xcnt 0x0
	v_add_nc_u32_e32 v10, 16, v10
	s_delay_alu instid0(VALU_DEP_2) | instskip(SKIP_4) | instid1(VALU_DEP_2)
	v_cmp_lt_u32_e32 vcc_lo, 12, v8
	s_or_b32 s3, vcc_lo, s3
	s_wait_loadcnt_dscnt 0x0
	v_mul_f64_e32 v[12:13], v[22:23], v[18:19]
	v_mul_f64_e32 v[18:19], v[20:21], v[18:19]
	v_fma_f64 v[12:13], v[20:21], v[16:17], -v[12:13]
	s_delay_alu instid0(VALU_DEP_2) | instskip(NEXT) | instid1(VALU_DEP_2)
	v_fmac_f64_e32 v[18:19], v[22:23], v[16:17]
	v_add_f64_e32 v[4:5], v[4:5], v[12:13]
	s_delay_alu instid0(VALU_DEP_2)
	v_add_f64_e32 v[2:3], v[2:3], v[18:19]
	s_and_not1_b32 exec_lo, exec_lo, s3
	s_cbranch_execnz .LBB49_69
; %bb.70:
	s_or_b32 exec_lo, exec_lo, s3
	v_mov_b32_e32 v8, 0
	ds_load_b128 v[8:11], v8 offset:224
	s_wait_dscnt 0x0
	v_mul_f64_e32 v[16:17], v[2:3], v[10:11]
	v_mul_f64_e32 v[12:13], v[4:5], v[10:11]
	s_delay_alu instid0(VALU_DEP_2) | instskip(NEXT) | instid1(VALU_DEP_2)
	v_fma_f64 v[10:11], v[4:5], v[8:9], -v[16:17]
	v_fmac_f64_e32 v[12:13], v[2:3], v[8:9]
	scratch_store_b128 off, v[10:13], off offset:224
.LBB49_71:
	s_wait_xcnt 0x0
	s_or_b32 exec_lo, exec_lo, s2
	s_wait_storecnt 0x0
	s_barrier_signal -1
	s_barrier_wait -1
	scratch_load_b128 v[2:5], off, s56
	s_mov_b32 s2, exec_lo
	s_wait_loadcnt 0x0
	ds_store_b128 v6, v[2:5]
	s_wait_dscnt 0x0
	s_barrier_signal -1
	s_barrier_wait -1
	v_cmpx_gt_u32_e32 15, v1
	s_cbranch_execz .LBB49_75
; %bb.72:
	v_dual_mov_b32 v10, v14 :: v_dual_add_nc_u32 v8, -1, v1
	v_mov_b64_e32 v[2:3], 0
	v_mov_b64_e32 v[4:5], 0
	v_add_nc_u32_e32 v9, 0x320, v14
	s_delay_alu instid0(VALU_DEP_4)
	v_or_b32_e32 v10, 8, v10
	s_mov_b32 s3, 0
.LBB49_73:                              ; =>This Inner Loop Header: Depth=1
	scratch_load_b128 v[16:19], v10, off offset:-8
	ds_load_b128 v[20:23], v9
	v_dual_add_nc_u32 v8, 1, v8 :: v_dual_add_nc_u32 v9, 16, v9
	s_wait_xcnt 0x0
	v_add_nc_u32_e32 v10, 16, v10
	s_delay_alu instid0(VALU_DEP_2) | instskip(SKIP_4) | instid1(VALU_DEP_2)
	v_cmp_lt_u32_e32 vcc_lo, 13, v8
	s_or_b32 s3, vcc_lo, s3
	s_wait_loadcnt_dscnt 0x0
	v_mul_f64_e32 v[12:13], v[22:23], v[18:19]
	v_mul_f64_e32 v[18:19], v[20:21], v[18:19]
	v_fma_f64 v[12:13], v[20:21], v[16:17], -v[12:13]
	s_delay_alu instid0(VALU_DEP_2) | instskip(NEXT) | instid1(VALU_DEP_2)
	v_fmac_f64_e32 v[18:19], v[22:23], v[16:17]
	v_add_f64_e32 v[4:5], v[4:5], v[12:13]
	s_delay_alu instid0(VALU_DEP_2)
	v_add_f64_e32 v[2:3], v[2:3], v[18:19]
	s_and_not1_b32 exec_lo, exec_lo, s3
	s_cbranch_execnz .LBB49_73
; %bb.74:
	s_or_b32 exec_lo, exec_lo, s3
	v_mov_b32_e32 v8, 0
	ds_load_b128 v[8:11], v8 offset:240
	s_wait_dscnt 0x0
	v_mul_f64_e32 v[16:17], v[2:3], v[10:11]
	v_mul_f64_e32 v[12:13], v[4:5], v[10:11]
	s_delay_alu instid0(VALU_DEP_2) | instskip(NEXT) | instid1(VALU_DEP_2)
	v_fma_f64 v[10:11], v[4:5], v[8:9], -v[16:17]
	v_fmac_f64_e32 v[12:13], v[2:3], v[8:9]
	scratch_store_b128 off, v[10:13], off offset:240
.LBB49_75:
	s_wait_xcnt 0x0
	s_or_b32 exec_lo, exec_lo, s2
	s_wait_storecnt 0x0
	s_barrier_signal -1
	s_barrier_wait -1
	scratch_load_b128 v[2:5], off, s40
	s_mov_b32 s2, exec_lo
	s_wait_loadcnt 0x0
	ds_store_b128 v6, v[2:5]
	s_wait_dscnt 0x0
	s_barrier_signal -1
	s_barrier_wait -1
	v_cmpx_gt_u32_e32 16, v1
	s_cbranch_execz .LBB49_79
; %bb.76:
	v_dual_mov_b32 v10, v14 :: v_dual_add_nc_u32 v8, -1, v1
	v_mov_b64_e32 v[2:3], 0
	v_mov_b64_e32 v[4:5], 0
	v_add_nc_u32_e32 v9, 0x320, v14
	s_delay_alu instid0(VALU_DEP_4)
	v_or_b32_e32 v10, 8, v10
	s_mov_b32 s3, 0
.LBB49_77:                              ; =>This Inner Loop Header: Depth=1
	scratch_load_b128 v[16:19], v10, off offset:-8
	ds_load_b128 v[20:23], v9
	v_dual_add_nc_u32 v8, 1, v8 :: v_dual_add_nc_u32 v9, 16, v9
	s_wait_xcnt 0x0
	v_add_nc_u32_e32 v10, 16, v10
	s_delay_alu instid0(VALU_DEP_2) | instskip(SKIP_4) | instid1(VALU_DEP_2)
	v_cmp_lt_u32_e32 vcc_lo, 14, v8
	s_or_b32 s3, vcc_lo, s3
	s_wait_loadcnt_dscnt 0x0
	v_mul_f64_e32 v[12:13], v[22:23], v[18:19]
	v_mul_f64_e32 v[18:19], v[20:21], v[18:19]
	v_fma_f64 v[12:13], v[20:21], v[16:17], -v[12:13]
	s_delay_alu instid0(VALU_DEP_2) | instskip(NEXT) | instid1(VALU_DEP_2)
	v_fmac_f64_e32 v[18:19], v[22:23], v[16:17]
	v_add_f64_e32 v[4:5], v[4:5], v[12:13]
	s_delay_alu instid0(VALU_DEP_2)
	v_add_f64_e32 v[2:3], v[2:3], v[18:19]
	s_and_not1_b32 exec_lo, exec_lo, s3
	s_cbranch_execnz .LBB49_77
; %bb.78:
	s_or_b32 exec_lo, exec_lo, s3
	v_mov_b32_e32 v8, 0
	ds_load_b128 v[8:11], v8 offset:256
	s_wait_dscnt 0x0
	v_mul_f64_e32 v[16:17], v[2:3], v[10:11]
	v_mul_f64_e32 v[12:13], v[4:5], v[10:11]
	s_delay_alu instid0(VALU_DEP_2) | instskip(NEXT) | instid1(VALU_DEP_2)
	v_fma_f64 v[10:11], v[4:5], v[8:9], -v[16:17]
	v_fmac_f64_e32 v[12:13], v[2:3], v[8:9]
	scratch_store_b128 off, v[10:13], off offset:256
.LBB49_79:
	s_wait_xcnt 0x0
	s_or_b32 exec_lo, exec_lo, s2
	s_wait_storecnt 0x0
	s_barrier_signal -1
	s_barrier_wait -1
	scratch_load_b128 v[2:5], off, s42
	s_mov_b32 s2, exec_lo
	s_wait_loadcnt 0x0
	ds_store_b128 v6, v[2:5]
	s_wait_dscnt 0x0
	s_barrier_signal -1
	s_barrier_wait -1
	v_cmpx_gt_u32_e32 17, v1
	s_cbranch_execz .LBB49_83
; %bb.80:
	v_dual_mov_b32 v10, v14 :: v_dual_add_nc_u32 v8, -1, v1
	v_mov_b64_e32 v[2:3], 0
	v_mov_b64_e32 v[4:5], 0
	v_add_nc_u32_e32 v9, 0x320, v14
	s_delay_alu instid0(VALU_DEP_4)
	v_or_b32_e32 v10, 8, v10
	s_mov_b32 s3, 0
.LBB49_81:                              ; =>This Inner Loop Header: Depth=1
	scratch_load_b128 v[16:19], v10, off offset:-8
	ds_load_b128 v[20:23], v9
	v_dual_add_nc_u32 v8, 1, v8 :: v_dual_add_nc_u32 v9, 16, v9
	s_wait_xcnt 0x0
	v_add_nc_u32_e32 v10, 16, v10
	s_delay_alu instid0(VALU_DEP_2) | instskip(SKIP_4) | instid1(VALU_DEP_2)
	v_cmp_lt_u32_e32 vcc_lo, 15, v8
	s_or_b32 s3, vcc_lo, s3
	s_wait_loadcnt_dscnt 0x0
	v_mul_f64_e32 v[12:13], v[22:23], v[18:19]
	v_mul_f64_e32 v[18:19], v[20:21], v[18:19]
	v_fma_f64 v[12:13], v[20:21], v[16:17], -v[12:13]
	s_delay_alu instid0(VALU_DEP_2) | instskip(NEXT) | instid1(VALU_DEP_2)
	v_fmac_f64_e32 v[18:19], v[22:23], v[16:17]
	v_add_f64_e32 v[4:5], v[4:5], v[12:13]
	s_delay_alu instid0(VALU_DEP_2)
	v_add_f64_e32 v[2:3], v[2:3], v[18:19]
	s_and_not1_b32 exec_lo, exec_lo, s3
	s_cbranch_execnz .LBB49_81
; %bb.82:
	s_or_b32 exec_lo, exec_lo, s3
	v_mov_b32_e32 v8, 0
	ds_load_b128 v[8:11], v8 offset:272
	s_wait_dscnt 0x0
	v_mul_f64_e32 v[16:17], v[2:3], v[10:11]
	v_mul_f64_e32 v[12:13], v[4:5], v[10:11]
	s_delay_alu instid0(VALU_DEP_2) | instskip(NEXT) | instid1(VALU_DEP_2)
	v_fma_f64 v[10:11], v[4:5], v[8:9], -v[16:17]
	v_fmac_f64_e32 v[12:13], v[2:3], v[8:9]
	scratch_store_b128 off, v[10:13], off offset:272
.LBB49_83:
	s_wait_xcnt 0x0
	s_or_b32 exec_lo, exec_lo, s2
	s_wait_storecnt 0x0
	s_barrier_signal -1
	s_barrier_wait -1
	scratch_load_b128 v[2:5], off, s43
	s_mov_b32 s2, exec_lo
	s_wait_loadcnt 0x0
	ds_store_b128 v6, v[2:5]
	s_wait_dscnt 0x0
	s_barrier_signal -1
	s_barrier_wait -1
	v_cmpx_gt_u32_e32 18, v1
	s_cbranch_execz .LBB49_87
; %bb.84:
	v_dual_mov_b32 v10, v14 :: v_dual_add_nc_u32 v8, -1, v1
	v_mov_b64_e32 v[2:3], 0
	v_mov_b64_e32 v[4:5], 0
	v_add_nc_u32_e32 v9, 0x320, v14
	s_delay_alu instid0(VALU_DEP_4)
	v_or_b32_e32 v10, 8, v10
	s_mov_b32 s3, 0
.LBB49_85:                              ; =>This Inner Loop Header: Depth=1
	scratch_load_b128 v[16:19], v10, off offset:-8
	ds_load_b128 v[20:23], v9
	v_dual_add_nc_u32 v8, 1, v8 :: v_dual_add_nc_u32 v9, 16, v9
	s_wait_xcnt 0x0
	v_add_nc_u32_e32 v10, 16, v10
	s_delay_alu instid0(VALU_DEP_2) | instskip(SKIP_4) | instid1(VALU_DEP_2)
	v_cmp_lt_u32_e32 vcc_lo, 16, v8
	s_or_b32 s3, vcc_lo, s3
	s_wait_loadcnt_dscnt 0x0
	v_mul_f64_e32 v[12:13], v[22:23], v[18:19]
	v_mul_f64_e32 v[18:19], v[20:21], v[18:19]
	v_fma_f64 v[12:13], v[20:21], v[16:17], -v[12:13]
	s_delay_alu instid0(VALU_DEP_2) | instskip(NEXT) | instid1(VALU_DEP_2)
	v_fmac_f64_e32 v[18:19], v[22:23], v[16:17]
	v_add_f64_e32 v[4:5], v[4:5], v[12:13]
	s_delay_alu instid0(VALU_DEP_2)
	v_add_f64_e32 v[2:3], v[2:3], v[18:19]
	s_and_not1_b32 exec_lo, exec_lo, s3
	s_cbranch_execnz .LBB49_85
; %bb.86:
	s_or_b32 exec_lo, exec_lo, s3
	v_mov_b32_e32 v8, 0
	ds_load_b128 v[8:11], v8 offset:288
	s_wait_dscnt 0x0
	v_mul_f64_e32 v[16:17], v[2:3], v[10:11]
	v_mul_f64_e32 v[12:13], v[4:5], v[10:11]
	s_delay_alu instid0(VALU_DEP_2) | instskip(NEXT) | instid1(VALU_DEP_2)
	v_fma_f64 v[10:11], v[4:5], v[8:9], -v[16:17]
	v_fmac_f64_e32 v[12:13], v[2:3], v[8:9]
	scratch_store_b128 off, v[10:13], off offset:288
.LBB49_87:
	s_wait_xcnt 0x0
	s_or_b32 exec_lo, exec_lo, s2
	s_wait_storecnt 0x0
	s_barrier_signal -1
	s_barrier_wait -1
	scratch_load_b128 v[2:5], off, s44
	s_mov_b32 s2, exec_lo
	s_wait_loadcnt 0x0
	ds_store_b128 v6, v[2:5]
	s_wait_dscnt 0x0
	s_barrier_signal -1
	s_barrier_wait -1
	v_cmpx_gt_u32_e32 19, v1
	s_cbranch_execz .LBB49_91
; %bb.88:
	v_dual_mov_b32 v10, v14 :: v_dual_add_nc_u32 v8, -1, v1
	v_mov_b64_e32 v[2:3], 0
	v_mov_b64_e32 v[4:5], 0
	v_add_nc_u32_e32 v9, 0x320, v14
	s_delay_alu instid0(VALU_DEP_4)
	v_or_b32_e32 v10, 8, v10
	s_mov_b32 s3, 0
.LBB49_89:                              ; =>This Inner Loop Header: Depth=1
	scratch_load_b128 v[16:19], v10, off offset:-8
	ds_load_b128 v[20:23], v9
	v_dual_add_nc_u32 v8, 1, v8 :: v_dual_add_nc_u32 v9, 16, v9
	s_wait_xcnt 0x0
	v_add_nc_u32_e32 v10, 16, v10
	s_delay_alu instid0(VALU_DEP_2) | instskip(SKIP_4) | instid1(VALU_DEP_2)
	v_cmp_lt_u32_e32 vcc_lo, 17, v8
	s_or_b32 s3, vcc_lo, s3
	s_wait_loadcnt_dscnt 0x0
	v_mul_f64_e32 v[12:13], v[22:23], v[18:19]
	v_mul_f64_e32 v[18:19], v[20:21], v[18:19]
	v_fma_f64 v[12:13], v[20:21], v[16:17], -v[12:13]
	s_delay_alu instid0(VALU_DEP_2) | instskip(NEXT) | instid1(VALU_DEP_2)
	v_fmac_f64_e32 v[18:19], v[22:23], v[16:17]
	v_add_f64_e32 v[4:5], v[4:5], v[12:13]
	s_delay_alu instid0(VALU_DEP_2)
	v_add_f64_e32 v[2:3], v[2:3], v[18:19]
	s_and_not1_b32 exec_lo, exec_lo, s3
	s_cbranch_execnz .LBB49_89
; %bb.90:
	s_or_b32 exec_lo, exec_lo, s3
	v_mov_b32_e32 v8, 0
	ds_load_b128 v[8:11], v8 offset:304
	s_wait_dscnt 0x0
	v_mul_f64_e32 v[16:17], v[2:3], v[10:11]
	v_mul_f64_e32 v[12:13], v[4:5], v[10:11]
	s_delay_alu instid0(VALU_DEP_2) | instskip(NEXT) | instid1(VALU_DEP_2)
	v_fma_f64 v[10:11], v[4:5], v[8:9], -v[16:17]
	v_fmac_f64_e32 v[12:13], v[2:3], v[8:9]
	scratch_store_b128 off, v[10:13], off offset:304
.LBB49_91:
	s_wait_xcnt 0x0
	s_or_b32 exec_lo, exec_lo, s2
	s_wait_storecnt 0x0
	s_barrier_signal -1
	s_barrier_wait -1
	scratch_load_b128 v[2:5], off, s45
	s_mov_b32 s2, exec_lo
	s_wait_loadcnt 0x0
	ds_store_b128 v6, v[2:5]
	s_wait_dscnt 0x0
	s_barrier_signal -1
	s_barrier_wait -1
	v_cmpx_gt_u32_e32 20, v1
	s_cbranch_execz .LBB49_95
; %bb.92:
	v_dual_mov_b32 v10, v14 :: v_dual_add_nc_u32 v8, -1, v1
	v_mov_b64_e32 v[2:3], 0
	v_mov_b64_e32 v[4:5], 0
	v_add_nc_u32_e32 v9, 0x320, v14
	s_delay_alu instid0(VALU_DEP_4)
	v_or_b32_e32 v10, 8, v10
	s_mov_b32 s3, 0
.LBB49_93:                              ; =>This Inner Loop Header: Depth=1
	scratch_load_b128 v[16:19], v10, off offset:-8
	ds_load_b128 v[20:23], v9
	v_dual_add_nc_u32 v8, 1, v8 :: v_dual_add_nc_u32 v9, 16, v9
	s_wait_xcnt 0x0
	v_add_nc_u32_e32 v10, 16, v10
	s_delay_alu instid0(VALU_DEP_2) | instskip(SKIP_4) | instid1(VALU_DEP_2)
	v_cmp_lt_u32_e32 vcc_lo, 18, v8
	s_or_b32 s3, vcc_lo, s3
	s_wait_loadcnt_dscnt 0x0
	v_mul_f64_e32 v[12:13], v[22:23], v[18:19]
	v_mul_f64_e32 v[18:19], v[20:21], v[18:19]
	v_fma_f64 v[12:13], v[20:21], v[16:17], -v[12:13]
	s_delay_alu instid0(VALU_DEP_2) | instskip(NEXT) | instid1(VALU_DEP_2)
	v_fmac_f64_e32 v[18:19], v[22:23], v[16:17]
	v_add_f64_e32 v[4:5], v[4:5], v[12:13]
	s_delay_alu instid0(VALU_DEP_2)
	v_add_f64_e32 v[2:3], v[2:3], v[18:19]
	s_and_not1_b32 exec_lo, exec_lo, s3
	s_cbranch_execnz .LBB49_93
; %bb.94:
	s_or_b32 exec_lo, exec_lo, s3
	v_mov_b32_e32 v8, 0
	ds_load_b128 v[8:11], v8 offset:320
	s_wait_dscnt 0x0
	v_mul_f64_e32 v[16:17], v[2:3], v[10:11]
	v_mul_f64_e32 v[12:13], v[4:5], v[10:11]
	s_delay_alu instid0(VALU_DEP_2) | instskip(NEXT) | instid1(VALU_DEP_2)
	v_fma_f64 v[10:11], v[4:5], v[8:9], -v[16:17]
	v_fmac_f64_e32 v[12:13], v[2:3], v[8:9]
	scratch_store_b128 off, v[10:13], off offset:320
.LBB49_95:
	s_wait_xcnt 0x0
	s_or_b32 exec_lo, exec_lo, s2
	s_wait_storecnt 0x0
	s_barrier_signal -1
	s_barrier_wait -1
	scratch_load_b128 v[2:5], off, s39
	s_mov_b32 s2, exec_lo
	s_wait_loadcnt 0x0
	ds_store_b128 v6, v[2:5]
	s_wait_dscnt 0x0
	s_barrier_signal -1
	s_barrier_wait -1
	v_cmpx_gt_u32_e32 21, v1
	s_cbranch_execz .LBB49_99
; %bb.96:
	v_dual_mov_b32 v10, v14 :: v_dual_add_nc_u32 v8, -1, v1
	v_mov_b64_e32 v[2:3], 0
	v_mov_b64_e32 v[4:5], 0
	v_add_nc_u32_e32 v9, 0x320, v14
	s_delay_alu instid0(VALU_DEP_4)
	v_or_b32_e32 v10, 8, v10
	s_mov_b32 s3, 0
.LBB49_97:                              ; =>This Inner Loop Header: Depth=1
	scratch_load_b128 v[16:19], v10, off offset:-8
	ds_load_b128 v[20:23], v9
	v_dual_add_nc_u32 v8, 1, v8 :: v_dual_add_nc_u32 v9, 16, v9
	s_wait_xcnt 0x0
	v_add_nc_u32_e32 v10, 16, v10
	s_delay_alu instid0(VALU_DEP_2) | instskip(SKIP_4) | instid1(VALU_DEP_2)
	v_cmp_lt_u32_e32 vcc_lo, 19, v8
	s_or_b32 s3, vcc_lo, s3
	s_wait_loadcnt_dscnt 0x0
	v_mul_f64_e32 v[12:13], v[22:23], v[18:19]
	v_mul_f64_e32 v[18:19], v[20:21], v[18:19]
	v_fma_f64 v[12:13], v[20:21], v[16:17], -v[12:13]
	s_delay_alu instid0(VALU_DEP_2) | instskip(NEXT) | instid1(VALU_DEP_2)
	v_fmac_f64_e32 v[18:19], v[22:23], v[16:17]
	v_add_f64_e32 v[4:5], v[4:5], v[12:13]
	s_delay_alu instid0(VALU_DEP_2)
	v_add_f64_e32 v[2:3], v[2:3], v[18:19]
	s_and_not1_b32 exec_lo, exec_lo, s3
	s_cbranch_execnz .LBB49_97
; %bb.98:
	s_or_b32 exec_lo, exec_lo, s3
	v_mov_b32_e32 v8, 0
	ds_load_b128 v[8:11], v8 offset:336
	s_wait_dscnt 0x0
	v_mul_f64_e32 v[16:17], v[2:3], v[10:11]
	v_mul_f64_e32 v[12:13], v[4:5], v[10:11]
	s_delay_alu instid0(VALU_DEP_2) | instskip(NEXT) | instid1(VALU_DEP_2)
	v_fma_f64 v[10:11], v[4:5], v[8:9], -v[16:17]
	v_fmac_f64_e32 v[12:13], v[2:3], v[8:9]
	scratch_store_b128 off, v[10:13], off offset:336
.LBB49_99:
	s_wait_xcnt 0x0
	s_or_b32 exec_lo, exec_lo, s2
	s_wait_storecnt 0x0
	s_barrier_signal -1
	s_barrier_wait -1
	scratch_load_b128 v[2:5], off, s41
	s_mov_b32 s2, exec_lo
	s_wait_loadcnt 0x0
	ds_store_b128 v6, v[2:5]
	s_wait_dscnt 0x0
	s_barrier_signal -1
	s_barrier_wait -1
	v_cmpx_gt_u32_e32 22, v1
	s_cbranch_execz .LBB49_103
; %bb.100:
	v_dual_mov_b32 v10, v14 :: v_dual_add_nc_u32 v8, -1, v1
	v_mov_b64_e32 v[2:3], 0
	v_mov_b64_e32 v[4:5], 0
	v_add_nc_u32_e32 v9, 0x320, v14
	s_delay_alu instid0(VALU_DEP_4)
	v_or_b32_e32 v10, 8, v10
	s_mov_b32 s3, 0
.LBB49_101:                             ; =>This Inner Loop Header: Depth=1
	scratch_load_b128 v[16:19], v10, off offset:-8
	ds_load_b128 v[20:23], v9
	v_dual_add_nc_u32 v8, 1, v8 :: v_dual_add_nc_u32 v9, 16, v9
	s_wait_xcnt 0x0
	v_add_nc_u32_e32 v10, 16, v10
	s_delay_alu instid0(VALU_DEP_2) | instskip(SKIP_4) | instid1(VALU_DEP_2)
	v_cmp_lt_u32_e32 vcc_lo, 20, v8
	s_or_b32 s3, vcc_lo, s3
	s_wait_loadcnt_dscnt 0x0
	v_mul_f64_e32 v[12:13], v[22:23], v[18:19]
	v_mul_f64_e32 v[18:19], v[20:21], v[18:19]
	v_fma_f64 v[12:13], v[20:21], v[16:17], -v[12:13]
	s_delay_alu instid0(VALU_DEP_2) | instskip(NEXT) | instid1(VALU_DEP_2)
	v_fmac_f64_e32 v[18:19], v[22:23], v[16:17]
	v_add_f64_e32 v[4:5], v[4:5], v[12:13]
	s_delay_alu instid0(VALU_DEP_2)
	v_add_f64_e32 v[2:3], v[2:3], v[18:19]
	s_and_not1_b32 exec_lo, exec_lo, s3
	s_cbranch_execnz .LBB49_101
; %bb.102:
	s_or_b32 exec_lo, exec_lo, s3
	v_mov_b32_e32 v8, 0
	ds_load_b128 v[8:11], v8 offset:352
	s_wait_dscnt 0x0
	v_mul_f64_e32 v[16:17], v[2:3], v[10:11]
	v_mul_f64_e32 v[12:13], v[4:5], v[10:11]
	s_delay_alu instid0(VALU_DEP_2) | instskip(NEXT) | instid1(VALU_DEP_2)
	v_fma_f64 v[10:11], v[4:5], v[8:9], -v[16:17]
	v_fmac_f64_e32 v[12:13], v[2:3], v[8:9]
	scratch_store_b128 off, v[10:13], off offset:352
.LBB49_103:
	s_wait_xcnt 0x0
	s_or_b32 exec_lo, exec_lo, s2
	s_wait_storecnt 0x0
	s_barrier_signal -1
	s_barrier_wait -1
	scratch_load_b128 v[2:5], off, s37
	s_mov_b32 s2, exec_lo
	s_wait_loadcnt 0x0
	ds_store_b128 v6, v[2:5]
	s_wait_dscnt 0x0
	s_barrier_signal -1
	s_barrier_wait -1
	v_cmpx_gt_u32_e32 23, v1
	s_cbranch_execz .LBB49_107
; %bb.104:
	v_dual_mov_b32 v10, v14 :: v_dual_add_nc_u32 v8, -1, v1
	v_mov_b64_e32 v[2:3], 0
	v_mov_b64_e32 v[4:5], 0
	v_add_nc_u32_e32 v9, 0x320, v14
	s_delay_alu instid0(VALU_DEP_4)
	v_or_b32_e32 v10, 8, v10
	s_mov_b32 s3, 0
.LBB49_105:                             ; =>This Inner Loop Header: Depth=1
	scratch_load_b128 v[16:19], v10, off offset:-8
	ds_load_b128 v[20:23], v9
	v_dual_add_nc_u32 v8, 1, v8 :: v_dual_add_nc_u32 v9, 16, v9
	s_wait_xcnt 0x0
	v_add_nc_u32_e32 v10, 16, v10
	s_delay_alu instid0(VALU_DEP_2) | instskip(SKIP_4) | instid1(VALU_DEP_2)
	v_cmp_lt_u32_e32 vcc_lo, 21, v8
	s_or_b32 s3, vcc_lo, s3
	s_wait_loadcnt_dscnt 0x0
	v_mul_f64_e32 v[12:13], v[22:23], v[18:19]
	v_mul_f64_e32 v[18:19], v[20:21], v[18:19]
	v_fma_f64 v[12:13], v[20:21], v[16:17], -v[12:13]
	s_delay_alu instid0(VALU_DEP_2) | instskip(NEXT) | instid1(VALU_DEP_2)
	v_fmac_f64_e32 v[18:19], v[22:23], v[16:17]
	v_add_f64_e32 v[4:5], v[4:5], v[12:13]
	s_delay_alu instid0(VALU_DEP_2)
	v_add_f64_e32 v[2:3], v[2:3], v[18:19]
	s_and_not1_b32 exec_lo, exec_lo, s3
	s_cbranch_execnz .LBB49_105
; %bb.106:
	s_or_b32 exec_lo, exec_lo, s3
	v_mov_b32_e32 v8, 0
	ds_load_b128 v[8:11], v8 offset:368
	s_wait_dscnt 0x0
	v_mul_f64_e32 v[16:17], v[2:3], v[10:11]
	v_mul_f64_e32 v[12:13], v[4:5], v[10:11]
	s_delay_alu instid0(VALU_DEP_2) | instskip(NEXT) | instid1(VALU_DEP_2)
	v_fma_f64 v[10:11], v[4:5], v[8:9], -v[16:17]
	v_fmac_f64_e32 v[12:13], v[2:3], v[8:9]
	scratch_store_b128 off, v[10:13], off offset:368
.LBB49_107:
	s_wait_xcnt 0x0
	s_or_b32 exec_lo, exec_lo, s2
	s_wait_storecnt 0x0
	s_barrier_signal -1
	s_barrier_wait -1
	scratch_load_b128 v[2:5], off, s38
	;; [unrolled: 54-line block ×27, first 2 shown]
	s_mov_b32 s2, exec_lo
	s_wait_loadcnt 0x0
	ds_store_b128 v6, v[2:5]
	s_wait_dscnt 0x0
	s_barrier_signal -1
	s_barrier_wait -1
	v_cmpx_ne_u32_e32 49, v1
	s_cbranch_execz .LBB49_211
; %bb.208:
	v_mov_b32_e32 v8, v14
	v_mov_b64_e32 v[2:3], 0
	v_mov_b64_e32 v[4:5], 0
	s_mov_b32 s3, 0
	s_delay_alu instid0(VALU_DEP_3)
	v_or_b32_e32 v8, 8, v8
.LBB49_209:                             ; =>This Inner Loop Header: Depth=1
	scratch_load_b128 v[10:13], v8, off offset:-8
	ds_load_b128 v[14:17], v6
	v_dual_add_nc_u32 v7, 1, v7 :: v_dual_add_nc_u32 v6, 16, v6
	s_wait_xcnt 0x0
	v_add_nc_u32_e32 v8, 16, v8
	s_delay_alu instid0(VALU_DEP_2) | instskip(SKIP_4) | instid1(VALU_DEP_2)
	v_cmp_lt_u32_e32 vcc_lo, 47, v7
	s_or_b32 s3, vcc_lo, s3
	s_wait_loadcnt_dscnt 0x0
	v_mul_f64_e32 v[18:19], v[16:17], v[12:13]
	v_mul_f64_e32 v[12:13], v[14:15], v[12:13]
	v_fma_f64 v[14:15], v[14:15], v[10:11], -v[18:19]
	s_delay_alu instid0(VALU_DEP_2) | instskip(NEXT) | instid1(VALU_DEP_2)
	v_fmac_f64_e32 v[12:13], v[16:17], v[10:11]
	v_add_f64_e32 v[4:5], v[4:5], v[14:15]
	s_delay_alu instid0(VALU_DEP_2)
	v_add_f64_e32 v[2:3], v[2:3], v[12:13]
	s_and_not1_b32 exec_lo, exec_lo, s3
	s_cbranch_execnz .LBB49_209
; %bb.210:
	s_or_b32 exec_lo, exec_lo, s3
	v_mov_b32_e32 v6, 0
	ds_load_b128 v[6:9], v6 offset:784
	s_wait_dscnt 0x0
	v_mul_f64_e32 v[12:13], v[2:3], v[8:9]
	v_mul_f64_e32 v[10:11], v[4:5], v[8:9]
	s_delay_alu instid0(VALU_DEP_2) | instskip(NEXT) | instid1(VALU_DEP_2)
	v_fma_f64 v[8:9], v[4:5], v[6:7], -v[12:13]
	v_fmac_f64_e32 v[10:11], v[2:3], v[6:7]
	scratch_store_b128 off, v[8:11], off offset:784
.LBB49_211:
	s_wait_xcnt 0x0
	s_or_b32 exec_lo, exec_lo, s2
	s_mov_b32 s3, -1
	s_wait_storecnt 0x0
	s_barrier_signal -1
	s_barrier_wait -1
.LBB49_212:
	s_and_b32 vcc_lo, exec_lo, s3
	s_cbranch_vccz .LBB49_214
; %bb.213:
	s_wait_xcnt 0x14
	v_mov_b32_e32 v2, 0
	s_lshl_b64 s[2:3], s[18:19], 2
	s_delay_alu instid0(SALU_CYCLE_1)
	s_add_nc_u64 s[2:3], s[6:7], s[2:3]
	global_load_b32 v2, v2, s[2:3]
	s_wait_loadcnt 0x0
	v_cmp_ne_u32_e32 vcc_lo, 0, v2
	s_cbranch_vccz .LBB49_215
.LBB49_214:
	s_sendmsg sendmsg(MSG_DEALLOC_VGPRS)
	s_endpgm
.LBB49_215:
	s_wait_xcnt 0x10
	v_lshl_add_u32 v124, v1, 4, 0x320
	s_wait_xcnt 0x0
	s_mov_b32 s2, exec_lo
	v_cmpx_eq_u32_e32 49, v1
	s_cbranch_execz .LBB49_217
; %bb.216:
	scratch_load_b128 v[2:5], off, s20
	v_mov_b32_e32 v6, 0
	s_delay_alu instid0(VALU_DEP_1)
	v_dual_mov_b32 v7, v6 :: v_dual_mov_b32 v8, v6
	v_mov_b32_e32 v9, v6
	scratch_store_b128 off, v[6:9], off offset:768
	s_wait_loadcnt 0x0
	ds_store_b128 v124, v[2:5]
.LBB49_217:
	s_wait_xcnt 0x0
	s_or_b32 exec_lo, exec_lo, s2
	s_wait_storecnt_dscnt 0x0
	s_barrier_signal -1
	s_barrier_wait -1
	s_clause 0x1
	scratch_load_b128 v[4:7], off, off offset:784
	scratch_load_b128 v[8:11], off, off offset:768
	v_mov_b32_e32 v2, 0
	s_mov_b32 s2, exec_lo
	ds_load_b128 v[12:15], v2 offset:1584
	s_wait_loadcnt_dscnt 0x100
	v_mul_f64_e32 v[16:17], v[14:15], v[6:7]
	v_mul_f64_e32 v[6:7], v[12:13], v[6:7]
	s_delay_alu instid0(VALU_DEP_2) | instskip(NEXT) | instid1(VALU_DEP_2)
	v_fma_f64 v[12:13], v[12:13], v[4:5], -v[16:17]
	v_fmac_f64_e32 v[6:7], v[14:15], v[4:5]
	s_delay_alu instid0(VALU_DEP_2) | instskip(NEXT) | instid1(VALU_DEP_2)
	v_add_f64_e32 v[4:5], 0, v[12:13]
	v_add_f64_e32 v[6:7], 0, v[6:7]
	s_wait_loadcnt 0x0
	s_delay_alu instid0(VALU_DEP_2) | instskip(NEXT) | instid1(VALU_DEP_2)
	v_add_f64_e64 v[4:5], v[8:9], -v[4:5]
	v_add_f64_e64 v[6:7], v[10:11], -v[6:7]
	scratch_store_b128 off, v[4:7], off offset:768
	s_wait_xcnt 0x0
	v_cmpx_lt_u32_e32 47, v1
	s_cbranch_execz .LBB49_219
; %bb.218:
	scratch_load_b128 v[6:9], off, s14
	v_dual_mov_b32 v3, v2 :: v_dual_mov_b32 v4, v2
	v_mov_b32_e32 v5, v2
	scratch_store_b128 off, v[2:5], off offset:752
	s_wait_loadcnt 0x0
	ds_store_b128 v124, v[6:9]
.LBB49_219:
	s_wait_xcnt 0x0
	s_or_b32 exec_lo, exec_lo, s2
	s_wait_storecnt_dscnt 0x0
	s_barrier_signal -1
	s_barrier_wait -1
	s_clause 0x2
	scratch_load_b128 v[4:7], off, off offset:768
	scratch_load_b128 v[8:11], off, off offset:784
	;; [unrolled: 1-line block ×3, first 2 shown]
	ds_load_b128 v[16:19], v2 offset:1568
	ds_load_b128 v[20:23], v2 offset:1584
	s_mov_b32 s2, exec_lo
	s_wait_loadcnt_dscnt 0x201
	v_mul_f64_e32 v[2:3], v[18:19], v[6:7]
	v_mul_f64_e32 v[6:7], v[16:17], v[6:7]
	s_wait_loadcnt_dscnt 0x100
	v_mul_f64_e32 v[126:127], v[20:21], v[10:11]
	v_mul_f64_e32 v[10:11], v[22:23], v[10:11]
	s_delay_alu instid0(VALU_DEP_4) | instskip(NEXT) | instid1(VALU_DEP_4)
	v_fma_f64 v[2:3], v[16:17], v[4:5], -v[2:3]
	v_fmac_f64_e32 v[6:7], v[18:19], v[4:5]
	s_delay_alu instid0(VALU_DEP_4) | instskip(NEXT) | instid1(VALU_DEP_4)
	v_fmac_f64_e32 v[126:127], v[22:23], v[8:9]
	v_fma_f64 v[4:5], v[20:21], v[8:9], -v[10:11]
	s_delay_alu instid0(VALU_DEP_4) | instskip(NEXT) | instid1(VALU_DEP_4)
	v_add_f64_e32 v[2:3], 0, v[2:3]
	v_add_f64_e32 v[6:7], 0, v[6:7]
	s_delay_alu instid0(VALU_DEP_2) | instskip(NEXT) | instid1(VALU_DEP_2)
	v_add_f64_e32 v[2:3], v[2:3], v[4:5]
	v_add_f64_e32 v[4:5], v[6:7], v[126:127]
	s_wait_loadcnt 0x0
	s_delay_alu instid0(VALU_DEP_2) | instskip(NEXT) | instid1(VALU_DEP_2)
	v_add_f64_e64 v[2:3], v[12:13], -v[2:3]
	v_add_f64_e64 v[4:5], v[14:15], -v[4:5]
	scratch_store_b128 off, v[2:5], off offset:752
	s_wait_xcnt 0x0
	v_cmpx_lt_u32_e32 46, v1
	s_cbranch_execz .LBB49_221
; %bb.220:
	scratch_load_b128 v[2:5], off, s25
	v_mov_b32_e32 v6, 0
	s_delay_alu instid0(VALU_DEP_1)
	v_dual_mov_b32 v7, v6 :: v_dual_mov_b32 v8, v6
	v_mov_b32_e32 v9, v6
	scratch_store_b128 off, v[6:9], off offset:736
	s_wait_loadcnt 0x0
	ds_store_b128 v124, v[2:5]
.LBB49_221:
	s_wait_xcnt 0x0
	s_or_b32 exec_lo, exec_lo, s2
	s_wait_storecnt_dscnt 0x0
	s_barrier_signal -1
	s_barrier_wait -1
	s_clause 0x3
	scratch_load_b128 v[4:7], off, off offset:752
	scratch_load_b128 v[8:11], off, off offset:768
	;; [unrolled: 1-line block ×4, first 2 shown]
	v_mov_b32_e32 v2, 0
	ds_load_b128 v[20:23], v2 offset:1552
	ds_load_b128 v[126:129], v2 offset:1568
	s_mov_b32 s2, exec_lo
	s_wait_loadcnt_dscnt 0x301
	v_mul_f64_e32 v[130:131], v[22:23], v[6:7]
	v_mul_f64_e32 v[132:133], v[20:21], v[6:7]
	s_wait_loadcnt_dscnt 0x200
	v_mul_f64_e32 v[134:135], v[126:127], v[10:11]
	v_mul_f64_e32 v[10:11], v[128:129], v[10:11]
	s_delay_alu instid0(VALU_DEP_4) | instskip(NEXT) | instid1(VALU_DEP_4)
	v_fma_f64 v[20:21], v[20:21], v[4:5], -v[130:131]
	v_fmac_f64_e32 v[132:133], v[22:23], v[4:5]
	ds_load_b128 v[4:7], v2 offset:1584
	v_fmac_f64_e32 v[134:135], v[128:129], v[8:9]
	v_fma_f64 v[8:9], v[126:127], v[8:9], -v[10:11]
	s_wait_loadcnt_dscnt 0x100
	v_mul_f64_e32 v[22:23], v[4:5], v[14:15]
	v_mul_f64_e32 v[14:15], v[6:7], v[14:15]
	v_add_f64_e32 v[10:11], 0, v[20:21]
	v_add_f64_e32 v[20:21], 0, v[132:133]
	s_delay_alu instid0(VALU_DEP_4) | instskip(NEXT) | instid1(VALU_DEP_4)
	v_fmac_f64_e32 v[22:23], v[6:7], v[12:13]
	v_fma_f64 v[4:5], v[4:5], v[12:13], -v[14:15]
	s_delay_alu instid0(VALU_DEP_4) | instskip(NEXT) | instid1(VALU_DEP_4)
	v_add_f64_e32 v[6:7], v[10:11], v[8:9]
	v_add_f64_e32 v[8:9], v[20:21], v[134:135]
	s_delay_alu instid0(VALU_DEP_2) | instskip(NEXT) | instid1(VALU_DEP_2)
	v_add_f64_e32 v[4:5], v[6:7], v[4:5]
	v_add_f64_e32 v[6:7], v[8:9], v[22:23]
	s_wait_loadcnt 0x0
	s_delay_alu instid0(VALU_DEP_2) | instskip(NEXT) | instid1(VALU_DEP_2)
	v_add_f64_e64 v[4:5], v[16:17], -v[4:5]
	v_add_f64_e64 v[6:7], v[18:19], -v[6:7]
	scratch_store_b128 off, v[4:7], off offset:736
	s_wait_xcnt 0x0
	v_cmpx_lt_u32_e32 45, v1
	s_cbranch_execz .LBB49_223
; %bb.222:
	scratch_load_b128 v[6:9], off, s22
	v_dual_mov_b32 v3, v2 :: v_dual_mov_b32 v4, v2
	v_mov_b32_e32 v5, v2
	scratch_store_b128 off, v[2:5], off offset:720
	s_wait_loadcnt 0x0
	ds_store_b128 v124, v[6:9]
.LBB49_223:
	s_wait_xcnt 0x0
	s_or_b32 exec_lo, exec_lo, s2
	s_wait_storecnt_dscnt 0x0
	s_barrier_signal -1
	s_barrier_wait -1
	s_clause 0x4
	scratch_load_b128 v[4:7], off, off offset:736
	scratch_load_b128 v[8:11], off, off offset:752
	;; [unrolled: 1-line block ×5, first 2 shown]
	ds_load_b128 v[126:129], v2 offset:1536
	ds_load_b128 v[130:133], v2 offset:1552
	s_mov_b32 s2, exec_lo
	s_wait_loadcnt_dscnt 0x401
	v_mul_f64_e32 v[134:135], v[128:129], v[6:7]
	v_mul_f64_e32 v[136:137], v[126:127], v[6:7]
	s_wait_loadcnt_dscnt 0x300
	v_mul_f64_e32 v[138:139], v[130:131], v[10:11]
	v_mul_f64_e32 v[10:11], v[132:133], v[10:11]
	s_delay_alu instid0(VALU_DEP_4) | instskip(NEXT) | instid1(VALU_DEP_4)
	v_fma_f64 v[134:135], v[126:127], v[4:5], -v[134:135]
	v_fmac_f64_e32 v[136:137], v[128:129], v[4:5]
	ds_load_b128 v[4:7], v2 offset:1568
	ds_load_b128 v[126:129], v2 offset:1584
	v_fmac_f64_e32 v[138:139], v[132:133], v[8:9]
	v_fma_f64 v[8:9], v[130:131], v[8:9], -v[10:11]
	s_wait_loadcnt_dscnt 0x201
	v_mul_f64_e32 v[2:3], v[4:5], v[14:15]
	v_mul_f64_e32 v[14:15], v[6:7], v[14:15]
	s_wait_loadcnt_dscnt 0x100
	v_mul_f64_e32 v[132:133], v[126:127], v[18:19]
	v_mul_f64_e32 v[18:19], v[128:129], v[18:19]
	v_add_f64_e32 v[10:11], 0, v[134:135]
	v_add_f64_e32 v[130:131], 0, v[136:137]
	v_fmac_f64_e32 v[2:3], v[6:7], v[12:13]
	v_fma_f64 v[4:5], v[4:5], v[12:13], -v[14:15]
	v_fmac_f64_e32 v[132:133], v[128:129], v[16:17]
	v_add_f64_e32 v[6:7], v[10:11], v[8:9]
	v_add_f64_e32 v[8:9], v[130:131], v[138:139]
	v_fma_f64 v[10:11], v[126:127], v[16:17], -v[18:19]
	s_delay_alu instid0(VALU_DEP_3) | instskip(NEXT) | instid1(VALU_DEP_3)
	v_add_f64_e32 v[4:5], v[6:7], v[4:5]
	v_add_f64_e32 v[2:3], v[8:9], v[2:3]
	s_delay_alu instid0(VALU_DEP_2) | instskip(NEXT) | instid1(VALU_DEP_2)
	v_add_f64_e32 v[4:5], v[4:5], v[10:11]
	v_add_f64_e32 v[6:7], v[2:3], v[132:133]
	s_wait_loadcnt 0x0
	s_delay_alu instid0(VALU_DEP_2) | instskip(NEXT) | instid1(VALU_DEP_2)
	v_add_f64_e64 v[2:3], v[20:21], -v[4:5]
	v_add_f64_e64 v[4:5], v[22:23], -v[6:7]
	scratch_store_b128 off, v[2:5], off offset:720
	s_wait_xcnt 0x0
	v_cmpx_lt_u32_e32 44, v1
	s_cbranch_execz .LBB49_225
; %bb.224:
	scratch_load_b128 v[2:5], off, s28
	v_mov_b32_e32 v6, 0
	s_delay_alu instid0(VALU_DEP_1)
	v_dual_mov_b32 v7, v6 :: v_dual_mov_b32 v8, v6
	v_mov_b32_e32 v9, v6
	scratch_store_b128 off, v[6:9], off offset:704
	s_wait_loadcnt 0x0
	ds_store_b128 v124, v[2:5]
.LBB49_225:
	s_wait_xcnt 0x0
	s_or_b32 exec_lo, exec_lo, s2
	s_wait_storecnt_dscnt 0x0
	s_barrier_signal -1
	s_barrier_wait -1
	s_clause 0x5
	scratch_load_b128 v[4:7], off, off offset:720
	scratch_load_b128 v[8:11], off, off offset:736
	;; [unrolled: 1-line block ×6, first 2 shown]
	v_mov_b32_e32 v2, 0
	ds_load_b128 v[130:133], v2 offset:1520
	ds_load_b128 v[134:137], v2 offset:1536
	s_mov_b32 s2, exec_lo
	s_wait_loadcnt_dscnt 0x501
	v_mul_f64_e32 v[138:139], v[132:133], v[6:7]
	v_mul_f64_e32 v[140:141], v[130:131], v[6:7]
	s_wait_loadcnt_dscnt 0x400
	v_mul_f64_e32 v[142:143], v[134:135], v[10:11]
	v_mul_f64_e32 v[10:11], v[136:137], v[10:11]
	s_delay_alu instid0(VALU_DEP_4) | instskip(NEXT) | instid1(VALU_DEP_4)
	v_fma_f64 v[138:139], v[130:131], v[4:5], -v[138:139]
	v_fmac_f64_e32 v[140:141], v[132:133], v[4:5]
	ds_load_b128 v[4:7], v2 offset:1552
	ds_load_b128 v[130:133], v2 offset:1568
	v_fmac_f64_e32 v[142:143], v[136:137], v[8:9]
	v_fma_f64 v[8:9], v[134:135], v[8:9], -v[10:11]
	s_wait_loadcnt_dscnt 0x301
	v_mul_f64_e32 v[144:145], v[4:5], v[14:15]
	v_mul_f64_e32 v[14:15], v[6:7], v[14:15]
	s_wait_loadcnt_dscnt 0x200
	v_mul_f64_e32 v[136:137], v[130:131], v[18:19]
	v_mul_f64_e32 v[18:19], v[132:133], v[18:19]
	v_add_f64_e32 v[10:11], 0, v[138:139]
	v_add_f64_e32 v[134:135], 0, v[140:141]
	v_fmac_f64_e32 v[144:145], v[6:7], v[12:13]
	v_fma_f64 v[12:13], v[4:5], v[12:13], -v[14:15]
	ds_load_b128 v[4:7], v2 offset:1584
	v_fmac_f64_e32 v[136:137], v[132:133], v[16:17]
	v_fma_f64 v[16:17], v[130:131], v[16:17], -v[18:19]
	v_add_f64_e32 v[8:9], v[10:11], v[8:9]
	v_add_f64_e32 v[10:11], v[134:135], v[142:143]
	s_wait_loadcnt_dscnt 0x100
	v_mul_f64_e32 v[14:15], v[4:5], v[22:23]
	v_mul_f64_e32 v[22:23], v[6:7], v[22:23]
	s_delay_alu instid0(VALU_DEP_4) | instskip(NEXT) | instid1(VALU_DEP_4)
	v_add_f64_e32 v[8:9], v[8:9], v[12:13]
	v_add_f64_e32 v[10:11], v[10:11], v[144:145]
	s_delay_alu instid0(VALU_DEP_4) | instskip(NEXT) | instid1(VALU_DEP_4)
	v_fmac_f64_e32 v[14:15], v[6:7], v[20:21]
	v_fma_f64 v[4:5], v[4:5], v[20:21], -v[22:23]
	s_delay_alu instid0(VALU_DEP_4) | instskip(NEXT) | instid1(VALU_DEP_4)
	v_add_f64_e32 v[6:7], v[8:9], v[16:17]
	v_add_f64_e32 v[8:9], v[10:11], v[136:137]
	s_delay_alu instid0(VALU_DEP_2) | instskip(NEXT) | instid1(VALU_DEP_2)
	v_add_f64_e32 v[4:5], v[6:7], v[4:5]
	v_add_f64_e32 v[6:7], v[8:9], v[14:15]
	s_wait_loadcnt 0x0
	s_delay_alu instid0(VALU_DEP_2) | instskip(NEXT) | instid1(VALU_DEP_2)
	v_add_f64_e64 v[4:5], v[126:127], -v[4:5]
	v_add_f64_e64 v[6:7], v[128:129], -v[6:7]
	scratch_store_b128 off, v[4:7], off offset:704
	s_wait_xcnt 0x0
	v_cmpx_lt_u32_e32 43, v1
	s_cbranch_execz .LBB49_227
; %bb.226:
	scratch_load_b128 v[6:9], off, s26
	v_dual_mov_b32 v3, v2 :: v_dual_mov_b32 v4, v2
	v_mov_b32_e32 v5, v2
	scratch_store_b128 off, v[2:5], off offset:688
	s_wait_loadcnt 0x0
	ds_store_b128 v124, v[6:9]
.LBB49_227:
	s_wait_xcnt 0x0
	s_or_b32 exec_lo, exec_lo, s2
	s_wait_storecnt_dscnt 0x0
	s_barrier_signal -1
	s_barrier_wait -1
	s_clause 0x6
	scratch_load_b128 v[4:7], off, off offset:704
	scratch_load_b128 v[8:11], off, off offset:720
	;; [unrolled: 1-line block ×7, first 2 shown]
	ds_load_b128 v[134:137], v2 offset:1504
	ds_load_b128 v[138:141], v2 offset:1520
	s_mov_b32 s2, exec_lo
	s_wait_loadcnt_dscnt 0x601
	v_mul_f64_e32 v[142:143], v[136:137], v[6:7]
	v_mul_f64_e32 v[144:145], v[134:135], v[6:7]
	s_wait_loadcnt_dscnt 0x500
	v_mul_f64_e32 v[146:147], v[138:139], v[10:11]
	v_mul_f64_e32 v[10:11], v[140:141], v[10:11]
	s_delay_alu instid0(VALU_DEP_4) | instskip(NEXT) | instid1(VALU_DEP_4)
	v_fma_f64 v[142:143], v[134:135], v[4:5], -v[142:143]
	v_fmac_f64_e32 v[144:145], v[136:137], v[4:5]
	ds_load_b128 v[4:7], v2 offset:1536
	ds_load_b128 v[134:137], v2 offset:1552
	v_fmac_f64_e32 v[146:147], v[140:141], v[8:9]
	v_fma_f64 v[8:9], v[138:139], v[8:9], -v[10:11]
	s_wait_loadcnt_dscnt 0x401
	v_mul_f64_e32 v[148:149], v[4:5], v[14:15]
	v_mul_f64_e32 v[14:15], v[6:7], v[14:15]
	s_wait_loadcnt_dscnt 0x300
	v_mul_f64_e32 v[140:141], v[134:135], v[18:19]
	v_mul_f64_e32 v[18:19], v[136:137], v[18:19]
	v_add_f64_e32 v[10:11], 0, v[142:143]
	v_add_f64_e32 v[138:139], 0, v[144:145]
	v_fmac_f64_e32 v[148:149], v[6:7], v[12:13]
	v_fma_f64 v[12:13], v[4:5], v[12:13], -v[14:15]
	v_fmac_f64_e32 v[140:141], v[136:137], v[16:17]
	v_fma_f64 v[16:17], v[134:135], v[16:17], -v[18:19]
	v_add_f64_e32 v[14:15], v[10:11], v[8:9]
	v_add_f64_e32 v[138:139], v[138:139], v[146:147]
	ds_load_b128 v[4:7], v2 offset:1568
	ds_load_b128 v[8:11], v2 offset:1584
	s_wait_loadcnt_dscnt 0x201
	v_mul_f64_e32 v[2:3], v[4:5], v[22:23]
	v_mul_f64_e32 v[22:23], v[6:7], v[22:23]
	s_wait_loadcnt_dscnt 0x100
	v_mul_f64_e32 v[18:19], v[8:9], v[128:129]
	v_mul_f64_e32 v[128:129], v[10:11], v[128:129]
	v_add_f64_e32 v[12:13], v[14:15], v[12:13]
	v_add_f64_e32 v[14:15], v[138:139], v[148:149]
	v_fmac_f64_e32 v[2:3], v[6:7], v[20:21]
	v_fma_f64 v[4:5], v[4:5], v[20:21], -v[22:23]
	v_fmac_f64_e32 v[18:19], v[10:11], v[126:127]
	v_fma_f64 v[8:9], v[8:9], v[126:127], -v[128:129]
	v_add_f64_e32 v[6:7], v[12:13], v[16:17]
	v_add_f64_e32 v[12:13], v[14:15], v[140:141]
	s_delay_alu instid0(VALU_DEP_2) | instskip(NEXT) | instid1(VALU_DEP_2)
	v_add_f64_e32 v[4:5], v[6:7], v[4:5]
	v_add_f64_e32 v[2:3], v[12:13], v[2:3]
	s_delay_alu instid0(VALU_DEP_2) | instskip(NEXT) | instid1(VALU_DEP_2)
	v_add_f64_e32 v[4:5], v[4:5], v[8:9]
	v_add_f64_e32 v[6:7], v[2:3], v[18:19]
	s_wait_loadcnt 0x0
	s_delay_alu instid0(VALU_DEP_2) | instskip(NEXT) | instid1(VALU_DEP_2)
	v_add_f64_e64 v[2:3], v[130:131], -v[4:5]
	v_add_f64_e64 v[4:5], v[132:133], -v[6:7]
	scratch_store_b128 off, v[2:5], off offset:688
	s_wait_xcnt 0x0
	v_cmpx_lt_u32_e32 42, v1
	s_cbranch_execz .LBB49_229
; %bb.228:
	scratch_load_b128 v[2:5], off, s9
	v_mov_b32_e32 v6, 0
	s_delay_alu instid0(VALU_DEP_1)
	v_dual_mov_b32 v7, v6 :: v_dual_mov_b32 v8, v6
	v_mov_b32_e32 v9, v6
	scratch_store_b128 off, v[6:9], off offset:672
	s_wait_loadcnt 0x0
	ds_store_b128 v124, v[2:5]
.LBB49_229:
	s_wait_xcnt 0x0
	s_or_b32 exec_lo, exec_lo, s2
	s_wait_storecnt_dscnt 0x0
	s_barrier_signal -1
	s_barrier_wait -1
	s_clause 0x7
	scratch_load_b128 v[4:7], off, off offset:688
	scratch_load_b128 v[8:11], off, off offset:704
	;; [unrolled: 1-line block ×8, first 2 shown]
	v_mov_b32_e32 v2, 0
	ds_load_b128 v[138:141], v2 offset:1488
	ds_load_b128 v[142:145], v2 offset:1504
	s_mov_b32 s2, exec_lo
	s_wait_loadcnt_dscnt 0x701
	v_mul_f64_e32 v[146:147], v[140:141], v[6:7]
	v_mul_f64_e32 v[148:149], v[138:139], v[6:7]
	s_wait_loadcnt_dscnt 0x600
	v_mul_f64_e32 v[150:151], v[142:143], v[10:11]
	v_mul_f64_e32 v[10:11], v[144:145], v[10:11]
	s_delay_alu instid0(VALU_DEP_4) | instskip(NEXT) | instid1(VALU_DEP_4)
	v_fma_f64 v[146:147], v[138:139], v[4:5], -v[146:147]
	v_fmac_f64_e32 v[148:149], v[140:141], v[4:5]
	ds_load_b128 v[4:7], v2 offset:1520
	ds_load_b128 v[138:141], v2 offset:1536
	v_fmac_f64_e32 v[150:151], v[144:145], v[8:9]
	v_fma_f64 v[8:9], v[142:143], v[8:9], -v[10:11]
	s_wait_loadcnt_dscnt 0x501
	v_mul_f64_e32 v[152:153], v[4:5], v[14:15]
	v_mul_f64_e32 v[14:15], v[6:7], v[14:15]
	s_wait_loadcnt_dscnt 0x400
	v_mul_f64_e32 v[144:145], v[138:139], v[18:19]
	v_mul_f64_e32 v[18:19], v[140:141], v[18:19]
	v_add_f64_e32 v[10:11], 0, v[146:147]
	v_add_f64_e32 v[142:143], 0, v[148:149]
	v_fmac_f64_e32 v[152:153], v[6:7], v[12:13]
	v_fma_f64 v[12:13], v[4:5], v[12:13], -v[14:15]
	v_fmac_f64_e32 v[144:145], v[140:141], v[16:17]
	v_fma_f64 v[16:17], v[138:139], v[16:17], -v[18:19]
	v_add_f64_e32 v[14:15], v[10:11], v[8:9]
	v_add_f64_e32 v[142:143], v[142:143], v[150:151]
	ds_load_b128 v[4:7], v2 offset:1552
	ds_load_b128 v[8:11], v2 offset:1568
	s_wait_loadcnt_dscnt 0x301
	v_mul_f64_e32 v[146:147], v[4:5], v[22:23]
	v_mul_f64_e32 v[22:23], v[6:7], v[22:23]
	s_wait_loadcnt_dscnt 0x200
	v_mul_f64_e32 v[18:19], v[8:9], v[128:129]
	v_mul_f64_e32 v[128:129], v[10:11], v[128:129]
	v_add_f64_e32 v[12:13], v[14:15], v[12:13]
	v_add_f64_e32 v[14:15], v[142:143], v[152:153]
	v_fmac_f64_e32 v[146:147], v[6:7], v[20:21]
	v_fma_f64 v[20:21], v[4:5], v[20:21], -v[22:23]
	ds_load_b128 v[4:7], v2 offset:1584
	v_fmac_f64_e32 v[18:19], v[10:11], v[126:127]
	v_fma_f64 v[8:9], v[8:9], v[126:127], -v[128:129]
	v_add_f64_e32 v[12:13], v[12:13], v[16:17]
	v_add_f64_e32 v[14:15], v[14:15], v[144:145]
	s_wait_loadcnt_dscnt 0x100
	v_mul_f64_e32 v[16:17], v[4:5], v[132:133]
	v_mul_f64_e32 v[22:23], v[6:7], v[132:133]
	s_delay_alu instid0(VALU_DEP_4) | instskip(NEXT) | instid1(VALU_DEP_4)
	v_add_f64_e32 v[10:11], v[12:13], v[20:21]
	v_add_f64_e32 v[12:13], v[14:15], v[146:147]
	s_delay_alu instid0(VALU_DEP_4) | instskip(NEXT) | instid1(VALU_DEP_4)
	v_fmac_f64_e32 v[16:17], v[6:7], v[130:131]
	v_fma_f64 v[4:5], v[4:5], v[130:131], -v[22:23]
	s_delay_alu instid0(VALU_DEP_4) | instskip(NEXT) | instid1(VALU_DEP_4)
	v_add_f64_e32 v[6:7], v[10:11], v[8:9]
	v_add_f64_e32 v[8:9], v[12:13], v[18:19]
	s_delay_alu instid0(VALU_DEP_2) | instskip(NEXT) | instid1(VALU_DEP_2)
	v_add_f64_e32 v[4:5], v[6:7], v[4:5]
	v_add_f64_e32 v[6:7], v[8:9], v[16:17]
	s_wait_loadcnt 0x0
	s_delay_alu instid0(VALU_DEP_2) | instskip(NEXT) | instid1(VALU_DEP_2)
	v_add_f64_e64 v[4:5], v[134:135], -v[4:5]
	v_add_f64_e64 v[6:7], v[136:137], -v[6:7]
	scratch_store_b128 off, v[4:7], off offset:672
	s_wait_xcnt 0x0
	v_cmpx_lt_u32_e32 41, v1
	s_cbranch_execz .LBB49_231
; %bb.230:
	scratch_load_b128 v[6:9], off, s8
	v_dual_mov_b32 v3, v2 :: v_dual_mov_b32 v4, v2
	v_mov_b32_e32 v5, v2
	scratch_store_b128 off, v[2:5], off offset:656
	s_wait_loadcnt 0x0
	ds_store_b128 v124, v[6:9]
.LBB49_231:
	s_wait_xcnt 0x0
	s_or_b32 exec_lo, exec_lo, s2
	s_wait_storecnt_dscnt 0x0
	s_barrier_signal -1
	s_barrier_wait -1
	s_clause 0x7
	scratch_load_b128 v[4:7], off, off offset:672
	scratch_load_b128 v[8:11], off, off offset:688
	;; [unrolled: 1-line block ×8, first 2 shown]
	ds_load_b128 v[138:141], v2 offset:1472
	ds_load_b128 v[142:145], v2 offset:1488
	scratch_load_b128 v[146:149], off, off offset:656
	s_mov_b32 s2, exec_lo
	s_wait_loadcnt_dscnt 0x801
	v_mul_f64_e32 v[150:151], v[140:141], v[6:7]
	v_mul_f64_e32 v[152:153], v[138:139], v[6:7]
	s_wait_loadcnt_dscnt 0x700
	v_mul_f64_e32 v[154:155], v[142:143], v[10:11]
	v_mul_f64_e32 v[10:11], v[144:145], v[10:11]
	s_delay_alu instid0(VALU_DEP_4) | instskip(NEXT) | instid1(VALU_DEP_4)
	v_fma_f64 v[150:151], v[138:139], v[4:5], -v[150:151]
	v_fmac_f64_e32 v[152:153], v[140:141], v[4:5]
	ds_load_b128 v[4:7], v2 offset:1504
	ds_load_b128 v[138:141], v2 offset:1520
	v_fmac_f64_e32 v[154:155], v[144:145], v[8:9]
	v_fma_f64 v[8:9], v[142:143], v[8:9], -v[10:11]
	s_wait_loadcnt_dscnt 0x601
	v_mul_f64_e32 v[156:157], v[4:5], v[14:15]
	v_mul_f64_e32 v[14:15], v[6:7], v[14:15]
	s_wait_loadcnt_dscnt 0x500
	v_mul_f64_e32 v[144:145], v[138:139], v[18:19]
	v_mul_f64_e32 v[18:19], v[140:141], v[18:19]
	v_add_f64_e32 v[10:11], 0, v[150:151]
	v_add_f64_e32 v[142:143], 0, v[152:153]
	v_fmac_f64_e32 v[156:157], v[6:7], v[12:13]
	v_fma_f64 v[12:13], v[4:5], v[12:13], -v[14:15]
	v_fmac_f64_e32 v[144:145], v[140:141], v[16:17]
	v_fma_f64 v[16:17], v[138:139], v[16:17], -v[18:19]
	v_add_f64_e32 v[14:15], v[10:11], v[8:9]
	v_add_f64_e32 v[142:143], v[142:143], v[154:155]
	ds_load_b128 v[4:7], v2 offset:1536
	ds_load_b128 v[8:11], v2 offset:1552
	s_wait_loadcnt_dscnt 0x401
	v_mul_f64_e32 v[150:151], v[4:5], v[22:23]
	v_mul_f64_e32 v[22:23], v[6:7], v[22:23]
	s_wait_loadcnt_dscnt 0x300
	v_mul_f64_e32 v[18:19], v[8:9], v[128:129]
	v_mul_f64_e32 v[128:129], v[10:11], v[128:129]
	v_add_f64_e32 v[12:13], v[14:15], v[12:13]
	v_add_f64_e32 v[14:15], v[142:143], v[156:157]
	v_fmac_f64_e32 v[150:151], v[6:7], v[20:21]
	v_fma_f64 v[20:21], v[4:5], v[20:21], -v[22:23]
	v_fmac_f64_e32 v[18:19], v[10:11], v[126:127]
	v_fma_f64 v[8:9], v[8:9], v[126:127], -v[128:129]
	v_add_f64_e32 v[16:17], v[12:13], v[16:17]
	v_add_f64_e32 v[22:23], v[14:15], v[144:145]
	ds_load_b128 v[4:7], v2 offset:1568
	ds_load_b128 v[12:15], v2 offset:1584
	s_wait_loadcnt_dscnt 0x201
	v_mul_f64_e32 v[2:3], v[4:5], v[132:133]
	v_mul_f64_e32 v[132:133], v[6:7], v[132:133]
	v_add_f64_e32 v[10:11], v[16:17], v[20:21]
	v_add_f64_e32 v[16:17], v[22:23], v[150:151]
	s_wait_loadcnt_dscnt 0x100
	v_mul_f64_e32 v[20:21], v[12:13], v[136:137]
	v_mul_f64_e32 v[22:23], v[14:15], v[136:137]
	v_fmac_f64_e32 v[2:3], v[6:7], v[130:131]
	v_fma_f64 v[4:5], v[4:5], v[130:131], -v[132:133]
	v_add_f64_e32 v[6:7], v[10:11], v[8:9]
	v_add_f64_e32 v[8:9], v[16:17], v[18:19]
	v_fmac_f64_e32 v[20:21], v[14:15], v[134:135]
	v_fma_f64 v[10:11], v[12:13], v[134:135], -v[22:23]
	s_delay_alu instid0(VALU_DEP_4) | instskip(NEXT) | instid1(VALU_DEP_4)
	v_add_f64_e32 v[4:5], v[6:7], v[4:5]
	v_add_f64_e32 v[2:3], v[8:9], v[2:3]
	s_delay_alu instid0(VALU_DEP_2) | instskip(NEXT) | instid1(VALU_DEP_2)
	v_add_f64_e32 v[4:5], v[4:5], v[10:11]
	v_add_f64_e32 v[6:7], v[2:3], v[20:21]
	s_wait_loadcnt 0x0
	s_delay_alu instid0(VALU_DEP_2) | instskip(NEXT) | instid1(VALU_DEP_2)
	v_add_f64_e64 v[2:3], v[146:147], -v[4:5]
	v_add_f64_e64 v[4:5], v[148:149], -v[6:7]
	scratch_store_b128 off, v[2:5], off offset:656
	s_wait_xcnt 0x0
	v_cmpx_lt_u32_e32 40, v1
	s_cbranch_execz .LBB49_233
; %bb.232:
	scratch_load_b128 v[2:5], off, s11
	v_mov_b32_e32 v6, 0
	s_delay_alu instid0(VALU_DEP_1)
	v_dual_mov_b32 v7, v6 :: v_dual_mov_b32 v8, v6
	v_mov_b32_e32 v9, v6
	scratch_store_b128 off, v[6:9], off offset:640
	s_wait_loadcnt 0x0
	ds_store_b128 v124, v[2:5]
.LBB49_233:
	s_wait_xcnt 0x0
	s_or_b32 exec_lo, exec_lo, s2
	s_wait_storecnt_dscnt 0x0
	s_barrier_signal -1
	s_barrier_wait -1
	s_clause 0x8
	scratch_load_b128 v[4:7], off, off offset:656
	scratch_load_b128 v[8:11], off, off offset:672
	;; [unrolled: 1-line block ×9, first 2 shown]
	v_mov_b32_e32 v2, 0
	scratch_load_b128 v[146:149], off, off offset:640
	s_mov_b32 s2, exec_lo
	ds_load_b128 v[142:145], v2 offset:1456
	ds_load_b128 v[150:153], v2 offset:1472
	s_wait_loadcnt_dscnt 0x901
	v_mul_f64_e32 v[154:155], v[144:145], v[6:7]
	v_mul_f64_e32 v[156:157], v[142:143], v[6:7]
	s_wait_loadcnt_dscnt 0x800
	v_mul_f64_e32 v[158:159], v[150:151], v[10:11]
	v_mul_f64_e32 v[10:11], v[152:153], v[10:11]
	s_delay_alu instid0(VALU_DEP_4) | instskip(NEXT) | instid1(VALU_DEP_4)
	v_fma_f64 v[154:155], v[142:143], v[4:5], -v[154:155]
	v_fmac_f64_e32 v[156:157], v[144:145], v[4:5]
	ds_load_b128 v[4:7], v2 offset:1488
	ds_load_b128 v[142:145], v2 offset:1504
	v_fmac_f64_e32 v[158:159], v[152:153], v[8:9]
	v_fma_f64 v[8:9], v[150:151], v[8:9], -v[10:11]
	s_wait_loadcnt_dscnt 0x701
	v_mul_f64_e32 v[160:161], v[4:5], v[14:15]
	v_mul_f64_e32 v[14:15], v[6:7], v[14:15]
	s_wait_loadcnt_dscnt 0x600
	v_mul_f64_e32 v[152:153], v[142:143], v[18:19]
	v_mul_f64_e32 v[18:19], v[144:145], v[18:19]
	v_add_f64_e32 v[10:11], 0, v[154:155]
	v_add_f64_e32 v[150:151], 0, v[156:157]
	v_fmac_f64_e32 v[160:161], v[6:7], v[12:13]
	v_fma_f64 v[12:13], v[4:5], v[12:13], -v[14:15]
	v_fmac_f64_e32 v[152:153], v[144:145], v[16:17]
	v_fma_f64 v[16:17], v[142:143], v[16:17], -v[18:19]
	v_add_f64_e32 v[14:15], v[10:11], v[8:9]
	v_add_f64_e32 v[150:151], v[150:151], v[158:159]
	ds_load_b128 v[4:7], v2 offset:1520
	ds_load_b128 v[8:11], v2 offset:1536
	s_wait_loadcnt_dscnt 0x501
	v_mul_f64_e32 v[154:155], v[4:5], v[22:23]
	v_mul_f64_e32 v[22:23], v[6:7], v[22:23]
	s_wait_loadcnt_dscnt 0x400
	v_mul_f64_e32 v[18:19], v[8:9], v[128:129]
	v_mul_f64_e32 v[128:129], v[10:11], v[128:129]
	v_add_f64_e32 v[12:13], v[14:15], v[12:13]
	v_add_f64_e32 v[14:15], v[150:151], v[160:161]
	v_fmac_f64_e32 v[154:155], v[6:7], v[20:21]
	v_fma_f64 v[20:21], v[4:5], v[20:21], -v[22:23]
	v_fmac_f64_e32 v[18:19], v[10:11], v[126:127]
	v_fma_f64 v[8:9], v[8:9], v[126:127], -v[128:129]
	v_add_f64_e32 v[16:17], v[12:13], v[16:17]
	v_add_f64_e32 v[22:23], v[14:15], v[152:153]
	ds_load_b128 v[4:7], v2 offset:1552
	ds_load_b128 v[12:15], v2 offset:1568
	s_wait_loadcnt_dscnt 0x301
	v_mul_f64_e32 v[142:143], v[4:5], v[132:133]
	v_mul_f64_e32 v[132:133], v[6:7], v[132:133]
	v_add_f64_e32 v[10:11], v[16:17], v[20:21]
	v_add_f64_e32 v[16:17], v[22:23], v[154:155]
	s_wait_loadcnt_dscnt 0x200
	v_mul_f64_e32 v[20:21], v[12:13], v[136:137]
	v_mul_f64_e32 v[22:23], v[14:15], v[136:137]
	v_fmac_f64_e32 v[142:143], v[6:7], v[130:131]
	v_fma_f64 v[126:127], v[4:5], v[130:131], -v[132:133]
	ds_load_b128 v[4:7], v2 offset:1584
	v_add_f64_e32 v[8:9], v[10:11], v[8:9]
	v_add_f64_e32 v[10:11], v[16:17], v[18:19]
	v_fmac_f64_e32 v[20:21], v[14:15], v[134:135]
	v_fma_f64 v[12:13], v[12:13], v[134:135], -v[22:23]
	s_wait_loadcnt_dscnt 0x100
	v_mul_f64_e32 v[16:17], v[4:5], v[140:141]
	v_mul_f64_e32 v[18:19], v[6:7], v[140:141]
	v_add_f64_e32 v[8:9], v[8:9], v[126:127]
	v_add_f64_e32 v[10:11], v[10:11], v[142:143]
	s_delay_alu instid0(VALU_DEP_4) | instskip(NEXT) | instid1(VALU_DEP_4)
	v_fmac_f64_e32 v[16:17], v[6:7], v[138:139]
	v_fma_f64 v[4:5], v[4:5], v[138:139], -v[18:19]
	s_delay_alu instid0(VALU_DEP_4) | instskip(NEXT) | instid1(VALU_DEP_4)
	v_add_f64_e32 v[6:7], v[8:9], v[12:13]
	v_add_f64_e32 v[8:9], v[10:11], v[20:21]
	s_delay_alu instid0(VALU_DEP_2) | instskip(NEXT) | instid1(VALU_DEP_2)
	v_add_f64_e32 v[4:5], v[6:7], v[4:5]
	v_add_f64_e32 v[6:7], v[8:9], v[16:17]
	s_wait_loadcnt 0x0
	s_delay_alu instid0(VALU_DEP_2) | instskip(NEXT) | instid1(VALU_DEP_2)
	v_add_f64_e64 v[4:5], v[146:147], -v[4:5]
	v_add_f64_e64 v[6:7], v[148:149], -v[6:7]
	scratch_store_b128 off, v[4:7], off offset:640
	s_wait_xcnt 0x0
	v_cmpx_lt_u32_e32 39, v1
	s_cbranch_execz .LBB49_235
; %bb.234:
	scratch_load_b128 v[6:9], off, s10
	v_dual_mov_b32 v3, v2 :: v_dual_mov_b32 v4, v2
	v_mov_b32_e32 v5, v2
	scratch_store_b128 off, v[2:5], off offset:624
	s_wait_loadcnt 0x0
	ds_store_b128 v124, v[6:9]
.LBB49_235:
	s_wait_xcnt 0x0
	s_or_b32 exec_lo, exec_lo, s2
	s_wait_storecnt_dscnt 0x0
	s_barrier_signal -1
	s_barrier_wait -1
	s_clause 0x9
	scratch_load_b128 v[4:7], off, off offset:640
	scratch_load_b128 v[8:11], off, off offset:656
	;; [unrolled: 1-line block ×10, first 2 shown]
	ds_load_b128 v[146:149], v2 offset:1440
	ds_load_b128 v[150:153], v2 offset:1456
	scratch_load_b128 v[154:157], off, off offset:624
	s_mov_b32 s2, exec_lo
	s_wait_loadcnt_dscnt 0xa01
	v_mul_f64_e32 v[158:159], v[148:149], v[6:7]
	v_mul_f64_e32 v[160:161], v[146:147], v[6:7]
	s_wait_loadcnt_dscnt 0x900
	v_mul_f64_e32 v[162:163], v[150:151], v[10:11]
	v_mul_f64_e32 v[10:11], v[152:153], v[10:11]
	s_delay_alu instid0(VALU_DEP_4) | instskip(NEXT) | instid1(VALU_DEP_4)
	v_fma_f64 v[158:159], v[146:147], v[4:5], -v[158:159]
	v_fmac_f64_e32 v[160:161], v[148:149], v[4:5]
	ds_load_b128 v[4:7], v2 offset:1472
	ds_load_b128 v[146:149], v2 offset:1488
	v_fmac_f64_e32 v[162:163], v[152:153], v[8:9]
	v_fma_f64 v[8:9], v[150:151], v[8:9], -v[10:11]
	s_wait_loadcnt_dscnt 0x801
	v_mul_f64_e32 v[164:165], v[4:5], v[14:15]
	v_mul_f64_e32 v[14:15], v[6:7], v[14:15]
	s_wait_loadcnt_dscnt 0x700
	v_mul_f64_e32 v[152:153], v[146:147], v[18:19]
	v_mul_f64_e32 v[18:19], v[148:149], v[18:19]
	v_add_f64_e32 v[10:11], 0, v[158:159]
	v_add_f64_e32 v[150:151], 0, v[160:161]
	v_fmac_f64_e32 v[164:165], v[6:7], v[12:13]
	v_fma_f64 v[12:13], v[4:5], v[12:13], -v[14:15]
	v_fmac_f64_e32 v[152:153], v[148:149], v[16:17]
	v_fma_f64 v[16:17], v[146:147], v[16:17], -v[18:19]
	v_add_f64_e32 v[14:15], v[10:11], v[8:9]
	v_add_f64_e32 v[150:151], v[150:151], v[162:163]
	ds_load_b128 v[4:7], v2 offset:1504
	ds_load_b128 v[8:11], v2 offset:1520
	s_wait_loadcnt_dscnt 0x601
	v_mul_f64_e32 v[158:159], v[4:5], v[22:23]
	v_mul_f64_e32 v[22:23], v[6:7], v[22:23]
	s_wait_loadcnt_dscnt 0x500
	v_mul_f64_e32 v[18:19], v[8:9], v[128:129]
	v_mul_f64_e32 v[128:129], v[10:11], v[128:129]
	v_add_f64_e32 v[12:13], v[14:15], v[12:13]
	v_add_f64_e32 v[14:15], v[150:151], v[164:165]
	v_fmac_f64_e32 v[158:159], v[6:7], v[20:21]
	v_fma_f64 v[20:21], v[4:5], v[20:21], -v[22:23]
	v_fmac_f64_e32 v[18:19], v[10:11], v[126:127]
	v_fma_f64 v[8:9], v[8:9], v[126:127], -v[128:129]
	v_add_f64_e32 v[16:17], v[12:13], v[16:17]
	v_add_f64_e32 v[22:23], v[14:15], v[152:153]
	ds_load_b128 v[4:7], v2 offset:1536
	ds_load_b128 v[12:15], v2 offset:1552
	s_wait_loadcnt_dscnt 0x401
	v_mul_f64_e32 v[146:147], v[4:5], v[132:133]
	v_mul_f64_e32 v[132:133], v[6:7], v[132:133]
	v_add_f64_e32 v[10:11], v[16:17], v[20:21]
	v_add_f64_e32 v[16:17], v[22:23], v[158:159]
	s_wait_loadcnt_dscnt 0x300
	v_mul_f64_e32 v[20:21], v[12:13], v[136:137]
	v_mul_f64_e32 v[22:23], v[14:15], v[136:137]
	v_fmac_f64_e32 v[146:147], v[6:7], v[130:131]
	v_fma_f64 v[126:127], v[4:5], v[130:131], -v[132:133]
	v_add_f64_e32 v[128:129], v[10:11], v[8:9]
	v_add_f64_e32 v[16:17], v[16:17], v[18:19]
	ds_load_b128 v[4:7], v2 offset:1568
	ds_load_b128 v[8:11], v2 offset:1584
	v_fmac_f64_e32 v[20:21], v[14:15], v[134:135]
	v_fma_f64 v[12:13], v[12:13], v[134:135], -v[22:23]
	s_wait_loadcnt_dscnt 0x201
	v_mul_f64_e32 v[2:3], v[4:5], v[140:141]
	v_mul_f64_e32 v[18:19], v[6:7], v[140:141]
	s_wait_loadcnt_dscnt 0x100
	v_mul_f64_e32 v[22:23], v[8:9], v[144:145]
	v_add_f64_e32 v[14:15], v[128:129], v[126:127]
	v_add_f64_e32 v[16:17], v[16:17], v[146:147]
	v_mul_f64_e32 v[126:127], v[10:11], v[144:145]
	v_fmac_f64_e32 v[2:3], v[6:7], v[138:139]
	v_fma_f64 v[4:5], v[4:5], v[138:139], -v[18:19]
	v_fmac_f64_e32 v[22:23], v[10:11], v[142:143]
	v_add_f64_e32 v[6:7], v[14:15], v[12:13]
	v_add_f64_e32 v[12:13], v[16:17], v[20:21]
	v_fma_f64 v[8:9], v[8:9], v[142:143], -v[126:127]
	s_delay_alu instid0(VALU_DEP_3) | instskip(NEXT) | instid1(VALU_DEP_3)
	v_add_f64_e32 v[4:5], v[6:7], v[4:5]
	v_add_f64_e32 v[2:3], v[12:13], v[2:3]
	s_delay_alu instid0(VALU_DEP_2) | instskip(NEXT) | instid1(VALU_DEP_2)
	v_add_f64_e32 v[4:5], v[4:5], v[8:9]
	v_add_f64_e32 v[6:7], v[2:3], v[22:23]
	s_wait_loadcnt 0x0
	s_delay_alu instid0(VALU_DEP_2) | instskip(NEXT) | instid1(VALU_DEP_2)
	v_add_f64_e64 v[2:3], v[154:155], -v[4:5]
	v_add_f64_e64 v[4:5], v[156:157], -v[6:7]
	scratch_store_b128 off, v[2:5], off offset:624
	s_wait_xcnt 0x0
	v_cmpx_lt_u32_e32 38, v1
	s_cbranch_execz .LBB49_237
; %bb.236:
	scratch_load_b128 v[2:5], off, s13
	v_mov_b32_e32 v6, 0
	s_delay_alu instid0(VALU_DEP_1)
	v_dual_mov_b32 v7, v6 :: v_dual_mov_b32 v8, v6
	v_mov_b32_e32 v9, v6
	scratch_store_b128 off, v[6:9], off offset:608
	s_wait_loadcnt 0x0
	ds_store_b128 v124, v[2:5]
.LBB49_237:
	s_wait_xcnt 0x0
	s_or_b32 exec_lo, exec_lo, s2
	s_wait_storecnt_dscnt 0x0
	s_barrier_signal -1
	s_barrier_wait -1
	s_clause 0x9
	scratch_load_b128 v[4:7], off, off offset:624
	scratch_load_b128 v[8:11], off, off offset:640
	;; [unrolled: 1-line block ×10, first 2 shown]
	v_mov_b32_e32 v2, 0
	s_mov_b32 s2, exec_lo
	ds_load_b128 v[146:149], v2 offset:1424
	s_clause 0x1
	scratch_load_b128 v[150:153], off, off offset:784
	scratch_load_b128 v[154:157], off, off offset:608
	s_wait_loadcnt_dscnt 0xb00
	v_mul_f64_e32 v[162:163], v[148:149], v[6:7]
	v_mul_f64_e32 v[164:165], v[146:147], v[6:7]
	ds_load_b128 v[158:161], v2 offset:1440
	s_wait_loadcnt_dscnt 0xa00
	v_mul_f64_e32 v[166:167], v[158:159], v[10:11]
	v_mul_f64_e32 v[10:11], v[160:161], v[10:11]
	v_fma_f64 v[162:163], v[146:147], v[4:5], -v[162:163]
	v_fmac_f64_e32 v[164:165], v[148:149], v[4:5]
	ds_load_b128 v[4:7], v2 offset:1456
	ds_load_b128 v[146:149], v2 offset:1472
	s_wait_loadcnt_dscnt 0x901
	v_mul_f64_e32 v[168:169], v[4:5], v[14:15]
	v_mul_f64_e32 v[14:15], v[6:7], v[14:15]
	v_fmac_f64_e32 v[166:167], v[160:161], v[8:9]
	v_fma_f64 v[8:9], v[158:159], v[8:9], -v[10:11]
	s_wait_loadcnt_dscnt 0x800
	v_mul_f64_e32 v[160:161], v[146:147], v[18:19]
	v_mul_f64_e32 v[18:19], v[148:149], v[18:19]
	v_add_f64_e32 v[10:11], 0, v[162:163]
	v_add_f64_e32 v[158:159], 0, v[164:165]
	v_fmac_f64_e32 v[168:169], v[6:7], v[12:13]
	v_fma_f64 v[12:13], v[4:5], v[12:13], -v[14:15]
	v_fmac_f64_e32 v[160:161], v[148:149], v[16:17]
	v_fma_f64 v[16:17], v[146:147], v[16:17], -v[18:19]
	v_add_f64_e32 v[14:15], v[10:11], v[8:9]
	v_add_f64_e32 v[158:159], v[158:159], v[166:167]
	ds_load_b128 v[4:7], v2 offset:1488
	ds_load_b128 v[8:11], v2 offset:1504
	s_wait_loadcnt_dscnt 0x701
	v_mul_f64_e32 v[162:163], v[4:5], v[22:23]
	v_mul_f64_e32 v[22:23], v[6:7], v[22:23]
	s_wait_loadcnt_dscnt 0x600
	v_mul_f64_e32 v[18:19], v[8:9], v[128:129]
	v_mul_f64_e32 v[128:129], v[10:11], v[128:129]
	v_add_f64_e32 v[12:13], v[14:15], v[12:13]
	v_add_f64_e32 v[14:15], v[158:159], v[168:169]
	v_fmac_f64_e32 v[162:163], v[6:7], v[20:21]
	v_fma_f64 v[20:21], v[4:5], v[20:21], -v[22:23]
	v_fmac_f64_e32 v[18:19], v[10:11], v[126:127]
	v_fma_f64 v[8:9], v[8:9], v[126:127], -v[128:129]
	v_add_f64_e32 v[16:17], v[12:13], v[16:17]
	v_add_f64_e32 v[22:23], v[14:15], v[160:161]
	ds_load_b128 v[4:7], v2 offset:1520
	ds_load_b128 v[12:15], v2 offset:1536
	s_wait_loadcnt_dscnt 0x501
	v_mul_f64_e32 v[146:147], v[4:5], v[132:133]
	v_mul_f64_e32 v[132:133], v[6:7], v[132:133]
	v_add_f64_e32 v[10:11], v[16:17], v[20:21]
	v_add_f64_e32 v[16:17], v[22:23], v[162:163]
	s_wait_loadcnt_dscnt 0x400
	v_mul_f64_e32 v[20:21], v[12:13], v[136:137]
	v_mul_f64_e32 v[22:23], v[14:15], v[136:137]
	v_fmac_f64_e32 v[146:147], v[6:7], v[130:131]
	v_fma_f64 v[126:127], v[4:5], v[130:131], -v[132:133]
	v_add_f64_e32 v[128:129], v[10:11], v[8:9]
	v_add_f64_e32 v[16:17], v[16:17], v[18:19]
	ds_load_b128 v[4:7], v2 offset:1552
	ds_load_b128 v[8:11], v2 offset:1568
	v_fmac_f64_e32 v[20:21], v[14:15], v[134:135]
	v_fma_f64 v[12:13], v[12:13], v[134:135], -v[22:23]
	s_wait_loadcnt_dscnt 0x301
	v_mul_f64_e32 v[18:19], v[4:5], v[140:141]
	v_mul_f64_e32 v[130:131], v[6:7], v[140:141]
	s_wait_loadcnt_dscnt 0x200
	v_mul_f64_e32 v[22:23], v[8:9], v[144:145]
	v_add_f64_e32 v[14:15], v[128:129], v[126:127]
	v_add_f64_e32 v[16:17], v[16:17], v[146:147]
	v_mul_f64_e32 v[126:127], v[10:11], v[144:145]
	v_fmac_f64_e32 v[18:19], v[6:7], v[138:139]
	v_fma_f64 v[128:129], v[4:5], v[138:139], -v[130:131]
	ds_load_b128 v[4:7], v2 offset:1584
	v_fmac_f64_e32 v[22:23], v[10:11], v[142:143]
	v_add_f64_e32 v[12:13], v[14:15], v[12:13]
	v_add_f64_e32 v[14:15], v[16:17], v[20:21]
	v_fma_f64 v[8:9], v[8:9], v[142:143], -v[126:127]
	s_wait_loadcnt_dscnt 0x100
	v_mul_f64_e32 v[16:17], v[4:5], v[152:153]
	v_mul_f64_e32 v[20:21], v[6:7], v[152:153]
	v_add_f64_e32 v[10:11], v[12:13], v[128:129]
	v_add_f64_e32 v[12:13], v[14:15], v[18:19]
	s_delay_alu instid0(VALU_DEP_4) | instskip(NEXT) | instid1(VALU_DEP_4)
	v_fmac_f64_e32 v[16:17], v[6:7], v[150:151]
	v_fma_f64 v[4:5], v[4:5], v[150:151], -v[20:21]
	s_delay_alu instid0(VALU_DEP_4) | instskip(NEXT) | instid1(VALU_DEP_4)
	v_add_f64_e32 v[6:7], v[10:11], v[8:9]
	v_add_f64_e32 v[8:9], v[12:13], v[22:23]
	s_delay_alu instid0(VALU_DEP_2) | instskip(NEXT) | instid1(VALU_DEP_2)
	v_add_f64_e32 v[4:5], v[6:7], v[4:5]
	v_add_f64_e32 v[6:7], v[8:9], v[16:17]
	s_wait_loadcnt 0x0
	s_delay_alu instid0(VALU_DEP_2) | instskip(NEXT) | instid1(VALU_DEP_2)
	v_add_f64_e64 v[4:5], v[154:155], -v[4:5]
	v_add_f64_e64 v[6:7], v[156:157], -v[6:7]
	scratch_store_b128 off, v[4:7], off offset:608
	s_wait_xcnt 0x0
	v_cmpx_lt_u32_e32 37, v1
	s_cbranch_execz .LBB49_239
; %bb.238:
	scratch_load_b128 v[6:9], off, s12
	v_dual_mov_b32 v3, v2 :: v_dual_mov_b32 v4, v2
	v_mov_b32_e32 v5, v2
	scratch_store_b128 off, v[2:5], off offset:592
	s_wait_loadcnt 0x0
	ds_store_b128 v124, v[6:9]
.LBB49_239:
	s_wait_xcnt 0x0
	s_or_b32 exec_lo, exec_lo, s2
	s_wait_storecnt_dscnt 0x0
	s_barrier_signal -1
	s_barrier_wait -1
	s_clause 0x9
	scratch_load_b128 v[4:7], off, off offset:608
	scratch_load_b128 v[8:11], off, off offset:624
	;; [unrolled: 1-line block ×10, first 2 shown]
	ds_load_b128 v[146:149], v2 offset:1408
	ds_load_b128 v[154:157], v2 offset:1424
	s_clause 0x2
	scratch_load_b128 v[150:153], off, off offset:768
	scratch_load_b128 v[158:161], off, off offset:592
	;; [unrolled: 1-line block ×3, first 2 shown]
	s_mov_b32 s2, exec_lo
	s_wait_loadcnt_dscnt 0xc01
	v_mul_f64_e32 v[166:167], v[148:149], v[6:7]
	v_mul_f64_e32 v[168:169], v[146:147], v[6:7]
	s_wait_loadcnt_dscnt 0xb00
	v_mul_f64_e32 v[170:171], v[154:155], v[10:11]
	v_mul_f64_e32 v[10:11], v[156:157], v[10:11]
	s_delay_alu instid0(VALU_DEP_4) | instskip(NEXT) | instid1(VALU_DEP_4)
	v_fma_f64 v[166:167], v[146:147], v[4:5], -v[166:167]
	v_fmac_f64_e32 v[168:169], v[148:149], v[4:5]
	ds_load_b128 v[4:7], v2 offset:1440
	ds_load_b128 v[146:149], v2 offset:1456
	v_fmac_f64_e32 v[170:171], v[156:157], v[8:9]
	v_fma_f64 v[8:9], v[154:155], v[8:9], -v[10:11]
	s_wait_loadcnt_dscnt 0xa01
	v_mul_f64_e32 v[172:173], v[4:5], v[14:15]
	v_mul_f64_e32 v[14:15], v[6:7], v[14:15]
	s_wait_loadcnt_dscnt 0x900
	v_mul_f64_e32 v[156:157], v[146:147], v[18:19]
	v_mul_f64_e32 v[18:19], v[148:149], v[18:19]
	v_add_f64_e32 v[10:11], 0, v[166:167]
	v_add_f64_e32 v[154:155], 0, v[168:169]
	v_fmac_f64_e32 v[172:173], v[6:7], v[12:13]
	v_fma_f64 v[12:13], v[4:5], v[12:13], -v[14:15]
	v_fmac_f64_e32 v[156:157], v[148:149], v[16:17]
	v_fma_f64 v[16:17], v[146:147], v[16:17], -v[18:19]
	v_add_f64_e32 v[14:15], v[10:11], v[8:9]
	v_add_f64_e32 v[154:155], v[154:155], v[170:171]
	ds_load_b128 v[4:7], v2 offset:1472
	ds_load_b128 v[8:11], v2 offset:1488
	s_wait_loadcnt_dscnt 0x801
	v_mul_f64_e32 v[166:167], v[4:5], v[22:23]
	v_mul_f64_e32 v[22:23], v[6:7], v[22:23]
	s_wait_loadcnt_dscnt 0x700
	v_mul_f64_e32 v[18:19], v[8:9], v[128:129]
	v_mul_f64_e32 v[128:129], v[10:11], v[128:129]
	v_add_f64_e32 v[12:13], v[14:15], v[12:13]
	v_add_f64_e32 v[14:15], v[154:155], v[172:173]
	v_fmac_f64_e32 v[166:167], v[6:7], v[20:21]
	v_fma_f64 v[20:21], v[4:5], v[20:21], -v[22:23]
	v_fmac_f64_e32 v[18:19], v[10:11], v[126:127]
	v_fma_f64 v[8:9], v[8:9], v[126:127], -v[128:129]
	v_add_f64_e32 v[16:17], v[12:13], v[16:17]
	v_add_f64_e32 v[22:23], v[14:15], v[156:157]
	ds_load_b128 v[4:7], v2 offset:1504
	ds_load_b128 v[12:15], v2 offset:1520
	s_wait_loadcnt_dscnt 0x601
	v_mul_f64_e32 v[146:147], v[4:5], v[132:133]
	v_mul_f64_e32 v[132:133], v[6:7], v[132:133]
	v_add_f64_e32 v[10:11], v[16:17], v[20:21]
	v_add_f64_e32 v[16:17], v[22:23], v[166:167]
	s_wait_loadcnt_dscnt 0x500
	v_mul_f64_e32 v[20:21], v[12:13], v[136:137]
	v_mul_f64_e32 v[22:23], v[14:15], v[136:137]
	v_fmac_f64_e32 v[146:147], v[6:7], v[130:131]
	v_fma_f64 v[126:127], v[4:5], v[130:131], -v[132:133]
	v_add_f64_e32 v[128:129], v[10:11], v[8:9]
	v_add_f64_e32 v[16:17], v[16:17], v[18:19]
	ds_load_b128 v[4:7], v2 offset:1536
	ds_load_b128 v[8:11], v2 offset:1552
	v_fmac_f64_e32 v[20:21], v[14:15], v[134:135]
	v_fma_f64 v[12:13], v[12:13], v[134:135], -v[22:23]
	s_wait_loadcnt_dscnt 0x401
	v_mul_f64_e32 v[18:19], v[4:5], v[140:141]
	v_mul_f64_e32 v[130:131], v[6:7], v[140:141]
	s_wait_loadcnt_dscnt 0x300
	v_mul_f64_e32 v[22:23], v[8:9], v[144:145]
	v_add_f64_e32 v[14:15], v[128:129], v[126:127]
	v_add_f64_e32 v[16:17], v[16:17], v[146:147]
	v_mul_f64_e32 v[126:127], v[10:11], v[144:145]
	v_fmac_f64_e32 v[18:19], v[6:7], v[138:139]
	v_fma_f64 v[128:129], v[4:5], v[138:139], -v[130:131]
	v_fmac_f64_e32 v[22:23], v[10:11], v[142:143]
	v_add_f64_e32 v[130:131], v[14:15], v[12:13]
	v_add_f64_e32 v[16:17], v[16:17], v[20:21]
	ds_load_b128 v[4:7], v2 offset:1568
	ds_load_b128 v[12:15], v2 offset:1584
	v_fma_f64 v[8:9], v[8:9], v[142:143], -v[126:127]
	s_wait_loadcnt_dscnt 0x201
	v_mul_f64_e32 v[2:3], v[4:5], v[152:153]
	v_mul_f64_e32 v[20:21], v[6:7], v[152:153]
	s_wait_loadcnt_dscnt 0x0
	v_mul_f64_e32 v[126:127], v[14:15], v[164:165]
	v_add_f64_e32 v[10:11], v[130:131], v[128:129]
	v_add_f64_e32 v[16:17], v[16:17], v[18:19]
	v_mul_f64_e32 v[18:19], v[12:13], v[164:165]
	v_fmac_f64_e32 v[2:3], v[6:7], v[150:151]
	v_fma_f64 v[4:5], v[4:5], v[150:151], -v[20:21]
	v_add_f64_e32 v[6:7], v[10:11], v[8:9]
	v_add_f64_e32 v[8:9], v[16:17], v[22:23]
	v_fmac_f64_e32 v[18:19], v[14:15], v[162:163]
	v_fma_f64 v[10:11], v[12:13], v[162:163], -v[126:127]
	s_delay_alu instid0(VALU_DEP_4) | instskip(NEXT) | instid1(VALU_DEP_4)
	v_add_f64_e32 v[4:5], v[6:7], v[4:5]
	v_add_f64_e32 v[2:3], v[8:9], v[2:3]
	s_delay_alu instid0(VALU_DEP_2) | instskip(NEXT) | instid1(VALU_DEP_2)
	v_add_f64_e32 v[4:5], v[4:5], v[10:11]
	v_add_f64_e32 v[6:7], v[2:3], v[18:19]
	s_delay_alu instid0(VALU_DEP_2) | instskip(NEXT) | instid1(VALU_DEP_2)
	v_add_f64_e64 v[2:3], v[158:159], -v[4:5]
	v_add_f64_e64 v[4:5], v[160:161], -v[6:7]
	scratch_store_b128 off, v[2:5], off offset:592
	s_wait_xcnt 0x0
	v_cmpx_lt_u32_e32 36, v1
	s_cbranch_execz .LBB49_241
; %bb.240:
	scratch_load_b128 v[2:5], off, s21
	v_mov_b32_e32 v6, 0
	s_delay_alu instid0(VALU_DEP_1)
	v_dual_mov_b32 v7, v6 :: v_dual_mov_b32 v8, v6
	v_mov_b32_e32 v9, v6
	scratch_store_b128 off, v[6:9], off offset:576
	s_wait_loadcnt 0x0
	ds_store_b128 v124, v[2:5]
.LBB49_241:
	s_wait_xcnt 0x0
	s_or_b32 exec_lo, exec_lo, s2
	s_wait_storecnt_dscnt 0x0
	s_barrier_signal -1
	s_barrier_wait -1
	s_clause 0x9
	scratch_load_b128 v[4:7], off, off offset:592
	scratch_load_b128 v[8:11], off, off offset:608
	;; [unrolled: 1-line block ×10, first 2 shown]
	v_mov_b32_e32 v2, 0
	s_mov_b32 s2, exec_lo
	ds_load_b128 v[146:149], v2 offset:1392
	s_clause 0x2
	scratch_load_b128 v[150:153], off, off offset:752
	scratch_load_b128 v[154:157], off, off offset:576
	;; [unrolled: 1-line block ×3, first 2 shown]
	s_wait_loadcnt_dscnt 0xc00
	v_mul_f64_e32 v[166:167], v[148:149], v[6:7]
	v_mul_f64_e32 v[170:171], v[146:147], v[6:7]
	ds_load_b128 v[158:161], v2 offset:1408
	v_fma_f64 v[174:175], v[146:147], v[4:5], -v[166:167]
	v_fmac_f64_e32 v[170:171], v[148:149], v[4:5]
	ds_load_b128 v[4:7], v2 offset:1424
	s_wait_loadcnt_dscnt 0xb01
	v_mul_f64_e32 v[172:173], v[158:159], v[10:11]
	v_mul_f64_e32 v[10:11], v[160:161], v[10:11]
	scratch_load_b128 v[146:149], off, off offset:784
	ds_load_b128 v[166:169], v2 offset:1440
	s_wait_loadcnt_dscnt 0xb01
	v_mul_f64_e32 v[176:177], v[4:5], v[14:15]
	v_mul_f64_e32 v[14:15], v[6:7], v[14:15]
	v_fmac_f64_e32 v[172:173], v[160:161], v[8:9]
	v_fma_f64 v[8:9], v[158:159], v[8:9], -v[10:11]
	v_add_f64_e32 v[10:11], 0, v[174:175]
	v_add_f64_e32 v[158:159], 0, v[170:171]
	s_wait_loadcnt_dscnt 0xa00
	v_mul_f64_e32 v[160:161], v[166:167], v[18:19]
	v_mul_f64_e32 v[18:19], v[168:169], v[18:19]
	v_fmac_f64_e32 v[176:177], v[6:7], v[12:13]
	v_fma_f64 v[12:13], v[4:5], v[12:13], -v[14:15]
	v_add_f64_e32 v[14:15], v[10:11], v[8:9]
	v_add_f64_e32 v[158:159], v[158:159], v[172:173]
	ds_load_b128 v[4:7], v2 offset:1456
	ds_load_b128 v[8:11], v2 offset:1472
	v_fmac_f64_e32 v[160:161], v[168:169], v[16:17]
	v_fma_f64 v[16:17], v[166:167], v[16:17], -v[18:19]
	s_wait_loadcnt_dscnt 0x901
	v_mul_f64_e32 v[170:171], v[4:5], v[22:23]
	v_mul_f64_e32 v[22:23], v[6:7], v[22:23]
	s_wait_loadcnt_dscnt 0x800
	v_mul_f64_e32 v[18:19], v[8:9], v[128:129]
	v_mul_f64_e32 v[128:129], v[10:11], v[128:129]
	v_add_f64_e32 v[12:13], v[14:15], v[12:13]
	v_add_f64_e32 v[14:15], v[158:159], v[176:177]
	v_fmac_f64_e32 v[170:171], v[6:7], v[20:21]
	v_fma_f64 v[20:21], v[4:5], v[20:21], -v[22:23]
	v_fmac_f64_e32 v[18:19], v[10:11], v[126:127]
	v_fma_f64 v[8:9], v[8:9], v[126:127], -v[128:129]
	v_add_f64_e32 v[16:17], v[12:13], v[16:17]
	v_add_f64_e32 v[22:23], v[14:15], v[160:161]
	ds_load_b128 v[4:7], v2 offset:1488
	ds_load_b128 v[12:15], v2 offset:1504
	s_wait_loadcnt_dscnt 0x701
	v_mul_f64_e32 v[158:159], v[4:5], v[132:133]
	v_mul_f64_e32 v[132:133], v[6:7], v[132:133]
	v_add_f64_e32 v[10:11], v[16:17], v[20:21]
	v_add_f64_e32 v[16:17], v[22:23], v[170:171]
	s_wait_loadcnt_dscnt 0x600
	v_mul_f64_e32 v[20:21], v[12:13], v[136:137]
	v_mul_f64_e32 v[22:23], v[14:15], v[136:137]
	v_fmac_f64_e32 v[158:159], v[6:7], v[130:131]
	v_fma_f64 v[126:127], v[4:5], v[130:131], -v[132:133]
	v_add_f64_e32 v[128:129], v[10:11], v[8:9]
	v_add_f64_e32 v[16:17], v[16:17], v[18:19]
	ds_load_b128 v[4:7], v2 offset:1520
	ds_load_b128 v[8:11], v2 offset:1536
	v_fmac_f64_e32 v[20:21], v[14:15], v[134:135]
	v_fma_f64 v[12:13], v[12:13], v[134:135], -v[22:23]
	s_wait_loadcnt_dscnt 0x501
	v_mul_f64_e32 v[18:19], v[4:5], v[140:141]
	v_mul_f64_e32 v[130:131], v[6:7], v[140:141]
	s_wait_loadcnt_dscnt 0x400
	v_mul_f64_e32 v[22:23], v[8:9], v[144:145]
	v_add_f64_e32 v[14:15], v[128:129], v[126:127]
	v_add_f64_e32 v[16:17], v[16:17], v[158:159]
	v_mul_f64_e32 v[126:127], v[10:11], v[144:145]
	v_fmac_f64_e32 v[18:19], v[6:7], v[138:139]
	v_fma_f64 v[128:129], v[4:5], v[138:139], -v[130:131]
	v_fmac_f64_e32 v[22:23], v[10:11], v[142:143]
	v_add_f64_e32 v[130:131], v[14:15], v[12:13]
	v_add_f64_e32 v[16:17], v[16:17], v[20:21]
	ds_load_b128 v[4:7], v2 offset:1552
	ds_load_b128 v[12:15], v2 offset:1568
	v_fma_f64 v[8:9], v[8:9], v[142:143], -v[126:127]
	s_wait_loadcnt_dscnt 0x301
	v_mul_f64_e32 v[20:21], v[4:5], v[152:153]
	v_mul_f64_e32 v[132:133], v[6:7], v[152:153]
	s_wait_loadcnt_dscnt 0x100
	v_mul_f64_e32 v[126:127], v[14:15], v[164:165]
	v_add_f64_e32 v[10:11], v[130:131], v[128:129]
	v_add_f64_e32 v[16:17], v[16:17], v[18:19]
	v_mul_f64_e32 v[18:19], v[12:13], v[164:165]
	v_fmac_f64_e32 v[20:21], v[6:7], v[150:151]
	v_fma_f64 v[128:129], v[4:5], v[150:151], -v[132:133]
	ds_load_b128 v[4:7], v2 offset:1584
	v_fma_f64 v[12:13], v[12:13], v[162:163], -v[126:127]
	v_add_f64_e32 v[8:9], v[10:11], v[8:9]
	v_add_f64_e32 v[10:11], v[16:17], v[22:23]
	v_fmac_f64_e32 v[18:19], v[14:15], v[162:163]
	s_wait_loadcnt_dscnt 0x0
	v_mul_f64_e32 v[16:17], v[4:5], v[148:149]
	v_mul_f64_e32 v[22:23], v[6:7], v[148:149]
	v_add_f64_e32 v[8:9], v[8:9], v[128:129]
	v_add_f64_e32 v[10:11], v[10:11], v[20:21]
	s_delay_alu instid0(VALU_DEP_4) | instskip(NEXT) | instid1(VALU_DEP_4)
	v_fmac_f64_e32 v[16:17], v[6:7], v[146:147]
	v_fma_f64 v[4:5], v[4:5], v[146:147], -v[22:23]
	s_delay_alu instid0(VALU_DEP_4) | instskip(NEXT) | instid1(VALU_DEP_4)
	v_add_f64_e32 v[6:7], v[8:9], v[12:13]
	v_add_f64_e32 v[8:9], v[10:11], v[18:19]
	s_delay_alu instid0(VALU_DEP_2) | instskip(NEXT) | instid1(VALU_DEP_2)
	v_add_f64_e32 v[4:5], v[6:7], v[4:5]
	v_add_f64_e32 v[6:7], v[8:9], v[16:17]
	s_delay_alu instid0(VALU_DEP_2) | instskip(NEXT) | instid1(VALU_DEP_2)
	v_add_f64_e64 v[4:5], v[154:155], -v[4:5]
	v_add_f64_e64 v[6:7], v[156:157], -v[6:7]
	scratch_store_b128 off, v[4:7], off offset:576
	s_wait_xcnt 0x0
	v_cmpx_lt_u32_e32 35, v1
	s_cbranch_execz .LBB49_243
; %bb.242:
	scratch_load_b128 v[6:9], off, s15
	v_dual_mov_b32 v3, v2 :: v_dual_mov_b32 v4, v2
	v_mov_b32_e32 v5, v2
	scratch_store_b128 off, v[2:5], off offset:560
	s_wait_loadcnt 0x0
	ds_store_b128 v124, v[6:9]
.LBB49_243:
	s_wait_xcnt 0x0
	s_or_b32 exec_lo, exec_lo, s2
	s_wait_storecnt_dscnt 0x0
	s_barrier_signal -1
	s_barrier_wait -1
	s_clause 0x9
	scratch_load_b128 v[4:7], off, off offset:576
	scratch_load_b128 v[8:11], off, off offset:592
	;; [unrolled: 1-line block ×10, first 2 shown]
	ds_load_b128 v[146:149], v2 offset:1376
	ds_load_b128 v[154:157], v2 offset:1392
	s_clause 0x2
	scratch_load_b128 v[150:153], off, off offset:736
	scratch_load_b128 v[158:161], off, off offset:560
	;; [unrolled: 1-line block ×3, first 2 shown]
	s_mov_b32 s2, exec_lo
	s_wait_loadcnt_dscnt 0xc01
	v_mul_f64_e32 v[166:167], v[148:149], v[6:7]
	v_mul_f64_e32 v[170:171], v[146:147], v[6:7]
	s_wait_loadcnt_dscnt 0xb00
	v_mul_f64_e32 v[172:173], v[154:155], v[10:11]
	v_mul_f64_e32 v[10:11], v[156:157], v[10:11]
	s_delay_alu instid0(VALU_DEP_4) | instskip(NEXT) | instid1(VALU_DEP_4)
	v_fma_f64 v[174:175], v[146:147], v[4:5], -v[166:167]
	v_fmac_f64_e32 v[170:171], v[148:149], v[4:5]
	ds_load_b128 v[4:7], v2 offset:1408
	ds_load_b128 v[146:149], v2 offset:1424
	scratch_load_b128 v[166:169], off, off offset:768
	v_fmac_f64_e32 v[172:173], v[156:157], v[8:9]
	v_fma_f64 v[154:155], v[154:155], v[8:9], -v[10:11]
	scratch_load_b128 v[8:11], off, off offset:784
	s_wait_loadcnt_dscnt 0xc01
	v_mul_f64_e32 v[176:177], v[4:5], v[14:15]
	v_mul_f64_e32 v[14:15], v[6:7], v[14:15]
	v_add_f64_e32 v[156:157], 0, v[174:175]
	v_add_f64_e32 v[170:171], 0, v[170:171]
	s_wait_loadcnt_dscnt 0xb00
	v_mul_f64_e32 v[174:175], v[146:147], v[18:19]
	v_mul_f64_e32 v[18:19], v[148:149], v[18:19]
	v_fmac_f64_e32 v[176:177], v[6:7], v[12:13]
	v_fma_f64 v[178:179], v[4:5], v[12:13], -v[14:15]
	ds_load_b128 v[4:7], v2 offset:1440
	ds_load_b128 v[12:15], v2 offset:1456
	v_add_f64_e32 v[154:155], v[156:157], v[154:155]
	v_add_f64_e32 v[156:157], v[170:171], v[172:173]
	v_fmac_f64_e32 v[174:175], v[148:149], v[16:17]
	v_fma_f64 v[16:17], v[146:147], v[16:17], -v[18:19]
	s_wait_loadcnt_dscnt 0xa01
	v_mul_f64_e32 v[170:171], v[4:5], v[22:23]
	v_mul_f64_e32 v[22:23], v[6:7], v[22:23]
	s_wait_loadcnt_dscnt 0x900
	v_mul_f64_e32 v[148:149], v[12:13], v[128:129]
	v_mul_f64_e32 v[128:129], v[14:15], v[128:129]
	v_add_f64_e32 v[18:19], v[154:155], v[178:179]
	v_add_f64_e32 v[146:147], v[156:157], v[176:177]
	v_fmac_f64_e32 v[170:171], v[6:7], v[20:21]
	v_fma_f64 v[20:21], v[4:5], v[20:21], -v[22:23]
	v_fmac_f64_e32 v[148:149], v[14:15], v[126:127]
	v_fma_f64 v[12:13], v[12:13], v[126:127], -v[128:129]
	v_add_f64_e32 v[22:23], v[18:19], v[16:17]
	v_add_f64_e32 v[146:147], v[146:147], v[174:175]
	ds_load_b128 v[4:7], v2 offset:1472
	ds_load_b128 v[16:19], v2 offset:1488
	s_wait_loadcnt_dscnt 0x801
	v_mul_f64_e32 v[154:155], v[4:5], v[132:133]
	v_mul_f64_e32 v[132:133], v[6:7], v[132:133]
	s_wait_loadcnt_dscnt 0x700
	v_mul_f64_e32 v[126:127], v[18:19], v[136:137]
	v_add_f64_e32 v[14:15], v[22:23], v[20:21]
	v_add_f64_e32 v[20:21], v[146:147], v[170:171]
	v_mul_f64_e32 v[22:23], v[16:17], v[136:137]
	v_fmac_f64_e32 v[154:155], v[6:7], v[130:131]
	v_fma_f64 v[128:129], v[4:5], v[130:131], -v[132:133]
	v_fma_f64 v[16:17], v[16:17], v[134:135], -v[126:127]
	v_add_f64_e32 v[130:131], v[14:15], v[12:13]
	v_add_f64_e32 v[20:21], v[20:21], v[148:149]
	ds_load_b128 v[4:7], v2 offset:1504
	ds_load_b128 v[12:15], v2 offset:1520
	v_fmac_f64_e32 v[22:23], v[18:19], v[134:135]
	s_wait_loadcnt_dscnt 0x601
	v_mul_f64_e32 v[132:133], v[4:5], v[140:141]
	v_mul_f64_e32 v[136:137], v[6:7], v[140:141]
	s_wait_loadcnt_dscnt 0x500
	v_mul_f64_e32 v[126:127], v[12:13], v[144:145]
	v_add_f64_e32 v[18:19], v[130:131], v[128:129]
	v_add_f64_e32 v[20:21], v[20:21], v[154:155]
	v_mul_f64_e32 v[128:129], v[14:15], v[144:145]
	v_fmac_f64_e32 v[132:133], v[6:7], v[138:139]
	v_fma_f64 v[130:131], v[4:5], v[138:139], -v[136:137]
	v_fmac_f64_e32 v[126:127], v[14:15], v[142:143]
	v_add_f64_e32 v[134:135], v[18:19], v[16:17]
	v_add_f64_e32 v[20:21], v[20:21], v[22:23]
	ds_load_b128 v[4:7], v2 offset:1536
	ds_load_b128 v[16:19], v2 offset:1552
	v_fma_f64 v[12:13], v[12:13], v[142:143], -v[128:129]
	s_wait_loadcnt_dscnt 0x401
	v_mul_f64_e32 v[22:23], v[4:5], v[152:153]
	v_mul_f64_e32 v[136:137], v[6:7], v[152:153]
	s_wait_loadcnt_dscnt 0x200
	v_mul_f64_e32 v[128:129], v[16:17], v[164:165]
	v_add_f64_e32 v[14:15], v[134:135], v[130:131]
	v_add_f64_e32 v[20:21], v[20:21], v[132:133]
	v_mul_f64_e32 v[130:131], v[18:19], v[164:165]
	v_fmac_f64_e32 v[22:23], v[6:7], v[150:151]
	v_fma_f64 v[132:133], v[4:5], v[150:151], -v[136:137]
	v_fmac_f64_e32 v[128:129], v[18:19], v[162:163]
	v_add_f64_e32 v[134:135], v[14:15], v[12:13]
	v_add_f64_e32 v[20:21], v[20:21], v[126:127]
	ds_load_b128 v[4:7], v2 offset:1568
	ds_load_b128 v[12:15], v2 offset:1584
	v_fma_f64 v[16:17], v[16:17], v[162:163], -v[130:131]
	s_wait_loadcnt_dscnt 0x101
	v_mul_f64_e32 v[2:3], v[4:5], v[168:169]
	v_mul_f64_e32 v[126:127], v[6:7], v[168:169]
	v_add_f64_e32 v[18:19], v[134:135], v[132:133]
	v_add_f64_e32 v[20:21], v[20:21], v[22:23]
	s_wait_loadcnt_dscnt 0x0
	v_mul_f64_e32 v[22:23], v[12:13], v[10:11]
	v_mul_f64_e32 v[10:11], v[14:15], v[10:11]
	v_fmac_f64_e32 v[2:3], v[6:7], v[166:167]
	v_fma_f64 v[4:5], v[4:5], v[166:167], -v[126:127]
	v_add_f64_e32 v[6:7], v[18:19], v[16:17]
	v_add_f64_e32 v[16:17], v[20:21], v[128:129]
	v_fmac_f64_e32 v[22:23], v[14:15], v[8:9]
	v_fma_f64 v[8:9], v[12:13], v[8:9], -v[10:11]
	s_delay_alu instid0(VALU_DEP_4) | instskip(NEXT) | instid1(VALU_DEP_4)
	v_add_f64_e32 v[4:5], v[6:7], v[4:5]
	v_add_f64_e32 v[2:3], v[16:17], v[2:3]
	s_delay_alu instid0(VALU_DEP_2) | instskip(NEXT) | instid1(VALU_DEP_2)
	v_add_f64_e32 v[4:5], v[4:5], v[8:9]
	v_add_f64_e32 v[6:7], v[2:3], v[22:23]
	s_delay_alu instid0(VALU_DEP_2) | instskip(NEXT) | instid1(VALU_DEP_2)
	v_add_f64_e64 v[2:3], v[158:159], -v[4:5]
	v_add_f64_e64 v[4:5], v[160:161], -v[6:7]
	scratch_store_b128 off, v[2:5], off offset:560
	s_wait_xcnt 0x0
	v_cmpx_lt_u32_e32 34, v1
	s_cbranch_execz .LBB49_245
; %bb.244:
	scratch_load_b128 v[2:5], off, s24
	v_mov_b32_e32 v6, 0
	s_delay_alu instid0(VALU_DEP_1)
	v_dual_mov_b32 v7, v6 :: v_dual_mov_b32 v8, v6
	v_mov_b32_e32 v9, v6
	scratch_store_b128 off, v[6:9], off offset:544
	s_wait_loadcnt 0x0
	ds_store_b128 v124, v[2:5]
.LBB49_245:
	s_wait_xcnt 0x0
	s_or_b32 exec_lo, exec_lo, s2
	s_wait_storecnt_dscnt 0x0
	s_barrier_signal -1
	s_barrier_wait -1
	s_clause 0x9
	scratch_load_b128 v[4:7], off, off offset:560
	scratch_load_b128 v[8:11], off, off offset:576
	;; [unrolled: 1-line block ×10, first 2 shown]
	v_mov_b32_e32 v2, 0
	s_mov_b32 s2, exec_lo
	ds_load_b128 v[146:149], v2 offset:1360
	s_clause 0x2
	scratch_load_b128 v[150:153], off, off offset:720
	scratch_load_b128 v[154:157], off, off offset:544
	;; [unrolled: 1-line block ×3, first 2 shown]
	s_wait_loadcnt_dscnt 0xc00
	v_mul_f64_e32 v[166:167], v[148:149], v[6:7]
	v_mul_f64_e32 v[170:171], v[146:147], v[6:7]
	ds_load_b128 v[158:161], v2 offset:1376
	v_fma_f64 v[174:175], v[146:147], v[4:5], -v[166:167]
	v_fmac_f64_e32 v[170:171], v[148:149], v[4:5]
	ds_load_b128 v[4:7], v2 offset:1392
	s_wait_loadcnt_dscnt 0xb01
	v_mul_f64_e32 v[172:173], v[158:159], v[10:11]
	v_mul_f64_e32 v[10:11], v[160:161], v[10:11]
	scratch_load_b128 v[146:149], off, off offset:752
	ds_load_b128 v[166:169], v2 offset:1408
	s_wait_loadcnt_dscnt 0xb01
	v_mul_f64_e32 v[176:177], v[4:5], v[14:15]
	v_mul_f64_e32 v[14:15], v[6:7], v[14:15]
	v_add_f64_e32 v[170:171], 0, v[170:171]
	v_fmac_f64_e32 v[172:173], v[160:161], v[8:9]
	v_fma_f64 v[158:159], v[158:159], v[8:9], -v[10:11]
	v_add_f64_e32 v[160:161], 0, v[174:175]
	scratch_load_b128 v[8:11], off, off offset:768
	v_fmac_f64_e32 v[176:177], v[6:7], v[12:13]
	v_fma_f64 v[178:179], v[4:5], v[12:13], -v[14:15]
	ds_load_b128 v[4:7], v2 offset:1424
	s_wait_loadcnt_dscnt 0xb01
	v_mul_f64_e32 v[174:175], v[166:167], v[18:19]
	v_mul_f64_e32 v[18:19], v[168:169], v[18:19]
	scratch_load_b128 v[12:15], off, off offset:784
	v_add_f64_e32 v[170:171], v[170:171], v[172:173]
	v_add_f64_e32 v[180:181], v[160:161], v[158:159]
	ds_load_b128 v[158:161], v2 offset:1440
	s_wait_loadcnt_dscnt 0xb01
	v_mul_f64_e32 v[172:173], v[4:5], v[22:23]
	v_mul_f64_e32 v[22:23], v[6:7], v[22:23]
	v_fmac_f64_e32 v[174:175], v[168:169], v[16:17]
	v_fma_f64 v[16:17], v[166:167], v[16:17], -v[18:19]
	s_wait_loadcnt_dscnt 0xa00
	v_mul_f64_e32 v[168:169], v[158:159], v[128:129]
	v_mul_f64_e32 v[128:129], v[160:161], v[128:129]
	v_add_f64_e32 v[166:167], v[170:171], v[176:177]
	v_add_f64_e32 v[18:19], v[180:181], v[178:179]
	v_fmac_f64_e32 v[172:173], v[6:7], v[20:21]
	v_fma_f64 v[20:21], v[4:5], v[20:21], -v[22:23]
	v_fmac_f64_e32 v[168:169], v[160:161], v[126:127]
	v_fma_f64 v[126:127], v[158:159], v[126:127], -v[128:129]
	v_add_f64_e32 v[166:167], v[166:167], v[174:175]
	v_add_f64_e32 v[22:23], v[18:19], v[16:17]
	ds_load_b128 v[4:7], v2 offset:1456
	ds_load_b128 v[16:19], v2 offset:1472
	s_wait_loadcnt_dscnt 0x901
	v_mul_f64_e32 v[170:171], v[4:5], v[132:133]
	v_mul_f64_e32 v[132:133], v[6:7], v[132:133]
	s_wait_loadcnt_dscnt 0x800
	v_mul_f64_e32 v[128:129], v[16:17], v[136:137]
	v_mul_f64_e32 v[136:137], v[18:19], v[136:137]
	v_add_f64_e32 v[20:21], v[22:23], v[20:21]
	v_add_f64_e32 v[22:23], v[166:167], v[172:173]
	v_fmac_f64_e32 v[170:171], v[6:7], v[130:131]
	v_fma_f64 v[130:131], v[4:5], v[130:131], -v[132:133]
	v_fmac_f64_e32 v[128:129], v[18:19], v[134:135]
	v_fma_f64 v[16:17], v[16:17], v[134:135], -v[136:137]
	v_add_f64_e32 v[126:127], v[20:21], v[126:127]
	v_add_f64_e32 v[132:133], v[22:23], v[168:169]
	ds_load_b128 v[4:7], v2 offset:1488
	ds_load_b128 v[20:23], v2 offset:1504
	s_wait_loadcnt_dscnt 0x701
	v_mul_f64_e32 v[158:159], v[4:5], v[140:141]
	v_mul_f64_e32 v[140:141], v[6:7], v[140:141]
	v_add_f64_e32 v[18:19], v[126:127], v[130:131]
	v_add_f64_e32 v[126:127], v[132:133], v[170:171]
	s_wait_loadcnt_dscnt 0x600
	v_mul_f64_e32 v[130:131], v[20:21], v[144:145]
	v_mul_f64_e32 v[132:133], v[22:23], v[144:145]
	v_fmac_f64_e32 v[158:159], v[6:7], v[138:139]
	v_fma_f64 v[134:135], v[4:5], v[138:139], -v[140:141]
	v_add_f64_e32 v[136:137], v[18:19], v[16:17]
	v_add_f64_e32 v[126:127], v[126:127], v[128:129]
	ds_load_b128 v[4:7], v2 offset:1520
	ds_load_b128 v[16:19], v2 offset:1536
	v_fmac_f64_e32 v[130:131], v[22:23], v[142:143]
	v_fma_f64 v[20:21], v[20:21], v[142:143], -v[132:133]
	s_wait_loadcnt_dscnt 0x501
	v_mul_f64_e32 v[128:129], v[4:5], v[152:153]
	v_mul_f64_e32 v[138:139], v[6:7], v[152:153]
	s_wait_loadcnt_dscnt 0x300
	v_mul_f64_e32 v[132:133], v[16:17], v[164:165]
	v_add_f64_e32 v[22:23], v[136:137], v[134:135]
	v_add_f64_e32 v[126:127], v[126:127], v[158:159]
	v_mul_f64_e32 v[134:135], v[18:19], v[164:165]
	v_fmac_f64_e32 v[128:129], v[6:7], v[150:151]
	v_fma_f64 v[136:137], v[4:5], v[150:151], -v[138:139]
	v_fmac_f64_e32 v[132:133], v[18:19], v[162:163]
	v_add_f64_e32 v[138:139], v[22:23], v[20:21]
	v_add_f64_e32 v[126:127], v[126:127], v[130:131]
	ds_load_b128 v[4:7], v2 offset:1552
	ds_load_b128 v[20:23], v2 offset:1568
	v_fma_f64 v[16:17], v[16:17], v[162:163], -v[134:135]
	s_wait_loadcnt_dscnt 0x201
	v_mul_f64_e32 v[130:131], v[4:5], v[148:149]
	v_mul_f64_e32 v[140:141], v[6:7], v[148:149]
	v_add_f64_e32 v[18:19], v[138:139], v[136:137]
	v_add_f64_e32 v[126:127], v[126:127], v[128:129]
	s_wait_loadcnt_dscnt 0x100
	v_mul_f64_e32 v[128:129], v[20:21], v[10:11]
	v_mul_f64_e32 v[10:11], v[22:23], v[10:11]
	v_fmac_f64_e32 v[130:131], v[6:7], v[146:147]
	v_fma_f64 v[134:135], v[4:5], v[146:147], -v[140:141]
	ds_load_b128 v[4:7], v2 offset:1584
	v_add_f64_e32 v[16:17], v[18:19], v[16:17]
	v_add_f64_e32 v[18:19], v[126:127], v[132:133]
	v_fmac_f64_e32 v[128:129], v[22:23], v[8:9]
	v_fma_f64 v[8:9], v[20:21], v[8:9], -v[10:11]
	s_wait_loadcnt_dscnt 0x0
	v_mul_f64_e32 v[126:127], v[4:5], v[14:15]
	v_mul_f64_e32 v[14:15], v[6:7], v[14:15]
	v_add_f64_e32 v[10:11], v[16:17], v[134:135]
	v_add_f64_e32 v[16:17], v[18:19], v[130:131]
	s_delay_alu instid0(VALU_DEP_4) | instskip(NEXT) | instid1(VALU_DEP_4)
	v_fmac_f64_e32 v[126:127], v[6:7], v[12:13]
	v_fma_f64 v[4:5], v[4:5], v[12:13], -v[14:15]
	s_delay_alu instid0(VALU_DEP_4) | instskip(NEXT) | instid1(VALU_DEP_4)
	v_add_f64_e32 v[6:7], v[10:11], v[8:9]
	v_add_f64_e32 v[8:9], v[16:17], v[128:129]
	s_delay_alu instid0(VALU_DEP_2) | instskip(NEXT) | instid1(VALU_DEP_2)
	v_add_f64_e32 v[4:5], v[6:7], v[4:5]
	v_add_f64_e32 v[6:7], v[8:9], v[126:127]
	s_delay_alu instid0(VALU_DEP_2) | instskip(NEXT) | instid1(VALU_DEP_2)
	v_add_f64_e64 v[4:5], v[154:155], -v[4:5]
	v_add_f64_e64 v[6:7], v[156:157], -v[6:7]
	scratch_store_b128 off, v[4:7], off offset:544
	s_wait_xcnt 0x0
	v_cmpx_lt_u32_e32 33, v1
	s_cbranch_execz .LBB49_247
; %bb.246:
	scratch_load_b128 v[6:9], off, s23
	v_dual_mov_b32 v3, v2 :: v_dual_mov_b32 v4, v2
	v_mov_b32_e32 v5, v2
	scratch_store_b128 off, v[2:5], off offset:528
	s_wait_loadcnt 0x0
	ds_store_b128 v124, v[6:9]
.LBB49_247:
	s_wait_xcnt 0x0
	s_or_b32 exec_lo, exec_lo, s2
	s_wait_storecnt_dscnt 0x0
	s_barrier_signal -1
	s_barrier_wait -1
	s_clause 0x9
	scratch_load_b128 v[4:7], off, off offset:544
	scratch_load_b128 v[8:11], off, off offset:560
	;; [unrolled: 1-line block ×10, first 2 shown]
	ds_load_b128 v[146:149], v2 offset:1344
	ds_load_b128 v[154:157], v2 offset:1360
	s_clause 0x2
	scratch_load_b128 v[150:153], off, off offset:704
	scratch_load_b128 v[158:161], off, off offset:528
	;; [unrolled: 1-line block ×3, first 2 shown]
	s_mov_b32 s2, exec_lo
	s_wait_loadcnt_dscnt 0xc01
	v_mul_f64_e32 v[166:167], v[148:149], v[6:7]
	v_mul_f64_e32 v[170:171], v[146:147], v[6:7]
	s_wait_loadcnt_dscnt 0xb00
	v_mul_f64_e32 v[172:173], v[154:155], v[10:11]
	v_mul_f64_e32 v[10:11], v[156:157], v[10:11]
	s_delay_alu instid0(VALU_DEP_4) | instskip(NEXT) | instid1(VALU_DEP_4)
	v_fma_f64 v[174:175], v[146:147], v[4:5], -v[166:167]
	v_fmac_f64_e32 v[170:171], v[148:149], v[4:5]
	ds_load_b128 v[4:7], v2 offset:1376
	ds_load_b128 v[146:149], v2 offset:1392
	scratch_load_b128 v[166:169], off, off offset:736
	v_fmac_f64_e32 v[172:173], v[156:157], v[8:9]
	v_fma_f64 v[154:155], v[154:155], v[8:9], -v[10:11]
	scratch_load_b128 v[8:11], off, off offset:752
	s_wait_loadcnt_dscnt 0xc01
	v_mul_f64_e32 v[176:177], v[4:5], v[14:15]
	v_mul_f64_e32 v[14:15], v[6:7], v[14:15]
	v_add_f64_e32 v[156:157], 0, v[174:175]
	v_add_f64_e32 v[170:171], 0, v[170:171]
	s_wait_loadcnt_dscnt 0xb00
	v_mul_f64_e32 v[174:175], v[146:147], v[18:19]
	v_mul_f64_e32 v[18:19], v[148:149], v[18:19]
	v_fmac_f64_e32 v[176:177], v[6:7], v[12:13]
	v_fma_f64 v[178:179], v[4:5], v[12:13], -v[14:15]
	ds_load_b128 v[4:7], v2 offset:1408
	ds_load_b128 v[12:15], v2 offset:1424
	v_add_f64_e32 v[180:181], v[156:157], v[154:155]
	v_add_f64_e32 v[170:171], v[170:171], v[172:173]
	scratch_load_b128 v[154:157], off, off offset:768
	v_fmac_f64_e32 v[174:175], v[148:149], v[16:17]
	v_fma_f64 v[146:147], v[146:147], v[16:17], -v[18:19]
	scratch_load_b128 v[16:19], off, off offset:784
	s_wait_loadcnt_dscnt 0xc01
	v_mul_f64_e32 v[172:173], v[4:5], v[22:23]
	v_mul_f64_e32 v[22:23], v[6:7], v[22:23]
	v_add_f64_e32 v[148:149], v[180:181], v[178:179]
	v_add_f64_e32 v[170:171], v[170:171], v[176:177]
	s_wait_loadcnt_dscnt 0xb00
	v_mul_f64_e32 v[176:177], v[12:13], v[128:129]
	v_mul_f64_e32 v[128:129], v[14:15], v[128:129]
	v_fmac_f64_e32 v[172:173], v[6:7], v[20:21]
	v_fma_f64 v[178:179], v[4:5], v[20:21], -v[22:23]
	ds_load_b128 v[4:7], v2 offset:1440
	ds_load_b128 v[20:23], v2 offset:1456
	v_add_f64_e32 v[146:147], v[148:149], v[146:147]
	v_add_f64_e32 v[148:149], v[170:171], v[174:175]
	s_wait_loadcnt_dscnt 0xa01
	v_mul_f64_e32 v[170:171], v[4:5], v[132:133]
	v_mul_f64_e32 v[132:133], v[6:7], v[132:133]
	v_fmac_f64_e32 v[176:177], v[14:15], v[126:127]
	v_fma_f64 v[12:13], v[12:13], v[126:127], -v[128:129]
	s_wait_loadcnt_dscnt 0x900
	v_mul_f64_e32 v[128:129], v[20:21], v[136:137]
	v_mul_f64_e32 v[136:137], v[22:23], v[136:137]
	v_add_f64_e32 v[14:15], v[146:147], v[178:179]
	v_add_f64_e32 v[126:127], v[148:149], v[172:173]
	v_fmac_f64_e32 v[170:171], v[6:7], v[130:131]
	v_fma_f64 v[130:131], v[4:5], v[130:131], -v[132:133]
	v_fmac_f64_e32 v[128:129], v[22:23], v[134:135]
	v_fma_f64 v[20:21], v[20:21], v[134:135], -v[136:137]
	v_add_f64_e32 v[132:133], v[14:15], v[12:13]
	v_add_f64_e32 v[126:127], v[126:127], v[176:177]
	ds_load_b128 v[4:7], v2 offset:1472
	ds_load_b128 v[12:15], v2 offset:1488
	s_wait_loadcnt_dscnt 0x801
	v_mul_f64_e32 v[146:147], v[4:5], v[140:141]
	v_mul_f64_e32 v[140:141], v[6:7], v[140:141]
	v_add_f64_e32 v[22:23], v[132:133], v[130:131]
	v_add_f64_e32 v[126:127], v[126:127], v[170:171]
	s_wait_loadcnt_dscnt 0x700
	v_mul_f64_e32 v[130:131], v[12:13], v[144:145]
	v_mul_f64_e32 v[132:133], v[14:15], v[144:145]
	v_fmac_f64_e32 v[146:147], v[6:7], v[138:139]
	v_fma_f64 v[134:135], v[4:5], v[138:139], -v[140:141]
	v_add_f64_e32 v[136:137], v[22:23], v[20:21]
	v_add_f64_e32 v[126:127], v[126:127], v[128:129]
	ds_load_b128 v[4:7], v2 offset:1504
	ds_load_b128 v[20:23], v2 offset:1520
	v_fmac_f64_e32 v[130:131], v[14:15], v[142:143]
	v_fma_f64 v[12:13], v[12:13], v[142:143], -v[132:133]
	s_wait_loadcnt_dscnt 0x601
	v_mul_f64_e32 v[128:129], v[4:5], v[152:153]
	v_mul_f64_e32 v[138:139], v[6:7], v[152:153]
	s_wait_loadcnt_dscnt 0x400
	v_mul_f64_e32 v[132:133], v[20:21], v[164:165]
	v_add_f64_e32 v[14:15], v[136:137], v[134:135]
	v_add_f64_e32 v[126:127], v[126:127], v[146:147]
	v_mul_f64_e32 v[134:135], v[22:23], v[164:165]
	v_fmac_f64_e32 v[128:129], v[6:7], v[150:151]
	v_fma_f64 v[136:137], v[4:5], v[150:151], -v[138:139]
	v_fmac_f64_e32 v[132:133], v[22:23], v[162:163]
	v_add_f64_e32 v[138:139], v[14:15], v[12:13]
	v_add_f64_e32 v[126:127], v[126:127], v[130:131]
	ds_load_b128 v[4:7], v2 offset:1536
	ds_load_b128 v[12:15], v2 offset:1552
	v_fma_f64 v[20:21], v[20:21], v[162:163], -v[134:135]
	s_wait_loadcnt_dscnt 0x301
	v_mul_f64_e32 v[130:131], v[4:5], v[168:169]
	v_mul_f64_e32 v[140:141], v[6:7], v[168:169]
	v_add_f64_e32 v[22:23], v[138:139], v[136:137]
	v_add_f64_e32 v[126:127], v[126:127], v[128:129]
	s_wait_loadcnt_dscnt 0x200
	v_mul_f64_e32 v[128:129], v[12:13], v[10:11]
	v_mul_f64_e32 v[10:11], v[14:15], v[10:11]
	v_fmac_f64_e32 v[130:131], v[6:7], v[166:167]
	v_fma_f64 v[134:135], v[4:5], v[166:167], -v[140:141]
	v_add_f64_e32 v[136:137], v[22:23], v[20:21]
	v_add_f64_e32 v[126:127], v[126:127], v[132:133]
	ds_load_b128 v[4:7], v2 offset:1568
	ds_load_b128 v[20:23], v2 offset:1584
	v_fmac_f64_e32 v[128:129], v[14:15], v[8:9]
	v_fma_f64 v[8:9], v[12:13], v[8:9], -v[10:11]
	s_wait_loadcnt_dscnt 0x101
	v_mul_f64_e32 v[2:3], v[4:5], v[156:157]
	v_mul_f64_e32 v[132:133], v[6:7], v[156:157]
	s_wait_loadcnt_dscnt 0x0
	v_mul_f64_e32 v[14:15], v[20:21], v[18:19]
	v_mul_f64_e32 v[18:19], v[22:23], v[18:19]
	v_add_f64_e32 v[10:11], v[136:137], v[134:135]
	v_add_f64_e32 v[12:13], v[126:127], v[130:131]
	v_fmac_f64_e32 v[2:3], v[6:7], v[154:155]
	v_fma_f64 v[4:5], v[4:5], v[154:155], -v[132:133]
	v_fmac_f64_e32 v[14:15], v[22:23], v[16:17]
	v_add_f64_e32 v[6:7], v[10:11], v[8:9]
	v_add_f64_e32 v[8:9], v[12:13], v[128:129]
	v_fma_f64 v[10:11], v[20:21], v[16:17], -v[18:19]
	s_delay_alu instid0(VALU_DEP_3) | instskip(NEXT) | instid1(VALU_DEP_3)
	v_add_f64_e32 v[4:5], v[6:7], v[4:5]
	v_add_f64_e32 v[2:3], v[8:9], v[2:3]
	s_delay_alu instid0(VALU_DEP_2) | instskip(NEXT) | instid1(VALU_DEP_2)
	v_add_f64_e32 v[4:5], v[4:5], v[10:11]
	v_add_f64_e32 v[6:7], v[2:3], v[14:15]
	s_delay_alu instid0(VALU_DEP_2) | instskip(NEXT) | instid1(VALU_DEP_2)
	v_add_f64_e64 v[2:3], v[158:159], -v[4:5]
	v_add_f64_e64 v[4:5], v[160:161], -v[6:7]
	scratch_store_b128 off, v[2:5], off offset:528
	s_wait_xcnt 0x0
	v_cmpx_lt_u32_e32 32, v1
	s_cbranch_execz .LBB49_249
; %bb.248:
	scratch_load_b128 v[2:5], off, s29
	v_mov_b32_e32 v6, 0
	s_delay_alu instid0(VALU_DEP_1)
	v_dual_mov_b32 v7, v6 :: v_dual_mov_b32 v8, v6
	v_mov_b32_e32 v9, v6
	scratch_store_b128 off, v[6:9], off offset:512
	s_wait_loadcnt 0x0
	ds_store_b128 v124, v[2:5]
.LBB49_249:
	s_wait_xcnt 0x0
	s_or_b32 exec_lo, exec_lo, s2
	s_wait_storecnt_dscnt 0x0
	s_barrier_signal -1
	s_barrier_wait -1
	s_clause 0x9
	scratch_load_b128 v[4:7], off, off offset:528
	scratch_load_b128 v[8:11], off, off offset:544
	;; [unrolled: 1-line block ×10, first 2 shown]
	v_mov_b32_e32 v2, 0
	s_mov_b32 s2, exec_lo
	ds_load_b128 v[146:149], v2 offset:1328
	s_clause 0x2
	scratch_load_b128 v[150:153], off, off offset:688
	scratch_load_b128 v[154:157], off, off offset:512
	;; [unrolled: 1-line block ×3, first 2 shown]
	s_wait_loadcnt_dscnt 0xc00
	v_mul_f64_e32 v[166:167], v[148:149], v[6:7]
	v_mul_f64_e32 v[170:171], v[146:147], v[6:7]
	ds_load_b128 v[158:161], v2 offset:1344
	v_fma_f64 v[174:175], v[146:147], v[4:5], -v[166:167]
	v_fmac_f64_e32 v[170:171], v[148:149], v[4:5]
	ds_load_b128 v[4:7], v2 offset:1360
	s_wait_loadcnt_dscnt 0xb01
	v_mul_f64_e32 v[172:173], v[158:159], v[10:11]
	v_mul_f64_e32 v[10:11], v[160:161], v[10:11]
	scratch_load_b128 v[146:149], off, off offset:720
	ds_load_b128 v[166:169], v2 offset:1376
	s_wait_loadcnt_dscnt 0xb01
	v_mul_f64_e32 v[176:177], v[4:5], v[14:15]
	v_mul_f64_e32 v[14:15], v[6:7], v[14:15]
	v_add_f64_e32 v[170:171], 0, v[170:171]
	v_fmac_f64_e32 v[172:173], v[160:161], v[8:9]
	v_fma_f64 v[158:159], v[158:159], v[8:9], -v[10:11]
	v_add_f64_e32 v[160:161], 0, v[174:175]
	scratch_load_b128 v[8:11], off, off offset:736
	v_fmac_f64_e32 v[176:177], v[6:7], v[12:13]
	v_fma_f64 v[178:179], v[4:5], v[12:13], -v[14:15]
	ds_load_b128 v[4:7], v2 offset:1392
	s_wait_loadcnt_dscnt 0xb01
	v_mul_f64_e32 v[174:175], v[166:167], v[18:19]
	v_mul_f64_e32 v[18:19], v[168:169], v[18:19]
	scratch_load_b128 v[12:15], off, off offset:752
	v_add_f64_e32 v[170:171], v[170:171], v[172:173]
	v_add_f64_e32 v[180:181], v[160:161], v[158:159]
	ds_load_b128 v[158:161], v2 offset:1408
	s_wait_loadcnt_dscnt 0xb01
	v_mul_f64_e32 v[172:173], v[4:5], v[22:23]
	v_mul_f64_e32 v[22:23], v[6:7], v[22:23]
	v_fmac_f64_e32 v[174:175], v[168:169], v[16:17]
	v_fma_f64 v[166:167], v[166:167], v[16:17], -v[18:19]
	scratch_load_b128 v[16:19], off, off offset:768
	v_add_f64_e32 v[170:171], v[170:171], v[176:177]
	v_add_f64_e32 v[168:169], v[180:181], v[178:179]
	v_fmac_f64_e32 v[172:173], v[6:7], v[20:21]
	v_fma_f64 v[178:179], v[4:5], v[20:21], -v[22:23]
	ds_load_b128 v[4:7], v2 offset:1424
	s_wait_loadcnt_dscnt 0xb01
	v_mul_f64_e32 v[176:177], v[158:159], v[128:129]
	v_mul_f64_e32 v[128:129], v[160:161], v[128:129]
	scratch_load_b128 v[20:23], off, off offset:784
	v_add_f64_e32 v[170:171], v[170:171], v[174:175]
	s_wait_loadcnt_dscnt 0xb00
	v_mul_f64_e32 v[174:175], v[4:5], v[132:133]
	v_add_f64_e32 v[180:181], v[168:169], v[166:167]
	v_mul_f64_e32 v[132:133], v[6:7], v[132:133]
	ds_load_b128 v[166:169], v2 offset:1440
	v_fmac_f64_e32 v[176:177], v[160:161], v[126:127]
	v_fma_f64 v[126:127], v[158:159], v[126:127], -v[128:129]
	s_wait_loadcnt_dscnt 0xa00
	v_mul_f64_e32 v[160:161], v[166:167], v[136:137]
	v_mul_f64_e32 v[136:137], v[168:169], v[136:137]
	v_add_f64_e32 v[158:159], v[170:171], v[172:173]
	v_fmac_f64_e32 v[174:175], v[6:7], v[130:131]
	v_add_f64_e32 v[128:129], v[180:181], v[178:179]
	v_fma_f64 v[130:131], v[4:5], v[130:131], -v[132:133]
	v_fmac_f64_e32 v[160:161], v[168:169], v[134:135]
	v_fma_f64 v[134:135], v[166:167], v[134:135], -v[136:137]
	v_add_f64_e32 v[158:159], v[158:159], v[176:177]
	v_add_f64_e32 v[132:133], v[128:129], v[126:127]
	ds_load_b128 v[4:7], v2 offset:1456
	ds_load_b128 v[126:129], v2 offset:1472
	s_wait_loadcnt_dscnt 0x901
	v_mul_f64_e32 v[170:171], v[4:5], v[140:141]
	v_mul_f64_e32 v[140:141], v[6:7], v[140:141]
	s_wait_loadcnt_dscnt 0x800
	v_mul_f64_e32 v[136:137], v[126:127], v[144:145]
	v_mul_f64_e32 v[144:145], v[128:129], v[144:145]
	v_add_f64_e32 v[130:131], v[132:133], v[130:131]
	v_add_f64_e32 v[132:133], v[158:159], v[174:175]
	v_fmac_f64_e32 v[170:171], v[6:7], v[138:139]
	v_fma_f64 v[138:139], v[4:5], v[138:139], -v[140:141]
	v_fmac_f64_e32 v[136:137], v[128:129], v[142:143]
	v_fma_f64 v[126:127], v[126:127], v[142:143], -v[144:145]
	v_add_f64_e32 v[134:135], v[130:131], v[134:135]
	v_add_f64_e32 v[140:141], v[132:133], v[160:161]
	ds_load_b128 v[4:7], v2 offset:1488
	ds_load_b128 v[130:133], v2 offset:1504
	s_wait_loadcnt_dscnt 0x701
	v_mul_f64_e32 v[158:159], v[4:5], v[152:153]
	v_mul_f64_e32 v[152:153], v[6:7], v[152:153]
	v_add_f64_e32 v[128:129], v[134:135], v[138:139]
	v_add_f64_e32 v[134:135], v[140:141], v[170:171]
	s_wait_loadcnt_dscnt 0x500
	v_mul_f64_e32 v[138:139], v[130:131], v[164:165]
	v_mul_f64_e32 v[140:141], v[132:133], v[164:165]
	v_fmac_f64_e32 v[158:159], v[6:7], v[150:151]
	v_fma_f64 v[142:143], v[4:5], v[150:151], -v[152:153]
	v_add_f64_e32 v[144:145], v[128:129], v[126:127]
	v_add_f64_e32 v[134:135], v[134:135], v[136:137]
	ds_load_b128 v[4:7], v2 offset:1520
	ds_load_b128 v[126:129], v2 offset:1536
	v_fmac_f64_e32 v[138:139], v[132:133], v[162:163]
	v_fma_f64 v[130:131], v[130:131], v[162:163], -v[140:141]
	s_wait_loadcnt_dscnt 0x401
	v_mul_f64_e32 v[136:137], v[4:5], v[148:149]
	v_mul_f64_e32 v[148:149], v[6:7], v[148:149]
	v_add_f64_e32 v[132:133], v[144:145], v[142:143]
	v_add_f64_e32 v[134:135], v[134:135], v[158:159]
	s_wait_loadcnt_dscnt 0x300
	v_mul_f64_e32 v[140:141], v[126:127], v[10:11]
	v_mul_f64_e32 v[10:11], v[128:129], v[10:11]
	v_fmac_f64_e32 v[136:137], v[6:7], v[146:147]
	v_fma_f64 v[142:143], v[4:5], v[146:147], -v[148:149]
	v_add_f64_e32 v[144:145], v[132:133], v[130:131]
	v_add_f64_e32 v[134:135], v[134:135], v[138:139]
	ds_load_b128 v[4:7], v2 offset:1552
	ds_load_b128 v[130:133], v2 offset:1568
	v_fmac_f64_e32 v[140:141], v[128:129], v[8:9]
	v_fma_f64 v[8:9], v[126:127], v[8:9], -v[10:11]
	s_wait_loadcnt_dscnt 0x201
	v_mul_f64_e32 v[138:139], v[4:5], v[14:15]
	v_mul_f64_e32 v[14:15], v[6:7], v[14:15]
	s_wait_loadcnt_dscnt 0x100
	v_mul_f64_e32 v[128:129], v[130:131], v[18:19]
	v_mul_f64_e32 v[18:19], v[132:133], v[18:19]
	v_add_f64_e32 v[10:11], v[144:145], v[142:143]
	v_add_f64_e32 v[126:127], v[134:135], v[136:137]
	v_fmac_f64_e32 v[138:139], v[6:7], v[12:13]
	v_fma_f64 v[12:13], v[4:5], v[12:13], -v[14:15]
	ds_load_b128 v[4:7], v2 offset:1584
	v_fmac_f64_e32 v[128:129], v[132:133], v[16:17]
	v_fma_f64 v[16:17], v[130:131], v[16:17], -v[18:19]
	v_add_f64_e32 v[8:9], v[10:11], v[8:9]
	v_add_f64_e32 v[10:11], v[126:127], v[140:141]
	s_wait_loadcnt_dscnt 0x0
	v_mul_f64_e32 v[14:15], v[4:5], v[22:23]
	v_mul_f64_e32 v[22:23], v[6:7], v[22:23]
	s_delay_alu instid0(VALU_DEP_4) | instskip(NEXT) | instid1(VALU_DEP_4)
	v_add_f64_e32 v[8:9], v[8:9], v[12:13]
	v_add_f64_e32 v[10:11], v[10:11], v[138:139]
	s_delay_alu instid0(VALU_DEP_4) | instskip(NEXT) | instid1(VALU_DEP_4)
	v_fmac_f64_e32 v[14:15], v[6:7], v[20:21]
	v_fma_f64 v[4:5], v[4:5], v[20:21], -v[22:23]
	s_delay_alu instid0(VALU_DEP_4) | instskip(NEXT) | instid1(VALU_DEP_4)
	v_add_f64_e32 v[6:7], v[8:9], v[16:17]
	v_add_f64_e32 v[8:9], v[10:11], v[128:129]
	s_delay_alu instid0(VALU_DEP_2) | instskip(NEXT) | instid1(VALU_DEP_2)
	v_add_f64_e32 v[4:5], v[6:7], v[4:5]
	v_add_f64_e32 v[6:7], v[8:9], v[14:15]
	s_delay_alu instid0(VALU_DEP_2) | instskip(NEXT) | instid1(VALU_DEP_2)
	v_add_f64_e64 v[4:5], v[154:155], -v[4:5]
	v_add_f64_e64 v[6:7], v[156:157], -v[6:7]
	scratch_store_b128 off, v[4:7], off offset:512
	s_wait_xcnt 0x0
	v_cmpx_lt_u32_e32 31, v1
	s_cbranch_execz .LBB49_251
; %bb.250:
	scratch_load_b128 v[6:9], off, s27
	v_dual_mov_b32 v3, v2 :: v_dual_mov_b32 v4, v2
	v_mov_b32_e32 v5, v2
	scratch_store_b128 off, v[2:5], off offset:496
	s_wait_loadcnt 0x0
	ds_store_b128 v124, v[6:9]
.LBB49_251:
	s_wait_xcnt 0x0
	s_or_b32 exec_lo, exec_lo, s2
	s_wait_storecnt_dscnt 0x0
	s_barrier_signal -1
	s_barrier_wait -1
	s_clause 0x9
	scratch_load_b128 v[4:7], off, off offset:512
	scratch_load_b128 v[8:11], off, off offset:528
	;; [unrolled: 1-line block ×10, first 2 shown]
	ds_load_b128 v[146:149], v2 offset:1312
	ds_load_b128 v[154:157], v2 offset:1328
	s_clause 0x2
	scratch_load_b128 v[150:153], off, off offset:672
	scratch_load_b128 v[158:161], off, off offset:496
	;; [unrolled: 1-line block ×3, first 2 shown]
	s_mov_b32 s2, exec_lo
	s_wait_loadcnt_dscnt 0xc01
	v_mul_f64_e32 v[166:167], v[148:149], v[6:7]
	v_mul_f64_e32 v[170:171], v[146:147], v[6:7]
	s_wait_loadcnt_dscnt 0xb00
	v_mul_f64_e32 v[172:173], v[154:155], v[10:11]
	v_mul_f64_e32 v[10:11], v[156:157], v[10:11]
	s_delay_alu instid0(VALU_DEP_4) | instskip(NEXT) | instid1(VALU_DEP_4)
	v_fma_f64 v[174:175], v[146:147], v[4:5], -v[166:167]
	v_fmac_f64_e32 v[170:171], v[148:149], v[4:5]
	ds_load_b128 v[4:7], v2 offset:1344
	ds_load_b128 v[146:149], v2 offset:1360
	scratch_load_b128 v[166:169], off, off offset:704
	v_fmac_f64_e32 v[172:173], v[156:157], v[8:9]
	v_fma_f64 v[154:155], v[154:155], v[8:9], -v[10:11]
	scratch_load_b128 v[8:11], off, off offset:720
	s_wait_loadcnt_dscnt 0xc01
	v_mul_f64_e32 v[176:177], v[4:5], v[14:15]
	v_mul_f64_e32 v[14:15], v[6:7], v[14:15]
	v_add_f64_e32 v[156:157], 0, v[174:175]
	v_add_f64_e32 v[170:171], 0, v[170:171]
	s_wait_loadcnt_dscnt 0xb00
	v_mul_f64_e32 v[174:175], v[146:147], v[18:19]
	v_mul_f64_e32 v[18:19], v[148:149], v[18:19]
	v_fmac_f64_e32 v[176:177], v[6:7], v[12:13]
	v_fma_f64 v[178:179], v[4:5], v[12:13], -v[14:15]
	ds_load_b128 v[4:7], v2 offset:1376
	ds_load_b128 v[12:15], v2 offset:1392
	v_add_f64_e32 v[180:181], v[156:157], v[154:155]
	v_add_f64_e32 v[170:171], v[170:171], v[172:173]
	scratch_load_b128 v[154:157], off, off offset:736
	v_fmac_f64_e32 v[174:175], v[148:149], v[16:17]
	v_fma_f64 v[146:147], v[146:147], v[16:17], -v[18:19]
	scratch_load_b128 v[16:19], off, off offset:752
	s_wait_loadcnt_dscnt 0xc01
	v_mul_f64_e32 v[172:173], v[4:5], v[22:23]
	v_mul_f64_e32 v[22:23], v[6:7], v[22:23]
	v_add_f64_e32 v[148:149], v[180:181], v[178:179]
	v_add_f64_e32 v[170:171], v[170:171], v[176:177]
	s_wait_loadcnt_dscnt 0xb00
	v_mul_f64_e32 v[176:177], v[12:13], v[128:129]
	v_mul_f64_e32 v[128:129], v[14:15], v[128:129]
	v_fmac_f64_e32 v[172:173], v[6:7], v[20:21]
	v_fma_f64 v[178:179], v[4:5], v[20:21], -v[22:23]
	ds_load_b128 v[4:7], v2 offset:1408
	ds_load_b128 v[20:23], v2 offset:1424
	v_add_f64_e32 v[180:181], v[148:149], v[146:147]
	v_add_f64_e32 v[170:171], v[170:171], v[174:175]
	scratch_load_b128 v[146:149], off, off offset:768
	s_wait_loadcnt_dscnt 0xb01
	v_mul_f64_e32 v[174:175], v[4:5], v[132:133]
	v_mul_f64_e32 v[132:133], v[6:7], v[132:133]
	v_fmac_f64_e32 v[176:177], v[14:15], v[126:127]
	v_fma_f64 v[126:127], v[12:13], v[126:127], -v[128:129]
	scratch_load_b128 v[12:15], off, off offset:784
	v_add_f64_e32 v[128:129], v[180:181], v[178:179]
	v_add_f64_e32 v[170:171], v[170:171], v[172:173]
	s_wait_loadcnt_dscnt 0xb00
	v_mul_f64_e32 v[172:173], v[20:21], v[136:137]
	v_mul_f64_e32 v[136:137], v[22:23], v[136:137]
	v_fmac_f64_e32 v[174:175], v[6:7], v[130:131]
	v_fma_f64 v[130:131], v[4:5], v[130:131], -v[132:133]
	v_add_f64_e32 v[132:133], v[128:129], v[126:127]
	v_add_f64_e32 v[170:171], v[170:171], v[176:177]
	ds_load_b128 v[4:7], v2 offset:1440
	ds_load_b128 v[126:129], v2 offset:1456
	v_fmac_f64_e32 v[172:173], v[22:23], v[134:135]
	v_fma_f64 v[20:21], v[20:21], v[134:135], -v[136:137]
	s_wait_loadcnt_dscnt 0xa01
	v_mul_f64_e32 v[176:177], v[4:5], v[140:141]
	v_mul_f64_e32 v[140:141], v[6:7], v[140:141]
	s_wait_loadcnt_dscnt 0x900
	v_mul_f64_e32 v[134:135], v[128:129], v[144:145]
	v_add_f64_e32 v[22:23], v[132:133], v[130:131]
	v_add_f64_e32 v[130:131], v[170:171], v[174:175]
	v_mul_f64_e32 v[132:133], v[126:127], v[144:145]
	v_fmac_f64_e32 v[176:177], v[6:7], v[138:139]
	v_fma_f64 v[136:137], v[4:5], v[138:139], -v[140:141]
	v_fma_f64 v[126:127], v[126:127], v[142:143], -v[134:135]
	v_add_f64_e32 v[138:139], v[22:23], v[20:21]
	v_add_f64_e32 v[130:131], v[130:131], v[172:173]
	ds_load_b128 v[4:7], v2 offset:1472
	ds_load_b128 v[20:23], v2 offset:1488
	v_fmac_f64_e32 v[132:133], v[128:129], v[142:143]
	s_wait_loadcnt_dscnt 0x801
	v_mul_f64_e32 v[140:141], v[4:5], v[152:153]
	v_mul_f64_e32 v[144:145], v[6:7], v[152:153]
	s_wait_loadcnt_dscnt 0x600
	v_mul_f64_e32 v[134:135], v[20:21], v[164:165]
	v_add_f64_e32 v[128:129], v[138:139], v[136:137]
	v_add_f64_e32 v[130:131], v[130:131], v[176:177]
	v_mul_f64_e32 v[136:137], v[22:23], v[164:165]
	v_fmac_f64_e32 v[140:141], v[6:7], v[150:151]
	v_fma_f64 v[138:139], v[4:5], v[150:151], -v[144:145]
	v_fmac_f64_e32 v[134:135], v[22:23], v[162:163]
	v_add_f64_e32 v[142:143], v[128:129], v[126:127]
	v_add_f64_e32 v[130:131], v[130:131], v[132:133]
	ds_load_b128 v[4:7], v2 offset:1504
	ds_load_b128 v[126:129], v2 offset:1520
	v_fma_f64 v[20:21], v[20:21], v[162:163], -v[136:137]
	s_wait_loadcnt_dscnt 0x501
	v_mul_f64_e32 v[132:133], v[4:5], v[168:169]
	v_mul_f64_e32 v[144:145], v[6:7], v[168:169]
	s_wait_loadcnt_dscnt 0x400
	v_mul_f64_e32 v[136:137], v[126:127], v[10:11]
	v_mul_f64_e32 v[10:11], v[128:129], v[10:11]
	v_add_f64_e32 v[22:23], v[142:143], v[138:139]
	v_add_f64_e32 v[130:131], v[130:131], v[140:141]
	v_fmac_f64_e32 v[132:133], v[6:7], v[166:167]
	v_fma_f64 v[138:139], v[4:5], v[166:167], -v[144:145]
	v_fmac_f64_e32 v[136:137], v[128:129], v[8:9]
	v_fma_f64 v[8:9], v[126:127], v[8:9], -v[10:11]
	v_add_f64_e32 v[140:141], v[22:23], v[20:21]
	v_add_f64_e32 v[130:131], v[130:131], v[134:135]
	ds_load_b128 v[4:7], v2 offset:1536
	ds_load_b128 v[20:23], v2 offset:1552
	s_wait_loadcnt_dscnt 0x301
	v_mul_f64_e32 v[134:135], v[4:5], v[156:157]
	v_mul_f64_e32 v[142:143], v[6:7], v[156:157]
	s_wait_loadcnt_dscnt 0x200
	v_mul_f64_e32 v[128:129], v[20:21], v[18:19]
	v_mul_f64_e32 v[18:19], v[22:23], v[18:19]
	v_add_f64_e32 v[10:11], v[140:141], v[138:139]
	v_add_f64_e32 v[126:127], v[130:131], v[132:133]
	v_fmac_f64_e32 v[134:135], v[6:7], v[154:155]
	v_fma_f64 v[130:131], v[4:5], v[154:155], -v[142:143]
	v_fmac_f64_e32 v[128:129], v[22:23], v[16:17]
	v_fma_f64 v[16:17], v[20:21], v[16:17], -v[18:19]
	v_add_f64_e32 v[132:133], v[10:11], v[8:9]
	v_add_f64_e32 v[126:127], v[126:127], v[136:137]
	ds_load_b128 v[4:7], v2 offset:1568
	ds_load_b128 v[8:11], v2 offset:1584
	s_wait_loadcnt_dscnt 0x101
	v_mul_f64_e32 v[2:3], v[4:5], v[148:149]
	v_mul_f64_e32 v[136:137], v[6:7], v[148:149]
	s_wait_loadcnt_dscnt 0x0
	v_mul_f64_e32 v[22:23], v[8:9], v[14:15]
	v_mul_f64_e32 v[14:15], v[10:11], v[14:15]
	v_add_f64_e32 v[18:19], v[132:133], v[130:131]
	v_add_f64_e32 v[20:21], v[126:127], v[134:135]
	v_fmac_f64_e32 v[2:3], v[6:7], v[146:147]
	v_fma_f64 v[4:5], v[4:5], v[146:147], -v[136:137]
	v_fmac_f64_e32 v[22:23], v[10:11], v[12:13]
	v_fma_f64 v[8:9], v[8:9], v[12:13], -v[14:15]
	v_add_f64_e32 v[6:7], v[18:19], v[16:17]
	v_add_f64_e32 v[16:17], v[20:21], v[128:129]
	s_delay_alu instid0(VALU_DEP_2) | instskip(NEXT) | instid1(VALU_DEP_2)
	v_add_f64_e32 v[4:5], v[6:7], v[4:5]
	v_add_f64_e32 v[2:3], v[16:17], v[2:3]
	s_delay_alu instid0(VALU_DEP_2) | instskip(NEXT) | instid1(VALU_DEP_2)
	;; [unrolled: 3-line block ×3, first 2 shown]
	v_add_f64_e64 v[2:3], v[158:159], -v[4:5]
	v_add_f64_e64 v[4:5], v[160:161], -v[6:7]
	scratch_store_b128 off, v[2:5], off offset:496
	s_wait_xcnt 0x0
	v_cmpx_lt_u32_e32 30, v1
	s_cbranch_execz .LBB49_253
; %bb.252:
	scratch_load_b128 v[2:5], off, s31
	v_mov_b32_e32 v6, 0
	s_delay_alu instid0(VALU_DEP_1)
	v_dual_mov_b32 v7, v6 :: v_dual_mov_b32 v8, v6
	v_mov_b32_e32 v9, v6
	scratch_store_b128 off, v[6:9], off offset:480
	s_wait_loadcnt 0x0
	ds_store_b128 v124, v[2:5]
.LBB49_253:
	s_wait_xcnt 0x0
	s_or_b32 exec_lo, exec_lo, s2
	s_wait_storecnt_dscnt 0x0
	s_barrier_signal -1
	s_barrier_wait -1
	s_clause 0x9
	scratch_load_b128 v[4:7], off, off offset:496
	scratch_load_b128 v[8:11], off, off offset:512
	;; [unrolled: 1-line block ×10, first 2 shown]
	v_mov_b32_e32 v2, 0
	s_mov_b32 s2, exec_lo
	ds_load_b128 v[146:149], v2 offset:1296
	s_clause 0x2
	scratch_load_b128 v[150:153], off, off offset:656
	scratch_load_b128 v[154:157], off, off offset:480
	;; [unrolled: 1-line block ×3, first 2 shown]
	s_wait_loadcnt_dscnt 0xc00
	v_mul_f64_e32 v[166:167], v[148:149], v[6:7]
	v_mul_f64_e32 v[170:171], v[146:147], v[6:7]
	ds_load_b128 v[158:161], v2 offset:1312
	v_fma_f64 v[174:175], v[146:147], v[4:5], -v[166:167]
	v_fmac_f64_e32 v[170:171], v[148:149], v[4:5]
	ds_load_b128 v[4:7], v2 offset:1328
	s_wait_loadcnt_dscnt 0xb01
	v_mul_f64_e32 v[172:173], v[158:159], v[10:11]
	v_mul_f64_e32 v[10:11], v[160:161], v[10:11]
	scratch_load_b128 v[146:149], off, off offset:688
	ds_load_b128 v[166:169], v2 offset:1344
	s_wait_loadcnt_dscnt 0xb01
	v_mul_f64_e32 v[176:177], v[4:5], v[14:15]
	v_mul_f64_e32 v[14:15], v[6:7], v[14:15]
	v_add_f64_e32 v[170:171], 0, v[170:171]
	v_fmac_f64_e32 v[172:173], v[160:161], v[8:9]
	v_fma_f64 v[158:159], v[158:159], v[8:9], -v[10:11]
	v_add_f64_e32 v[160:161], 0, v[174:175]
	scratch_load_b128 v[8:11], off, off offset:704
	v_fmac_f64_e32 v[176:177], v[6:7], v[12:13]
	v_fma_f64 v[178:179], v[4:5], v[12:13], -v[14:15]
	ds_load_b128 v[4:7], v2 offset:1360
	s_wait_loadcnt_dscnt 0xb01
	v_mul_f64_e32 v[174:175], v[166:167], v[18:19]
	v_mul_f64_e32 v[18:19], v[168:169], v[18:19]
	scratch_load_b128 v[12:15], off, off offset:720
	v_add_f64_e32 v[170:171], v[170:171], v[172:173]
	v_add_f64_e32 v[180:181], v[160:161], v[158:159]
	ds_load_b128 v[158:161], v2 offset:1376
	s_wait_loadcnt_dscnt 0xb01
	v_mul_f64_e32 v[172:173], v[4:5], v[22:23]
	v_mul_f64_e32 v[22:23], v[6:7], v[22:23]
	v_fmac_f64_e32 v[174:175], v[168:169], v[16:17]
	v_fma_f64 v[166:167], v[166:167], v[16:17], -v[18:19]
	scratch_load_b128 v[16:19], off, off offset:736
	v_add_f64_e32 v[170:171], v[170:171], v[176:177]
	v_add_f64_e32 v[168:169], v[180:181], v[178:179]
	v_fmac_f64_e32 v[172:173], v[6:7], v[20:21]
	v_fma_f64 v[178:179], v[4:5], v[20:21], -v[22:23]
	ds_load_b128 v[4:7], v2 offset:1392
	s_wait_loadcnt_dscnt 0xb01
	v_mul_f64_e32 v[176:177], v[158:159], v[128:129]
	v_mul_f64_e32 v[128:129], v[160:161], v[128:129]
	scratch_load_b128 v[20:23], off, off offset:752
	v_add_f64_e32 v[170:171], v[170:171], v[174:175]
	s_wait_loadcnt_dscnt 0xb00
	v_mul_f64_e32 v[174:175], v[4:5], v[132:133]
	v_add_f64_e32 v[180:181], v[168:169], v[166:167]
	v_mul_f64_e32 v[132:133], v[6:7], v[132:133]
	ds_load_b128 v[166:169], v2 offset:1408
	v_fmac_f64_e32 v[176:177], v[160:161], v[126:127]
	v_fma_f64 v[158:159], v[158:159], v[126:127], -v[128:129]
	scratch_load_b128 v[126:129], off, off offset:768
	v_add_f64_e32 v[170:171], v[170:171], v[172:173]
	v_fmac_f64_e32 v[174:175], v[6:7], v[130:131]
	v_add_f64_e32 v[160:161], v[180:181], v[178:179]
	v_fma_f64 v[178:179], v[4:5], v[130:131], -v[132:133]
	ds_load_b128 v[4:7], v2 offset:1424
	s_wait_loadcnt_dscnt 0xb01
	v_mul_f64_e32 v[172:173], v[166:167], v[136:137]
	v_mul_f64_e32 v[136:137], v[168:169], v[136:137]
	scratch_load_b128 v[130:133], off, off offset:784
	v_add_f64_e32 v[170:171], v[170:171], v[176:177]
	s_wait_loadcnt_dscnt 0xb00
	v_mul_f64_e32 v[176:177], v[4:5], v[140:141]
	v_add_f64_e32 v[180:181], v[160:161], v[158:159]
	v_mul_f64_e32 v[140:141], v[6:7], v[140:141]
	ds_load_b128 v[158:161], v2 offset:1440
	v_fmac_f64_e32 v[172:173], v[168:169], v[134:135]
	v_fma_f64 v[134:135], v[166:167], v[134:135], -v[136:137]
	s_wait_loadcnt_dscnt 0xa00
	v_mul_f64_e32 v[168:169], v[158:159], v[144:145]
	v_mul_f64_e32 v[144:145], v[160:161], v[144:145]
	v_add_f64_e32 v[166:167], v[170:171], v[174:175]
	v_fmac_f64_e32 v[176:177], v[6:7], v[138:139]
	v_add_f64_e32 v[136:137], v[180:181], v[178:179]
	v_fma_f64 v[138:139], v[4:5], v[138:139], -v[140:141]
	v_fmac_f64_e32 v[168:169], v[160:161], v[142:143]
	v_fma_f64 v[142:143], v[158:159], v[142:143], -v[144:145]
	v_add_f64_e32 v[166:167], v[166:167], v[172:173]
	v_add_f64_e32 v[140:141], v[136:137], v[134:135]
	ds_load_b128 v[4:7], v2 offset:1456
	ds_load_b128 v[134:137], v2 offset:1472
	s_wait_loadcnt_dscnt 0x901
	v_mul_f64_e32 v[170:171], v[4:5], v[152:153]
	v_mul_f64_e32 v[152:153], v[6:7], v[152:153]
	s_wait_loadcnt_dscnt 0x700
	v_mul_f64_e32 v[144:145], v[134:135], v[164:165]
	v_mul_f64_e32 v[158:159], v[136:137], v[164:165]
	v_add_f64_e32 v[138:139], v[140:141], v[138:139]
	v_add_f64_e32 v[140:141], v[166:167], v[176:177]
	v_fmac_f64_e32 v[170:171], v[6:7], v[150:151]
	v_fma_f64 v[150:151], v[4:5], v[150:151], -v[152:153]
	v_fmac_f64_e32 v[144:145], v[136:137], v[162:163]
	v_fma_f64 v[134:135], v[134:135], v[162:163], -v[158:159]
	v_add_f64_e32 v[142:143], v[138:139], v[142:143]
	v_add_f64_e32 v[152:153], v[140:141], v[168:169]
	ds_load_b128 v[4:7], v2 offset:1488
	ds_load_b128 v[138:141], v2 offset:1504
	s_wait_loadcnt_dscnt 0x601
	v_mul_f64_e32 v[160:161], v[4:5], v[148:149]
	v_mul_f64_e32 v[148:149], v[6:7], v[148:149]
	v_add_f64_e32 v[136:137], v[142:143], v[150:151]
	v_add_f64_e32 v[142:143], v[152:153], v[170:171]
	s_wait_loadcnt_dscnt 0x500
	v_mul_f64_e32 v[150:151], v[138:139], v[10:11]
	v_mul_f64_e32 v[10:11], v[140:141], v[10:11]
	v_fmac_f64_e32 v[160:161], v[6:7], v[146:147]
	v_fma_f64 v[146:147], v[4:5], v[146:147], -v[148:149]
	v_add_f64_e32 v[148:149], v[136:137], v[134:135]
	v_add_f64_e32 v[142:143], v[142:143], v[144:145]
	ds_load_b128 v[4:7], v2 offset:1520
	ds_load_b128 v[134:137], v2 offset:1536
	v_fmac_f64_e32 v[150:151], v[140:141], v[8:9]
	v_fma_f64 v[8:9], v[138:139], v[8:9], -v[10:11]
	s_wait_loadcnt_dscnt 0x401
	v_mul_f64_e32 v[144:145], v[4:5], v[14:15]
	v_mul_f64_e32 v[14:15], v[6:7], v[14:15]
	s_wait_loadcnt_dscnt 0x300
	v_mul_f64_e32 v[140:141], v[134:135], v[18:19]
	v_mul_f64_e32 v[18:19], v[136:137], v[18:19]
	v_add_f64_e32 v[10:11], v[148:149], v[146:147]
	v_add_f64_e32 v[138:139], v[142:143], v[160:161]
	v_fmac_f64_e32 v[144:145], v[6:7], v[12:13]
	v_fma_f64 v[12:13], v[4:5], v[12:13], -v[14:15]
	v_fmac_f64_e32 v[140:141], v[136:137], v[16:17]
	v_fma_f64 v[16:17], v[134:135], v[16:17], -v[18:19]
	v_add_f64_e32 v[14:15], v[10:11], v[8:9]
	v_add_f64_e32 v[138:139], v[138:139], v[150:151]
	ds_load_b128 v[4:7], v2 offset:1552
	ds_load_b128 v[8:11], v2 offset:1568
	s_wait_loadcnt_dscnt 0x201
	v_mul_f64_e32 v[142:143], v[4:5], v[22:23]
	v_mul_f64_e32 v[22:23], v[6:7], v[22:23]
	s_wait_loadcnt_dscnt 0x100
	v_mul_f64_e32 v[18:19], v[8:9], v[128:129]
	v_mul_f64_e32 v[128:129], v[10:11], v[128:129]
	v_add_f64_e32 v[12:13], v[14:15], v[12:13]
	v_add_f64_e32 v[14:15], v[138:139], v[144:145]
	v_fmac_f64_e32 v[142:143], v[6:7], v[20:21]
	v_fma_f64 v[20:21], v[4:5], v[20:21], -v[22:23]
	ds_load_b128 v[4:7], v2 offset:1584
	v_fmac_f64_e32 v[18:19], v[10:11], v[126:127]
	v_fma_f64 v[8:9], v[8:9], v[126:127], -v[128:129]
	v_add_f64_e32 v[12:13], v[12:13], v[16:17]
	v_add_f64_e32 v[14:15], v[14:15], v[140:141]
	s_wait_loadcnt_dscnt 0x0
	v_mul_f64_e32 v[16:17], v[4:5], v[132:133]
	v_mul_f64_e32 v[22:23], v[6:7], v[132:133]
	s_delay_alu instid0(VALU_DEP_4) | instskip(NEXT) | instid1(VALU_DEP_4)
	v_add_f64_e32 v[10:11], v[12:13], v[20:21]
	v_add_f64_e32 v[12:13], v[14:15], v[142:143]
	s_delay_alu instid0(VALU_DEP_4) | instskip(NEXT) | instid1(VALU_DEP_4)
	v_fmac_f64_e32 v[16:17], v[6:7], v[130:131]
	v_fma_f64 v[4:5], v[4:5], v[130:131], -v[22:23]
	s_delay_alu instid0(VALU_DEP_4) | instskip(NEXT) | instid1(VALU_DEP_4)
	v_add_f64_e32 v[6:7], v[10:11], v[8:9]
	v_add_f64_e32 v[8:9], v[12:13], v[18:19]
	s_delay_alu instid0(VALU_DEP_2) | instskip(NEXT) | instid1(VALU_DEP_2)
	v_add_f64_e32 v[4:5], v[6:7], v[4:5]
	v_add_f64_e32 v[6:7], v[8:9], v[16:17]
	s_delay_alu instid0(VALU_DEP_2) | instskip(NEXT) | instid1(VALU_DEP_2)
	v_add_f64_e64 v[4:5], v[154:155], -v[4:5]
	v_add_f64_e64 v[6:7], v[156:157], -v[6:7]
	scratch_store_b128 off, v[4:7], off offset:480
	s_wait_xcnt 0x0
	v_cmpx_lt_u32_e32 29, v1
	s_cbranch_execz .LBB49_255
; %bb.254:
	scratch_load_b128 v[6:9], off, s30
	v_dual_mov_b32 v3, v2 :: v_dual_mov_b32 v4, v2
	v_mov_b32_e32 v5, v2
	scratch_store_b128 off, v[2:5], off offset:464
	s_wait_loadcnt 0x0
	ds_store_b128 v124, v[6:9]
.LBB49_255:
	s_wait_xcnt 0x0
	s_or_b32 exec_lo, exec_lo, s2
	s_wait_storecnt_dscnt 0x0
	s_barrier_signal -1
	s_barrier_wait -1
	s_clause 0x9
	scratch_load_b128 v[4:7], off, off offset:480
	scratch_load_b128 v[8:11], off, off offset:496
	;; [unrolled: 1-line block ×10, first 2 shown]
	ds_load_b128 v[146:149], v2 offset:1280
	ds_load_b128 v[154:157], v2 offset:1296
	s_clause 0x2
	scratch_load_b128 v[150:153], off, off offset:640
	scratch_load_b128 v[158:161], off, off offset:464
	;; [unrolled: 1-line block ×3, first 2 shown]
	s_mov_b32 s2, exec_lo
	s_wait_loadcnt_dscnt 0xc01
	v_mul_f64_e32 v[166:167], v[148:149], v[6:7]
	v_mul_f64_e32 v[170:171], v[146:147], v[6:7]
	s_wait_loadcnt_dscnt 0xb00
	v_mul_f64_e32 v[172:173], v[154:155], v[10:11]
	v_mul_f64_e32 v[10:11], v[156:157], v[10:11]
	s_delay_alu instid0(VALU_DEP_4) | instskip(NEXT) | instid1(VALU_DEP_4)
	v_fma_f64 v[174:175], v[146:147], v[4:5], -v[166:167]
	v_fmac_f64_e32 v[170:171], v[148:149], v[4:5]
	ds_load_b128 v[4:7], v2 offset:1312
	ds_load_b128 v[146:149], v2 offset:1328
	scratch_load_b128 v[166:169], off, off offset:672
	v_fmac_f64_e32 v[172:173], v[156:157], v[8:9]
	v_fma_f64 v[154:155], v[154:155], v[8:9], -v[10:11]
	scratch_load_b128 v[8:11], off, off offset:688
	s_wait_loadcnt_dscnt 0xc01
	v_mul_f64_e32 v[176:177], v[4:5], v[14:15]
	v_mul_f64_e32 v[14:15], v[6:7], v[14:15]
	v_add_f64_e32 v[156:157], 0, v[174:175]
	v_add_f64_e32 v[170:171], 0, v[170:171]
	s_wait_loadcnt_dscnt 0xb00
	v_mul_f64_e32 v[174:175], v[146:147], v[18:19]
	v_mul_f64_e32 v[18:19], v[148:149], v[18:19]
	v_fmac_f64_e32 v[176:177], v[6:7], v[12:13]
	v_fma_f64 v[178:179], v[4:5], v[12:13], -v[14:15]
	ds_load_b128 v[4:7], v2 offset:1344
	ds_load_b128 v[12:15], v2 offset:1360
	v_add_f64_e32 v[180:181], v[156:157], v[154:155]
	v_add_f64_e32 v[170:171], v[170:171], v[172:173]
	scratch_load_b128 v[154:157], off, off offset:704
	v_fmac_f64_e32 v[174:175], v[148:149], v[16:17]
	v_fma_f64 v[146:147], v[146:147], v[16:17], -v[18:19]
	scratch_load_b128 v[16:19], off, off offset:720
	s_wait_loadcnt_dscnt 0xc01
	v_mul_f64_e32 v[172:173], v[4:5], v[22:23]
	v_mul_f64_e32 v[22:23], v[6:7], v[22:23]
	v_add_f64_e32 v[148:149], v[180:181], v[178:179]
	v_add_f64_e32 v[170:171], v[170:171], v[176:177]
	s_wait_loadcnt_dscnt 0xb00
	v_mul_f64_e32 v[176:177], v[12:13], v[128:129]
	v_mul_f64_e32 v[128:129], v[14:15], v[128:129]
	v_fmac_f64_e32 v[172:173], v[6:7], v[20:21]
	v_fma_f64 v[178:179], v[4:5], v[20:21], -v[22:23]
	ds_load_b128 v[4:7], v2 offset:1376
	ds_load_b128 v[20:23], v2 offset:1392
	v_add_f64_e32 v[180:181], v[148:149], v[146:147]
	v_add_f64_e32 v[170:171], v[170:171], v[174:175]
	scratch_load_b128 v[146:149], off, off offset:736
	s_wait_loadcnt_dscnt 0xb01
	v_mul_f64_e32 v[174:175], v[4:5], v[132:133]
	v_mul_f64_e32 v[132:133], v[6:7], v[132:133]
	v_fmac_f64_e32 v[176:177], v[14:15], v[126:127]
	v_fma_f64 v[126:127], v[12:13], v[126:127], -v[128:129]
	scratch_load_b128 v[12:15], off, off offset:752
	v_add_f64_e32 v[128:129], v[180:181], v[178:179]
	v_add_f64_e32 v[170:171], v[170:171], v[172:173]
	s_wait_loadcnt_dscnt 0xb00
	v_mul_f64_e32 v[172:173], v[20:21], v[136:137]
	v_mul_f64_e32 v[136:137], v[22:23], v[136:137]
	v_fmac_f64_e32 v[174:175], v[6:7], v[130:131]
	v_fma_f64 v[178:179], v[4:5], v[130:131], -v[132:133]
	v_add_f64_e32 v[180:181], v[128:129], v[126:127]
	v_add_f64_e32 v[170:171], v[170:171], v[176:177]
	ds_load_b128 v[4:7], v2 offset:1408
	ds_load_b128 v[126:129], v2 offset:1424
	scratch_load_b128 v[130:133], off, off offset:768
	v_fmac_f64_e32 v[172:173], v[22:23], v[134:135]
	v_fma_f64 v[134:135], v[20:21], v[134:135], -v[136:137]
	scratch_load_b128 v[20:23], off, off offset:784
	s_wait_loadcnt_dscnt 0xc01
	v_mul_f64_e32 v[176:177], v[4:5], v[140:141]
	v_mul_f64_e32 v[140:141], v[6:7], v[140:141]
	v_add_f64_e32 v[136:137], v[180:181], v[178:179]
	v_add_f64_e32 v[170:171], v[170:171], v[174:175]
	s_wait_loadcnt_dscnt 0xb00
	v_mul_f64_e32 v[174:175], v[126:127], v[144:145]
	v_mul_f64_e32 v[144:145], v[128:129], v[144:145]
	v_fmac_f64_e32 v[176:177], v[6:7], v[138:139]
	v_fma_f64 v[138:139], v[4:5], v[138:139], -v[140:141]
	v_add_f64_e32 v[140:141], v[136:137], v[134:135]
	v_add_f64_e32 v[170:171], v[170:171], v[172:173]
	ds_load_b128 v[4:7], v2 offset:1440
	ds_load_b128 v[134:137], v2 offset:1456
	v_fmac_f64_e32 v[174:175], v[128:129], v[142:143]
	v_fma_f64 v[126:127], v[126:127], v[142:143], -v[144:145]
	s_wait_loadcnt_dscnt 0xa01
	v_mul_f64_e32 v[172:173], v[4:5], v[152:153]
	v_mul_f64_e32 v[152:153], v[6:7], v[152:153]
	s_wait_loadcnt_dscnt 0x800
	v_mul_f64_e32 v[142:143], v[136:137], v[164:165]
	v_add_f64_e32 v[128:129], v[140:141], v[138:139]
	v_add_f64_e32 v[138:139], v[170:171], v[176:177]
	v_mul_f64_e32 v[140:141], v[134:135], v[164:165]
	v_fmac_f64_e32 v[172:173], v[6:7], v[150:151]
	v_fma_f64 v[144:145], v[4:5], v[150:151], -v[152:153]
	v_fma_f64 v[134:135], v[134:135], v[162:163], -v[142:143]
	v_add_f64_e32 v[150:151], v[128:129], v[126:127]
	v_add_f64_e32 v[138:139], v[138:139], v[174:175]
	ds_load_b128 v[4:7], v2 offset:1472
	ds_load_b128 v[126:129], v2 offset:1488
	v_fmac_f64_e32 v[140:141], v[136:137], v[162:163]
	s_wait_loadcnt_dscnt 0x701
	v_mul_f64_e32 v[152:153], v[4:5], v[168:169]
	v_mul_f64_e32 v[164:165], v[6:7], v[168:169]
	s_wait_loadcnt_dscnt 0x600
	v_mul_f64_e32 v[142:143], v[126:127], v[10:11]
	v_mul_f64_e32 v[10:11], v[128:129], v[10:11]
	v_add_f64_e32 v[136:137], v[150:151], v[144:145]
	v_add_f64_e32 v[138:139], v[138:139], v[172:173]
	v_fmac_f64_e32 v[152:153], v[6:7], v[166:167]
	v_fma_f64 v[144:145], v[4:5], v[166:167], -v[164:165]
	v_fmac_f64_e32 v[142:143], v[128:129], v[8:9]
	v_fma_f64 v[8:9], v[126:127], v[8:9], -v[10:11]
	v_add_f64_e32 v[150:151], v[136:137], v[134:135]
	v_add_f64_e32 v[138:139], v[138:139], v[140:141]
	ds_load_b128 v[4:7], v2 offset:1504
	ds_load_b128 v[134:137], v2 offset:1520
	s_wait_loadcnt_dscnt 0x501
	v_mul_f64_e32 v[140:141], v[4:5], v[156:157]
	v_mul_f64_e32 v[156:157], v[6:7], v[156:157]
	s_wait_loadcnt_dscnt 0x400
	v_mul_f64_e32 v[128:129], v[134:135], v[18:19]
	v_mul_f64_e32 v[18:19], v[136:137], v[18:19]
	v_add_f64_e32 v[10:11], v[150:151], v[144:145]
	v_add_f64_e32 v[126:127], v[138:139], v[152:153]
	v_fmac_f64_e32 v[140:141], v[6:7], v[154:155]
	v_fma_f64 v[138:139], v[4:5], v[154:155], -v[156:157]
	v_fmac_f64_e32 v[128:129], v[136:137], v[16:17]
	v_fma_f64 v[16:17], v[134:135], v[16:17], -v[18:19]
	v_add_f64_e32 v[144:145], v[10:11], v[8:9]
	v_add_f64_e32 v[126:127], v[126:127], v[142:143]
	ds_load_b128 v[4:7], v2 offset:1536
	ds_load_b128 v[8:11], v2 offset:1552
	;; [unrolled: 16-line block ×3, first 2 shown]
	s_wait_loadcnt_dscnt 0x101
	v_mul_f64_e32 v[2:3], v[4:5], v[132:133]
	v_mul_f64_e32 v[128:129], v[6:7], v[132:133]
	v_add_f64_e32 v[10:11], v[18:19], v[138:139]
	v_add_f64_e32 v[12:13], v[126:127], v[142:143]
	s_wait_loadcnt_dscnt 0x0
	v_mul_f64_e32 v[18:19], v[14:15], v[22:23]
	v_mul_f64_e32 v[22:23], v[16:17], v[22:23]
	v_fmac_f64_e32 v[2:3], v[6:7], v[130:131]
	v_fma_f64 v[4:5], v[4:5], v[130:131], -v[128:129]
	v_add_f64_e32 v[6:7], v[10:11], v[8:9]
	v_add_f64_e32 v[8:9], v[12:13], v[134:135]
	v_fmac_f64_e32 v[18:19], v[16:17], v[20:21]
	v_fma_f64 v[10:11], v[14:15], v[20:21], -v[22:23]
	s_delay_alu instid0(VALU_DEP_4) | instskip(NEXT) | instid1(VALU_DEP_4)
	v_add_f64_e32 v[4:5], v[6:7], v[4:5]
	v_add_f64_e32 v[2:3], v[8:9], v[2:3]
	s_delay_alu instid0(VALU_DEP_2) | instskip(NEXT) | instid1(VALU_DEP_2)
	v_add_f64_e32 v[4:5], v[4:5], v[10:11]
	v_add_f64_e32 v[6:7], v[2:3], v[18:19]
	s_delay_alu instid0(VALU_DEP_2) | instskip(NEXT) | instid1(VALU_DEP_2)
	v_add_f64_e64 v[2:3], v[158:159], -v[4:5]
	v_add_f64_e64 v[4:5], v[160:161], -v[6:7]
	scratch_store_b128 off, v[2:5], off offset:464
	s_wait_xcnt 0x0
	v_cmpx_lt_u32_e32 28, v1
	s_cbranch_execz .LBB49_257
; %bb.256:
	scratch_load_b128 v[2:5], off, s34
	v_mov_b32_e32 v6, 0
	s_delay_alu instid0(VALU_DEP_1)
	v_dual_mov_b32 v7, v6 :: v_dual_mov_b32 v8, v6
	v_mov_b32_e32 v9, v6
	scratch_store_b128 off, v[6:9], off offset:448
	s_wait_loadcnt 0x0
	ds_store_b128 v124, v[2:5]
.LBB49_257:
	s_wait_xcnt 0x0
	s_or_b32 exec_lo, exec_lo, s2
	s_wait_storecnt_dscnt 0x0
	s_barrier_signal -1
	s_barrier_wait -1
	s_clause 0x9
	scratch_load_b128 v[4:7], off, off offset:464
	scratch_load_b128 v[8:11], off, off offset:480
	;; [unrolled: 1-line block ×10, first 2 shown]
	v_mov_b32_e32 v2, 0
	s_mov_b32 s2, exec_lo
	ds_load_b128 v[146:149], v2 offset:1264
	s_clause 0x2
	scratch_load_b128 v[150:153], off, off offset:624
	scratch_load_b128 v[154:157], off, off offset:448
	;; [unrolled: 1-line block ×3, first 2 shown]
	s_wait_loadcnt_dscnt 0xc00
	v_mul_f64_e32 v[166:167], v[148:149], v[6:7]
	v_mul_f64_e32 v[170:171], v[146:147], v[6:7]
	ds_load_b128 v[158:161], v2 offset:1280
	v_fma_f64 v[174:175], v[146:147], v[4:5], -v[166:167]
	v_fmac_f64_e32 v[170:171], v[148:149], v[4:5]
	ds_load_b128 v[4:7], v2 offset:1296
	s_wait_loadcnt_dscnt 0xb01
	v_mul_f64_e32 v[172:173], v[158:159], v[10:11]
	v_mul_f64_e32 v[10:11], v[160:161], v[10:11]
	scratch_load_b128 v[146:149], off, off offset:656
	ds_load_b128 v[166:169], v2 offset:1312
	s_wait_loadcnt_dscnt 0xb01
	v_mul_f64_e32 v[176:177], v[4:5], v[14:15]
	v_mul_f64_e32 v[14:15], v[6:7], v[14:15]
	v_add_f64_e32 v[170:171], 0, v[170:171]
	v_fmac_f64_e32 v[172:173], v[160:161], v[8:9]
	v_fma_f64 v[158:159], v[158:159], v[8:9], -v[10:11]
	v_add_f64_e32 v[160:161], 0, v[174:175]
	scratch_load_b128 v[8:11], off, off offset:672
	v_fmac_f64_e32 v[176:177], v[6:7], v[12:13]
	v_fma_f64 v[178:179], v[4:5], v[12:13], -v[14:15]
	ds_load_b128 v[4:7], v2 offset:1328
	s_wait_loadcnt_dscnt 0xb01
	v_mul_f64_e32 v[174:175], v[166:167], v[18:19]
	v_mul_f64_e32 v[18:19], v[168:169], v[18:19]
	scratch_load_b128 v[12:15], off, off offset:688
	v_add_f64_e32 v[170:171], v[170:171], v[172:173]
	v_add_f64_e32 v[180:181], v[160:161], v[158:159]
	ds_load_b128 v[158:161], v2 offset:1344
	s_wait_loadcnt_dscnt 0xb01
	v_mul_f64_e32 v[172:173], v[4:5], v[22:23]
	v_mul_f64_e32 v[22:23], v[6:7], v[22:23]
	v_fmac_f64_e32 v[174:175], v[168:169], v[16:17]
	v_fma_f64 v[166:167], v[166:167], v[16:17], -v[18:19]
	scratch_load_b128 v[16:19], off, off offset:704
	v_add_f64_e32 v[170:171], v[170:171], v[176:177]
	v_add_f64_e32 v[168:169], v[180:181], v[178:179]
	v_fmac_f64_e32 v[172:173], v[6:7], v[20:21]
	v_fma_f64 v[178:179], v[4:5], v[20:21], -v[22:23]
	ds_load_b128 v[4:7], v2 offset:1360
	s_wait_loadcnt_dscnt 0xb01
	v_mul_f64_e32 v[176:177], v[158:159], v[128:129]
	v_mul_f64_e32 v[128:129], v[160:161], v[128:129]
	scratch_load_b128 v[20:23], off, off offset:720
	v_add_f64_e32 v[170:171], v[170:171], v[174:175]
	s_wait_loadcnt_dscnt 0xb00
	v_mul_f64_e32 v[174:175], v[4:5], v[132:133]
	v_add_f64_e32 v[180:181], v[168:169], v[166:167]
	v_mul_f64_e32 v[132:133], v[6:7], v[132:133]
	ds_load_b128 v[166:169], v2 offset:1376
	v_fmac_f64_e32 v[176:177], v[160:161], v[126:127]
	v_fma_f64 v[158:159], v[158:159], v[126:127], -v[128:129]
	scratch_load_b128 v[126:129], off, off offset:736
	v_add_f64_e32 v[170:171], v[170:171], v[172:173]
	v_fmac_f64_e32 v[174:175], v[6:7], v[130:131]
	v_add_f64_e32 v[160:161], v[180:181], v[178:179]
	v_fma_f64 v[178:179], v[4:5], v[130:131], -v[132:133]
	ds_load_b128 v[4:7], v2 offset:1392
	s_wait_loadcnt_dscnt 0xb01
	v_mul_f64_e32 v[172:173], v[166:167], v[136:137]
	v_mul_f64_e32 v[136:137], v[168:169], v[136:137]
	scratch_load_b128 v[130:133], off, off offset:752
	v_add_f64_e32 v[170:171], v[170:171], v[176:177]
	s_wait_loadcnt_dscnt 0xb00
	v_mul_f64_e32 v[176:177], v[4:5], v[140:141]
	v_add_f64_e32 v[180:181], v[160:161], v[158:159]
	v_mul_f64_e32 v[140:141], v[6:7], v[140:141]
	ds_load_b128 v[158:161], v2 offset:1408
	v_fmac_f64_e32 v[172:173], v[168:169], v[134:135]
	v_fma_f64 v[166:167], v[166:167], v[134:135], -v[136:137]
	scratch_load_b128 v[134:137], off, off offset:768
	v_add_f64_e32 v[170:171], v[170:171], v[174:175]
	v_fmac_f64_e32 v[176:177], v[6:7], v[138:139]
	v_add_f64_e32 v[168:169], v[180:181], v[178:179]
	v_fma_f64 v[178:179], v[4:5], v[138:139], -v[140:141]
	ds_load_b128 v[4:7], v2 offset:1424
	s_wait_loadcnt_dscnt 0xb01
	v_mul_f64_e32 v[174:175], v[158:159], v[144:145]
	v_mul_f64_e32 v[144:145], v[160:161], v[144:145]
	scratch_load_b128 v[138:141], off, off offset:784
	v_add_f64_e32 v[170:171], v[170:171], v[172:173]
	s_wait_loadcnt_dscnt 0xb00
	v_mul_f64_e32 v[172:173], v[4:5], v[152:153]
	v_add_f64_e32 v[180:181], v[168:169], v[166:167]
	v_mul_f64_e32 v[152:153], v[6:7], v[152:153]
	ds_load_b128 v[166:169], v2 offset:1440
	v_fmac_f64_e32 v[174:175], v[160:161], v[142:143]
	v_fma_f64 v[142:143], v[158:159], v[142:143], -v[144:145]
	s_wait_loadcnt_dscnt 0x900
	v_mul_f64_e32 v[160:161], v[166:167], v[164:165]
	v_mul_f64_e32 v[164:165], v[168:169], v[164:165]
	v_add_f64_e32 v[158:159], v[170:171], v[176:177]
	v_fmac_f64_e32 v[172:173], v[6:7], v[150:151]
	v_add_f64_e32 v[144:145], v[180:181], v[178:179]
	v_fma_f64 v[150:151], v[4:5], v[150:151], -v[152:153]
	v_fmac_f64_e32 v[160:161], v[168:169], v[162:163]
	v_fma_f64 v[162:163], v[166:167], v[162:163], -v[164:165]
	v_add_f64_e32 v[158:159], v[158:159], v[174:175]
	v_add_f64_e32 v[152:153], v[144:145], v[142:143]
	ds_load_b128 v[4:7], v2 offset:1456
	ds_load_b128 v[142:145], v2 offset:1472
	s_wait_loadcnt_dscnt 0x801
	v_mul_f64_e32 v[170:171], v[4:5], v[148:149]
	v_mul_f64_e32 v[148:149], v[6:7], v[148:149]
	v_add_f64_e32 v[150:151], v[152:153], v[150:151]
	v_add_f64_e32 v[152:153], v[158:159], v[172:173]
	s_wait_loadcnt_dscnt 0x700
	v_mul_f64_e32 v[158:159], v[142:143], v[10:11]
	v_mul_f64_e32 v[10:11], v[144:145], v[10:11]
	v_fmac_f64_e32 v[170:171], v[6:7], v[146:147]
	v_fma_f64 v[164:165], v[4:5], v[146:147], -v[148:149]
	ds_load_b128 v[4:7], v2 offset:1488
	ds_load_b128 v[146:149], v2 offset:1504
	v_add_f64_e32 v[150:151], v[150:151], v[162:163]
	v_add_f64_e32 v[152:153], v[152:153], v[160:161]
	v_fmac_f64_e32 v[158:159], v[144:145], v[8:9]
	v_fma_f64 v[8:9], v[142:143], v[8:9], -v[10:11]
	s_wait_loadcnt_dscnt 0x601
	v_mul_f64_e32 v[160:161], v[4:5], v[14:15]
	v_mul_f64_e32 v[14:15], v[6:7], v[14:15]
	s_wait_loadcnt_dscnt 0x500
	v_mul_f64_e32 v[144:145], v[146:147], v[18:19]
	v_mul_f64_e32 v[18:19], v[148:149], v[18:19]
	v_add_f64_e32 v[10:11], v[150:151], v[164:165]
	v_add_f64_e32 v[142:143], v[152:153], v[170:171]
	v_fmac_f64_e32 v[160:161], v[6:7], v[12:13]
	v_fma_f64 v[12:13], v[4:5], v[12:13], -v[14:15]
	v_fmac_f64_e32 v[144:145], v[148:149], v[16:17]
	v_fma_f64 v[16:17], v[146:147], v[16:17], -v[18:19]
	v_add_f64_e32 v[14:15], v[10:11], v[8:9]
	v_add_f64_e32 v[142:143], v[142:143], v[158:159]
	ds_load_b128 v[4:7], v2 offset:1520
	ds_load_b128 v[8:11], v2 offset:1536
	s_wait_loadcnt_dscnt 0x401
	v_mul_f64_e32 v[150:151], v[4:5], v[22:23]
	v_mul_f64_e32 v[22:23], v[6:7], v[22:23]
	s_wait_loadcnt_dscnt 0x300
	v_mul_f64_e32 v[18:19], v[8:9], v[128:129]
	v_mul_f64_e32 v[128:129], v[10:11], v[128:129]
	v_add_f64_e32 v[12:13], v[14:15], v[12:13]
	v_add_f64_e32 v[14:15], v[142:143], v[160:161]
	v_fmac_f64_e32 v[150:151], v[6:7], v[20:21]
	v_fma_f64 v[20:21], v[4:5], v[20:21], -v[22:23]
	v_fmac_f64_e32 v[18:19], v[10:11], v[126:127]
	v_fma_f64 v[8:9], v[8:9], v[126:127], -v[128:129]
	v_add_f64_e32 v[16:17], v[12:13], v[16:17]
	v_add_f64_e32 v[22:23], v[14:15], v[144:145]
	ds_load_b128 v[4:7], v2 offset:1552
	ds_load_b128 v[12:15], v2 offset:1568
	s_wait_loadcnt_dscnt 0x201
	v_mul_f64_e32 v[142:143], v[4:5], v[132:133]
	v_mul_f64_e32 v[132:133], v[6:7], v[132:133]
	v_add_f64_e32 v[10:11], v[16:17], v[20:21]
	v_add_f64_e32 v[16:17], v[22:23], v[150:151]
	s_wait_loadcnt_dscnt 0x100
	v_mul_f64_e32 v[20:21], v[12:13], v[136:137]
	v_mul_f64_e32 v[22:23], v[14:15], v[136:137]
	v_fmac_f64_e32 v[142:143], v[6:7], v[130:131]
	v_fma_f64 v[126:127], v[4:5], v[130:131], -v[132:133]
	ds_load_b128 v[4:7], v2 offset:1584
	v_add_f64_e32 v[8:9], v[10:11], v[8:9]
	v_add_f64_e32 v[10:11], v[16:17], v[18:19]
	v_fmac_f64_e32 v[20:21], v[14:15], v[134:135]
	v_fma_f64 v[12:13], v[12:13], v[134:135], -v[22:23]
	s_wait_loadcnt_dscnt 0x0
	v_mul_f64_e32 v[16:17], v[4:5], v[140:141]
	v_mul_f64_e32 v[18:19], v[6:7], v[140:141]
	v_add_f64_e32 v[8:9], v[8:9], v[126:127]
	v_add_f64_e32 v[10:11], v[10:11], v[142:143]
	s_delay_alu instid0(VALU_DEP_4) | instskip(NEXT) | instid1(VALU_DEP_4)
	v_fmac_f64_e32 v[16:17], v[6:7], v[138:139]
	v_fma_f64 v[4:5], v[4:5], v[138:139], -v[18:19]
	s_delay_alu instid0(VALU_DEP_4) | instskip(NEXT) | instid1(VALU_DEP_4)
	v_add_f64_e32 v[6:7], v[8:9], v[12:13]
	v_add_f64_e32 v[8:9], v[10:11], v[20:21]
	s_delay_alu instid0(VALU_DEP_2) | instskip(NEXT) | instid1(VALU_DEP_2)
	v_add_f64_e32 v[4:5], v[6:7], v[4:5]
	v_add_f64_e32 v[6:7], v[8:9], v[16:17]
	s_delay_alu instid0(VALU_DEP_2) | instskip(NEXT) | instid1(VALU_DEP_2)
	v_add_f64_e64 v[4:5], v[154:155], -v[4:5]
	v_add_f64_e64 v[6:7], v[156:157], -v[6:7]
	scratch_store_b128 off, v[4:7], off offset:448
	s_wait_xcnt 0x0
	v_cmpx_lt_u32_e32 27, v1
	s_cbranch_execz .LBB49_259
; %bb.258:
	scratch_load_b128 v[6:9], off, s33
	v_dual_mov_b32 v3, v2 :: v_dual_mov_b32 v4, v2
	v_mov_b32_e32 v5, v2
	scratch_store_b128 off, v[2:5], off offset:432
	s_wait_loadcnt 0x0
	ds_store_b128 v124, v[6:9]
.LBB49_259:
	s_wait_xcnt 0x0
	s_or_b32 exec_lo, exec_lo, s2
	s_wait_storecnt_dscnt 0x0
	s_barrier_signal -1
	s_barrier_wait -1
	s_clause 0x9
	scratch_load_b128 v[4:7], off, off offset:448
	scratch_load_b128 v[8:11], off, off offset:464
	;; [unrolled: 1-line block ×10, first 2 shown]
	ds_load_b128 v[146:149], v2 offset:1248
	ds_load_b128 v[154:157], v2 offset:1264
	s_clause 0x2
	scratch_load_b128 v[150:153], off, off offset:608
	scratch_load_b128 v[158:161], off, off offset:432
	scratch_load_b128 v[162:165], off, off offset:624
	s_mov_b32 s2, exec_lo
	s_wait_loadcnt_dscnt 0xc01
	v_mul_f64_e32 v[166:167], v[148:149], v[6:7]
	v_mul_f64_e32 v[170:171], v[146:147], v[6:7]
	s_wait_loadcnt_dscnt 0xb00
	v_mul_f64_e32 v[172:173], v[154:155], v[10:11]
	v_mul_f64_e32 v[10:11], v[156:157], v[10:11]
	s_delay_alu instid0(VALU_DEP_4) | instskip(NEXT) | instid1(VALU_DEP_4)
	v_fma_f64 v[174:175], v[146:147], v[4:5], -v[166:167]
	v_fmac_f64_e32 v[170:171], v[148:149], v[4:5]
	ds_load_b128 v[4:7], v2 offset:1280
	ds_load_b128 v[146:149], v2 offset:1296
	scratch_load_b128 v[166:169], off, off offset:640
	v_fmac_f64_e32 v[172:173], v[156:157], v[8:9]
	v_fma_f64 v[154:155], v[154:155], v[8:9], -v[10:11]
	scratch_load_b128 v[8:11], off, off offset:656
	s_wait_loadcnt_dscnt 0xc01
	v_mul_f64_e32 v[176:177], v[4:5], v[14:15]
	v_mul_f64_e32 v[14:15], v[6:7], v[14:15]
	v_add_f64_e32 v[156:157], 0, v[174:175]
	v_add_f64_e32 v[170:171], 0, v[170:171]
	s_wait_loadcnt_dscnt 0xb00
	v_mul_f64_e32 v[174:175], v[146:147], v[18:19]
	v_mul_f64_e32 v[18:19], v[148:149], v[18:19]
	v_fmac_f64_e32 v[176:177], v[6:7], v[12:13]
	v_fma_f64 v[178:179], v[4:5], v[12:13], -v[14:15]
	ds_load_b128 v[4:7], v2 offset:1312
	ds_load_b128 v[12:15], v2 offset:1328
	v_add_f64_e32 v[180:181], v[156:157], v[154:155]
	v_add_f64_e32 v[170:171], v[170:171], v[172:173]
	scratch_load_b128 v[154:157], off, off offset:672
	v_fmac_f64_e32 v[174:175], v[148:149], v[16:17]
	v_fma_f64 v[146:147], v[146:147], v[16:17], -v[18:19]
	scratch_load_b128 v[16:19], off, off offset:688
	s_wait_loadcnt_dscnt 0xc01
	v_mul_f64_e32 v[172:173], v[4:5], v[22:23]
	v_mul_f64_e32 v[22:23], v[6:7], v[22:23]
	v_add_f64_e32 v[148:149], v[180:181], v[178:179]
	v_add_f64_e32 v[170:171], v[170:171], v[176:177]
	s_wait_loadcnt_dscnt 0xb00
	v_mul_f64_e32 v[176:177], v[12:13], v[128:129]
	v_mul_f64_e32 v[128:129], v[14:15], v[128:129]
	v_fmac_f64_e32 v[172:173], v[6:7], v[20:21]
	v_fma_f64 v[178:179], v[4:5], v[20:21], -v[22:23]
	ds_load_b128 v[4:7], v2 offset:1344
	ds_load_b128 v[20:23], v2 offset:1360
	v_add_f64_e32 v[180:181], v[148:149], v[146:147]
	v_add_f64_e32 v[170:171], v[170:171], v[174:175]
	scratch_load_b128 v[146:149], off, off offset:704
	s_wait_loadcnt_dscnt 0xb01
	v_mul_f64_e32 v[174:175], v[4:5], v[132:133]
	v_mul_f64_e32 v[132:133], v[6:7], v[132:133]
	v_fmac_f64_e32 v[176:177], v[14:15], v[126:127]
	v_fma_f64 v[126:127], v[12:13], v[126:127], -v[128:129]
	scratch_load_b128 v[12:15], off, off offset:720
	v_add_f64_e32 v[128:129], v[180:181], v[178:179]
	v_add_f64_e32 v[170:171], v[170:171], v[172:173]
	s_wait_loadcnt_dscnt 0xb00
	v_mul_f64_e32 v[172:173], v[20:21], v[136:137]
	v_mul_f64_e32 v[136:137], v[22:23], v[136:137]
	v_fmac_f64_e32 v[174:175], v[6:7], v[130:131]
	v_fma_f64 v[178:179], v[4:5], v[130:131], -v[132:133]
	v_add_f64_e32 v[180:181], v[128:129], v[126:127]
	v_add_f64_e32 v[170:171], v[170:171], v[176:177]
	ds_load_b128 v[4:7], v2 offset:1376
	ds_load_b128 v[126:129], v2 offset:1392
	scratch_load_b128 v[130:133], off, off offset:736
	v_fmac_f64_e32 v[172:173], v[22:23], v[134:135]
	v_fma_f64 v[134:135], v[20:21], v[134:135], -v[136:137]
	scratch_load_b128 v[20:23], off, off offset:752
	s_wait_loadcnt_dscnt 0xc01
	v_mul_f64_e32 v[176:177], v[4:5], v[140:141]
	v_mul_f64_e32 v[140:141], v[6:7], v[140:141]
	v_add_f64_e32 v[136:137], v[180:181], v[178:179]
	v_add_f64_e32 v[170:171], v[170:171], v[174:175]
	s_wait_loadcnt_dscnt 0xb00
	v_mul_f64_e32 v[174:175], v[126:127], v[144:145]
	v_mul_f64_e32 v[144:145], v[128:129], v[144:145]
	v_fmac_f64_e32 v[176:177], v[6:7], v[138:139]
	v_fma_f64 v[178:179], v[4:5], v[138:139], -v[140:141]
	v_add_f64_e32 v[180:181], v[136:137], v[134:135]
	v_add_f64_e32 v[170:171], v[170:171], v[172:173]
	ds_load_b128 v[4:7], v2 offset:1408
	ds_load_b128 v[134:137], v2 offset:1424
	scratch_load_b128 v[138:141], off, off offset:768
	v_fmac_f64_e32 v[174:175], v[128:129], v[142:143]
	v_fma_f64 v[142:143], v[126:127], v[142:143], -v[144:145]
	scratch_load_b128 v[126:129], off, off offset:784
	s_wait_loadcnt_dscnt 0xc01
	v_mul_f64_e32 v[172:173], v[4:5], v[152:153]
	v_mul_f64_e32 v[152:153], v[6:7], v[152:153]
	v_add_f64_e32 v[144:145], v[180:181], v[178:179]
	v_add_f64_e32 v[170:171], v[170:171], v[176:177]
	s_wait_loadcnt_dscnt 0xa00
	v_mul_f64_e32 v[176:177], v[134:135], v[164:165]
	v_mul_f64_e32 v[164:165], v[136:137], v[164:165]
	v_fmac_f64_e32 v[172:173], v[6:7], v[150:151]
	v_fma_f64 v[150:151], v[4:5], v[150:151], -v[152:153]
	v_add_f64_e32 v[152:153], v[144:145], v[142:143]
	v_add_f64_e32 v[170:171], v[170:171], v[174:175]
	ds_load_b128 v[4:7], v2 offset:1440
	ds_load_b128 v[142:145], v2 offset:1456
	v_fmac_f64_e32 v[176:177], v[136:137], v[162:163]
	v_fma_f64 v[134:135], v[134:135], v[162:163], -v[164:165]
	s_wait_loadcnt_dscnt 0x901
	v_mul_f64_e32 v[174:175], v[4:5], v[168:169]
	v_mul_f64_e32 v[168:169], v[6:7], v[168:169]
	v_add_f64_e32 v[136:137], v[152:153], v[150:151]
	v_add_f64_e32 v[150:151], v[170:171], v[172:173]
	s_wait_loadcnt_dscnt 0x800
	v_mul_f64_e32 v[152:153], v[142:143], v[10:11]
	v_mul_f64_e32 v[10:11], v[144:145], v[10:11]
	v_fmac_f64_e32 v[174:175], v[6:7], v[166:167]
	v_fma_f64 v[162:163], v[4:5], v[166:167], -v[168:169]
	v_add_f64_e32 v[164:165], v[136:137], v[134:135]
	v_add_f64_e32 v[150:151], v[150:151], v[176:177]
	ds_load_b128 v[4:7], v2 offset:1472
	ds_load_b128 v[134:137], v2 offset:1488
	v_fmac_f64_e32 v[152:153], v[144:145], v[8:9]
	v_fma_f64 v[8:9], v[142:143], v[8:9], -v[10:11]
	s_wait_loadcnt_dscnt 0x701
	v_mul_f64_e32 v[166:167], v[4:5], v[156:157]
	v_mul_f64_e32 v[156:157], v[6:7], v[156:157]
	s_wait_loadcnt_dscnt 0x600
	v_mul_f64_e32 v[144:145], v[134:135], v[18:19]
	v_mul_f64_e32 v[18:19], v[136:137], v[18:19]
	v_add_f64_e32 v[10:11], v[164:165], v[162:163]
	v_add_f64_e32 v[142:143], v[150:151], v[174:175]
	v_fmac_f64_e32 v[166:167], v[6:7], v[154:155]
	v_fma_f64 v[150:151], v[4:5], v[154:155], -v[156:157]
	v_fmac_f64_e32 v[144:145], v[136:137], v[16:17]
	v_fma_f64 v[16:17], v[134:135], v[16:17], -v[18:19]
	v_add_f64_e32 v[154:155], v[10:11], v[8:9]
	v_add_f64_e32 v[142:143], v[142:143], v[152:153]
	ds_load_b128 v[4:7], v2 offset:1504
	ds_load_b128 v[8:11], v2 offset:1520
	s_wait_loadcnt_dscnt 0x501
	v_mul_f64_e32 v[152:153], v[4:5], v[148:149]
	v_mul_f64_e32 v[148:149], v[6:7], v[148:149]
	s_wait_loadcnt_dscnt 0x400
	v_mul_f64_e32 v[136:137], v[8:9], v[14:15]
	v_add_f64_e32 v[18:19], v[154:155], v[150:151]
	v_add_f64_e32 v[134:135], v[142:143], v[166:167]
	v_mul_f64_e32 v[142:143], v[10:11], v[14:15]
	v_fmac_f64_e32 v[152:153], v[6:7], v[146:147]
	v_fma_f64 v[146:147], v[4:5], v[146:147], -v[148:149]
	v_fmac_f64_e32 v[136:137], v[10:11], v[12:13]
	v_add_f64_e32 v[18:19], v[18:19], v[16:17]
	v_add_f64_e32 v[134:135], v[134:135], v[144:145]
	ds_load_b128 v[4:7], v2 offset:1536
	ds_load_b128 v[14:17], v2 offset:1552
	v_fma_f64 v[8:9], v[8:9], v[12:13], -v[142:143]
	s_wait_loadcnt_dscnt 0x301
	v_mul_f64_e32 v[144:145], v[4:5], v[132:133]
	v_mul_f64_e32 v[132:133], v[6:7], v[132:133]
	v_add_f64_e32 v[10:11], v[18:19], v[146:147]
	v_add_f64_e32 v[12:13], v[134:135], v[152:153]
	s_wait_loadcnt_dscnt 0x200
	v_mul_f64_e32 v[18:19], v[14:15], v[22:23]
	v_mul_f64_e32 v[22:23], v[16:17], v[22:23]
	v_fmac_f64_e32 v[144:145], v[6:7], v[130:131]
	v_fma_f64 v[130:131], v[4:5], v[130:131], -v[132:133]
	v_add_f64_e32 v[132:133], v[10:11], v[8:9]
	v_add_f64_e32 v[12:13], v[12:13], v[136:137]
	ds_load_b128 v[4:7], v2 offset:1568
	ds_load_b128 v[8:11], v2 offset:1584
	v_fmac_f64_e32 v[18:19], v[16:17], v[20:21]
	v_fma_f64 v[14:15], v[14:15], v[20:21], -v[22:23]
	s_wait_loadcnt_dscnt 0x101
	v_mul_f64_e32 v[2:3], v[4:5], v[140:141]
	v_mul_f64_e32 v[134:135], v[6:7], v[140:141]
	s_wait_loadcnt_dscnt 0x0
	v_mul_f64_e32 v[20:21], v[8:9], v[128:129]
	v_mul_f64_e32 v[22:23], v[10:11], v[128:129]
	v_add_f64_e32 v[16:17], v[132:133], v[130:131]
	v_add_f64_e32 v[12:13], v[12:13], v[144:145]
	v_fmac_f64_e32 v[2:3], v[6:7], v[138:139]
	v_fma_f64 v[4:5], v[4:5], v[138:139], -v[134:135]
	v_fmac_f64_e32 v[20:21], v[10:11], v[126:127]
	v_fma_f64 v[8:9], v[8:9], v[126:127], -v[22:23]
	v_add_f64_e32 v[6:7], v[16:17], v[14:15]
	v_add_f64_e32 v[12:13], v[12:13], v[18:19]
	s_delay_alu instid0(VALU_DEP_2) | instskip(NEXT) | instid1(VALU_DEP_2)
	v_add_f64_e32 v[4:5], v[6:7], v[4:5]
	v_add_f64_e32 v[2:3], v[12:13], v[2:3]
	s_delay_alu instid0(VALU_DEP_2) | instskip(NEXT) | instid1(VALU_DEP_2)
	;; [unrolled: 3-line block ×3, first 2 shown]
	v_add_f64_e64 v[2:3], v[158:159], -v[4:5]
	v_add_f64_e64 v[4:5], v[160:161], -v[6:7]
	scratch_store_b128 off, v[2:5], off offset:432
	s_wait_xcnt 0x0
	v_cmpx_lt_u32_e32 26, v1
	s_cbranch_execz .LBB49_261
; %bb.260:
	scratch_load_b128 v[2:5], off, s36
	v_mov_b32_e32 v6, 0
	s_delay_alu instid0(VALU_DEP_1)
	v_dual_mov_b32 v7, v6 :: v_dual_mov_b32 v8, v6
	v_mov_b32_e32 v9, v6
	scratch_store_b128 off, v[6:9], off offset:416
	s_wait_loadcnt 0x0
	ds_store_b128 v124, v[2:5]
.LBB49_261:
	s_wait_xcnt 0x0
	s_or_b32 exec_lo, exec_lo, s2
	s_wait_storecnt_dscnt 0x0
	s_barrier_signal -1
	s_barrier_wait -1
	s_clause 0x9
	scratch_load_b128 v[4:7], off, off offset:432
	scratch_load_b128 v[8:11], off, off offset:448
	;; [unrolled: 1-line block ×10, first 2 shown]
	v_mov_b32_e32 v2, 0
	s_mov_b32 s2, exec_lo
	ds_load_b128 v[146:149], v2 offset:1232
	s_clause 0x2
	scratch_load_b128 v[150:153], off, off offset:592
	scratch_load_b128 v[154:157], off, off offset:416
	;; [unrolled: 1-line block ×3, first 2 shown]
	s_wait_loadcnt_dscnt 0xc00
	v_mul_f64_e32 v[166:167], v[148:149], v[6:7]
	v_mul_f64_e32 v[170:171], v[146:147], v[6:7]
	ds_load_b128 v[158:161], v2 offset:1248
	v_fma_f64 v[174:175], v[146:147], v[4:5], -v[166:167]
	v_fmac_f64_e32 v[170:171], v[148:149], v[4:5]
	ds_load_b128 v[4:7], v2 offset:1264
	s_wait_loadcnt_dscnt 0xb01
	v_mul_f64_e32 v[172:173], v[158:159], v[10:11]
	v_mul_f64_e32 v[10:11], v[160:161], v[10:11]
	scratch_load_b128 v[146:149], off, off offset:624
	ds_load_b128 v[166:169], v2 offset:1280
	s_wait_loadcnt_dscnt 0xb01
	v_mul_f64_e32 v[176:177], v[4:5], v[14:15]
	v_mul_f64_e32 v[14:15], v[6:7], v[14:15]
	v_add_f64_e32 v[170:171], 0, v[170:171]
	v_fmac_f64_e32 v[172:173], v[160:161], v[8:9]
	v_fma_f64 v[158:159], v[158:159], v[8:9], -v[10:11]
	v_add_f64_e32 v[160:161], 0, v[174:175]
	scratch_load_b128 v[8:11], off, off offset:640
	v_fmac_f64_e32 v[176:177], v[6:7], v[12:13]
	v_fma_f64 v[178:179], v[4:5], v[12:13], -v[14:15]
	ds_load_b128 v[4:7], v2 offset:1296
	s_wait_loadcnt_dscnt 0xb01
	v_mul_f64_e32 v[174:175], v[166:167], v[18:19]
	v_mul_f64_e32 v[18:19], v[168:169], v[18:19]
	scratch_load_b128 v[12:15], off, off offset:656
	v_add_f64_e32 v[170:171], v[170:171], v[172:173]
	v_add_f64_e32 v[180:181], v[160:161], v[158:159]
	ds_load_b128 v[158:161], v2 offset:1312
	s_wait_loadcnt_dscnt 0xb01
	v_mul_f64_e32 v[172:173], v[4:5], v[22:23]
	v_mul_f64_e32 v[22:23], v[6:7], v[22:23]
	v_fmac_f64_e32 v[174:175], v[168:169], v[16:17]
	v_fma_f64 v[166:167], v[166:167], v[16:17], -v[18:19]
	scratch_load_b128 v[16:19], off, off offset:672
	v_add_f64_e32 v[170:171], v[170:171], v[176:177]
	v_add_f64_e32 v[168:169], v[180:181], v[178:179]
	v_fmac_f64_e32 v[172:173], v[6:7], v[20:21]
	v_fma_f64 v[178:179], v[4:5], v[20:21], -v[22:23]
	ds_load_b128 v[4:7], v2 offset:1328
	s_wait_loadcnt_dscnt 0xb01
	v_mul_f64_e32 v[176:177], v[158:159], v[128:129]
	v_mul_f64_e32 v[128:129], v[160:161], v[128:129]
	scratch_load_b128 v[20:23], off, off offset:688
	v_add_f64_e32 v[170:171], v[170:171], v[174:175]
	s_wait_loadcnt_dscnt 0xb00
	v_mul_f64_e32 v[174:175], v[4:5], v[132:133]
	v_add_f64_e32 v[180:181], v[168:169], v[166:167]
	v_mul_f64_e32 v[132:133], v[6:7], v[132:133]
	ds_load_b128 v[166:169], v2 offset:1344
	v_fmac_f64_e32 v[176:177], v[160:161], v[126:127]
	v_fma_f64 v[158:159], v[158:159], v[126:127], -v[128:129]
	scratch_load_b128 v[126:129], off, off offset:704
	v_add_f64_e32 v[170:171], v[170:171], v[172:173]
	v_fmac_f64_e32 v[174:175], v[6:7], v[130:131]
	v_add_f64_e32 v[160:161], v[180:181], v[178:179]
	v_fma_f64 v[178:179], v[4:5], v[130:131], -v[132:133]
	ds_load_b128 v[4:7], v2 offset:1360
	s_wait_loadcnt_dscnt 0xb01
	v_mul_f64_e32 v[172:173], v[166:167], v[136:137]
	v_mul_f64_e32 v[136:137], v[168:169], v[136:137]
	scratch_load_b128 v[130:133], off, off offset:720
	v_add_f64_e32 v[170:171], v[170:171], v[176:177]
	s_wait_loadcnt_dscnt 0xb00
	v_mul_f64_e32 v[176:177], v[4:5], v[140:141]
	v_add_f64_e32 v[180:181], v[160:161], v[158:159]
	v_mul_f64_e32 v[140:141], v[6:7], v[140:141]
	ds_load_b128 v[158:161], v2 offset:1376
	v_fmac_f64_e32 v[172:173], v[168:169], v[134:135]
	v_fma_f64 v[166:167], v[166:167], v[134:135], -v[136:137]
	scratch_load_b128 v[134:137], off, off offset:736
	v_add_f64_e32 v[170:171], v[170:171], v[174:175]
	v_fmac_f64_e32 v[176:177], v[6:7], v[138:139]
	v_add_f64_e32 v[168:169], v[180:181], v[178:179]
	;; [unrolled: 18-line block ×3, first 2 shown]
	v_fma_f64 v[178:179], v[4:5], v[150:151], -v[152:153]
	ds_load_b128 v[4:7], v2 offset:1424
	s_wait_loadcnt_dscnt 0xa01
	v_mul_f64_e32 v[176:177], v[166:167], v[164:165]
	v_mul_f64_e32 v[164:165], v[168:169], v[164:165]
	scratch_load_b128 v[150:153], off, off offset:784
	v_add_f64_e32 v[170:171], v[170:171], v[174:175]
	v_add_f64_e32 v[180:181], v[160:161], v[158:159]
	s_wait_loadcnt_dscnt 0xa00
	v_mul_f64_e32 v[174:175], v[4:5], v[148:149]
	v_mul_f64_e32 v[148:149], v[6:7], v[148:149]
	v_fmac_f64_e32 v[176:177], v[168:169], v[162:163]
	v_fma_f64 v[162:163], v[166:167], v[162:163], -v[164:165]
	ds_load_b128 v[158:161], v2 offset:1440
	v_add_f64_e32 v[166:167], v[170:171], v[172:173]
	v_add_f64_e32 v[164:165], v[180:181], v[178:179]
	s_wait_loadcnt_dscnt 0x900
	v_mul_f64_e32 v[168:169], v[158:159], v[10:11]
	v_mul_f64_e32 v[10:11], v[160:161], v[10:11]
	v_fmac_f64_e32 v[174:175], v[6:7], v[146:147]
	v_fma_f64 v[170:171], v[4:5], v[146:147], -v[148:149]
	ds_load_b128 v[4:7], v2 offset:1456
	ds_load_b128 v[146:149], v2 offset:1472
	v_add_f64_e32 v[162:163], v[164:165], v[162:163]
	v_add_f64_e32 v[164:165], v[166:167], v[176:177]
	s_wait_loadcnt_dscnt 0x801
	v_mul_f64_e32 v[166:167], v[4:5], v[14:15]
	v_mul_f64_e32 v[14:15], v[6:7], v[14:15]
	v_fmac_f64_e32 v[168:169], v[160:161], v[8:9]
	v_fma_f64 v[8:9], v[158:159], v[8:9], -v[10:11]
	s_wait_loadcnt_dscnt 0x700
	v_mul_f64_e32 v[160:161], v[146:147], v[18:19]
	v_mul_f64_e32 v[18:19], v[148:149], v[18:19]
	v_add_f64_e32 v[10:11], v[162:163], v[170:171]
	v_add_f64_e32 v[158:159], v[164:165], v[174:175]
	v_fmac_f64_e32 v[166:167], v[6:7], v[12:13]
	v_fma_f64 v[12:13], v[4:5], v[12:13], -v[14:15]
	v_fmac_f64_e32 v[160:161], v[148:149], v[16:17]
	v_fma_f64 v[16:17], v[146:147], v[16:17], -v[18:19]
	v_add_f64_e32 v[14:15], v[10:11], v[8:9]
	v_add_f64_e32 v[158:159], v[158:159], v[168:169]
	ds_load_b128 v[4:7], v2 offset:1488
	ds_load_b128 v[8:11], v2 offset:1504
	s_wait_loadcnt_dscnt 0x601
	v_mul_f64_e32 v[162:163], v[4:5], v[22:23]
	v_mul_f64_e32 v[22:23], v[6:7], v[22:23]
	s_wait_loadcnt_dscnt 0x500
	v_mul_f64_e32 v[18:19], v[8:9], v[128:129]
	v_mul_f64_e32 v[128:129], v[10:11], v[128:129]
	v_add_f64_e32 v[12:13], v[14:15], v[12:13]
	v_add_f64_e32 v[14:15], v[158:159], v[166:167]
	v_fmac_f64_e32 v[162:163], v[6:7], v[20:21]
	v_fma_f64 v[20:21], v[4:5], v[20:21], -v[22:23]
	v_fmac_f64_e32 v[18:19], v[10:11], v[126:127]
	v_fma_f64 v[8:9], v[8:9], v[126:127], -v[128:129]
	v_add_f64_e32 v[16:17], v[12:13], v[16:17]
	v_add_f64_e32 v[22:23], v[14:15], v[160:161]
	ds_load_b128 v[4:7], v2 offset:1520
	ds_load_b128 v[12:15], v2 offset:1536
	s_wait_loadcnt_dscnt 0x401
	v_mul_f64_e32 v[146:147], v[4:5], v[132:133]
	v_mul_f64_e32 v[132:133], v[6:7], v[132:133]
	v_add_f64_e32 v[10:11], v[16:17], v[20:21]
	v_add_f64_e32 v[16:17], v[22:23], v[162:163]
	s_wait_loadcnt_dscnt 0x300
	v_mul_f64_e32 v[20:21], v[12:13], v[136:137]
	v_mul_f64_e32 v[22:23], v[14:15], v[136:137]
	v_fmac_f64_e32 v[146:147], v[6:7], v[130:131]
	v_fma_f64 v[126:127], v[4:5], v[130:131], -v[132:133]
	v_add_f64_e32 v[128:129], v[10:11], v[8:9]
	v_add_f64_e32 v[16:17], v[16:17], v[18:19]
	ds_load_b128 v[4:7], v2 offset:1552
	ds_load_b128 v[8:11], v2 offset:1568
	v_fmac_f64_e32 v[20:21], v[14:15], v[134:135]
	v_fma_f64 v[12:13], v[12:13], v[134:135], -v[22:23]
	s_wait_loadcnt_dscnt 0x201
	v_mul_f64_e32 v[18:19], v[4:5], v[140:141]
	v_mul_f64_e32 v[130:131], v[6:7], v[140:141]
	s_wait_loadcnt_dscnt 0x100
	v_mul_f64_e32 v[22:23], v[8:9], v[144:145]
	v_add_f64_e32 v[14:15], v[128:129], v[126:127]
	v_add_f64_e32 v[16:17], v[16:17], v[146:147]
	v_mul_f64_e32 v[126:127], v[10:11], v[144:145]
	v_fmac_f64_e32 v[18:19], v[6:7], v[138:139]
	v_fma_f64 v[128:129], v[4:5], v[138:139], -v[130:131]
	ds_load_b128 v[4:7], v2 offset:1584
	v_fmac_f64_e32 v[22:23], v[10:11], v[142:143]
	v_add_f64_e32 v[12:13], v[14:15], v[12:13]
	v_add_f64_e32 v[14:15], v[16:17], v[20:21]
	v_fma_f64 v[8:9], v[8:9], v[142:143], -v[126:127]
	s_wait_loadcnt_dscnt 0x0
	v_mul_f64_e32 v[16:17], v[4:5], v[152:153]
	v_mul_f64_e32 v[20:21], v[6:7], v[152:153]
	v_add_f64_e32 v[10:11], v[12:13], v[128:129]
	v_add_f64_e32 v[12:13], v[14:15], v[18:19]
	s_delay_alu instid0(VALU_DEP_4) | instskip(NEXT) | instid1(VALU_DEP_4)
	v_fmac_f64_e32 v[16:17], v[6:7], v[150:151]
	v_fma_f64 v[4:5], v[4:5], v[150:151], -v[20:21]
	s_delay_alu instid0(VALU_DEP_4) | instskip(NEXT) | instid1(VALU_DEP_4)
	v_add_f64_e32 v[6:7], v[10:11], v[8:9]
	v_add_f64_e32 v[8:9], v[12:13], v[22:23]
	s_delay_alu instid0(VALU_DEP_2) | instskip(NEXT) | instid1(VALU_DEP_2)
	v_add_f64_e32 v[4:5], v[6:7], v[4:5]
	v_add_f64_e32 v[6:7], v[8:9], v[16:17]
	s_delay_alu instid0(VALU_DEP_2) | instskip(NEXT) | instid1(VALU_DEP_2)
	v_add_f64_e64 v[4:5], v[154:155], -v[4:5]
	v_add_f64_e64 v[6:7], v[156:157], -v[6:7]
	scratch_store_b128 off, v[4:7], off offset:416
	s_wait_xcnt 0x0
	v_cmpx_lt_u32_e32 25, v1
	s_cbranch_execz .LBB49_263
; %bb.262:
	scratch_load_b128 v[6:9], off, s35
	v_dual_mov_b32 v3, v2 :: v_dual_mov_b32 v4, v2
	v_mov_b32_e32 v5, v2
	scratch_store_b128 off, v[2:5], off offset:400
	s_wait_loadcnt 0x0
	ds_store_b128 v124, v[6:9]
.LBB49_263:
	s_wait_xcnt 0x0
	s_or_b32 exec_lo, exec_lo, s2
	s_wait_storecnt_dscnt 0x0
	s_barrier_signal -1
	s_barrier_wait -1
	s_clause 0x9
	scratch_load_b128 v[4:7], off, off offset:416
	scratch_load_b128 v[8:11], off, off offset:432
	;; [unrolled: 1-line block ×10, first 2 shown]
	ds_load_b128 v[146:149], v2 offset:1216
	ds_load_b128 v[154:157], v2 offset:1232
	s_clause 0x2
	scratch_load_b128 v[150:153], off, off offset:576
	scratch_load_b128 v[158:161], off, off offset:400
	scratch_load_b128 v[162:165], off, off offset:592
	s_mov_b32 s2, exec_lo
	s_wait_loadcnt_dscnt 0xc01
	v_mul_f64_e32 v[166:167], v[148:149], v[6:7]
	v_mul_f64_e32 v[170:171], v[146:147], v[6:7]
	s_wait_loadcnt_dscnt 0xb00
	v_mul_f64_e32 v[172:173], v[154:155], v[10:11]
	v_mul_f64_e32 v[10:11], v[156:157], v[10:11]
	s_delay_alu instid0(VALU_DEP_4) | instskip(NEXT) | instid1(VALU_DEP_4)
	v_fma_f64 v[174:175], v[146:147], v[4:5], -v[166:167]
	v_fmac_f64_e32 v[170:171], v[148:149], v[4:5]
	ds_load_b128 v[4:7], v2 offset:1248
	ds_load_b128 v[146:149], v2 offset:1264
	scratch_load_b128 v[166:169], off, off offset:608
	v_fmac_f64_e32 v[172:173], v[156:157], v[8:9]
	v_fma_f64 v[154:155], v[154:155], v[8:9], -v[10:11]
	scratch_load_b128 v[8:11], off, off offset:624
	s_wait_loadcnt_dscnt 0xc01
	v_mul_f64_e32 v[176:177], v[4:5], v[14:15]
	v_mul_f64_e32 v[14:15], v[6:7], v[14:15]
	v_add_f64_e32 v[156:157], 0, v[174:175]
	v_add_f64_e32 v[170:171], 0, v[170:171]
	s_wait_loadcnt_dscnt 0xb00
	v_mul_f64_e32 v[174:175], v[146:147], v[18:19]
	v_mul_f64_e32 v[18:19], v[148:149], v[18:19]
	v_fmac_f64_e32 v[176:177], v[6:7], v[12:13]
	v_fma_f64 v[178:179], v[4:5], v[12:13], -v[14:15]
	ds_load_b128 v[4:7], v2 offset:1280
	ds_load_b128 v[12:15], v2 offset:1296
	v_add_f64_e32 v[180:181], v[156:157], v[154:155]
	v_add_f64_e32 v[170:171], v[170:171], v[172:173]
	scratch_load_b128 v[154:157], off, off offset:640
	v_fmac_f64_e32 v[174:175], v[148:149], v[16:17]
	v_fma_f64 v[146:147], v[146:147], v[16:17], -v[18:19]
	scratch_load_b128 v[16:19], off, off offset:656
	s_wait_loadcnt_dscnt 0xc01
	v_mul_f64_e32 v[172:173], v[4:5], v[22:23]
	v_mul_f64_e32 v[22:23], v[6:7], v[22:23]
	v_add_f64_e32 v[148:149], v[180:181], v[178:179]
	v_add_f64_e32 v[170:171], v[170:171], v[176:177]
	s_wait_loadcnt_dscnt 0xb00
	v_mul_f64_e32 v[176:177], v[12:13], v[128:129]
	v_mul_f64_e32 v[128:129], v[14:15], v[128:129]
	v_fmac_f64_e32 v[172:173], v[6:7], v[20:21]
	v_fma_f64 v[178:179], v[4:5], v[20:21], -v[22:23]
	ds_load_b128 v[4:7], v2 offset:1312
	ds_load_b128 v[20:23], v2 offset:1328
	v_add_f64_e32 v[180:181], v[148:149], v[146:147]
	v_add_f64_e32 v[170:171], v[170:171], v[174:175]
	scratch_load_b128 v[146:149], off, off offset:672
	s_wait_loadcnt_dscnt 0xb01
	v_mul_f64_e32 v[174:175], v[4:5], v[132:133]
	v_mul_f64_e32 v[132:133], v[6:7], v[132:133]
	v_fmac_f64_e32 v[176:177], v[14:15], v[126:127]
	v_fma_f64 v[126:127], v[12:13], v[126:127], -v[128:129]
	scratch_load_b128 v[12:15], off, off offset:688
	v_add_f64_e32 v[128:129], v[180:181], v[178:179]
	v_add_f64_e32 v[170:171], v[170:171], v[172:173]
	s_wait_loadcnt_dscnt 0xb00
	v_mul_f64_e32 v[172:173], v[20:21], v[136:137]
	v_mul_f64_e32 v[136:137], v[22:23], v[136:137]
	v_fmac_f64_e32 v[174:175], v[6:7], v[130:131]
	v_fma_f64 v[178:179], v[4:5], v[130:131], -v[132:133]
	v_add_f64_e32 v[180:181], v[128:129], v[126:127]
	v_add_f64_e32 v[170:171], v[170:171], v[176:177]
	ds_load_b128 v[4:7], v2 offset:1344
	ds_load_b128 v[126:129], v2 offset:1360
	scratch_load_b128 v[130:133], off, off offset:704
	v_fmac_f64_e32 v[172:173], v[22:23], v[134:135]
	v_fma_f64 v[134:135], v[20:21], v[134:135], -v[136:137]
	scratch_load_b128 v[20:23], off, off offset:720
	s_wait_loadcnt_dscnt 0xc01
	v_mul_f64_e32 v[176:177], v[4:5], v[140:141]
	v_mul_f64_e32 v[140:141], v[6:7], v[140:141]
	v_add_f64_e32 v[136:137], v[180:181], v[178:179]
	v_add_f64_e32 v[170:171], v[170:171], v[174:175]
	s_wait_loadcnt_dscnt 0xb00
	v_mul_f64_e32 v[174:175], v[126:127], v[144:145]
	v_mul_f64_e32 v[144:145], v[128:129], v[144:145]
	v_fmac_f64_e32 v[176:177], v[6:7], v[138:139]
	v_fma_f64 v[178:179], v[4:5], v[138:139], -v[140:141]
	v_add_f64_e32 v[180:181], v[136:137], v[134:135]
	v_add_f64_e32 v[170:171], v[170:171], v[172:173]
	ds_load_b128 v[4:7], v2 offset:1376
	ds_load_b128 v[134:137], v2 offset:1392
	scratch_load_b128 v[138:141], off, off offset:736
	v_fmac_f64_e32 v[174:175], v[128:129], v[142:143]
	v_fma_f64 v[142:143], v[126:127], v[142:143], -v[144:145]
	scratch_load_b128 v[126:129], off, off offset:752
	s_wait_loadcnt_dscnt 0xc01
	v_mul_f64_e32 v[172:173], v[4:5], v[152:153]
	v_mul_f64_e32 v[152:153], v[6:7], v[152:153]
	;; [unrolled: 18-line block ×3, first 2 shown]
	v_add_f64_e32 v[164:165], v[180:181], v[178:179]
	v_add_f64_e32 v[170:171], v[170:171], v[172:173]
	s_wait_loadcnt_dscnt 0xa00
	v_mul_f64_e32 v[172:173], v[142:143], v[10:11]
	v_mul_f64_e32 v[10:11], v[144:145], v[10:11]
	v_fmac_f64_e32 v[174:175], v[6:7], v[166:167]
	v_fma_f64 v[166:167], v[4:5], v[166:167], -v[168:169]
	v_add_f64_e32 v[168:169], v[164:165], v[162:163]
	v_add_f64_e32 v[170:171], v[170:171], v[176:177]
	ds_load_b128 v[4:7], v2 offset:1440
	ds_load_b128 v[162:165], v2 offset:1456
	v_fmac_f64_e32 v[172:173], v[144:145], v[8:9]
	v_fma_f64 v[8:9], v[142:143], v[8:9], -v[10:11]
	s_wait_loadcnt_dscnt 0x901
	v_mul_f64_e32 v[176:177], v[4:5], v[156:157]
	v_mul_f64_e32 v[156:157], v[6:7], v[156:157]
	s_wait_loadcnt_dscnt 0x800
	v_mul_f64_e32 v[144:145], v[162:163], v[18:19]
	v_mul_f64_e32 v[18:19], v[164:165], v[18:19]
	v_add_f64_e32 v[10:11], v[168:169], v[166:167]
	v_add_f64_e32 v[142:143], v[170:171], v[174:175]
	v_fmac_f64_e32 v[176:177], v[6:7], v[154:155]
	v_fma_f64 v[154:155], v[4:5], v[154:155], -v[156:157]
	v_fmac_f64_e32 v[144:145], v[164:165], v[16:17]
	v_fma_f64 v[16:17], v[162:163], v[16:17], -v[18:19]
	v_add_f64_e32 v[156:157], v[10:11], v[8:9]
	v_add_f64_e32 v[142:143], v[142:143], v[172:173]
	ds_load_b128 v[4:7], v2 offset:1472
	ds_load_b128 v[8:11], v2 offset:1488
	s_wait_loadcnt_dscnt 0x701
	v_mul_f64_e32 v[166:167], v[4:5], v[148:149]
	v_mul_f64_e32 v[148:149], v[6:7], v[148:149]
	v_add_f64_e32 v[18:19], v[156:157], v[154:155]
	v_add_f64_e32 v[142:143], v[142:143], v[176:177]
	s_wait_loadcnt_dscnt 0x600
	v_mul_f64_e32 v[154:155], v[8:9], v[14:15]
	v_mul_f64_e32 v[156:157], v[10:11], v[14:15]
	v_fmac_f64_e32 v[166:167], v[6:7], v[146:147]
	v_fma_f64 v[146:147], v[4:5], v[146:147], -v[148:149]
	v_add_f64_e32 v[18:19], v[18:19], v[16:17]
	v_add_f64_e32 v[142:143], v[142:143], v[144:145]
	ds_load_b128 v[4:7], v2 offset:1504
	ds_load_b128 v[14:17], v2 offset:1520
	v_fmac_f64_e32 v[154:155], v[10:11], v[12:13]
	v_fma_f64 v[8:9], v[8:9], v[12:13], -v[156:157]
	s_wait_loadcnt_dscnt 0x501
	v_mul_f64_e32 v[144:145], v[4:5], v[132:133]
	v_mul_f64_e32 v[132:133], v[6:7], v[132:133]
	v_add_f64_e32 v[10:11], v[18:19], v[146:147]
	v_add_f64_e32 v[12:13], v[142:143], v[166:167]
	s_wait_loadcnt_dscnt 0x400
	v_mul_f64_e32 v[18:19], v[14:15], v[22:23]
	v_mul_f64_e32 v[22:23], v[16:17], v[22:23]
	v_fmac_f64_e32 v[144:145], v[6:7], v[130:131]
	v_fma_f64 v[130:131], v[4:5], v[130:131], -v[132:133]
	v_add_f64_e32 v[132:133], v[10:11], v[8:9]
	v_add_f64_e32 v[12:13], v[12:13], v[154:155]
	ds_load_b128 v[4:7], v2 offset:1536
	ds_load_b128 v[8:11], v2 offset:1552
	v_fmac_f64_e32 v[18:19], v[16:17], v[20:21]
	v_fma_f64 v[14:15], v[14:15], v[20:21], -v[22:23]
	s_wait_loadcnt_dscnt 0x301
	v_mul_f64_e32 v[142:143], v[4:5], v[140:141]
	v_mul_f64_e32 v[140:141], v[6:7], v[140:141]
	s_wait_loadcnt_dscnt 0x200
	v_mul_f64_e32 v[20:21], v[8:9], v[128:129]
	v_mul_f64_e32 v[22:23], v[10:11], v[128:129]
	v_add_f64_e32 v[16:17], v[132:133], v[130:131]
	v_add_f64_e32 v[12:13], v[12:13], v[144:145]
	v_fmac_f64_e32 v[142:143], v[6:7], v[138:139]
	v_fma_f64 v[128:129], v[4:5], v[138:139], -v[140:141]
	v_fmac_f64_e32 v[20:21], v[10:11], v[126:127]
	v_fma_f64 v[8:9], v[8:9], v[126:127], -v[22:23]
	v_add_f64_e32 v[16:17], v[16:17], v[14:15]
	v_add_f64_e32 v[18:19], v[12:13], v[18:19]
	ds_load_b128 v[4:7], v2 offset:1568
	ds_load_b128 v[12:15], v2 offset:1584
	s_wait_loadcnt_dscnt 0x101
	v_mul_f64_e32 v[2:3], v[4:5], v[152:153]
	v_mul_f64_e32 v[130:131], v[6:7], v[152:153]
	s_wait_loadcnt_dscnt 0x0
	v_mul_f64_e32 v[22:23], v[14:15], v[136:137]
	v_add_f64_e32 v[10:11], v[16:17], v[128:129]
	v_add_f64_e32 v[16:17], v[18:19], v[142:143]
	v_mul_f64_e32 v[18:19], v[12:13], v[136:137]
	v_fmac_f64_e32 v[2:3], v[6:7], v[150:151]
	v_fma_f64 v[4:5], v[4:5], v[150:151], -v[130:131]
	v_add_f64_e32 v[6:7], v[10:11], v[8:9]
	v_add_f64_e32 v[8:9], v[16:17], v[20:21]
	v_fmac_f64_e32 v[18:19], v[14:15], v[134:135]
	v_fma_f64 v[10:11], v[12:13], v[134:135], -v[22:23]
	s_delay_alu instid0(VALU_DEP_4) | instskip(NEXT) | instid1(VALU_DEP_4)
	v_add_f64_e32 v[4:5], v[6:7], v[4:5]
	v_add_f64_e32 v[2:3], v[8:9], v[2:3]
	s_delay_alu instid0(VALU_DEP_2) | instskip(NEXT) | instid1(VALU_DEP_2)
	v_add_f64_e32 v[4:5], v[4:5], v[10:11]
	v_add_f64_e32 v[6:7], v[2:3], v[18:19]
	s_delay_alu instid0(VALU_DEP_2) | instskip(NEXT) | instid1(VALU_DEP_2)
	v_add_f64_e64 v[2:3], v[158:159], -v[4:5]
	v_add_f64_e64 v[4:5], v[160:161], -v[6:7]
	scratch_store_b128 off, v[2:5], off offset:400
	s_wait_xcnt 0x0
	v_cmpx_lt_u32_e32 24, v1
	s_cbranch_execz .LBB49_265
; %bb.264:
	scratch_load_b128 v[2:5], off, s38
	v_mov_b32_e32 v6, 0
	s_delay_alu instid0(VALU_DEP_1)
	v_dual_mov_b32 v7, v6 :: v_dual_mov_b32 v8, v6
	v_mov_b32_e32 v9, v6
	scratch_store_b128 off, v[6:9], off offset:384
	s_wait_loadcnt 0x0
	ds_store_b128 v124, v[2:5]
.LBB49_265:
	s_wait_xcnt 0x0
	s_or_b32 exec_lo, exec_lo, s2
	s_wait_storecnt_dscnt 0x0
	s_barrier_signal -1
	s_barrier_wait -1
	s_clause 0x9
	scratch_load_b128 v[4:7], off, off offset:400
	scratch_load_b128 v[8:11], off, off offset:416
	;; [unrolled: 1-line block ×10, first 2 shown]
	v_mov_b32_e32 v2, 0
	s_mov_b32 s2, exec_lo
	ds_load_b128 v[146:149], v2 offset:1200
	s_clause 0x2
	scratch_load_b128 v[150:153], off, off offset:560
	scratch_load_b128 v[154:157], off, off offset:384
	;; [unrolled: 1-line block ×3, first 2 shown]
	s_wait_loadcnt_dscnt 0xc00
	v_mul_f64_e32 v[166:167], v[148:149], v[6:7]
	v_mul_f64_e32 v[170:171], v[146:147], v[6:7]
	ds_load_b128 v[158:161], v2 offset:1216
	v_fma_f64 v[174:175], v[146:147], v[4:5], -v[166:167]
	v_fmac_f64_e32 v[170:171], v[148:149], v[4:5]
	ds_load_b128 v[4:7], v2 offset:1232
	s_wait_loadcnt_dscnt 0xb01
	v_mul_f64_e32 v[172:173], v[158:159], v[10:11]
	v_mul_f64_e32 v[10:11], v[160:161], v[10:11]
	scratch_load_b128 v[146:149], off, off offset:592
	ds_load_b128 v[166:169], v2 offset:1248
	s_wait_loadcnt_dscnt 0xb01
	v_mul_f64_e32 v[176:177], v[4:5], v[14:15]
	v_mul_f64_e32 v[14:15], v[6:7], v[14:15]
	v_add_f64_e32 v[170:171], 0, v[170:171]
	v_fmac_f64_e32 v[172:173], v[160:161], v[8:9]
	v_fma_f64 v[158:159], v[158:159], v[8:9], -v[10:11]
	v_add_f64_e32 v[160:161], 0, v[174:175]
	scratch_load_b128 v[8:11], off, off offset:608
	v_fmac_f64_e32 v[176:177], v[6:7], v[12:13]
	v_fma_f64 v[178:179], v[4:5], v[12:13], -v[14:15]
	ds_load_b128 v[4:7], v2 offset:1264
	s_wait_loadcnt_dscnt 0xb01
	v_mul_f64_e32 v[174:175], v[166:167], v[18:19]
	v_mul_f64_e32 v[18:19], v[168:169], v[18:19]
	scratch_load_b128 v[12:15], off, off offset:624
	v_add_f64_e32 v[170:171], v[170:171], v[172:173]
	v_add_f64_e32 v[180:181], v[160:161], v[158:159]
	ds_load_b128 v[158:161], v2 offset:1280
	s_wait_loadcnt_dscnt 0xb01
	v_mul_f64_e32 v[172:173], v[4:5], v[22:23]
	v_mul_f64_e32 v[22:23], v[6:7], v[22:23]
	v_fmac_f64_e32 v[174:175], v[168:169], v[16:17]
	v_fma_f64 v[166:167], v[166:167], v[16:17], -v[18:19]
	scratch_load_b128 v[16:19], off, off offset:640
	v_add_f64_e32 v[170:171], v[170:171], v[176:177]
	v_add_f64_e32 v[168:169], v[180:181], v[178:179]
	v_fmac_f64_e32 v[172:173], v[6:7], v[20:21]
	v_fma_f64 v[178:179], v[4:5], v[20:21], -v[22:23]
	ds_load_b128 v[4:7], v2 offset:1296
	s_wait_loadcnt_dscnt 0xb01
	v_mul_f64_e32 v[176:177], v[158:159], v[128:129]
	v_mul_f64_e32 v[128:129], v[160:161], v[128:129]
	scratch_load_b128 v[20:23], off, off offset:656
	v_add_f64_e32 v[170:171], v[170:171], v[174:175]
	s_wait_loadcnt_dscnt 0xb00
	v_mul_f64_e32 v[174:175], v[4:5], v[132:133]
	v_add_f64_e32 v[180:181], v[168:169], v[166:167]
	v_mul_f64_e32 v[132:133], v[6:7], v[132:133]
	ds_load_b128 v[166:169], v2 offset:1312
	v_fmac_f64_e32 v[176:177], v[160:161], v[126:127]
	v_fma_f64 v[158:159], v[158:159], v[126:127], -v[128:129]
	scratch_load_b128 v[126:129], off, off offset:672
	v_add_f64_e32 v[170:171], v[170:171], v[172:173]
	v_fmac_f64_e32 v[174:175], v[6:7], v[130:131]
	v_add_f64_e32 v[160:161], v[180:181], v[178:179]
	v_fma_f64 v[178:179], v[4:5], v[130:131], -v[132:133]
	ds_load_b128 v[4:7], v2 offset:1328
	s_wait_loadcnt_dscnt 0xb01
	v_mul_f64_e32 v[172:173], v[166:167], v[136:137]
	v_mul_f64_e32 v[136:137], v[168:169], v[136:137]
	scratch_load_b128 v[130:133], off, off offset:688
	v_add_f64_e32 v[170:171], v[170:171], v[176:177]
	s_wait_loadcnt_dscnt 0xb00
	v_mul_f64_e32 v[176:177], v[4:5], v[140:141]
	v_add_f64_e32 v[180:181], v[160:161], v[158:159]
	v_mul_f64_e32 v[140:141], v[6:7], v[140:141]
	ds_load_b128 v[158:161], v2 offset:1344
	v_fmac_f64_e32 v[172:173], v[168:169], v[134:135]
	v_fma_f64 v[166:167], v[166:167], v[134:135], -v[136:137]
	scratch_load_b128 v[134:137], off, off offset:704
	v_add_f64_e32 v[170:171], v[170:171], v[174:175]
	v_fmac_f64_e32 v[176:177], v[6:7], v[138:139]
	v_add_f64_e32 v[168:169], v[180:181], v[178:179]
	;; [unrolled: 18-line block ×3, first 2 shown]
	v_fma_f64 v[178:179], v[4:5], v[150:151], -v[152:153]
	ds_load_b128 v[4:7], v2 offset:1392
	s_wait_loadcnt_dscnt 0xa01
	v_mul_f64_e32 v[176:177], v[166:167], v[164:165]
	v_mul_f64_e32 v[164:165], v[168:169], v[164:165]
	scratch_load_b128 v[150:153], off, off offset:752
	v_add_f64_e32 v[170:171], v[170:171], v[174:175]
	v_add_f64_e32 v[180:181], v[160:161], v[158:159]
	s_wait_loadcnt_dscnt 0xa00
	v_mul_f64_e32 v[174:175], v[4:5], v[148:149]
	v_mul_f64_e32 v[148:149], v[6:7], v[148:149]
	v_fmac_f64_e32 v[176:177], v[168:169], v[162:163]
	v_fma_f64 v[166:167], v[166:167], v[162:163], -v[164:165]
	ds_load_b128 v[158:161], v2 offset:1408
	scratch_load_b128 v[162:165], off, off offset:768
	v_add_f64_e32 v[170:171], v[170:171], v[172:173]
	v_add_f64_e32 v[168:169], v[180:181], v[178:179]
	v_fmac_f64_e32 v[174:175], v[6:7], v[146:147]
	v_fma_f64 v[178:179], v[4:5], v[146:147], -v[148:149]
	ds_load_b128 v[4:7], v2 offset:1424
	s_wait_loadcnt_dscnt 0xa01
	v_mul_f64_e32 v[172:173], v[158:159], v[10:11]
	v_mul_f64_e32 v[10:11], v[160:161], v[10:11]
	scratch_load_b128 v[146:149], off, off offset:784
	v_add_f64_e32 v[170:171], v[170:171], v[176:177]
	s_wait_loadcnt_dscnt 0xa00
	v_mul_f64_e32 v[176:177], v[4:5], v[14:15]
	v_add_f64_e32 v[180:181], v[168:169], v[166:167]
	v_mul_f64_e32 v[14:15], v[6:7], v[14:15]
	ds_load_b128 v[166:169], v2 offset:1440
	v_fmac_f64_e32 v[172:173], v[160:161], v[8:9]
	v_fma_f64 v[8:9], v[158:159], v[8:9], -v[10:11]
	s_wait_loadcnt_dscnt 0x900
	v_mul_f64_e32 v[160:161], v[166:167], v[18:19]
	v_mul_f64_e32 v[18:19], v[168:169], v[18:19]
	v_add_f64_e32 v[158:159], v[170:171], v[174:175]
	v_fmac_f64_e32 v[176:177], v[6:7], v[12:13]
	v_add_f64_e32 v[10:11], v[180:181], v[178:179]
	v_fma_f64 v[12:13], v[4:5], v[12:13], -v[14:15]
	v_fmac_f64_e32 v[160:161], v[168:169], v[16:17]
	v_fma_f64 v[16:17], v[166:167], v[16:17], -v[18:19]
	v_add_f64_e32 v[158:159], v[158:159], v[172:173]
	v_add_f64_e32 v[14:15], v[10:11], v[8:9]
	ds_load_b128 v[4:7], v2 offset:1456
	ds_load_b128 v[8:11], v2 offset:1472
	s_wait_loadcnt_dscnt 0x801
	v_mul_f64_e32 v[170:171], v[4:5], v[22:23]
	v_mul_f64_e32 v[22:23], v[6:7], v[22:23]
	s_wait_loadcnt_dscnt 0x700
	v_mul_f64_e32 v[18:19], v[8:9], v[128:129]
	v_mul_f64_e32 v[128:129], v[10:11], v[128:129]
	v_add_f64_e32 v[12:13], v[14:15], v[12:13]
	v_add_f64_e32 v[14:15], v[158:159], v[176:177]
	v_fmac_f64_e32 v[170:171], v[6:7], v[20:21]
	v_fma_f64 v[20:21], v[4:5], v[20:21], -v[22:23]
	v_fmac_f64_e32 v[18:19], v[10:11], v[126:127]
	v_fma_f64 v[8:9], v[8:9], v[126:127], -v[128:129]
	v_add_f64_e32 v[16:17], v[12:13], v[16:17]
	v_add_f64_e32 v[22:23], v[14:15], v[160:161]
	ds_load_b128 v[4:7], v2 offset:1488
	ds_load_b128 v[12:15], v2 offset:1504
	s_wait_loadcnt_dscnt 0x601
	v_mul_f64_e32 v[158:159], v[4:5], v[132:133]
	v_mul_f64_e32 v[132:133], v[6:7], v[132:133]
	v_add_f64_e32 v[10:11], v[16:17], v[20:21]
	v_add_f64_e32 v[16:17], v[22:23], v[170:171]
	s_wait_loadcnt_dscnt 0x500
	v_mul_f64_e32 v[20:21], v[12:13], v[136:137]
	v_mul_f64_e32 v[22:23], v[14:15], v[136:137]
	v_fmac_f64_e32 v[158:159], v[6:7], v[130:131]
	v_fma_f64 v[126:127], v[4:5], v[130:131], -v[132:133]
	v_add_f64_e32 v[128:129], v[10:11], v[8:9]
	v_add_f64_e32 v[16:17], v[16:17], v[18:19]
	ds_load_b128 v[4:7], v2 offset:1520
	ds_load_b128 v[8:11], v2 offset:1536
	v_fmac_f64_e32 v[20:21], v[14:15], v[134:135]
	v_fma_f64 v[12:13], v[12:13], v[134:135], -v[22:23]
	s_wait_loadcnt_dscnt 0x401
	v_mul_f64_e32 v[18:19], v[4:5], v[140:141]
	v_mul_f64_e32 v[130:131], v[6:7], v[140:141]
	s_wait_loadcnt_dscnt 0x300
	v_mul_f64_e32 v[22:23], v[8:9], v[144:145]
	v_add_f64_e32 v[14:15], v[128:129], v[126:127]
	v_add_f64_e32 v[16:17], v[16:17], v[158:159]
	v_mul_f64_e32 v[126:127], v[10:11], v[144:145]
	v_fmac_f64_e32 v[18:19], v[6:7], v[138:139]
	v_fma_f64 v[128:129], v[4:5], v[138:139], -v[130:131]
	v_fmac_f64_e32 v[22:23], v[10:11], v[142:143]
	v_add_f64_e32 v[130:131], v[14:15], v[12:13]
	v_add_f64_e32 v[16:17], v[16:17], v[20:21]
	ds_load_b128 v[4:7], v2 offset:1552
	ds_load_b128 v[12:15], v2 offset:1568
	v_fma_f64 v[8:9], v[8:9], v[142:143], -v[126:127]
	s_wait_loadcnt_dscnt 0x201
	v_mul_f64_e32 v[20:21], v[4:5], v[152:153]
	v_mul_f64_e32 v[132:133], v[6:7], v[152:153]
	s_wait_loadcnt_dscnt 0x100
	v_mul_f64_e32 v[126:127], v[14:15], v[164:165]
	v_add_f64_e32 v[10:11], v[130:131], v[128:129]
	v_add_f64_e32 v[16:17], v[16:17], v[18:19]
	v_mul_f64_e32 v[18:19], v[12:13], v[164:165]
	v_fmac_f64_e32 v[20:21], v[6:7], v[150:151]
	v_fma_f64 v[128:129], v[4:5], v[150:151], -v[132:133]
	ds_load_b128 v[4:7], v2 offset:1584
	v_fma_f64 v[12:13], v[12:13], v[162:163], -v[126:127]
	v_add_f64_e32 v[8:9], v[10:11], v[8:9]
	v_add_f64_e32 v[10:11], v[16:17], v[22:23]
	v_fmac_f64_e32 v[18:19], v[14:15], v[162:163]
	s_wait_loadcnt_dscnt 0x0
	v_mul_f64_e32 v[16:17], v[4:5], v[148:149]
	v_mul_f64_e32 v[22:23], v[6:7], v[148:149]
	v_add_f64_e32 v[8:9], v[8:9], v[128:129]
	v_add_f64_e32 v[10:11], v[10:11], v[20:21]
	s_delay_alu instid0(VALU_DEP_4) | instskip(NEXT) | instid1(VALU_DEP_4)
	v_fmac_f64_e32 v[16:17], v[6:7], v[146:147]
	v_fma_f64 v[4:5], v[4:5], v[146:147], -v[22:23]
	s_delay_alu instid0(VALU_DEP_4) | instskip(NEXT) | instid1(VALU_DEP_4)
	v_add_f64_e32 v[6:7], v[8:9], v[12:13]
	v_add_f64_e32 v[8:9], v[10:11], v[18:19]
	s_delay_alu instid0(VALU_DEP_2) | instskip(NEXT) | instid1(VALU_DEP_2)
	v_add_f64_e32 v[4:5], v[6:7], v[4:5]
	v_add_f64_e32 v[6:7], v[8:9], v[16:17]
	s_delay_alu instid0(VALU_DEP_2) | instskip(NEXT) | instid1(VALU_DEP_2)
	v_add_f64_e64 v[4:5], v[154:155], -v[4:5]
	v_add_f64_e64 v[6:7], v[156:157], -v[6:7]
	scratch_store_b128 off, v[4:7], off offset:384
	s_wait_xcnt 0x0
	v_cmpx_lt_u32_e32 23, v1
	s_cbranch_execz .LBB49_267
; %bb.266:
	scratch_load_b128 v[6:9], off, s37
	v_dual_mov_b32 v3, v2 :: v_dual_mov_b32 v4, v2
	v_mov_b32_e32 v5, v2
	scratch_store_b128 off, v[2:5], off offset:368
	s_wait_loadcnt 0x0
	ds_store_b128 v124, v[6:9]
.LBB49_267:
	s_wait_xcnt 0x0
	s_or_b32 exec_lo, exec_lo, s2
	s_wait_storecnt_dscnt 0x0
	s_barrier_signal -1
	s_barrier_wait -1
	s_clause 0x9
	scratch_load_b128 v[4:7], off, off offset:384
	scratch_load_b128 v[8:11], off, off offset:400
	;; [unrolled: 1-line block ×10, first 2 shown]
	ds_load_b128 v[146:149], v2 offset:1184
	ds_load_b128 v[154:157], v2 offset:1200
	s_clause 0x2
	scratch_load_b128 v[150:153], off, off offset:544
	scratch_load_b128 v[158:161], off, off offset:368
	;; [unrolled: 1-line block ×3, first 2 shown]
	s_mov_b32 s2, exec_lo
	s_wait_loadcnt_dscnt 0xc01
	v_mul_f64_e32 v[166:167], v[148:149], v[6:7]
	v_mul_f64_e32 v[170:171], v[146:147], v[6:7]
	s_wait_loadcnt_dscnt 0xb00
	v_mul_f64_e32 v[172:173], v[154:155], v[10:11]
	v_mul_f64_e32 v[10:11], v[156:157], v[10:11]
	s_delay_alu instid0(VALU_DEP_4) | instskip(NEXT) | instid1(VALU_DEP_4)
	v_fma_f64 v[174:175], v[146:147], v[4:5], -v[166:167]
	v_fmac_f64_e32 v[170:171], v[148:149], v[4:5]
	ds_load_b128 v[4:7], v2 offset:1216
	ds_load_b128 v[146:149], v2 offset:1232
	scratch_load_b128 v[166:169], off, off offset:576
	v_fmac_f64_e32 v[172:173], v[156:157], v[8:9]
	v_fma_f64 v[154:155], v[154:155], v[8:9], -v[10:11]
	scratch_load_b128 v[8:11], off, off offset:592
	s_wait_loadcnt_dscnt 0xc01
	v_mul_f64_e32 v[176:177], v[4:5], v[14:15]
	v_mul_f64_e32 v[14:15], v[6:7], v[14:15]
	v_add_f64_e32 v[156:157], 0, v[174:175]
	v_add_f64_e32 v[170:171], 0, v[170:171]
	s_wait_loadcnt_dscnt 0xb00
	v_mul_f64_e32 v[174:175], v[146:147], v[18:19]
	v_mul_f64_e32 v[18:19], v[148:149], v[18:19]
	v_fmac_f64_e32 v[176:177], v[6:7], v[12:13]
	v_fma_f64 v[178:179], v[4:5], v[12:13], -v[14:15]
	ds_load_b128 v[4:7], v2 offset:1248
	ds_load_b128 v[12:15], v2 offset:1264
	v_add_f64_e32 v[180:181], v[156:157], v[154:155]
	v_add_f64_e32 v[170:171], v[170:171], v[172:173]
	scratch_load_b128 v[154:157], off, off offset:608
	v_fmac_f64_e32 v[174:175], v[148:149], v[16:17]
	v_fma_f64 v[146:147], v[146:147], v[16:17], -v[18:19]
	scratch_load_b128 v[16:19], off, off offset:624
	s_wait_loadcnt_dscnt 0xc01
	v_mul_f64_e32 v[172:173], v[4:5], v[22:23]
	v_mul_f64_e32 v[22:23], v[6:7], v[22:23]
	v_add_f64_e32 v[148:149], v[180:181], v[178:179]
	v_add_f64_e32 v[170:171], v[170:171], v[176:177]
	s_wait_loadcnt_dscnt 0xb00
	v_mul_f64_e32 v[176:177], v[12:13], v[128:129]
	v_mul_f64_e32 v[128:129], v[14:15], v[128:129]
	v_fmac_f64_e32 v[172:173], v[6:7], v[20:21]
	v_fma_f64 v[178:179], v[4:5], v[20:21], -v[22:23]
	ds_load_b128 v[4:7], v2 offset:1280
	ds_load_b128 v[20:23], v2 offset:1296
	v_add_f64_e32 v[180:181], v[148:149], v[146:147]
	v_add_f64_e32 v[170:171], v[170:171], v[174:175]
	scratch_load_b128 v[146:149], off, off offset:640
	s_wait_loadcnt_dscnt 0xb01
	v_mul_f64_e32 v[174:175], v[4:5], v[132:133]
	v_mul_f64_e32 v[132:133], v[6:7], v[132:133]
	v_fmac_f64_e32 v[176:177], v[14:15], v[126:127]
	v_fma_f64 v[126:127], v[12:13], v[126:127], -v[128:129]
	scratch_load_b128 v[12:15], off, off offset:656
	v_add_f64_e32 v[128:129], v[180:181], v[178:179]
	v_add_f64_e32 v[170:171], v[170:171], v[172:173]
	s_wait_loadcnt_dscnt 0xb00
	v_mul_f64_e32 v[172:173], v[20:21], v[136:137]
	v_mul_f64_e32 v[136:137], v[22:23], v[136:137]
	v_fmac_f64_e32 v[174:175], v[6:7], v[130:131]
	v_fma_f64 v[178:179], v[4:5], v[130:131], -v[132:133]
	v_add_f64_e32 v[180:181], v[128:129], v[126:127]
	v_add_f64_e32 v[170:171], v[170:171], v[176:177]
	ds_load_b128 v[4:7], v2 offset:1312
	ds_load_b128 v[126:129], v2 offset:1328
	scratch_load_b128 v[130:133], off, off offset:672
	v_fmac_f64_e32 v[172:173], v[22:23], v[134:135]
	v_fma_f64 v[134:135], v[20:21], v[134:135], -v[136:137]
	scratch_load_b128 v[20:23], off, off offset:688
	s_wait_loadcnt_dscnt 0xc01
	v_mul_f64_e32 v[176:177], v[4:5], v[140:141]
	v_mul_f64_e32 v[140:141], v[6:7], v[140:141]
	v_add_f64_e32 v[136:137], v[180:181], v[178:179]
	v_add_f64_e32 v[170:171], v[170:171], v[174:175]
	s_wait_loadcnt_dscnt 0xb00
	v_mul_f64_e32 v[174:175], v[126:127], v[144:145]
	v_mul_f64_e32 v[144:145], v[128:129], v[144:145]
	v_fmac_f64_e32 v[176:177], v[6:7], v[138:139]
	v_fma_f64 v[178:179], v[4:5], v[138:139], -v[140:141]
	v_add_f64_e32 v[180:181], v[136:137], v[134:135]
	v_add_f64_e32 v[170:171], v[170:171], v[172:173]
	ds_load_b128 v[4:7], v2 offset:1344
	ds_load_b128 v[134:137], v2 offset:1360
	scratch_load_b128 v[138:141], off, off offset:704
	v_fmac_f64_e32 v[174:175], v[128:129], v[142:143]
	v_fma_f64 v[142:143], v[126:127], v[142:143], -v[144:145]
	scratch_load_b128 v[126:129], off, off offset:720
	s_wait_loadcnt_dscnt 0xc01
	v_mul_f64_e32 v[172:173], v[4:5], v[152:153]
	v_mul_f64_e32 v[152:153], v[6:7], v[152:153]
	;; [unrolled: 18-line block ×4, first 2 shown]
	v_add_f64_e32 v[144:145], v[180:181], v[178:179]
	v_add_f64_e32 v[170:171], v[170:171], v[174:175]
	s_wait_loadcnt_dscnt 0xa00
	v_mul_f64_e32 v[174:175], v[162:163], v[18:19]
	v_mul_f64_e32 v[18:19], v[164:165], v[18:19]
	v_fmac_f64_e32 v[176:177], v[6:7], v[154:155]
	v_fma_f64 v[154:155], v[4:5], v[154:155], -v[156:157]
	v_add_f64_e32 v[156:157], v[144:145], v[142:143]
	v_add_f64_e32 v[170:171], v[170:171], v[172:173]
	ds_load_b128 v[4:7], v2 offset:1440
	ds_load_b128 v[142:145], v2 offset:1456
	v_fmac_f64_e32 v[174:175], v[164:165], v[16:17]
	v_fma_f64 v[16:17], v[162:163], v[16:17], -v[18:19]
	s_wait_loadcnt_dscnt 0x901
	v_mul_f64_e32 v[172:173], v[4:5], v[148:149]
	v_mul_f64_e32 v[148:149], v[6:7], v[148:149]
	s_wait_loadcnt_dscnt 0x800
	v_mul_f64_e32 v[162:163], v[144:145], v[14:15]
	v_add_f64_e32 v[18:19], v[156:157], v[154:155]
	v_add_f64_e32 v[154:155], v[170:171], v[176:177]
	v_mul_f64_e32 v[156:157], v[142:143], v[14:15]
	v_fmac_f64_e32 v[172:173], v[6:7], v[146:147]
	v_fma_f64 v[146:147], v[4:5], v[146:147], -v[148:149]
	v_add_f64_e32 v[18:19], v[18:19], v[16:17]
	v_add_f64_e32 v[148:149], v[154:155], v[174:175]
	ds_load_b128 v[4:7], v2 offset:1472
	ds_load_b128 v[14:17], v2 offset:1488
	v_fmac_f64_e32 v[156:157], v[144:145], v[12:13]
	v_fma_f64 v[12:13], v[142:143], v[12:13], -v[162:163]
	s_wait_loadcnt_dscnt 0x701
	v_mul_f64_e32 v[154:155], v[4:5], v[132:133]
	v_mul_f64_e32 v[132:133], v[6:7], v[132:133]
	s_wait_loadcnt_dscnt 0x600
	v_mul_f64_e32 v[144:145], v[14:15], v[22:23]
	v_mul_f64_e32 v[22:23], v[16:17], v[22:23]
	v_add_f64_e32 v[18:19], v[18:19], v[146:147]
	v_add_f64_e32 v[142:143], v[148:149], v[172:173]
	v_fmac_f64_e32 v[154:155], v[6:7], v[130:131]
	v_fma_f64 v[146:147], v[4:5], v[130:131], -v[132:133]
	ds_load_b128 v[4:7], v2 offset:1504
	ds_load_b128 v[130:133], v2 offset:1520
	v_fmac_f64_e32 v[144:145], v[16:17], v[20:21]
	v_fma_f64 v[14:15], v[14:15], v[20:21], -v[22:23]
	v_add_f64_e32 v[12:13], v[18:19], v[12:13]
	v_add_f64_e32 v[18:19], v[142:143], v[156:157]
	s_wait_loadcnt_dscnt 0x501
	v_mul_f64_e32 v[142:143], v[4:5], v[140:141]
	v_mul_f64_e32 v[140:141], v[6:7], v[140:141]
	s_wait_loadcnt_dscnt 0x400
	v_mul_f64_e32 v[20:21], v[132:133], v[128:129]
	v_add_f64_e32 v[12:13], v[12:13], v[146:147]
	v_add_f64_e32 v[16:17], v[18:19], v[154:155]
	v_mul_f64_e32 v[18:19], v[130:131], v[128:129]
	v_fmac_f64_e32 v[142:143], v[6:7], v[138:139]
	v_fma_f64 v[22:23], v[4:5], v[138:139], -v[140:141]
	v_fma_f64 v[20:21], v[130:131], v[126:127], -v[20:21]
	v_add_f64_e32 v[128:129], v[12:13], v[14:15]
	v_add_f64_e32 v[16:17], v[16:17], v[144:145]
	ds_load_b128 v[4:7], v2 offset:1536
	ds_load_b128 v[12:15], v2 offset:1552
	v_fmac_f64_e32 v[18:19], v[132:133], v[126:127]
	s_wait_loadcnt_dscnt 0x301
	v_mul_f64_e32 v[138:139], v[4:5], v[152:153]
	v_mul_f64_e32 v[140:141], v[6:7], v[152:153]
	s_wait_loadcnt_dscnt 0x200
	v_mul_f64_e32 v[126:127], v[12:13], v[136:137]
	v_add_f64_e32 v[22:23], v[128:129], v[22:23]
	v_add_f64_e32 v[16:17], v[16:17], v[142:143]
	v_mul_f64_e32 v[128:129], v[14:15], v[136:137]
	v_fmac_f64_e32 v[138:139], v[6:7], v[150:151]
	v_fma_f64 v[130:131], v[4:5], v[150:151], -v[140:141]
	v_fmac_f64_e32 v[126:127], v[14:15], v[134:135]
	v_add_f64_e32 v[20:21], v[22:23], v[20:21]
	v_add_f64_e32 v[22:23], v[16:17], v[18:19]
	ds_load_b128 v[4:7], v2 offset:1568
	ds_load_b128 v[16:19], v2 offset:1584
	v_fma_f64 v[12:13], v[12:13], v[134:135], -v[128:129]
	s_wait_loadcnt_dscnt 0x101
	v_mul_f64_e32 v[2:3], v[4:5], v[168:169]
	v_mul_f64_e32 v[132:133], v[6:7], v[168:169]
	v_add_f64_e32 v[14:15], v[20:21], v[130:131]
	v_add_f64_e32 v[20:21], v[22:23], v[138:139]
	s_wait_loadcnt_dscnt 0x0
	v_mul_f64_e32 v[22:23], v[16:17], v[10:11]
	v_mul_f64_e32 v[10:11], v[18:19], v[10:11]
	v_fmac_f64_e32 v[2:3], v[6:7], v[166:167]
	v_fma_f64 v[4:5], v[4:5], v[166:167], -v[132:133]
	v_add_f64_e32 v[6:7], v[14:15], v[12:13]
	v_add_f64_e32 v[12:13], v[20:21], v[126:127]
	v_fmac_f64_e32 v[22:23], v[18:19], v[8:9]
	v_fma_f64 v[8:9], v[16:17], v[8:9], -v[10:11]
	s_delay_alu instid0(VALU_DEP_4) | instskip(NEXT) | instid1(VALU_DEP_4)
	v_add_f64_e32 v[4:5], v[6:7], v[4:5]
	v_add_f64_e32 v[2:3], v[12:13], v[2:3]
	s_delay_alu instid0(VALU_DEP_2) | instskip(NEXT) | instid1(VALU_DEP_2)
	v_add_f64_e32 v[4:5], v[4:5], v[8:9]
	v_add_f64_e32 v[6:7], v[2:3], v[22:23]
	s_delay_alu instid0(VALU_DEP_2) | instskip(NEXT) | instid1(VALU_DEP_2)
	v_add_f64_e64 v[2:3], v[158:159], -v[4:5]
	v_add_f64_e64 v[4:5], v[160:161], -v[6:7]
	scratch_store_b128 off, v[2:5], off offset:368
	s_wait_xcnt 0x0
	v_cmpx_lt_u32_e32 22, v1
	s_cbranch_execz .LBB49_269
; %bb.268:
	scratch_load_b128 v[2:5], off, s41
	v_mov_b32_e32 v6, 0
	s_delay_alu instid0(VALU_DEP_1)
	v_dual_mov_b32 v7, v6 :: v_dual_mov_b32 v8, v6
	v_mov_b32_e32 v9, v6
	scratch_store_b128 off, v[6:9], off offset:352
	s_wait_loadcnt 0x0
	ds_store_b128 v124, v[2:5]
.LBB49_269:
	s_wait_xcnt 0x0
	s_or_b32 exec_lo, exec_lo, s2
	s_wait_storecnt_dscnt 0x0
	s_barrier_signal -1
	s_barrier_wait -1
	s_clause 0x9
	scratch_load_b128 v[4:7], off, off offset:368
	scratch_load_b128 v[8:11], off, off offset:384
	;; [unrolled: 1-line block ×10, first 2 shown]
	v_mov_b32_e32 v2, 0
	s_mov_b32 s2, exec_lo
	ds_load_b128 v[146:149], v2 offset:1168
	s_clause 0x2
	scratch_load_b128 v[150:153], off, off offset:528
	scratch_load_b128 v[154:157], off, off offset:352
	;; [unrolled: 1-line block ×3, first 2 shown]
	s_wait_loadcnt_dscnt 0xc00
	v_mul_f64_e32 v[166:167], v[148:149], v[6:7]
	v_mul_f64_e32 v[170:171], v[146:147], v[6:7]
	ds_load_b128 v[158:161], v2 offset:1184
	v_fma_f64 v[174:175], v[146:147], v[4:5], -v[166:167]
	v_fmac_f64_e32 v[170:171], v[148:149], v[4:5]
	ds_load_b128 v[4:7], v2 offset:1200
	s_wait_loadcnt_dscnt 0xb01
	v_mul_f64_e32 v[172:173], v[158:159], v[10:11]
	v_mul_f64_e32 v[10:11], v[160:161], v[10:11]
	scratch_load_b128 v[146:149], off, off offset:560
	ds_load_b128 v[166:169], v2 offset:1216
	s_wait_loadcnt_dscnt 0xb01
	v_mul_f64_e32 v[176:177], v[4:5], v[14:15]
	v_mul_f64_e32 v[14:15], v[6:7], v[14:15]
	v_add_f64_e32 v[170:171], 0, v[170:171]
	v_fmac_f64_e32 v[172:173], v[160:161], v[8:9]
	v_fma_f64 v[158:159], v[158:159], v[8:9], -v[10:11]
	v_add_f64_e32 v[160:161], 0, v[174:175]
	scratch_load_b128 v[8:11], off, off offset:576
	v_fmac_f64_e32 v[176:177], v[6:7], v[12:13]
	v_fma_f64 v[178:179], v[4:5], v[12:13], -v[14:15]
	ds_load_b128 v[4:7], v2 offset:1232
	s_wait_loadcnt_dscnt 0xb01
	v_mul_f64_e32 v[174:175], v[166:167], v[18:19]
	v_mul_f64_e32 v[18:19], v[168:169], v[18:19]
	scratch_load_b128 v[12:15], off, off offset:592
	v_add_f64_e32 v[170:171], v[170:171], v[172:173]
	v_add_f64_e32 v[180:181], v[160:161], v[158:159]
	ds_load_b128 v[158:161], v2 offset:1248
	s_wait_loadcnt_dscnt 0xb01
	v_mul_f64_e32 v[172:173], v[4:5], v[22:23]
	v_mul_f64_e32 v[22:23], v[6:7], v[22:23]
	v_fmac_f64_e32 v[174:175], v[168:169], v[16:17]
	v_fma_f64 v[166:167], v[166:167], v[16:17], -v[18:19]
	scratch_load_b128 v[16:19], off, off offset:608
	v_add_f64_e32 v[170:171], v[170:171], v[176:177]
	v_add_f64_e32 v[168:169], v[180:181], v[178:179]
	v_fmac_f64_e32 v[172:173], v[6:7], v[20:21]
	v_fma_f64 v[178:179], v[4:5], v[20:21], -v[22:23]
	ds_load_b128 v[4:7], v2 offset:1264
	s_wait_loadcnt_dscnt 0xb01
	v_mul_f64_e32 v[176:177], v[158:159], v[128:129]
	v_mul_f64_e32 v[128:129], v[160:161], v[128:129]
	scratch_load_b128 v[20:23], off, off offset:624
	v_add_f64_e32 v[170:171], v[170:171], v[174:175]
	s_wait_loadcnt_dscnt 0xb00
	v_mul_f64_e32 v[174:175], v[4:5], v[132:133]
	v_add_f64_e32 v[180:181], v[168:169], v[166:167]
	v_mul_f64_e32 v[132:133], v[6:7], v[132:133]
	ds_load_b128 v[166:169], v2 offset:1280
	v_fmac_f64_e32 v[176:177], v[160:161], v[126:127]
	v_fma_f64 v[158:159], v[158:159], v[126:127], -v[128:129]
	scratch_load_b128 v[126:129], off, off offset:640
	v_add_f64_e32 v[170:171], v[170:171], v[172:173]
	v_fmac_f64_e32 v[174:175], v[6:7], v[130:131]
	v_add_f64_e32 v[160:161], v[180:181], v[178:179]
	v_fma_f64 v[178:179], v[4:5], v[130:131], -v[132:133]
	ds_load_b128 v[4:7], v2 offset:1296
	s_wait_loadcnt_dscnt 0xb01
	v_mul_f64_e32 v[172:173], v[166:167], v[136:137]
	v_mul_f64_e32 v[136:137], v[168:169], v[136:137]
	scratch_load_b128 v[130:133], off, off offset:656
	v_add_f64_e32 v[170:171], v[170:171], v[176:177]
	s_wait_loadcnt_dscnt 0xb00
	v_mul_f64_e32 v[176:177], v[4:5], v[140:141]
	v_add_f64_e32 v[180:181], v[160:161], v[158:159]
	v_mul_f64_e32 v[140:141], v[6:7], v[140:141]
	ds_load_b128 v[158:161], v2 offset:1312
	v_fmac_f64_e32 v[172:173], v[168:169], v[134:135]
	v_fma_f64 v[166:167], v[166:167], v[134:135], -v[136:137]
	scratch_load_b128 v[134:137], off, off offset:672
	v_add_f64_e32 v[170:171], v[170:171], v[174:175]
	v_fmac_f64_e32 v[176:177], v[6:7], v[138:139]
	v_add_f64_e32 v[168:169], v[180:181], v[178:179]
	;; [unrolled: 18-line block ×3, first 2 shown]
	v_fma_f64 v[178:179], v[4:5], v[150:151], -v[152:153]
	ds_load_b128 v[4:7], v2 offset:1360
	s_wait_loadcnt_dscnt 0xa01
	v_mul_f64_e32 v[176:177], v[166:167], v[164:165]
	v_mul_f64_e32 v[164:165], v[168:169], v[164:165]
	scratch_load_b128 v[150:153], off, off offset:720
	v_add_f64_e32 v[170:171], v[170:171], v[174:175]
	v_add_f64_e32 v[180:181], v[160:161], v[158:159]
	s_wait_loadcnt_dscnt 0xa00
	v_mul_f64_e32 v[174:175], v[4:5], v[148:149]
	v_mul_f64_e32 v[148:149], v[6:7], v[148:149]
	v_fmac_f64_e32 v[176:177], v[168:169], v[162:163]
	v_fma_f64 v[166:167], v[166:167], v[162:163], -v[164:165]
	ds_load_b128 v[158:161], v2 offset:1376
	scratch_load_b128 v[162:165], off, off offset:736
	v_add_f64_e32 v[170:171], v[170:171], v[172:173]
	v_add_f64_e32 v[168:169], v[180:181], v[178:179]
	v_fmac_f64_e32 v[174:175], v[6:7], v[146:147]
	v_fma_f64 v[178:179], v[4:5], v[146:147], -v[148:149]
	ds_load_b128 v[4:7], v2 offset:1392
	s_wait_loadcnt_dscnt 0xa01
	v_mul_f64_e32 v[172:173], v[158:159], v[10:11]
	v_mul_f64_e32 v[10:11], v[160:161], v[10:11]
	scratch_load_b128 v[146:149], off, off offset:752
	v_add_f64_e32 v[170:171], v[170:171], v[176:177]
	s_wait_loadcnt_dscnt 0xa00
	v_mul_f64_e32 v[176:177], v[4:5], v[14:15]
	v_add_f64_e32 v[180:181], v[168:169], v[166:167]
	v_mul_f64_e32 v[14:15], v[6:7], v[14:15]
	ds_load_b128 v[166:169], v2 offset:1408
	v_fmac_f64_e32 v[172:173], v[160:161], v[8:9]
	v_fma_f64 v[158:159], v[158:159], v[8:9], -v[10:11]
	scratch_load_b128 v[8:11], off, off offset:768
	v_add_f64_e32 v[170:171], v[170:171], v[174:175]
	v_fmac_f64_e32 v[176:177], v[6:7], v[12:13]
	v_add_f64_e32 v[160:161], v[180:181], v[178:179]
	v_fma_f64 v[178:179], v[4:5], v[12:13], -v[14:15]
	ds_load_b128 v[4:7], v2 offset:1424
	s_wait_loadcnt_dscnt 0xa01
	v_mul_f64_e32 v[174:175], v[166:167], v[18:19]
	v_mul_f64_e32 v[18:19], v[168:169], v[18:19]
	scratch_load_b128 v[12:15], off, off offset:784
	v_add_f64_e32 v[170:171], v[170:171], v[172:173]
	s_wait_loadcnt_dscnt 0xa00
	v_mul_f64_e32 v[172:173], v[4:5], v[22:23]
	v_add_f64_e32 v[180:181], v[160:161], v[158:159]
	v_mul_f64_e32 v[22:23], v[6:7], v[22:23]
	ds_load_b128 v[158:161], v2 offset:1440
	v_fmac_f64_e32 v[174:175], v[168:169], v[16:17]
	v_fma_f64 v[16:17], v[166:167], v[16:17], -v[18:19]
	s_wait_loadcnt_dscnt 0x900
	v_mul_f64_e32 v[168:169], v[158:159], v[128:129]
	v_mul_f64_e32 v[128:129], v[160:161], v[128:129]
	v_add_f64_e32 v[166:167], v[170:171], v[176:177]
	v_fmac_f64_e32 v[172:173], v[6:7], v[20:21]
	v_add_f64_e32 v[18:19], v[180:181], v[178:179]
	v_fma_f64 v[20:21], v[4:5], v[20:21], -v[22:23]
	v_fmac_f64_e32 v[168:169], v[160:161], v[126:127]
	v_fma_f64 v[126:127], v[158:159], v[126:127], -v[128:129]
	v_add_f64_e32 v[166:167], v[166:167], v[174:175]
	v_add_f64_e32 v[22:23], v[18:19], v[16:17]
	ds_load_b128 v[4:7], v2 offset:1456
	ds_load_b128 v[16:19], v2 offset:1472
	s_wait_loadcnt_dscnt 0x801
	v_mul_f64_e32 v[170:171], v[4:5], v[132:133]
	v_mul_f64_e32 v[132:133], v[6:7], v[132:133]
	s_wait_loadcnt_dscnt 0x700
	v_mul_f64_e32 v[128:129], v[16:17], v[136:137]
	v_mul_f64_e32 v[136:137], v[18:19], v[136:137]
	v_add_f64_e32 v[20:21], v[22:23], v[20:21]
	v_add_f64_e32 v[22:23], v[166:167], v[172:173]
	v_fmac_f64_e32 v[170:171], v[6:7], v[130:131]
	v_fma_f64 v[130:131], v[4:5], v[130:131], -v[132:133]
	v_fmac_f64_e32 v[128:129], v[18:19], v[134:135]
	v_fma_f64 v[16:17], v[16:17], v[134:135], -v[136:137]
	v_add_f64_e32 v[126:127], v[20:21], v[126:127]
	v_add_f64_e32 v[132:133], v[22:23], v[168:169]
	ds_load_b128 v[4:7], v2 offset:1488
	ds_load_b128 v[20:23], v2 offset:1504
	s_wait_loadcnt_dscnt 0x601
	v_mul_f64_e32 v[158:159], v[4:5], v[140:141]
	v_mul_f64_e32 v[140:141], v[6:7], v[140:141]
	v_add_f64_e32 v[18:19], v[126:127], v[130:131]
	v_add_f64_e32 v[126:127], v[132:133], v[170:171]
	s_wait_loadcnt_dscnt 0x500
	v_mul_f64_e32 v[130:131], v[20:21], v[144:145]
	v_mul_f64_e32 v[132:133], v[22:23], v[144:145]
	v_fmac_f64_e32 v[158:159], v[6:7], v[138:139]
	v_fma_f64 v[134:135], v[4:5], v[138:139], -v[140:141]
	v_add_f64_e32 v[136:137], v[18:19], v[16:17]
	v_add_f64_e32 v[126:127], v[126:127], v[128:129]
	ds_load_b128 v[4:7], v2 offset:1520
	ds_load_b128 v[16:19], v2 offset:1536
	v_fmac_f64_e32 v[130:131], v[22:23], v[142:143]
	v_fma_f64 v[20:21], v[20:21], v[142:143], -v[132:133]
	s_wait_loadcnt_dscnt 0x401
	v_mul_f64_e32 v[128:129], v[4:5], v[152:153]
	v_mul_f64_e32 v[138:139], v[6:7], v[152:153]
	s_wait_loadcnt_dscnt 0x300
	v_mul_f64_e32 v[132:133], v[16:17], v[164:165]
	v_add_f64_e32 v[22:23], v[136:137], v[134:135]
	v_add_f64_e32 v[126:127], v[126:127], v[158:159]
	v_mul_f64_e32 v[134:135], v[18:19], v[164:165]
	v_fmac_f64_e32 v[128:129], v[6:7], v[150:151]
	v_fma_f64 v[136:137], v[4:5], v[150:151], -v[138:139]
	v_fmac_f64_e32 v[132:133], v[18:19], v[162:163]
	v_add_f64_e32 v[138:139], v[22:23], v[20:21]
	v_add_f64_e32 v[126:127], v[126:127], v[130:131]
	ds_load_b128 v[4:7], v2 offset:1552
	ds_load_b128 v[20:23], v2 offset:1568
	v_fma_f64 v[16:17], v[16:17], v[162:163], -v[134:135]
	s_wait_loadcnt_dscnt 0x201
	v_mul_f64_e32 v[130:131], v[4:5], v[148:149]
	v_mul_f64_e32 v[140:141], v[6:7], v[148:149]
	v_add_f64_e32 v[18:19], v[138:139], v[136:137]
	v_add_f64_e32 v[126:127], v[126:127], v[128:129]
	s_wait_loadcnt_dscnt 0x100
	v_mul_f64_e32 v[128:129], v[20:21], v[10:11]
	v_mul_f64_e32 v[10:11], v[22:23], v[10:11]
	v_fmac_f64_e32 v[130:131], v[6:7], v[146:147]
	v_fma_f64 v[134:135], v[4:5], v[146:147], -v[140:141]
	ds_load_b128 v[4:7], v2 offset:1584
	v_add_f64_e32 v[16:17], v[18:19], v[16:17]
	v_add_f64_e32 v[18:19], v[126:127], v[132:133]
	v_fmac_f64_e32 v[128:129], v[22:23], v[8:9]
	v_fma_f64 v[8:9], v[20:21], v[8:9], -v[10:11]
	s_wait_loadcnt_dscnt 0x0
	v_mul_f64_e32 v[126:127], v[4:5], v[14:15]
	v_mul_f64_e32 v[14:15], v[6:7], v[14:15]
	v_add_f64_e32 v[10:11], v[16:17], v[134:135]
	v_add_f64_e32 v[16:17], v[18:19], v[130:131]
	s_delay_alu instid0(VALU_DEP_4) | instskip(NEXT) | instid1(VALU_DEP_4)
	v_fmac_f64_e32 v[126:127], v[6:7], v[12:13]
	v_fma_f64 v[4:5], v[4:5], v[12:13], -v[14:15]
	s_delay_alu instid0(VALU_DEP_4) | instskip(NEXT) | instid1(VALU_DEP_4)
	v_add_f64_e32 v[6:7], v[10:11], v[8:9]
	v_add_f64_e32 v[8:9], v[16:17], v[128:129]
	s_delay_alu instid0(VALU_DEP_2) | instskip(NEXT) | instid1(VALU_DEP_2)
	v_add_f64_e32 v[4:5], v[6:7], v[4:5]
	v_add_f64_e32 v[6:7], v[8:9], v[126:127]
	s_delay_alu instid0(VALU_DEP_2) | instskip(NEXT) | instid1(VALU_DEP_2)
	v_add_f64_e64 v[4:5], v[154:155], -v[4:5]
	v_add_f64_e64 v[6:7], v[156:157], -v[6:7]
	scratch_store_b128 off, v[4:7], off offset:352
	s_wait_xcnt 0x0
	v_cmpx_lt_u32_e32 21, v1
	s_cbranch_execz .LBB49_271
; %bb.270:
	scratch_load_b128 v[6:9], off, s39
	v_dual_mov_b32 v3, v2 :: v_dual_mov_b32 v4, v2
	v_mov_b32_e32 v5, v2
	scratch_store_b128 off, v[2:5], off offset:336
	s_wait_loadcnt 0x0
	ds_store_b128 v124, v[6:9]
.LBB49_271:
	s_wait_xcnt 0x0
	s_or_b32 exec_lo, exec_lo, s2
	s_wait_storecnt_dscnt 0x0
	s_barrier_signal -1
	s_barrier_wait -1
	s_clause 0x9
	scratch_load_b128 v[4:7], off, off offset:352
	scratch_load_b128 v[8:11], off, off offset:368
	;; [unrolled: 1-line block ×10, first 2 shown]
	ds_load_b128 v[146:149], v2 offset:1152
	ds_load_b128 v[154:157], v2 offset:1168
	s_clause 0x2
	scratch_load_b128 v[150:153], off, off offset:512
	scratch_load_b128 v[158:161], off, off offset:336
	;; [unrolled: 1-line block ×3, first 2 shown]
	s_mov_b32 s2, exec_lo
	s_wait_loadcnt_dscnt 0xc01
	v_mul_f64_e32 v[166:167], v[148:149], v[6:7]
	v_mul_f64_e32 v[170:171], v[146:147], v[6:7]
	s_wait_loadcnt_dscnt 0xb00
	v_mul_f64_e32 v[172:173], v[154:155], v[10:11]
	v_mul_f64_e32 v[10:11], v[156:157], v[10:11]
	s_delay_alu instid0(VALU_DEP_4) | instskip(NEXT) | instid1(VALU_DEP_4)
	v_fma_f64 v[174:175], v[146:147], v[4:5], -v[166:167]
	v_fmac_f64_e32 v[170:171], v[148:149], v[4:5]
	ds_load_b128 v[4:7], v2 offset:1184
	ds_load_b128 v[146:149], v2 offset:1200
	scratch_load_b128 v[166:169], off, off offset:544
	v_fmac_f64_e32 v[172:173], v[156:157], v[8:9]
	v_fma_f64 v[154:155], v[154:155], v[8:9], -v[10:11]
	scratch_load_b128 v[8:11], off, off offset:560
	s_wait_loadcnt_dscnt 0xc01
	v_mul_f64_e32 v[176:177], v[4:5], v[14:15]
	v_mul_f64_e32 v[14:15], v[6:7], v[14:15]
	v_add_f64_e32 v[156:157], 0, v[174:175]
	v_add_f64_e32 v[170:171], 0, v[170:171]
	s_wait_loadcnt_dscnt 0xb00
	v_mul_f64_e32 v[174:175], v[146:147], v[18:19]
	v_mul_f64_e32 v[18:19], v[148:149], v[18:19]
	v_fmac_f64_e32 v[176:177], v[6:7], v[12:13]
	v_fma_f64 v[178:179], v[4:5], v[12:13], -v[14:15]
	ds_load_b128 v[4:7], v2 offset:1216
	ds_load_b128 v[12:15], v2 offset:1232
	v_add_f64_e32 v[180:181], v[156:157], v[154:155]
	v_add_f64_e32 v[170:171], v[170:171], v[172:173]
	scratch_load_b128 v[154:157], off, off offset:576
	v_fmac_f64_e32 v[174:175], v[148:149], v[16:17]
	v_fma_f64 v[146:147], v[146:147], v[16:17], -v[18:19]
	scratch_load_b128 v[16:19], off, off offset:592
	s_wait_loadcnt_dscnt 0xc01
	v_mul_f64_e32 v[172:173], v[4:5], v[22:23]
	v_mul_f64_e32 v[22:23], v[6:7], v[22:23]
	v_add_f64_e32 v[148:149], v[180:181], v[178:179]
	v_add_f64_e32 v[170:171], v[170:171], v[176:177]
	s_wait_loadcnt_dscnt 0xb00
	v_mul_f64_e32 v[176:177], v[12:13], v[128:129]
	v_mul_f64_e32 v[128:129], v[14:15], v[128:129]
	v_fmac_f64_e32 v[172:173], v[6:7], v[20:21]
	v_fma_f64 v[178:179], v[4:5], v[20:21], -v[22:23]
	ds_load_b128 v[4:7], v2 offset:1248
	ds_load_b128 v[20:23], v2 offset:1264
	v_add_f64_e32 v[180:181], v[148:149], v[146:147]
	v_add_f64_e32 v[170:171], v[170:171], v[174:175]
	scratch_load_b128 v[146:149], off, off offset:608
	s_wait_loadcnt_dscnt 0xb01
	v_mul_f64_e32 v[174:175], v[4:5], v[132:133]
	v_mul_f64_e32 v[132:133], v[6:7], v[132:133]
	v_fmac_f64_e32 v[176:177], v[14:15], v[126:127]
	v_fma_f64 v[126:127], v[12:13], v[126:127], -v[128:129]
	scratch_load_b128 v[12:15], off, off offset:624
	v_add_f64_e32 v[128:129], v[180:181], v[178:179]
	v_add_f64_e32 v[170:171], v[170:171], v[172:173]
	s_wait_loadcnt_dscnt 0xb00
	v_mul_f64_e32 v[172:173], v[20:21], v[136:137]
	v_mul_f64_e32 v[136:137], v[22:23], v[136:137]
	v_fmac_f64_e32 v[174:175], v[6:7], v[130:131]
	v_fma_f64 v[178:179], v[4:5], v[130:131], -v[132:133]
	v_add_f64_e32 v[180:181], v[128:129], v[126:127]
	v_add_f64_e32 v[170:171], v[170:171], v[176:177]
	ds_load_b128 v[4:7], v2 offset:1280
	ds_load_b128 v[126:129], v2 offset:1296
	scratch_load_b128 v[130:133], off, off offset:640
	v_fmac_f64_e32 v[172:173], v[22:23], v[134:135]
	v_fma_f64 v[134:135], v[20:21], v[134:135], -v[136:137]
	scratch_load_b128 v[20:23], off, off offset:656
	s_wait_loadcnt_dscnt 0xc01
	v_mul_f64_e32 v[176:177], v[4:5], v[140:141]
	v_mul_f64_e32 v[140:141], v[6:7], v[140:141]
	v_add_f64_e32 v[136:137], v[180:181], v[178:179]
	v_add_f64_e32 v[170:171], v[170:171], v[174:175]
	s_wait_loadcnt_dscnt 0xb00
	v_mul_f64_e32 v[174:175], v[126:127], v[144:145]
	v_mul_f64_e32 v[144:145], v[128:129], v[144:145]
	v_fmac_f64_e32 v[176:177], v[6:7], v[138:139]
	v_fma_f64 v[178:179], v[4:5], v[138:139], -v[140:141]
	v_add_f64_e32 v[180:181], v[136:137], v[134:135]
	v_add_f64_e32 v[170:171], v[170:171], v[172:173]
	ds_load_b128 v[4:7], v2 offset:1312
	ds_load_b128 v[134:137], v2 offset:1328
	scratch_load_b128 v[138:141], off, off offset:672
	v_fmac_f64_e32 v[174:175], v[128:129], v[142:143]
	v_fma_f64 v[142:143], v[126:127], v[142:143], -v[144:145]
	scratch_load_b128 v[126:129], off, off offset:688
	s_wait_loadcnt_dscnt 0xc01
	v_mul_f64_e32 v[172:173], v[4:5], v[152:153]
	v_mul_f64_e32 v[152:153], v[6:7], v[152:153]
	;; [unrolled: 18-line block ×5, first 2 shown]
	v_add_f64_e32 v[164:165], v[180:181], v[178:179]
	v_add_f64_e32 v[170:171], v[170:171], v[176:177]
	s_wait_loadcnt_dscnt 0xa00
	v_mul_f64_e32 v[176:177], v[142:143], v[14:15]
	v_mul_f64_e32 v[14:15], v[144:145], v[14:15]
	v_fmac_f64_e32 v[172:173], v[6:7], v[146:147]
	v_fma_f64 v[178:179], v[4:5], v[146:147], -v[148:149]
	ds_load_b128 v[4:7], v2 offset:1440
	ds_load_b128 v[146:149], v2 offset:1456
	v_add_f64_e32 v[162:163], v[164:165], v[162:163]
	v_add_f64_e32 v[164:165], v[170:171], v[174:175]
	v_fmac_f64_e32 v[176:177], v[144:145], v[12:13]
	v_fma_f64 v[12:13], v[142:143], v[12:13], -v[14:15]
	s_wait_loadcnt_dscnt 0x901
	v_mul_f64_e32 v[170:171], v[4:5], v[132:133]
	v_mul_f64_e32 v[132:133], v[6:7], v[132:133]
	s_wait_loadcnt_dscnt 0x800
	v_mul_f64_e32 v[144:145], v[146:147], v[22:23]
	v_mul_f64_e32 v[22:23], v[148:149], v[22:23]
	v_add_f64_e32 v[14:15], v[162:163], v[178:179]
	v_add_f64_e32 v[142:143], v[164:165], v[172:173]
	v_fmac_f64_e32 v[170:171], v[6:7], v[130:131]
	v_fma_f64 v[130:131], v[4:5], v[130:131], -v[132:133]
	v_fmac_f64_e32 v[144:145], v[148:149], v[20:21]
	v_fma_f64 v[20:21], v[146:147], v[20:21], -v[22:23]
	v_add_f64_e32 v[132:133], v[14:15], v[12:13]
	v_add_f64_e32 v[142:143], v[142:143], v[176:177]
	ds_load_b128 v[4:7], v2 offset:1472
	ds_load_b128 v[12:15], v2 offset:1488
	s_wait_loadcnt_dscnt 0x701
	v_mul_f64_e32 v[162:163], v[4:5], v[140:141]
	v_mul_f64_e32 v[140:141], v[6:7], v[140:141]
	v_add_f64_e32 v[22:23], v[132:133], v[130:131]
	v_add_f64_e32 v[130:131], v[142:143], v[170:171]
	s_wait_loadcnt_dscnt 0x600
	v_mul_f64_e32 v[132:133], v[12:13], v[128:129]
	v_mul_f64_e32 v[128:129], v[14:15], v[128:129]
	v_fmac_f64_e32 v[162:163], v[6:7], v[138:139]
	v_fma_f64 v[138:139], v[4:5], v[138:139], -v[140:141]
	v_add_f64_e32 v[140:141], v[22:23], v[20:21]
	v_add_f64_e32 v[130:131], v[130:131], v[144:145]
	ds_load_b128 v[4:7], v2 offset:1504
	ds_load_b128 v[20:23], v2 offset:1520
	v_fmac_f64_e32 v[132:133], v[14:15], v[126:127]
	v_fma_f64 v[12:13], v[12:13], v[126:127], -v[128:129]
	s_wait_loadcnt_dscnt 0x501
	v_mul_f64_e32 v[142:143], v[4:5], v[152:153]
	v_mul_f64_e32 v[144:145], v[6:7], v[152:153]
	s_wait_loadcnt_dscnt 0x400
	v_mul_f64_e32 v[128:129], v[20:21], v[136:137]
	v_add_f64_e32 v[14:15], v[140:141], v[138:139]
	v_add_f64_e32 v[126:127], v[130:131], v[162:163]
	v_mul_f64_e32 v[130:131], v[22:23], v[136:137]
	v_fmac_f64_e32 v[142:143], v[6:7], v[150:151]
	v_fma_f64 v[136:137], v[4:5], v[150:151], -v[144:145]
	v_fmac_f64_e32 v[128:129], v[22:23], v[134:135]
	v_add_f64_e32 v[138:139], v[14:15], v[12:13]
	v_add_f64_e32 v[126:127], v[126:127], v[132:133]
	ds_load_b128 v[4:7], v2 offset:1536
	ds_load_b128 v[12:15], v2 offset:1552
	v_fma_f64 v[20:21], v[20:21], v[134:135], -v[130:131]
	s_wait_loadcnt_dscnt 0x301
	v_mul_f64_e32 v[132:133], v[4:5], v[168:169]
	v_mul_f64_e32 v[140:141], v[6:7], v[168:169]
	s_wait_loadcnt_dscnt 0x200
	v_mul_f64_e32 v[130:131], v[12:13], v[10:11]
	v_mul_f64_e32 v[10:11], v[14:15], v[10:11]
	v_add_f64_e32 v[22:23], v[138:139], v[136:137]
	v_add_f64_e32 v[126:127], v[126:127], v[142:143]
	v_fmac_f64_e32 v[132:133], v[6:7], v[166:167]
	v_fma_f64 v[134:135], v[4:5], v[166:167], -v[140:141]
	v_fmac_f64_e32 v[130:131], v[14:15], v[8:9]
	v_fma_f64 v[8:9], v[12:13], v[8:9], -v[10:11]
	v_add_f64_e32 v[136:137], v[22:23], v[20:21]
	v_add_f64_e32 v[126:127], v[126:127], v[128:129]
	ds_load_b128 v[4:7], v2 offset:1568
	ds_load_b128 v[20:23], v2 offset:1584
	s_wait_loadcnt_dscnt 0x101
	v_mul_f64_e32 v[2:3], v[4:5], v[156:157]
	v_mul_f64_e32 v[128:129], v[6:7], v[156:157]
	s_wait_loadcnt_dscnt 0x0
	v_mul_f64_e32 v[14:15], v[20:21], v[18:19]
	v_mul_f64_e32 v[18:19], v[22:23], v[18:19]
	v_add_f64_e32 v[10:11], v[136:137], v[134:135]
	v_add_f64_e32 v[12:13], v[126:127], v[132:133]
	v_fmac_f64_e32 v[2:3], v[6:7], v[154:155]
	v_fma_f64 v[4:5], v[4:5], v[154:155], -v[128:129]
	v_fmac_f64_e32 v[14:15], v[22:23], v[16:17]
	v_add_f64_e32 v[6:7], v[10:11], v[8:9]
	v_add_f64_e32 v[8:9], v[12:13], v[130:131]
	v_fma_f64 v[10:11], v[20:21], v[16:17], -v[18:19]
	s_delay_alu instid0(VALU_DEP_3) | instskip(NEXT) | instid1(VALU_DEP_3)
	v_add_f64_e32 v[4:5], v[6:7], v[4:5]
	v_add_f64_e32 v[2:3], v[8:9], v[2:3]
	s_delay_alu instid0(VALU_DEP_2) | instskip(NEXT) | instid1(VALU_DEP_2)
	v_add_f64_e32 v[4:5], v[4:5], v[10:11]
	v_add_f64_e32 v[6:7], v[2:3], v[14:15]
	s_delay_alu instid0(VALU_DEP_2) | instskip(NEXT) | instid1(VALU_DEP_2)
	v_add_f64_e64 v[2:3], v[158:159], -v[4:5]
	v_add_f64_e64 v[4:5], v[160:161], -v[6:7]
	scratch_store_b128 off, v[2:5], off offset:336
	s_wait_xcnt 0x0
	v_cmpx_lt_u32_e32 20, v1
	s_cbranch_execz .LBB49_273
; %bb.272:
	scratch_load_b128 v[2:5], off, s45
	v_mov_b32_e32 v6, 0
	s_delay_alu instid0(VALU_DEP_1)
	v_dual_mov_b32 v7, v6 :: v_dual_mov_b32 v8, v6
	v_mov_b32_e32 v9, v6
	scratch_store_b128 off, v[6:9], off offset:320
	s_wait_loadcnt 0x0
	ds_store_b128 v124, v[2:5]
.LBB49_273:
	s_wait_xcnt 0x0
	s_or_b32 exec_lo, exec_lo, s2
	s_wait_storecnt_dscnt 0x0
	s_barrier_signal -1
	s_barrier_wait -1
	s_clause 0x9
	scratch_load_b128 v[4:7], off, off offset:336
	scratch_load_b128 v[8:11], off, off offset:352
	;; [unrolled: 1-line block ×10, first 2 shown]
	v_mov_b32_e32 v2, 0
	s_mov_b32 s2, exec_lo
	ds_load_b128 v[146:149], v2 offset:1136
	s_clause 0x2
	scratch_load_b128 v[150:153], off, off offset:496
	scratch_load_b128 v[154:157], off, off offset:320
	;; [unrolled: 1-line block ×3, first 2 shown]
	s_wait_loadcnt_dscnt 0xc00
	v_mul_f64_e32 v[166:167], v[148:149], v[6:7]
	v_mul_f64_e32 v[170:171], v[146:147], v[6:7]
	ds_load_b128 v[158:161], v2 offset:1152
	v_fma_f64 v[174:175], v[146:147], v[4:5], -v[166:167]
	v_fmac_f64_e32 v[170:171], v[148:149], v[4:5]
	ds_load_b128 v[4:7], v2 offset:1168
	s_wait_loadcnt_dscnt 0xb01
	v_mul_f64_e32 v[172:173], v[158:159], v[10:11]
	v_mul_f64_e32 v[10:11], v[160:161], v[10:11]
	scratch_load_b128 v[146:149], off, off offset:528
	ds_load_b128 v[166:169], v2 offset:1184
	s_wait_loadcnt_dscnt 0xb01
	v_mul_f64_e32 v[176:177], v[4:5], v[14:15]
	v_mul_f64_e32 v[14:15], v[6:7], v[14:15]
	v_add_f64_e32 v[170:171], 0, v[170:171]
	v_fmac_f64_e32 v[172:173], v[160:161], v[8:9]
	v_fma_f64 v[158:159], v[158:159], v[8:9], -v[10:11]
	v_add_f64_e32 v[160:161], 0, v[174:175]
	scratch_load_b128 v[8:11], off, off offset:544
	v_fmac_f64_e32 v[176:177], v[6:7], v[12:13]
	v_fma_f64 v[178:179], v[4:5], v[12:13], -v[14:15]
	ds_load_b128 v[4:7], v2 offset:1200
	s_wait_loadcnt_dscnt 0xb01
	v_mul_f64_e32 v[174:175], v[166:167], v[18:19]
	v_mul_f64_e32 v[18:19], v[168:169], v[18:19]
	scratch_load_b128 v[12:15], off, off offset:560
	v_add_f64_e32 v[170:171], v[170:171], v[172:173]
	v_add_f64_e32 v[180:181], v[160:161], v[158:159]
	ds_load_b128 v[158:161], v2 offset:1216
	s_wait_loadcnt_dscnt 0xb01
	v_mul_f64_e32 v[172:173], v[4:5], v[22:23]
	v_mul_f64_e32 v[22:23], v[6:7], v[22:23]
	v_fmac_f64_e32 v[174:175], v[168:169], v[16:17]
	v_fma_f64 v[166:167], v[166:167], v[16:17], -v[18:19]
	scratch_load_b128 v[16:19], off, off offset:576
	v_add_f64_e32 v[170:171], v[170:171], v[176:177]
	v_add_f64_e32 v[168:169], v[180:181], v[178:179]
	v_fmac_f64_e32 v[172:173], v[6:7], v[20:21]
	v_fma_f64 v[178:179], v[4:5], v[20:21], -v[22:23]
	ds_load_b128 v[4:7], v2 offset:1232
	s_wait_loadcnt_dscnt 0xb01
	v_mul_f64_e32 v[176:177], v[158:159], v[128:129]
	v_mul_f64_e32 v[128:129], v[160:161], v[128:129]
	scratch_load_b128 v[20:23], off, off offset:592
	v_add_f64_e32 v[170:171], v[170:171], v[174:175]
	s_wait_loadcnt_dscnt 0xb00
	v_mul_f64_e32 v[174:175], v[4:5], v[132:133]
	v_add_f64_e32 v[180:181], v[168:169], v[166:167]
	v_mul_f64_e32 v[132:133], v[6:7], v[132:133]
	ds_load_b128 v[166:169], v2 offset:1248
	v_fmac_f64_e32 v[176:177], v[160:161], v[126:127]
	v_fma_f64 v[158:159], v[158:159], v[126:127], -v[128:129]
	scratch_load_b128 v[126:129], off, off offset:608
	v_add_f64_e32 v[170:171], v[170:171], v[172:173]
	v_fmac_f64_e32 v[174:175], v[6:7], v[130:131]
	v_add_f64_e32 v[160:161], v[180:181], v[178:179]
	v_fma_f64 v[178:179], v[4:5], v[130:131], -v[132:133]
	ds_load_b128 v[4:7], v2 offset:1264
	s_wait_loadcnt_dscnt 0xb01
	v_mul_f64_e32 v[172:173], v[166:167], v[136:137]
	v_mul_f64_e32 v[136:137], v[168:169], v[136:137]
	scratch_load_b128 v[130:133], off, off offset:624
	v_add_f64_e32 v[170:171], v[170:171], v[176:177]
	s_wait_loadcnt_dscnt 0xb00
	v_mul_f64_e32 v[176:177], v[4:5], v[140:141]
	v_add_f64_e32 v[180:181], v[160:161], v[158:159]
	v_mul_f64_e32 v[140:141], v[6:7], v[140:141]
	ds_load_b128 v[158:161], v2 offset:1280
	v_fmac_f64_e32 v[172:173], v[168:169], v[134:135]
	v_fma_f64 v[166:167], v[166:167], v[134:135], -v[136:137]
	scratch_load_b128 v[134:137], off, off offset:640
	v_add_f64_e32 v[170:171], v[170:171], v[174:175]
	v_fmac_f64_e32 v[176:177], v[6:7], v[138:139]
	v_add_f64_e32 v[168:169], v[180:181], v[178:179]
	;; [unrolled: 18-line block ×3, first 2 shown]
	v_fma_f64 v[178:179], v[4:5], v[150:151], -v[152:153]
	ds_load_b128 v[4:7], v2 offset:1328
	s_wait_loadcnt_dscnt 0xa01
	v_mul_f64_e32 v[176:177], v[166:167], v[164:165]
	v_mul_f64_e32 v[164:165], v[168:169], v[164:165]
	scratch_load_b128 v[150:153], off, off offset:688
	v_add_f64_e32 v[170:171], v[170:171], v[174:175]
	v_add_f64_e32 v[180:181], v[160:161], v[158:159]
	s_wait_loadcnt_dscnt 0xa00
	v_mul_f64_e32 v[174:175], v[4:5], v[148:149]
	v_mul_f64_e32 v[148:149], v[6:7], v[148:149]
	v_fmac_f64_e32 v[176:177], v[168:169], v[162:163]
	v_fma_f64 v[166:167], v[166:167], v[162:163], -v[164:165]
	ds_load_b128 v[158:161], v2 offset:1344
	scratch_load_b128 v[162:165], off, off offset:704
	v_add_f64_e32 v[170:171], v[170:171], v[172:173]
	v_add_f64_e32 v[168:169], v[180:181], v[178:179]
	v_fmac_f64_e32 v[174:175], v[6:7], v[146:147]
	v_fma_f64 v[178:179], v[4:5], v[146:147], -v[148:149]
	ds_load_b128 v[4:7], v2 offset:1360
	s_wait_loadcnt_dscnt 0xa01
	v_mul_f64_e32 v[172:173], v[158:159], v[10:11]
	v_mul_f64_e32 v[10:11], v[160:161], v[10:11]
	scratch_load_b128 v[146:149], off, off offset:720
	v_add_f64_e32 v[170:171], v[170:171], v[176:177]
	s_wait_loadcnt_dscnt 0xa00
	v_mul_f64_e32 v[176:177], v[4:5], v[14:15]
	v_add_f64_e32 v[180:181], v[168:169], v[166:167]
	v_mul_f64_e32 v[14:15], v[6:7], v[14:15]
	ds_load_b128 v[166:169], v2 offset:1376
	v_fmac_f64_e32 v[172:173], v[160:161], v[8:9]
	v_fma_f64 v[158:159], v[158:159], v[8:9], -v[10:11]
	scratch_load_b128 v[8:11], off, off offset:736
	v_add_f64_e32 v[170:171], v[170:171], v[174:175]
	v_fmac_f64_e32 v[176:177], v[6:7], v[12:13]
	v_add_f64_e32 v[160:161], v[180:181], v[178:179]
	v_fma_f64 v[178:179], v[4:5], v[12:13], -v[14:15]
	ds_load_b128 v[4:7], v2 offset:1392
	s_wait_loadcnt_dscnt 0xa01
	v_mul_f64_e32 v[174:175], v[166:167], v[18:19]
	v_mul_f64_e32 v[18:19], v[168:169], v[18:19]
	scratch_load_b128 v[12:15], off, off offset:752
	v_add_f64_e32 v[170:171], v[170:171], v[172:173]
	s_wait_loadcnt_dscnt 0xa00
	v_mul_f64_e32 v[172:173], v[4:5], v[22:23]
	v_add_f64_e32 v[180:181], v[160:161], v[158:159]
	v_mul_f64_e32 v[22:23], v[6:7], v[22:23]
	ds_load_b128 v[158:161], v2 offset:1408
	v_fmac_f64_e32 v[174:175], v[168:169], v[16:17]
	v_fma_f64 v[166:167], v[166:167], v[16:17], -v[18:19]
	scratch_load_b128 v[16:19], off, off offset:768
	v_add_f64_e32 v[170:171], v[170:171], v[176:177]
	v_fmac_f64_e32 v[172:173], v[6:7], v[20:21]
	v_add_f64_e32 v[168:169], v[180:181], v[178:179]
	v_fma_f64 v[178:179], v[4:5], v[20:21], -v[22:23]
	ds_load_b128 v[4:7], v2 offset:1424
	s_wait_loadcnt_dscnt 0xa01
	v_mul_f64_e32 v[176:177], v[158:159], v[128:129]
	v_mul_f64_e32 v[128:129], v[160:161], v[128:129]
	scratch_load_b128 v[20:23], off, off offset:784
	v_add_f64_e32 v[170:171], v[170:171], v[174:175]
	s_wait_loadcnt_dscnt 0xa00
	v_mul_f64_e32 v[174:175], v[4:5], v[132:133]
	v_add_f64_e32 v[180:181], v[168:169], v[166:167]
	v_mul_f64_e32 v[132:133], v[6:7], v[132:133]
	ds_load_b128 v[166:169], v2 offset:1440
	v_fmac_f64_e32 v[176:177], v[160:161], v[126:127]
	v_fma_f64 v[126:127], v[158:159], v[126:127], -v[128:129]
	s_wait_loadcnt_dscnt 0x900
	v_mul_f64_e32 v[160:161], v[166:167], v[136:137]
	v_mul_f64_e32 v[136:137], v[168:169], v[136:137]
	v_add_f64_e32 v[158:159], v[170:171], v[172:173]
	v_fmac_f64_e32 v[174:175], v[6:7], v[130:131]
	v_add_f64_e32 v[128:129], v[180:181], v[178:179]
	v_fma_f64 v[130:131], v[4:5], v[130:131], -v[132:133]
	v_fmac_f64_e32 v[160:161], v[168:169], v[134:135]
	v_fma_f64 v[134:135], v[166:167], v[134:135], -v[136:137]
	v_add_f64_e32 v[158:159], v[158:159], v[176:177]
	v_add_f64_e32 v[132:133], v[128:129], v[126:127]
	ds_load_b128 v[4:7], v2 offset:1456
	ds_load_b128 v[126:129], v2 offset:1472
	s_wait_loadcnt_dscnt 0x801
	v_mul_f64_e32 v[170:171], v[4:5], v[140:141]
	v_mul_f64_e32 v[140:141], v[6:7], v[140:141]
	s_wait_loadcnt_dscnt 0x700
	v_mul_f64_e32 v[136:137], v[126:127], v[144:145]
	v_mul_f64_e32 v[144:145], v[128:129], v[144:145]
	v_add_f64_e32 v[130:131], v[132:133], v[130:131]
	v_add_f64_e32 v[132:133], v[158:159], v[174:175]
	v_fmac_f64_e32 v[170:171], v[6:7], v[138:139]
	v_fma_f64 v[138:139], v[4:5], v[138:139], -v[140:141]
	v_fmac_f64_e32 v[136:137], v[128:129], v[142:143]
	v_fma_f64 v[126:127], v[126:127], v[142:143], -v[144:145]
	v_add_f64_e32 v[134:135], v[130:131], v[134:135]
	v_add_f64_e32 v[140:141], v[132:133], v[160:161]
	ds_load_b128 v[4:7], v2 offset:1488
	ds_load_b128 v[130:133], v2 offset:1504
	s_wait_loadcnt_dscnt 0x601
	v_mul_f64_e32 v[158:159], v[4:5], v[152:153]
	v_mul_f64_e32 v[152:153], v[6:7], v[152:153]
	v_add_f64_e32 v[128:129], v[134:135], v[138:139]
	v_add_f64_e32 v[134:135], v[140:141], v[170:171]
	s_wait_loadcnt_dscnt 0x500
	v_mul_f64_e32 v[138:139], v[130:131], v[164:165]
	v_mul_f64_e32 v[140:141], v[132:133], v[164:165]
	v_fmac_f64_e32 v[158:159], v[6:7], v[150:151]
	v_fma_f64 v[142:143], v[4:5], v[150:151], -v[152:153]
	v_add_f64_e32 v[144:145], v[128:129], v[126:127]
	v_add_f64_e32 v[134:135], v[134:135], v[136:137]
	ds_load_b128 v[4:7], v2 offset:1520
	ds_load_b128 v[126:129], v2 offset:1536
	v_fmac_f64_e32 v[138:139], v[132:133], v[162:163]
	v_fma_f64 v[130:131], v[130:131], v[162:163], -v[140:141]
	s_wait_loadcnt_dscnt 0x401
	v_mul_f64_e32 v[136:137], v[4:5], v[148:149]
	v_mul_f64_e32 v[148:149], v[6:7], v[148:149]
	s_wait_loadcnt_dscnt 0x300
	v_mul_f64_e32 v[140:141], v[126:127], v[10:11]
	v_mul_f64_e32 v[10:11], v[128:129], v[10:11]
	v_add_f64_e32 v[132:133], v[144:145], v[142:143]
	v_add_f64_e32 v[134:135], v[134:135], v[158:159]
	v_fmac_f64_e32 v[136:137], v[6:7], v[146:147]
	v_fma_f64 v[142:143], v[4:5], v[146:147], -v[148:149]
	v_fmac_f64_e32 v[140:141], v[128:129], v[8:9]
	v_fma_f64 v[8:9], v[126:127], v[8:9], -v[10:11]
	v_add_f64_e32 v[144:145], v[132:133], v[130:131]
	v_add_f64_e32 v[134:135], v[134:135], v[138:139]
	ds_load_b128 v[4:7], v2 offset:1552
	ds_load_b128 v[130:133], v2 offset:1568
	s_wait_loadcnt_dscnt 0x201
	v_mul_f64_e32 v[138:139], v[4:5], v[14:15]
	v_mul_f64_e32 v[14:15], v[6:7], v[14:15]
	s_wait_loadcnt_dscnt 0x100
	v_mul_f64_e32 v[128:129], v[130:131], v[18:19]
	v_mul_f64_e32 v[18:19], v[132:133], v[18:19]
	v_add_f64_e32 v[10:11], v[144:145], v[142:143]
	v_add_f64_e32 v[126:127], v[134:135], v[136:137]
	v_fmac_f64_e32 v[138:139], v[6:7], v[12:13]
	v_fma_f64 v[12:13], v[4:5], v[12:13], -v[14:15]
	ds_load_b128 v[4:7], v2 offset:1584
	v_fmac_f64_e32 v[128:129], v[132:133], v[16:17]
	v_fma_f64 v[16:17], v[130:131], v[16:17], -v[18:19]
	v_add_f64_e32 v[8:9], v[10:11], v[8:9]
	v_add_f64_e32 v[10:11], v[126:127], v[140:141]
	s_wait_loadcnt_dscnt 0x0
	v_mul_f64_e32 v[14:15], v[4:5], v[22:23]
	v_mul_f64_e32 v[22:23], v[6:7], v[22:23]
	s_delay_alu instid0(VALU_DEP_4) | instskip(NEXT) | instid1(VALU_DEP_4)
	v_add_f64_e32 v[8:9], v[8:9], v[12:13]
	v_add_f64_e32 v[10:11], v[10:11], v[138:139]
	s_delay_alu instid0(VALU_DEP_4) | instskip(NEXT) | instid1(VALU_DEP_4)
	v_fmac_f64_e32 v[14:15], v[6:7], v[20:21]
	v_fma_f64 v[4:5], v[4:5], v[20:21], -v[22:23]
	s_delay_alu instid0(VALU_DEP_4) | instskip(NEXT) | instid1(VALU_DEP_4)
	v_add_f64_e32 v[6:7], v[8:9], v[16:17]
	v_add_f64_e32 v[8:9], v[10:11], v[128:129]
	s_delay_alu instid0(VALU_DEP_2) | instskip(NEXT) | instid1(VALU_DEP_2)
	v_add_f64_e32 v[4:5], v[6:7], v[4:5]
	v_add_f64_e32 v[6:7], v[8:9], v[14:15]
	s_delay_alu instid0(VALU_DEP_2) | instskip(NEXT) | instid1(VALU_DEP_2)
	v_add_f64_e64 v[4:5], v[154:155], -v[4:5]
	v_add_f64_e64 v[6:7], v[156:157], -v[6:7]
	scratch_store_b128 off, v[4:7], off offset:320
	s_wait_xcnt 0x0
	v_cmpx_lt_u32_e32 19, v1
	s_cbranch_execz .LBB49_275
; %bb.274:
	scratch_load_b128 v[6:9], off, s44
	v_dual_mov_b32 v3, v2 :: v_dual_mov_b32 v4, v2
	v_mov_b32_e32 v5, v2
	scratch_store_b128 off, v[2:5], off offset:304
	s_wait_loadcnt 0x0
	ds_store_b128 v124, v[6:9]
.LBB49_275:
	s_wait_xcnt 0x0
	s_or_b32 exec_lo, exec_lo, s2
	s_wait_storecnt_dscnt 0x0
	s_barrier_signal -1
	s_barrier_wait -1
	s_clause 0x9
	scratch_load_b128 v[4:7], off, off offset:320
	scratch_load_b128 v[8:11], off, off offset:336
	;; [unrolled: 1-line block ×10, first 2 shown]
	ds_load_b128 v[146:149], v2 offset:1120
	ds_load_b128 v[154:157], v2 offset:1136
	s_clause 0x2
	scratch_load_b128 v[150:153], off, off offset:480
	scratch_load_b128 v[158:161], off, off offset:304
	;; [unrolled: 1-line block ×3, first 2 shown]
	s_mov_b32 s2, exec_lo
	s_wait_loadcnt_dscnt 0xc01
	v_mul_f64_e32 v[166:167], v[148:149], v[6:7]
	v_mul_f64_e32 v[170:171], v[146:147], v[6:7]
	s_wait_loadcnt_dscnt 0xb00
	v_mul_f64_e32 v[172:173], v[154:155], v[10:11]
	v_mul_f64_e32 v[10:11], v[156:157], v[10:11]
	s_delay_alu instid0(VALU_DEP_4) | instskip(NEXT) | instid1(VALU_DEP_4)
	v_fma_f64 v[174:175], v[146:147], v[4:5], -v[166:167]
	v_fmac_f64_e32 v[170:171], v[148:149], v[4:5]
	ds_load_b128 v[4:7], v2 offset:1152
	ds_load_b128 v[146:149], v2 offset:1168
	scratch_load_b128 v[166:169], off, off offset:512
	v_fmac_f64_e32 v[172:173], v[156:157], v[8:9]
	v_fma_f64 v[154:155], v[154:155], v[8:9], -v[10:11]
	scratch_load_b128 v[8:11], off, off offset:528
	s_wait_loadcnt_dscnt 0xc01
	v_mul_f64_e32 v[176:177], v[4:5], v[14:15]
	v_mul_f64_e32 v[14:15], v[6:7], v[14:15]
	v_add_f64_e32 v[156:157], 0, v[174:175]
	v_add_f64_e32 v[170:171], 0, v[170:171]
	s_wait_loadcnt_dscnt 0xb00
	v_mul_f64_e32 v[174:175], v[146:147], v[18:19]
	v_mul_f64_e32 v[18:19], v[148:149], v[18:19]
	v_fmac_f64_e32 v[176:177], v[6:7], v[12:13]
	v_fma_f64 v[178:179], v[4:5], v[12:13], -v[14:15]
	ds_load_b128 v[4:7], v2 offset:1184
	ds_load_b128 v[12:15], v2 offset:1200
	v_add_f64_e32 v[180:181], v[156:157], v[154:155]
	v_add_f64_e32 v[170:171], v[170:171], v[172:173]
	scratch_load_b128 v[154:157], off, off offset:544
	v_fmac_f64_e32 v[174:175], v[148:149], v[16:17]
	v_fma_f64 v[146:147], v[146:147], v[16:17], -v[18:19]
	scratch_load_b128 v[16:19], off, off offset:560
	s_wait_loadcnt_dscnt 0xc01
	v_mul_f64_e32 v[172:173], v[4:5], v[22:23]
	v_mul_f64_e32 v[22:23], v[6:7], v[22:23]
	v_add_f64_e32 v[148:149], v[180:181], v[178:179]
	v_add_f64_e32 v[170:171], v[170:171], v[176:177]
	s_wait_loadcnt_dscnt 0xb00
	v_mul_f64_e32 v[176:177], v[12:13], v[128:129]
	v_mul_f64_e32 v[128:129], v[14:15], v[128:129]
	v_fmac_f64_e32 v[172:173], v[6:7], v[20:21]
	v_fma_f64 v[178:179], v[4:5], v[20:21], -v[22:23]
	ds_load_b128 v[4:7], v2 offset:1216
	ds_load_b128 v[20:23], v2 offset:1232
	v_add_f64_e32 v[180:181], v[148:149], v[146:147]
	v_add_f64_e32 v[170:171], v[170:171], v[174:175]
	scratch_load_b128 v[146:149], off, off offset:576
	s_wait_loadcnt_dscnt 0xb01
	v_mul_f64_e32 v[174:175], v[4:5], v[132:133]
	v_mul_f64_e32 v[132:133], v[6:7], v[132:133]
	v_fmac_f64_e32 v[176:177], v[14:15], v[126:127]
	v_fma_f64 v[126:127], v[12:13], v[126:127], -v[128:129]
	scratch_load_b128 v[12:15], off, off offset:592
	v_add_f64_e32 v[128:129], v[180:181], v[178:179]
	v_add_f64_e32 v[170:171], v[170:171], v[172:173]
	s_wait_loadcnt_dscnt 0xb00
	v_mul_f64_e32 v[172:173], v[20:21], v[136:137]
	v_mul_f64_e32 v[136:137], v[22:23], v[136:137]
	v_fmac_f64_e32 v[174:175], v[6:7], v[130:131]
	v_fma_f64 v[178:179], v[4:5], v[130:131], -v[132:133]
	v_add_f64_e32 v[180:181], v[128:129], v[126:127]
	v_add_f64_e32 v[170:171], v[170:171], v[176:177]
	ds_load_b128 v[4:7], v2 offset:1248
	ds_load_b128 v[126:129], v2 offset:1264
	scratch_load_b128 v[130:133], off, off offset:608
	v_fmac_f64_e32 v[172:173], v[22:23], v[134:135]
	v_fma_f64 v[134:135], v[20:21], v[134:135], -v[136:137]
	scratch_load_b128 v[20:23], off, off offset:624
	s_wait_loadcnt_dscnt 0xc01
	v_mul_f64_e32 v[176:177], v[4:5], v[140:141]
	v_mul_f64_e32 v[140:141], v[6:7], v[140:141]
	v_add_f64_e32 v[136:137], v[180:181], v[178:179]
	v_add_f64_e32 v[170:171], v[170:171], v[174:175]
	s_wait_loadcnt_dscnt 0xb00
	v_mul_f64_e32 v[174:175], v[126:127], v[144:145]
	v_mul_f64_e32 v[144:145], v[128:129], v[144:145]
	v_fmac_f64_e32 v[176:177], v[6:7], v[138:139]
	v_fma_f64 v[178:179], v[4:5], v[138:139], -v[140:141]
	v_add_f64_e32 v[180:181], v[136:137], v[134:135]
	v_add_f64_e32 v[170:171], v[170:171], v[172:173]
	ds_load_b128 v[4:7], v2 offset:1280
	ds_load_b128 v[134:137], v2 offset:1296
	scratch_load_b128 v[138:141], off, off offset:640
	v_fmac_f64_e32 v[174:175], v[128:129], v[142:143]
	v_fma_f64 v[142:143], v[126:127], v[142:143], -v[144:145]
	scratch_load_b128 v[126:129], off, off offset:656
	s_wait_loadcnt_dscnt 0xc01
	v_mul_f64_e32 v[172:173], v[4:5], v[152:153]
	v_mul_f64_e32 v[152:153], v[6:7], v[152:153]
	;; [unrolled: 18-line block ×5, first 2 shown]
	v_add_f64_e32 v[164:165], v[180:181], v[178:179]
	v_add_f64_e32 v[170:171], v[170:171], v[176:177]
	s_wait_loadcnt_dscnt 0xa00
	v_mul_f64_e32 v[176:177], v[142:143], v[14:15]
	v_mul_f64_e32 v[14:15], v[144:145], v[14:15]
	v_fmac_f64_e32 v[172:173], v[6:7], v[146:147]
	v_fma_f64 v[178:179], v[4:5], v[146:147], -v[148:149]
	ds_load_b128 v[4:7], v2 offset:1408
	ds_load_b128 v[146:149], v2 offset:1424
	v_add_f64_e32 v[180:181], v[164:165], v[162:163]
	v_add_f64_e32 v[170:171], v[170:171], v[174:175]
	scratch_load_b128 v[162:165], off, off offset:768
	v_fmac_f64_e32 v[176:177], v[144:145], v[12:13]
	v_fma_f64 v[142:143], v[142:143], v[12:13], -v[14:15]
	scratch_load_b128 v[12:15], off, off offset:784
	s_wait_loadcnt_dscnt 0xb01
	v_mul_f64_e32 v[174:175], v[4:5], v[132:133]
	v_mul_f64_e32 v[132:133], v[6:7], v[132:133]
	v_add_f64_e32 v[144:145], v[180:181], v[178:179]
	v_add_f64_e32 v[170:171], v[170:171], v[172:173]
	s_wait_loadcnt_dscnt 0xa00
	v_mul_f64_e32 v[172:173], v[146:147], v[22:23]
	v_mul_f64_e32 v[22:23], v[148:149], v[22:23]
	v_fmac_f64_e32 v[174:175], v[6:7], v[130:131]
	v_fma_f64 v[178:179], v[4:5], v[130:131], -v[132:133]
	ds_load_b128 v[4:7], v2 offset:1440
	ds_load_b128 v[130:133], v2 offset:1456
	v_add_f64_e32 v[142:143], v[144:145], v[142:143]
	v_add_f64_e32 v[144:145], v[170:171], v[176:177]
	v_fmac_f64_e32 v[172:173], v[148:149], v[20:21]
	s_wait_loadcnt_dscnt 0x901
	v_mul_f64_e32 v[170:171], v[4:5], v[140:141]
	v_mul_f64_e32 v[140:141], v[6:7], v[140:141]
	v_fma_f64 v[20:21], v[146:147], v[20:21], -v[22:23]
	v_add_f64_e32 v[22:23], v[142:143], v[178:179]
	v_add_f64_e32 v[142:143], v[144:145], v[174:175]
	s_wait_loadcnt_dscnt 0x800
	v_mul_f64_e32 v[144:145], v[130:131], v[128:129]
	v_mul_f64_e32 v[128:129], v[132:133], v[128:129]
	v_fmac_f64_e32 v[170:171], v[6:7], v[138:139]
	v_fma_f64 v[138:139], v[4:5], v[138:139], -v[140:141]
	v_add_f64_e32 v[140:141], v[22:23], v[20:21]
	v_add_f64_e32 v[142:143], v[142:143], v[172:173]
	ds_load_b128 v[4:7], v2 offset:1472
	ds_load_b128 v[20:23], v2 offset:1488
	v_fmac_f64_e32 v[144:145], v[132:133], v[126:127]
	v_fma_f64 v[126:127], v[130:131], v[126:127], -v[128:129]
	s_wait_loadcnt_dscnt 0x701
	v_mul_f64_e32 v[146:147], v[4:5], v[152:153]
	v_mul_f64_e32 v[148:149], v[6:7], v[152:153]
	s_wait_loadcnt_dscnt 0x600
	v_mul_f64_e32 v[132:133], v[20:21], v[136:137]
	v_mul_f64_e32 v[136:137], v[22:23], v[136:137]
	v_add_f64_e32 v[128:129], v[140:141], v[138:139]
	v_add_f64_e32 v[130:131], v[142:143], v[170:171]
	v_fmac_f64_e32 v[146:147], v[6:7], v[150:151]
	v_fma_f64 v[138:139], v[4:5], v[150:151], -v[148:149]
	v_fmac_f64_e32 v[132:133], v[22:23], v[134:135]
	v_fma_f64 v[20:21], v[20:21], v[134:135], -v[136:137]
	v_add_f64_e32 v[140:141], v[128:129], v[126:127]
	v_add_f64_e32 v[130:131], v[130:131], v[144:145]
	ds_load_b128 v[4:7], v2 offset:1504
	ds_load_b128 v[126:129], v2 offset:1520
	s_wait_loadcnt_dscnt 0x501
	v_mul_f64_e32 v[142:143], v[4:5], v[168:169]
	v_mul_f64_e32 v[144:145], v[6:7], v[168:169]
	s_wait_loadcnt_dscnt 0x400
	v_mul_f64_e32 v[134:135], v[126:127], v[10:11]
	v_mul_f64_e32 v[10:11], v[128:129], v[10:11]
	v_add_f64_e32 v[22:23], v[140:141], v[138:139]
	v_add_f64_e32 v[130:131], v[130:131], v[146:147]
	v_fmac_f64_e32 v[142:143], v[6:7], v[166:167]
	v_fma_f64 v[136:137], v[4:5], v[166:167], -v[144:145]
	v_fmac_f64_e32 v[134:135], v[128:129], v[8:9]
	v_fma_f64 v[8:9], v[126:127], v[8:9], -v[10:11]
	v_add_f64_e32 v[138:139], v[22:23], v[20:21]
	v_add_f64_e32 v[130:131], v[130:131], v[132:133]
	ds_load_b128 v[4:7], v2 offset:1536
	ds_load_b128 v[20:23], v2 offset:1552
	;; [unrolled: 16-line block ×3, first 2 shown]
	s_wait_loadcnt_dscnt 0x101
	v_mul_f64_e32 v[2:3], v[4:5], v[164:165]
	v_mul_f64_e32 v[134:135], v[6:7], v[164:165]
	s_wait_loadcnt_dscnt 0x0
	v_mul_f64_e32 v[22:23], v[8:9], v[14:15]
	v_mul_f64_e32 v[14:15], v[10:11], v[14:15]
	v_add_f64_e32 v[18:19], v[136:137], v[130:131]
	v_add_f64_e32 v[20:21], v[126:127], v[132:133]
	v_fmac_f64_e32 v[2:3], v[6:7], v[162:163]
	v_fma_f64 v[4:5], v[4:5], v[162:163], -v[134:135]
	v_fmac_f64_e32 v[22:23], v[10:11], v[12:13]
	v_fma_f64 v[8:9], v[8:9], v[12:13], -v[14:15]
	v_add_f64_e32 v[6:7], v[18:19], v[16:17]
	v_add_f64_e32 v[16:17], v[20:21], v[128:129]
	s_delay_alu instid0(VALU_DEP_2) | instskip(NEXT) | instid1(VALU_DEP_2)
	v_add_f64_e32 v[4:5], v[6:7], v[4:5]
	v_add_f64_e32 v[2:3], v[16:17], v[2:3]
	s_delay_alu instid0(VALU_DEP_2) | instskip(NEXT) | instid1(VALU_DEP_2)
	v_add_f64_e32 v[4:5], v[4:5], v[8:9]
	v_add_f64_e32 v[6:7], v[2:3], v[22:23]
	s_delay_alu instid0(VALU_DEP_2) | instskip(NEXT) | instid1(VALU_DEP_2)
	v_add_f64_e64 v[2:3], v[158:159], -v[4:5]
	v_add_f64_e64 v[4:5], v[160:161], -v[6:7]
	scratch_store_b128 off, v[2:5], off offset:304
	s_wait_xcnt 0x0
	v_cmpx_lt_u32_e32 18, v1
	s_cbranch_execz .LBB49_277
; %bb.276:
	scratch_load_b128 v[2:5], off, s43
	v_mov_b32_e32 v6, 0
	s_delay_alu instid0(VALU_DEP_1)
	v_dual_mov_b32 v7, v6 :: v_dual_mov_b32 v8, v6
	v_mov_b32_e32 v9, v6
	scratch_store_b128 off, v[6:9], off offset:288
	s_wait_loadcnt 0x0
	ds_store_b128 v124, v[2:5]
.LBB49_277:
	s_wait_xcnt 0x0
	s_or_b32 exec_lo, exec_lo, s2
	s_wait_storecnt_dscnt 0x0
	s_barrier_signal -1
	s_barrier_wait -1
	s_clause 0x9
	scratch_load_b128 v[4:7], off, off offset:304
	scratch_load_b128 v[8:11], off, off offset:320
	scratch_load_b128 v[12:15], off, off offset:336
	scratch_load_b128 v[16:19], off, off offset:352
	scratch_load_b128 v[20:23], off, off offset:368
	scratch_load_b128 v[126:129], off, off offset:384
	scratch_load_b128 v[130:133], off, off offset:400
	scratch_load_b128 v[134:137], off, off offset:416
	scratch_load_b128 v[138:141], off, off offset:432
	scratch_load_b128 v[142:145], off, off offset:448
	v_mov_b32_e32 v2, 0
	s_mov_b32 s2, exec_lo
	ds_load_b128 v[146:149], v2 offset:1104
	s_clause 0x2
	scratch_load_b128 v[150:153], off, off offset:464
	scratch_load_b128 v[154:157], off, off offset:288
	;; [unrolled: 1-line block ×3, first 2 shown]
	s_wait_loadcnt_dscnt 0xc00
	v_mul_f64_e32 v[166:167], v[148:149], v[6:7]
	v_mul_f64_e32 v[170:171], v[146:147], v[6:7]
	ds_load_b128 v[158:161], v2 offset:1120
	v_fma_f64 v[174:175], v[146:147], v[4:5], -v[166:167]
	v_fmac_f64_e32 v[170:171], v[148:149], v[4:5]
	ds_load_b128 v[4:7], v2 offset:1136
	s_wait_loadcnt_dscnt 0xb01
	v_mul_f64_e32 v[172:173], v[158:159], v[10:11]
	v_mul_f64_e32 v[10:11], v[160:161], v[10:11]
	scratch_load_b128 v[146:149], off, off offset:496
	ds_load_b128 v[166:169], v2 offset:1152
	s_wait_loadcnt_dscnt 0xb01
	v_mul_f64_e32 v[176:177], v[4:5], v[14:15]
	v_mul_f64_e32 v[14:15], v[6:7], v[14:15]
	v_add_f64_e32 v[170:171], 0, v[170:171]
	v_fmac_f64_e32 v[172:173], v[160:161], v[8:9]
	v_fma_f64 v[158:159], v[158:159], v[8:9], -v[10:11]
	v_add_f64_e32 v[160:161], 0, v[174:175]
	scratch_load_b128 v[8:11], off, off offset:512
	v_fmac_f64_e32 v[176:177], v[6:7], v[12:13]
	v_fma_f64 v[178:179], v[4:5], v[12:13], -v[14:15]
	ds_load_b128 v[4:7], v2 offset:1168
	s_wait_loadcnt_dscnt 0xb01
	v_mul_f64_e32 v[174:175], v[166:167], v[18:19]
	v_mul_f64_e32 v[18:19], v[168:169], v[18:19]
	scratch_load_b128 v[12:15], off, off offset:528
	v_add_f64_e32 v[170:171], v[170:171], v[172:173]
	v_add_f64_e32 v[180:181], v[160:161], v[158:159]
	ds_load_b128 v[158:161], v2 offset:1184
	s_wait_loadcnt_dscnt 0xb01
	v_mul_f64_e32 v[172:173], v[4:5], v[22:23]
	v_mul_f64_e32 v[22:23], v[6:7], v[22:23]
	v_fmac_f64_e32 v[174:175], v[168:169], v[16:17]
	v_fma_f64 v[166:167], v[166:167], v[16:17], -v[18:19]
	scratch_load_b128 v[16:19], off, off offset:544
	v_add_f64_e32 v[170:171], v[170:171], v[176:177]
	v_add_f64_e32 v[168:169], v[180:181], v[178:179]
	v_fmac_f64_e32 v[172:173], v[6:7], v[20:21]
	v_fma_f64 v[178:179], v[4:5], v[20:21], -v[22:23]
	ds_load_b128 v[4:7], v2 offset:1200
	s_wait_loadcnt_dscnt 0xb01
	v_mul_f64_e32 v[176:177], v[158:159], v[128:129]
	v_mul_f64_e32 v[128:129], v[160:161], v[128:129]
	scratch_load_b128 v[20:23], off, off offset:560
	v_add_f64_e32 v[170:171], v[170:171], v[174:175]
	s_wait_loadcnt_dscnt 0xb00
	v_mul_f64_e32 v[174:175], v[4:5], v[132:133]
	v_add_f64_e32 v[180:181], v[168:169], v[166:167]
	v_mul_f64_e32 v[132:133], v[6:7], v[132:133]
	ds_load_b128 v[166:169], v2 offset:1216
	v_fmac_f64_e32 v[176:177], v[160:161], v[126:127]
	v_fma_f64 v[158:159], v[158:159], v[126:127], -v[128:129]
	scratch_load_b128 v[126:129], off, off offset:576
	v_add_f64_e32 v[170:171], v[170:171], v[172:173]
	v_fmac_f64_e32 v[174:175], v[6:7], v[130:131]
	v_add_f64_e32 v[160:161], v[180:181], v[178:179]
	v_fma_f64 v[178:179], v[4:5], v[130:131], -v[132:133]
	ds_load_b128 v[4:7], v2 offset:1232
	s_wait_loadcnt_dscnt 0xb01
	v_mul_f64_e32 v[172:173], v[166:167], v[136:137]
	v_mul_f64_e32 v[136:137], v[168:169], v[136:137]
	scratch_load_b128 v[130:133], off, off offset:592
	v_add_f64_e32 v[170:171], v[170:171], v[176:177]
	s_wait_loadcnt_dscnt 0xb00
	v_mul_f64_e32 v[176:177], v[4:5], v[140:141]
	v_add_f64_e32 v[180:181], v[160:161], v[158:159]
	v_mul_f64_e32 v[140:141], v[6:7], v[140:141]
	ds_load_b128 v[158:161], v2 offset:1248
	v_fmac_f64_e32 v[172:173], v[168:169], v[134:135]
	v_fma_f64 v[166:167], v[166:167], v[134:135], -v[136:137]
	scratch_load_b128 v[134:137], off, off offset:608
	v_add_f64_e32 v[170:171], v[170:171], v[174:175]
	v_fmac_f64_e32 v[176:177], v[6:7], v[138:139]
	v_add_f64_e32 v[168:169], v[180:181], v[178:179]
	;; [unrolled: 18-line block ×3, first 2 shown]
	v_fma_f64 v[178:179], v[4:5], v[150:151], -v[152:153]
	ds_load_b128 v[4:7], v2 offset:1296
	s_wait_loadcnt_dscnt 0xa01
	v_mul_f64_e32 v[176:177], v[166:167], v[164:165]
	v_mul_f64_e32 v[164:165], v[168:169], v[164:165]
	scratch_load_b128 v[150:153], off, off offset:656
	v_add_f64_e32 v[170:171], v[170:171], v[174:175]
	v_add_f64_e32 v[180:181], v[160:161], v[158:159]
	s_wait_loadcnt_dscnt 0xa00
	v_mul_f64_e32 v[174:175], v[4:5], v[148:149]
	v_mul_f64_e32 v[148:149], v[6:7], v[148:149]
	v_fmac_f64_e32 v[176:177], v[168:169], v[162:163]
	v_fma_f64 v[166:167], v[166:167], v[162:163], -v[164:165]
	ds_load_b128 v[158:161], v2 offset:1312
	scratch_load_b128 v[162:165], off, off offset:672
	v_add_f64_e32 v[170:171], v[170:171], v[172:173]
	v_add_f64_e32 v[168:169], v[180:181], v[178:179]
	v_fmac_f64_e32 v[174:175], v[6:7], v[146:147]
	v_fma_f64 v[178:179], v[4:5], v[146:147], -v[148:149]
	ds_load_b128 v[4:7], v2 offset:1328
	s_wait_loadcnt_dscnt 0xa01
	v_mul_f64_e32 v[172:173], v[158:159], v[10:11]
	v_mul_f64_e32 v[10:11], v[160:161], v[10:11]
	scratch_load_b128 v[146:149], off, off offset:688
	v_add_f64_e32 v[170:171], v[170:171], v[176:177]
	s_wait_loadcnt_dscnt 0xa00
	v_mul_f64_e32 v[176:177], v[4:5], v[14:15]
	v_add_f64_e32 v[180:181], v[168:169], v[166:167]
	v_mul_f64_e32 v[14:15], v[6:7], v[14:15]
	ds_load_b128 v[166:169], v2 offset:1344
	v_fmac_f64_e32 v[172:173], v[160:161], v[8:9]
	v_fma_f64 v[158:159], v[158:159], v[8:9], -v[10:11]
	scratch_load_b128 v[8:11], off, off offset:704
	v_add_f64_e32 v[170:171], v[170:171], v[174:175]
	v_fmac_f64_e32 v[176:177], v[6:7], v[12:13]
	v_add_f64_e32 v[160:161], v[180:181], v[178:179]
	v_fma_f64 v[178:179], v[4:5], v[12:13], -v[14:15]
	ds_load_b128 v[4:7], v2 offset:1360
	s_wait_loadcnt_dscnt 0xa01
	v_mul_f64_e32 v[174:175], v[166:167], v[18:19]
	v_mul_f64_e32 v[18:19], v[168:169], v[18:19]
	scratch_load_b128 v[12:15], off, off offset:720
	v_add_f64_e32 v[170:171], v[170:171], v[172:173]
	s_wait_loadcnt_dscnt 0xa00
	v_mul_f64_e32 v[172:173], v[4:5], v[22:23]
	v_add_f64_e32 v[180:181], v[160:161], v[158:159]
	v_mul_f64_e32 v[22:23], v[6:7], v[22:23]
	ds_load_b128 v[158:161], v2 offset:1376
	v_fmac_f64_e32 v[174:175], v[168:169], v[16:17]
	v_fma_f64 v[166:167], v[166:167], v[16:17], -v[18:19]
	scratch_load_b128 v[16:19], off, off offset:736
	v_add_f64_e32 v[170:171], v[170:171], v[176:177]
	v_fmac_f64_e32 v[172:173], v[6:7], v[20:21]
	v_add_f64_e32 v[168:169], v[180:181], v[178:179]
	;; [unrolled: 18-line block ×3, first 2 shown]
	v_fma_f64 v[178:179], v[4:5], v[130:131], -v[132:133]
	ds_load_b128 v[4:7], v2 offset:1424
	s_wait_loadcnt_dscnt 0xa01
	v_mul_f64_e32 v[172:173], v[166:167], v[136:137]
	v_mul_f64_e32 v[136:137], v[168:169], v[136:137]
	scratch_load_b128 v[130:133], off, off offset:784
	v_add_f64_e32 v[170:171], v[170:171], v[176:177]
	s_wait_loadcnt_dscnt 0xa00
	v_mul_f64_e32 v[176:177], v[4:5], v[140:141]
	v_add_f64_e32 v[180:181], v[160:161], v[158:159]
	v_mul_f64_e32 v[140:141], v[6:7], v[140:141]
	ds_load_b128 v[158:161], v2 offset:1440
	v_fmac_f64_e32 v[172:173], v[168:169], v[134:135]
	v_fma_f64 v[134:135], v[166:167], v[134:135], -v[136:137]
	s_wait_loadcnt_dscnt 0x900
	v_mul_f64_e32 v[168:169], v[158:159], v[144:145]
	v_mul_f64_e32 v[144:145], v[160:161], v[144:145]
	v_add_f64_e32 v[166:167], v[170:171], v[174:175]
	v_fmac_f64_e32 v[176:177], v[6:7], v[138:139]
	v_add_f64_e32 v[136:137], v[180:181], v[178:179]
	v_fma_f64 v[138:139], v[4:5], v[138:139], -v[140:141]
	v_fmac_f64_e32 v[168:169], v[160:161], v[142:143]
	v_fma_f64 v[142:143], v[158:159], v[142:143], -v[144:145]
	v_add_f64_e32 v[166:167], v[166:167], v[172:173]
	v_add_f64_e32 v[140:141], v[136:137], v[134:135]
	ds_load_b128 v[4:7], v2 offset:1456
	ds_load_b128 v[134:137], v2 offset:1472
	s_wait_loadcnt_dscnt 0x801
	v_mul_f64_e32 v[170:171], v[4:5], v[152:153]
	v_mul_f64_e32 v[152:153], v[6:7], v[152:153]
	s_wait_loadcnt_dscnt 0x700
	v_mul_f64_e32 v[144:145], v[134:135], v[164:165]
	v_mul_f64_e32 v[158:159], v[136:137], v[164:165]
	v_add_f64_e32 v[138:139], v[140:141], v[138:139]
	v_add_f64_e32 v[140:141], v[166:167], v[176:177]
	v_fmac_f64_e32 v[170:171], v[6:7], v[150:151]
	v_fma_f64 v[150:151], v[4:5], v[150:151], -v[152:153]
	v_fmac_f64_e32 v[144:145], v[136:137], v[162:163]
	v_fma_f64 v[134:135], v[134:135], v[162:163], -v[158:159]
	v_add_f64_e32 v[142:143], v[138:139], v[142:143]
	v_add_f64_e32 v[152:153], v[140:141], v[168:169]
	ds_load_b128 v[4:7], v2 offset:1488
	ds_load_b128 v[138:141], v2 offset:1504
	s_wait_loadcnt_dscnt 0x601
	v_mul_f64_e32 v[160:161], v[4:5], v[148:149]
	v_mul_f64_e32 v[148:149], v[6:7], v[148:149]
	v_add_f64_e32 v[136:137], v[142:143], v[150:151]
	v_add_f64_e32 v[142:143], v[152:153], v[170:171]
	s_wait_loadcnt_dscnt 0x500
	v_mul_f64_e32 v[150:151], v[138:139], v[10:11]
	v_mul_f64_e32 v[10:11], v[140:141], v[10:11]
	v_fmac_f64_e32 v[160:161], v[6:7], v[146:147]
	v_fma_f64 v[146:147], v[4:5], v[146:147], -v[148:149]
	v_add_f64_e32 v[148:149], v[136:137], v[134:135]
	v_add_f64_e32 v[142:143], v[142:143], v[144:145]
	ds_load_b128 v[4:7], v2 offset:1520
	ds_load_b128 v[134:137], v2 offset:1536
	v_fmac_f64_e32 v[150:151], v[140:141], v[8:9]
	v_fma_f64 v[8:9], v[138:139], v[8:9], -v[10:11]
	s_wait_loadcnt_dscnt 0x401
	v_mul_f64_e32 v[144:145], v[4:5], v[14:15]
	v_mul_f64_e32 v[14:15], v[6:7], v[14:15]
	s_wait_loadcnt_dscnt 0x300
	v_mul_f64_e32 v[140:141], v[134:135], v[18:19]
	v_mul_f64_e32 v[18:19], v[136:137], v[18:19]
	v_add_f64_e32 v[10:11], v[148:149], v[146:147]
	v_add_f64_e32 v[138:139], v[142:143], v[160:161]
	v_fmac_f64_e32 v[144:145], v[6:7], v[12:13]
	v_fma_f64 v[12:13], v[4:5], v[12:13], -v[14:15]
	v_fmac_f64_e32 v[140:141], v[136:137], v[16:17]
	v_fma_f64 v[16:17], v[134:135], v[16:17], -v[18:19]
	v_add_f64_e32 v[14:15], v[10:11], v[8:9]
	v_add_f64_e32 v[138:139], v[138:139], v[150:151]
	ds_load_b128 v[4:7], v2 offset:1552
	ds_load_b128 v[8:11], v2 offset:1568
	s_wait_loadcnt_dscnt 0x201
	v_mul_f64_e32 v[142:143], v[4:5], v[22:23]
	v_mul_f64_e32 v[22:23], v[6:7], v[22:23]
	s_wait_loadcnt_dscnt 0x100
	v_mul_f64_e32 v[18:19], v[8:9], v[128:129]
	v_mul_f64_e32 v[128:129], v[10:11], v[128:129]
	v_add_f64_e32 v[12:13], v[14:15], v[12:13]
	v_add_f64_e32 v[14:15], v[138:139], v[144:145]
	v_fmac_f64_e32 v[142:143], v[6:7], v[20:21]
	v_fma_f64 v[20:21], v[4:5], v[20:21], -v[22:23]
	ds_load_b128 v[4:7], v2 offset:1584
	v_fmac_f64_e32 v[18:19], v[10:11], v[126:127]
	v_fma_f64 v[8:9], v[8:9], v[126:127], -v[128:129]
	v_add_f64_e32 v[12:13], v[12:13], v[16:17]
	v_add_f64_e32 v[14:15], v[14:15], v[140:141]
	s_wait_loadcnt_dscnt 0x0
	v_mul_f64_e32 v[16:17], v[4:5], v[132:133]
	v_mul_f64_e32 v[22:23], v[6:7], v[132:133]
	s_delay_alu instid0(VALU_DEP_4) | instskip(NEXT) | instid1(VALU_DEP_4)
	v_add_f64_e32 v[10:11], v[12:13], v[20:21]
	v_add_f64_e32 v[12:13], v[14:15], v[142:143]
	s_delay_alu instid0(VALU_DEP_4) | instskip(NEXT) | instid1(VALU_DEP_4)
	v_fmac_f64_e32 v[16:17], v[6:7], v[130:131]
	v_fma_f64 v[4:5], v[4:5], v[130:131], -v[22:23]
	s_delay_alu instid0(VALU_DEP_4) | instskip(NEXT) | instid1(VALU_DEP_4)
	v_add_f64_e32 v[6:7], v[10:11], v[8:9]
	v_add_f64_e32 v[8:9], v[12:13], v[18:19]
	s_delay_alu instid0(VALU_DEP_2) | instskip(NEXT) | instid1(VALU_DEP_2)
	v_add_f64_e32 v[4:5], v[6:7], v[4:5]
	v_add_f64_e32 v[6:7], v[8:9], v[16:17]
	s_delay_alu instid0(VALU_DEP_2) | instskip(NEXT) | instid1(VALU_DEP_2)
	v_add_f64_e64 v[4:5], v[154:155], -v[4:5]
	v_add_f64_e64 v[6:7], v[156:157], -v[6:7]
	scratch_store_b128 off, v[4:7], off offset:288
	s_wait_xcnt 0x0
	v_cmpx_lt_u32_e32 17, v1
	s_cbranch_execz .LBB49_279
; %bb.278:
	scratch_load_b128 v[6:9], off, s42
	v_dual_mov_b32 v3, v2 :: v_dual_mov_b32 v4, v2
	v_mov_b32_e32 v5, v2
	scratch_store_b128 off, v[2:5], off offset:272
	s_wait_loadcnt 0x0
	ds_store_b128 v124, v[6:9]
.LBB49_279:
	s_wait_xcnt 0x0
	s_or_b32 exec_lo, exec_lo, s2
	s_wait_storecnt_dscnt 0x0
	s_barrier_signal -1
	s_barrier_wait -1
	s_clause 0x9
	scratch_load_b128 v[4:7], off, off offset:288
	scratch_load_b128 v[8:11], off, off offset:304
	;; [unrolled: 1-line block ×10, first 2 shown]
	ds_load_b128 v[146:149], v2 offset:1088
	ds_load_b128 v[154:157], v2 offset:1104
	s_clause 0x2
	scratch_load_b128 v[150:153], off, off offset:448
	scratch_load_b128 v[158:161], off, off offset:272
	;; [unrolled: 1-line block ×3, first 2 shown]
	s_mov_b32 s2, exec_lo
	s_wait_loadcnt_dscnt 0xc01
	v_mul_f64_e32 v[166:167], v[148:149], v[6:7]
	v_mul_f64_e32 v[170:171], v[146:147], v[6:7]
	s_wait_loadcnt_dscnt 0xb00
	v_mul_f64_e32 v[172:173], v[154:155], v[10:11]
	v_mul_f64_e32 v[10:11], v[156:157], v[10:11]
	s_delay_alu instid0(VALU_DEP_4) | instskip(NEXT) | instid1(VALU_DEP_4)
	v_fma_f64 v[174:175], v[146:147], v[4:5], -v[166:167]
	v_fmac_f64_e32 v[170:171], v[148:149], v[4:5]
	ds_load_b128 v[4:7], v2 offset:1120
	ds_load_b128 v[146:149], v2 offset:1136
	scratch_load_b128 v[166:169], off, off offset:480
	v_fmac_f64_e32 v[172:173], v[156:157], v[8:9]
	v_fma_f64 v[154:155], v[154:155], v[8:9], -v[10:11]
	scratch_load_b128 v[8:11], off, off offset:496
	s_wait_loadcnt_dscnt 0xc01
	v_mul_f64_e32 v[176:177], v[4:5], v[14:15]
	v_mul_f64_e32 v[14:15], v[6:7], v[14:15]
	v_add_f64_e32 v[156:157], 0, v[174:175]
	v_add_f64_e32 v[170:171], 0, v[170:171]
	s_wait_loadcnt_dscnt 0xb00
	v_mul_f64_e32 v[174:175], v[146:147], v[18:19]
	v_mul_f64_e32 v[18:19], v[148:149], v[18:19]
	v_fmac_f64_e32 v[176:177], v[6:7], v[12:13]
	v_fma_f64 v[178:179], v[4:5], v[12:13], -v[14:15]
	ds_load_b128 v[4:7], v2 offset:1152
	ds_load_b128 v[12:15], v2 offset:1168
	v_add_f64_e32 v[180:181], v[156:157], v[154:155]
	v_add_f64_e32 v[170:171], v[170:171], v[172:173]
	scratch_load_b128 v[154:157], off, off offset:512
	v_fmac_f64_e32 v[174:175], v[148:149], v[16:17]
	v_fma_f64 v[146:147], v[146:147], v[16:17], -v[18:19]
	scratch_load_b128 v[16:19], off, off offset:528
	s_wait_loadcnt_dscnt 0xc01
	v_mul_f64_e32 v[172:173], v[4:5], v[22:23]
	v_mul_f64_e32 v[22:23], v[6:7], v[22:23]
	v_add_f64_e32 v[148:149], v[180:181], v[178:179]
	v_add_f64_e32 v[170:171], v[170:171], v[176:177]
	s_wait_loadcnt_dscnt 0xb00
	v_mul_f64_e32 v[176:177], v[12:13], v[128:129]
	v_mul_f64_e32 v[128:129], v[14:15], v[128:129]
	v_fmac_f64_e32 v[172:173], v[6:7], v[20:21]
	v_fma_f64 v[178:179], v[4:5], v[20:21], -v[22:23]
	ds_load_b128 v[4:7], v2 offset:1184
	ds_load_b128 v[20:23], v2 offset:1200
	v_add_f64_e32 v[180:181], v[148:149], v[146:147]
	v_add_f64_e32 v[170:171], v[170:171], v[174:175]
	scratch_load_b128 v[146:149], off, off offset:544
	s_wait_loadcnt_dscnt 0xb01
	v_mul_f64_e32 v[174:175], v[4:5], v[132:133]
	v_mul_f64_e32 v[132:133], v[6:7], v[132:133]
	v_fmac_f64_e32 v[176:177], v[14:15], v[126:127]
	v_fma_f64 v[126:127], v[12:13], v[126:127], -v[128:129]
	scratch_load_b128 v[12:15], off, off offset:560
	v_add_f64_e32 v[128:129], v[180:181], v[178:179]
	v_add_f64_e32 v[170:171], v[170:171], v[172:173]
	s_wait_loadcnt_dscnt 0xb00
	v_mul_f64_e32 v[172:173], v[20:21], v[136:137]
	v_mul_f64_e32 v[136:137], v[22:23], v[136:137]
	v_fmac_f64_e32 v[174:175], v[6:7], v[130:131]
	v_fma_f64 v[178:179], v[4:5], v[130:131], -v[132:133]
	v_add_f64_e32 v[180:181], v[128:129], v[126:127]
	v_add_f64_e32 v[170:171], v[170:171], v[176:177]
	ds_load_b128 v[4:7], v2 offset:1216
	ds_load_b128 v[126:129], v2 offset:1232
	scratch_load_b128 v[130:133], off, off offset:576
	v_fmac_f64_e32 v[172:173], v[22:23], v[134:135]
	v_fma_f64 v[134:135], v[20:21], v[134:135], -v[136:137]
	scratch_load_b128 v[20:23], off, off offset:592
	s_wait_loadcnt_dscnt 0xc01
	v_mul_f64_e32 v[176:177], v[4:5], v[140:141]
	v_mul_f64_e32 v[140:141], v[6:7], v[140:141]
	v_add_f64_e32 v[136:137], v[180:181], v[178:179]
	v_add_f64_e32 v[170:171], v[170:171], v[174:175]
	s_wait_loadcnt_dscnt 0xb00
	v_mul_f64_e32 v[174:175], v[126:127], v[144:145]
	v_mul_f64_e32 v[144:145], v[128:129], v[144:145]
	v_fmac_f64_e32 v[176:177], v[6:7], v[138:139]
	v_fma_f64 v[178:179], v[4:5], v[138:139], -v[140:141]
	v_add_f64_e32 v[180:181], v[136:137], v[134:135]
	v_add_f64_e32 v[170:171], v[170:171], v[172:173]
	ds_load_b128 v[4:7], v2 offset:1248
	ds_load_b128 v[134:137], v2 offset:1264
	scratch_load_b128 v[138:141], off, off offset:608
	v_fmac_f64_e32 v[174:175], v[128:129], v[142:143]
	v_fma_f64 v[142:143], v[126:127], v[142:143], -v[144:145]
	scratch_load_b128 v[126:129], off, off offset:624
	s_wait_loadcnt_dscnt 0xc01
	v_mul_f64_e32 v[172:173], v[4:5], v[152:153]
	v_mul_f64_e32 v[152:153], v[6:7], v[152:153]
	;; [unrolled: 18-line block ×5, first 2 shown]
	v_add_f64_e32 v[164:165], v[180:181], v[178:179]
	v_add_f64_e32 v[170:171], v[170:171], v[176:177]
	s_wait_loadcnt_dscnt 0xa00
	v_mul_f64_e32 v[176:177], v[142:143], v[14:15]
	v_mul_f64_e32 v[14:15], v[144:145], v[14:15]
	v_fmac_f64_e32 v[172:173], v[6:7], v[146:147]
	v_fma_f64 v[178:179], v[4:5], v[146:147], -v[148:149]
	ds_load_b128 v[4:7], v2 offset:1376
	ds_load_b128 v[146:149], v2 offset:1392
	v_add_f64_e32 v[180:181], v[164:165], v[162:163]
	v_add_f64_e32 v[170:171], v[170:171], v[174:175]
	scratch_load_b128 v[162:165], off, off offset:736
	v_fmac_f64_e32 v[176:177], v[144:145], v[12:13]
	v_fma_f64 v[142:143], v[142:143], v[12:13], -v[14:15]
	scratch_load_b128 v[12:15], off, off offset:752
	s_wait_loadcnt_dscnt 0xb01
	v_mul_f64_e32 v[174:175], v[4:5], v[132:133]
	v_mul_f64_e32 v[132:133], v[6:7], v[132:133]
	v_add_f64_e32 v[144:145], v[180:181], v[178:179]
	v_add_f64_e32 v[170:171], v[170:171], v[172:173]
	s_wait_loadcnt_dscnt 0xa00
	v_mul_f64_e32 v[172:173], v[146:147], v[22:23]
	v_mul_f64_e32 v[22:23], v[148:149], v[22:23]
	v_fmac_f64_e32 v[174:175], v[6:7], v[130:131]
	v_fma_f64 v[178:179], v[4:5], v[130:131], -v[132:133]
	ds_load_b128 v[4:7], v2 offset:1408
	ds_load_b128 v[130:133], v2 offset:1424
	v_add_f64_e32 v[180:181], v[144:145], v[142:143]
	v_add_f64_e32 v[170:171], v[170:171], v[176:177]
	scratch_load_b128 v[142:145], off, off offset:768
	s_wait_loadcnt_dscnt 0xa01
	v_mul_f64_e32 v[176:177], v[4:5], v[140:141]
	v_mul_f64_e32 v[140:141], v[6:7], v[140:141]
	v_fmac_f64_e32 v[172:173], v[148:149], v[20:21]
	v_fma_f64 v[146:147], v[146:147], v[20:21], -v[22:23]
	scratch_load_b128 v[20:23], off, off offset:784
	v_add_f64_e32 v[148:149], v[180:181], v[178:179]
	v_add_f64_e32 v[170:171], v[170:171], v[174:175]
	s_wait_loadcnt_dscnt 0xa00
	v_mul_f64_e32 v[174:175], v[130:131], v[128:129]
	v_mul_f64_e32 v[128:129], v[132:133], v[128:129]
	v_fmac_f64_e32 v[176:177], v[6:7], v[138:139]
	v_fma_f64 v[178:179], v[4:5], v[138:139], -v[140:141]
	ds_load_b128 v[4:7], v2 offset:1440
	ds_load_b128 v[138:141], v2 offset:1456
	v_add_f64_e32 v[146:147], v[148:149], v[146:147]
	v_add_f64_e32 v[148:149], v[170:171], v[172:173]
	v_fmac_f64_e32 v[174:175], v[132:133], v[126:127]
	s_wait_loadcnt_dscnt 0x901
	v_mul_f64_e32 v[170:171], v[4:5], v[152:153]
	v_mul_f64_e32 v[152:153], v[6:7], v[152:153]
	v_fma_f64 v[126:127], v[130:131], v[126:127], -v[128:129]
	s_wait_loadcnt_dscnt 0x800
	v_mul_f64_e32 v[132:133], v[138:139], v[136:137]
	v_mul_f64_e32 v[136:137], v[140:141], v[136:137]
	v_add_f64_e32 v[128:129], v[146:147], v[178:179]
	v_add_f64_e32 v[130:131], v[148:149], v[176:177]
	v_fmac_f64_e32 v[170:171], v[6:7], v[150:151]
	v_fma_f64 v[146:147], v[4:5], v[150:151], -v[152:153]
	v_fmac_f64_e32 v[132:133], v[140:141], v[134:135]
	v_fma_f64 v[134:135], v[138:139], v[134:135], -v[136:137]
	v_add_f64_e32 v[148:149], v[128:129], v[126:127]
	v_add_f64_e32 v[130:131], v[130:131], v[174:175]
	ds_load_b128 v[4:7], v2 offset:1472
	ds_load_b128 v[126:129], v2 offset:1488
	s_wait_loadcnt_dscnt 0x701
	v_mul_f64_e32 v[150:151], v[4:5], v[168:169]
	v_mul_f64_e32 v[152:153], v[6:7], v[168:169]
	s_wait_loadcnt_dscnt 0x600
	v_mul_f64_e32 v[138:139], v[126:127], v[10:11]
	v_mul_f64_e32 v[10:11], v[128:129], v[10:11]
	v_add_f64_e32 v[136:137], v[148:149], v[146:147]
	v_add_f64_e32 v[130:131], v[130:131], v[170:171]
	v_fmac_f64_e32 v[150:151], v[6:7], v[166:167]
	v_fma_f64 v[140:141], v[4:5], v[166:167], -v[152:153]
	v_fmac_f64_e32 v[138:139], v[128:129], v[8:9]
	v_fma_f64 v[8:9], v[126:127], v[8:9], -v[10:11]
	v_add_f64_e32 v[134:135], v[136:137], v[134:135]
	v_add_f64_e32 v[136:137], v[130:131], v[132:133]
	ds_load_b128 v[4:7], v2 offset:1504
	ds_load_b128 v[130:133], v2 offset:1520
	s_wait_loadcnt_dscnt 0x501
	v_mul_f64_e32 v[146:147], v[4:5], v[156:157]
	v_mul_f64_e32 v[148:149], v[6:7], v[156:157]
	;; [unrolled: 16-line block ×4, first 2 shown]
	v_add_f64_e32 v[10:11], v[18:19], v[134:135]
	v_add_f64_e32 v[12:13], v[126:127], v[138:139]
	s_wait_loadcnt_dscnt 0x0
	v_mul_f64_e32 v[18:19], v[14:15], v[22:23]
	v_mul_f64_e32 v[22:23], v[16:17], v[22:23]
	v_fmac_f64_e32 v[2:3], v[6:7], v[142:143]
	v_fma_f64 v[4:5], v[4:5], v[142:143], -v[128:129]
	v_add_f64_e32 v[6:7], v[10:11], v[8:9]
	v_add_f64_e32 v[8:9], v[12:13], v[130:131]
	v_fmac_f64_e32 v[18:19], v[16:17], v[20:21]
	v_fma_f64 v[10:11], v[14:15], v[20:21], -v[22:23]
	s_delay_alu instid0(VALU_DEP_4) | instskip(NEXT) | instid1(VALU_DEP_4)
	v_add_f64_e32 v[4:5], v[6:7], v[4:5]
	v_add_f64_e32 v[2:3], v[8:9], v[2:3]
	s_delay_alu instid0(VALU_DEP_2) | instskip(NEXT) | instid1(VALU_DEP_2)
	v_add_f64_e32 v[4:5], v[4:5], v[10:11]
	v_add_f64_e32 v[6:7], v[2:3], v[18:19]
	s_delay_alu instid0(VALU_DEP_2) | instskip(NEXT) | instid1(VALU_DEP_2)
	v_add_f64_e64 v[2:3], v[158:159], -v[4:5]
	v_add_f64_e64 v[4:5], v[160:161], -v[6:7]
	scratch_store_b128 off, v[2:5], off offset:272
	s_wait_xcnt 0x0
	v_cmpx_lt_u32_e32 16, v1
	s_cbranch_execz .LBB49_281
; %bb.280:
	scratch_load_b128 v[2:5], off, s40
	v_mov_b32_e32 v6, 0
	s_delay_alu instid0(VALU_DEP_1)
	v_dual_mov_b32 v7, v6 :: v_dual_mov_b32 v8, v6
	v_mov_b32_e32 v9, v6
	scratch_store_b128 off, v[6:9], off offset:256
	s_wait_loadcnt 0x0
	ds_store_b128 v124, v[2:5]
.LBB49_281:
	s_wait_xcnt 0x0
	s_or_b32 exec_lo, exec_lo, s2
	s_wait_storecnt_dscnt 0x0
	s_barrier_signal -1
	s_barrier_wait -1
	s_clause 0x9
	scratch_load_b128 v[4:7], off, off offset:272
	scratch_load_b128 v[8:11], off, off offset:288
	;; [unrolled: 1-line block ×10, first 2 shown]
	v_mov_b32_e32 v2, 0
	s_mov_b32 s2, exec_lo
	ds_load_b128 v[146:149], v2 offset:1072
	s_clause 0x2
	scratch_load_b128 v[150:153], off, off offset:432
	scratch_load_b128 v[154:157], off, off offset:256
	;; [unrolled: 1-line block ×3, first 2 shown]
	s_wait_loadcnt_dscnt 0xc00
	v_mul_f64_e32 v[166:167], v[148:149], v[6:7]
	v_mul_f64_e32 v[170:171], v[146:147], v[6:7]
	ds_load_b128 v[158:161], v2 offset:1088
	v_fma_f64 v[174:175], v[146:147], v[4:5], -v[166:167]
	v_fmac_f64_e32 v[170:171], v[148:149], v[4:5]
	ds_load_b128 v[4:7], v2 offset:1104
	s_wait_loadcnt_dscnt 0xb01
	v_mul_f64_e32 v[172:173], v[158:159], v[10:11]
	v_mul_f64_e32 v[10:11], v[160:161], v[10:11]
	scratch_load_b128 v[146:149], off, off offset:464
	ds_load_b128 v[166:169], v2 offset:1120
	s_wait_loadcnt_dscnt 0xb01
	v_mul_f64_e32 v[176:177], v[4:5], v[14:15]
	v_mul_f64_e32 v[14:15], v[6:7], v[14:15]
	v_add_f64_e32 v[170:171], 0, v[170:171]
	v_fmac_f64_e32 v[172:173], v[160:161], v[8:9]
	v_fma_f64 v[158:159], v[158:159], v[8:9], -v[10:11]
	v_add_f64_e32 v[160:161], 0, v[174:175]
	scratch_load_b128 v[8:11], off, off offset:480
	v_fmac_f64_e32 v[176:177], v[6:7], v[12:13]
	v_fma_f64 v[178:179], v[4:5], v[12:13], -v[14:15]
	ds_load_b128 v[4:7], v2 offset:1136
	s_wait_loadcnt_dscnt 0xb01
	v_mul_f64_e32 v[174:175], v[166:167], v[18:19]
	v_mul_f64_e32 v[18:19], v[168:169], v[18:19]
	scratch_load_b128 v[12:15], off, off offset:496
	v_add_f64_e32 v[170:171], v[170:171], v[172:173]
	v_add_f64_e32 v[180:181], v[160:161], v[158:159]
	ds_load_b128 v[158:161], v2 offset:1152
	s_wait_loadcnt_dscnt 0xb01
	v_mul_f64_e32 v[172:173], v[4:5], v[22:23]
	v_mul_f64_e32 v[22:23], v[6:7], v[22:23]
	v_fmac_f64_e32 v[174:175], v[168:169], v[16:17]
	v_fma_f64 v[166:167], v[166:167], v[16:17], -v[18:19]
	scratch_load_b128 v[16:19], off, off offset:512
	v_add_f64_e32 v[170:171], v[170:171], v[176:177]
	v_add_f64_e32 v[168:169], v[180:181], v[178:179]
	v_fmac_f64_e32 v[172:173], v[6:7], v[20:21]
	v_fma_f64 v[178:179], v[4:5], v[20:21], -v[22:23]
	ds_load_b128 v[4:7], v2 offset:1168
	s_wait_loadcnt_dscnt 0xb01
	v_mul_f64_e32 v[176:177], v[158:159], v[128:129]
	v_mul_f64_e32 v[128:129], v[160:161], v[128:129]
	scratch_load_b128 v[20:23], off, off offset:528
	v_add_f64_e32 v[170:171], v[170:171], v[174:175]
	s_wait_loadcnt_dscnt 0xb00
	v_mul_f64_e32 v[174:175], v[4:5], v[132:133]
	v_add_f64_e32 v[180:181], v[168:169], v[166:167]
	v_mul_f64_e32 v[132:133], v[6:7], v[132:133]
	ds_load_b128 v[166:169], v2 offset:1184
	v_fmac_f64_e32 v[176:177], v[160:161], v[126:127]
	v_fma_f64 v[158:159], v[158:159], v[126:127], -v[128:129]
	scratch_load_b128 v[126:129], off, off offset:544
	v_add_f64_e32 v[170:171], v[170:171], v[172:173]
	v_fmac_f64_e32 v[174:175], v[6:7], v[130:131]
	v_add_f64_e32 v[160:161], v[180:181], v[178:179]
	v_fma_f64 v[178:179], v[4:5], v[130:131], -v[132:133]
	ds_load_b128 v[4:7], v2 offset:1200
	s_wait_loadcnt_dscnt 0xb01
	v_mul_f64_e32 v[172:173], v[166:167], v[136:137]
	v_mul_f64_e32 v[136:137], v[168:169], v[136:137]
	scratch_load_b128 v[130:133], off, off offset:560
	v_add_f64_e32 v[170:171], v[170:171], v[176:177]
	s_wait_loadcnt_dscnt 0xb00
	v_mul_f64_e32 v[176:177], v[4:5], v[140:141]
	v_add_f64_e32 v[180:181], v[160:161], v[158:159]
	v_mul_f64_e32 v[140:141], v[6:7], v[140:141]
	ds_load_b128 v[158:161], v2 offset:1216
	v_fmac_f64_e32 v[172:173], v[168:169], v[134:135]
	v_fma_f64 v[166:167], v[166:167], v[134:135], -v[136:137]
	scratch_load_b128 v[134:137], off, off offset:576
	v_add_f64_e32 v[170:171], v[170:171], v[174:175]
	v_fmac_f64_e32 v[176:177], v[6:7], v[138:139]
	v_add_f64_e32 v[168:169], v[180:181], v[178:179]
	;; [unrolled: 18-line block ×3, first 2 shown]
	v_fma_f64 v[178:179], v[4:5], v[150:151], -v[152:153]
	ds_load_b128 v[4:7], v2 offset:1264
	s_wait_loadcnt_dscnt 0xa01
	v_mul_f64_e32 v[176:177], v[166:167], v[164:165]
	v_mul_f64_e32 v[164:165], v[168:169], v[164:165]
	scratch_load_b128 v[150:153], off, off offset:624
	v_add_f64_e32 v[170:171], v[170:171], v[174:175]
	v_add_f64_e32 v[180:181], v[160:161], v[158:159]
	s_wait_loadcnt_dscnt 0xa00
	v_mul_f64_e32 v[174:175], v[4:5], v[148:149]
	v_mul_f64_e32 v[148:149], v[6:7], v[148:149]
	v_fmac_f64_e32 v[176:177], v[168:169], v[162:163]
	v_fma_f64 v[166:167], v[166:167], v[162:163], -v[164:165]
	ds_load_b128 v[158:161], v2 offset:1280
	scratch_load_b128 v[162:165], off, off offset:640
	v_add_f64_e32 v[170:171], v[170:171], v[172:173]
	v_add_f64_e32 v[168:169], v[180:181], v[178:179]
	v_fmac_f64_e32 v[174:175], v[6:7], v[146:147]
	v_fma_f64 v[178:179], v[4:5], v[146:147], -v[148:149]
	ds_load_b128 v[4:7], v2 offset:1296
	s_wait_loadcnt_dscnt 0xa01
	v_mul_f64_e32 v[172:173], v[158:159], v[10:11]
	v_mul_f64_e32 v[10:11], v[160:161], v[10:11]
	scratch_load_b128 v[146:149], off, off offset:656
	v_add_f64_e32 v[170:171], v[170:171], v[176:177]
	s_wait_loadcnt_dscnt 0xa00
	v_mul_f64_e32 v[176:177], v[4:5], v[14:15]
	v_add_f64_e32 v[180:181], v[168:169], v[166:167]
	v_mul_f64_e32 v[14:15], v[6:7], v[14:15]
	ds_load_b128 v[166:169], v2 offset:1312
	v_fmac_f64_e32 v[172:173], v[160:161], v[8:9]
	v_fma_f64 v[158:159], v[158:159], v[8:9], -v[10:11]
	scratch_load_b128 v[8:11], off, off offset:672
	v_add_f64_e32 v[170:171], v[170:171], v[174:175]
	v_fmac_f64_e32 v[176:177], v[6:7], v[12:13]
	v_add_f64_e32 v[160:161], v[180:181], v[178:179]
	v_fma_f64 v[178:179], v[4:5], v[12:13], -v[14:15]
	ds_load_b128 v[4:7], v2 offset:1328
	s_wait_loadcnt_dscnt 0xa01
	v_mul_f64_e32 v[174:175], v[166:167], v[18:19]
	v_mul_f64_e32 v[18:19], v[168:169], v[18:19]
	scratch_load_b128 v[12:15], off, off offset:688
	v_add_f64_e32 v[170:171], v[170:171], v[172:173]
	s_wait_loadcnt_dscnt 0xa00
	v_mul_f64_e32 v[172:173], v[4:5], v[22:23]
	v_add_f64_e32 v[180:181], v[160:161], v[158:159]
	v_mul_f64_e32 v[22:23], v[6:7], v[22:23]
	ds_load_b128 v[158:161], v2 offset:1344
	v_fmac_f64_e32 v[174:175], v[168:169], v[16:17]
	v_fma_f64 v[166:167], v[166:167], v[16:17], -v[18:19]
	scratch_load_b128 v[16:19], off, off offset:704
	v_add_f64_e32 v[170:171], v[170:171], v[176:177]
	v_fmac_f64_e32 v[172:173], v[6:7], v[20:21]
	v_add_f64_e32 v[168:169], v[180:181], v[178:179]
	;; [unrolled: 18-line block ×4, first 2 shown]
	v_fma_f64 v[178:179], v[4:5], v[138:139], -v[140:141]
	ds_load_b128 v[4:7], v2 offset:1424
	s_wait_loadcnt_dscnt 0xa01
	v_mul_f64_e32 v[174:175], v[158:159], v[144:145]
	v_mul_f64_e32 v[144:145], v[160:161], v[144:145]
	scratch_load_b128 v[138:141], off, off offset:784
	v_add_f64_e32 v[170:171], v[170:171], v[172:173]
	s_wait_loadcnt_dscnt 0xa00
	v_mul_f64_e32 v[172:173], v[4:5], v[152:153]
	v_add_f64_e32 v[180:181], v[168:169], v[166:167]
	v_mul_f64_e32 v[152:153], v[6:7], v[152:153]
	ds_load_b128 v[166:169], v2 offset:1440
	v_fmac_f64_e32 v[174:175], v[160:161], v[142:143]
	v_fma_f64 v[142:143], v[158:159], v[142:143], -v[144:145]
	s_wait_loadcnt_dscnt 0x900
	v_mul_f64_e32 v[160:161], v[166:167], v[164:165]
	v_mul_f64_e32 v[164:165], v[168:169], v[164:165]
	v_add_f64_e32 v[158:159], v[170:171], v[176:177]
	v_fmac_f64_e32 v[172:173], v[6:7], v[150:151]
	v_add_f64_e32 v[144:145], v[180:181], v[178:179]
	v_fma_f64 v[150:151], v[4:5], v[150:151], -v[152:153]
	v_fmac_f64_e32 v[160:161], v[168:169], v[162:163]
	v_fma_f64 v[162:163], v[166:167], v[162:163], -v[164:165]
	v_add_f64_e32 v[158:159], v[158:159], v[174:175]
	v_add_f64_e32 v[152:153], v[144:145], v[142:143]
	ds_load_b128 v[4:7], v2 offset:1456
	ds_load_b128 v[142:145], v2 offset:1472
	s_wait_loadcnt_dscnt 0x801
	v_mul_f64_e32 v[170:171], v[4:5], v[148:149]
	v_mul_f64_e32 v[148:149], v[6:7], v[148:149]
	v_add_f64_e32 v[150:151], v[152:153], v[150:151]
	v_add_f64_e32 v[152:153], v[158:159], v[172:173]
	s_wait_loadcnt_dscnt 0x700
	v_mul_f64_e32 v[158:159], v[142:143], v[10:11]
	v_mul_f64_e32 v[10:11], v[144:145], v[10:11]
	v_fmac_f64_e32 v[170:171], v[6:7], v[146:147]
	v_fma_f64 v[164:165], v[4:5], v[146:147], -v[148:149]
	ds_load_b128 v[4:7], v2 offset:1488
	ds_load_b128 v[146:149], v2 offset:1504
	v_add_f64_e32 v[150:151], v[150:151], v[162:163]
	v_add_f64_e32 v[152:153], v[152:153], v[160:161]
	v_fmac_f64_e32 v[158:159], v[144:145], v[8:9]
	v_fma_f64 v[8:9], v[142:143], v[8:9], -v[10:11]
	s_wait_loadcnt_dscnt 0x601
	v_mul_f64_e32 v[160:161], v[4:5], v[14:15]
	v_mul_f64_e32 v[14:15], v[6:7], v[14:15]
	s_wait_loadcnt_dscnt 0x500
	v_mul_f64_e32 v[144:145], v[146:147], v[18:19]
	v_mul_f64_e32 v[18:19], v[148:149], v[18:19]
	v_add_f64_e32 v[10:11], v[150:151], v[164:165]
	v_add_f64_e32 v[142:143], v[152:153], v[170:171]
	v_fmac_f64_e32 v[160:161], v[6:7], v[12:13]
	v_fma_f64 v[12:13], v[4:5], v[12:13], -v[14:15]
	v_fmac_f64_e32 v[144:145], v[148:149], v[16:17]
	v_fma_f64 v[16:17], v[146:147], v[16:17], -v[18:19]
	v_add_f64_e32 v[14:15], v[10:11], v[8:9]
	v_add_f64_e32 v[142:143], v[142:143], v[158:159]
	ds_load_b128 v[4:7], v2 offset:1520
	ds_load_b128 v[8:11], v2 offset:1536
	s_wait_loadcnt_dscnt 0x401
	v_mul_f64_e32 v[150:151], v[4:5], v[22:23]
	v_mul_f64_e32 v[22:23], v[6:7], v[22:23]
	s_wait_loadcnt_dscnt 0x300
	v_mul_f64_e32 v[18:19], v[8:9], v[128:129]
	v_mul_f64_e32 v[128:129], v[10:11], v[128:129]
	v_add_f64_e32 v[12:13], v[14:15], v[12:13]
	v_add_f64_e32 v[14:15], v[142:143], v[160:161]
	v_fmac_f64_e32 v[150:151], v[6:7], v[20:21]
	v_fma_f64 v[20:21], v[4:5], v[20:21], -v[22:23]
	v_fmac_f64_e32 v[18:19], v[10:11], v[126:127]
	v_fma_f64 v[8:9], v[8:9], v[126:127], -v[128:129]
	v_add_f64_e32 v[16:17], v[12:13], v[16:17]
	v_add_f64_e32 v[22:23], v[14:15], v[144:145]
	ds_load_b128 v[4:7], v2 offset:1552
	ds_load_b128 v[12:15], v2 offset:1568
	s_wait_loadcnt_dscnt 0x201
	v_mul_f64_e32 v[142:143], v[4:5], v[132:133]
	v_mul_f64_e32 v[132:133], v[6:7], v[132:133]
	v_add_f64_e32 v[10:11], v[16:17], v[20:21]
	v_add_f64_e32 v[16:17], v[22:23], v[150:151]
	s_wait_loadcnt_dscnt 0x100
	v_mul_f64_e32 v[20:21], v[12:13], v[136:137]
	v_mul_f64_e32 v[22:23], v[14:15], v[136:137]
	v_fmac_f64_e32 v[142:143], v[6:7], v[130:131]
	v_fma_f64 v[126:127], v[4:5], v[130:131], -v[132:133]
	ds_load_b128 v[4:7], v2 offset:1584
	v_add_f64_e32 v[8:9], v[10:11], v[8:9]
	v_add_f64_e32 v[10:11], v[16:17], v[18:19]
	v_fmac_f64_e32 v[20:21], v[14:15], v[134:135]
	v_fma_f64 v[12:13], v[12:13], v[134:135], -v[22:23]
	s_wait_loadcnt_dscnt 0x0
	v_mul_f64_e32 v[16:17], v[4:5], v[140:141]
	v_mul_f64_e32 v[18:19], v[6:7], v[140:141]
	v_add_f64_e32 v[8:9], v[8:9], v[126:127]
	v_add_f64_e32 v[10:11], v[10:11], v[142:143]
	s_delay_alu instid0(VALU_DEP_4) | instskip(NEXT) | instid1(VALU_DEP_4)
	v_fmac_f64_e32 v[16:17], v[6:7], v[138:139]
	v_fma_f64 v[4:5], v[4:5], v[138:139], -v[18:19]
	s_delay_alu instid0(VALU_DEP_4) | instskip(NEXT) | instid1(VALU_DEP_4)
	v_add_f64_e32 v[6:7], v[8:9], v[12:13]
	v_add_f64_e32 v[8:9], v[10:11], v[20:21]
	s_delay_alu instid0(VALU_DEP_2) | instskip(NEXT) | instid1(VALU_DEP_2)
	v_add_f64_e32 v[4:5], v[6:7], v[4:5]
	v_add_f64_e32 v[6:7], v[8:9], v[16:17]
	s_delay_alu instid0(VALU_DEP_2) | instskip(NEXT) | instid1(VALU_DEP_2)
	v_add_f64_e64 v[4:5], v[154:155], -v[4:5]
	v_add_f64_e64 v[6:7], v[156:157], -v[6:7]
	scratch_store_b128 off, v[4:7], off offset:256
	s_wait_xcnt 0x0
	v_cmpx_lt_u32_e32 15, v1
	s_cbranch_execz .LBB49_283
; %bb.282:
	scratch_load_b128 v[6:9], off, s56
	v_dual_mov_b32 v3, v2 :: v_dual_mov_b32 v4, v2
	v_mov_b32_e32 v5, v2
	scratch_store_b128 off, v[2:5], off offset:240
	s_wait_loadcnt 0x0
	ds_store_b128 v124, v[6:9]
.LBB49_283:
	s_wait_xcnt 0x0
	s_or_b32 exec_lo, exec_lo, s2
	s_wait_storecnt_dscnt 0x0
	s_barrier_signal -1
	s_barrier_wait -1
	s_clause 0x9
	scratch_load_b128 v[4:7], off, off offset:256
	scratch_load_b128 v[8:11], off, off offset:272
	;; [unrolled: 1-line block ×10, first 2 shown]
	ds_load_b128 v[146:149], v2 offset:1056
	ds_load_b128 v[154:157], v2 offset:1072
	s_clause 0x2
	scratch_load_b128 v[150:153], off, off offset:416
	scratch_load_b128 v[158:161], off, off offset:240
	;; [unrolled: 1-line block ×3, first 2 shown]
	s_mov_b32 s2, exec_lo
	s_wait_loadcnt_dscnt 0xc01
	v_mul_f64_e32 v[166:167], v[148:149], v[6:7]
	v_mul_f64_e32 v[170:171], v[146:147], v[6:7]
	s_wait_loadcnt_dscnt 0xb00
	v_mul_f64_e32 v[172:173], v[154:155], v[10:11]
	v_mul_f64_e32 v[10:11], v[156:157], v[10:11]
	s_delay_alu instid0(VALU_DEP_4) | instskip(NEXT) | instid1(VALU_DEP_4)
	v_fma_f64 v[174:175], v[146:147], v[4:5], -v[166:167]
	v_fmac_f64_e32 v[170:171], v[148:149], v[4:5]
	ds_load_b128 v[4:7], v2 offset:1088
	ds_load_b128 v[146:149], v2 offset:1104
	scratch_load_b128 v[166:169], off, off offset:448
	v_fmac_f64_e32 v[172:173], v[156:157], v[8:9]
	v_fma_f64 v[154:155], v[154:155], v[8:9], -v[10:11]
	scratch_load_b128 v[8:11], off, off offset:464
	s_wait_loadcnt_dscnt 0xc01
	v_mul_f64_e32 v[176:177], v[4:5], v[14:15]
	v_mul_f64_e32 v[14:15], v[6:7], v[14:15]
	v_add_f64_e32 v[156:157], 0, v[174:175]
	v_add_f64_e32 v[170:171], 0, v[170:171]
	s_wait_loadcnt_dscnt 0xb00
	v_mul_f64_e32 v[174:175], v[146:147], v[18:19]
	v_mul_f64_e32 v[18:19], v[148:149], v[18:19]
	v_fmac_f64_e32 v[176:177], v[6:7], v[12:13]
	v_fma_f64 v[178:179], v[4:5], v[12:13], -v[14:15]
	ds_load_b128 v[4:7], v2 offset:1120
	ds_load_b128 v[12:15], v2 offset:1136
	v_add_f64_e32 v[180:181], v[156:157], v[154:155]
	v_add_f64_e32 v[170:171], v[170:171], v[172:173]
	scratch_load_b128 v[154:157], off, off offset:480
	v_fmac_f64_e32 v[174:175], v[148:149], v[16:17]
	v_fma_f64 v[146:147], v[146:147], v[16:17], -v[18:19]
	scratch_load_b128 v[16:19], off, off offset:496
	s_wait_loadcnt_dscnt 0xc01
	v_mul_f64_e32 v[172:173], v[4:5], v[22:23]
	v_mul_f64_e32 v[22:23], v[6:7], v[22:23]
	v_add_f64_e32 v[148:149], v[180:181], v[178:179]
	v_add_f64_e32 v[170:171], v[170:171], v[176:177]
	s_wait_loadcnt_dscnt 0xb00
	v_mul_f64_e32 v[176:177], v[12:13], v[128:129]
	v_mul_f64_e32 v[128:129], v[14:15], v[128:129]
	v_fmac_f64_e32 v[172:173], v[6:7], v[20:21]
	v_fma_f64 v[178:179], v[4:5], v[20:21], -v[22:23]
	ds_load_b128 v[4:7], v2 offset:1152
	ds_load_b128 v[20:23], v2 offset:1168
	v_add_f64_e32 v[180:181], v[148:149], v[146:147]
	v_add_f64_e32 v[170:171], v[170:171], v[174:175]
	scratch_load_b128 v[146:149], off, off offset:512
	s_wait_loadcnt_dscnt 0xb01
	v_mul_f64_e32 v[174:175], v[4:5], v[132:133]
	v_mul_f64_e32 v[132:133], v[6:7], v[132:133]
	v_fmac_f64_e32 v[176:177], v[14:15], v[126:127]
	v_fma_f64 v[126:127], v[12:13], v[126:127], -v[128:129]
	scratch_load_b128 v[12:15], off, off offset:528
	v_add_f64_e32 v[128:129], v[180:181], v[178:179]
	v_add_f64_e32 v[170:171], v[170:171], v[172:173]
	s_wait_loadcnt_dscnt 0xb00
	v_mul_f64_e32 v[172:173], v[20:21], v[136:137]
	v_mul_f64_e32 v[136:137], v[22:23], v[136:137]
	v_fmac_f64_e32 v[174:175], v[6:7], v[130:131]
	v_fma_f64 v[178:179], v[4:5], v[130:131], -v[132:133]
	v_add_f64_e32 v[180:181], v[128:129], v[126:127]
	v_add_f64_e32 v[170:171], v[170:171], v[176:177]
	ds_load_b128 v[4:7], v2 offset:1184
	ds_load_b128 v[126:129], v2 offset:1200
	scratch_load_b128 v[130:133], off, off offset:544
	v_fmac_f64_e32 v[172:173], v[22:23], v[134:135]
	v_fma_f64 v[134:135], v[20:21], v[134:135], -v[136:137]
	scratch_load_b128 v[20:23], off, off offset:560
	s_wait_loadcnt_dscnt 0xc01
	v_mul_f64_e32 v[176:177], v[4:5], v[140:141]
	v_mul_f64_e32 v[140:141], v[6:7], v[140:141]
	v_add_f64_e32 v[136:137], v[180:181], v[178:179]
	v_add_f64_e32 v[170:171], v[170:171], v[174:175]
	s_wait_loadcnt_dscnt 0xb00
	v_mul_f64_e32 v[174:175], v[126:127], v[144:145]
	v_mul_f64_e32 v[144:145], v[128:129], v[144:145]
	v_fmac_f64_e32 v[176:177], v[6:7], v[138:139]
	v_fma_f64 v[178:179], v[4:5], v[138:139], -v[140:141]
	v_add_f64_e32 v[180:181], v[136:137], v[134:135]
	v_add_f64_e32 v[170:171], v[170:171], v[172:173]
	ds_load_b128 v[4:7], v2 offset:1216
	ds_load_b128 v[134:137], v2 offset:1232
	scratch_load_b128 v[138:141], off, off offset:576
	v_fmac_f64_e32 v[174:175], v[128:129], v[142:143]
	v_fma_f64 v[142:143], v[126:127], v[142:143], -v[144:145]
	scratch_load_b128 v[126:129], off, off offset:592
	s_wait_loadcnt_dscnt 0xc01
	v_mul_f64_e32 v[172:173], v[4:5], v[152:153]
	v_mul_f64_e32 v[152:153], v[6:7], v[152:153]
	v_add_f64_e32 v[144:145], v[180:181], v[178:179]
	v_add_f64_e32 v[170:171], v[170:171], v[176:177]
	s_wait_loadcnt_dscnt 0xa00
	v_mul_f64_e32 v[176:177], v[134:135], v[164:165]
	v_mul_f64_e32 v[164:165], v[136:137], v[164:165]
	v_fmac_f64_e32 v[172:173], v[6:7], v[150:151]
	v_fma_f64 v[178:179], v[4:5], v[150:151], -v[152:153]
	v_add_f64_e32 v[180:181], v[144:145], v[142:143]
	v_add_f64_e32 v[170:171], v[170:171], v[174:175]
	ds_load_b128 v[4:7], v2 offset:1248
	ds_load_b128 v[142:145], v2 offset:1264
	scratch_load_b128 v[150:153], off, off offset:608
	v_fmac_f64_e32 v[176:177], v[136:137], v[162:163]
	v_fma_f64 v[162:163], v[134:135], v[162:163], -v[164:165]
	scratch_load_b128 v[134:137], off, off offset:624
	s_wait_loadcnt_dscnt 0xb01
	v_mul_f64_e32 v[174:175], v[4:5], v[168:169]
	v_mul_f64_e32 v[168:169], v[6:7], v[168:169]
	v_add_f64_e32 v[164:165], v[180:181], v[178:179]
	v_add_f64_e32 v[170:171], v[170:171], v[172:173]
	s_wait_loadcnt_dscnt 0xa00
	v_mul_f64_e32 v[172:173], v[142:143], v[10:11]
	v_mul_f64_e32 v[10:11], v[144:145], v[10:11]
	v_fmac_f64_e32 v[174:175], v[6:7], v[166:167]
	v_fma_f64 v[178:179], v[4:5], v[166:167], -v[168:169]
	v_add_f64_e32 v[180:181], v[164:165], v[162:163]
	v_add_f64_e32 v[170:171], v[170:171], v[176:177]
	ds_load_b128 v[4:7], v2 offset:1280
	ds_load_b128 v[162:165], v2 offset:1296
	scratch_load_b128 v[166:169], off, off offset:640
	v_fmac_f64_e32 v[172:173], v[144:145], v[8:9]
	v_fma_f64 v[142:143], v[142:143], v[8:9], -v[10:11]
	scratch_load_b128 v[8:11], off, off offset:656
	s_wait_loadcnt_dscnt 0xb01
	v_mul_f64_e32 v[176:177], v[4:5], v[156:157]
	v_mul_f64_e32 v[156:157], v[6:7], v[156:157]
	v_add_f64_e32 v[144:145], v[180:181], v[178:179]
	v_add_f64_e32 v[170:171], v[170:171], v[174:175]
	s_wait_loadcnt_dscnt 0xa00
	v_mul_f64_e32 v[174:175], v[162:163], v[18:19]
	v_mul_f64_e32 v[18:19], v[164:165], v[18:19]
	v_fmac_f64_e32 v[176:177], v[6:7], v[154:155]
	v_fma_f64 v[178:179], v[4:5], v[154:155], -v[156:157]
	v_add_f64_e32 v[180:181], v[144:145], v[142:143]
	v_add_f64_e32 v[170:171], v[170:171], v[172:173]
	ds_load_b128 v[4:7], v2 offset:1312
	ds_load_b128 v[142:145], v2 offset:1328
	scratch_load_b128 v[154:157], off, off offset:672
	v_fmac_f64_e32 v[174:175], v[164:165], v[16:17]
	v_fma_f64 v[162:163], v[162:163], v[16:17], -v[18:19]
	scratch_load_b128 v[16:19], off, off offset:688
	s_wait_loadcnt_dscnt 0xb01
	v_mul_f64_e32 v[172:173], v[4:5], v[148:149]
	v_mul_f64_e32 v[148:149], v[6:7], v[148:149]
	v_add_f64_e32 v[164:165], v[180:181], v[178:179]
	v_add_f64_e32 v[170:171], v[170:171], v[176:177]
	s_wait_loadcnt_dscnt 0xa00
	v_mul_f64_e32 v[176:177], v[142:143], v[14:15]
	v_mul_f64_e32 v[14:15], v[144:145], v[14:15]
	v_fmac_f64_e32 v[172:173], v[6:7], v[146:147]
	v_fma_f64 v[178:179], v[4:5], v[146:147], -v[148:149]
	ds_load_b128 v[4:7], v2 offset:1344
	ds_load_b128 v[146:149], v2 offset:1360
	v_add_f64_e32 v[180:181], v[164:165], v[162:163]
	v_add_f64_e32 v[170:171], v[170:171], v[174:175]
	scratch_load_b128 v[162:165], off, off offset:704
	v_fmac_f64_e32 v[176:177], v[144:145], v[12:13]
	v_fma_f64 v[142:143], v[142:143], v[12:13], -v[14:15]
	scratch_load_b128 v[12:15], off, off offset:720
	s_wait_loadcnt_dscnt 0xb01
	v_mul_f64_e32 v[174:175], v[4:5], v[132:133]
	v_mul_f64_e32 v[132:133], v[6:7], v[132:133]
	v_add_f64_e32 v[144:145], v[180:181], v[178:179]
	v_add_f64_e32 v[170:171], v[170:171], v[172:173]
	s_wait_loadcnt_dscnt 0xa00
	v_mul_f64_e32 v[172:173], v[146:147], v[22:23]
	v_mul_f64_e32 v[22:23], v[148:149], v[22:23]
	v_fmac_f64_e32 v[174:175], v[6:7], v[130:131]
	v_fma_f64 v[178:179], v[4:5], v[130:131], -v[132:133]
	ds_load_b128 v[4:7], v2 offset:1376
	ds_load_b128 v[130:133], v2 offset:1392
	v_add_f64_e32 v[180:181], v[144:145], v[142:143]
	v_add_f64_e32 v[170:171], v[170:171], v[176:177]
	scratch_load_b128 v[142:145], off, off offset:736
	s_wait_loadcnt_dscnt 0xa01
	v_mul_f64_e32 v[176:177], v[4:5], v[140:141]
	v_mul_f64_e32 v[140:141], v[6:7], v[140:141]
	v_fmac_f64_e32 v[172:173], v[148:149], v[20:21]
	v_fma_f64 v[146:147], v[146:147], v[20:21], -v[22:23]
	scratch_load_b128 v[20:23], off, off offset:752
	v_add_f64_e32 v[148:149], v[180:181], v[178:179]
	v_add_f64_e32 v[170:171], v[170:171], v[174:175]
	s_wait_loadcnt_dscnt 0xa00
	v_mul_f64_e32 v[174:175], v[130:131], v[128:129]
	v_mul_f64_e32 v[128:129], v[132:133], v[128:129]
	v_fmac_f64_e32 v[176:177], v[6:7], v[138:139]
	v_fma_f64 v[178:179], v[4:5], v[138:139], -v[140:141]
	ds_load_b128 v[4:7], v2 offset:1408
	ds_load_b128 v[138:141], v2 offset:1424
	v_add_f64_e32 v[180:181], v[148:149], v[146:147]
	v_add_f64_e32 v[170:171], v[170:171], v[172:173]
	scratch_load_b128 v[146:149], off, off offset:768
	s_wait_loadcnt_dscnt 0xa01
	v_mul_f64_e32 v[172:173], v[4:5], v[152:153]
	v_mul_f64_e32 v[152:153], v[6:7], v[152:153]
	v_fmac_f64_e32 v[174:175], v[132:133], v[126:127]
	v_fma_f64 v[130:131], v[130:131], v[126:127], -v[128:129]
	scratch_load_b128 v[126:129], off, off offset:784
	v_add_f64_e32 v[132:133], v[180:181], v[178:179]
	v_add_f64_e32 v[170:171], v[170:171], v[176:177]
	s_wait_loadcnt_dscnt 0xa00
	v_mul_f64_e32 v[176:177], v[138:139], v[136:137]
	v_mul_f64_e32 v[136:137], v[140:141], v[136:137]
	v_fmac_f64_e32 v[172:173], v[6:7], v[150:151]
	v_fma_f64 v[150:151], v[4:5], v[150:151], -v[152:153]
	v_add_f64_e32 v[152:153], v[132:133], v[130:131]
	v_add_f64_e32 v[170:171], v[170:171], v[174:175]
	ds_load_b128 v[4:7], v2 offset:1440
	ds_load_b128 v[130:133], v2 offset:1456
	v_fmac_f64_e32 v[176:177], v[140:141], v[134:135]
	v_fma_f64 v[134:135], v[138:139], v[134:135], -v[136:137]
	s_wait_loadcnt_dscnt 0x901
	v_mul_f64_e32 v[174:175], v[4:5], v[168:169]
	v_mul_f64_e32 v[168:169], v[6:7], v[168:169]
	s_wait_loadcnt_dscnt 0x800
	v_mul_f64_e32 v[140:141], v[130:131], v[10:11]
	v_mul_f64_e32 v[10:11], v[132:133], v[10:11]
	v_add_f64_e32 v[136:137], v[152:153], v[150:151]
	v_add_f64_e32 v[138:139], v[170:171], v[172:173]
	v_fmac_f64_e32 v[174:175], v[6:7], v[166:167]
	v_fma_f64 v[150:151], v[4:5], v[166:167], -v[168:169]
	v_fmac_f64_e32 v[140:141], v[132:133], v[8:9]
	v_fma_f64 v[8:9], v[130:131], v[8:9], -v[10:11]
	v_add_f64_e32 v[152:153], v[136:137], v[134:135]
	v_add_f64_e32 v[138:139], v[138:139], v[176:177]
	ds_load_b128 v[4:7], v2 offset:1472
	ds_load_b128 v[134:137], v2 offset:1488
	s_wait_loadcnt_dscnt 0x701
	v_mul_f64_e32 v[166:167], v[4:5], v[156:157]
	v_mul_f64_e32 v[156:157], v[6:7], v[156:157]
	s_wait_loadcnt_dscnt 0x600
	v_mul_f64_e32 v[132:133], v[134:135], v[18:19]
	v_mul_f64_e32 v[18:19], v[136:137], v[18:19]
	v_add_f64_e32 v[10:11], v[152:153], v[150:151]
	v_add_f64_e32 v[130:131], v[138:139], v[174:175]
	v_fmac_f64_e32 v[166:167], v[6:7], v[154:155]
	v_fma_f64 v[138:139], v[4:5], v[154:155], -v[156:157]
	v_fmac_f64_e32 v[132:133], v[136:137], v[16:17]
	v_fma_f64 v[16:17], v[134:135], v[16:17], -v[18:19]
	v_add_f64_e32 v[150:151], v[10:11], v[8:9]
	v_add_f64_e32 v[130:131], v[130:131], v[140:141]
	ds_load_b128 v[4:7], v2 offset:1504
	ds_load_b128 v[8:11], v2 offset:1520
	;; [unrolled: 16-line block ×3, first 2 shown]
	s_wait_loadcnt_dscnt 0x301
	v_mul_f64_e32 v[132:133], v[4:5], v[144:145]
	v_mul_f64_e32 v[144:145], v[6:7], v[144:145]
	v_add_f64_e32 v[10:11], v[18:19], v[138:139]
	v_add_f64_e32 v[12:13], v[130:131], v[140:141]
	s_wait_loadcnt_dscnt 0x200
	v_mul_f64_e32 v[18:19], v[14:15], v[22:23]
	v_mul_f64_e32 v[22:23], v[16:17], v[22:23]
	v_fmac_f64_e32 v[132:133], v[6:7], v[142:143]
	v_fma_f64 v[130:131], v[4:5], v[142:143], -v[144:145]
	v_add_f64_e32 v[136:137], v[10:11], v[8:9]
	v_add_f64_e32 v[12:13], v[12:13], v[134:135]
	ds_load_b128 v[4:7], v2 offset:1568
	ds_load_b128 v[8:11], v2 offset:1584
	v_fmac_f64_e32 v[18:19], v[16:17], v[20:21]
	v_fma_f64 v[14:15], v[14:15], v[20:21], -v[22:23]
	s_wait_loadcnt_dscnt 0x101
	v_mul_f64_e32 v[2:3], v[4:5], v[148:149]
	v_mul_f64_e32 v[134:135], v[6:7], v[148:149]
	s_wait_loadcnt_dscnt 0x0
	v_mul_f64_e32 v[20:21], v[8:9], v[128:129]
	v_mul_f64_e32 v[22:23], v[10:11], v[128:129]
	v_add_f64_e32 v[16:17], v[136:137], v[130:131]
	v_add_f64_e32 v[12:13], v[12:13], v[132:133]
	v_fmac_f64_e32 v[2:3], v[6:7], v[146:147]
	v_fma_f64 v[4:5], v[4:5], v[146:147], -v[134:135]
	v_fmac_f64_e32 v[20:21], v[10:11], v[126:127]
	v_fma_f64 v[8:9], v[8:9], v[126:127], -v[22:23]
	v_add_f64_e32 v[6:7], v[16:17], v[14:15]
	v_add_f64_e32 v[12:13], v[12:13], v[18:19]
	s_delay_alu instid0(VALU_DEP_2) | instskip(NEXT) | instid1(VALU_DEP_2)
	v_add_f64_e32 v[4:5], v[6:7], v[4:5]
	v_add_f64_e32 v[2:3], v[12:13], v[2:3]
	s_delay_alu instid0(VALU_DEP_2) | instskip(NEXT) | instid1(VALU_DEP_2)
	;; [unrolled: 3-line block ×3, first 2 shown]
	v_add_f64_e64 v[2:3], v[158:159], -v[4:5]
	v_add_f64_e64 v[4:5], v[160:161], -v[6:7]
	scratch_store_b128 off, v[2:5], off offset:240
	s_wait_xcnt 0x0
	v_cmpx_lt_u32_e32 14, v1
	s_cbranch_execz .LBB49_285
; %bb.284:
	scratch_load_b128 v[2:5], off, s61
	v_mov_b32_e32 v6, 0
	s_delay_alu instid0(VALU_DEP_1)
	v_dual_mov_b32 v7, v6 :: v_dual_mov_b32 v8, v6
	v_mov_b32_e32 v9, v6
	scratch_store_b128 off, v[6:9], off offset:224
	s_wait_loadcnt 0x0
	ds_store_b128 v124, v[2:5]
.LBB49_285:
	s_wait_xcnt 0x0
	s_or_b32 exec_lo, exec_lo, s2
	s_wait_storecnt_dscnt 0x0
	s_barrier_signal -1
	s_barrier_wait -1
	s_clause 0x9
	scratch_load_b128 v[4:7], off, off offset:240
	scratch_load_b128 v[8:11], off, off offset:256
	;; [unrolled: 1-line block ×10, first 2 shown]
	v_mov_b32_e32 v2, 0
	s_mov_b32 s2, exec_lo
	ds_load_b128 v[146:149], v2 offset:1040
	s_clause 0x2
	scratch_load_b128 v[150:153], off, off offset:400
	scratch_load_b128 v[154:157], off, off offset:224
	;; [unrolled: 1-line block ×3, first 2 shown]
	s_wait_loadcnt_dscnt 0xc00
	v_mul_f64_e32 v[166:167], v[148:149], v[6:7]
	v_mul_f64_e32 v[170:171], v[146:147], v[6:7]
	ds_load_b128 v[158:161], v2 offset:1056
	v_fma_f64 v[174:175], v[146:147], v[4:5], -v[166:167]
	v_fmac_f64_e32 v[170:171], v[148:149], v[4:5]
	ds_load_b128 v[4:7], v2 offset:1072
	s_wait_loadcnt_dscnt 0xb01
	v_mul_f64_e32 v[172:173], v[158:159], v[10:11]
	v_mul_f64_e32 v[10:11], v[160:161], v[10:11]
	scratch_load_b128 v[146:149], off, off offset:432
	ds_load_b128 v[166:169], v2 offset:1088
	s_wait_loadcnt_dscnt 0xb01
	v_mul_f64_e32 v[176:177], v[4:5], v[14:15]
	v_mul_f64_e32 v[14:15], v[6:7], v[14:15]
	v_add_f64_e32 v[170:171], 0, v[170:171]
	v_fmac_f64_e32 v[172:173], v[160:161], v[8:9]
	v_fma_f64 v[158:159], v[158:159], v[8:9], -v[10:11]
	v_add_f64_e32 v[160:161], 0, v[174:175]
	scratch_load_b128 v[8:11], off, off offset:448
	v_fmac_f64_e32 v[176:177], v[6:7], v[12:13]
	v_fma_f64 v[178:179], v[4:5], v[12:13], -v[14:15]
	ds_load_b128 v[4:7], v2 offset:1104
	s_wait_loadcnt_dscnt 0xb01
	v_mul_f64_e32 v[174:175], v[166:167], v[18:19]
	v_mul_f64_e32 v[18:19], v[168:169], v[18:19]
	scratch_load_b128 v[12:15], off, off offset:464
	v_add_f64_e32 v[170:171], v[170:171], v[172:173]
	v_add_f64_e32 v[180:181], v[160:161], v[158:159]
	ds_load_b128 v[158:161], v2 offset:1120
	s_wait_loadcnt_dscnt 0xb01
	v_mul_f64_e32 v[172:173], v[4:5], v[22:23]
	v_mul_f64_e32 v[22:23], v[6:7], v[22:23]
	v_fmac_f64_e32 v[174:175], v[168:169], v[16:17]
	v_fma_f64 v[166:167], v[166:167], v[16:17], -v[18:19]
	scratch_load_b128 v[16:19], off, off offset:480
	v_add_f64_e32 v[170:171], v[170:171], v[176:177]
	v_add_f64_e32 v[168:169], v[180:181], v[178:179]
	v_fmac_f64_e32 v[172:173], v[6:7], v[20:21]
	v_fma_f64 v[178:179], v[4:5], v[20:21], -v[22:23]
	ds_load_b128 v[4:7], v2 offset:1136
	s_wait_loadcnt_dscnt 0xb01
	v_mul_f64_e32 v[176:177], v[158:159], v[128:129]
	v_mul_f64_e32 v[128:129], v[160:161], v[128:129]
	scratch_load_b128 v[20:23], off, off offset:496
	v_add_f64_e32 v[170:171], v[170:171], v[174:175]
	s_wait_loadcnt_dscnt 0xb00
	v_mul_f64_e32 v[174:175], v[4:5], v[132:133]
	v_add_f64_e32 v[180:181], v[168:169], v[166:167]
	v_mul_f64_e32 v[132:133], v[6:7], v[132:133]
	ds_load_b128 v[166:169], v2 offset:1152
	v_fmac_f64_e32 v[176:177], v[160:161], v[126:127]
	v_fma_f64 v[158:159], v[158:159], v[126:127], -v[128:129]
	scratch_load_b128 v[126:129], off, off offset:512
	v_add_f64_e32 v[170:171], v[170:171], v[172:173]
	v_fmac_f64_e32 v[174:175], v[6:7], v[130:131]
	v_add_f64_e32 v[160:161], v[180:181], v[178:179]
	v_fma_f64 v[178:179], v[4:5], v[130:131], -v[132:133]
	ds_load_b128 v[4:7], v2 offset:1168
	s_wait_loadcnt_dscnt 0xb01
	v_mul_f64_e32 v[172:173], v[166:167], v[136:137]
	v_mul_f64_e32 v[136:137], v[168:169], v[136:137]
	scratch_load_b128 v[130:133], off, off offset:528
	v_add_f64_e32 v[170:171], v[170:171], v[176:177]
	s_wait_loadcnt_dscnt 0xb00
	v_mul_f64_e32 v[176:177], v[4:5], v[140:141]
	v_add_f64_e32 v[180:181], v[160:161], v[158:159]
	v_mul_f64_e32 v[140:141], v[6:7], v[140:141]
	ds_load_b128 v[158:161], v2 offset:1184
	v_fmac_f64_e32 v[172:173], v[168:169], v[134:135]
	v_fma_f64 v[166:167], v[166:167], v[134:135], -v[136:137]
	scratch_load_b128 v[134:137], off, off offset:544
	v_add_f64_e32 v[170:171], v[170:171], v[174:175]
	v_fmac_f64_e32 v[176:177], v[6:7], v[138:139]
	v_add_f64_e32 v[168:169], v[180:181], v[178:179]
	;; [unrolled: 18-line block ×3, first 2 shown]
	v_fma_f64 v[178:179], v[4:5], v[150:151], -v[152:153]
	ds_load_b128 v[4:7], v2 offset:1232
	s_wait_loadcnt_dscnt 0xa01
	v_mul_f64_e32 v[176:177], v[166:167], v[164:165]
	v_mul_f64_e32 v[164:165], v[168:169], v[164:165]
	scratch_load_b128 v[150:153], off, off offset:592
	v_add_f64_e32 v[170:171], v[170:171], v[174:175]
	v_add_f64_e32 v[180:181], v[160:161], v[158:159]
	s_wait_loadcnt_dscnt 0xa00
	v_mul_f64_e32 v[174:175], v[4:5], v[148:149]
	v_mul_f64_e32 v[148:149], v[6:7], v[148:149]
	v_fmac_f64_e32 v[176:177], v[168:169], v[162:163]
	v_fma_f64 v[166:167], v[166:167], v[162:163], -v[164:165]
	ds_load_b128 v[158:161], v2 offset:1248
	scratch_load_b128 v[162:165], off, off offset:608
	v_add_f64_e32 v[170:171], v[170:171], v[172:173]
	v_add_f64_e32 v[168:169], v[180:181], v[178:179]
	v_fmac_f64_e32 v[174:175], v[6:7], v[146:147]
	v_fma_f64 v[178:179], v[4:5], v[146:147], -v[148:149]
	ds_load_b128 v[4:7], v2 offset:1264
	s_wait_loadcnt_dscnt 0xa01
	v_mul_f64_e32 v[172:173], v[158:159], v[10:11]
	v_mul_f64_e32 v[10:11], v[160:161], v[10:11]
	scratch_load_b128 v[146:149], off, off offset:624
	v_add_f64_e32 v[170:171], v[170:171], v[176:177]
	s_wait_loadcnt_dscnt 0xa00
	v_mul_f64_e32 v[176:177], v[4:5], v[14:15]
	v_add_f64_e32 v[180:181], v[168:169], v[166:167]
	v_mul_f64_e32 v[14:15], v[6:7], v[14:15]
	ds_load_b128 v[166:169], v2 offset:1280
	v_fmac_f64_e32 v[172:173], v[160:161], v[8:9]
	v_fma_f64 v[158:159], v[158:159], v[8:9], -v[10:11]
	scratch_load_b128 v[8:11], off, off offset:640
	v_add_f64_e32 v[170:171], v[170:171], v[174:175]
	v_fmac_f64_e32 v[176:177], v[6:7], v[12:13]
	v_add_f64_e32 v[160:161], v[180:181], v[178:179]
	v_fma_f64 v[178:179], v[4:5], v[12:13], -v[14:15]
	ds_load_b128 v[4:7], v2 offset:1296
	s_wait_loadcnt_dscnt 0xa01
	v_mul_f64_e32 v[174:175], v[166:167], v[18:19]
	v_mul_f64_e32 v[18:19], v[168:169], v[18:19]
	scratch_load_b128 v[12:15], off, off offset:656
	v_add_f64_e32 v[170:171], v[170:171], v[172:173]
	s_wait_loadcnt_dscnt 0xa00
	v_mul_f64_e32 v[172:173], v[4:5], v[22:23]
	v_add_f64_e32 v[180:181], v[160:161], v[158:159]
	v_mul_f64_e32 v[22:23], v[6:7], v[22:23]
	ds_load_b128 v[158:161], v2 offset:1312
	v_fmac_f64_e32 v[174:175], v[168:169], v[16:17]
	v_fma_f64 v[166:167], v[166:167], v[16:17], -v[18:19]
	scratch_load_b128 v[16:19], off, off offset:672
	v_add_f64_e32 v[170:171], v[170:171], v[176:177]
	v_fmac_f64_e32 v[172:173], v[6:7], v[20:21]
	v_add_f64_e32 v[168:169], v[180:181], v[178:179]
	;; [unrolled: 18-line block ×5, first 2 shown]
	v_fma_f64 v[178:179], v[4:5], v[150:151], -v[152:153]
	ds_load_b128 v[4:7], v2 offset:1424
	s_wait_loadcnt_dscnt 0xa01
	v_mul_f64_e32 v[176:177], v[166:167], v[164:165]
	v_mul_f64_e32 v[164:165], v[168:169], v[164:165]
	scratch_load_b128 v[150:153], off, off offset:784
	v_add_f64_e32 v[170:171], v[170:171], v[174:175]
	s_wait_loadcnt_dscnt 0xa00
	v_mul_f64_e32 v[174:175], v[4:5], v[148:149]
	v_add_f64_e32 v[180:181], v[160:161], v[158:159]
	v_mul_f64_e32 v[148:149], v[6:7], v[148:149]
	ds_load_b128 v[158:161], v2 offset:1440
	v_fmac_f64_e32 v[176:177], v[168:169], v[162:163]
	v_fma_f64 v[162:163], v[166:167], v[162:163], -v[164:165]
	s_wait_loadcnt_dscnt 0x900
	v_mul_f64_e32 v[168:169], v[158:159], v[10:11]
	v_mul_f64_e32 v[10:11], v[160:161], v[10:11]
	v_add_f64_e32 v[166:167], v[170:171], v[172:173]
	v_fmac_f64_e32 v[174:175], v[6:7], v[146:147]
	v_add_f64_e32 v[164:165], v[180:181], v[178:179]
	v_fma_f64 v[170:171], v[4:5], v[146:147], -v[148:149]
	ds_load_b128 v[4:7], v2 offset:1456
	ds_load_b128 v[146:149], v2 offset:1472
	v_fmac_f64_e32 v[168:169], v[160:161], v[8:9]
	v_fma_f64 v[8:9], v[158:159], v[8:9], -v[10:11]
	v_add_f64_e32 v[162:163], v[164:165], v[162:163]
	v_add_f64_e32 v[164:165], v[166:167], v[176:177]
	s_wait_loadcnt_dscnt 0x801
	v_mul_f64_e32 v[166:167], v[4:5], v[14:15]
	v_mul_f64_e32 v[14:15], v[6:7], v[14:15]
	s_wait_loadcnt_dscnt 0x700
	v_mul_f64_e32 v[160:161], v[146:147], v[18:19]
	v_mul_f64_e32 v[18:19], v[148:149], v[18:19]
	v_add_f64_e32 v[10:11], v[162:163], v[170:171]
	v_add_f64_e32 v[158:159], v[164:165], v[174:175]
	v_fmac_f64_e32 v[166:167], v[6:7], v[12:13]
	v_fma_f64 v[12:13], v[4:5], v[12:13], -v[14:15]
	v_fmac_f64_e32 v[160:161], v[148:149], v[16:17]
	v_fma_f64 v[16:17], v[146:147], v[16:17], -v[18:19]
	v_add_f64_e32 v[14:15], v[10:11], v[8:9]
	v_add_f64_e32 v[158:159], v[158:159], v[168:169]
	ds_load_b128 v[4:7], v2 offset:1488
	ds_load_b128 v[8:11], v2 offset:1504
	s_wait_loadcnt_dscnt 0x601
	v_mul_f64_e32 v[162:163], v[4:5], v[22:23]
	v_mul_f64_e32 v[22:23], v[6:7], v[22:23]
	s_wait_loadcnt_dscnt 0x500
	v_mul_f64_e32 v[18:19], v[8:9], v[128:129]
	v_mul_f64_e32 v[128:129], v[10:11], v[128:129]
	v_add_f64_e32 v[12:13], v[14:15], v[12:13]
	v_add_f64_e32 v[14:15], v[158:159], v[166:167]
	v_fmac_f64_e32 v[162:163], v[6:7], v[20:21]
	v_fma_f64 v[20:21], v[4:5], v[20:21], -v[22:23]
	v_fmac_f64_e32 v[18:19], v[10:11], v[126:127]
	v_fma_f64 v[8:9], v[8:9], v[126:127], -v[128:129]
	v_add_f64_e32 v[16:17], v[12:13], v[16:17]
	v_add_f64_e32 v[22:23], v[14:15], v[160:161]
	ds_load_b128 v[4:7], v2 offset:1520
	ds_load_b128 v[12:15], v2 offset:1536
	s_wait_loadcnt_dscnt 0x401
	v_mul_f64_e32 v[146:147], v[4:5], v[132:133]
	v_mul_f64_e32 v[132:133], v[6:7], v[132:133]
	v_add_f64_e32 v[10:11], v[16:17], v[20:21]
	v_add_f64_e32 v[16:17], v[22:23], v[162:163]
	s_wait_loadcnt_dscnt 0x300
	v_mul_f64_e32 v[20:21], v[12:13], v[136:137]
	v_mul_f64_e32 v[22:23], v[14:15], v[136:137]
	v_fmac_f64_e32 v[146:147], v[6:7], v[130:131]
	v_fma_f64 v[126:127], v[4:5], v[130:131], -v[132:133]
	v_add_f64_e32 v[128:129], v[10:11], v[8:9]
	v_add_f64_e32 v[16:17], v[16:17], v[18:19]
	ds_load_b128 v[4:7], v2 offset:1552
	ds_load_b128 v[8:11], v2 offset:1568
	v_fmac_f64_e32 v[20:21], v[14:15], v[134:135]
	v_fma_f64 v[12:13], v[12:13], v[134:135], -v[22:23]
	s_wait_loadcnt_dscnt 0x201
	v_mul_f64_e32 v[18:19], v[4:5], v[140:141]
	v_mul_f64_e32 v[130:131], v[6:7], v[140:141]
	s_wait_loadcnt_dscnt 0x100
	v_mul_f64_e32 v[22:23], v[8:9], v[144:145]
	v_add_f64_e32 v[14:15], v[128:129], v[126:127]
	v_add_f64_e32 v[16:17], v[16:17], v[146:147]
	v_mul_f64_e32 v[126:127], v[10:11], v[144:145]
	v_fmac_f64_e32 v[18:19], v[6:7], v[138:139]
	v_fma_f64 v[128:129], v[4:5], v[138:139], -v[130:131]
	ds_load_b128 v[4:7], v2 offset:1584
	v_fmac_f64_e32 v[22:23], v[10:11], v[142:143]
	v_add_f64_e32 v[12:13], v[14:15], v[12:13]
	v_add_f64_e32 v[14:15], v[16:17], v[20:21]
	v_fma_f64 v[8:9], v[8:9], v[142:143], -v[126:127]
	s_wait_loadcnt_dscnt 0x0
	v_mul_f64_e32 v[16:17], v[4:5], v[152:153]
	v_mul_f64_e32 v[20:21], v[6:7], v[152:153]
	v_add_f64_e32 v[10:11], v[12:13], v[128:129]
	v_add_f64_e32 v[12:13], v[14:15], v[18:19]
	s_delay_alu instid0(VALU_DEP_4) | instskip(NEXT) | instid1(VALU_DEP_4)
	v_fmac_f64_e32 v[16:17], v[6:7], v[150:151]
	v_fma_f64 v[4:5], v[4:5], v[150:151], -v[20:21]
	s_delay_alu instid0(VALU_DEP_4) | instskip(NEXT) | instid1(VALU_DEP_4)
	v_add_f64_e32 v[6:7], v[10:11], v[8:9]
	v_add_f64_e32 v[8:9], v[12:13], v[22:23]
	s_delay_alu instid0(VALU_DEP_2) | instskip(NEXT) | instid1(VALU_DEP_2)
	v_add_f64_e32 v[4:5], v[6:7], v[4:5]
	v_add_f64_e32 v[6:7], v[8:9], v[16:17]
	s_delay_alu instid0(VALU_DEP_2) | instskip(NEXT) | instid1(VALU_DEP_2)
	v_add_f64_e64 v[4:5], v[154:155], -v[4:5]
	v_add_f64_e64 v[6:7], v[156:157], -v[6:7]
	scratch_store_b128 off, v[4:7], off offset:224
	s_wait_xcnt 0x0
	v_cmpx_lt_u32_e32 13, v1
	s_cbranch_execz .LBB49_287
; %bb.286:
	scratch_load_b128 v[6:9], off, s60
	v_dual_mov_b32 v3, v2 :: v_dual_mov_b32 v4, v2
	v_mov_b32_e32 v5, v2
	scratch_store_b128 off, v[2:5], off offset:208
	s_wait_loadcnt 0x0
	ds_store_b128 v124, v[6:9]
.LBB49_287:
	s_wait_xcnt 0x0
	s_or_b32 exec_lo, exec_lo, s2
	s_wait_storecnt_dscnt 0x0
	s_barrier_signal -1
	s_barrier_wait -1
	s_clause 0x9
	scratch_load_b128 v[4:7], off, off offset:224
	scratch_load_b128 v[8:11], off, off offset:240
	;; [unrolled: 1-line block ×10, first 2 shown]
	ds_load_b128 v[146:149], v2 offset:1024
	ds_load_b128 v[154:157], v2 offset:1040
	s_clause 0x2
	scratch_load_b128 v[150:153], off, off offset:384
	scratch_load_b128 v[158:161], off, off offset:208
	;; [unrolled: 1-line block ×3, first 2 shown]
	s_mov_b32 s2, exec_lo
	s_wait_loadcnt_dscnt 0xc01
	v_mul_f64_e32 v[166:167], v[148:149], v[6:7]
	v_mul_f64_e32 v[170:171], v[146:147], v[6:7]
	s_wait_loadcnt_dscnt 0xb00
	v_mul_f64_e32 v[172:173], v[154:155], v[10:11]
	v_mul_f64_e32 v[10:11], v[156:157], v[10:11]
	s_delay_alu instid0(VALU_DEP_4) | instskip(NEXT) | instid1(VALU_DEP_4)
	v_fma_f64 v[174:175], v[146:147], v[4:5], -v[166:167]
	v_fmac_f64_e32 v[170:171], v[148:149], v[4:5]
	ds_load_b128 v[4:7], v2 offset:1056
	ds_load_b128 v[146:149], v2 offset:1072
	scratch_load_b128 v[166:169], off, off offset:416
	v_fmac_f64_e32 v[172:173], v[156:157], v[8:9]
	v_fma_f64 v[154:155], v[154:155], v[8:9], -v[10:11]
	scratch_load_b128 v[8:11], off, off offset:432
	s_wait_loadcnt_dscnt 0xc01
	v_mul_f64_e32 v[176:177], v[4:5], v[14:15]
	v_mul_f64_e32 v[14:15], v[6:7], v[14:15]
	v_add_f64_e32 v[156:157], 0, v[174:175]
	v_add_f64_e32 v[170:171], 0, v[170:171]
	s_wait_loadcnt_dscnt 0xb00
	v_mul_f64_e32 v[174:175], v[146:147], v[18:19]
	v_mul_f64_e32 v[18:19], v[148:149], v[18:19]
	v_fmac_f64_e32 v[176:177], v[6:7], v[12:13]
	v_fma_f64 v[178:179], v[4:5], v[12:13], -v[14:15]
	ds_load_b128 v[4:7], v2 offset:1088
	ds_load_b128 v[12:15], v2 offset:1104
	v_add_f64_e32 v[180:181], v[156:157], v[154:155]
	v_add_f64_e32 v[170:171], v[170:171], v[172:173]
	scratch_load_b128 v[154:157], off, off offset:448
	v_fmac_f64_e32 v[174:175], v[148:149], v[16:17]
	v_fma_f64 v[146:147], v[146:147], v[16:17], -v[18:19]
	scratch_load_b128 v[16:19], off, off offset:464
	s_wait_loadcnt_dscnt 0xc01
	v_mul_f64_e32 v[172:173], v[4:5], v[22:23]
	v_mul_f64_e32 v[22:23], v[6:7], v[22:23]
	v_add_f64_e32 v[148:149], v[180:181], v[178:179]
	v_add_f64_e32 v[170:171], v[170:171], v[176:177]
	s_wait_loadcnt_dscnt 0xb00
	v_mul_f64_e32 v[176:177], v[12:13], v[128:129]
	v_mul_f64_e32 v[128:129], v[14:15], v[128:129]
	v_fmac_f64_e32 v[172:173], v[6:7], v[20:21]
	v_fma_f64 v[178:179], v[4:5], v[20:21], -v[22:23]
	ds_load_b128 v[4:7], v2 offset:1120
	ds_load_b128 v[20:23], v2 offset:1136
	v_add_f64_e32 v[180:181], v[148:149], v[146:147]
	v_add_f64_e32 v[170:171], v[170:171], v[174:175]
	scratch_load_b128 v[146:149], off, off offset:480
	s_wait_loadcnt_dscnt 0xb01
	v_mul_f64_e32 v[174:175], v[4:5], v[132:133]
	v_mul_f64_e32 v[132:133], v[6:7], v[132:133]
	v_fmac_f64_e32 v[176:177], v[14:15], v[126:127]
	v_fma_f64 v[126:127], v[12:13], v[126:127], -v[128:129]
	scratch_load_b128 v[12:15], off, off offset:496
	v_add_f64_e32 v[128:129], v[180:181], v[178:179]
	v_add_f64_e32 v[170:171], v[170:171], v[172:173]
	s_wait_loadcnt_dscnt 0xb00
	v_mul_f64_e32 v[172:173], v[20:21], v[136:137]
	v_mul_f64_e32 v[136:137], v[22:23], v[136:137]
	v_fmac_f64_e32 v[174:175], v[6:7], v[130:131]
	v_fma_f64 v[178:179], v[4:5], v[130:131], -v[132:133]
	v_add_f64_e32 v[180:181], v[128:129], v[126:127]
	v_add_f64_e32 v[170:171], v[170:171], v[176:177]
	ds_load_b128 v[4:7], v2 offset:1152
	ds_load_b128 v[126:129], v2 offset:1168
	scratch_load_b128 v[130:133], off, off offset:512
	v_fmac_f64_e32 v[172:173], v[22:23], v[134:135]
	v_fma_f64 v[134:135], v[20:21], v[134:135], -v[136:137]
	scratch_load_b128 v[20:23], off, off offset:528
	s_wait_loadcnt_dscnt 0xc01
	v_mul_f64_e32 v[176:177], v[4:5], v[140:141]
	v_mul_f64_e32 v[140:141], v[6:7], v[140:141]
	v_add_f64_e32 v[136:137], v[180:181], v[178:179]
	v_add_f64_e32 v[170:171], v[170:171], v[174:175]
	s_wait_loadcnt_dscnt 0xb00
	v_mul_f64_e32 v[174:175], v[126:127], v[144:145]
	v_mul_f64_e32 v[144:145], v[128:129], v[144:145]
	v_fmac_f64_e32 v[176:177], v[6:7], v[138:139]
	v_fma_f64 v[178:179], v[4:5], v[138:139], -v[140:141]
	v_add_f64_e32 v[180:181], v[136:137], v[134:135]
	v_add_f64_e32 v[170:171], v[170:171], v[172:173]
	ds_load_b128 v[4:7], v2 offset:1184
	ds_load_b128 v[134:137], v2 offset:1200
	scratch_load_b128 v[138:141], off, off offset:544
	v_fmac_f64_e32 v[174:175], v[128:129], v[142:143]
	v_fma_f64 v[142:143], v[126:127], v[142:143], -v[144:145]
	scratch_load_b128 v[126:129], off, off offset:560
	s_wait_loadcnt_dscnt 0xc01
	v_mul_f64_e32 v[172:173], v[4:5], v[152:153]
	v_mul_f64_e32 v[152:153], v[6:7], v[152:153]
	;; [unrolled: 18-line block ×5, first 2 shown]
	v_add_f64_e32 v[164:165], v[180:181], v[178:179]
	v_add_f64_e32 v[170:171], v[170:171], v[176:177]
	s_wait_loadcnt_dscnt 0xa00
	v_mul_f64_e32 v[176:177], v[142:143], v[14:15]
	v_mul_f64_e32 v[14:15], v[144:145], v[14:15]
	v_fmac_f64_e32 v[172:173], v[6:7], v[146:147]
	v_fma_f64 v[178:179], v[4:5], v[146:147], -v[148:149]
	ds_load_b128 v[4:7], v2 offset:1312
	ds_load_b128 v[146:149], v2 offset:1328
	v_add_f64_e32 v[180:181], v[164:165], v[162:163]
	v_add_f64_e32 v[170:171], v[170:171], v[174:175]
	scratch_load_b128 v[162:165], off, off offset:672
	v_fmac_f64_e32 v[176:177], v[144:145], v[12:13]
	v_fma_f64 v[142:143], v[142:143], v[12:13], -v[14:15]
	scratch_load_b128 v[12:15], off, off offset:688
	s_wait_loadcnt_dscnt 0xb01
	v_mul_f64_e32 v[174:175], v[4:5], v[132:133]
	v_mul_f64_e32 v[132:133], v[6:7], v[132:133]
	v_add_f64_e32 v[144:145], v[180:181], v[178:179]
	v_add_f64_e32 v[170:171], v[170:171], v[172:173]
	s_wait_loadcnt_dscnt 0xa00
	v_mul_f64_e32 v[172:173], v[146:147], v[22:23]
	v_mul_f64_e32 v[22:23], v[148:149], v[22:23]
	v_fmac_f64_e32 v[174:175], v[6:7], v[130:131]
	v_fma_f64 v[178:179], v[4:5], v[130:131], -v[132:133]
	ds_load_b128 v[4:7], v2 offset:1344
	ds_load_b128 v[130:133], v2 offset:1360
	v_add_f64_e32 v[180:181], v[144:145], v[142:143]
	v_add_f64_e32 v[170:171], v[170:171], v[176:177]
	scratch_load_b128 v[142:145], off, off offset:704
	s_wait_loadcnt_dscnt 0xa01
	v_mul_f64_e32 v[176:177], v[4:5], v[140:141]
	v_mul_f64_e32 v[140:141], v[6:7], v[140:141]
	v_fmac_f64_e32 v[172:173], v[148:149], v[20:21]
	v_fma_f64 v[146:147], v[146:147], v[20:21], -v[22:23]
	scratch_load_b128 v[20:23], off, off offset:720
	v_add_f64_e32 v[148:149], v[180:181], v[178:179]
	v_add_f64_e32 v[170:171], v[170:171], v[174:175]
	s_wait_loadcnt_dscnt 0xa00
	v_mul_f64_e32 v[174:175], v[130:131], v[128:129]
	v_mul_f64_e32 v[128:129], v[132:133], v[128:129]
	v_fmac_f64_e32 v[176:177], v[6:7], v[138:139]
	v_fma_f64 v[178:179], v[4:5], v[138:139], -v[140:141]
	ds_load_b128 v[4:7], v2 offset:1376
	ds_load_b128 v[138:141], v2 offset:1392
	v_add_f64_e32 v[180:181], v[148:149], v[146:147]
	v_add_f64_e32 v[170:171], v[170:171], v[172:173]
	scratch_load_b128 v[146:149], off, off offset:736
	s_wait_loadcnt_dscnt 0xa01
	v_mul_f64_e32 v[172:173], v[4:5], v[152:153]
	v_mul_f64_e32 v[152:153], v[6:7], v[152:153]
	v_fmac_f64_e32 v[174:175], v[132:133], v[126:127]
	v_fma_f64 v[130:131], v[130:131], v[126:127], -v[128:129]
	scratch_load_b128 v[126:129], off, off offset:752
	v_add_f64_e32 v[132:133], v[180:181], v[178:179]
	v_add_f64_e32 v[170:171], v[170:171], v[176:177]
	s_wait_loadcnt_dscnt 0xa00
	v_mul_f64_e32 v[176:177], v[138:139], v[136:137]
	v_mul_f64_e32 v[136:137], v[140:141], v[136:137]
	v_fmac_f64_e32 v[172:173], v[6:7], v[150:151]
	v_fma_f64 v[178:179], v[4:5], v[150:151], -v[152:153]
	v_add_f64_e32 v[180:181], v[132:133], v[130:131]
	v_add_f64_e32 v[170:171], v[170:171], v[174:175]
	ds_load_b128 v[4:7], v2 offset:1408
	ds_load_b128 v[130:133], v2 offset:1424
	scratch_load_b128 v[150:153], off, off offset:768
	v_fmac_f64_e32 v[176:177], v[140:141], v[134:135]
	v_fma_f64 v[138:139], v[138:139], v[134:135], -v[136:137]
	scratch_load_b128 v[134:137], off, off offset:784
	s_wait_loadcnt_dscnt 0xb01
	v_mul_f64_e32 v[174:175], v[4:5], v[168:169]
	v_mul_f64_e32 v[168:169], v[6:7], v[168:169]
	v_add_f64_e32 v[140:141], v[180:181], v[178:179]
	v_add_f64_e32 v[170:171], v[170:171], v[172:173]
	s_wait_loadcnt_dscnt 0xa00
	v_mul_f64_e32 v[172:173], v[130:131], v[10:11]
	v_mul_f64_e32 v[10:11], v[132:133], v[10:11]
	v_fmac_f64_e32 v[174:175], v[6:7], v[166:167]
	v_fma_f64 v[166:167], v[4:5], v[166:167], -v[168:169]
	v_add_f64_e32 v[168:169], v[140:141], v[138:139]
	v_add_f64_e32 v[170:171], v[170:171], v[176:177]
	ds_load_b128 v[4:7], v2 offset:1440
	ds_load_b128 v[138:141], v2 offset:1456
	v_fmac_f64_e32 v[172:173], v[132:133], v[8:9]
	v_fma_f64 v[8:9], v[130:131], v[8:9], -v[10:11]
	s_wait_loadcnt_dscnt 0x901
	v_mul_f64_e32 v[176:177], v[4:5], v[156:157]
	v_mul_f64_e32 v[156:157], v[6:7], v[156:157]
	s_wait_loadcnt_dscnt 0x800
	v_mul_f64_e32 v[132:133], v[138:139], v[18:19]
	v_mul_f64_e32 v[18:19], v[140:141], v[18:19]
	v_add_f64_e32 v[10:11], v[168:169], v[166:167]
	v_add_f64_e32 v[130:131], v[170:171], v[174:175]
	v_fmac_f64_e32 v[176:177], v[6:7], v[154:155]
	v_fma_f64 v[154:155], v[4:5], v[154:155], -v[156:157]
	v_fmac_f64_e32 v[132:133], v[140:141], v[16:17]
	v_fma_f64 v[16:17], v[138:139], v[16:17], -v[18:19]
	v_add_f64_e32 v[156:157], v[10:11], v[8:9]
	v_add_f64_e32 v[130:131], v[130:131], v[172:173]
	ds_load_b128 v[4:7], v2 offset:1472
	ds_load_b128 v[8:11], v2 offset:1488
	s_wait_loadcnt_dscnt 0x701
	v_mul_f64_e32 v[166:167], v[4:5], v[164:165]
	v_mul_f64_e32 v[164:165], v[6:7], v[164:165]
	s_wait_loadcnt_dscnt 0x600
	v_mul_f64_e32 v[138:139], v[8:9], v[14:15]
	v_mul_f64_e32 v[140:141], v[10:11], v[14:15]
	v_add_f64_e32 v[18:19], v[156:157], v[154:155]
	v_add_f64_e32 v[130:131], v[130:131], v[176:177]
	v_fmac_f64_e32 v[166:167], v[6:7], v[162:163]
	v_fma_f64 v[154:155], v[4:5], v[162:163], -v[164:165]
	v_fmac_f64_e32 v[138:139], v[10:11], v[12:13]
	v_fma_f64 v[8:9], v[8:9], v[12:13], -v[140:141]
	v_add_f64_e32 v[18:19], v[18:19], v[16:17]
	v_add_f64_e32 v[130:131], v[130:131], v[132:133]
	ds_load_b128 v[4:7], v2 offset:1504
	ds_load_b128 v[14:17], v2 offset:1520
	s_wait_loadcnt_dscnt 0x501
	v_mul_f64_e32 v[132:133], v[4:5], v[144:145]
	v_mul_f64_e32 v[144:145], v[6:7], v[144:145]
	v_add_f64_e32 v[10:11], v[18:19], v[154:155]
	v_add_f64_e32 v[12:13], v[130:131], v[166:167]
	s_wait_loadcnt_dscnt 0x400
	v_mul_f64_e32 v[18:19], v[14:15], v[22:23]
	v_mul_f64_e32 v[22:23], v[16:17], v[22:23]
	v_fmac_f64_e32 v[132:133], v[6:7], v[142:143]
	v_fma_f64 v[130:131], v[4:5], v[142:143], -v[144:145]
	v_add_f64_e32 v[140:141], v[10:11], v[8:9]
	v_add_f64_e32 v[12:13], v[12:13], v[138:139]
	ds_load_b128 v[4:7], v2 offset:1536
	ds_load_b128 v[8:11], v2 offset:1552
	v_fmac_f64_e32 v[18:19], v[16:17], v[20:21]
	v_fma_f64 v[14:15], v[14:15], v[20:21], -v[22:23]
	s_wait_loadcnt_dscnt 0x301
	v_mul_f64_e32 v[138:139], v[4:5], v[148:149]
	v_mul_f64_e32 v[142:143], v[6:7], v[148:149]
	s_wait_loadcnt_dscnt 0x200
	v_mul_f64_e32 v[20:21], v[8:9], v[128:129]
	v_mul_f64_e32 v[22:23], v[10:11], v[128:129]
	v_add_f64_e32 v[16:17], v[140:141], v[130:131]
	v_add_f64_e32 v[12:13], v[12:13], v[132:133]
	v_fmac_f64_e32 v[138:139], v[6:7], v[146:147]
	v_fma_f64 v[128:129], v[4:5], v[146:147], -v[142:143]
	v_fmac_f64_e32 v[20:21], v[10:11], v[126:127]
	v_fma_f64 v[8:9], v[8:9], v[126:127], -v[22:23]
	v_add_f64_e32 v[16:17], v[16:17], v[14:15]
	v_add_f64_e32 v[18:19], v[12:13], v[18:19]
	ds_load_b128 v[4:7], v2 offset:1568
	ds_load_b128 v[12:15], v2 offset:1584
	s_wait_loadcnt_dscnt 0x101
	v_mul_f64_e32 v[2:3], v[4:5], v[152:153]
	v_mul_f64_e32 v[130:131], v[6:7], v[152:153]
	s_wait_loadcnt_dscnt 0x0
	v_mul_f64_e32 v[22:23], v[14:15], v[136:137]
	v_add_f64_e32 v[10:11], v[16:17], v[128:129]
	v_add_f64_e32 v[16:17], v[18:19], v[138:139]
	v_mul_f64_e32 v[18:19], v[12:13], v[136:137]
	v_fmac_f64_e32 v[2:3], v[6:7], v[150:151]
	v_fma_f64 v[4:5], v[4:5], v[150:151], -v[130:131]
	v_add_f64_e32 v[6:7], v[10:11], v[8:9]
	v_add_f64_e32 v[8:9], v[16:17], v[20:21]
	v_fmac_f64_e32 v[18:19], v[14:15], v[134:135]
	v_fma_f64 v[10:11], v[12:13], v[134:135], -v[22:23]
	s_delay_alu instid0(VALU_DEP_4) | instskip(NEXT) | instid1(VALU_DEP_4)
	v_add_f64_e32 v[4:5], v[6:7], v[4:5]
	v_add_f64_e32 v[2:3], v[8:9], v[2:3]
	s_delay_alu instid0(VALU_DEP_2) | instskip(NEXT) | instid1(VALU_DEP_2)
	v_add_f64_e32 v[4:5], v[4:5], v[10:11]
	v_add_f64_e32 v[6:7], v[2:3], v[18:19]
	s_delay_alu instid0(VALU_DEP_2) | instskip(NEXT) | instid1(VALU_DEP_2)
	v_add_f64_e64 v[2:3], v[158:159], -v[4:5]
	v_add_f64_e64 v[4:5], v[160:161], -v[6:7]
	scratch_store_b128 off, v[2:5], off offset:208
	s_wait_xcnt 0x0
	v_cmpx_lt_u32_e32 12, v1
	s_cbranch_execz .LBB49_289
; %bb.288:
	scratch_load_b128 v[2:5], off, s59
	v_mov_b32_e32 v6, 0
	s_delay_alu instid0(VALU_DEP_1)
	v_dual_mov_b32 v7, v6 :: v_dual_mov_b32 v8, v6
	v_mov_b32_e32 v9, v6
	scratch_store_b128 off, v[6:9], off offset:192
	s_wait_loadcnt 0x0
	ds_store_b128 v124, v[2:5]
.LBB49_289:
	s_wait_xcnt 0x0
	s_or_b32 exec_lo, exec_lo, s2
	s_wait_storecnt_dscnt 0x0
	s_barrier_signal -1
	s_barrier_wait -1
	s_clause 0x9
	scratch_load_b128 v[4:7], off, off offset:208
	scratch_load_b128 v[8:11], off, off offset:224
	;; [unrolled: 1-line block ×10, first 2 shown]
	v_mov_b32_e32 v2, 0
	s_mov_b32 s2, exec_lo
	ds_load_b128 v[146:149], v2 offset:1008
	s_clause 0x2
	scratch_load_b128 v[150:153], off, off offset:368
	scratch_load_b128 v[154:157], off, off offset:192
	;; [unrolled: 1-line block ×3, first 2 shown]
	s_wait_loadcnt_dscnt 0xc00
	v_mul_f64_e32 v[166:167], v[148:149], v[6:7]
	v_mul_f64_e32 v[170:171], v[146:147], v[6:7]
	ds_load_b128 v[158:161], v2 offset:1024
	v_fma_f64 v[174:175], v[146:147], v[4:5], -v[166:167]
	v_fmac_f64_e32 v[170:171], v[148:149], v[4:5]
	ds_load_b128 v[4:7], v2 offset:1040
	s_wait_loadcnt_dscnt 0xb01
	v_mul_f64_e32 v[172:173], v[158:159], v[10:11]
	v_mul_f64_e32 v[10:11], v[160:161], v[10:11]
	scratch_load_b128 v[146:149], off, off offset:400
	ds_load_b128 v[166:169], v2 offset:1056
	s_wait_loadcnt_dscnt 0xb01
	v_mul_f64_e32 v[176:177], v[4:5], v[14:15]
	v_mul_f64_e32 v[14:15], v[6:7], v[14:15]
	v_add_f64_e32 v[170:171], 0, v[170:171]
	v_fmac_f64_e32 v[172:173], v[160:161], v[8:9]
	v_fma_f64 v[158:159], v[158:159], v[8:9], -v[10:11]
	v_add_f64_e32 v[160:161], 0, v[174:175]
	scratch_load_b128 v[8:11], off, off offset:416
	v_fmac_f64_e32 v[176:177], v[6:7], v[12:13]
	v_fma_f64 v[178:179], v[4:5], v[12:13], -v[14:15]
	ds_load_b128 v[4:7], v2 offset:1072
	s_wait_loadcnt_dscnt 0xb01
	v_mul_f64_e32 v[174:175], v[166:167], v[18:19]
	v_mul_f64_e32 v[18:19], v[168:169], v[18:19]
	scratch_load_b128 v[12:15], off, off offset:432
	v_add_f64_e32 v[170:171], v[170:171], v[172:173]
	v_add_f64_e32 v[180:181], v[160:161], v[158:159]
	ds_load_b128 v[158:161], v2 offset:1088
	s_wait_loadcnt_dscnt 0xb01
	v_mul_f64_e32 v[172:173], v[4:5], v[22:23]
	v_mul_f64_e32 v[22:23], v[6:7], v[22:23]
	v_fmac_f64_e32 v[174:175], v[168:169], v[16:17]
	v_fma_f64 v[166:167], v[166:167], v[16:17], -v[18:19]
	scratch_load_b128 v[16:19], off, off offset:448
	v_add_f64_e32 v[170:171], v[170:171], v[176:177]
	v_add_f64_e32 v[168:169], v[180:181], v[178:179]
	v_fmac_f64_e32 v[172:173], v[6:7], v[20:21]
	v_fma_f64 v[178:179], v[4:5], v[20:21], -v[22:23]
	ds_load_b128 v[4:7], v2 offset:1104
	s_wait_loadcnt_dscnt 0xb01
	v_mul_f64_e32 v[176:177], v[158:159], v[128:129]
	v_mul_f64_e32 v[128:129], v[160:161], v[128:129]
	scratch_load_b128 v[20:23], off, off offset:464
	v_add_f64_e32 v[170:171], v[170:171], v[174:175]
	s_wait_loadcnt_dscnt 0xb00
	v_mul_f64_e32 v[174:175], v[4:5], v[132:133]
	v_add_f64_e32 v[180:181], v[168:169], v[166:167]
	v_mul_f64_e32 v[132:133], v[6:7], v[132:133]
	ds_load_b128 v[166:169], v2 offset:1120
	v_fmac_f64_e32 v[176:177], v[160:161], v[126:127]
	v_fma_f64 v[158:159], v[158:159], v[126:127], -v[128:129]
	scratch_load_b128 v[126:129], off, off offset:480
	v_add_f64_e32 v[170:171], v[170:171], v[172:173]
	v_fmac_f64_e32 v[174:175], v[6:7], v[130:131]
	v_add_f64_e32 v[160:161], v[180:181], v[178:179]
	v_fma_f64 v[178:179], v[4:5], v[130:131], -v[132:133]
	ds_load_b128 v[4:7], v2 offset:1136
	s_wait_loadcnt_dscnt 0xb01
	v_mul_f64_e32 v[172:173], v[166:167], v[136:137]
	v_mul_f64_e32 v[136:137], v[168:169], v[136:137]
	scratch_load_b128 v[130:133], off, off offset:496
	v_add_f64_e32 v[170:171], v[170:171], v[176:177]
	s_wait_loadcnt_dscnt 0xb00
	v_mul_f64_e32 v[176:177], v[4:5], v[140:141]
	v_add_f64_e32 v[180:181], v[160:161], v[158:159]
	v_mul_f64_e32 v[140:141], v[6:7], v[140:141]
	ds_load_b128 v[158:161], v2 offset:1152
	v_fmac_f64_e32 v[172:173], v[168:169], v[134:135]
	v_fma_f64 v[166:167], v[166:167], v[134:135], -v[136:137]
	scratch_load_b128 v[134:137], off, off offset:512
	v_add_f64_e32 v[170:171], v[170:171], v[174:175]
	v_fmac_f64_e32 v[176:177], v[6:7], v[138:139]
	v_add_f64_e32 v[168:169], v[180:181], v[178:179]
	;; [unrolled: 18-line block ×3, first 2 shown]
	v_fma_f64 v[178:179], v[4:5], v[150:151], -v[152:153]
	ds_load_b128 v[4:7], v2 offset:1200
	s_wait_loadcnt_dscnt 0xa01
	v_mul_f64_e32 v[176:177], v[166:167], v[164:165]
	v_mul_f64_e32 v[164:165], v[168:169], v[164:165]
	scratch_load_b128 v[150:153], off, off offset:560
	v_add_f64_e32 v[170:171], v[170:171], v[174:175]
	v_add_f64_e32 v[180:181], v[160:161], v[158:159]
	s_wait_loadcnt_dscnt 0xa00
	v_mul_f64_e32 v[174:175], v[4:5], v[148:149]
	v_mul_f64_e32 v[148:149], v[6:7], v[148:149]
	v_fmac_f64_e32 v[176:177], v[168:169], v[162:163]
	v_fma_f64 v[166:167], v[166:167], v[162:163], -v[164:165]
	ds_load_b128 v[158:161], v2 offset:1216
	scratch_load_b128 v[162:165], off, off offset:576
	v_add_f64_e32 v[170:171], v[170:171], v[172:173]
	v_add_f64_e32 v[168:169], v[180:181], v[178:179]
	v_fmac_f64_e32 v[174:175], v[6:7], v[146:147]
	v_fma_f64 v[178:179], v[4:5], v[146:147], -v[148:149]
	ds_load_b128 v[4:7], v2 offset:1232
	s_wait_loadcnt_dscnt 0xa01
	v_mul_f64_e32 v[172:173], v[158:159], v[10:11]
	v_mul_f64_e32 v[10:11], v[160:161], v[10:11]
	scratch_load_b128 v[146:149], off, off offset:592
	v_add_f64_e32 v[170:171], v[170:171], v[176:177]
	s_wait_loadcnt_dscnt 0xa00
	v_mul_f64_e32 v[176:177], v[4:5], v[14:15]
	v_add_f64_e32 v[180:181], v[168:169], v[166:167]
	v_mul_f64_e32 v[14:15], v[6:7], v[14:15]
	ds_load_b128 v[166:169], v2 offset:1248
	v_fmac_f64_e32 v[172:173], v[160:161], v[8:9]
	v_fma_f64 v[158:159], v[158:159], v[8:9], -v[10:11]
	scratch_load_b128 v[8:11], off, off offset:608
	v_add_f64_e32 v[170:171], v[170:171], v[174:175]
	v_fmac_f64_e32 v[176:177], v[6:7], v[12:13]
	v_add_f64_e32 v[160:161], v[180:181], v[178:179]
	v_fma_f64 v[178:179], v[4:5], v[12:13], -v[14:15]
	ds_load_b128 v[4:7], v2 offset:1264
	s_wait_loadcnt_dscnt 0xa01
	v_mul_f64_e32 v[174:175], v[166:167], v[18:19]
	v_mul_f64_e32 v[18:19], v[168:169], v[18:19]
	scratch_load_b128 v[12:15], off, off offset:624
	v_add_f64_e32 v[170:171], v[170:171], v[172:173]
	s_wait_loadcnt_dscnt 0xa00
	v_mul_f64_e32 v[172:173], v[4:5], v[22:23]
	v_add_f64_e32 v[180:181], v[160:161], v[158:159]
	v_mul_f64_e32 v[22:23], v[6:7], v[22:23]
	ds_load_b128 v[158:161], v2 offset:1280
	v_fmac_f64_e32 v[174:175], v[168:169], v[16:17]
	v_fma_f64 v[166:167], v[166:167], v[16:17], -v[18:19]
	scratch_load_b128 v[16:19], off, off offset:640
	v_add_f64_e32 v[170:171], v[170:171], v[176:177]
	v_fmac_f64_e32 v[172:173], v[6:7], v[20:21]
	v_add_f64_e32 v[168:169], v[180:181], v[178:179]
	;; [unrolled: 18-line block ×6, first 2 shown]
	v_fma_f64 v[178:179], v[4:5], v[146:147], -v[148:149]
	ds_load_b128 v[4:7], v2 offset:1424
	s_wait_loadcnt_dscnt 0xa01
	v_mul_f64_e32 v[172:173], v[158:159], v[10:11]
	v_mul_f64_e32 v[10:11], v[160:161], v[10:11]
	scratch_load_b128 v[146:149], off, off offset:784
	v_add_f64_e32 v[170:171], v[170:171], v[176:177]
	s_wait_loadcnt_dscnt 0xa00
	v_mul_f64_e32 v[176:177], v[4:5], v[14:15]
	v_add_f64_e32 v[180:181], v[168:169], v[166:167]
	v_mul_f64_e32 v[14:15], v[6:7], v[14:15]
	ds_load_b128 v[166:169], v2 offset:1440
	v_fmac_f64_e32 v[172:173], v[160:161], v[8:9]
	v_fma_f64 v[8:9], v[158:159], v[8:9], -v[10:11]
	s_wait_loadcnt_dscnt 0x900
	v_mul_f64_e32 v[160:161], v[166:167], v[18:19]
	v_mul_f64_e32 v[18:19], v[168:169], v[18:19]
	v_add_f64_e32 v[158:159], v[170:171], v[174:175]
	v_fmac_f64_e32 v[176:177], v[6:7], v[12:13]
	v_add_f64_e32 v[10:11], v[180:181], v[178:179]
	v_fma_f64 v[12:13], v[4:5], v[12:13], -v[14:15]
	v_fmac_f64_e32 v[160:161], v[168:169], v[16:17]
	v_fma_f64 v[16:17], v[166:167], v[16:17], -v[18:19]
	v_add_f64_e32 v[158:159], v[158:159], v[172:173]
	v_add_f64_e32 v[14:15], v[10:11], v[8:9]
	ds_load_b128 v[4:7], v2 offset:1456
	ds_load_b128 v[8:11], v2 offset:1472
	s_wait_loadcnt_dscnt 0x801
	v_mul_f64_e32 v[170:171], v[4:5], v[22:23]
	v_mul_f64_e32 v[22:23], v[6:7], v[22:23]
	s_wait_loadcnt_dscnt 0x700
	v_mul_f64_e32 v[18:19], v[8:9], v[128:129]
	v_mul_f64_e32 v[128:129], v[10:11], v[128:129]
	v_add_f64_e32 v[12:13], v[14:15], v[12:13]
	v_add_f64_e32 v[14:15], v[158:159], v[176:177]
	v_fmac_f64_e32 v[170:171], v[6:7], v[20:21]
	v_fma_f64 v[20:21], v[4:5], v[20:21], -v[22:23]
	v_fmac_f64_e32 v[18:19], v[10:11], v[126:127]
	v_fma_f64 v[8:9], v[8:9], v[126:127], -v[128:129]
	v_add_f64_e32 v[16:17], v[12:13], v[16:17]
	v_add_f64_e32 v[22:23], v[14:15], v[160:161]
	ds_load_b128 v[4:7], v2 offset:1488
	ds_load_b128 v[12:15], v2 offset:1504
	s_wait_loadcnt_dscnt 0x601
	v_mul_f64_e32 v[158:159], v[4:5], v[132:133]
	v_mul_f64_e32 v[132:133], v[6:7], v[132:133]
	v_add_f64_e32 v[10:11], v[16:17], v[20:21]
	v_add_f64_e32 v[16:17], v[22:23], v[170:171]
	s_wait_loadcnt_dscnt 0x500
	v_mul_f64_e32 v[20:21], v[12:13], v[136:137]
	v_mul_f64_e32 v[22:23], v[14:15], v[136:137]
	v_fmac_f64_e32 v[158:159], v[6:7], v[130:131]
	v_fma_f64 v[126:127], v[4:5], v[130:131], -v[132:133]
	v_add_f64_e32 v[128:129], v[10:11], v[8:9]
	v_add_f64_e32 v[16:17], v[16:17], v[18:19]
	ds_load_b128 v[4:7], v2 offset:1520
	ds_load_b128 v[8:11], v2 offset:1536
	v_fmac_f64_e32 v[20:21], v[14:15], v[134:135]
	v_fma_f64 v[12:13], v[12:13], v[134:135], -v[22:23]
	s_wait_loadcnt_dscnt 0x401
	v_mul_f64_e32 v[18:19], v[4:5], v[140:141]
	v_mul_f64_e32 v[130:131], v[6:7], v[140:141]
	s_wait_loadcnt_dscnt 0x300
	v_mul_f64_e32 v[22:23], v[8:9], v[144:145]
	v_add_f64_e32 v[14:15], v[128:129], v[126:127]
	v_add_f64_e32 v[16:17], v[16:17], v[158:159]
	v_mul_f64_e32 v[126:127], v[10:11], v[144:145]
	v_fmac_f64_e32 v[18:19], v[6:7], v[138:139]
	v_fma_f64 v[128:129], v[4:5], v[138:139], -v[130:131]
	v_fmac_f64_e32 v[22:23], v[10:11], v[142:143]
	v_add_f64_e32 v[130:131], v[14:15], v[12:13]
	v_add_f64_e32 v[16:17], v[16:17], v[20:21]
	ds_load_b128 v[4:7], v2 offset:1552
	ds_load_b128 v[12:15], v2 offset:1568
	v_fma_f64 v[8:9], v[8:9], v[142:143], -v[126:127]
	s_wait_loadcnt_dscnt 0x201
	v_mul_f64_e32 v[20:21], v[4:5], v[152:153]
	v_mul_f64_e32 v[132:133], v[6:7], v[152:153]
	s_wait_loadcnt_dscnt 0x100
	v_mul_f64_e32 v[126:127], v[14:15], v[164:165]
	v_add_f64_e32 v[10:11], v[130:131], v[128:129]
	v_add_f64_e32 v[16:17], v[16:17], v[18:19]
	v_mul_f64_e32 v[18:19], v[12:13], v[164:165]
	v_fmac_f64_e32 v[20:21], v[6:7], v[150:151]
	v_fma_f64 v[128:129], v[4:5], v[150:151], -v[132:133]
	ds_load_b128 v[4:7], v2 offset:1584
	v_fma_f64 v[12:13], v[12:13], v[162:163], -v[126:127]
	v_add_f64_e32 v[8:9], v[10:11], v[8:9]
	v_add_f64_e32 v[10:11], v[16:17], v[22:23]
	v_fmac_f64_e32 v[18:19], v[14:15], v[162:163]
	s_wait_loadcnt_dscnt 0x0
	v_mul_f64_e32 v[16:17], v[4:5], v[148:149]
	v_mul_f64_e32 v[22:23], v[6:7], v[148:149]
	v_add_f64_e32 v[8:9], v[8:9], v[128:129]
	v_add_f64_e32 v[10:11], v[10:11], v[20:21]
	s_delay_alu instid0(VALU_DEP_4) | instskip(NEXT) | instid1(VALU_DEP_4)
	v_fmac_f64_e32 v[16:17], v[6:7], v[146:147]
	v_fma_f64 v[4:5], v[4:5], v[146:147], -v[22:23]
	s_delay_alu instid0(VALU_DEP_4) | instskip(NEXT) | instid1(VALU_DEP_4)
	v_add_f64_e32 v[6:7], v[8:9], v[12:13]
	v_add_f64_e32 v[8:9], v[10:11], v[18:19]
	s_delay_alu instid0(VALU_DEP_2) | instskip(NEXT) | instid1(VALU_DEP_2)
	v_add_f64_e32 v[4:5], v[6:7], v[4:5]
	v_add_f64_e32 v[6:7], v[8:9], v[16:17]
	s_delay_alu instid0(VALU_DEP_2) | instskip(NEXT) | instid1(VALU_DEP_2)
	v_add_f64_e64 v[4:5], v[154:155], -v[4:5]
	v_add_f64_e64 v[6:7], v[156:157], -v[6:7]
	scratch_store_b128 off, v[4:7], off offset:192
	s_wait_xcnt 0x0
	v_cmpx_lt_u32_e32 11, v1
	s_cbranch_execz .LBB49_291
; %bb.290:
	scratch_load_b128 v[6:9], off, s57
	v_dual_mov_b32 v3, v2 :: v_dual_mov_b32 v4, v2
	v_mov_b32_e32 v5, v2
	scratch_store_b128 off, v[2:5], off offset:176
	s_wait_loadcnt 0x0
	ds_store_b128 v124, v[6:9]
.LBB49_291:
	s_wait_xcnt 0x0
	s_or_b32 exec_lo, exec_lo, s2
	s_wait_storecnt_dscnt 0x0
	s_barrier_signal -1
	s_barrier_wait -1
	s_clause 0x9
	scratch_load_b128 v[4:7], off, off offset:192
	scratch_load_b128 v[8:11], off, off offset:208
	;; [unrolled: 1-line block ×10, first 2 shown]
	ds_load_b128 v[146:149], v2 offset:992
	ds_load_b128 v[154:157], v2 offset:1008
	s_clause 0x2
	scratch_load_b128 v[150:153], off, off offset:352
	scratch_load_b128 v[158:161], off, off offset:176
	;; [unrolled: 1-line block ×3, first 2 shown]
	s_mov_b32 s2, exec_lo
	s_wait_loadcnt_dscnt 0xc01
	v_mul_f64_e32 v[166:167], v[148:149], v[6:7]
	v_mul_f64_e32 v[170:171], v[146:147], v[6:7]
	s_wait_loadcnt_dscnt 0xb00
	v_mul_f64_e32 v[172:173], v[154:155], v[10:11]
	v_mul_f64_e32 v[10:11], v[156:157], v[10:11]
	s_delay_alu instid0(VALU_DEP_4) | instskip(NEXT) | instid1(VALU_DEP_4)
	v_fma_f64 v[174:175], v[146:147], v[4:5], -v[166:167]
	v_fmac_f64_e32 v[170:171], v[148:149], v[4:5]
	ds_load_b128 v[4:7], v2 offset:1024
	ds_load_b128 v[146:149], v2 offset:1040
	scratch_load_b128 v[166:169], off, off offset:384
	v_fmac_f64_e32 v[172:173], v[156:157], v[8:9]
	v_fma_f64 v[154:155], v[154:155], v[8:9], -v[10:11]
	scratch_load_b128 v[8:11], off, off offset:400
	s_wait_loadcnt_dscnt 0xc01
	v_mul_f64_e32 v[176:177], v[4:5], v[14:15]
	v_mul_f64_e32 v[14:15], v[6:7], v[14:15]
	v_add_f64_e32 v[156:157], 0, v[174:175]
	v_add_f64_e32 v[170:171], 0, v[170:171]
	s_wait_loadcnt_dscnt 0xb00
	v_mul_f64_e32 v[174:175], v[146:147], v[18:19]
	v_mul_f64_e32 v[18:19], v[148:149], v[18:19]
	v_fmac_f64_e32 v[176:177], v[6:7], v[12:13]
	v_fma_f64 v[178:179], v[4:5], v[12:13], -v[14:15]
	ds_load_b128 v[4:7], v2 offset:1056
	ds_load_b128 v[12:15], v2 offset:1072
	v_add_f64_e32 v[180:181], v[156:157], v[154:155]
	v_add_f64_e32 v[170:171], v[170:171], v[172:173]
	scratch_load_b128 v[154:157], off, off offset:416
	v_fmac_f64_e32 v[174:175], v[148:149], v[16:17]
	v_fma_f64 v[146:147], v[146:147], v[16:17], -v[18:19]
	scratch_load_b128 v[16:19], off, off offset:432
	s_wait_loadcnt_dscnt 0xc01
	v_mul_f64_e32 v[172:173], v[4:5], v[22:23]
	v_mul_f64_e32 v[22:23], v[6:7], v[22:23]
	v_add_f64_e32 v[148:149], v[180:181], v[178:179]
	v_add_f64_e32 v[170:171], v[170:171], v[176:177]
	s_wait_loadcnt_dscnt 0xb00
	v_mul_f64_e32 v[176:177], v[12:13], v[128:129]
	v_mul_f64_e32 v[128:129], v[14:15], v[128:129]
	v_fmac_f64_e32 v[172:173], v[6:7], v[20:21]
	v_fma_f64 v[178:179], v[4:5], v[20:21], -v[22:23]
	ds_load_b128 v[4:7], v2 offset:1088
	ds_load_b128 v[20:23], v2 offset:1104
	v_add_f64_e32 v[180:181], v[148:149], v[146:147]
	v_add_f64_e32 v[170:171], v[170:171], v[174:175]
	scratch_load_b128 v[146:149], off, off offset:448
	s_wait_loadcnt_dscnt 0xb01
	v_mul_f64_e32 v[174:175], v[4:5], v[132:133]
	v_mul_f64_e32 v[132:133], v[6:7], v[132:133]
	v_fmac_f64_e32 v[176:177], v[14:15], v[126:127]
	v_fma_f64 v[126:127], v[12:13], v[126:127], -v[128:129]
	scratch_load_b128 v[12:15], off, off offset:464
	v_add_f64_e32 v[128:129], v[180:181], v[178:179]
	v_add_f64_e32 v[170:171], v[170:171], v[172:173]
	s_wait_loadcnt_dscnt 0xb00
	v_mul_f64_e32 v[172:173], v[20:21], v[136:137]
	v_mul_f64_e32 v[136:137], v[22:23], v[136:137]
	v_fmac_f64_e32 v[174:175], v[6:7], v[130:131]
	v_fma_f64 v[178:179], v[4:5], v[130:131], -v[132:133]
	v_add_f64_e32 v[180:181], v[128:129], v[126:127]
	v_add_f64_e32 v[170:171], v[170:171], v[176:177]
	ds_load_b128 v[4:7], v2 offset:1120
	ds_load_b128 v[126:129], v2 offset:1136
	scratch_load_b128 v[130:133], off, off offset:480
	v_fmac_f64_e32 v[172:173], v[22:23], v[134:135]
	v_fma_f64 v[134:135], v[20:21], v[134:135], -v[136:137]
	scratch_load_b128 v[20:23], off, off offset:496
	s_wait_loadcnt_dscnt 0xc01
	v_mul_f64_e32 v[176:177], v[4:5], v[140:141]
	v_mul_f64_e32 v[140:141], v[6:7], v[140:141]
	v_add_f64_e32 v[136:137], v[180:181], v[178:179]
	v_add_f64_e32 v[170:171], v[170:171], v[174:175]
	s_wait_loadcnt_dscnt 0xb00
	v_mul_f64_e32 v[174:175], v[126:127], v[144:145]
	v_mul_f64_e32 v[144:145], v[128:129], v[144:145]
	v_fmac_f64_e32 v[176:177], v[6:7], v[138:139]
	v_fma_f64 v[178:179], v[4:5], v[138:139], -v[140:141]
	v_add_f64_e32 v[180:181], v[136:137], v[134:135]
	v_add_f64_e32 v[170:171], v[170:171], v[172:173]
	ds_load_b128 v[4:7], v2 offset:1152
	ds_load_b128 v[134:137], v2 offset:1168
	scratch_load_b128 v[138:141], off, off offset:512
	v_fmac_f64_e32 v[174:175], v[128:129], v[142:143]
	v_fma_f64 v[142:143], v[126:127], v[142:143], -v[144:145]
	scratch_load_b128 v[126:129], off, off offset:528
	s_wait_loadcnt_dscnt 0xc01
	v_mul_f64_e32 v[172:173], v[4:5], v[152:153]
	v_mul_f64_e32 v[152:153], v[6:7], v[152:153]
	;; [unrolled: 18-line block ×5, first 2 shown]
	v_add_f64_e32 v[164:165], v[180:181], v[178:179]
	v_add_f64_e32 v[170:171], v[170:171], v[176:177]
	s_wait_loadcnt_dscnt 0xa00
	v_mul_f64_e32 v[176:177], v[142:143], v[14:15]
	v_mul_f64_e32 v[14:15], v[144:145], v[14:15]
	v_fmac_f64_e32 v[172:173], v[6:7], v[146:147]
	v_fma_f64 v[178:179], v[4:5], v[146:147], -v[148:149]
	ds_load_b128 v[4:7], v2 offset:1280
	ds_load_b128 v[146:149], v2 offset:1296
	v_add_f64_e32 v[180:181], v[164:165], v[162:163]
	v_add_f64_e32 v[170:171], v[170:171], v[174:175]
	scratch_load_b128 v[162:165], off, off offset:640
	v_fmac_f64_e32 v[176:177], v[144:145], v[12:13]
	v_fma_f64 v[142:143], v[142:143], v[12:13], -v[14:15]
	scratch_load_b128 v[12:15], off, off offset:656
	s_wait_loadcnt_dscnt 0xb01
	v_mul_f64_e32 v[174:175], v[4:5], v[132:133]
	v_mul_f64_e32 v[132:133], v[6:7], v[132:133]
	v_add_f64_e32 v[144:145], v[180:181], v[178:179]
	v_add_f64_e32 v[170:171], v[170:171], v[172:173]
	s_wait_loadcnt_dscnt 0xa00
	v_mul_f64_e32 v[172:173], v[146:147], v[22:23]
	v_mul_f64_e32 v[22:23], v[148:149], v[22:23]
	v_fmac_f64_e32 v[174:175], v[6:7], v[130:131]
	v_fma_f64 v[178:179], v[4:5], v[130:131], -v[132:133]
	ds_load_b128 v[4:7], v2 offset:1312
	ds_load_b128 v[130:133], v2 offset:1328
	v_add_f64_e32 v[180:181], v[144:145], v[142:143]
	v_add_f64_e32 v[170:171], v[170:171], v[176:177]
	scratch_load_b128 v[142:145], off, off offset:672
	s_wait_loadcnt_dscnt 0xa01
	v_mul_f64_e32 v[176:177], v[4:5], v[140:141]
	v_mul_f64_e32 v[140:141], v[6:7], v[140:141]
	v_fmac_f64_e32 v[172:173], v[148:149], v[20:21]
	v_fma_f64 v[146:147], v[146:147], v[20:21], -v[22:23]
	scratch_load_b128 v[20:23], off, off offset:688
	v_add_f64_e32 v[148:149], v[180:181], v[178:179]
	v_add_f64_e32 v[170:171], v[170:171], v[174:175]
	s_wait_loadcnt_dscnt 0xa00
	v_mul_f64_e32 v[174:175], v[130:131], v[128:129]
	v_mul_f64_e32 v[128:129], v[132:133], v[128:129]
	v_fmac_f64_e32 v[176:177], v[6:7], v[138:139]
	v_fma_f64 v[178:179], v[4:5], v[138:139], -v[140:141]
	ds_load_b128 v[4:7], v2 offset:1344
	ds_load_b128 v[138:141], v2 offset:1360
	v_add_f64_e32 v[180:181], v[148:149], v[146:147]
	v_add_f64_e32 v[170:171], v[170:171], v[172:173]
	scratch_load_b128 v[146:149], off, off offset:704
	s_wait_loadcnt_dscnt 0xa01
	v_mul_f64_e32 v[172:173], v[4:5], v[152:153]
	v_mul_f64_e32 v[152:153], v[6:7], v[152:153]
	v_fmac_f64_e32 v[174:175], v[132:133], v[126:127]
	v_fma_f64 v[130:131], v[130:131], v[126:127], -v[128:129]
	scratch_load_b128 v[126:129], off, off offset:720
	v_add_f64_e32 v[132:133], v[180:181], v[178:179]
	v_add_f64_e32 v[170:171], v[170:171], v[176:177]
	s_wait_loadcnt_dscnt 0xa00
	v_mul_f64_e32 v[176:177], v[138:139], v[136:137]
	v_mul_f64_e32 v[136:137], v[140:141], v[136:137]
	v_fmac_f64_e32 v[172:173], v[6:7], v[150:151]
	v_fma_f64 v[178:179], v[4:5], v[150:151], -v[152:153]
	v_add_f64_e32 v[180:181], v[132:133], v[130:131]
	v_add_f64_e32 v[170:171], v[170:171], v[174:175]
	ds_load_b128 v[4:7], v2 offset:1376
	ds_load_b128 v[130:133], v2 offset:1392
	scratch_load_b128 v[150:153], off, off offset:736
	v_fmac_f64_e32 v[176:177], v[140:141], v[134:135]
	v_fma_f64 v[138:139], v[138:139], v[134:135], -v[136:137]
	scratch_load_b128 v[134:137], off, off offset:752
	s_wait_loadcnt_dscnt 0xb01
	v_mul_f64_e32 v[174:175], v[4:5], v[168:169]
	v_mul_f64_e32 v[168:169], v[6:7], v[168:169]
	v_add_f64_e32 v[140:141], v[180:181], v[178:179]
	v_add_f64_e32 v[170:171], v[170:171], v[172:173]
	s_wait_loadcnt_dscnt 0xa00
	v_mul_f64_e32 v[172:173], v[130:131], v[10:11]
	v_mul_f64_e32 v[10:11], v[132:133], v[10:11]
	v_fmac_f64_e32 v[174:175], v[6:7], v[166:167]
	v_fma_f64 v[178:179], v[4:5], v[166:167], -v[168:169]
	v_add_f64_e32 v[180:181], v[140:141], v[138:139]
	v_add_f64_e32 v[170:171], v[170:171], v[176:177]
	ds_load_b128 v[4:7], v2 offset:1408
	ds_load_b128 v[138:141], v2 offset:1424
	scratch_load_b128 v[166:169], off, off offset:768
	v_fmac_f64_e32 v[172:173], v[132:133], v[8:9]
	v_fma_f64 v[130:131], v[130:131], v[8:9], -v[10:11]
	scratch_load_b128 v[8:11], off, off offset:784
	s_wait_loadcnt_dscnt 0xb01
	v_mul_f64_e32 v[176:177], v[4:5], v[156:157]
	v_mul_f64_e32 v[156:157], v[6:7], v[156:157]
	v_add_f64_e32 v[132:133], v[180:181], v[178:179]
	v_add_f64_e32 v[170:171], v[170:171], v[174:175]
	s_wait_loadcnt_dscnt 0xa00
	v_mul_f64_e32 v[174:175], v[138:139], v[18:19]
	v_mul_f64_e32 v[18:19], v[140:141], v[18:19]
	v_fmac_f64_e32 v[176:177], v[6:7], v[154:155]
	v_fma_f64 v[154:155], v[4:5], v[154:155], -v[156:157]
	v_add_f64_e32 v[156:157], v[132:133], v[130:131]
	v_add_f64_e32 v[170:171], v[170:171], v[172:173]
	ds_load_b128 v[4:7], v2 offset:1440
	ds_load_b128 v[130:133], v2 offset:1456
	v_fmac_f64_e32 v[174:175], v[140:141], v[16:17]
	v_fma_f64 v[16:17], v[138:139], v[16:17], -v[18:19]
	s_wait_loadcnt_dscnt 0x901
	v_mul_f64_e32 v[172:173], v[4:5], v[164:165]
	v_mul_f64_e32 v[164:165], v[6:7], v[164:165]
	s_wait_loadcnt_dscnt 0x800
	v_mul_f64_e32 v[140:141], v[130:131], v[14:15]
	v_add_f64_e32 v[18:19], v[156:157], v[154:155]
	v_add_f64_e32 v[138:139], v[170:171], v[176:177]
	v_mul_f64_e32 v[154:155], v[132:133], v[14:15]
	v_fmac_f64_e32 v[172:173], v[6:7], v[162:163]
	v_fma_f64 v[156:157], v[4:5], v[162:163], -v[164:165]
	v_fmac_f64_e32 v[140:141], v[132:133], v[12:13]
	v_add_f64_e32 v[18:19], v[18:19], v[16:17]
	v_add_f64_e32 v[138:139], v[138:139], v[174:175]
	ds_load_b128 v[4:7], v2 offset:1472
	ds_load_b128 v[14:17], v2 offset:1488
	v_fma_f64 v[12:13], v[130:131], v[12:13], -v[154:155]
	s_wait_loadcnt_dscnt 0x701
	v_mul_f64_e32 v[162:163], v[4:5], v[144:145]
	v_mul_f64_e32 v[144:145], v[6:7], v[144:145]
	v_add_f64_e32 v[18:19], v[18:19], v[156:157]
	v_add_f64_e32 v[130:131], v[138:139], v[172:173]
	s_wait_loadcnt_dscnt 0x600
	v_mul_f64_e32 v[138:139], v[14:15], v[22:23]
	v_mul_f64_e32 v[22:23], v[16:17], v[22:23]
	v_fmac_f64_e32 v[162:163], v[6:7], v[142:143]
	v_fma_f64 v[142:143], v[4:5], v[142:143], -v[144:145]
	v_add_f64_e32 v[12:13], v[18:19], v[12:13]
	v_add_f64_e32 v[18:19], v[130:131], v[140:141]
	ds_load_b128 v[4:7], v2 offset:1504
	ds_load_b128 v[130:133], v2 offset:1520
	v_fmac_f64_e32 v[138:139], v[16:17], v[20:21]
	v_fma_f64 v[14:15], v[14:15], v[20:21], -v[22:23]
	s_wait_loadcnt_dscnt 0x501
	v_mul_f64_e32 v[140:141], v[4:5], v[148:149]
	v_mul_f64_e32 v[144:145], v[6:7], v[148:149]
	s_wait_loadcnt_dscnt 0x400
	v_mul_f64_e32 v[20:21], v[132:133], v[128:129]
	v_add_f64_e32 v[12:13], v[12:13], v[142:143]
	v_add_f64_e32 v[16:17], v[18:19], v[162:163]
	v_mul_f64_e32 v[18:19], v[130:131], v[128:129]
	v_fmac_f64_e32 v[140:141], v[6:7], v[146:147]
	v_fma_f64 v[22:23], v[4:5], v[146:147], -v[144:145]
	v_fma_f64 v[20:21], v[130:131], v[126:127], -v[20:21]
	v_add_f64_e32 v[128:129], v[12:13], v[14:15]
	v_add_f64_e32 v[16:17], v[16:17], v[138:139]
	ds_load_b128 v[4:7], v2 offset:1536
	ds_load_b128 v[12:15], v2 offset:1552
	v_fmac_f64_e32 v[18:19], v[132:133], v[126:127]
	s_wait_loadcnt_dscnt 0x301
	v_mul_f64_e32 v[138:139], v[4:5], v[152:153]
	v_mul_f64_e32 v[142:143], v[6:7], v[152:153]
	s_wait_loadcnt_dscnt 0x200
	v_mul_f64_e32 v[126:127], v[12:13], v[136:137]
	v_add_f64_e32 v[22:23], v[128:129], v[22:23]
	v_add_f64_e32 v[16:17], v[16:17], v[140:141]
	v_mul_f64_e32 v[128:129], v[14:15], v[136:137]
	v_fmac_f64_e32 v[138:139], v[6:7], v[150:151]
	v_fma_f64 v[130:131], v[4:5], v[150:151], -v[142:143]
	v_fmac_f64_e32 v[126:127], v[14:15], v[134:135]
	v_add_f64_e32 v[20:21], v[22:23], v[20:21]
	v_add_f64_e32 v[22:23], v[16:17], v[18:19]
	ds_load_b128 v[4:7], v2 offset:1568
	ds_load_b128 v[16:19], v2 offset:1584
	v_fma_f64 v[12:13], v[12:13], v[134:135], -v[128:129]
	s_wait_loadcnt_dscnt 0x101
	v_mul_f64_e32 v[2:3], v[4:5], v[168:169]
	v_mul_f64_e32 v[132:133], v[6:7], v[168:169]
	v_add_f64_e32 v[14:15], v[20:21], v[130:131]
	v_add_f64_e32 v[20:21], v[22:23], v[138:139]
	s_wait_loadcnt_dscnt 0x0
	v_mul_f64_e32 v[22:23], v[16:17], v[10:11]
	v_mul_f64_e32 v[10:11], v[18:19], v[10:11]
	v_fmac_f64_e32 v[2:3], v[6:7], v[166:167]
	v_fma_f64 v[4:5], v[4:5], v[166:167], -v[132:133]
	v_add_f64_e32 v[6:7], v[14:15], v[12:13]
	v_add_f64_e32 v[12:13], v[20:21], v[126:127]
	v_fmac_f64_e32 v[22:23], v[18:19], v[8:9]
	v_fma_f64 v[8:9], v[16:17], v[8:9], -v[10:11]
	s_delay_alu instid0(VALU_DEP_4) | instskip(NEXT) | instid1(VALU_DEP_4)
	v_add_f64_e32 v[4:5], v[6:7], v[4:5]
	v_add_f64_e32 v[2:3], v[12:13], v[2:3]
	s_delay_alu instid0(VALU_DEP_2) | instskip(NEXT) | instid1(VALU_DEP_2)
	v_add_f64_e32 v[4:5], v[4:5], v[8:9]
	v_add_f64_e32 v[6:7], v[2:3], v[22:23]
	s_delay_alu instid0(VALU_DEP_2) | instskip(NEXT) | instid1(VALU_DEP_2)
	v_add_f64_e64 v[2:3], v[158:159], -v[4:5]
	v_add_f64_e64 v[4:5], v[160:161], -v[6:7]
	scratch_store_b128 off, v[2:5], off offset:176
	s_wait_xcnt 0x0
	v_cmpx_lt_u32_e32 10, v1
	s_cbranch_execz .LBB49_293
; %bb.292:
	scratch_load_b128 v[2:5], off, s54
	v_mov_b32_e32 v6, 0
	s_delay_alu instid0(VALU_DEP_1)
	v_dual_mov_b32 v7, v6 :: v_dual_mov_b32 v8, v6
	v_mov_b32_e32 v9, v6
	scratch_store_b128 off, v[6:9], off offset:160
	s_wait_loadcnt 0x0
	ds_store_b128 v124, v[2:5]
.LBB49_293:
	s_wait_xcnt 0x0
	s_or_b32 exec_lo, exec_lo, s2
	s_wait_storecnt_dscnt 0x0
	s_barrier_signal -1
	s_barrier_wait -1
	s_clause 0x9
	scratch_load_b128 v[4:7], off, off offset:176
	scratch_load_b128 v[8:11], off, off offset:192
	;; [unrolled: 1-line block ×10, first 2 shown]
	v_mov_b32_e32 v2, 0
	s_mov_b32 s2, exec_lo
	ds_load_b128 v[146:149], v2 offset:976
	s_clause 0x2
	scratch_load_b128 v[150:153], off, off offset:336
	scratch_load_b128 v[154:157], off, off offset:160
	;; [unrolled: 1-line block ×3, first 2 shown]
	s_wait_loadcnt_dscnt 0xc00
	v_mul_f64_e32 v[166:167], v[148:149], v[6:7]
	v_mul_f64_e32 v[170:171], v[146:147], v[6:7]
	ds_load_b128 v[158:161], v2 offset:992
	v_fma_f64 v[174:175], v[146:147], v[4:5], -v[166:167]
	v_fmac_f64_e32 v[170:171], v[148:149], v[4:5]
	ds_load_b128 v[4:7], v2 offset:1008
	s_wait_loadcnt_dscnt 0xb01
	v_mul_f64_e32 v[172:173], v[158:159], v[10:11]
	v_mul_f64_e32 v[10:11], v[160:161], v[10:11]
	scratch_load_b128 v[146:149], off, off offset:368
	ds_load_b128 v[166:169], v2 offset:1024
	s_wait_loadcnt_dscnt 0xb01
	v_mul_f64_e32 v[176:177], v[4:5], v[14:15]
	v_mul_f64_e32 v[14:15], v[6:7], v[14:15]
	v_add_f64_e32 v[170:171], 0, v[170:171]
	v_fmac_f64_e32 v[172:173], v[160:161], v[8:9]
	v_fma_f64 v[158:159], v[158:159], v[8:9], -v[10:11]
	v_add_f64_e32 v[160:161], 0, v[174:175]
	scratch_load_b128 v[8:11], off, off offset:384
	v_fmac_f64_e32 v[176:177], v[6:7], v[12:13]
	v_fma_f64 v[178:179], v[4:5], v[12:13], -v[14:15]
	ds_load_b128 v[4:7], v2 offset:1040
	s_wait_loadcnt_dscnt 0xb01
	v_mul_f64_e32 v[174:175], v[166:167], v[18:19]
	v_mul_f64_e32 v[18:19], v[168:169], v[18:19]
	scratch_load_b128 v[12:15], off, off offset:400
	v_add_f64_e32 v[170:171], v[170:171], v[172:173]
	v_add_f64_e32 v[180:181], v[160:161], v[158:159]
	ds_load_b128 v[158:161], v2 offset:1056
	s_wait_loadcnt_dscnt 0xb01
	v_mul_f64_e32 v[172:173], v[4:5], v[22:23]
	v_mul_f64_e32 v[22:23], v[6:7], v[22:23]
	v_fmac_f64_e32 v[174:175], v[168:169], v[16:17]
	v_fma_f64 v[166:167], v[166:167], v[16:17], -v[18:19]
	scratch_load_b128 v[16:19], off, off offset:416
	v_add_f64_e32 v[170:171], v[170:171], v[176:177]
	v_add_f64_e32 v[168:169], v[180:181], v[178:179]
	v_fmac_f64_e32 v[172:173], v[6:7], v[20:21]
	v_fma_f64 v[178:179], v[4:5], v[20:21], -v[22:23]
	ds_load_b128 v[4:7], v2 offset:1072
	s_wait_loadcnt_dscnt 0xb01
	v_mul_f64_e32 v[176:177], v[158:159], v[128:129]
	v_mul_f64_e32 v[128:129], v[160:161], v[128:129]
	scratch_load_b128 v[20:23], off, off offset:432
	v_add_f64_e32 v[170:171], v[170:171], v[174:175]
	s_wait_loadcnt_dscnt 0xb00
	v_mul_f64_e32 v[174:175], v[4:5], v[132:133]
	v_add_f64_e32 v[180:181], v[168:169], v[166:167]
	v_mul_f64_e32 v[132:133], v[6:7], v[132:133]
	ds_load_b128 v[166:169], v2 offset:1088
	v_fmac_f64_e32 v[176:177], v[160:161], v[126:127]
	v_fma_f64 v[158:159], v[158:159], v[126:127], -v[128:129]
	scratch_load_b128 v[126:129], off, off offset:448
	v_add_f64_e32 v[170:171], v[170:171], v[172:173]
	v_fmac_f64_e32 v[174:175], v[6:7], v[130:131]
	v_add_f64_e32 v[160:161], v[180:181], v[178:179]
	v_fma_f64 v[178:179], v[4:5], v[130:131], -v[132:133]
	ds_load_b128 v[4:7], v2 offset:1104
	s_wait_loadcnt_dscnt 0xb01
	v_mul_f64_e32 v[172:173], v[166:167], v[136:137]
	v_mul_f64_e32 v[136:137], v[168:169], v[136:137]
	scratch_load_b128 v[130:133], off, off offset:464
	v_add_f64_e32 v[170:171], v[170:171], v[176:177]
	s_wait_loadcnt_dscnt 0xb00
	v_mul_f64_e32 v[176:177], v[4:5], v[140:141]
	v_add_f64_e32 v[180:181], v[160:161], v[158:159]
	v_mul_f64_e32 v[140:141], v[6:7], v[140:141]
	ds_load_b128 v[158:161], v2 offset:1120
	v_fmac_f64_e32 v[172:173], v[168:169], v[134:135]
	v_fma_f64 v[166:167], v[166:167], v[134:135], -v[136:137]
	scratch_load_b128 v[134:137], off, off offset:480
	v_add_f64_e32 v[170:171], v[170:171], v[174:175]
	v_fmac_f64_e32 v[176:177], v[6:7], v[138:139]
	v_add_f64_e32 v[168:169], v[180:181], v[178:179]
	v_fma_f64 v[178:179], v[4:5], v[138:139], -v[140:141]
	ds_load_b128 v[4:7], v2 offset:1136
	s_wait_loadcnt_dscnt 0xb01
	v_mul_f64_e32 v[174:175], v[158:159], v[144:145]
	v_mul_f64_e32 v[144:145], v[160:161], v[144:145]
	scratch_load_b128 v[138:141], off, off offset:496
	v_add_f64_e32 v[170:171], v[170:171], v[172:173]
	s_wait_loadcnt_dscnt 0xb00
	v_mul_f64_e32 v[172:173], v[4:5], v[152:153]
	v_add_f64_e32 v[180:181], v[168:169], v[166:167]
	v_mul_f64_e32 v[152:153], v[6:7], v[152:153]
	ds_load_b128 v[166:169], v2 offset:1152
	v_fmac_f64_e32 v[174:175], v[160:161], v[142:143]
	v_fma_f64 v[158:159], v[158:159], v[142:143], -v[144:145]
	scratch_load_b128 v[142:145], off, off offset:512
	v_add_f64_e32 v[170:171], v[170:171], v[176:177]
	v_fmac_f64_e32 v[172:173], v[6:7], v[150:151]
	v_add_f64_e32 v[160:161], v[180:181], v[178:179]
	v_fma_f64 v[178:179], v[4:5], v[150:151], -v[152:153]
	ds_load_b128 v[4:7], v2 offset:1168
	s_wait_loadcnt_dscnt 0xa01
	v_mul_f64_e32 v[176:177], v[166:167], v[164:165]
	v_mul_f64_e32 v[164:165], v[168:169], v[164:165]
	scratch_load_b128 v[150:153], off, off offset:528
	v_add_f64_e32 v[170:171], v[170:171], v[174:175]
	v_add_f64_e32 v[180:181], v[160:161], v[158:159]
	s_wait_loadcnt_dscnt 0xa00
	v_mul_f64_e32 v[174:175], v[4:5], v[148:149]
	v_mul_f64_e32 v[148:149], v[6:7], v[148:149]
	v_fmac_f64_e32 v[176:177], v[168:169], v[162:163]
	v_fma_f64 v[166:167], v[166:167], v[162:163], -v[164:165]
	ds_load_b128 v[158:161], v2 offset:1184
	scratch_load_b128 v[162:165], off, off offset:544
	v_add_f64_e32 v[170:171], v[170:171], v[172:173]
	v_add_f64_e32 v[168:169], v[180:181], v[178:179]
	v_fmac_f64_e32 v[174:175], v[6:7], v[146:147]
	v_fma_f64 v[178:179], v[4:5], v[146:147], -v[148:149]
	ds_load_b128 v[4:7], v2 offset:1200
	s_wait_loadcnt_dscnt 0xa01
	v_mul_f64_e32 v[172:173], v[158:159], v[10:11]
	v_mul_f64_e32 v[10:11], v[160:161], v[10:11]
	scratch_load_b128 v[146:149], off, off offset:560
	v_add_f64_e32 v[170:171], v[170:171], v[176:177]
	s_wait_loadcnt_dscnt 0xa00
	v_mul_f64_e32 v[176:177], v[4:5], v[14:15]
	v_add_f64_e32 v[180:181], v[168:169], v[166:167]
	v_mul_f64_e32 v[14:15], v[6:7], v[14:15]
	ds_load_b128 v[166:169], v2 offset:1216
	v_fmac_f64_e32 v[172:173], v[160:161], v[8:9]
	v_fma_f64 v[158:159], v[158:159], v[8:9], -v[10:11]
	scratch_load_b128 v[8:11], off, off offset:576
	v_add_f64_e32 v[170:171], v[170:171], v[174:175]
	v_fmac_f64_e32 v[176:177], v[6:7], v[12:13]
	v_add_f64_e32 v[160:161], v[180:181], v[178:179]
	v_fma_f64 v[178:179], v[4:5], v[12:13], -v[14:15]
	ds_load_b128 v[4:7], v2 offset:1232
	s_wait_loadcnt_dscnt 0xa01
	v_mul_f64_e32 v[174:175], v[166:167], v[18:19]
	v_mul_f64_e32 v[18:19], v[168:169], v[18:19]
	scratch_load_b128 v[12:15], off, off offset:592
	v_add_f64_e32 v[170:171], v[170:171], v[172:173]
	s_wait_loadcnt_dscnt 0xa00
	v_mul_f64_e32 v[172:173], v[4:5], v[22:23]
	v_add_f64_e32 v[180:181], v[160:161], v[158:159]
	v_mul_f64_e32 v[22:23], v[6:7], v[22:23]
	ds_load_b128 v[158:161], v2 offset:1248
	v_fmac_f64_e32 v[174:175], v[168:169], v[16:17]
	v_fma_f64 v[166:167], v[166:167], v[16:17], -v[18:19]
	scratch_load_b128 v[16:19], off, off offset:608
	v_add_f64_e32 v[170:171], v[170:171], v[176:177]
	v_fmac_f64_e32 v[172:173], v[6:7], v[20:21]
	v_add_f64_e32 v[168:169], v[180:181], v[178:179]
	;; [unrolled: 18-line block ×7, first 2 shown]
	v_fma_f64 v[178:179], v[4:5], v[12:13], -v[14:15]
	ds_load_b128 v[4:7], v2 offset:1424
	s_wait_loadcnt_dscnt 0xa01
	v_mul_f64_e32 v[174:175], v[166:167], v[18:19]
	v_mul_f64_e32 v[18:19], v[168:169], v[18:19]
	scratch_load_b128 v[12:15], off, off offset:784
	v_add_f64_e32 v[170:171], v[170:171], v[172:173]
	s_wait_loadcnt_dscnt 0xa00
	v_mul_f64_e32 v[172:173], v[4:5], v[22:23]
	v_add_f64_e32 v[180:181], v[160:161], v[158:159]
	v_mul_f64_e32 v[22:23], v[6:7], v[22:23]
	ds_load_b128 v[158:161], v2 offset:1440
	v_fmac_f64_e32 v[174:175], v[168:169], v[16:17]
	v_fma_f64 v[16:17], v[166:167], v[16:17], -v[18:19]
	s_wait_loadcnt_dscnt 0x900
	v_mul_f64_e32 v[168:169], v[158:159], v[128:129]
	v_mul_f64_e32 v[128:129], v[160:161], v[128:129]
	v_add_f64_e32 v[166:167], v[170:171], v[176:177]
	v_fmac_f64_e32 v[172:173], v[6:7], v[20:21]
	v_add_f64_e32 v[18:19], v[180:181], v[178:179]
	v_fma_f64 v[20:21], v[4:5], v[20:21], -v[22:23]
	v_fmac_f64_e32 v[168:169], v[160:161], v[126:127]
	v_fma_f64 v[126:127], v[158:159], v[126:127], -v[128:129]
	v_add_f64_e32 v[166:167], v[166:167], v[174:175]
	v_add_f64_e32 v[22:23], v[18:19], v[16:17]
	ds_load_b128 v[4:7], v2 offset:1456
	ds_load_b128 v[16:19], v2 offset:1472
	s_wait_loadcnt_dscnt 0x801
	v_mul_f64_e32 v[170:171], v[4:5], v[132:133]
	v_mul_f64_e32 v[132:133], v[6:7], v[132:133]
	s_wait_loadcnt_dscnt 0x700
	v_mul_f64_e32 v[128:129], v[16:17], v[136:137]
	v_mul_f64_e32 v[136:137], v[18:19], v[136:137]
	v_add_f64_e32 v[20:21], v[22:23], v[20:21]
	v_add_f64_e32 v[22:23], v[166:167], v[172:173]
	v_fmac_f64_e32 v[170:171], v[6:7], v[130:131]
	v_fma_f64 v[130:131], v[4:5], v[130:131], -v[132:133]
	v_fmac_f64_e32 v[128:129], v[18:19], v[134:135]
	v_fma_f64 v[16:17], v[16:17], v[134:135], -v[136:137]
	v_add_f64_e32 v[126:127], v[20:21], v[126:127]
	v_add_f64_e32 v[132:133], v[22:23], v[168:169]
	ds_load_b128 v[4:7], v2 offset:1488
	ds_load_b128 v[20:23], v2 offset:1504
	s_wait_loadcnt_dscnt 0x601
	v_mul_f64_e32 v[158:159], v[4:5], v[140:141]
	v_mul_f64_e32 v[140:141], v[6:7], v[140:141]
	v_add_f64_e32 v[18:19], v[126:127], v[130:131]
	v_add_f64_e32 v[126:127], v[132:133], v[170:171]
	s_wait_loadcnt_dscnt 0x500
	v_mul_f64_e32 v[130:131], v[20:21], v[144:145]
	v_mul_f64_e32 v[132:133], v[22:23], v[144:145]
	v_fmac_f64_e32 v[158:159], v[6:7], v[138:139]
	v_fma_f64 v[134:135], v[4:5], v[138:139], -v[140:141]
	v_add_f64_e32 v[136:137], v[18:19], v[16:17]
	v_add_f64_e32 v[126:127], v[126:127], v[128:129]
	ds_load_b128 v[4:7], v2 offset:1520
	ds_load_b128 v[16:19], v2 offset:1536
	v_fmac_f64_e32 v[130:131], v[22:23], v[142:143]
	v_fma_f64 v[20:21], v[20:21], v[142:143], -v[132:133]
	s_wait_loadcnt_dscnt 0x401
	v_mul_f64_e32 v[128:129], v[4:5], v[152:153]
	v_mul_f64_e32 v[138:139], v[6:7], v[152:153]
	s_wait_loadcnt_dscnt 0x300
	v_mul_f64_e32 v[132:133], v[16:17], v[164:165]
	v_add_f64_e32 v[22:23], v[136:137], v[134:135]
	v_add_f64_e32 v[126:127], v[126:127], v[158:159]
	v_mul_f64_e32 v[134:135], v[18:19], v[164:165]
	v_fmac_f64_e32 v[128:129], v[6:7], v[150:151]
	v_fma_f64 v[136:137], v[4:5], v[150:151], -v[138:139]
	v_fmac_f64_e32 v[132:133], v[18:19], v[162:163]
	v_add_f64_e32 v[138:139], v[22:23], v[20:21]
	v_add_f64_e32 v[126:127], v[126:127], v[130:131]
	ds_load_b128 v[4:7], v2 offset:1552
	ds_load_b128 v[20:23], v2 offset:1568
	v_fma_f64 v[16:17], v[16:17], v[162:163], -v[134:135]
	s_wait_loadcnt_dscnt 0x201
	v_mul_f64_e32 v[130:131], v[4:5], v[148:149]
	v_mul_f64_e32 v[140:141], v[6:7], v[148:149]
	v_add_f64_e32 v[18:19], v[138:139], v[136:137]
	v_add_f64_e32 v[126:127], v[126:127], v[128:129]
	s_wait_loadcnt_dscnt 0x100
	v_mul_f64_e32 v[128:129], v[20:21], v[10:11]
	v_mul_f64_e32 v[10:11], v[22:23], v[10:11]
	v_fmac_f64_e32 v[130:131], v[6:7], v[146:147]
	v_fma_f64 v[134:135], v[4:5], v[146:147], -v[140:141]
	ds_load_b128 v[4:7], v2 offset:1584
	v_add_f64_e32 v[16:17], v[18:19], v[16:17]
	v_add_f64_e32 v[18:19], v[126:127], v[132:133]
	v_fmac_f64_e32 v[128:129], v[22:23], v[8:9]
	v_fma_f64 v[8:9], v[20:21], v[8:9], -v[10:11]
	s_wait_loadcnt_dscnt 0x0
	v_mul_f64_e32 v[126:127], v[4:5], v[14:15]
	v_mul_f64_e32 v[14:15], v[6:7], v[14:15]
	v_add_f64_e32 v[10:11], v[16:17], v[134:135]
	v_add_f64_e32 v[16:17], v[18:19], v[130:131]
	s_delay_alu instid0(VALU_DEP_4) | instskip(NEXT) | instid1(VALU_DEP_4)
	v_fmac_f64_e32 v[126:127], v[6:7], v[12:13]
	v_fma_f64 v[4:5], v[4:5], v[12:13], -v[14:15]
	s_delay_alu instid0(VALU_DEP_4) | instskip(NEXT) | instid1(VALU_DEP_4)
	v_add_f64_e32 v[6:7], v[10:11], v[8:9]
	v_add_f64_e32 v[8:9], v[16:17], v[128:129]
	s_delay_alu instid0(VALU_DEP_2) | instskip(NEXT) | instid1(VALU_DEP_2)
	v_add_f64_e32 v[4:5], v[6:7], v[4:5]
	v_add_f64_e32 v[6:7], v[8:9], v[126:127]
	s_delay_alu instid0(VALU_DEP_2) | instskip(NEXT) | instid1(VALU_DEP_2)
	v_add_f64_e64 v[4:5], v[154:155], -v[4:5]
	v_add_f64_e64 v[6:7], v[156:157], -v[6:7]
	scratch_store_b128 off, v[4:7], off offset:160
	s_wait_xcnt 0x0
	v_cmpx_lt_u32_e32 9, v1
	s_cbranch_execz .LBB49_295
; %bb.294:
	scratch_load_b128 v[6:9], off, s52
	v_dual_mov_b32 v3, v2 :: v_dual_mov_b32 v4, v2
	v_mov_b32_e32 v5, v2
	scratch_store_b128 off, v[2:5], off offset:144
	s_wait_loadcnt 0x0
	ds_store_b128 v124, v[6:9]
.LBB49_295:
	s_wait_xcnt 0x0
	s_or_b32 exec_lo, exec_lo, s2
	s_wait_storecnt_dscnt 0x0
	s_barrier_signal -1
	s_barrier_wait -1
	s_clause 0x9
	scratch_load_b128 v[4:7], off, off offset:160
	scratch_load_b128 v[8:11], off, off offset:176
	;; [unrolled: 1-line block ×10, first 2 shown]
	ds_load_b128 v[146:149], v2 offset:960
	ds_load_b128 v[154:157], v2 offset:976
	s_clause 0x2
	scratch_load_b128 v[150:153], off, off offset:320
	scratch_load_b128 v[158:161], off, off offset:144
	;; [unrolled: 1-line block ×3, first 2 shown]
	s_mov_b32 s2, exec_lo
	s_wait_loadcnt_dscnt 0xc01
	v_mul_f64_e32 v[166:167], v[148:149], v[6:7]
	v_mul_f64_e32 v[170:171], v[146:147], v[6:7]
	s_wait_loadcnt_dscnt 0xb00
	v_mul_f64_e32 v[172:173], v[154:155], v[10:11]
	v_mul_f64_e32 v[10:11], v[156:157], v[10:11]
	s_delay_alu instid0(VALU_DEP_4) | instskip(NEXT) | instid1(VALU_DEP_4)
	v_fma_f64 v[174:175], v[146:147], v[4:5], -v[166:167]
	v_fmac_f64_e32 v[170:171], v[148:149], v[4:5]
	ds_load_b128 v[4:7], v2 offset:992
	ds_load_b128 v[146:149], v2 offset:1008
	scratch_load_b128 v[166:169], off, off offset:352
	v_fmac_f64_e32 v[172:173], v[156:157], v[8:9]
	v_fma_f64 v[154:155], v[154:155], v[8:9], -v[10:11]
	scratch_load_b128 v[8:11], off, off offset:368
	s_wait_loadcnt_dscnt 0xc01
	v_mul_f64_e32 v[176:177], v[4:5], v[14:15]
	v_mul_f64_e32 v[14:15], v[6:7], v[14:15]
	v_add_f64_e32 v[156:157], 0, v[174:175]
	v_add_f64_e32 v[170:171], 0, v[170:171]
	s_wait_loadcnt_dscnt 0xb00
	v_mul_f64_e32 v[174:175], v[146:147], v[18:19]
	v_mul_f64_e32 v[18:19], v[148:149], v[18:19]
	v_fmac_f64_e32 v[176:177], v[6:7], v[12:13]
	v_fma_f64 v[178:179], v[4:5], v[12:13], -v[14:15]
	ds_load_b128 v[4:7], v2 offset:1024
	ds_load_b128 v[12:15], v2 offset:1040
	v_add_f64_e32 v[180:181], v[156:157], v[154:155]
	v_add_f64_e32 v[170:171], v[170:171], v[172:173]
	scratch_load_b128 v[154:157], off, off offset:384
	v_fmac_f64_e32 v[174:175], v[148:149], v[16:17]
	v_fma_f64 v[146:147], v[146:147], v[16:17], -v[18:19]
	scratch_load_b128 v[16:19], off, off offset:400
	s_wait_loadcnt_dscnt 0xc01
	v_mul_f64_e32 v[172:173], v[4:5], v[22:23]
	v_mul_f64_e32 v[22:23], v[6:7], v[22:23]
	v_add_f64_e32 v[148:149], v[180:181], v[178:179]
	v_add_f64_e32 v[170:171], v[170:171], v[176:177]
	s_wait_loadcnt_dscnt 0xb00
	v_mul_f64_e32 v[176:177], v[12:13], v[128:129]
	v_mul_f64_e32 v[128:129], v[14:15], v[128:129]
	v_fmac_f64_e32 v[172:173], v[6:7], v[20:21]
	v_fma_f64 v[178:179], v[4:5], v[20:21], -v[22:23]
	ds_load_b128 v[4:7], v2 offset:1056
	ds_load_b128 v[20:23], v2 offset:1072
	v_add_f64_e32 v[180:181], v[148:149], v[146:147]
	v_add_f64_e32 v[170:171], v[170:171], v[174:175]
	scratch_load_b128 v[146:149], off, off offset:416
	s_wait_loadcnt_dscnt 0xb01
	v_mul_f64_e32 v[174:175], v[4:5], v[132:133]
	v_mul_f64_e32 v[132:133], v[6:7], v[132:133]
	v_fmac_f64_e32 v[176:177], v[14:15], v[126:127]
	v_fma_f64 v[126:127], v[12:13], v[126:127], -v[128:129]
	scratch_load_b128 v[12:15], off, off offset:432
	v_add_f64_e32 v[128:129], v[180:181], v[178:179]
	v_add_f64_e32 v[170:171], v[170:171], v[172:173]
	s_wait_loadcnt_dscnt 0xb00
	v_mul_f64_e32 v[172:173], v[20:21], v[136:137]
	v_mul_f64_e32 v[136:137], v[22:23], v[136:137]
	v_fmac_f64_e32 v[174:175], v[6:7], v[130:131]
	v_fma_f64 v[178:179], v[4:5], v[130:131], -v[132:133]
	v_add_f64_e32 v[180:181], v[128:129], v[126:127]
	v_add_f64_e32 v[170:171], v[170:171], v[176:177]
	ds_load_b128 v[4:7], v2 offset:1088
	ds_load_b128 v[126:129], v2 offset:1104
	scratch_load_b128 v[130:133], off, off offset:448
	v_fmac_f64_e32 v[172:173], v[22:23], v[134:135]
	v_fma_f64 v[134:135], v[20:21], v[134:135], -v[136:137]
	scratch_load_b128 v[20:23], off, off offset:464
	s_wait_loadcnt_dscnt 0xc01
	v_mul_f64_e32 v[176:177], v[4:5], v[140:141]
	v_mul_f64_e32 v[140:141], v[6:7], v[140:141]
	v_add_f64_e32 v[136:137], v[180:181], v[178:179]
	v_add_f64_e32 v[170:171], v[170:171], v[174:175]
	s_wait_loadcnt_dscnt 0xb00
	v_mul_f64_e32 v[174:175], v[126:127], v[144:145]
	v_mul_f64_e32 v[144:145], v[128:129], v[144:145]
	v_fmac_f64_e32 v[176:177], v[6:7], v[138:139]
	v_fma_f64 v[178:179], v[4:5], v[138:139], -v[140:141]
	v_add_f64_e32 v[180:181], v[136:137], v[134:135]
	v_add_f64_e32 v[170:171], v[170:171], v[172:173]
	ds_load_b128 v[4:7], v2 offset:1120
	ds_load_b128 v[134:137], v2 offset:1136
	scratch_load_b128 v[138:141], off, off offset:480
	v_fmac_f64_e32 v[174:175], v[128:129], v[142:143]
	v_fma_f64 v[142:143], v[126:127], v[142:143], -v[144:145]
	scratch_load_b128 v[126:129], off, off offset:496
	s_wait_loadcnt_dscnt 0xc01
	v_mul_f64_e32 v[172:173], v[4:5], v[152:153]
	v_mul_f64_e32 v[152:153], v[6:7], v[152:153]
	;; [unrolled: 18-line block ×5, first 2 shown]
	v_add_f64_e32 v[164:165], v[180:181], v[178:179]
	v_add_f64_e32 v[170:171], v[170:171], v[176:177]
	s_wait_loadcnt_dscnt 0xa00
	v_mul_f64_e32 v[176:177], v[142:143], v[14:15]
	v_mul_f64_e32 v[14:15], v[144:145], v[14:15]
	v_fmac_f64_e32 v[172:173], v[6:7], v[146:147]
	v_fma_f64 v[178:179], v[4:5], v[146:147], -v[148:149]
	ds_load_b128 v[4:7], v2 offset:1248
	ds_load_b128 v[146:149], v2 offset:1264
	v_add_f64_e32 v[180:181], v[164:165], v[162:163]
	v_add_f64_e32 v[170:171], v[170:171], v[174:175]
	scratch_load_b128 v[162:165], off, off offset:608
	v_fmac_f64_e32 v[176:177], v[144:145], v[12:13]
	v_fma_f64 v[142:143], v[142:143], v[12:13], -v[14:15]
	scratch_load_b128 v[12:15], off, off offset:624
	s_wait_loadcnt_dscnt 0xb01
	v_mul_f64_e32 v[174:175], v[4:5], v[132:133]
	v_mul_f64_e32 v[132:133], v[6:7], v[132:133]
	v_add_f64_e32 v[144:145], v[180:181], v[178:179]
	v_add_f64_e32 v[170:171], v[170:171], v[172:173]
	s_wait_loadcnt_dscnt 0xa00
	v_mul_f64_e32 v[172:173], v[146:147], v[22:23]
	v_mul_f64_e32 v[22:23], v[148:149], v[22:23]
	v_fmac_f64_e32 v[174:175], v[6:7], v[130:131]
	v_fma_f64 v[178:179], v[4:5], v[130:131], -v[132:133]
	ds_load_b128 v[4:7], v2 offset:1280
	ds_load_b128 v[130:133], v2 offset:1296
	v_add_f64_e32 v[180:181], v[144:145], v[142:143]
	v_add_f64_e32 v[170:171], v[170:171], v[176:177]
	scratch_load_b128 v[142:145], off, off offset:640
	s_wait_loadcnt_dscnt 0xa01
	v_mul_f64_e32 v[176:177], v[4:5], v[140:141]
	v_mul_f64_e32 v[140:141], v[6:7], v[140:141]
	v_fmac_f64_e32 v[172:173], v[148:149], v[20:21]
	v_fma_f64 v[146:147], v[146:147], v[20:21], -v[22:23]
	scratch_load_b128 v[20:23], off, off offset:656
	v_add_f64_e32 v[148:149], v[180:181], v[178:179]
	v_add_f64_e32 v[170:171], v[170:171], v[174:175]
	s_wait_loadcnt_dscnt 0xa00
	v_mul_f64_e32 v[174:175], v[130:131], v[128:129]
	v_mul_f64_e32 v[128:129], v[132:133], v[128:129]
	v_fmac_f64_e32 v[176:177], v[6:7], v[138:139]
	v_fma_f64 v[178:179], v[4:5], v[138:139], -v[140:141]
	ds_load_b128 v[4:7], v2 offset:1312
	ds_load_b128 v[138:141], v2 offset:1328
	v_add_f64_e32 v[180:181], v[148:149], v[146:147]
	v_add_f64_e32 v[170:171], v[170:171], v[172:173]
	scratch_load_b128 v[146:149], off, off offset:672
	s_wait_loadcnt_dscnt 0xa01
	v_mul_f64_e32 v[172:173], v[4:5], v[152:153]
	v_mul_f64_e32 v[152:153], v[6:7], v[152:153]
	v_fmac_f64_e32 v[174:175], v[132:133], v[126:127]
	v_fma_f64 v[130:131], v[130:131], v[126:127], -v[128:129]
	scratch_load_b128 v[126:129], off, off offset:688
	v_add_f64_e32 v[132:133], v[180:181], v[178:179]
	v_add_f64_e32 v[170:171], v[170:171], v[176:177]
	s_wait_loadcnt_dscnt 0xa00
	v_mul_f64_e32 v[176:177], v[138:139], v[136:137]
	v_mul_f64_e32 v[136:137], v[140:141], v[136:137]
	v_fmac_f64_e32 v[172:173], v[6:7], v[150:151]
	v_fma_f64 v[178:179], v[4:5], v[150:151], -v[152:153]
	v_add_f64_e32 v[180:181], v[132:133], v[130:131]
	v_add_f64_e32 v[170:171], v[170:171], v[174:175]
	ds_load_b128 v[4:7], v2 offset:1344
	ds_load_b128 v[130:133], v2 offset:1360
	scratch_load_b128 v[150:153], off, off offset:704
	v_fmac_f64_e32 v[176:177], v[140:141], v[134:135]
	v_fma_f64 v[138:139], v[138:139], v[134:135], -v[136:137]
	scratch_load_b128 v[134:137], off, off offset:720
	s_wait_loadcnt_dscnt 0xb01
	v_mul_f64_e32 v[174:175], v[4:5], v[168:169]
	v_mul_f64_e32 v[168:169], v[6:7], v[168:169]
	v_add_f64_e32 v[140:141], v[180:181], v[178:179]
	v_add_f64_e32 v[170:171], v[170:171], v[172:173]
	s_wait_loadcnt_dscnt 0xa00
	v_mul_f64_e32 v[172:173], v[130:131], v[10:11]
	v_mul_f64_e32 v[10:11], v[132:133], v[10:11]
	v_fmac_f64_e32 v[174:175], v[6:7], v[166:167]
	v_fma_f64 v[178:179], v[4:5], v[166:167], -v[168:169]
	v_add_f64_e32 v[180:181], v[140:141], v[138:139]
	v_add_f64_e32 v[170:171], v[170:171], v[176:177]
	ds_load_b128 v[4:7], v2 offset:1376
	ds_load_b128 v[138:141], v2 offset:1392
	scratch_load_b128 v[166:169], off, off offset:736
	v_fmac_f64_e32 v[172:173], v[132:133], v[8:9]
	v_fma_f64 v[130:131], v[130:131], v[8:9], -v[10:11]
	scratch_load_b128 v[8:11], off, off offset:752
	s_wait_loadcnt_dscnt 0xb01
	v_mul_f64_e32 v[176:177], v[4:5], v[156:157]
	v_mul_f64_e32 v[156:157], v[6:7], v[156:157]
	;; [unrolled: 18-line block ×3, first 2 shown]
	v_add_f64_e32 v[140:141], v[180:181], v[178:179]
	v_add_f64_e32 v[170:171], v[170:171], v[176:177]
	s_wait_loadcnt_dscnt 0xa00
	v_mul_f64_e32 v[176:177], v[130:131], v[14:15]
	v_mul_f64_e32 v[14:15], v[132:133], v[14:15]
	v_fmac_f64_e32 v[172:173], v[6:7], v[162:163]
	v_fma_f64 v[162:163], v[4:5], v[162:163], -v[164:165]
	v_add_f64_e32 v[164:165], v[140:141], v[138:139]
	v_add_f64_e32 v[170:171], v[170:171], v[174:175]
	ds_load_b128 v[4:7], v2 offset:1440
	ds_load_b128 v[138:141], v2 offset:1456
	v_fmac_f64_e32 v[176:177], v[132:133], v[12:13]
	v_fma_f64 v[12:13], v[130:131], v[12:13], -v[14:15]
	s_wait_loadcnt_dscnt 0x901
	v_mul_f64_e32 v[174:175], v[4:5], v[144:145]
	v_mul_f64_e32 v[144:145], v[6:7], v[144:145]
	s_wait_loadcnt_dscnt 0x800
	v_mul_f64_e32 v[132:133], v[138:139], v[22:23]
	v_mul_f64_e32 v[22:23], v[140:141], v[22:23]
	v_add_f64_e32 v[14:15], v[164:165], v[162:163]
	v_add_f64_e32 v[130:131], v[170:171], v[172:173]
	v_fmac_f64_e32 v[174:175], v[6:7], v[142:143]
	v_fma_f64 v[142:143], v[4:5], v[142:143], -v[144:145]
	v_fmac_f64_e32 v[132:133], v[140:141], v[20:21]
	v_fma_f64 v[20:21], v[138:139], v[20:21], -v[22:23]
	v_add_f64_e32 v[144:145], v[14:15], v[12:13]
	v_add_f64_e32 v[130:131], v[130:131], v[176:177]
	ds_load_b128 v[4:7], v2 offset:1472
	ds_load_b128 v[12:15], v2 offset:1488
	s_wait_loadcnt_dscnt 0x701
	v_mul_f64_e32 v[162:163], v[4:5], v[148:149]
	v_mul_f64_e32 v[148:149], v[6:7], v[148:149]
	s_wait_loadcnt_dscnt 0x600
	v_mul_f64_e32 v[138:139], v[12:13], v[128:129]
	v_mul_f64_e32 v[128:129], v[14:15], v[128:129]
	v_add_f64_e32 v[22:23], v[144:145], v[142:143]
	v_add_f64_e32 v[130:131], v[130:131], v[174:175]
	v_fmac_f64_e32 v[162:163], v[6:7], v[146:147]
	v_fma_f64 v[140:141], v[4:5], v[146:147], -v[148:149]
	v_fmac_f64_e32 v[138:139], v[14:15], v[126:127]
	v_fma_f64 v[12:13], v[12:13], v[126:127], -v[128:129]
	v_add_f64_e32 v[142:143], v[22:23], v[20:21]
	v_add_f64_e32 v[130:131], v[130:131], v[132:133]
	ds_load_b128 v[4:7], v2 offset:1504
	ds_load_b128 v[20:23], v2 offset:1520
	s_wait_loadcnt_dscnt 0x501
	v_mul_f64_e32 v[132:133], v[4:5], v[152:153]
	v_mul_f64_e32 v[144:145], v[6:7], v[152:153]
	s_wait_loadcnt_dscnt 0x400
	v_mul_f64_e32 v[128:129], v[20:21], v[136:137]
	v_add_f64_e32 v[14:15], v[142:143], v[140:141]
	v_add_f64_e32 v[126:127], v[130:131], v[162:163]
	v_mul_f64_e32 v[130:131], v[22:23], v[136:137]
	v_fmac_f64_e32 v[132:133], v[6:7], v[150:151]
	v_fma_f64 v[136:137], v[4:5], v[150:151], -v[144:145]
	v_fmac_f64_e32 v[128:129], v[22:23], v[134:135]
	v_add_f64_e32 v[140:141], v[14:15], v[12:13]
	v_add_f64_e32 v[126:127], v[126:127], v[138:139]
	ds_load_b128 v[4:7], v2 offset:1536
	ds_load_b128 v[12:15], v2 offset:1552
	v_fma_f64 v[20:21], v[20:21], v[134:135], -v[130:131]
	s_wait_loadcnt_dscnt 0x301
	v_mul_f64_e32 v[138:139], v[4:5], v[168:169]
	v_mul_f64_e32 v[142:143], v[6:7], v[168:169]
	s_wait_loadcnt_dscnt 0x200
	v_mul_f64_e32 v[130:131], v[12:13], v[10:11]
	v_mul_f64_e32 v[10:11], v[14:15], v[10:11]
	v_add_f64_e32 v[22:23], v[140:141], v[136:137]
	v_add_f64_e32 v[126:127], v[126:127], v[132:133]
	v_fmac_f64_e32 v[138:139], v[6:7], v[166:167]
	v_fma_f64 v[132:133], v[4:5], v[166:167], -v[142:143]
	v_fmac_f64_e32 v[130:131], v[14:15], v[8:9]
	v_fma_f64 v[8:9], v[12:13], v[8:9], -v[10:11]
	v_add_f64_e32 v[134:135], v[22:23], v[20:21]
	v_add_f64_e32 v[126:127], v[126:127], v[128:129]
	ds_load_b128 v[4:7], v2 offset:1568
	ds_load_b128 v[20:23], v2 offset:1584
	s_wait_loadcnt_dscnt 0x101
	v_mul_f64_e32 v[2:3], v[4:5], v[156:157]
	v_mul_f64_e32 v[128:129], v[6:7], v[156:157]
	s_wait_loadcnt_dscnt 0x0
	v_mul_f64_e32 v[14:15], v[20:21], v[18:19]
	v_mul_f64_e32 v[18:19], v[22:23], v[18:19]
	v_add_f64_e32 v[10:11], v[134:135], v[132:133]
	v_add_f64_e32 v[12:13], v[126:127], v[138:139]
	v_fmac_f64_e32 v[2:3], v[6:7], v[154:155]
	v_fma_f64 v[4:5], v[4:5], v[154:155], -v[128:129]
	v_fmac_f64_e32 v[14:15], v[22:23], v[16:17]
	v_add_f64_e32 v[6:7], v[10:11], v[8:9]
	v_add_f64_e32 v[8:9], v[12:13], v[130:131]
	v_fma_f64 v[10:11], v[20:21], v[16:17], -v[18:19]
	s_delay_alu instid0(VALU_DEP_3) | instskip(NEXT) | instid1(VALU_DEP_3)
	v_add_f64_e32 v[4:5], v[6:7], v[4:5]
	v_add_f64_e32 v[2:3], v[8:9], v[2:3]
	s_delay_alu instid0(VALU_DEP_2) | instskip(NEXT) | instid1(VALU_DEP_2)
	v_add_f64_e32 v[4:5], v[4:5], v[10:11]
	v_add_f64_e32 v[6:7], v[2:3], v[14:15]
	s_delay_alu instid0(VALU_DEP_2) | instskip(NEXT) | instid1(VALU_DEP_2)
	v_add_f64_e64 v[2:3], v[158:159], -v[4:5]
	v_add_f64_e64 v[4:5], v[160:161], -v[6:7]
	scratch_store_b128 off, v[2:5], off offset:144
	s_wait_xcnt 0x0
	v_cmpx_lt_u32_e32 8, v1
	s_cbranch_execz .LBB49_297
; %bb.296:
	scratch_load_b128 v[2:5], off, s51
	v_mov_b32_e32 v6, 0
	s_delay_alu instid0(VALU_DEP_1)
	v_dual_mov_b32 v7, v6 :: v_dual_mov_b32 v8, v6
	v_mov_b32_e32 v9, v6
	scratch_store_b128 off, v[6:9], off offset:128
	s_wait_loadcnt 0x0
	ds_store_b128 v124, v[2:5]
.LBB49_297:
	s_wait_xcnt 0x0
	s_or_b32 exec_lo, exec_lo, s2
	s_wait_storecnt_dscnt 0x0
	s_barrier_signal -1
	s_barrier_wait -1
	s_clause 0x9
	scratch_load_b128 v[4:7], off, off offset:144
	scratch_load_b128 v[8:11], off, off offset:160
	scratch_load_b128 v[12:15], off, off offset:176
	scratch_load_b128 v[16:19], off, off offset:192
	scratch_load_b128 v[20:23], off, off offset:208
	scratch_load_b128 v[126:129], off, off offset:224
	scratch_load_b128 v[130:133], off, off offset:240
	scratch_load_b128 v[134:137], off, off offset:256
	scratch_load_b128 v[138:141], off, off offset:272
	scratch_load_b128 v[142:145], off, off offset:288
	v_mov_b32_e32 v2, 0
	s_mov_b32 s2, exec_lo
	ds_load_b128 v[146:149], v2 offset:944
	s_clause 0x2
	scratch_load_b128 v[150:153], off, off offset:304
	scratch_load_b128 v[154:157], off, off offset:128
	;; [unrolled: 1-line block ×3, first 2 shown]
	s_wait_loadcnt_dscnt 0xc00
	v_mul_f64_e32 v[166:167], v[148:149], v[6:7]
	v_mul_f64_e32 v[170:171], v[146:147], v[6:7]
	ds_load_b128 v[158:161], v2 offset:960
	v_fma_f64 v[174:175], v[146:147], v[4:5], -v[166:167]
	v_fmac_f64_e32 v[170:171], v[148:149], v[4:5]
	ds_load_b128 v[4:7], v2 offset:976
	s_wait_loadcnt_dscnt 0xb01
	v_mul_f64_e32 v[172:173], v[158:159], v[10:11]
	v_mul_f64_e32 v[10:11], v[160:161], v[10:11]
	scratch_load_b128 v[146:149], off, off offset:336
	ds_load_b128 v[166:169], v2 offset:992
	s_wait_loadcnt_dscnt 0xb01
	v_mul_f64_e32 v[176:177], v[4:5], v[14:15]
	v_mul_f64_e32 v[14:15], v[6:7], v[14:15]
	v_add_f64_e32 v[170:171], 0, v[170:171]
	v_fmac_f64_e32 v[172:173], v[160:161], v[8:9]
	v_fma_f64 v[158:159], v[158:159], v[8:9], -v[10:11]
	v_add_f64_e32 v[160:161], 0, v[174:175]
	scratch_load_b128 v[8:11], off, off offset:352
	v_fmac_f64_e32 v[176:177], v[6:7], v[12:13]
	v_fma_f64 v[178:179], v[4:5], v[12:13], -v[14:15]
	ds_load_b128 v[4:7], v2 offset:1008
	s_wait_loadcnt_dscnt 0xb01
	v_mul_f64_e32 v[174:175], v[166:167], v[18:19]
	v_mul_f64_e32 v[18:19], v[168:169], v[18:19]
	scratch_load_b128 v[12:15], off, off offset:368
	v_add_f64_e32 v[170:171], v[170:171], v[172:173]
	v_add_f64_e32 v[180:181], v[160:161], v[158:159]
	ds_load_b128 v[158:161], v2 offset:1024
	s_wait_loadcnt_dscnt 0xb01
	v_mul_f64_e32 v[172:173], v[4:5], v[22:23]
	v_mul_f64_e32 v[22:23], v[6:7], v[22:23]
	v_fmac_f64_e32 v[174:175], v[168:169], v[16:17]
	v_fma_f64 v[166:167], v[166:167], v[16:17], -v[18:19]
	scratch_load_b128 v[16:19], off, off offset:384
	v_add_f64_e32 v[170:171], v[170:171], v[176:177]
	v_add_f64_e32 v[168:169], v[180:181], v[178:179]
	v_fmac_f64_e32 v[172:173], v[6:7], v[20:21]
	v_fma_f64 v[178:179], v[4:5], v[20:21], -v[22:23]
	ds_load_b128 v[4:7], v2 offset:1040
	s_wait_loadcnt_dscnt 0xb01
	v_mul_f64_e32 v[176:177], v[158:159], v[128:129]
	v_mul_f64_e32 v[128:129], v[160:161], v[128:129]
	scratch_load_b128 v[20:23], off, off offset:400
	v_add_f64_e32 v[170:171], v[170:171], v[174:175]
	s_wait_loadcnt_dscnt 0xb00
	v_mul_f64_e32 v[174:175], v[4:5], v[132:133]
	v_add_f64_e32 v[180:181], v[168:169], v[166:167]
	v_mul_f64_e32 v[132:133], v[6:7], v[132:133]
	ds_load_b128 v[166:169], v2 offset:1056
	v_fmac_f64_e32 v[176:177], v[160:161], v[126:127]
	v_fma_f64 v[158:159], v[158:159], v[126:127], -v[128:129]
	scratch_load_b128 v[126:129], off, off offset:416
	v_add_f64_e32 v[170:171], v[170:171], v[172:173]
	v_fmac_f64_e32 v[174:175], v[6:7], v[130:131]
	v_add_f64_e32 v[160:161], v[180:181], v[178:179]
	v_fma_f64 v[178:179], v[4:5], v[130:131], -v[132:133]
	ds_load_b128 v[4:7], v2 offset:1072
	s_wait_loadcnt_dscnt 0xb01
	v_mul_f64_e32 v[172:173], v[166:167], v[136:137]
	v_mul_f64_e32 v[136:137], v[168:169], v[136:137]
	scratch_load_b128 v[130:133], off, off offset:432
	v_add_f64_e32 v[170:171], v[170:171], v[176:177]
	s_wait_loadcnt_dscnt 0xb00
	v_mul_f64_e32 v[176:177], v[4:5], v[140:141]
	v_add_f64_e32 v[180:181], v[160:161], v[158:159]
	v_mul_f64_e32 v[140:141], v[6:7], v[140:141]
	ds_load_b128 v[158:161], v2 offset:1088
	v_fmac_f64_e32 v[172:173], v[168:169], v[134:135]
	v_fma_f64 v[166:167], v[166:167], v[134:135], -v[136:137]
	scratch_load_b128 v[134:137], off, off offset:448
	v_add_f64_e32 v[170:171], v[170:171], v[174:175]
	v_fmac_f64_e32 v[176:177], v[6:7], v[138:139]
	v_add_f64_e32 v[168:169], v[180:181], v[178:179]
	;; [unrolled: 18-line block ×3, first 2 shown]
	v_fma_f64 v[178:179], v[4:5], v[150:151], -v[152:153]
	ds_load_b128 v[4:7], v2 offset:1136
	s_wait_loadcnt_dscnt 0xa01
	v_mul_f64_e32 v[176:177], v[166:167], v[164:165]
	v_mul_f64_e32 v[164:165], v[168:169], v[164:165]
	scratch_load_b128 v[150:153], off, off offset:496
	v_add_f64_e32 v[170:171], v[170:171], v[174:175]
	v_add_f64_e32 v[180:181], v[160:161], v[158:159]
	s_wait_loadcnt_dscnt 0xa00
	v_mul_f64_e32 v[174:175], v[4:5], v[148:149]
	v_mul_f64_e32 v[148:149], v[6:7], v[148:149]
	v_fmac_f64_e32 v[176:177], v[168:169], v[162:163]
	v_fma_f64 v[166:167], v[166:167], v[162:163], -v[164:165]
	ds_load_b128 v[158:161], v2 offset:1152
	scratch_load_b128 v[162:165], off, off offset:512
	v_add_f64_e32 v[170:171], v[170:171], v[172:173]
	v_add_f64_e32 v[168:169], v[180:181], v[178:179]
	v_fmac_f64_e32 v[174:175], v[6:7], v[146:147]
	v_fma_f64 v[178:179], v[4:5], v[146:147], -v[148:149]
	ds_load_b128 v[4:7], v2 offset:1168
	s_wait_loadcnt_dscnt 0xa01
	v_mul_f64_e32 v[172:173], v[158:159], v[10:11]
	v_mul_f64_e32 v[10:11], v[160:161], v[10:11]
	scratch_load_b128 v[146:149], off, off offset:528
	v_add_f64_e32 v[170:171], v[170:171], v[176:177]
	s_wait_loadcnt_dscnt 0xa00
	v_mul_f64_e32 v[176:177], v[4:5], v[14:15]
	v_add_f64_e32 v[180:181], v[168:169], v[166:167]
	v_mul_f64_e32 v[14:15], v[6:7], v[14:15]
	ds_load_b128 v[166:169], v2 offset:1184
	v_fmac_f64_e32 v[172:173], v[160:161], v[8:9]
	v_fma_f64 v[158:159], v[158:159], v[8:9], -v[10:11]
	scratch_load_b128 v[8:11], off, off offset:544
	v_add_f64_e32 v[170:171], v[170:171], v[174:175]
	v_fmac_f64_e32 v[176:177], v[6:7], v[12:13]
	v_add_f64_e32 v[160:161], v[180:181], v[178:179]
	v_fma_f64 v[178:179], v[4:5], v[12:13], -v[14:15]
	ds_load_b128 v[4:7], v2 offset:1200
	s_wait_loadcnt_dscnt 0xa01
	v_mul_f64_e32 v[174:175], v[166:167], v[18:19]
	v_mul_f64_e32 v[18:19], v[168:169], v[18:19]
	scratch_load_b128 v[12:15], off, off offset:560
	v_add_f64_e32 v[170:171], v[170:171], v[172:173]
	s_wait_loadcnt_dscnt 0xa00
	v_mul_f64_e32 v[172:173], v[4:5], v[22:23]
	v_add_f64_e32 v[180:181], v[160:161], v[158:159]
	v_mul_f64_e32 v[22:23], v[6:7], v[22:23]
	ds_load_b128 v[158:161], v2 offset:1216
	v_fmac_f64_e32 v[174:175], v[168:169], v[16:17]
	v_fma_f64 v[166:167], v[166:167], v[16:17], -v[18:19]
	scratch_load_b128 v[16:19], off, off offset:576
	v_add_f64_e32 v[170:171], v[170:171], v[176:177]
	v_fmac_f64_e32 v[172:173], v[6:7], v[20:21]
	v_add_f64_e32 v[168:169], v[180:181], v[178:179]
	;; [unrolled: 18-line block ×8, first 2 shown]
	v_fma_f64 v[178:179], v[4:5], v[20:21], -v[22:23]
	ds_load_b128 v[4:7], v2 offset:1424
	s_wait_loadcnt_dscnt 0xa01
	v_mul_f64_e32 v[176:177], v[158:159], v[128:129]
	v_mul_f64_e32 v[128:129], v[160:161], v[128:129]
	scratch_load_b128 v[20:23], off, off offset:784
	v_add_f64_e32 v[170:171], v[170:171], v[174:175]
	s_wait_loadcnt_dscnt 0xa00
	v_mul_f64_e32 v[174:175], v[4:5], v[132:133]
	v_add_f64_e32 v[180:181], v[168:169], v[166:167]
	v_mul_f64_e32 v[132:133], v[6:7], v[132:133]
	ds_load_b128 v[166:169], v2 offset:1440
	v_fmac_f64_e32 v[176:177], v[160:161], v[126:127]
	v_fma_f64 v[126:127], v[158:159], v[126:127], -v[128:129]
	s_wait_loadcnt_dscnt 0x900
	v_mul_f64_e32 v[160:161], v[166:167], v[136:137]
	v_mul_f64_e32 v[136:137], v[168:169], v[136:137]
	v_add_f64_e32 v[158:159], v[170:171], v[172:173]
	v_fmac_f64_e32 v[174:175], v[6:7], v[130:131]
	v_add_f64_e32 v[128:129], v[180:181], v[178:179]
	v_fma_f64 v[130:131], v[4:5], v[130:131], -v[132:133]
	v_fmac_f64_e32 v[160:161], v[168:169], v[134:135]
	v_fma_f64 v[134:135], v[166:167], v[134:135], -v[136:137]
	v_add_f64_e32 v[158:159], v[158:159], v[176:177]
	v_add_f64_e32 v[132:133], v[128:129], v[126:127]
	ds_load_b128 v[4:7], v2 offset:1456
	ds_load_b128 v[126:129], v2 offset:1472
	s_wait_loadcnt_dscnt 0x801
	v_mul_f64_e32 v[170:171], v[4:5], v[140:141]
	v_mul_f64_e32 v[140:141], v[6:7], v[140:141]
	s_wait_loadcnt_dscnt 0x700
	v_mul_f64_e32 v[136:137], v[126:127], v[144:145]
	v_mul_f64_e32 v[144:145], v[128:129], v[144:145]
	v_add_f64_e32 v[130:131], v[132:133], v[130:131]
	v_add_f64_e32 v[132:133], v[158:159], v[174:175]
	v_fmac_f64_e32 v[170:171], v[6:7], v[138:139]
	v_fma_f64 v[138:139], v[4:5], v[138:139], -v[140:141]
	v_fmac_f64_e32 v[136:137], v[128:129], v[142:143]
	v_fma_f64 v[126:127], v[126:127], v[142:143], -v[144:145]
	v_add_f64_e32 v[134:135], v[130:131], v[134:135]
	v_add_f64_e32 v[140:141], v[132:133], v[160:161]
	ds_load_b128 v[4:7], v2 offset:1488
	ds_load_b128 v[130:133], v2 offset:1504
	s_wait_loadcnt_dscnt 0x601
	v_mul_f64_e32 v[158:159], v[4:5], v[152:153]
	v_mul_f64_e32 v[152:153], v[6:7], v[152:153]
	v_add_f64_e32 v[128:129], v[134:135], v[138:139]
	v_add_f64_e32 v[134:135], v[140:141], v[170:171]
	s_wait_loadcnt_dscnt 0x500
	v_mul_f64_e32 v[138:139], v[130:131], v[164:165]
	v_mul_f64_e32 v[140:141], v[132:133], v[164:165]
	v_fmac_f64_e32 v[158:159], v[6:7], v[150:151]
	v_fma_f64 v[142:143], v[4:5], v[150:151], -v[152:153]
	v_add_f64_e32 v[144:145], v[128:129], v[126:127]
	v_add_f64_e32 v[134:135], v[134:135], v[136:137]
	ds_load_b128 v[4:7], v2 offset:1520
	ds_load_b128 v[126:129], v2 offset:1536
	v_fmac_f64_e32 v[138:139], v[132:133], v[162:163]
	v_fma_f64 v[130:131], v[130:131], v[162:163], -v[140:141]
	s_wait_loadcnt_dscnt 0x401
	v_mul_f64_e32 v[136:137], v[4:5], v[148:149]
	v_mul_f64_e32 v[148:149], v[6:7], v[148:149]
	s_wait_loadcnt_dscnt 0x300
	v_mul_f64_e32 v[140:141], v[126:127], v[10:11]
	v_mul_f64_e32 v[10:11], v[128:129], v[10:11]
	v_add_f64_e32 v[132:133], v[144:145], v[142:143]
	v_add_f64_e32 v[134:135], v[134:135], v[158:159]
	v_fmac_f64_e32 v[136:137], v[6:7], v[146:147]
	v_fma_f64 v[142:143], v[4:5], v[146:147], -v[148:149]
	v_fmac_f64_e32 v[140:141], v[128:129], v[8:9]
	v_fma_f64 v[8:9], v[126:127], v[8:9], -v[10:11]
	v_add_f64_e32 v[144:145], v[132:133], v[130:131]
	v_add_f64_e32 v[134:135], v[134:135], v[138:139]
	ds_load_b128 v[4:7], v2 offset:1552
	ds_load_b128 v[130:133], v2 offset:1568
	s_wait_loadcnt_dscnt 0x201
	v_mul_f64_e32 v[138:139], v[4:5], v[14:15]
	v_mul_f64_e32 v[14:15], v[6:7], v[14:15]
	s_wait_loadcnt_dscnt 0x100
	v_mul_f64_e32 v[128:129], v[130:131], v[18:19]
	v_mul_f64_e32 v[18:19], v[132:133], v[18:19]
	v_add_f64_e32 v[10:11], v[144:145], v[142:143]
	v_add_f64_e32 v[126:127], v[134:135], v[136:137]
	v_fmac_f64_e32 v[138:139], v[6:7], v[12:13]
	v_fma_f64 v[12:13], v[4:5], v[12:13], -v[14:15]
	ds_load_b128 v[4:7], v2 offset:1584
	v_fmac_f64_e32 v[128:129], v[132:133], v[16:17]
	v_fma_f64 v[16:17], v[130:131], v[16:17], -v[18:19]
	v_add_f64_e32 v[8:9], v[10:11], v[8:9]
	v_add_f64_e32 v[10:11], v[126:127], v[140:141]
	s_wait_loadcnt_dscnt 0x0
	v_mul_f64_e32 v[14:15], v[4:5], v[22:23]
	v_mul_f64_e32 v[22:23], v[6:7], v[22:23]
	s_delay_alu instid0(VALU_DEP_4) | instskip(NEXT) | instid1(VALU_DEP_4)
	v_add_f64_e32 v[8:9], v[8:9], v[12:13]
	v_add_f64_e32 v[10:11], v[10:11], v[138:139]
	s_delay_alu instid0(VALU_DEP_4) | instskip(NEXT) | instid1(VALU_DEP_4)
	v_fmac_f64_e32 v[14:15], v[6:7], v[20:21]
	v_fma_f64 v[4:5], v[4:5], v[20:21], -v[22:23]
	s_delay_alu instid0(VALU_DEP_4) | instskip(NEXT) | instid1(VALU_DEP_4)
	v_add_f64_e32 v[6:7], v[8:9], v[16:17]
	v_add_f64_e32 v[8:9], v[10:11], v[128:129]
	s_delay_alu instid0(VALU_DEP_2) | instskip(NEXT) | instid1(VALU_DEP_2)
	v_add_f64_e32 v[4:5], v[6:7], v[4:5]
	v_add_f64_e32 v[6:7], v[8:9], v[14:15]
	s_delay_alu instid0(VALU_DEP_2) | instskip(NEXT) | instid1(VALU_DEP_2)
	v_add_f64_e64 v[4:5], v[154:155], -v[4:5]
	v_add_f64_e64 v[6:7], v[156:157], -v[6:7]
	scratch_store_b128 off, v[4:7], off offset:128
	s_wait_xcnt 0x0
	v_cmpx_lt_u32_e32 7, v1
	s_cbranch_execz .LBB49_299
; %bb.298:
	scratch_load_b128 v[6:9], off, s58
	v_dual_mov_b32 v3, v2 :: v_dual_mov_b32 v4, v2
	v_mov_b32_e32 v5, v2
	scratch_store_b128 off, v[2:5], off offset:112
	s_wait_loadcnt 0x0
	ds_store_b128 v124, v[6:9]
.LBB49_299:
	s_wait_xcnt 0x0
	s_or_b32 exec_lo, exec_lo, s2
	s_wait_storecnt_dscnt 0x0
	s_barrier_signal -1
	s_barrier_wait -1
	s_clause 0x9
	scratch_load_b128 v[4:7], off, off offset:128
	scratch_load_b128 v[8:11], off, off offset:144
	;; [unrolled: 1-line block ×10, first 2 shown]
	ds_load_b128 v[146:149], v2 offset:928
	ds_load_b128 v[154:157], v2 offset:944
	s_clause 0x2
	scratch_load_b128 v[150:153], off, off offset:288
	scratch_load_b128 v[158:161], off, off offset:112
	;; [unrolled: 1-line block ×3, first 2 shown]
	s_mov_b32 s2, exec_lo
	s_wait_loadcnt_dscnt 0xc01
	v_mul_f64_e32 v[166:167], v[148:149], v[6:7]
	v_mul_f64_e32 v[170:171], v[146:147], v[6:7]
	s_wait_loadcnt_dscnt 0xb00
	v_mul_f64_e32 v[172:173], v[154:155], v[10:11]
	v_mul_f64_e32 v[10:11], v[156:157], v[10:11]
	s_delay_alu instid0(VALU_DEP_4) | instskip(NEXT) | instid1(VALU_DEP_4)
	v_fma_f64 v[174:175], v[146:147], v[4:5], -v[166:167]
	v_fmac_f64_e32 v[170:171], v[148:149], v[4:5]
	ds_load_b128 v[4:7], v2 offset:960
	ds_load_b128 v[146:149], v2 offset:976
	scratch_load_b128 v[166:169], off, off offset:320
	v_fmac_f64_e32 v[172:173], v[156:157], v[8:9]
	v_fma_f64 v[154:155], v[154:155], v[8:9], -v[10:11]
	scratch_load_b128 v[8:11], off, off offset:336
	s_wait_loadcnt_dscnt 0xc01
	v_mul_f64_e32 v[176:177], v[4:5], v[14:15]
	v_mul_f64_e32 v[14:15], v[6:7], v[14:15]
	v_add_f64_e32 v[156:157], 0, v[174:175]
	v_add_f64_e32 v[170:171], 0, v[170:171]
	s_wait_loadcnt_dscnt 0xb00
	v_mul_f64_e32 v[174:175], v[146:147], v[18:19]
	v_mul_f64_e32 v[18:19], v[148:149], v[18:19]
	v_fmac_f64_e32 v[176:177], v[6:7], v[12:13]
	v_fma_f64 v[178:179], v[4:5], v[12:13], -v[14:15]
	ds_load_b128 v[4:7], v2 offset:992
	ds_load_b128 v[12:15], v2 offset:1008
	v_add_f64_e32 v[180:181], v[156:157], v[154:155]
	v_add_f64_e32 v[170:171], v[170:171], v[172:173]
	scratch_load_b128 v[154:157], off, off offset:352
	v_fmac_f64_e32 v[174:175], v[148:149], v[16:17]
	v_fma_f64 v[146:147], v[146:147], v[16:17], -v[18:19]
	scratch_load_b128 v[16:19], off, off offset:368
	s_wait_loadcnt_dscnt 0xc01
	v_mul_f64_e32 v[172:173], v[4:5], v[22:23]
	v_mul_f64_e32 v[22:23], v[6:7], v[22:23]
	v_add_f64_e32 v[148:149], v[180:181], v[178:179]
	v_add_f64_e32 v[170:171], v[170:171], v[176:177]
	s_wait_loadcnt_dscnt 0xb00
	v_mul_f64_e32 v[176:177], v[12:13], v[128:129]
	v_mul_f64_e32 v[128:129], v[14:15], v[128:129]
	v_fmac_f64_e32 v[172:173], v[6:7], v[20:21]
	v_fma_f64 v[178:179], v[4:5], v[20:21], -v[22:23]
	ds_load_b128 v[4:7], v2 offset:1024
	ds_load_b128 v[20:23], v2 offset:1040
	v_add_f64_e32 v[180:181], v[148:149], v[146:147]
	v_add_f64_e32 v[170:171], v[170:171], v[174:175]
	scratch_load_b128 v[146:149], off, off offset:384
	s_wait_loadcnt_dscnt 0xb01
	v_mul_f64_e32 v[174:175], v[4:5], v[132:133]
	v_mul_f64_e32 v[132:133], v[6:7], v[132:133]
	v_fmac_f64_e32 v[176:177], v[14:15], v[126:127]
	v_fma_f64 v[126:127], v[12:13], v[126:127], -v[128:129]
	scratch_load_b128 v[12:15], off, off offset:400
	v_add_f64_e32 v[128:129], v[180:181], v[178:179]
	v_add_f64_e32 v[170:171], v[170:171], v[172:173]
	s_wait_loadcnt_dscnt 0xb00
	v_mul_f64_e32 v[172:173], v[20:21], v[136:137]
	v_mul_f64_e32 v[136:137], v[22:23], v[136:137]
	v_fmac_f64_e32 v[174:175], v[6:7], v[130:131]
	v_fma_f64 v[178:179], v[4:5], v[130:131], -v[132:133]
	v_add_f64_e32 v[180:181], v[128:129], v[126:127]
	v_add_f64_e32 v[170:171], v[170:171], v[176:177]
	ds_load_b128 v[4:7], v2 offset:1056
	ds_load_b128 v[126:129], v2 offset:1072
	scratch_load_b128 v[130:133], off, off offset:416
	v_fmac_f64_e32 v[172:173], v[22:23], v[134:135]
	v_fma_f64 v[134:135], v[20:21], v[134:135], -v[136:137]
	scratch_load_b128 v[20:23], off, off offset:432
	s_wait_loadcnt_dscnt 0xc01
	v_mul_f64_e32 v[176:177], v[4:5], v[140:141]
	v_mul_f64_e32 v[140:141], v[6:7], v[140:141]
	v_add_f64_e32 v[136:137], v[180:181], v[178:179]
	v_add_f64_e32 v[170:171], v[170:171], v[174:175]
	s_wait_loadcnt_dscnt 0xb00
	v_mul_f64_e32 v[174:175], v[126:127], v[144:145]
	v_mul_f64_e32 v[144:145], v[128:129], v[144:145]
	v_fmac_f64_e32 v[176:177], v[6:7], v[138:139]
	v_fma_f64 v[178:179], v[4:5], v[138:139], -v[140:141]
	v_add_f64_e32 v[180:181], v[136:137], v[134:135]
	v_add_f64_e32 v[170:171], v[170:171], v[172:173]
	ds_load_b128 v[4:7], v2 offset:1088
	ds_load_b128 v[134:137], v2 offset:1104
	scratch_load_b128 v[138:141], off, off offset:448
	v_fmac_f64_e32 v[174:175], v[128:129], v[142:143]
	v_fma_f64 v[142:143], v[126:127], v[142:143], -v[144:145]
	scratch_load_b128 v[126:129], off, off offset:464
	s_wait_loadcnt_dscnt 0xc01
	v_mul_f64_e32 v[172:173], v[4:5], v[152:153]
	v_mul_f64_e32 v[152:153], v[6:7], v[152:153]
	;; [unrolled: 18-line block ×5, first 2 shown]
	v_add_f64_e32 v[164:165], v[180:181], v[178:179]
	v_add_f64_e32 v[170:171], v[170:171], v[176:177]
	s_wait_loadcnt_dscnt 0xa00
	v_mul_f64_e32 v[176:177], v[142:143], v[14:15]
	v_mul_f64_e32 v[14:15], v[144:145], v[14:15]
	v_fmac_f64_e32 v[172:173], v[6:7], v[146:147]
	v_fma_f64 v[178:179], v[4:5], v[146:147], -v[148:149]
	ds_load_b128 v[4:7], v2 offset:1216
	ds_load_b128 v[146:149], v2 offset:1232
	v_add_f64_e32 v[180:181], v[164:165], v[162:163]
	v_add_f64_e32 v[170:171], v[170:171], v[174:175]
	scratch_load_b128 v[162:165], off, off offset:576
	v_fmac_f64_e32 v[176:177], v[144:145], v[12:13]
	v_fma_f64 v[142:143], v[142:143], v[12:13], -v[14:15]
	scratch_load_b128 v[12:15], off, off offset:592
	s_wait_loadcnt_dscnt 0xb01
	v_mul_f64_e32 v[174:175], v[4:5], v[132:133]
	v_mul_f64_e32 v[132:133], v[6:7], v[132:133]
	v_add_f64_e32 v[144:145], v[180:181], v[178:179]
	v_add_f64_e32 v[170:171], v[170:171], v[172:173]
	s_wait_loadcnt_dscnt 0xa00
	v_mul_f64_e32 v[172:173], v[146:147], v[22:23]
	v_mul_f64_e32 v[22:23], v[148:149], v[22:23]
	v_fmac_f64_e32 v[174:175], v[6:7], v[130:131]
	v_fma_f64 v[178:179], v[4:5], v[130:131], -v[132:133]
	ds_load_b128 v[4:7], v2 offset:1248
	ds_load_b128 v[130:133], v2 offset:1264
	v_add_f64_e32 v[180:181], v[144:145], v[142:143]
	v_add_f64_e32 v[170:171], v[170:171], v[176:177]
	scratch_load_b128 v[142:145], off, off offset:608
	s_wait_loadcnt_dscnt 0xa01
	v_mul_f64_e32 v[176:177], v[4:5], v[140:141]
	v_mul_f64_e32 v[140:141], v[6:7], v[140:141]
	v_fmac_f64_e32 v[172:173], v[148:149], v[20:21]
	v_fma_f64 v[146:147], v[146:147], v[20:21], -v[22:23]
	scratch_load_b128 v[20:23], off, off offset:624
	v_add_f64_e32 v[148:149], v[180:181], v[178:179]
	v_add_f64_e32 v[170:171], v[170:171], v[174:175]
	s_wait_loadcnt_dscnt 0xa00
	v_mul_f64_e32 v[174:175], v[130:131], v[128:129]
	v_mul_f64_e32 v[128:129], v[132:133], v[128:129]
	v_fmac_f64_e32 v[176:177], v[6:7], v[138:139]
	v_fma_f64 v[178:179], v[4:5], v[138:139], -v[140:141]
	ds_load_b128 v[4:7], v2 offset:1280
	ds_load_b128 v[138:141], v2 offset:1296
	v_add_f64_e32 v[180:181], v[148:149], v[146:147]
	v_add_f64_e32 v[170:171], v[170:171], v[172:173]
	scratch_load_b128 v[146:149], off, off offset:640
	s_wait_loadcnt_dscnt 0xa01
	v_mul_f64_e32 v[172:173], v[4:5], v[152:153]
	v_mul_f64_e32 v[152:153], v[6:7], v[152:153]
	v_fmac_f64_e32 v[174:175], v[132:133], v[126:127]
	v_fma_f64 v[130:131], v[130:131], v[126:127], -v[128:129]
	scratch_load_b128 v[126:129], off, off offset:656
	v_add_f64_e32 v[132:133], v[180:181], v[178:179]
	v_add_f64_e32 v[170:171], v[170:171], v[176:177]
	s_wait_loadcnt_dscnt 0xa00
	v_mul_f64_e32 v[176:177], v[138:139], v[136:137]
	v_mul_f64_e32 v[136:137], v[140:141], v[136:137]
	v_fmac_f64_e32 v[172:173], v[6:7], v[150:151]
	v_fma_f64 v[178:179], v[4:5], v[150:151], -v[152:153]
	v_add_f64_e32 v[180:181], v[132:133], v[130:131]
	v_add_f64_e32 v[170:171], v[170:171], v[174:175]
	ds_load_b128 v[4:7], v2 offset:1312
	ds_load_b128 v[130:133], v2 offset:1328
	scratch_load_b128 v[150:153], off, off offset:672
	v_fmac_f64_e32 v[176:177], v[140:141], v[134:135]
	v_fma_f64 v[138:139], v[138:139], v[134:135], -v[136:137]
	scratch_load_b128 v[134:137], off, off offset:688
	s_wait_loadcnt_dscnt 0xb01
	v_mul_f64_e32 v[174:175], v[4:5], v[168:169]
	v_mul_f64_e32 v[168:169], v[6:7], v[168:169]
	v_add_f64_e32 v[140:141], v[180:181], v[178:179]
	v_add_f64_e32 v[170:171], v[170:171], v[172:173]
	s_wait_loadcnt_dscnt 0xa00
	v_mul_f64_e32 v[172:173], v[130:131], v[10:11]
	v_mul_f64_e32 v[10:11], v[132:133], v[10:11]
	v_fmac_f64_e32 v[174:175], v[6:7], v[166:167]
	v_fma_f64 v[178:179], v[4:5], v[166:167], -v[168:169]
	v_add_f64_e32 v[180:181], v[140:141], v[138:139]
	v_add_f64_e32 v[170:171], v[170:171], v[176:177]
	ds_load_b128 v[4:7], v2 offset:1344
	ds_load_b128 v[138:141], v2 offset:1360
	scratch_load_b128 v[166:169], off, off offset:704
	v_fmac_f64_e32 v[172:173], v[132:133], v[8:9]
	v_fma_f64 v[130:131], v[130:131], v[8:9], -v[10:11]
	scratch_load_b128 v[8:11], off, off offset:720
	s_wait_loadcnt_dscnt 0xb01
	v_mul_f64_e32 v[176:177], v[4:5], v[156:157]
	v_mul_f64_e32 v[156:157], v[6:7], v[156:157]
	;; [unrolled: 18-line block ×4, first 2 shown]
	v_add_f64_e32 v[132:133], v[180:181], v[178:179]
	v_add_f64_e32 v[170:171], v[170:171], v[172:173]
	s_wait_loadcnt_dscnt 0xa00
	v_mul_f64_e32 v[172:173], v[138:139], v[22:23]
	v_mul_f64_e32 v[22:23], v[140:141], v[22:23]
	v_fmac_f64_e32 v[174:175], v[6:7], v[142:143]
	v_fma_f64 v[142:143], v[4:5], v[142:143], -v[144:145]
	v_add_f64_e32 v[144:145], v[132:133], v[130:131]
	v_add_f64_e32 v[170:171], v[170:171], v[176:177]
	ds_load_b128 v[4:7], v2 offset:1440
	ds_load_b128 v[130:133], v2 offset:1456
	v_fmac_f64_e32 v[172:173], v[140:141], v[20:21]
	v_fma_f64 v[20:21], v[138:139], v[20:21], -v[22:23]
	s_wait_loadcnt_dscnt 0x901
	v_mul_f64_e32 v[176:177], v[4:5], v[148:149]
	v_mul_f64_e32 v[148:149], v[6:7], v[148:149]
	s_wait_loadcnt_dscnt 0x800
	v_mul_f64_e32 v[140:141], v[130:131], v[128:129]
	v_mul_f64_e32 v[128:129], v[132:133], v[128:129]
	v_add_f64_e32 v[22:23], v[144:145], v[142:143]
	v_add_f64_e32 v[138:139], v[170:171], v[174:175]
	v_fmac_f64_e32 v[176:177], v[6:7], v[146:147]
	v_fma_f64 v[142:143], v[4:5], v[146:147], -v[148:149]
	v_fmac_f64_e32 v[140:141], v[132:133], v[126:127]
	v_fma_f64 v[126:127], v[130:131], v[126:127], -v[128:129]
	v_add_f64_e32 v[144:145], v[22:23], v[20:21]
	v_add_f64_e32 v[138:139], v[138:139], v[172:173]
	ds_load_b128 v[4:7], v2 offset:1472
	ds_load_b128 v[20:23], v2 offset:1488
	s_wait_loadcnt_dscnt 0x701
	v_mul_f64_e32 v[146:147], v[4:5], v[152:153]
	v_mul_f64_e32 v[148:149], v[6:7], v[152:153]
	s_wait_loadcnt_dscnt 0x600
	v_mul_f64_e32 v[132:133], v[20:21], v[136:137]
	v_mul_f64_e32 v[136:137], v[22:23], v[136:137]
	v_add_f64_e32 v[128:129], v[144:145], v[142:143]
	v_add_f64_e32 v[130:131], v[138:139], v[176:177]
	v_fmac_f64_e32 v[146:147], v[6:7], v[150:151]
	v_fma_f64 v[138:139], v[4:5], v[150:151], -v[148:149]
	v_fmac_f64_e32 v[132:133], v[22:23], v[134:135]
	v_fma_f64 v[20:21], v[20:21], v[134:135], -v[136:137]
	v_add_f64_e32 v[142:143], v[128:129], v[126:127]
	v_add_f64_e32 v[130:131], v[130:131], v[140:141]
	ds_load_b128 v[4:7], v2 offset:1504
	ds_load_b128 v[126:129], v2 offset:1520
	;; [unrolled: 16-line block ×4, first 2 shown]
	s_wait_loadcnt_dscnt 0x101
	v_mul_f64_e32 v[2:3], v[4:5], v[164:165]
	v_mul_f64_e32 v[134:135], v[6:7], v[164:165]
	s_wait_loadcnt_dscnt 0x0
	v_mul_f64_e32 v[22:23], v[8:9], v[14:15]
	v_mul_f64_e32 v[14:15], v[10:11], v[14:15]
	v_add_f64_e32 v[18:19], v[136:137], v[130:131]
	v_add_f64_e32 v[20:21], v[126:127], v[132:133]
	v_fmac_f64_e32 v[2:3], v[6:7], v[162:163]
	v_fma_f64 v[4:5], v[4:5], v[162:163], -v[134:135]
	v_fmac_f64_e32 v[22:23], v[10:11], v[12:13]
	v_fma_f64 v[8:9], v[8:9], v[12:13], -v[14:15]
	v_add_f64_e32 v[6:7], v[18:19], v[16:17]
	v_add_f64_e32 v[16:17], v[20:21], v[128:129]
	s_delay_alu instid0(VALU_DEP_2) | instskip(NEXT) | instid1(VALU_DEP_2)
	v_add_f64_e32 v[4:5], v[6:7], v[4:5]
	v_add_f64_e32 v[2:3], v[16:17], v[2:3]
	s_delay_alu instid0(VALU_DEP_2) | instskip(NEXT) | instid1(VALU_DEP_2)
	;; [unrolled: 3-line block ×3, first 2 shown]
	v_add_f64_e64 v[2:3], v[158:159], -v[4:5]
	v_add_f64_e64 v[4:5], v[160:161], -v[6:7]
	scratch_store_b128 off, v[2:5], off offset:112
	s_wait_xcnt 0x0
	v_cmpx_lt_u32_e32 6, v1
	s_cbranch_execz .LBB49_301
; %bb.300:
	scratch_load_b128 v[2:5], off, s55
	v_mov_b32_e32 v6, 0
	s_delay_alu instid0(VALU_DEP_1)
	v_dual_mov_b32 v7, v6 :: v_dual_mov_b32 v8, v6
	v_mov_b32_e32 v9, v6
	scratch_store_b128 off, v[6:9], off offset:96
	s_wait_loadcnt 0x0
	ds_store_b128 v124, v[2:5]
.LBB49_301:
	s_wait_xcnt 0x0
	s_or_b32 exec_lo, exec_lo, s2
	s_wait_storecnt_dscnt 0x0
	s_barrier_signal -1
	s_barrier_wait -1
	s_clause 0x9
	scratch_load_b128 v[4:7], off, off offset:112
	scratch_load_b128 v[8:11], off, off offset:128
	;; [unrolled: 1-line block ×10, first 2 shown]
	v_mov_b32_e32 v2, 0
	s_mov_b32 s2, exec_lo
	ds_load_b128 v[146:149], v2 offset:912
	s_clause 0x2
	scratch_load_b128 v[150:153], off, off offset:272
	scratch_load_b128 v[154:157], off, off offset:96
	;; [unrolled: 1-line block ×3, first 2 shown]
	s_wait_loadcnt_dscnt 0xc00
	v_mul_f64_e32 v[166:167], v[148:149], v[6:7]
	v_mul_f64_e32 v[170:171], v[146:147], v[6:7]
	ds_load_b128 v[158:161], v2 offset:928
	v_fma_f64 v[174:175], v[146:147], v[4:5], -v[166:167]
	v_fmac_f64_e32 v[170:171], v[148:149], v[4:5]
	ds_load_b128 v[4:7], v2 offset:944
	s_wait_loadcnt_dscnt 0xb01
	v_mul_f64_e32 v[172:173], v[158:159], v[10:11]
	v_mul_f64_e32 v[10:11], v[160:161], v[10:11]
	scratch_load_b128 v[146:149], off, off offset:304
	ds_load_b128 v[166:169], v2 offset:960
	s_wait_loadcnt_dscnt 0xb01
	v_mul_f64_e32 v[176:177], v[4:5], v[14:15]
	v_mul_f64_e32 v[14:15], v[6:7], v[14:15]
	v_add_f64_e32 v[170:171], 0, v[170:171]
	v_fmac_f64_e32 v[172:173], v[160:161], v[8:9]
	v_fma_f64 v[158:159], v[158:159], v[8:9], -v[10:11]
	v_add_f64_e32 v[160:161], 0, v[174:175]
	scratch_load_b128 v[8:11], off, off offset:320
	v_fmac_f64_e32 v[176:177], v[6:7], v[12:13]
	v_fma_f64 v[178:179], v[4:5], v[12:13], -v[14:15]
	ds_load_b128 v[4:7], v2 offset:976
	s_wait_loadcnt_dscnt 0xb01
	v_mul_f64_e32 v[174:175], v[166:167], v[18:19]
	v_mul_f64_e32 v[18:19], v[168:169], v[18:19]
	scratch_load_b128 v[12:15], off, off offset:336
	v_add_f64_e32 v[170:171], v[170:171], v[172:173]
	v_add_f64_e32 v[180:181], v[160:161], v[158:159]
	ds_load_b128 v[158:161], v2 offset:992
	s_wait_loadcnt_dscnt 0xb01
	v_mul_f64_e32 v[172:173], v[4:5], v[22:23]
	v_mul_f64_e32 v[22:23], v[6:7], v[22:23]
	v_fmac_f64_e32 v[174:175], v[168:169], v[16:17]
	v_fma_f64 v[166:167], v[166:167], v[16:17], -v[18:19]
	scratch_load_b128 v[16:19], off, off offset:352
	v_add_f64_e32 v[170:171], v[170:171], v[176:177]
	v_add_f64_e32 v[168:169], v[180:181], v[178:179]
	v_fmac_f64_e32 v[172:173], v[6:7], v[20:21]
	v_fma_f64 v[178:179], v[4:5], v[20:21], -v[22:23]
	ds_load_b128 v[4:7], v2 offset:1008
	s_wait_loadcnt_dscnt 0xb01
	v_mul_f64_e32 v[176:177], v[158:159], v[128:129]
	v_mul_f64_e32 v[128:129], v[160:161], v[128:129]
	scratch_load_b128 v[20:23], off, off offset:368
	v_add_f64_e32 v[170:171], v[170:171], v[174:175]
	s_wait_loadcnt_dscnt 0xb00
	v_mul_f64_e32 v[174:175], v[4:5], v[132:133]
	v_add_f64_e32 v[180:181], v[168:169], v[166:167]
	v_mul_f64_e32 v[132:133], v[6:7], v[132:133]
	ds_load_b128 v[166:169], v2 offset:1024
	v_fmac_f64_e32 v[176:177], v[160:161], v[126:127]
	v_fma_f64 v[158:159], v[158:159], v[126:127], -v[128:129]
	scratch_load_b128 v[126:129], off, off offset:384
	v_add_f64_e32 v[170:171], v[170:171], v[172:173]
	v_fmac_f64_e32 v[174:175], v[6:7], v[130:131]
	v_add_f64_e32 v[160:161], v[180:181], v[178:179]
	v_fma_f64 v[178:179], v[4:5], v[130:131], -v[132:133]
	ds_load_b128 v[4:7], v2 offset:1040
	s_wait_loadcnt_dscnt 0xb01
	v_mul_f64_e32 v[172:173], v[166:167], v[136:137]
	v_mul_f64_e32 v[136:137], v[168:169], v[136:137]
	scratch_load_b128 v[130:133], off, off offset:400
	v_add_f64_e32 v[170:171], v[170:171], v[176:177]
	s_wait_loadcnt_dscnt 0xb00
	v_mul_f64_e32 v[176:177], v[4:5], v[140:141]
	v_add_f64_e32 v[180:181], v[160:161], v[158:159]
	v_mul_f64_e32 v[140:141], v[6:7], v[140:141]
	ds_load_b128 v[158:161], v2 offset:1056
	v_fmac_f64_e32 v[172:173], v[168:169], v[134:135]
	v_fma_f64 v[166:167], v[166:167], v[134:135], -v[136:137]
	scratch_load_b128 v[134:137], off, off offset:416
	v_add_f64_e32 v[170:171], v[170:171], v[174:175]
	v_fmac_f64_e32 v[176:177], v[6:7], v[138:139]
	v_add_f64_e32 v[168:169], v[180:181], v[178:179]
	;; [unrolled: 18-line block ×3, first 2 shown]
	v_fma_f64 v[178:179], v[4:5], v[150:151], -v[152:153]
	ds_load_b128 v[4:7], v2 offset:1104
	s_wait_loadcnt_dscnt 0xa01
	v_mul_f64_e32 v[176:177], v[166:167], v[164:165]
	v_mul_f64_e32 v[164:165], v[168:169], v[164:165]
	scratch_load_b128 v[150:153], off, off offset:464
	v_add_f64_e32 v[170:171], v[170:171], v[174:175]
	v_add_f64_e32 v[180:181], v[160:161], v[158:159]
	s_wait_loadcnt_dscnt 0xa00
	v_mul_f64_e32 v[174:175], v[4:5], v[148:149]
	v_mul_f64_e32 v[148:149], v[6:7], v[148:149]
	v_fmac_f64_e32 v[176:177], v[168:169], v[162:163]
	v_fma_f64 v[166:167], v[166:167], v[162:163], -v[164:165]
	ds_load_b128 v[158:161], v2 offset:1120
	scratch_load_b128 v[162:165], off, off offset:480
	v_add_f64_e32 v[170:171], v[170:171], v[172:173]
	v_add_f64_e32 v[168:169], v[180:181], v[178:179]
	v_fmac_f64_e32 v[174:175], v[6:7], v[146:147]
	v_fma_f64 v[178:179], v[4:5], v[146:147], -v[148:149]
	ds_load_b128 v[4:7], v2 offset:1136
	s_wait_loadcnt_dscnt 0xa01
	v_mul_f64_e32 v[172:173], v[158:159], v[10:11]
	v_mul_f64_e32 v[10:11], v[160:161], v[10:11]
	scratch_load_b128 v[146:149], off, off offset:496
	v_add_f64_e32 v[170:171], v[170:171], v[176:177]
	s_wait_loadcnt_dscnt 0xa00
	v_mul_f64_e32 v[176:177], v[4:5], v[14:15]
	v_add_f64_e32 v[180:181], v[168:169], v[166:167]
	v_mul_f64_e32 v[14:15], v[6:7], v[14:15]
	ds_load_b128 v[166:169], v2 offset:1152
	v_fmac_f64_e32 v[172:173], v[160:161], v[8:9]
	v_fma_f64 v[158:159], v[158:159], v[8:9], -v[10:11]
	scratch_load_b128 v[8:11], off, off offset:512
	v_add_f64_e32 v[170:171], v[170:171], v[174:175]
	v_fmac_f64_e32 v[176:177], v[6:7], v[12:13]
	v_add_f64_e32 v[160:161], v[180:181], v[178:179]
	v_fma_f64 v[178:179], v[4:5], v[12:13], -v[14:15]
	ds_load_b128 v[4:7], v2 offset:1168
	s_wait_loadcnt_dscnt 0xa01
	v_mul_f64_e32 v[174:175], v[166:167], v[18:19]
	v_mul_f64_e32 v[18:19], v[168:169], v[18:19]
	scratch_load_b128 v[12:15], off, off offset:528
	v_add_f64_e32 v[170:171], v[170:171], v[172:173]
	s_wait_loadcnt_dscnt 0xa00
	v_mul_f64_e32 v[172:173], v[4:5], v[22:23]
	v_add_f64_e32 v[180:181], v[160:161], v[158:159]
	v_mul_f64_e32 v[22:23], v[6:7], v[22:23]
	ds_load_b128 v[158:161], v2 offset:1184
	v_fmac_f64_e32 v[174:175], v[168:169], v[16:17]
	v_fma_f64 v[166:167], v[166:167], v[16:17], -v[18:19]
	scratch_load_b128 v[16:19], off, off offset:544
	v_add_f64_e32 v[170:171], v[170:171], v[176:177]
	v_fmac_f64_e32 v[172:173], v[6:7], v[20:21]
	v_add_f64_e32 v[168:169], v[180:181], v[178:179]
	;; [unrolled: 18-line block ×9, first 2 shown]
	v_fma_f64 v[178:179], v[4:5], v[130:131], -v[132:133]
	ds_load_b128 v[4:7], v2 offset:1424
	s_wait_loadcnt_dscnt 0xa01
	v_mul_f64_e32 v[172:173], v[166:167], v[136:137]
	v_mul_f64_e32 v[136:137], v[168:169], v[136:137]
	scratch_load_b128 v[130:133], off, off offset:784
	v_add_f64_e32 v[170:171], v[170:171], v[176:177]
	s_wait_loadcnt_dscnt 0xa00
	v_mul_f64_e32 v[176:177], v[4:5], v[140:141]
	v_add_f64_e32 v[180:181], v[160:161], v[158:159]
	v_mul_f64_e32 v[140:141], v[6:7], v[140:141]
	ds_load_b128 v[158:161], v2 offset:1440
	v_fmac_f64_e32 v[172:173], v[168:169], v[134:135]
	v_fma_f64 v[134:135], v[166:167], v[134:135], -v[136:137]
	s_wait_loadcnt_dscnt 0x900
	v_mul_f64_e32 v[168:169], v[158:159], v[144:145]
	v_mul_f64_e32 v[144:145], v[160:161], v[144:145]
	v_add_f64_e32 v[166:167], v[170:171], v[174:175]
	v_fmac_f64_e32 v[176:177], v[6:7], v[138:139]
	v_add_f64_e32 v[136:137], v[180:181], v[178:179]
	v_fma_f64 v[138:139], v[4:5], v[138:139], -v[140:141]
	v_fmac_f64_e32 v[168:169], v[160:161], v[142:143]
	v_fma_f64 v[142:143], v[158:159], v[142:143], -v[144:145]
	v_add_f64_e32 v[166:167], v[166:167], v[172:173]
	v_add_f64_e32 v[140:141], v[136:137], v[134:135]
	ds_load_b128 v[4:7], v2 offset:1456
	ds_load_b128 v[134:137], v2 offset:1472
	s_wait_loadcnt_dscnt 0x801
	v_mul_f64_e32 v[170:171], v[4:5], v[152:153]
	v_mul_f64_e32 v[152:153], v[6:7], v[152:153]
	s_wait_loadcnt_dscnt 0x700
	v_mul_f64_e32 v[144:145], v[134:135], v[164:165]
	v_mul_f64_e32 v[158:159], v[136:137], v[164:165]
	v_add_f64_e32 v[138:139], v[140:141], v[138:139]
	v_add_f64_e32 v[140:141], v[166:167], v[176:177]
	v_fmac_f64_e32 v[170:171], v[6:7], v[150:151]
	v_fma_f64 v[150:151], v[4:5], v[150:151], -v[152:153]
	v_fmac_f64_e32 v[144:145], v[136:137], v[162:163]
	v_fma_f64 v[134:135], v[134:135], v[162:163], -v[158:159]
	v_add_f64_e32 v[142:143], v[138:139], v[142:143]
	v_add_f64_e32 v[152:153], v[140:141], v[168:169]
	ds_load_b128 v[4:7], v2 offset:1488
	ds_load_b128 v[138:141], v2 offset:1504
	s_wait_loadcnt_dscnt 0x601
	v_mul_f64_e32 v[160:161], v[4:5], v[148:149]
	v_mul_f64_e32 v[148:149], v[6:7], v[148:149]
	v_add_f64_e32 v[136:137], v[142:143], v[150:151]
	v_add_f64_e32 v[142:143], v[152:153], v[170:171]
	s_wait_loadcnt_dscnt 0x500
	v_mul_f64_e32 v[150:151], v[138:139], v[10:11]
	v_mul_f64_e32 v[10:11], v[140:141], v[10:11]
	v_fmac_f64_e32 v[160:161], v[6:7], v[146:147]
	v_fma_f64 v[146:147], v[4:5], v[146:147], -v[148:149]
	v_add_f64_e32 v[148:149], v[136:137], v[134:135]
	v_add_f64_e32 v[142:143], v[142:143], v[144:145]
	ds_load_b128 v[4:7], v2 offset:1520
	ds_load_b128 v[134:137], v2 offset:1536
	v_fmac_f64_e32 v[150:151], v[140:141], v[8:9]
	v_fma_f64 v[8:9], v[138:139], v[8:9], -v[10:11]
	s_wait_loadcnt_dscnt 0x401
	v_mul_f64_e32 v[144:145], v[4:5], v[14:15]
	v_mul_f64_e32 v[14:15], v[6:7], v[14:15]
	s_wait_loadcnt_dscnt 0x300
	v_mul_f64_e32 v[140:141], v[134:135], v[18:19]
	v_mul_f64_e32 v[18:19], v[136:137], v[18:19]
	v_add_f64_e32 v[10:11], v[148:149], v[146:147]
	v_add_f64_e32 v[138:139], v[142:143], v[160:161]
	v_fmac_f64_e32 v[144:145], v[6:7], v[12:13]
	v_fma_f64 v[12:13], v[4:5], v[12:13], -v[14:15]
	v_fmac_f64_e32 v[140:141], v[136:137], v[16:17]
	v_fma_f64 v[16:17], v[134:135], v[16:17], -v[18:19]
	v_add_f64_e32 v[14:15], v[10:11], v[8:9]
	v_add_f64_e32 v[138:139], v[138:139], v[150:151]
	ds_load_b128 v[4:7], v2 offset:1552
	ds_load_b128 v[8:11], v2 offset:1568
	s_wait_loadcnt_dscnt 0x201
	v_mul_f64_e32 v[142:143], v[4:5], v[22:23]
	v_mul_f64_e32 v[22:23], v[6:7], v[22:23]
	s_wait_loadcnt_dscnt 0x100
	v_mul_f64_e32 v[18:19], v[8:9], v[128:129]
	v_mul_f64_e32 v[128:129], v[10:11], v[128:129]
	v_add_f64_e32 v[12:13], v[14:15], v[12:13]
	v_add_f64_e32 v[14:15], v[138:139], v[144:145]
	v_fmac_f64_e32 v[142:143], v[6:7], v[20:21]
	v_fma_f64 v[20:21], v[4:5], v[20:21], -v[22:23]
	ds_load_b128 v[4:7], v2 offset:1584
	v_fmac_f64_e32 v[18:19], v[10:11], v[126:127]
	v_fma_f64 v[8:9], v[8:9], v[126:127], -v[128:129]
	v_add_f64_e32 v[12:13], v[12:13], v[16:17]
	v_add_f64_e32 v[14:15], v[14:15], v[140:141]
	s_wait_loadcnt_dscnt 0x0
	v_mul_f64_e32 v[16:17], v[4:5], v[132:133]
	v_mul_f64_e32 v[22:23], v[6:7], v[132:133]
	s_delay_alu instid0(VALU_DEP_4) | instskip(NEXT) | instid1(VALU_DEP_4)
	v_add_f64_e32 v[10:11], v[12:13], v[20:21]
	v_add_f64_e32 v[12:13], v[14:15], v[142:143]
	s_delay_alu instid0(VALU_DEP_4) | instskip(NEXT) | instid1(VALU_DEP_4)
	v_fmac_f64_e32 v[16:17], v[6:7], v[130:131]
	v_fma_f64 v[4:5], v[4:5], v[130:131], -v[22:23]
	s_delay_alu instid0(VALU_DEP_4) | instskip(NEXT) | instid1(VALU_DEP_4)
	v_add_f64_e32 v[6:7], v[10:11], v[8:9]
	v_add_f64_e32 v[8:9], v[12:13], v[18:19]
	s_delay_alu instid0(VALU_DEP_2) | instskip(NEXT) | instid1(VALU_DEP_2)
	v_add_f64_e32 v[4:5], v[6:7], v[4:5]
	v_add_f64_e32 v[6:7], v[8:9], v[16:17]
	s_delay_alu instid0(VALU_DEP_2) | instskip(NEXT) | instid1(VALU_DEP_2)
	v_add_f64_e64 v[4:5], v[154:155], -v[4:5]
	v_add_f64_e64 v[6:7], v[156:157], -v[6:7]
	scratch_store_b128 off, v[4:7], off offset:96
	s_wait_xcnt 0x0
	v_cmpx_lt_u32_e32 5, v1
	s_cbranch_execz .LBB49_303
; %bb.302:
	scratch_load_b128 v[6:9], off, s53
	v_dual_mov_b32 v3, v2 :: v_dual_mov_b32 v4, v2
	v_mov_b32_e32 v5, v2
	scratch_store_b128 off, v[2:5], off offset:80
	s_wait_loadcnt 0x0
	ds_store_b128 v124, v[6:9]
.LBB49_303:
	s_wait_xcnt 0x0
	s_or_b32 exec_lo, exec_lo, s2
	s_wait_storecnt_dscnt 0x0
	s_barrier_signal -1
	s_barrier_wait -1
	s_clause 0x9
	scratch_load_b128 v[4:7], off, off offset:96
	scratch_load_b128 v[8:11], off, off offset:112
	;; [unrolled: 1-line block ×10, first 2 shown]
	ds_load_b128 v[146:149], v2 offset:896
	ds_load_b128 v[154:157], v2 offset:912
	s_clause 0x2
	scratch_load_b128 v[150:153], off, off offset:256
	scratch_load_b128 v[158:161], off, off offset:80
	;; [unrolled: 1-line block ×3, first 2 shown]
	s_mov_b32 s2, exec_lo
	s_wait_loadcnt_dscnt 0xc01
	v_mul_f64_e32 v[166:167], v[148:149], v[6:7]
	v_mul_f64_e32 v[170:171], v[146:147], v[6:7]
	s_wait_loadcnt_dscnt 0xb00
	v_mul_f64_e32 v[172:173], v[154:155], v[10:11]
	v_mul_f64_e32 v[10:11], v[156:157], v[10:11]
	s_delay_alu instid0(VALU_DEP_4) | instskip(NEXT) | instid1(VALU_DEP_4)
	v_fma_f64 v[174:175], v[146:147], v[4:5], -v[166:167]
	v_fmac_f64_e32 v[170:171], v[148:149], v[4:5]
	ds_load_b128 v[4:7], v2 offset:928
	ds_load_b128 v[146:149], v2 offset:944
	scratch_load_b128 v[166:169], off, off offset:288
	v_fmac_f64_e32 v[172:173], v[156:157], v[8:9]
	v_fma_f64 v[154:155], v[154:155], v[8:9], -v[10:11]
	scratch_load_b128 v[8:11], off, off offset:304
	s_wait_loadcnt_dscnt 0xc01
	v_mul_f64_e32 v[176:177], v[4:5], v[14:15]
	v_mul_f64_e32 v[14:15], v[6:7], v[14:15]
	v_add_f64_e32 v[156:157], 0, v[174:175]
	v_add_f64_e32 v[170:171], 0, v[170:171]
	s_wait_loadcnt_dscnt 0xb00
	v_mul_f64_e32 v[174:175], v[146:147], v[18:19]
	v_mul_f64_e32 v[18:19], v[148:149], v[18:19]
	v_fmac_f64_e32 v[176:177], v[6:7], v[12:13]
	v_fma_f64 v[178:179], v[4:5], v[12:13], -v[14:15]
	ds_load_b128 v[4:7], v2 offset:960
	ds_load_b128 v[12:15], v2 offset:976
	v_add_f64_e32 v[180:181], v[156:157], v[154:155]
	v_add_f64_e32 v[170:171], v[170:171], v[172:173]
	scratch_load_b128 v[154:157], off, off offset:320
	v_fmac_f64_e32 v[174:175], v[148:149], v[16:17]
	v_fma_f64 v[146:147], v[146:147], v[16:17], -v[18:19]
	scratch_load_b128 v[16:19], off, off offset:336
	s_wait_loadcnt_dscnt 0xc01
	v_mul_f64_e32 v[172:173], v[4:5], v[22:23]
	v_mul_f64_e32 v[22:23], v[6:7], v[22:23]
	v_add_f64_e32 v[148:149], v[180:181], v[178:179]
	v_add_f64_e32 v[170:171], v[170:171], v[176:177]
	s_wait_loadcnt_dscnt 0xb00
	v_mul_f64_e32 v[176:177], v[12:13], v[128:129]
	v_mul_f64_e32 v[128:129], v[14:15], v[128:129]
	v_fmac_f64_e32 v[172:173], v[6:7], v[20:21]
	v_fma_f64 v[178:179], v[4:5], v[20:21], -v[22:23]
	ds_load_b128 v[4:7], v2 offset:992
	ds_load_b128 v[20:23], v2 offset:1008
	v_add_f64_e32 v[180:181], v[148:149], v[146:147]
	v_add_f64_e32 v[170:171], v[170:171], v[174:175]
	scratch_load_b128 v[146:149], off, off offset:352
	s_wait_loadcnt_dscnt 0xb01
	v_mul_f64_e32 v[174:175], v[4:5], v[132:133]
	v_mul_f64_e32 v[132:133], v[6:7], v[132:133]
	v_fmac_f64_e32 v[176:177], v[14:15], v[126:127]
	v_fma_f64 v[126:127], v[12:13], v[126:127], -v[128:129]
	scratch_load_b128 v[12:15], off, off offset:368
	v_add_f64_e32 v[128:129], v[180:181], v[178:179]
	v_add_f64_e32 v[170:171], v[170:171], v[172:173]
	s_wait_loadcnt_dscnt 0xb00
	v_mul_f64_e32 v[172:173], v[20:21], v[136:137]
	v_mul_f64_e32 v[136:137], v[22:23], v[136:137]
	v_fmac_f64_e32 v[174:175], v[6:7], v[130:131]
	v_fma_f64 v[178:179], v[4:5], v[130:131], -v[132:133]
	v_add_f64_e32 v[180:181], v[128:129], v[126:127]
	v_add_f64_e32 v[170:171], v[170:171], v[176:177]
	ds_load_b128 v[4:7], v2 offset:1024
	ds_load_b128 v[126:129], v2 offset:1040
	scratch_load_b128 v[130:133], off, off offset:384
	v_fmac_f64_e32 v[172:173], v[22:23], v[134:135]
	v_fma_f64 v[134:135], v[20:21], v[134:135], -v[136:137]
	scratch_load_b128 v[20:23], off, off offset:400
	s_wait_loadcnt_dscnt 0xc01
	v_mul_f64_e32 v[176:177], v[4:5], v[140:141]
	v_mul_f64_e32 v[140:141], v[6:7], v[140:141]
	v_add_f64_e32 v[136:137], v[180:181], v[178:179]
	v_add_f64_e32 v[170:171], v[170:171], v[174:175]
	s_wait_loadcnt_dscnt 0xb00
	v_mul_f64_e32 v[174:175], v[126:127], v[144:145]
	v_mul_f64_e32 v[144:145], v[128:129], v[144:145]
	v_fmac_f64_e32 v[176:177], v[6:7], v[138:139]
	v_fma_f64 v[178:179], v[4:5], v[138:139], -v[140:141]
	v_add_f64_e32 v[180:181], v[136:137], v[134:135]
	v_add_f64_e32 v[170:171], v[170:171], v[172:173]
	ds_load_b128 v[4:7], v2 offset:1056
	ds_load_b128 v[134:137], v2 offset:1072
	scratch_load_b128 v[138:141], off, off offset:416
	v_fmac_f64_e32 v[174:175], v[128:129], v[142:143]
	v_fma_f64 v[142:143], v[126:127], v[142:143], -v[144:145]
	scratch_load_b128 v[126:129], off, off offset:432
	s_wait_loadcnt_dscnt 0xc01
	v_mul_f64_e32 v[172:173], v[4:5], v[152:153]
	v_mul_f64_e32 v[152:153], v[6:7], v[152:153]
	;; [unrolled: 18-line block ×5, first 2 shown]
	v_add_f64_e32 v[164:165], v[180:181], v[178:179]
	v_add_f64_e32 v[170:171], v[170:171], v[176:177]
	s_wait_loadcnt_dscnt 0xa00
	v_mul_f64_e32 v[176:177], v[142:143], v[14:15]
	v_mul_f64_e32 v[14:15], v[144:145], v[14:15]
	v_fmac_f64_e32 v[172:173], v[6:7], v[146:147]
	v_fma_f64 v[178:179], v[4:5], v[146:147], -v[148:149]
	ds_load_b128 v[4:7], v2 offset:1184
	ds_load_b128 v[146:149], v2 offset:1200
	v_add_f64_e32 v[180:181], v[164:165], v[162:163]
	v_add_f64_e32 v[170:171], v[170:171], v[174:175]
	scratch_load_b128 v[162:165], off, off offset:544
	v_fmac_f64_e32 v[176:177], v[144:145], v[12:13]
	v_fma_f64 v[142:143], v[142:143], v[12:13], -v[14:15]
	scratch_load_b128 v[12:15], off, off offset:560
	s_wait_loadcnt_dscnt 0xb01
	v_mul_f64_e32 v[174:175], v[4:5], v[132:133]
	v_mul_f64_e32 v[132:133], v[6:7], v[132:133]
	v_add_f64_e32 v[144:145], v[180:181], v[178:179]
	v_add_f64_e32 v[170:171], v[170:171], v[172:173]
	s_wait_loadcnt_dscnt 0xa00
	v_mul_f64_e32 v[172:173], v[146:147], v[22:23]
	v_mul_f64_e32 v[22:23], v[148:149], v[22:23]
	v_fmac_f64_e32 v[174:175], v[6:7], v[130:131]
	v_fma_f64 v[178:179], v[4:5], v[130:131], -v[132:133]
	ds_load_b128 v[4:7], v2 offset:1216
	ds_load_b128 v[130:133], v2 offset:1232
	v_add_f64_e32 v[180:181], v[144:145], v[142:143]
	v_add_f64_e32 v[170:171], v[170:171], v[176:177]
	scratch_load_b128 v[142:145], off, off offset:576
	s_wait_loadcnt_dscnt 0xa01
	v_mul_f64_e32 v[176:177], v[4:5], v[140:141]
	v_mul_f64_e32 v[140:141], v[6:7], v[140:141]
	v_fmac_f64_e32 v[172:173], v[148:149], v[20:21]
	v_fma_f64 v[146:147], v[146:147], v[20:21], -v[22:23]
	scratch_load_b128 v[20:23], off, off offset:592
	v_add_f64_e32 v[148:149], v[180:181], v[178:179]
	v_add_f64_e32 v[170:171], v[170:171], v[174:175]
	s_wait_loadcnt_dscnt 0xa00
	v_mul_f64_e32 v[174:175], v[130:131], v[128:129]
	v_mul_f64_e32 v[128:129], v[132:133], v[128:129]
	v_fmac_f64_e32 v[176:177], v[6:7], v[138:139]
	v_fma_f64 v[178:179], v[4:5], v[138:139], -v[140:141]
	ds_load_b128 v[4:7], v2 offset:1248
	ds_load_b128 v[138:141], v2 offset:1264
	v_add_f64_e32 v[180:181], v[148:149], v[146:147]
	v_add_f64_e32 v[170:171], v[170:171], v[172:173]
	scratch_load_b128 v[146:149], off, off offset:608
	s_wait_loadcnt_dscnt 0xa01
	v_mul_f64_e32 v[172:173], v[4:5], v[152:153]
	v_mul_f64_e32 v[152:153], v[6:7], v[152:153]
	v_fmac_f64_e32 v[174:175], v[132:133], v[126:127]
	v_fma_f64 v[130:131], v[130:131], v[126:127], -v[128:129]
	scratch_load_b128 v[126:129], off, off offset:624
	v_add_f64_e32 v[132:133], v[180:181], v[178:179]
	v_add_f64_e32 v[170:171], v[170:171], v[176:177]
	s_wait_loadcnt_dscnt 0xa00
	v_mul_f64_e32 v[176:177], v[138:139], v[136:137]
	v_mul_f64_e32 v[136:137], v[140:141], v[136:137]
	v_fmac_f64_e32 v[172:173], v[6:7], v[150:151]
	v_fma_f64 v[178:179], v[4:5], v[150:151], -v[152:153]
	v_add_f64_e32 v[180:181], v[132:133], v[130:131]
	v_add_f64_e32 v[170:171], v[170:171], v[174:175]
	ds_load_b128 v[4:7], v2 offset:1280
	ds_load_b128 v[130:133], v2 offset:1296
	scratch_load_b128 v[150:153], off, off offset:640
	v_fmac_f64_e32 v[176:177], v[140:141], v[134:135]
	v_fma_f64 v[138:139], v[138:139], v[134:135], -v[136:137]
	scratch_load_b128 v[134:137], off, off offset:656
	s_wait_loadcnt_dscnt 0xb01
	v_mul_f64_e32 v[174:175], v[4:5], v[168:169]
	v_mul_f64_e32 v[168:169], v[6:7], v[168:169]
	v_add_f64_e32 v[140:141], v[180:181], v[178:179]
	v_add_f64_e32 v[170:171], v[170:171], v[172:173]
	s_wait_loadcnt_dscnt 0xa00
	v_mul_f64_e32 v[172:173], v[130:131], v[10:11]
	v_mul_f64_e32 v[10:11], v[132:133], v[10:11]
	v_fmac_f64_e32 v[174:175], v[6:7], v[166:167]
	v_fma_f64 v[178:179], v[4:5], v[166:167], -v[168:169]
	v_add_f64_e32 v[180:181], v[140:141], v[138:139]
	v_add_f64_e32 v[170:171], v[170:171], v[176:177]
	ds_load_b128 v[4:7], v2 offset:1312
	ds_load_b128 v[138:141], v2 offset:1328
	scratch_load_b128 v[166:169], off, off offset:672
	v_fmac_f64_e32 v[172:173], v[132:133], v[8:9]
	v_fma_f64 v[130:131], v[130:131], v[8:9], -v[10:11]
	scratch_load_b128 v[8:11], off, off offset:688
	s_wait_loadcnt_dscnt 0xb01
	v_mul_f64_e32 v[176:177], v[4:5], v[156:157]
	v_mul_f64_e32 v[156:157], v[6:7], v[156:157]
	;; [unrolled: 18-line block ×5, first 2 shown]
	v_add_f64_e32 v[140:141], v[180:181], v[178:179]
	v_add_f64_e32 v[170:171], v[170:171], v[174:175]
	s_wait_loadcnt_dscnt 0xa00
	v_mul_f64_e32 v[174:175], v[130:131], v[128:129]
	v_mul_f64_e32 v[128:129], v[132:133], v[128:129]
	v_fmac_f64_e32 v[176:177], v[6:7], v[146:147]
	v_fma_f64 v[146:147], v[4:5], v[146:147], -v[148:149]
	v_add_f64_e32 v[148:149], v[140:141], v[138:139]
	v_add_f64_e32 v[170:171], v[170:171], v[172:173]
	ds_load_b128 v[4:7], v2 offset:1440
	ds_load_b128 v[138:141], v2 offset:1456
	v_fmac_f64_e32 v[174:175], v[132:133], v[126:127]
	v_fma_f64 v[126:127], v[130:131], v[126:127], -v[128:129]
	s_wait_loadcnt_dscnt 0x901
	v_mul_f64_e32 v[172:173], v[4:5], v[152:153]
	v_mul_f64_e32 v[152:153], v[6:7], v[152:153]
	s_wait_loadcnt_dscnt 0x800
	v_mul_f64_e32 v[132:133], v[138:139], v[136:137]
	v_mul_f64_e32 v[136:137], v[140:141], v[136:137]
	v_add_f64_e32 v[128:129], v[148:149], v[146:147]
	v_add_f64_e32 v[130:131], v[170:171], v[176:177]
	v_fmac_f64_e32 v[172:173], v[6:7], v[150:151]
	v_fma_f64 v[146:147], v[4:5], v[150:151], -v[152:153]
	v_fmac_f64_e32 v[132:133], v[140:141], v[134:135]
	v_fma_f64 v[134:135], v[138:139], v[134:135], -v[136:137]
	v_add_f64_e32 v[148:149], v[128:129], v[126:127]
	v_add_f64_e32 v[130:131], v[130:131], v[174:175]
	ds_load_b128 v[4:7], v2 offset:1472
	ds_load_b128 v[126:129], v2 offset:1488
	s_wait_loadcnt_dscnt 0x701
	v_mul_f64_e32 v[150:151], v[4:5], v[168:169]
	v_mul_f64_e32 v[152:153], v[6:7], v[168:169]
	s_wait_loadcnt_dscnt 0x600
	v_mul_f64_e32 v[138:139], v[126:127], v[10:11]
	v_mul_f64_e32 v[10:11], v[128:129], v[10:11]
	v_add_f64_e32 v[136:137], v[148:149], v[146:147]
	v_add_f64_e32 v[130:131], v[130:131], v[172:173]
	v_fmac_f64_e32 v[150:151], v[6:7], v[166:167]
	v_fma_f64 v[140:141], v[4:5], v[166:167], -v[152:153]
	v_fmac_f64_e32 v[138:139], v[128:129], v[8:9]
	v_fma_f64 v[8:9], v[126:127], v[8:9], -v[10:11]
	v_add_f64_e32 v[134:135], v[136:137], v[134:135]
	v_add_f64_e32 v[136:137], v[130:131], v[132:133]
	ds_load_b128 v[4:7], v2 offset:1504
	ds_load_b128 v[130:133], v2 offset:1520
	;; [unrolled: 16-line block ×4, first 2 shown]
	s_wait_loadcnt_dscnt 0x101
	v_mul_f64_e32 v[2:3], v[4:5], v[144:145]
	v_mul_f64_e32 v[128:129], v[6:7], v[144:145]
	v_add_f64_e32 v[10:11], v[18:19], v[134:135]
	v_add_f64_e32 v[12:13], v[126:127], v[138:139]
	s_wait_loadcnt_dscnt 0x0
	v_mul_f64_e32 v[18:19], v[14:15], v[22:23]
	v_mul_f64_e32 v[22:23], v[16:17], v[22:23]
	v_fmac_f64_e32 v[2:3], v[6:7], v[142:143]
	v_fma_f64 v[4:5], v[4:5], v[142:143], -v[128:129]
	v_add_f64_e32 v[6:7], v[10:11], v[8:9]
	v_add_f64_e32 v[8:9], v[12:13], v[130:131]
	v_fmac_f64_e32 v[18:19], v[16:17], v[20:21]
	v_fma_f64 v[10:11], v[14:15], v[20:21], -v[22:23]
	s_delay_alu instid0(VALU_DEP_4) | instskip(NEXT) | instid1(VALU_DEP_4)
	v_add_f64_e32 v[4:5], v[6:7], v[4:5]
	v_add_f64_e32 v[2:3], v[8:9], v[2:3]
	s_delay_alu instid0(VALU_DEP_2) | instskip(NEXT) | instid1(VALU_DEP_2)
	v_add_f64_e32 v[4:5], v[4:5], v[10:11]
	v_add_f64_e32 v[6:7], v[2:3], v[18:19]
	s_delay_alu instid0(VALU_DEP_2) | instskip(NEXT) | instid1(VALU_DEP_2)
	v_add_f64_e64 v[2:3], v[158:159], -v[4:5]
	v_add_f64_e64 v[4:5], v[160:161], -v[6:7]
	scratch_store_b128 off, v[2:5], off offset:80
	s_wait_xcnt 0x0
	v_cmpx_lt_u32_e32 4, v1
	s_cbranch_execz .LBB49_305
; %bb.304:
	scratch_load_b128 v[2:5], off, s49
	v_mov_b32_e32 v6, 0
	s_delay_alu instid0(VALU_DEP_1)
	v_dual_mov_b32 v7, v6 :: v_dual_mov_b32 v8, v6
	v_mov_b32_e32 v9, v6
	scratch_store_b128 off, v[6:9], off offset:64
	s_wait_loadcnt 0x0
	ds_store_b128 v124, v[2:5]
.LBB49_305:
	s_wait_xcnt 0x0
	s_or_b32 exec_lo, exec_lo, s2
	s_wait_storecnt_dscnt 0x0
	s_barrier_signal -1
	s_barrier_wait -1
	s_clause 0x9
	scratch_load_b128 v[4:7], off, off offset:80
	scratch_load_b128 v[8:11], off, off offset:96
	;; [unrolled: 1-line block ×10, first 2 shown]
	v_mov_b32_e32 v2, 0
	s_mov_b32 s2, exec_lo
	ds_load_b128 v[146:149], v2 offset:880
	s_clause 0x2
	scratch_load_b128 v[150:153], off, off offset:240
	scratch_load_b128 v[154:157], off, off offset:64
	;; [unrolled: 1-line block ×3, first 2 shown]
	s_wait_loadcnt_dscnt 0xc00
	v_mul_f64_e32 v[166:167], v[148:149], v[6:7]
	v_mul_f64_e32 v[170:171], v[146:147], v[6:7]
	ds_load_b128 v[158:161], v2 offset:896
	v_fma_f64 v[174:175], v[146:147], v[4:5], -v[166:167]
	v_fmac_f64_e32 v[170:171], v[148:149], v[4:5]
	ds_load_b128 v[4:7], v2 offset:912
	s_wait_loadcnt_dscnt 0xb01
	v_mul_f64_e32 v[172:173], v[158:159], v[10:11]
	v_mul_f64_e32 v[10:11], v[160:161], v[10:11]
	scratch_load_b128 v[146:149], off, off offset:272
	ds_load_b128 v[166:169], v2 offset:928
	s_wait_loadcnt_dscnt 0xb01
	v_mul_f64_e32 v[176:177], v[4:5], v[14:15]
	v_mul_f64_e32 v[14:15], v[6:7], v[14:15]
	v_add_f64_e32 v[170:171], 0, v[170:171]
	v_fmac_f64_e32 v[172:173], v[160:161], v[8:9]
	v_fma_f64 v[158:159], v[158:159], v[8:9], -v[10:11]
	v_add_f64_e32 v[160:161], 0, v[174:175]
	scratch_load_b128 v[8:11], off, off offset:288
	v_fmac_f64_e32 v[176:177], v[6:7], v[12:13]
	v_fma_f64 v[178:179], v[4:5], v[12:13], -v[14:15]
	ds_load_b128 v[4:7], v2 offset:944
	s_wait_loadcnt_dscnt 0xb01
	v_mul_f64_e32 v[174:175], v[166:167], v[18:19]
	v_mul_f64_e32 v[18:19], v[168:169], v[18:19]
	scratch_load_b128 v[12:15], off, off offset:304
	v_add_f64_e32 v[170:171], v[170:171], v[172:173]
	v_add_f64_e32 v[180:181], v[160:161], v[158:159]
	ds_load_b128 v[158:161], v2 offset:960
	s_wait_loadcnt_dscnt 0xb01
	v_mul_f64_e32 v[172:173], v[4:5], v[22:23]
	v_mul_f64_e32 v[22:23], v[6:7], v[22:23]
	v_fmac_f64_e32 v[174:175], v[168:169], v[16:17]
	v_fma_f64 v[166:167], v[166:167], v[16:17], -v[18:19]
	scratch_load_b128 v[16:19], off, off offset:320
	v_add_f64_e32 v[170:171], v[170:171], v[176:177]
	v_add_f64_e32 v[168:169], v[180:181], v[178:179]
	v_fmac_f64_e32 v[172:173], v[6:7], v[20:21]
	v_fma_f64 v[178:179], v[4:5], v[20:21], -v[22:23]
	ds_load_b128 v[4:7], v2 offset:976
	s_wait_loadcnt_dscnt 0xb01
	v_mul_f64_e32 v[176:177], v[158:159], v[128:129]
	v_mul_f64_e32 v[128:129], v[160:161], v[128:129]
	scratch_load_b128 v[20:23], off, off offset:336
	v_add_f64_e32 v[170:171], v[170:171], v[174:175]
	s_wait_loadcnt_dscnt 0xb00
	v_mul_f64_e32 v[174:175], v[4:5], v[132:133]
	v_add_f64_e32 v[180:181], v[168:169], v[166:167]
	v_mul_f64_e32 v[132:133], v[6:7], v[132:133]
	ds_load_b128 v[166:169], v2 offset:992
	v_fmac_f64_e32 v[176:177], v[160:161], v[126:127]
	v_fma_f64 v[158:159], v[158:159], v[126:127], -v[128:129]
	scratch_load_b128 v[126:129], off, off offset:352
	v_add_f64_e32 v[170:171], v[170:171], v[172:173]
	v_fmac_f64_e32 v[174:175], v[6:7], v[130:131]
	v_add_f64_e32 v[160:161], v[180:181], v[178:179]
	v_fma_f64 v[178:179], v[4:5], v[130:131], -v[132:133]
	ds_load_b128 v[4:7], v2 offset:1008
	s_wait_loadcnt_dscnt 0xb01
	v_mul_f64_e32 v[172:173], v[166:167], v[136:137]
	v_mul_f64_e32 v[136:137], v[168:169], v[136:137]
	scratch_load_b128 v[130:133], off, off offset:368
	v_add_f64_e32 v[170:171], v[170:171], v[176:177]
	s_wait_loadcnt_dscnt 0xb00
	v_mul_f64_e32 v[176:177], v[4:5], v[140:141]
	v_add_f64_e32 v[180:181], v[160:161], v[158:159]
	v_mul_f64_e32 v[140:141], v[6:7], v[140:141]
	ds_load_b128 v[158:161], v2 offset:1024
	v_fmac_f64_e32 v[172:173], v[168:169], v[134:135]
	v_fma_f64 v[166:167], v[166:167], v[134:135], -v[136:137]
	scratch_load_b128 v[134:137], off, off offset:384
	v_add_f64_e32 v[170:171], v[170:171], v[174:175]
	v_fmac_f64_e32 v[176:177], v[6:7], v[138:139]
	v_add_f64_e32 v[168:169], v[180:181], v[178:179]
	;; [unrolled: 18-line block ×3, first 2 shown]
	v_fma_f64 v[178:179], v[4:5], v[150:151], -v[152:153]
	ds_load_b128 v[4:7], v2 offset:1072
	s_wait_loadcnt_dscnt 0xa01
	v_mul_f64_e32 v[176:177], v[166:167], v[164:165]
	v_mul_f64_e32 v[164:165], v[168:169], v[164:165]
	scratch_load_b128 v[150:153], off, off offset:432
	v_add_f64_e32 v[170:171], v[170:171], v[174:175]
	v_add_f64_e32 v[180:181], v[160:161], v[158:159]
	s_wait_loadcnt_dscnt 0xa00
	v_mul_f64_e32 v[174:175], v[4:5], v[148:149]
	v_mul_f64_e32 v[148:149], v[6:7], v[148:149]
	v_fmac_f64_e32 v[176:177], v[168:169], v[162:163]
	v_fma_f64 v[166:167], v[166:167], v[162:163], -v[164:165]
	ds_load_b128 v[158:161], v2 offset:1088
	scratch_load_b128 v[162:165], off, off offset:448
	v_add_f64_e32 v[170:171], v[170:171], v[172:173]
	v_add_f64_e32 v[168:169], v[180:181], v[178:179]
	v_fmac_f64_e32 v[174:175], v[6:7], v[146:147]
	v_fma_f64 v[178:179], v[4:5], v[146:147], -v[148:149]
	ds_load_b128 v[4:7], v2 offset:1104
	s_wait_loadcnt_dscnt 0xa01
	v_mul_f64_e32 v[172:173], v[158:159], v[10:11]
	v_mul_f64_e32 v[10:11], v[160:161], v[10:11]
	scratch_load_b128 v[146:149], off, off offset:464
	v_add_f64_e32 v[170:171], v[170:171], v[176:177]
	s_wait_loadcnt_dscnt 0xa00
	v_mul_f64_e32 v[176:177], v[4:5], v[14:15]
	v_add_f64_e32 v[180:181], v[168:169], v[166:167]
	v_mul_f64_e32 v[14:15], v[6:7], v[14:15]
	ds_load_b128 v[166:169], v2 offset:1120
	v_fmac_f64_e32 v[172:173], v[160:161], v[8:9]
	v_fma_f64 v[158:159], v[158:159], v[8:9], -v[10:11]
	scratch_load_b128 v[8:11], off, off offset:480
	v_add_f64_e32 v[170:171], v[170:171], v[174:175]
	v_fmac_f64_e32 v[176:177], v[6:7], v[12:13]
	v_add_f64_e32 v[160:161], v[180:181], v[178:179]
	v_fma_f64 v[178:179], v[4:5], v[12:13], -v[14:15]
	ds_load_b128 v[4:7], v2 offset:1136
	s_wait_loadcnt_dscnt 0xa01
	v_mul_f64_e32 v[174:175], v[166:167], v[18:19]
	v_mul_f64_e32 v[18:19], v[168:169], v[18:19]
	scratch_load_b128 v[12:15], off, off offset:496
	v_add_f64_e32 v[170:171], v[170:171], v[172:173]
	s_wait_loadcnt_dscnt 0xa00
	v_mul_f64_e32 v[172:173], v[4:5], v[22:23]
	v_add_f64_e32 v[180:181], v[160:161], v[158:159]
	v_mul_f64_e32 v[22:23], v[6:7], v[22:23]
	ds_load_b128 v[158:161], v2 offset:1152
	v_fmac_f64_e32 v[174:175], v[168:169], v[16:17]
	v_fma_f64 v[166:167], v[166:167], v[16:17], -v[18:19]
	scratch_load_b128 v[16:19], off, off offset:512
	v_add_f64_e32 v[170:171], v[170:171], v[176:177]
	v_fmac_f64_e32 v[172:173], v[6:7], v[20:21]
	v_add_f64_e32 v[168:169], v[180:181], v[178:179]
	;; [unrolled: 18-line block ×10, first 2 shown]
	v_fma_f64 v[178:179], v[4:5], v[138:139], -v[140:141]
	ds_load_b128 v[4:7], v2 offset:1424
	s_wait_loadcnt_dscnt 0xa01
	v_mul_f64_e32 v[174:175], v[158:159], v[144:145]
	v_mul_f64_e32 v[144:145], v[160:161], v[144:145]
	scratch_load_b128 v[138:141], off, off offset:784
	v_add_f64_e32 v[170:171], v[170:171], v[172:173]
	s_wait_loadcnt_dscnt 0xa00
	v_mul_f64_e32 v[172:173], v[4:5], v[152:153]
	v_add_f64_e32 v[180:181], v[168:169], v[166:167]
	v_mul_f64_e32 v[152:153], v[6:7], v[152:153]
	ds_load_b128 v[166:169], v2 offset:1440
	v_fmac_f64_e32 v[174:175], v[160:161], v[142:143]
	v_fma_f64 v[142:143], v[158:159], v[142:143], -v[144:145]
	s_wait_loadcnt_dscnt 0x900
	v_mul_f64_e32 v[160:161], v[166:167], v[164:165]
	v_mul_f64_e32 v[164:165], v[168:169], v[164:165]
	v_add_f64_e32 v[158:159], v[170:171], v[176:177]
	v_fmac_f64_e32 v[172:173], v[6:7], v[150:151]
	v_add_f64_e32 v[144:145], v[180:181], v[178:179]
	v_fma_f64 v[150:151], v[4:5], v[150:151], -v[152:153]
	v_fmac_f64_e32 v[160:161], v[168:169], v[162:163]
	v_fma_f64 v[162:163], v[166:167], v[162:163], -v[164:165]
	v_add_f64_e32 v[158:159], v[158:159], v[174:175]
	v_add_f64_e32 v[152:153], v[144:145], v[142:143]
	ds_load_b128 v[4:7], v2 offset:1456
	ds_load_b128 v[142:145], v2 offset:1472
	s_wait_loadcnt_dscnt 0x801
	v_mul_f64_e32 v[170:171], v[4:5], v[148:149]
	v_mul_f64_e32 v[148:149], v[6:7], v[148:149]
	v_add_f64_e32 v[150:151], v[152:153], v[150:151]
	v_add_f64_e32 v[152:153], v[158:159], v[172:173]
	s_wait_loadcnt_dscnt 0x700
	v_mul_f64_e32 v[158:159], v[142:143], v[10:11]
	v_mul_f64_e32 v[10:11], v[144:145], v[10:11]
	v_fmac_f64_e32 v[170:171], v[6:7], v[146:147]
	v_fma_f64 v[164:165], v[4:5], v[146:147], -v[148:149]
	ds_load_b128 v[4:7], v2 offset:1488
	ds_load_b128 v[146:149], v2 offset:1504
	v_add_f64_e32 v[150:151], v[150:151], v[162:163]
	v_add_f64_e32 v[152:153], v[152:153], v[160:161]
	v_fmac_f64_e32 v[158:159], v[144:145], v[8:9]
	v_fma_f64 v[8:9], v[142:143], v[8:9], -v[10:11]
	s_wait_loadcnt_dscnt 0x601
	v_mul_f64_e32 v[160:161], v[4:5], v[14:15]
	v_mul_f64_e32 v[14:15], v[6:7], v[14:15]
	s_wait_loadcnt_dscnt 0x500
	v_mul_f64_e32 v[144:145], v[146:147], v[18:19]
	v_mul_f64_e32 v[18:19], v[148:149], v[18:19]
	v_add_f64_e32 v[10:11], v[150:151], v[164:165]
	v_add_f64_e32 v[142:143], v[152:153], v[170:171]
	v_fmac_f64_e32 v[160:161], v[6:7], v[12:13]
	v_fma_f64 v[12:13], v[4:5], v[12:13], -v[14:15]
	v_fmac_f64_e32 v[144:145], v[148:149], v[16:17]
	v_fma_f64 v[16:17], v[146:147], v[16:17], -v[18:19]
	v_add_f64_e32 v[14:15], v[10:11], v[8:9]
	v_add_f64_e32 v[142:143], v[142:143], v[158:159]
	ds_load_b128 v[4:7], v2 offset:1520
	ds_load_b128 v[8:11], v2 offset:1536
	s_wait_loadcnt_dscnt 0x401
	v_mul_f64_e32 v[150:151], v[4:5], v[22:23]
	v_mul_f64_e32 v[22:23], v[6:7], v[22:23]
	s_wait_loadcnt_dscnt 0x300
	v_mul_f64_e32 v[18:19], v[8:9], v[128:129]
	v_mul_f64_e32 v[128:129], v[10:11], v[128:129]
	v_add_f64_e32 v[12:13], v[14:15], v[12:13]
	v_add_f64_e32 v[14:15], v[142:143], v[160:161]
	v_fmac_f64_e32 v[150:151], v[6:7], v[20:21]
	v_fma_f64 v[20:21], v[4:5], v[20:21], -v[22:23]
	v_fmac_f64_e32 v[18:19], v[10:11], v[126:127]
	v_fma_f64 v[8:9], v[8:9], v[126:127], -v[128:129]
	v_add_f64_e32 v[16:17], v[12:13], v[16:17]
	v_add_f64_e32 v[22:23], v[14:15], v[144:145]
	ds_load_b128 v[4:7], v2 offset:1552
	ds_load_b128 v[12:15], v2 offset:1568
	s_wait_loadcnt_dscnt 0x201
	v_mul_f64_e32 v[142:143], v[4:5], v[132:133]
	v_mul_f64_e32 v[132:133], v[6:7], v[132:133]
	v_add_f64_e32 v[10:11], v[16:17], v[20:21]
	v_add_f64_e32 v[16:17], v[22:23], v[150:151]
	s_wait_loadcnt_dscnt 0x100
	v_mul_f64_e32 v[20:21], v[12:13], v[136:137]
	v_mul_f64_e32 v[22:23], v[14:15], v[136:137]
	v_fmac_f64_e32 v[142:143], v[6:7], v[130:131]
	v_fma_f64 v[126:127], v[4:5], v[130:131], -v[132:133]
	ds_load_b128 v[4:7], v2 offset:1584
	v_add_f64_e32 v[8:9], v[10:11], v[8:9]
	v_add_f64_e32 v[10:11], v[16:17], v[18:19]
	v_fmac_f64_e32 v[20:21], v[14:15], v[134:135]
	v_fma_f64 v[12:13], v[12:13], v[134:135], -v[22:23]
	s_wait_loadcnt_dscnt 0x0
	v_mul_f64_e32 v[16:17], v[4:5], v[140:141]
	v_mul_f64_e32 v[18:19], v[6:7], v[140:141]
	v_add_f64_e32 v[8:9], v[8:9], v[126:127]
	v_add_f64_e32 v[10:11], v[10:11], v[142:143]
	s_delay_alu instid0(VALU_DEP_4) | instskip(NEXT) | instid1(VALU_DEP_4)
	v_fmac_f64_e32 v[16:17], v[6:7], v[138:139]
	v_fma_f64 v[4:5], v[4:5], v[138:139], -v[18:19]
	s_delay_alu instid0(VALU_DEP_4) | instskip(NEXT) | instid1(VALU_DEP_4)
	v_add_f64_e32 v[6:7], v[8:9], v[12:13]
	v_add_f64_e32 v[8:9], v[10:11], v[20:21]
	s_delay_alu instid0(VALU_DEP_2) | instskip(NEXT) | instid1(VALU_DEP_2)
	v_add_f64_e32 v[4:5], v[6:7], v[4:5]
	v_add_f64_e32 v[6:7], v[8:9], v[16:17]
	s_delay_alu instid0(VALU_DEP_2) | instskip(NEXT) | instid1(VALU_DEP_2)
	v_add_f64_e64 v[4:5], v[154:155], -v[4:5]
	v_add_f64_e64 v[6:7], v[156:157], -v[6:7]
	scratch_store_b128 off, v[4:7], off offset:64
	s_wait_xcnt 0x0
	v_cmpx_lt_u32_e32 3, v1
	s_cbranch_execz .LBB49_307
; %bb.306:
	scratch_load_b128 v[6:9], off, s48
	v_dual_mov_b32 v3, v2 :: v_dual_mov_b32 v4, v2
	v_mov_b32_e32 v5, v2
	scratch_store_b128 off, v[2:5], off offset:48
	s_wait_loadcnt 0x0
	ds_store_b128 v124, v[6:9]
.LBB49_307:
	s_wait_xcnt 0x0
	s_or_b32 exec_lo, exec_lo, s2
	s_wait_storecnt_dscnt 0x0
	s_barrier_signal -1
	s_barrier_wait -1
	s_clause 0x9
	scratch_load_b128 v[4:7], off, off offset:64
	scratch_load_b128 v[8:11], off, off offset:80
	;; [unrolled: 1-line block ×10, first 2 shown]
	ds_load_b128 v[146:149], v2 offset:864
	ds_load_b128 v[154:157], v2 offset:880
	s_clause 0x2
	scratch_load_b128 v[150:153], off, off offset:224
	scratch_load_b128 v[158:161], off, off offset:48
	;; [unrolled: 1-line block ×3, first 2 shown]
	s_mov_b32 s2, exec_lo
	s_wait_loadcnt_dscnt 0xc01
	v_mul_f64_e32 v[166:167], v[148:149], v[6:7]
	v_mul_f64_e32 v[170:171], v[146:147], v[6:7]
	s_wait_loadcnt_dscnt 0xb00
	v_mul_f64_e32 v[172:173], v[154:155], v[10:11]
	v_mul_f64_e32 v[10:11], v[156:157], v[10:11]
	s_delay_alu instid0(VALU_DEP_4) | instskip(NEXT) | instid1(VALU_DEP_4)
	v_fma_f64 v[174:175], v[146:147], v[4:5], -v[166:167]
	v_fmac_f64_e32 v[170:171], v[148:149], v[4:5]
	ds_load_b128 v[4:7], v2 offset:896
	ds_load_b128 v[146:149], v2 offset:912
	scratch_load_b128 v[166:169], off, off offset:256
	v_fmac_f64_e32 v[172:173], v[156:157], v[8:9]
	v_fma_f64 v[154:155], v[154:155], v[8:9], -v[10:11]
	scratch_load_b128 v[8:11], off, off offset:272
	s_wait_loadcnt_dscnt 0xc01
	v_mul_f64_e32 v[176:177], v[4:5], v[14:15]
	v_mul_f64_e32 v[14:15], v[6:7], v[14:15]
	v_add_f64_e32 v[156:157], 0, v[174:175]
	v_add_f64_e32 v[170:171], 0, v[170:171]
	s_wait_loadcnt_dscnt 0xb00
	v_mul_f64_e32 v[174:175], v[146:147], v[18:19]
	v_mul_f64_e32 v[18:19], v[148:149], v[18:19]
	v_fmac_f64_e32 v[176:177], v[6:7], v[12:13]
	v_fma_f64 v[178:179], v[4:5], v[12:13], -v[14:15]
	ds_load_b128 v[4:7], v2 offset:928
	ds_load_b128 v[12:15], v2 offset:944
	v_add_f64_e32 v[180:181], v[156:157], v[154:155]
	v_add_f64_e32 v[170:171], v[170:171], v[172:173]
	scratch_load_b128 v[154:157], off, off offset:288
	v_fmac_f64_e32 v[174:175], v[148:149], v[16:17]
	v_fma_f64 v[146:147], v[146:147], v[16:17], -v[18:19]
	scratch_load_b128 v[16:19], off, off offset:304
	s_wait_loadcnt_dscnt 0xc01
	v_mul_f64_e32 v[172:173], v[4:5], v[22:23]
	v_mul_f64_e32 v[22:23], v[6:7], v[22:23]
	v_add_f64_e32 v[148:149], v[180:181], v[178:179]
	v_add_f64_e32 v[170:171], v[170:171], v[176:177]
	s_wait_loadcnt_dscnt 0xb00
	v_mul_f64_e32 v[176:177], v[12:13], v[128:129]
	v_mul_f64_e32 v[128:129], v[14:15], v[128:129]
	v_fmac_f64_e32 v[172:173], v[6:7], v[20:21]
	v_fma_f64 v[178:179], v[4:5], v[20:21], -v[22:23]
	ds_load_b128 v[4:7], v2 offset:960
	ds_load_b128 v[20:23], v2 offset:976
	v_add_f64_e32 v[180:181], v[148:149], v[146:147]
	v_add_f64_e32 v[170:171], v[170:171], v[174:175]
	scratch_load_b128 v[146:149], off, off offset:320
	s_wait_loadcnt_dscnt 0xb01
	v_mul_f64_e32 v[174:175], v[4:5], v[132:133]
	v_mul_f64_e32 v[132:133], v[6:7], v[132:133]
	v_fmac_f64_e32 v[176:177], v[14:15], v[126:127]
	v_fma_f64 v[126:127], v[12:13], v[126:127], -v[128:129]
	scratch_load_b128 v[12:15], off, off offset:336
	v_add_f64_e32 v[128:129], v[180:181], v[178:179]
	v_add_f64_e32 v[170:171], v[170:171], v[172:173]
	s_wait_loadcnt_dscnt 0xb00
	v_mul_f64_e32 v[172:173], v[20:21], v[136:137]
	v_mul_f64_e32 v[136:137], v[22:23], v[136:137]
	v_fmac_f64_e32 v[174:175], v[6:7], v[130:131]
	v_fma_f64 v[178:179], v[4:5], v[130:131], -v[132:133]
	v_add_f64_e32 v[180:181], v[128:129], v[126:127]
	v_add_f64_e32 v[170:171], v[170:171], v[176:177]
	ds_load_b128 v[4:7], v2 offset:992
	ds_load_b128 v[126:129], v2 offset:1008
	scratch_load_b128 v[130:133], off, off offset:352
	v_fmac_f64_e32 v[172:173], v[22:23], v[134:135]
	v_fma_f64 v[134:135], v[20:21], v[134:135], -v[136:137]
	scratch_load_b128 v[20:23], off, off offset:368
	s_wait_loadcnt_dscnt 0xc01
	v_mul_f64_e32 v[176:177], v[4:5], v[140:141]
	v_mul_f64_e32 v[140:141], v[6:7], v[140:141]
	v_add_f64_e32 v[136:137], v[180:181], v[178:179]
	v_add_f64_e32 v[170:171], v[170:171], v[174:175]
	s_wait_loadcnt_dscnt 0xb00
	v_mul_f64_e32 v[174:175], v[126:127], v[144:145]
	v_mul_f64_e32 v[144:145], v[128:129], v[144:145]
	v_fmac_f64_e32 v[176:177], v[6:7], v[138:139]
	v_fma_f64 v[178:179], v[4:5], v[138:139], -v[140:141]
	v_add_f64_e32 v[180:181], v[136:137], v[134:135]
	v_add_f64_e32 v[170:171], v[170:171], v[172:173]
	ds_load_b128 v[4:7], v2 offset:1024
	ds_load_b128 v[134:137], v2 offset:1040
	scratch_load_b128 v[138:141], off, off offset:384
	v_fmac_f64_e32 v[174:175], v[128:129], v[142:143]
	v_fma_f64 v[142:143], v[126:127], v[142:143], -v[144:145]
	scratch_load_b128 v[126:129], off, off offset:400
	s_wait_loadcnt_dscnt 0xc01
	v_mul_f64_e32 v[172:173], v[4:5], v[152:153]
	v_mul_f64_e32 v[152:153], v[6:7], v[152:153]
	;; [unrolled: 18-line block ×5, first 2 shown]
	v_add_f64_e32 v[164:165], v[180:181], v[178:179]
	v_add_f64_e32 v[170:171], v[170:171], v[176:177]
	s_wait_loadcnt_dscnt 0xa00
	v_mul_f64_e32 v[176:177], v[142:143], v[14:15]
	v_mul_f64_e32 v[14:15], v[144:145], v[14:15]
	v_fmac_f64_e32 v[172:173], v[6:7], v[146:147]
	v_fma_f64 v[178:179], v[4:5], v[146:147], -v[148:149]
	ds_load_b128 v[4:7], v2 offset:1152
	ds_load_b128 v[146:149], v2 offset:1168
	v_add_f64_e32 v[180:181], v[164:165], v[162:163]
	v_add_f64_e32 v[170:171], v[170:171], v[174:175]
	scratch_load_b128 v[162:165], off, off offset:512
	v_fmac_f64_e32 v[176:177], v[144:145], v[12:13]
	v_fma_f64 v[142:143], v[142:143], v[12:13], -v[14:15]
	scratch_load_b128 v[12:15], off, off offset:528
	s_wait_loadcnt_dscnt 0xb01
	v_mul_f64_e32 v[174:175], v[4:5], v[132:133]
	v_mul_f64_e32 v[132:133], v[6:7], v[132:133]
	v_add_f64_e32 v[144:145], v[180:181], v[178:179]
	v_add_f64_e32 v[170:171], v[170:171], v[172:173]
	s_wait_loadcnt_dscnt 0xa00
	v_mul_f64_e32 v[172:173], v[146:147], v[22:23]
	v_mul_f64_e32 v[22:23], v[148:149], v[22:23]
	v_fmac_f64_e32 v[174:175], v[6:7], v[130:131]
	v_fma_f64 v[178:179], v[4:5], v[130:131], -v[132:133]
	ds_load_b128 v[4:7], v2 offset:1184
	ds_load_b128 v[130:133], v2 offset:1200
	v_add_f64_e32 v[180:181], v[144:145], v[142:143]
	v_add_f64_e32 v[170:171], v[170:171], v[176:177]
	scratch_load_b128 v[142:145], off, off offset:544
	s_wait_loadcnt_dscnt 0xa01
	v_mul_f64_e32 v[176:177], v[4:5], v[140:141]
	v_mul_f64_e32 v[140:141], v[6:7], v[140:141]
	v_fmac_f64_e32 v[172:173], v[148:149], v[20:21]
	v_fma_f64 v[146:147], v[146:147], v[20:21], -v[22:23]
	scratch_load_b128 v[20:23], off, off offset:560
	v_add_f64_e32 v[148:149], v[180:181], v[178:179]
	v_add_f64_e32 v[170:171], v[170:171], v[174:175]
	s_wait_loadcnt_dscnt 0xa00
	v_mul_f64_e32 v[174:175], v[130:131], v[128:129]
	v_mul_f64_e32 v[128:129], v[132:133], v[128:129]
	v_fmac_f64_e32 v[176:177], v[6:7], v[138:139]
	v_fma_f64 v[178:179], v[4:5], v[138:139], -v[140:141]
	ds_load_b128 v[4:7], v2 offset:1216
	ds_load_b128 v[138:141], v2 offset:1232
	v_add_f64_e32 v[180:181], v[148:149], v[146:147]
	v_add_f64_e32 v[170:171], v[170:171], v[172:173]
	scratch_load_b128 v[146:149], off, off offset:576
	s_wait_loadcnt_dscnt 0xa01
	v_mul_f64_e32 v[172:173], v[4:5], v[152:153]
	v_mul_f64_e32 v[152:153], v[6:7], v[152:153]
	v_fmac_f64_e32 v[174:175], v[132:133], v[126:127]
	v_fma_f64 v[130:131], v[130:131], v[126:127], -v[128:129]
	scratch_load_b128 v[126:129], off, off offset:592
	v_add_f64_e32 v[132:133], v[180:181], v[178:179]
	v_add_f64_e32 v[170:171], v[170:171], v[176:177]
	s_wait_loadcnt_dscnt 0xa00
	v_mul_f64_e32 v[176:177], v[138:139], v[136:137]
	v_mul_f64_e32 v[136:137], v[140:141], v[136:137]
	v_fmac_f64_e32 v[172:173], v[6:7], v[150:151]
	v_fma_f64 v[178:179], v[4:5], v[150:151], -v[152:153]
	v_add_f64_e32 v[180:181], v[132:133], v[130:131]
	v_add_f64_e32 v[170:171], v[170:171], v[174:175]
	ds_load_b128 v[4:7], v2 offset:1248
	ds_load_b128 v[130:133], v2 offset:1264
	scratch_load_b128 v[150:153], off, off offset:608
	v_fmac_f64_e32 v[176:177], v[140:141], v[134:135]
	v_fma_f64 v[138:139], v[138:139], v[134:135], -v[136:137]
	scratch_load_b128 v[134:137], off, off offset:624
	s_wait_loadcnt_dscnt 0xb01
	v_mul_f64_e32 v[174:175], v[4:5], v[168:169]
	v_mul_f64_e32 v[168:169], v[6:7], v[168:169]
	v_add_f64_e32 v[140:141], v[180:181], v[178:179]
	v_add_f64_e32 v[170:171], v[170:171], v[172:173]
	s_wait_loadcnt_dscnt 0xa00
	v_mul_f64_e32 v[172:173], v[130:131], v[10:11]
	v_mul_f64_e32 v[10:11], v[132:133], v[10:11]
	v_fmac_f64_e32 v[174:175], v[6:7], v[166:167]
	v_fma_f64 v[178:179], v[4:5], v[166:167], -v[168:169]
	v_add_f64_e32 v[180:181], v[140:141], v[138:139]
	v_add_f64_e32 v[170:171], v[170:171], v[176:177]
	ds_load_b128 v[4:7], v2 offset:1280
	ds_load_b128 v[138:141], v2 offset:1296
	scratch_load_b128 v[166:169], off, off offset:640
	v_fmac_f64_e32 v[172:173], v[132:133], v[8:9]
	v_fma_f64 v[130:131], v[130:131], v[8:9], -v[10:11]
	scratch_load_b128 v[8:11], off, off offset:656
	s_wait_loadcnt_dscnt 0xb01
	v_mul_f64_e32 v[176:177], v[4:5], v[156:157]
	v_mul_f64_e32 v[156:157], v[6:7], v[156:157]
	;; [unrolled: 18-line block ×6, first 2 shown]
	v_add_f64_e32 v[132:133], v[180:181], v[178:179]
	v_add_f64_e32 v[170:171], v[170:171], v[176:177]
	s_wait_loadcnt_dscnt 0xa00
	v_mul_f64_e32 v[176:177], v[138:139], v[136:137]
	v_mul_f64_e32 v[136:137], v[140:141], v[136:137]
	v_fmac_f64_e32 v[172:173], v[6:7], v[150:151]
	v_fma_f64 v[150:151], v[4:5], v[150:151], -v[152:153]
	v_add_f64_e32 v[152:153], v[132:133], v[130:131]
	v_add_f64_e32 v[170:171], v[170:171], v[174:175]
	ds_load_b128 v[4:7], v2 offset:1440
	ds_load_b128 v[130:133], v2 offset:1456
	v_fmac_f64_e32 v[176:177], v[140:141], v[134:135]
	v_fma_f64 v[134:135], v[138:139], v[134:135], -v[136:137]
	s_wait_loadcnt_dscnt 0x901
	v_mul_f64_e32 v[174:175], v[4:5], v[168:169]
	v_mul_f64_e32 v[168:169], v[6:7], v[168:169]
	s_wait_loadcnt_dscnt 0x800
	v_mul_f64_e32 v[140:141], v[130:131], v[10:11]
	v_mul_f64_e32 v[10:11], v[132:133], v[10:11]
	v_add_f64_e32 v[136:137], v[152:153], v[150:151]
	v_add_f64_e32 v[138:139], v[170:171], v[172:173]
	v_fmac_f64_e32 v[174:175], v[6:7], v[166:167]
	v_fma_f64 v[150:151], v[4:5], v[166:167], -v[168:169]
	v_fmac_f64_e32 v[140:141], v[132:133], v[8:9]
	v_fma_f64 v[8:9], v[130:131], v[8:9], -v[10:11]
	v_add_f64_e32 v[152:153], v[136:137], v[134:135]
	v_add_f64_e32 v[138:139], v[138:139], v[176:177]
	ds_load_b128 v[4:7], v2 offset:1472
	ds_load_b128 v[134:137], v2 offset:1488
	s_wait_loadcnt_dscnt 0x701
	v_mul_f64_e32 v[166:167], v[4:5], v[156:157]
	v_mul_f64_e32 v[156:157], v[6:7], v[156:157]
	s_wait_loadcnt_dscnt 0x600
	v_mul_f64_e32 v[132:133], v[134:135], v[18:19]
	v_mul_f64_e32 v[18:19], v[136:137], v[18:19]
	v_add_f64_e32 v[10:11], v[152:153], v[150:151]
	v_add_f64_e32 v[130:131], v[138:139], v[174:175]
	v_fmac_f64_e32 v[166:167], v[6:7], v[154:155]
	v_fma_f64 v[138:139], v[4:5], v[154:155], -v[156:157]
	v_fmac_f64_e32 v[132:133], v[136:137], v[16:17]
	v_fma_f64 v[16:17], v[134:135], v[16:17], -v[18:19]
	v_add_f64_e32 v[150:151], v[10:11], v[8:9]
	v_add_f64_e32 v[130:131], v[130:131], v[140:141]
	ds_load_b128 v[4:7], v2 offset:1504
	ds_load_b128 v[8:11], v2 offset:1520
	;; [unrolled: 16-line block ×3, first 2 shown]
	s_wait_loadcnt_dscnt 0x301
	v_mul_f64_e32 v[132:133], v[4:5], v[144:145]
	v_mul_f64_e32 v[144:145], v[6:7], v[144:145]
	v_add_f64_e32 v[10:11], v[18:19], v[138:139]
	v_add_f64_e32 v[12:13], v[130:131], v[140:141]
	s_wait_loadcnt_dscnt 0x200
	v_mul_f64_e32 v[18:19], v[14:15], v[22:23]
	v_mul_f64_e32 v[22:23], v[16:17], v[22:23]
	v_fmac_f64_e32 v[132:133], v[6:7], v[142:143]
	v_fma_f64 v[130:131], v[4:5], v[142:143], -v[144:145]
	v_add_f64_e32 v[136:137], v[10:11], v[8:9]
	v_add_f64_e32 v[12:13], v[12:13], v[134:135]
	ds_load_b128 v[4:7], v2 offset:1568
	ds_load_b128 v[8:11], v2 offset:1584
	v_fmac_f64_e32 v[18:19], v[16:17], v[20:21]
	v_fma_f64 v[14:15], v[14:15], v[20:21], -v[22:23]
	s_wait_loadcnt_dscnt 0x101
	v_mul_f64_e32 v[2:3], v[4:5], v[148:149]
	v_mul_f64_e32 v[134:135], v[6:7], v[148:149]
	s_wait_loadcnt_dscnt 0x0
	v_mul_f64_e32 v[20:21], v[8:9], v[128:129]
	v_mul_f64_e32 v[22:23], v[10:11], v[128:129]
	v_add_f64_e32 v[16:17], v[136:137], v[130:131]
	v_add_f64_e32 v[12:13], v[12:13], v[132:133]
	v_fmac_f64_e32 v[2:3], v[6:7], v[146:147]
	v_fma_f64 v[4:5], v[4:5], v[146:147], -v[134:135]
	v_fmac_f64_e32 v[20:21], v[10:11], v[126:127]
	v_fma_f64 v[8:9], v[8:9], v[126:127], -v[22:23]
	v_add_f64_e32 v[6:7], v[16:17], v[14:15]
	v_add_f64_e32 v[12:13], v[12:13], v[18:19]
	s_delay_alu instid0(VALU_DEP_2) | instskip(NEXT) | instid1(VALU_DEP_2)
	v_add_f64_e32 v[4:5], v[6:7], v[4:5]
	v_add_f64_e32 v[2:3], v[12:13], v[2:3]
	s_delay_alu instid0(VALU_DEP_2) | instskip(NEXT) | instid1(VALU_DEP_2)
	;; [unrolled: 3-line block ×3, first 2 shown]
	v_add_f64_e64 v[2:3], v[158:159], -v[4:5]
	v_add_f64_e64 v[4:5], v[160:161], -v[6:7]
	scratch_store_b128 off, v[2:5], off offset:48
	s_wait_xcnt 0x0
	v_cmpx_lt_u32_e32 2, v1
	s_cbranch_execz .LBB49_309
; %bb.308:
	scratch_load_b128 v[2:5], off, s47
	v_mov_b32_e32 v6, 0
	s_delay_alu instid0(VALU_DEP_1)
	v_dual_mov_b32 v7, v6 :: v_dual_mov_b32 v8, v6
	v_mov_b32_e32 v9, v6
	scratch_store_b128 off, v[6:9], off offset:32
	s_wait_loadcnt 0x0
	ds_store_b128 v124, v[2:5]
.LBB49_309:
	s_wait_xcnt 0x0
	s_or_b32 exec_lo, exec_lo, s2
	s_wait_storecnt_dscnt 0x0
	s_barrier_signal -1
	s_barrier_wait -1
	s_clause 0x9
	scratch_load_b128 v[4:7], off, off offset:48
	scratch_load_b128 v[8:11], off, off offset:64
	;; [unrolled: 1-line block ×10, first 2 shown]
	v_mov_b32_e32 v2, 0
	s_mov_b32 s2, exec_lo
	v_dual_ashrrev_i32 v29, 31, v28 :: v_dual_ashrrev_i32 v31, 31, v30
	v_ashrrev_i32_e32 v33, 31, v32
	ds_load_b128 v[146:149], v2 offset:848
	s_clause 0x2
	scratch_load_b128 v[150:153], off, off offset:208
	scratch_load_b128 v[154:157], off, off offset:32
	;; [unrolled: 1-line block ×3, first 2 shown]
	v_ashrrev_i32_e32 v37, 31, v36
	v_ashrrev_i32_e32 v41, 31, v40
	v_dual_ashrrev_i32 v45, 31, v44 :: v_dual_ashrrev_i32 v35, 31, v34
	v_ashrrev_i32_e32 v49, 31, v48
	v_dual_ashrrev_i32 v53, 31, v52 :: v_dual_ashrrev_i32 v39, 31, v38
	;; [unrolled: 2-line block ×3, first 2 shown]
	v_ashrrev_i32_e32 v65, 31, v64
	v_ashrrev_i32_e32 v69, 31, v68
	v_dual_ashrrev_i32 v73, 31, v72 :: v_dual_ashrrev_i32 v47, 31, v46
	v_dual_ashrrev_i32 v51, 31, v50 :: v_dual_ashrrev_i32 v77, 31, v76
	v_ashrrev_i32_e32 v55, 31, v54
	v_ashrrev_i32_e32 v59, 31, v58
	v_dual_ashrrev_i32 v63, 31, v62 :: v_dual_ashrrev_i32 v81, 31, v80
	v_dual_ashrrev_i32 v85, 31, v84 :: v_dual_ashrrev_i32 v67, 31, v66
	;; [unrolled: 1-line block ×4, first 2 shown]
	v_ashrrev_i32_e32 v79, 31, v78
	v_dual_ashrrev_i32 v83, 31, v82 :: v_dual_ashrrev_i32 v97, 31, v96
	v_dual_ashrrev_i32 v87, 31, v86 :: v_dual_ashrrev_i32 v101, 31, v100
	v_ashrrev_i32_e32 v91, 31, v90
	v_dual_ashrrev_i32 v95, 31, v94 :: v_dual_ashrrev_i32 v105, 31, v104
	v_ashrrev_i32_e32 v109, 31, v108
	v_dual_ashrrev_i32 v113, 31, v112 :: v_dual_ashrrev_i32 v99, 31, v98
	v_dual_ashrrev_i32 v103, 31, v102 :: v_dual_ashrrev_i32 v117, 31, v116
	;; [unrolled: 1-line block ×3, first 2 shown]
	v_ashrrev_i32_e32 v111, 31, v110
	v_ashrrev_i32_e32 v115, 31, v114
	;; [unrolled: 1-line block ×4, first 2 shown]
	s_wait_loadcnt_dscnt 0xc00
	v_mul_f64_e32 v[166:167], v[148:149], v[6:7]
	v_mul_f64_e32 v[170:171], v[146:147], v[6:7]
	ds_load_b128 v[158:161], v2 offset:864
	v_fma_f64 v[174:175], v[146:147], v[4:5], -v[166:167]
	v_fmac_f64_e32 v[170:171], v[148:149], v[4:5]
	ds_load_b128 v[4:7], v2 offset:880
	s_wait_loadcnt_dscnt 0xb01
	v_mul_f64_e32 v[172:173], v[158:159], v[10:11]
	v_mul_f64_e32 v[10:11], v[160:161], v[10:11]
	scratch_load_b128 v[146:149], off, off offset:240
	ds_load_b128 v[166:169], v2 offset:896
	s_wait_loadcnt_dscnt 0xb01
	v_mul_f64_e32 v[176:177], v[4:5], v[14:15]
	v_mul_f64_e32 v[14:15], v[6:7], v[14:15]
	v_add_f64_e32 v[170:171], 0, v[170:171]
	v_fmac_f64_e32 v[172:173], v[160:161], v[8:9]
	v_fma_f64 v[158:159], v[158:159], v[8:9], -v[10:11]
	v_add_f64_e32 v[160:161], 0, v[174:175]
	scratch_load_b128 v[8:11], off, off offset:256
	v_fmac_f64_e32 v[176:177], v[6:7], v[12:13]
	v_fma_f64 v[178:179], v[4:5], v[12:13], -v[14:15]
	ds_load_b128 v[4:7], v2 offset:912
	s_wait_loadcnt_dscnt 0xb01
	v_mul_f64_e32 v[174:175], v[166:167], v[18:19]
	v_mul_f64_e32 v[18:19], v[168:169], v[18:19]
	scratch_load_b128 v[12:15], off, off offset:272
	v_add_f64_e32 v[170:171], v[170:171], v[172:173]
	v_add_f64_e32 v[180:181], v[160:161], v[158:159]
	ds_load_b128 v[158:161], v2 offset:928
	s_wait_loadcnt_dscnt 0xb01
	v_mul_f64_e32 v[172:173], v[4:5], v[22:23]
	v_mul_f64_e32 v[22:23], v[6:7], v[22:23]
	v_fmac_f64_e32 v[174:175], v[168:169], v[16:17]
	v_fma_f64 v[166:167], v[166:167], v[16:17], -v[18:19]
	scratch_load_b128 v[16:19], off, off offset:288
	v_add_f64_e32 v[170:171], v[170:171], v[176:177]
	v_add_f64_e32 v[168:169], v[180:181], v[178:179]
	v_fmac_f64_e32 v[172:173], v[6:7], v[20:21]
	v_fma_f64 v[178:179], v[4:5], v[20:21], -v[22:23]
	ds_load_b128 v[4:7], v2 offset:944
	s_wait_loadcnt_dscnt 0xb01
	v_mul_f64_e32 v[176:177], v[158:159], v[128:129]
	v_mul_f64_e32 v[128:129], v[160:161], v[128:129]
	scratch_load_b128 v[20:23], off, off offset:304
	v_add_f64_e32 v[170:171], v[170:171], v[174:175]
	s_wait_loadcnt_dscnt 0xb00
	v_mul_f64_e32 v[174:175], v[4:5], v[132:133]
	v_add_f64_e32 v[180:181], v[168:169], v[166:167]
	v_mul_f64_e32 v[132:133], v[6:7], v[132:133]
	ds_load_b128 v[166:169], v2 offset:960
	v_fmac_f64_e32 v[176:177], v[160:161], v[126:127]
	v_fma_f64 v[158:159], v[158:159], v[126:127], -v[128:129]
	scratch_load_b128 v[126:129], off, off offset:320
	v_add_f64_e32 v[170:171], v[170:171], v[172:173]
	v_fmac_f64_e32 v[174:175], v[6:7], v[130:131]
	v_add_f64_e32 v[160:161], v[180:181], v[178:179]
	v_fma_f64 v[178:179], v[4:5], v[130:131], -v[132:133]
	ds_load_b128 v[4:7], v2 offset:976
	s_wait_loadcnt_dscnt 0xb01
	v_mul_f64_e32 v[172:173], v[166:167], v[136:137]
	v_mul_f64_e32 v[136:137], v[168:169], v[136:137]
	scratch_load_b128 v[130:133], off, off offset:336
	v_add_f64_e32 v[170:171], v[170:171], v[176:177]
	s_wait_loadcnt_dscnt 0xb00
	v_mul_f64_e32 v[176:177], v[4:5], v[140:141]
	v_add_f64_e32 v[180:181], v[160:161], v[158:159]
	v_mul_f64_e32 v[140:141], v[6:7], v[140:141]
	ds_load_b128 v[158:161], v2 offset:992
	v_fmac_f64_e32 v[172:173], v[168:169], v[134:135]
	v_fma_f64 v[166:167], v[166:167], v[134:135], -v[136:137]
	scratch_load_b128 v[134:137], off, off offset:352
	v_add_f64_e32 v[170:171], v[170:171], v[174:175]
	v_fmac_f64_e32 v[176:177], v[6:7], v[138:139]
	v_add_f64_e32 v[168:169], v[180:181], v[178:179]
	;; [unrolled: 18-line block ×3, first 2 shown]
	v_fma_f64 v[178:179], v[4:5], v[150:151], -v[152:153]
	ds_load_b128 v[4:7], v2 offset:1040
	s_wait_loadcnt_dscnt 0xa01
	v_mul_f64_e32 v[176:177], v[166:167], v[164:165]
	v_mul_f64_e32 v[164:165], v[168:169], v[164:165]
	scratch_load_b128 v[150:153], off, off offset:400
	v_add_f64_e32 v[170:171], v[170:171], v[174:175]
	v_add_f64_e32 v[180:181], v[160:161], v[158:159]
	s_wait_loadcnt_dscnt 0xa00
	v_mul_f64_e32 v[174:175], v[4:5], v[148:149]
	v_mul_f64_e32 v[148:149], v[6:7], v[148:149]
	v_fmac_f64_e32 v[176:177], v[168:169], v[162:163]
	v_fma_f64 v[166:167], v[166:167], v[162:163], -v[164:165]
	ds_load_b128 v[158:161], v2 offset:1056
	scratch_load_b128 v[162:165], off, off offset:416
	v_add_f64_e32 v[170:171], v[170:171], v[172:173]
	v_add_f64_e32 v[168:169], v[180:181], v[178:179]
	v_fmac_f64_e32 v[174:175], v[6:7], v[146:147]
	v_fma_f64 v[178:179], v[4:5], v[146:147], -v[148:149]
	ds_load_b128 v[4:7], v2 offset:1072
	s_wait_loadcnt_dscnt 0xa01
	v_mul_f64_e32 v[172:173], v[158:159], v[10:11]
	v_mul_f64_e32 v[10:11], v[160:161], v[10:11]
	scratch_load_b128 v[146:149], off, off offset:432
	v_add_f64_e32 v[170:171], v[170:171], v[176:177]
	s_wait_loadcnt_dscnt 0xa00
	v_mul_f64_e32 v[176:177], v[4:5], v[14:15]
	v_add_f64_e32 v[180:181], v[168:169], v[166:167]
	v_mul_f64_e32 v[14:15], v[6:7], v[14:15]
	ds_load_b128 v[166:169], v2 offset:1088
	v_fmac_f64_e32 v[172:173], v[160:161], v[8:9]
	v_fma_f64 v[158:159], v[158:159], v[8:9], -v[10:11]
	scratch_load_b128 v[8:11], off, off offset:448
	v_add_f64_e32 v[170:171], v[170:171], v[174:175]
	v_fmac_f64_e32 v[176:177], v[6:7], v[12:13]
	v_add_f64_e32 v[160:161], v[180:181], v[178:179]
	v_fma_f64 v[178:179], v[4:5], v[12:13], -v[14:15]
	ds_load_b128 v[4:7], v2 offset:1104
	s_wait_loadcnt_dscnt 0xa01
	v_mul_f64_e32 v[174:175], v[166:167], v[18:19]
	v_mul_f64_e32 v[18:19], v[168:169], v[18:19]
	scratch_load_b128 v[12:15], off, off offset:464
	v_add_f64_e32 v[170:171], v[170:171], v[172:173]
	s_wait_loadcnt_dscnt 0xa00
	v_mul_f64_e32 v[172:173], v[4:5], v[22:23]
	v_add_f64_e32 v[180:181], v[160:161], v[158:159]
	v_mul_f64_e32 v[22:23], v[6:7], v[22:23]
	ds_load_b128 v[158:161], v2 offset:1120
	v_fmac_f64_e32 v[174:175], v[168:169], v[16:17]
	v_fma_f64 v[166:167], v[166:167], v[16:17], -v[18:19]
	scratch_load_b128 v[16:19], off, off offset:480
	v_add_f64_e32 v[170:171], v[170:171], v[176:177]
	v_fmac_f64_e32 v[172:173], v[6:7], v[20:21]
	v_add_f64_e32 v[168:169], v[180:181], v[178:179]
	;; [unrolled: 18-line block ×11, first 2 shown]
	v_fma_f64 v[178:179], v[4:5], v[150:151], -v[152:153]
	ds_load_b128 v[4:7], v2 offset:1424
	s_wait_loadcnt_dscnt 0xa01
	v_mul_f64_e32 v[176:177], v[166:167], v[164:165]
	v_mul_f64_e32 v[164:165], v[168:169], v[164:165]
	scratch_load_b128 v[150:153], off, off offset:784
	v_add_f64_e32 v[170:171], v[170:171], v[174:175]
	s_wait_loadcnt_dscnt 0xa00
	v_mul_f64_e32 v[174:175], v[4:5], v[148:149]
	v_add_f64_e32 v[180:181], v[160:161], v[158:159]
	v_mul_f64_e32 v[148:149], v[6:7], v[148:149]
	ds_load_b128 v[158:161], v2 offset:1440
	v_fmac_f64_e32 v[176:177], v[168:169], v[162:163]
	v_fma_f64 v[162:163], v[166:167], v[162:163], -v[164:165]
	s_wait_loadcnt_dscnt 0x900
	v_mul_f64_e32 v[168:169], v[158:159], v[10:11]
	v_mul_f64_e32 v[10:11], v[160:161], v[10:11]
	v_add_f64_e32 v[166:167], v[170:171], v[172:173]
	v_fmac_f64_e32 v[174:175], v[6:7], v[146:147]
	v_add_f64_e32 v[164:165], v[180:181], v[178:179]
	v_fma_f64 v[170:171], v[4:5], v[146:147], -v[148:149]
	ds_load_b128 v[4:7], v2 offset:1456
	ds_load_b128 v[146:149], v2 offset:1472
	v_fmac_f64_e32 v[168:169], v[160:161], v[8:9]
	v_fma_f64 v[8:9], v[158:159], v[8:9], -v[10:11]
	v_add_f64_e32 v[162:163], v[164:165], v[162:163]
	v_add_f64_e32 v[164:165], v[166:167], v[176:177]
	s_wait_loadcnt_dscnt 0x801
	v_mul_f64_e32 v[166:167], v[4:5], v[14:15]
	v_mul_f64_e32 v[14:15], v[6:7], v[14:15]
	s_wait_loadcnt_dscnt 0x700
	v_mul_f64_e32 v[160:161], v[146:147], v[18:19]
	v_mul_f64_e32 v[18:19], v[148:149], v[18:19]
	v_add_f64_e32 v[10:11], v[162:163], v[170:171]
	v_add_f64_e32 v[158:159], v[164:165], v[174:175]
	v_fmac_f64_e32 v[166:167], v[6:7], v[12:13]
	v_fma_f64 v[12:13], v[4:5], v[12:13], -v[14:15]
	v_fmac_f64_e32 v[160:161], v[148:149], v[16:17]
	v_fma_f64 v[16:17], v[146:147], v[16:17], -v[18:19]
	v_add_f64_e32 v[14:15], v[10:11], v[8:9]
	v_add_f64_e32 v[158:159], v[158:159], v[168:169]
	ds_load_b128 v[4:7], v2 offset:1488
	ds_load_b128 v[8:11], v2 offset:1504
	s_wait_loadcnt_dscnt 0x601
	v_mul_f64_e32 v[162:163], v[4:5], v[22:23]
	v_mul_f64_e32 v[22:23], v[6:7], v[22:23]
	s_wait_loadcnt_dscnt 0x500
	v_mul_f64_e32 v[18:19], v[8:9], v[128:129]
	v_mul_f64_e32 v[128:129], v[10:11], v[128:129]
	v_add_f64_e32 v[12:13], v[14:15], v[12:13]
	v_add_f64_e32 v[14:15], v[158:159], v[166:167]
	v_fmac_f64_e32 v[162:163], v[6:7], v[20:21]
	v_fma_f64 v[20:21], v[4:5], v[20:21], -v[22:23]
	v_fmac_f64_e32 v[18:19], v[10:11], v[126:127]
	v_fma_f64 v[8:9], v[8:9], v[126:127], -v[128:129]
	v_add_f64_e32 v[16:17], v[12:13], v[16:17]
	v_add_f64_e32 v[22:23], v[14:15], v[160:161]
	ds_load_b128 v[4:7], v2 offset:1520
	ds_load_b128 v[12:15], v2 offset:1536
	s_wait_loadcnt_dscnt 0x401
	v_mul_f64_e32 v[146:147], v[4:5], v[132:133]
	v_mul_f64_e32 v[132:133], v[6:7], v[132:133]
	v_add_f64_e32 v[10:11], v[16:17], v[20:21]
	v_add_f64_e32 v[16:17], v[22:23], v[162:163]
	s_wait_loadcnt_dscnt 0x300
	v_mul_f64_e32 v[20:21], v[12:13], v[136:137]
	v_mul_f64_e32 v[22:23], v[14:15], v[136:137]
	v_fmac_f64_e32 v[146:147], v[6:7], v[130:131]
	v_fma_f64 v[126:127], v[4:5], v[130:131], -v[132:133]
	v_add_f64_e32 v[128:129], v[10:11], v[8:9]
	v_add_f64_e32 v[16:17], v[16:17], v[18:19]
	ds_load_b128 v[4:7], v2 offset:1552
	ds_load_b128 v[8:11], v2 offset:1568
	v_fmac_f64_e32 v[20:21], v[14:15], v[134:135]
	v_fma_f64 v[12:13], v[12:13], v[134:135], -v[22:23]
	s_wait_loadcnt_dscnt 0x201
	v_mul_f64_e32 v[18:19], v[4:5], v[140:141]
	v_mul_f64_e32 v[130:131], v[6:7], v[140:141]
	s_wait_loadcnt_dscnt 0x100
	v_mul_f64_e32 v[22:23], v[8:9], v[144:145]
	v_add_f64_e32 v[14:15], v[128:129], v[126:127]
	v_add_f64_e32 v[16:17], v[16:17], v[146:147]
	v_mul_f64_e32 v[126:127], v[10:11], v[144:145]
	v_fmac_f64_e32 v[18:19], v[6:7], v[138:139]
	v_fma_f64 v[128:129], v[4:5], v[138:139], -v[130:131]
	ds_load_b128 v[4:7], v2 offset:1584
	v_fmac_f64_e32 v[22:23], v[10:11], v[142:143]
	v_add_f64_e32 v[12:13], v[14:15], v[12:13]
	v_add_f64_e32 v[14:15], v[16:17], v[20:21]
	v_fma_f64 v[8:9], v[8:9], v[142:143], -v[126:127]
	s_wait_loadcnt_dscnt 0x0
	v_mul_f64_e32 v[16:17], v[4:5], v[152:153]
	v_mul_f64_e32 v[20:21], v[6:7], v[152:153]
	v_add_f64_e32 v[10:11], v[12:13], v[128:129]
	v_add_f64_e32 v[12:13], v[14:15], v[18:19]
	s_delay_alu instid0(VALU_DEP_4) | instskip(NEXT) | instid1(VALU_DEP_4)
	v_fmac_f64_e32 v[16:17], v[6:7], v[150:151]
	v_fma_f64 v[4:5], v[4:5], v[150:151], -v[20:21]
	s_delay_alu instid0(VALU_DEP_4) | instskip(NEXT) | instid1(VALU_DEP_4)
	v_add_f64_e32 v[6:7], v[10:11], v[8:9]
	v_add_f64_e32 v[8:9], v[12:13], v[22:23]
	s_delay_alu instid0(VALU_DEP_2) | instskip(NEXT) | instid1(VALU_DEP_2)
	v_add_f64_e32 v[4:5], v[6:7], v[4:5]
	v_add_f64_e32 v[6:7], v[8:9], v[16:17]
	s_delay_alu instid0(VALU_DEP_2) | instskip(NEXT) | instid1(VALU_DEP_2)
	v_add_f64_e64 v[4:5], v[154:155], -v[4:5]
	v_add_f64_e64 v[6:7], v[156:157], -v[6:7]
	scratch_store_b128 off, v[4:7], off offset:32
	s_wait_xcnt 0x0
	v_cmpx_lt_u32_e32 1, v1
	s_cbranch_execz .LBB49_311
; %bb.310:
	scratch_load_b128 v[6:9], off, s50
	v_dual_mov_b32 v3, v2 :: v_dual_mov_b32 v4, v2
	v_mov_b32_e32 v5, v2
	scratch_store_b128 off, v[2:5], off offset:16
	s_wait_loadcnt 0x0
	ds_store_b128 v124, v[6:9]
.LBB49_311:
	s_wait_xcnt 0x0
	s_or_b32 exec_lo, exec_lo, s2
	s_wait_storecnt_dscnt 0x0
	s_barrier_signal -1
	s_barrier_wait -1
	s_clause 0x9
	scratch_load_b128 v[4:7], off, off offset:32
	scratch_load_b128 v[8:11], off, off offset:48
	;; [unrolled: 1-line block ×10, first 2 shown]
	ds_load_b128 v[146:149], v2 offset:832
	ds_load_b128 v[154:157], v2 offset:848
	s_clause 0x2
	scratch_load_b128 v[150:153], off, off offset:192
	scratch_load_b128 v[158:161], off, off offset:16
	;; [unrolled: 1-line block ×3, first 2 shown]
	s_mov_b32 s2, exec_lo
	s_wait_loadcnt_dscnt 0xc01
	v_mul_f64_e32 v[166:167], v[148:149], v[6:7]
	v_mul_f64_e32 v[170:171], v[146:147], v[6:7]
	s_wait_loadcnt_dscnt 0xb00
	v_mul_f64_e32 v[172:173], v[154:155], v[10:11]
	v_mul_f64_e32 v[10:11], v[156:157], v[10:11]
	s_delay_alu instid0(VALU_DEP_4) | instskip(NEXT) | instid1(VALU_DEP_4)
	v_fma_f64 v[174:175], v[146:147], v[4:5], -v[166:167]
	v_fmac_f64_e32 v[170:171], v[148:149], v[4:5]
	ds_load_b128 v[4:7], v2 offset:864
	ds_load_b128 v[146:149], v2 offset:880
	scratch_load_b128 v[166:169], off, off offset:224
	v_fmac_f64_e32 v[172:173], v[156:157], v[8:9]
	v_fma_f64 v[154:155], v[154:155], v[8:9], -v[10:11]
	scratch_load_b128 v[8:11], off, off offset:240
	s_wait_loadcnt_dscnt 0xc01
	v_mul_f64_e32 v[176:177], v[4:5], v[14:15]
	v_mul_f64_e32 v[14:15], v[6:7], v[14:15]
	v_add_f64_e32 v[156:157], 0, v[174:175]
	v_add_f64_e32 v[170:171], 0, v[170:171]
	s_wait_loadcnt_dscnt 0xb00
	v_mul_f64_e32 v[174:175], v[146:147], v[18:19]
	v_mul_f64_e32 v[18:19], v[148:149], v[18:19]
	v_fmac_f64_e32 v[176:177], v[6:7], v[12:13]
	v_fma_f64 v[178:179], v[4:5], v[12:13], -v[14:15]
	ds_load_b128 v[4:7], v2 offset:896
	ds_load_b128 v[12:15], v2 offset:912
	v_add_f64_e32 v[180:181], v[156:157], v[154:155]
	v_add_f64_e32 v[170:171], v[170:171], v[172:173]
	scratch_load_b128 v[154:157], off, off offset:256
	v_fmac_f64_e32 v[174:175], v[148:149], v[16:17]
	v_fma_f64 v[146:147], v[146:147], v[16:17], -v[18:19]
	scratch_load_b128 v[16:19], off, off offset:272
	s_wait_loadcnt_dscnt 0xc01
	v_mul_f64_e32 v[172:173], v[4:5], v[22:23]
	v_mul_f64_e32 v[22:23], v[6:7], v[22:23]
	v_add_f64_e32 v[148:149], v[180:181], v[178:179]
	v_add_f64_e32 v[170:171], v[170:171], v[176:177]
	s_wait_loadcnt_dscnt 0xb00
	v_mul_f64_e32 v[176:177], v[12:13], v[128:129]
	v_mul_f64_e32 v[128:129], v[14:15], v[128:129]
	v_fmac_f64_e32 v[172:173], v[6:7], v[20:21]
	v_fma_f64 v[178:179], v[4:5], v[20:21], -v[22:23]
	ds_load_b128 v[4:7], v2 offset:928
	ds_load_b128 v[20:23], v2 offset:944
	v_add_f64_e32 v[180:181], v[148:149], v[146:147]
	v_add_f64_e32 v[170:171], v[170:171], v[174:175]
	scratch_load_b128 v[146:149], off, off offset:288
	s_wait_loadcnt_dscnt 0xb01
	v_mul_f64_e32 v[174:175], v[4:5], v[132:133]
	v_mul_f64_e32 v[132:133], v[6:7], v[132:133]
	v_fmac_f64_e32 v[176:177], v[14:15], v[126:127]
	v_fma_f64 v[126:127], v[12:13], v[126:127], -v[128:129]
	scratch_load_b128 v[12:15], off, off offset:304
	v_add_f64_e32 v[128:129], v[180:181], v[178:179]
	v_add_f64_e32 v[170:171], v[170:171], v[172:173]
	s_wait_loadcnt_dscnt 0xb00
	v_mul_f64_e32 v[172:173], v[20:21], v[136:137]
	v_mul_f64_e32 v[136:137], v[22:23], v[136:137]
	v_fmac_f64_e32 v[174:175], v[6:7], v[130:131]
	v_fma_f64 v[178:179], v[4:5], v[130:131], -v[132:133]
	v_add_f64_e32 v[180:181], v[128:129], v[126:127]
	v_add_f64_e32 v[170:171], v[170:171], v[176:177]
	ds_load_b128 v[4:7], v2 offset:960
	ds_load_b128 v[126:129], v2 offset:976
	scratch_load_b128 v[130:133], off, off offset:320
	v_fmac_f64_e32 v[172:173], v[22:23], v[134:135]
	v_fma_f64 v[134:135], v[20:21], v[134:135], -v[136:137]
	scratch_load_b128 v[20:23], off, off offset:336
	s_wait_loadcnt_dscnt 0xc01
	v_mul_f64_e32 v[176:177], v[4:5], v[140:141]
	v_mul_f64_e32 v[140:141], v[6:7], v[140:141]
	v_add_f64_e32 v[136:137], v[180:181], v[178:179]
	v_add_f64_e32 v[170:171], v[170:171], v[174:175]
	s_wait_loadcnt_dscnt 0xb00
	v_mul_f64_e32 v[174:175], v[126:127], v[144:145]
	v_mul_f64_e32 v[144:145], v[128:129], v[144:145]
	v_fmac_f64_e32 v[176:177], v[6:7], v[138:139]
	v_fma_f64 v[178:179], v[4:5], v[138:139], -v[140:141]
	v_add_f64_e32 v[180:181], v[136:137], v[134:135]
	v_add_f64_e32 v[170:171], v[170:171], v[172:173]
	ds_load_b128 v[4:7], v2 offset:992
	ds_load_b128 v[134:137], v2 offset:1008
	scratch_load_b128 v[138:141], off, off offset:352
	v_fmac_f64_e32 v[174:175], v[128:129], v[142:143]
	v_fma_f64 v[142:143], v[126:127], v[142:143], -v[144:145]
	scratch_load_b128 v[126:129], off, off offset:368
	s_wait_loadcnt_dscnt 0xc01
	v_mul_f64_e32 v[172:173], v[4:5], v[152:153]
	v_mul_f64_e32 v[152:153], v[6:7], v[152:153]
	;; [unrolled: 18-line block ×5, first 2 shown]
	v_add_f64_e32 v[164:165], v[180:181], v[178:179]
	v_add_f64_e32 v[170:171], v[170:171], v[176:177]
	s_wait_loadcnt_dscnt 0xa00
	v_mul_f64_e32 v[176:177], v[142:143], v[14:15]
	v_mul_f64_e32 v[14:15], v[144:145], v[14:15]
	v_fmac_f64_e32 v[172:173], v[6:7], v[146:147]
	v_fma_f64 v[178:179], v[4:5], v[146:147], -v[148:149]
	ds_load_b128 v[4:7], v2 offset:1120
	ds_load_b128 v[146:149], v2 offset:1136
	v_add_f64_e32 v[180:181], v[164:165], v[162:163]
	v_add_f64_e32 v[170:171], v[170:171], v[174:175]
	scratch_load_b128 v[162:165], off, off offset:480
	v_fmac_f64_e32 v[176:177], v[144:145], v[12:13]
	v_fma_f64 v[142:143], v[142:143], v[12:13], -v[14:15]
	scratch_load_b128 v[12:15], off, off offset:496
	s_wait_loadcnt_dscnt 0xb01
	v_mul_f64_e32 v[174:175], v[4:5], v[132:133]
	v_mul_f64_e32 v[132:133], v[6:7], v[132:133]
	v_add_f64_e32 v[144:145], v[180:181], v[178:179]
	v_add_f64_e32 v[170:171], v[170:171], v[172:173]
	s_wait_loadcnt_dscnt 0xa00
	v_mul_f64_e32 v[172:173], v[146:147], v[22:23]
	v_mul_f64_e32 v[22:23], v[148:149], v[22:23]
	v_fmac_f64_e32 v[174:175], v[6:7], v[130:131]
	v_fma_f64 v[178:179], v[4:5], v[130:131], -v[132:133]
	ds_load_b128 v[4:7], v2 offset:1152
	ds_load_b128 v[130:133], v2 offset:1168
	v_add_f64_e32 v[180:181], v[144:145], v[142:143]
	v_add_f64_e32 v[170:171], v[170:171], v[176:177]
	scratch_load_b128 v[142:145], off, off offset:512
	s_wait_loadcnt_dscnt 0xa01
	v_mul_f64_e32 v[176:177], v[4:5], v[140:141]
	v_mul_f64_e32 v[140:141], v[6:7], v[140:141]
	v_fmac_f64_e32 v[172:173], v[148:149], v[20:21]
	v_fma_f64 v[146:147], v[146:147], v[20:21], -v[22:23]
	scratch_load_b128 v[20:23], off, off offset:528
	v_add_f64_e32 v[148:149], v[180:181], v[178:179]
	v_add_f64_e32 v[170:171], v[170:171], v[174:175]
	s_wait_loadcnt_dscnt 0xa00
	v_mul_f64_e32 v[174:175], v[130:131], v[128:129]
	v_mul_f64_e32 v[128:129], v[132:133], v[128:129]
	v_fmac_f64_e32 v[176:177], v[6:7], v[138:139]
	v_fma_f64 v[178:179], v[4:5], v[138:139], -v[140:141]
	ds_load_b128 v[4:7], v2 offset:1184
	ds_load_b128 v[138:141], v2 offset:1200
	v_add_f64_e32 v[180:181], v[148:149], v[146:147]
	v_add_f64_e32 v[170:171], v[170:171], v[172:173]
	scratch_load_b128 v[146:149], off, off offset:544
	s_wait_loadcnt_dscnt 0xa01
	v_mul_f64_e32 v[172:173], v[4:5], v[152:153]
	v_mul_f64_e32 v[152:153], v[6:7], v[152:153]
	v_fmac_f64_e32 v[174:175], v[132:133], v[126:127]
	v_fma_f64 v[130:131], v[130:131], v[126:127], -v[128:129]
	scratch_load_b128 v[126:129], off, off offset:560
	v_add_f64_e32 v[132:133], v[180:181], v[178:179]
	v_add_f64_e32 v[170:171], v[170:171], v[176:177]
	s_wait_loadcnt_dscnt 0xa00
	v_mul_f64_e32 v[176:177], v[138:139], v[136:137]
	v_mul_f64_e32 v[136:137], v[140:141], v[136:137]
	v_fmac_f64_e32 v[172:173], v[6:7], v[150:151]
	v_fma_f64 v[178:179], v[4:5], v[150:151], -v[152:153]
	v_add_f64_e32 v[180:181], v[132:133], v[130:131]
	v_add_f64_e32 v[170:171], v[170:171], v[174:175]
	ds_load_b128 v[4:7], v2 offset:1216
	ds_load_b128 v[130:133], v2 offset:1232
	scratch_load_b128 v[150:153], off, off offset:576
	v_fmac_f64_e32 v[176:177], v[140:141], v[134:135]
	v_fma_f64 v[138:139], v[138:139], v[134:135], -v[136:137]
	scratch_load_b128 v[134:137], off, off offset:592
	s_wait_loadcnt_dscnt 0xb01
	v_mul_f64_e32 v[174:175], v[4:5], v[168:169]
	v_mul_f64_e32 v[168:169], v[6:7], v[168:169]
	v_add_f64_e32 v[140:141], v[180:181], v[178:179]
	v_add_f64_e32 v[170:171], v[170:171], v[172:173]
	s_wait_loadcnt_dscnt 0xa00
	v_mul_f64_e32 v[172:173], v[130:131], v[10:11]
	v_mul_f64_e32 v[10:11], v[132:133], v[10:11]
	v_fmac_f64_e32 v[174:175], v[6:7], v[166:167]
	v_fma_f64 v[178:179], v[4:5], v[166:167], -v[168:169]
	v_add_f64_e32 v[180:181], v[140:141], v[138:139]
	v_add_f64_e32 v[170:171], v[170:171], v[176:177]
	ds_load_b128 v[4:7], v2 offset:1248
	ds_load_b128 v[138:141], v2 offset:1264
	scratch_load_b128 v[166:169], off, off offset:608
	v_fmac_f64_e32 v[172:173], v[132:133], v[8:9]
	v_fma_f64 v[130:131], v[130:131], v[8:9], -v[10:11]
	scratch_load_b128 v[8:11], off, off offset:624
	s_wait_loadcnt_dscnt 0xb01
	v_mul_f64_e32 v[176:177], v[4:5], v[156:157]
	v_mul_f64_e32 v[156:157], v[6:7], v[156:157]
	;; [unrolled: 18-line block ×7, first 2 shown]
	v_add_f64_e32 v[140:141], v[180:181], v[178:179]
	v_add_f64_e32 v[170:171], v[170:171], v[172:173]
	s_wait_loadcnt_dscnt 0xa00
	v_mul_f64_e32 v[172:173], v[130:131], v[10:11]
	v_mul_f64_e32 v[10:11], v[132:133], v[10:11]
	v_fmac_f64_e32 v[174:175], v[6:7], v[166:167]
	v_fma_f64 v[166:167], v[4:5], v[166:167], -v[168:169]
	v_add_f64_e32 v[168:169], v[140:141], v[138:139]
	v_add_f64_e32 v[170:171], v[170:171], v[176:177]
	ds_load_b128 v[4:7], v2 offset:1440
	ds_load_b128 v[138:141], v2 offset:1456
	v_fmac_f64_e32 v[172:173], v[132:133], v[8:9]
	v_fma_f64 v[8:9], v[130:131], v[8:9], -v[10:11]
	s_wait_loadcnt_dscnt 0x901
	v_mul_f64_e32 v[176:177], v[4:5], v[156:157]
	v_mul_f64_e32 v[156:157], v[6:7], v[156:157]
	s_wait_loadcnt_dscnt 0x800
	v_mul_f64_e32 v[132:133], v[138:139], v[18:19]
	v_mul_f64_e32 v[18:19], v[140:141], v[18:19]
	v_add_f64_e32 v[10:11], v[168:169], v[166:167]
	v_add_f64_e32 v[130:131], v[170:171], v[174:175]
	v_fmac_f64_e32 v[176:177], v[6:7], v[154:155]
	v_fma_f64 v[154:155], v[4:5], v[154:155], -v[156:157]
	v_fmac_f64_e32 v[132:133], v[140:141], v[16:17]
	v_fma_f64 v[16:17], v[138:139], v[16:17], -v[18:19]
	v_add_f64_e32 v[156:157], v[10:11], v[8:9]
	v_add_f64_e32 v[130:131], v[130:131], v[172:173]
	ds_load_b128 v[4:7], v2 offset:1472
	ds_load_b128 v[8:11], v2 offset:1488
	s_wait_loadcnt_dscnt 0x701
	v_mul_f64_e32 v[166:167], v[4:5], v[164:165]
	v_mul_f64_e32 v[164:165], v[6:7], v[164:165]
	s_wait_loadcnt_dscnt 0x600
	v_mul_f64_e32 v[138:139], v[8:9], v[14:15]
	v_mul_f64_e32 v[140:141], v[10:11], v[14:15]
	v_add_f64_e32 v[18:19], v[156:157], v[154:155]
	v_add_f64_e32 v[130:131], v[130:131], v[176:177]
	v_fmac_f64_e32 v[166:167], v[6:7], v[162:163]
	v_fma_f64 v[154:155], v[4:5], v[162:163], -v[164:165]
	v_fmac_f64_e32 v[138:139], v[10:11], v[12:13]
	v_fma_f64 v[8:9], v[8:9], v[12:13], -v[140:141]
	v_add_f64_e32 v[18:19], v[18:19], v[16:17]
	v_add_f64_e32 v[130:131], v[130:131], v[132:133]
	ds_load_b128 v[4:7], v2 offset:1504
	ds_load_b128 v[14:17], v2 offset:1520
	s_wait_loadcnt_dscnt 0x501
	v_mul_f64_e32 v[132:133], v[4:5], v[144:145]
	v_mul_f64_e32 v[144:145], v[6:7], v[144:145]
	v_add_f64_e32 v[10:11], v[18:19], v[154:155]
	v_add_f64_e32 v[12:13], v[130:131], v[166:167]
	s_wait_loadcnt_dscnt 0x400
	v_mul_f64_e32 v[18:19], v[14:15], v[22:23]
	v_mul_f64_e32 v[22:23], v[16:17], v[22:23]
	v_fmac_f64_e32 v[132:133], v[6:7], v[142:143]
	v_fma_f64 v[130:131], v[4:5], v[142:143], -v[144:145]
	v_add_f64_e32 v[140:141], v[10:11], v[8:9]
	v_add_f64_e32 v[12:13], v[12:13], v[138:139]
	ds_load_b128 v[4:7], v2 offset:1536
	ds_load_b128 v[8:11], v2 offset:1552
	v_fmac_f64_e32 v[18:19], v[16:17], v[20:21]
	v_fma_f64 v[14:15], v[14:15], v[20:21], -v[22:23]
	s_wait_loadcnt_dscnt 0x301
	v_mul_f64_e32 v[138:139], v[4:5], v[148:149]
	v_mul_f64_e32 v[142:143], v[6:7], v[148:149]
	s_wait_loadcnt_dscnt 0x200
	v_mul_f64_e32 v[20:21], v[8:9], v[128:129]
	v_mul_f64_e32 v[22:23], v[10:11], v[128:129]
	v_add_f64_e32 v[16:17], v[140:141], v[130:131]
	v_add_f64_e32 v[12:13], v[12:13], v[132:133]
	v_fmac_f64_e32 v[138:139], v[6:7], v[146:147]
	v_fma_f64 v[128:129], v[4:5], v[146:147], -v[142:143]
	v_fmac_f64_e32 v[20:21], v[10:11], v[126:127]
	v_fma_f64 v[8:9], v[8:9], v[126:127], -v[22:23]
	v_add_f64_e32 v[16:17], v[16:17], v[14:15]
	v_add_f64_e32 v[18:19], v[12:13], v[18:19]
	ds_load_b128 v[4:7], v2 offset:1568
	ds_load_b128 v[12:15], v2 offset:1584
	s_wait_loadcnt_dscnt 0x101
	v_mul_f64_e32 v[2:3], v[4:5], v[152:153]
	v_mul_f64_e32 v[130:131], v[6:7], v[152:153]
	s_wait_loadcnt_dscnt 0x0
	v_mul_f64_e32 v[22:23], v[14:15], v[136:137]
	v_add_f64_e32 v[10:11], v[16:17], v[128:129]
	v_add_f64_e32 v[16:17], v[18:19], v[138:139]
	v_mul_f64_e32 v[18:19], v[12:13], v[136:137]
	v_fmac_f64_e32 v[2:3], v[6:7], v[150:151]
	v_fma_f64 v[4:5], v[4:5], v[150:151], -v[130:131]
	v_add_f64_e32 v[6:7], v[10:11], v[8:9]
	v_add_f64_e32 v[8:9], v[16:17], v[20:21]
	v_fmac_f64_e32 v[18:19], v[14:15], v[134:135]
	v_fma_f64 v[10:11], v[12:13], v[134:135], -v[22:23]
	s_delay_alu instid0(VALU_DEP_4) | instskip(NEXT) | instid1(VALU_DEP_4)
	v_add_f64_e32 v[4:5], v[6:7], v[4:5]
	v_add_f64_e32 v[2:3], v[8:9], v[2:3]
	s_delay_alu instid0(VALU_DEP_2) | instskip(NEXT) | instid1(VALU_DEP_2)
	v_add_f64_e32 v[4:5], v[4:5], v[10:11]
	v_add_f64_e32 v[6:7], v[2:3], v[18:19]
	s_delay_alu instid0(VALU_DEP_2) | instskip(NEXT) | instid1(VALU_DEP_2)
	v_add_f64_e64 v[2:3], v[158:159], -v[4:5]
	v_add_f64_e64 v[4:5], v[160:161], -v[6:7]
	scratch_store_b128 off, v[2:5], off offset:16
	s_wait_xcnt 0x0
	v_cmpx_ne_u32_e32 0, v1
	s_cbranch_execz .LBB49_313
; %bb.312:
	scratch_load_b128 v[2:5], off, off
	v_mov_b32_e32 v6, 0
	s_delay_alu instid0(VALU_DEP_1)
	v_dual_mov_b32 v7, v6 :: v_dual_mov_b32 v8, v6
	v_mov_b32_e32 v9, v6
	scratch_store_b128 off, v[6:9], off
	s_wait_loadcnt 0x0
	ds_store_b128 v124, v[2:5]
.LBB49_313:
	s_wait_xcnt 0x0
	s_or_b32 exec_lo, exec_lo, s2
	s_wait_storecnt_dscnt 0x0
	s_barrier_signal -1
	s_barrier_wait -1
	s_clause 0x9
	scratch_load_b128 v[2:5], off, off offset:16
	scratch_load_b128 v[6:9], off, off offset:32
	;; [unrolled: 1-line block ×10, first 2 shown]
	v_mov_b32_e32 v156, 0
	s_and_b32 vcc_lo, exec_lo, s62
	ds_load_b128 v[144:147], v156 offset:816
	s_clause 0x2
	scratch_load_b128 v[148:151], off, off offset:176
	scratch_load_b128 v[158:161], off, off
	scratch_load_b128 v[162:165], off, off offset:192
	s_wait_loadcnt_dscnt 0xc00
	v_mul_f64_e32 v[22:23], v[146:147], v[4:5]
	v_mul_f64_e32 v[170:171], v[144:145], v[4:5]
	ds_load_b128 v[152:155], v156 offset:832
	ds_load_b128 v[166:169], v156 offset:864
	v_fma_f64 v[22:23], v[144:145], v[2:3], -v[22:23]
	v_fmac_f64_e32 v[170:171], v[146:147], v[2:3]
	ds_load_b128 v[2:5], v156 offset:848
	s_wait_loadcnt_dscnt 0xb02
	v_mul_f64_e32 v[172:173], v[152:153], v[8:9]
	v_mul_f64_e32 v[8:9], v[154:155], v[8:9]
	scratch_load_b128 v[144:147], off, off offset:208
	s_wait_loadcnt_dscnt 0xb00
	v_mul_f64_e32 v[174:175], v[2:3], v[12:13]
	v_mul_f64_e32 v[12:13], v[4:5], v[12:13]
	v_add_f64_e32 v[22:23], 0, v[22:23]
	v_fmac_f64_e32 v[172:173], v[154:155], v[6:7]
	v_fma_f64 v[152:153], v[152:153], v[6:7], -v[8:9]
	v_add_f64_e32 v[154:155], 0, v[170:171]
	scratch_load_b128 v[6:9], off, off offset:224
	v_fmac_f64_e32 v[174:175], v[4:5], v[10:11]
	v_fma_f64 v[176:177], v[2:3], v[10:11], -v[12:13]
	ds_load_b128 v[2:5], v156 offset:880
	s_wait_loadcnt 0xb
	v_mul_f64_e32 v[170:171], v[166:167], v[16:17]
	v_mul_f64_e32 v[16:17], v[168:169], v[16:17]
	scratch_load_b128 v[10:13], off, off offset:240
	v_add_f64_e32 v[22:23], v[22:23], v[152:153]
	v_add_f64_e32 v[172:173], v[154:155], v[172:173]
	ds_load_b128 v[152:155], v156 offset:896
	s_wait_loadcnt_dscnt 0xb01
	v_mul_f64_e32 v[178:179], v[2:3], v[20:21]
	v_mul_f64_e32 v[20:21], v[4:5], v[20:21]
	v_fmac_f64_e32 v[170:171], v[168:169], v[14:15]
	v_fma_f64 v[166:167], v[166:167], v[14:15], -v[16:17]
	scratch_load_b128 v[14:17], off, off offset:256
	v_add_f64_e32 v[22:23], v[22:23], v[176:177]
	v_add_f64_e32 v[168:169], v[172:173], v[174:175]
	v_fmac_f64_e32 v[178:179], v[4:5], v[18:19]
	v_fma_f64 v[174:175], v[2:3], v[18:19], -v[20:21]
	ds_load_b128 v[2:5], v156 offset:912
	s_wait_loadcnt_dscnt 0xb01
	v_mul_f64_e32 v[172:173], v[152:153], v[126:127]
	v_mul_f64_e32 v[126:127], v[154:155], v[126:127]
	scratch_load_b128 v[18:21], off, off offset:272
	s_wait_loadcnt_dscnt 0xb00
	v_mul_f64_e32 v[176:177], v[2:3], v[130:131]
	v_mul_f64_e32 v[130:131], v[4:5], v[130:131]
	v_add_f64_e32 v[22:23], v[22:23], v[166:167]
	v_add_f64_e32 v[170:171], v[168:169], v[170:171]
	ds_load_b128 v[166:169], v156 offset:928
	v_fmac_f64_e32 v[172:173], v[154:155], v[124:125]
	v_fma_f64 v[152:153], v[152:153], v[124:125], -v[126:127]
	scratch_load_b128 v[124:127], off, off offset:288
	v_fmac_f64_e32 v[176:177], v[4:5], v[128:129]
	v_add_f64_e32 v[22:23], v[22:23], v[174:175]
	v_add_f64_e32 v[154:155], v[170:171], v[178:179]
	v_fma_f64 v[174:175], v[2:3], v[128:129], -v[130:131]
	ds_load_b128 v[2:5], v156 offset:944
	s_wait_loadcnt_dscnt 0xb01
	v_mul_f64_e32 v[170:171], v[166:167], v[134:135]
	v_mul_f64_e32 v[134:135], v[168:169], v[134:135]
	scratch_load_b128 v[128:131], off, off offset:304
	s_wait_loadcnt_dscnt 0xb00
	v_mul_f64_e32 v[178:179], v[2:3], v[138:139]
	v_mul_f64_e32 v[138:139], v[4:5], v[138:139]
	v_add_f64_e32 v[22:23], v[22:23], v[152:153]
	v_add_f64_e32 v[172:173], v[154:155], v[172:173]
	ds_load_b128 v[152:155], v156 offset:960
	v_fmac_f64_e32 v[170:171], v[168:169], v[132:133]
	v_fma_f64 v[166:167], v[166:167], v[132:133], -v[134:135]
	scratch_load_b128 v[132:135], off, off offset:320
	v_fmac_f64_e32 v[178:179], v[4:5], v[136:137]
	v_add_f64_e32 v[22:23], v[22:23], v[174:175]
	v_add_f64_e32 v[168:169], v[172:173], v[176:177]
	;; [unrolled: 18-line block ×3, first 2 shown]
	v_fma_f64 v[174:175], v[2:3], v[148:149], -v[150:151]
	ds_load_b128 v[2:5], v156 offset:1008
	s_wait_loadcnt_dscnt 0xa01
	v_mul_f64_e32 v[170:171], v[166:167], v[164:165]
	v_mul_f64_e32 v[164:165], v[168:169], v[164:165]
	scratch_load_b128 v[148:151], off, off offset:368
	v_add_f64_e32 v[22:23], v[22:23], v[152:153]
	v_add_f64_e32 v[172:173], v[154:155], v[172:173]
	s_wait_loadcnt_dscnt 0xa00
	v_mul_f64_e32 v[178:179], v[2:3], v[146:147]
	v_mul_f64_e32 v[146:147], v[4:5], v[146:147]
	v_fmac_f64_e32 v[170:171], v[168:169], v[162:163]
	v_fma_f64 v[166:167], v[166:167], v[162:163], -v[164:165]
	ds_load_b128 v[152:155], v156 offset:1024
	scratch_load_b128 v[162:165], off, off offset:384
	v_add_f64_e32 v[22:23], v[22:23], v[174:175]
	v_add_f64_e32 v[168:169], v[172:173], v[176:177]
	v_fmac_f64_e32 v[178:179], v[4:5], v[144:145]
	v_fma_f64 v[174:175], v[2:3], v[144:145], -v[146:147]
	ds_load_b128 v[2:5], v156 offset:1040
	s_wait_loadcnt_dscnt 0xa01
	v_mul_f64_e32 v[172:173], v[152:153], v[8:9]
	v_mul_f64_e32 v[8:9], v[154:155], v[8:9]
	scratch_load_b128 v[144:147], off, off offset:400
	s_wait_loadcnt_dscnt 0xa00
	v_mul_f64_e32 v[176:177], v[2:3], v[12:13]
	v_mul_f64_e32 v[12:13], v[4:5], v[12:13]
	v_add_f64_e32 v[22:23], v[22:23], v[166:167]
	v_add_f64_e32 v[170:171], v[168:169], v[170:171]
	ds_load_b128 v[166:169], v156 offset:1056
	v_fmac_f64_e32 v[172:173], v[154:155], v[6:7]
	v_fma_f64 v[152:153], v[152:153], v[6:7], -v[8:9]
	scratch_load_b128 v[6:9], off, off offset:416
	v_fmac_f64_e32 v[176:177], v[4:5], v[10:11]
	v_add_f64_e32 v[22:23], v[22:23], v[174:175]
	v_add_f64_e32 v[154:155], v[170:171], v[178:179]
	v_fma_f64 v[174:175], v[2:3], v[10:11], -v[12:13]
	ds_load_b128 v[2:5], v156 offset:1072
	s_wait_loadcnt_dscnt 0xa01
	v_mul_f64_e32 v[170:171], v[166:167], v[16:17]
	v_mul_f64_e32 v[16:17], v[168:169], v[16:17]
	scratch_load_b128 v[10:13], off, off offset:432
	s_wait_loadcnt_dscnt 0xa00
	v_mul_f64_e32 v[178:179], v[2:3], v[20:21]
	v_mul_f64_e32 v[20:21], v[4:5], v[20:21]
	v_add_f64_e32 v[22:23], v[22:23], v[152:153]
	v_add_f64_e32 v[172:173], v[154:155], v[172:173]
	ds_load_b128 v[152:155], v156 offset:1088
	v_fmac_f64_e32 v[170:171], v[168:169], v[14:15]
	v_fma_f64 v[166:167], v[166:167], v[14:15], -v[16:17]
	scratch_load_b128 v[14:17], off, off offset:448
	v_fmac_f64_e32 v[178:179], v[4:5], v[18:19]
	v_add_f64_e32 v[22:23], v[22:23], v[174:175]
	v_add_f64_e32 v[168:169], v[172:173], v[176:177]
	;; [unrolled: 18-line block ×12, first 2 shown]
	v_fma_f64 v[174:175], v[2:3], v[144:145], -v[146:147]
	ds_load_b128 v[2:5], v156 offset:1424
	s_wait_loadcnt_dscnt 0xa01
	v_mul_f64_e32 v[172:173], v[152:153], v[8:9]
	v_mul_f64_e32 v[8:9], v[154:155], v[8:9]
	scratch_load_b128 v[144:147], off, off offset:784
	s_wait_loadcnt_dscnt 0xa00
	v_mul_f64_e32 v[176:177], v[2:3], v[12:13]
	v_mul_f64_e32 v[12:13], v[4:5], v[12:13]
	v_add_f64_e32 v[22:23], v[22:23], v[166:167]
	v_add_f64_e32 v[170:171], v[168:169], v[170:171]
	ds_load_b128 v[166:169], v156 offset:1440
	v_fmac_f64_e32 v[172:173], v[154:155], v[6:7]
	v_fma_f64 v[6:7], v[152:153], v[6:7], -v[8:9]
	s_wait_loadcnt_dscnt 0x900
	v_mul_f64_e32 v[152:153], v[166:167], v[16:17]
	v_mul_f64_e32 v[16:17], v[168:169], v[16:17]
	v_fmac_f64_e32 v[176:177], v[4:5], v[10:11]
	v_fma_f64 v[10:11], v[2:3], v[10:11], -v[12:13]
	v_add_f64_e32 v[8:9], v[22:23], v[174:175]
	v_add_f64_e32 v[22:23], v[170:171], v[178:179]
	v_fmac_f64_e32 v[152:153], v[168:169], v[14:15]
	v_fma_f64 v[14:15], v[166:167], v[14:15], -v[16:17]
	s_delay_alu instid0(VALU_DEP_4) | instskip(NEXT) | instid1(VALU_DEP_4)
	v_add_f64_e32 v[12:13], v[8:9], v[6:7]
	v_add_f64_e32 v[22:23], v[22:23], v[172:173]
	ds_load_b128 v[2:5], v156 offset:1456
	ds_load_b128 v[6:9], v156 offset:1472
	s_wait_loadcnt_dscnt 0x801
	v_mul_f64_e32 v[154:155], v[2:3], v[20:21]
	v_mul_f64_e32 v[20:21], v[4:5], v[20:21]
	s_wait_loadcnt_dscnt 0x700
	v_mul_f64_e32 v[16:17], v[6:7], v[126:127]
	v_add_f64_e32 v[10:11], v[12:13], v[10:11]
	v_add_f64_e32 v[12:13], v[22:23], v[176:177]
	v_mul_f64_e32 v[22:23], v[8:9], v[126:127]
	v_fmac_f64_e32 v[154:155], v[4:5], v[18:19]
	v_fma_f64 v[18:19], v[2:3], v[18:19], -v[20:21]
	v_fmac_f64_e32 v[16:17], v[8:9], v[124:125]
	v_add_f64_e32 v[14:15], v[10:11], v[14:15]
	v_add_f64_e32 v[20:21], v[12:13], v[152:153]
	ds_load_b128 v[2:5], v156 offset:1488
	ds_load_b128 v[10:13], v156 offset:1504
	v_fma_f64 v[6:7], v[6:7], v[124:125], -v[22:23]
	v_lshl_add_u64 v[152:153], v[30:31], 4, s[4:5]
	v_lshl_add_u64 v[30:31], v[84:85], 4, s[4:5]
	s_wait_loadcnt_dscnt 0x601
	v_mul_f64_e32 v[126:127], v[2:3], v[130:131]
	v_mul_f64_e32 v[130:131], v[4:5], v[130:131]
	v_add_f64_e32 v[8:9], v[14:15], v[18:19]
	v_add_f64_e32 v[14:15], v[20:21], v[154:155]
	s_wait_loadcnt_dscnt 0x500
	v_mul_f64_e32 v[18:19], v[10:11], v[134:135]
	v_mul_f64_e32 v[20:21], v[12:13], v[134:135]
	v_lshl_add_u64 v[154:155], v[28:29], 4, s[4:5]
	v_lshl_add_u64 v[134:135], v[50:51], 4, s[4:5]
	;; [unrolled: 1-line block ×4, first 2 shown]
	v_fmac_f64_e32 v[126:127], v[4:5], v[128:129]
	v_fma_f64 v[22:23], v[2:3], v[128:129], -v[130:131]
	v_lshl_add_u64 v[130:131], v[52:53], 4, s[4:5]
	v_lshl_add_u64 v[52:53], v[106:107], 4, s[4:5]
	v_add_f64_e32 v[124:125], v[8:9], v[6:7]
	v_add_f64_e32 v[14:15], v[14:15], v[16:17]
	ds_load_b128 v[2:5], v156 offset:1520
	ds_load_b128 v[6:9], v156 offset:1536
	v_fmac_f64_e32 v[18:19], v[12:13], v[132:133]
	v_fma_f64 v[10:11], v[10:11], v[132:133], -v[20:21]
	v_lshl_add_u64 v[132:133], v[48:49], 4, s[4:5]
	v_lshl_add_u64 v[48:49], v[102:103], 4, s[4:5]
	s_wait_loadcnt_dscnt 0x401
	v_mul_f64_e32 v[16:17], v[2:3], v[138:139]
	v_mul_f64_e32 v[128:129], v[4:5], v[138:139]
	s_wait_loadcnt_dscnt 0x300
	v_mul_f64_e32 v[20:21], v[6:7], v[142:143]
	v_lshl_add_u64 v[138:139], v[44:45], 4, s[4:5]
	v_lshl_add_u64 v[44:45], v[98:99], 4, s[4:5]
	v_add_f64_e32 v[12:13], v[124:125], v[22:23]
	v_add_f64_e32 v[14:15], v[14:15], v[126:127]
	v_mul_f64_e32 v[22:23], v[8:9], v[142:143]
	v_lshl_add_u64 v[142:143], v[42:43], 4, s[4:5]
	v_lshl_add_u64 v[42:43], v[96:97], 4, s[4:5]
	v_fmac_f64_e32 v[16:17], v[4:5], v[136:137]
	v_fma_f64 v[124:125], v[2:3], v[136:137], -v[128:129]
	v_fmac_f64_e32 v[20:21], v[8:9], v[140:141]
	v_lshl_add_u64 v[136:137], v[46:47], 4, s[4:5]
	v_lshl_add_u64 v[46:47], v[100:101], 4, s[4:5]
	v_add_f64_e32 v[126:127], v[12:13], v[10:11]
	v_add_f64_e32 v[14:15], v[14:15], v[18:19]
	ds_load_b128 v[2:5], v156 offset:1552
	ds_load_b128 v[10:13], v156 offset:1568
	v_fma_f64 v[6:7], v[6:7], v[140:141], -v[22:23]
	v_lshl_add_u64 v[140:141], v[40:41], 4, s[4:5]
	v_lshl_add_u64 v[40:41], v[94:95], 4, s[4:5]
	s_wait_loadcnt_dscnt 0x201
	v_mul_f64_e32 v[18:19], v[2:3], v[150:151]
	v_mul_f64_e32 v[128:129], v[4:5], v[150:151]
	s_wait_loadcnt_dscnt 0x100
	v_mul_f64_e32 v[22:23], v[12:13], v[164:165]
	v_lshl_add_u64 v[150:151], v[34:35], 4, s[4:5]
	v_lshl_add_u64 v[34:35], v[88:89], 4, s[4:5]
	v_add_f64_e32 v[8:9], v[126:127], v[124:125]
	v_add_f64_e32 v[14:15], v[14:15], v[16:17]
	v_mul_f64_e32 v[16:17], v[10:11], v[164:165]
	v_lshl_add_u64 v[126:127], v[58:59], 4, s[4:5]
	v_lshl_add_u64 v[58:59], v[112:113], 4, s[4:5]
	v_fmac_f64_e32 v[18:19], v[4:5], v[148:149]
	v_fma_f64 v[124:125], v[2:3], v[148:149], -v[128:129]
	ds_load_b128 v[2:5], v156 offset:1584
	v_fma_f64 v[10:11], v[10:11], v[162:163], -v[22:23]
	v_lshl_add_u64 v[148:149], v[32:33], 4, s[4:5]
	v_lshl_add_u64 v[128:129], v[54:55], 4, s[4:5]
	;; [unrolled: 1-line block ×5, first 2 shown]
	v_add_f64_e32 v[6:7], v[8:9], v[6:7]
	v_add_f64_e32 v[8:9], v[14:15], v[20:21]
	v_fmac_f64_e32 v[16:17], v[12:13], v[162:163]
	v_lshl_add_u64 v[12:13], v[70:71], 4, s[4:5]
	s_wait_loadcnt_dscnt 0x0
	v_mul_f64_e32 v[14:15], v[2:3], v[146:147]
	v_mul_f64_e32 v[20:21], v[4:5], v[146:147]
	v_lshl_add_u64 v[146:147], v[36:37], 4, s[4:5]
	v_lshl_add_u64 v[36:37], v[90:91], 4, s[4:5]
	v_add_f64_e32 v[6:7], v[6:7], v[124:125]
	v_add_f64_e32 v[8:9], v[8:9], v[18:19]
	v_lshl_add_u64 v[124:125], v[56:57], 4, s[4:5]
	v_lshl_add_u64 v[18:19], v[76:77], 4, s[4:5]
	;; [unrolled: 1-line block ×3, first 2 shown]
	v_fmac_f64_e32 v[14:15], v[4:5], v[144:145]
	v_fma_f64 v[2:3], v[2:3], v[144:145], -v[20:21]
	v_lshl_add_u64 v[144:145], v[38:39], 4, s[4:5]
	v_lshl_add_u64 v[20:21], v[78:79], 4, s[4:5]
	;; [unrolled: 1-line block ×3, first 2 shown]
	v_add_f64_e32 v[4:5], v[6:7], v[10:11]
	v_add_f64_e32 v[6:7], v[8:9], v[16:17]
	v_lshl_add_u64 v[10:11], v[68:69], 4, s[4:5]
	v_lshl_add_u64 v[16:17], v[74:75], 4, s[4:5]
	;; [unrolled: 1-line block ×3, first 2 shown]
	v_add_f64_e32 v[8:9], v[4:5], v[2:3]
	v_add_f64_e32 v[6:7], v[6:7], v[14:15]
	v_lshl_add_u64 v[4:5], v[60:61], 4, s[4:5]
	v_lshl_add_u64 v[2:3], v[62:63], 4, s[4:5]
	;; [unrolled: 1-line block ×5, first 2 shown]
	v_add_f64_e64 v[158:159], v[158:159], -v[8:9]
	v_add_f64_e64 v[160:161], v[160:161], -v[6:7]
	v_lshl_add_u64 v[6:7], v[64:65], 4, s[4:5]
	v_lshl_add_u64 v[8:9], v[66:67], 4, s[4:5]
	;; [unrolled: 1-line block ×4, first 2 shown]
	scratch_store_b128 off, v[158:161], off
	s_cbranch_vccz .LBB49_412
; %bb.314:
	global_load_b32 v70, v156, s[16:17] offset:192
	s_load_b64 s[2:3], s[0:1], 0x4
	v_bfe_u32 v71, v0, 10, 10
	v_bfe_u32 v0, v0, 20, 10
	s_wait_kmcnt 0x0
	s_lshr_b32 s0, s2, 16
	s_delay_alu instid0(VALU_DEP_2) | instskip(SKIP_1) | instid1(SALU_CYCLE_1)
	v_mul_u32_u24_e32 v71, s3, v71
	s_mul_i32 s0, s0, s3
	v_mul_u32_u24_e32 v1, s0, v1
	s_delay_alu instid0(VALU_DEP_1) | instskip(NEXT) | instid1(VALU_DEP_1)
	v_add3_u32 v0, v1, v71, v0
	v_lshl_add_u32 v0, v0, 4, 0x648
	s_wait_loadcnt 0x0
	v_cmp_ne_u32_e32 vcc_lo, 49, v70
	s_cbranch_vccz .LBB49_316
; %bb.315:
	v_lshlrev_b32_e32 v1, 4, v70
	s_clause 0x1
	scratch_load_b128 v[70:73], off, s20
	scratch_load_b128 v[74:77], v1, off offset:-16
	s_wait_loadcnt 0x1
	ds_store_2addr_b64 v0, v[70:71], v[72:73] offset1:1
	s_wait_loadcnt 0x0
	s_clause 0x1
	scratch_store_b128 off, v[74:77], s20
	scratch_store_b128 v1, v[70:73], off offset:-16
.LBB49_316:
	s_wait_xcnt 0x0
	v_mov_b32_e32 v1, 0
	global_load_b32 v70, v1, s[16:17] offset:188
	s_wait_loadcnt 0x0
	v_cmp_eq_u32_e32 vcc_lo, 48, v70
	s_cbranch_vccnz .LBB49_318
; %bb.317:
	v_lshlrev_b32_e32 v70, 4, v70
	s_delay_alu instid0(VALU_DEP_1)
	v_mov_b32_e32 v78, v70
	s_clause 0x1
	scratch_load_b128 v[70:73], off, s14
	scratch_load_b128 v[74:77], v78, off offset:-16
	s_wait_loadcnt 0x1
	ds_store_2addr_b64 v0, v[70:71], v[72:73] offset1:1
	s_wait_loadcnt 0x0
	s_clause 0x1
	scratch_store_b128 off, v[74:77], s14
	scratch_store_b128 v78, v[70:73], off offset:-16
.LBB49_318:
	global_load_b32 v1, v1, s[16:17] offset:184
	s_wait_loadcnt 0x0
	v_cmp_eq_u32_e32 vcc_lo, 47, v1
	s_cbranch_vccnz .LBB49_320
; %bb.319:
	s_wait_xcnt 0x0
	v_lshlrev_b32_e32 v1, 4, v1
	s_clause 0x1
	scratch_load_b128 v[70:73], off, s25
	scratch_load_b128 v[74:77], v1, off offset:-16
	s_wait_loadcnt 0x1
	ds_store_2addr_b64 v0, v[70:71], v[72:73] offset1:1
	s_wait_loadcnt 0x0
	s_clause 0x1
	scratch_store_b128 off, v[74:77], s25
	scratch_store_b128 v1, v[70:73], off offset:-16
.LBB49_320:
	s_wait_xcnt 0x0
	v_mov_b32_e32 v1, 0
	global_load_b32 v70, v1, s[16:17] offset:180
	s_wait_loadcnt 0x0
	v_cmp_eq_u32_e32 vcc_lo, 46, v70
	s_cbranch_vccnz .LBB49_322
; %bb.321:
	v_lshlrev_b32_e32 v70, 4, v70
	s_delay_alu instid0(VALU_DEP_1)
	v_mov_b32_e32 v78, v70
	s_clause 0x1
	scratch_load_b128 v[70:73], off, s22
	scratch_load_b128 v[74:77], v78, off offset:-16
	s_wait_loadcnt 0x1
	ds_store_2addr_b64 v0, v[70:71], v[72:73] offset1:1
	s_wait_loadcnt 0x0
	s_clause 0x1
	scratch_store_b128 off, v[74:77], s22
	scratch_store_b128 v78, v[70:73], off offset:-16
.LBB49_322:
	global_load_b32 v1, v1, s[16:17] offset:176
	s_wait_loadcnt 0x0
	v_cmp_eq_u32_e32 vcc_lo, 45, v1
	s_cbranch_vccnz .LBB49_324
; %bb.323:
	s_wait_xcnt 0x0
	v_lshlrev_b32_e32 v1, 4, v1
	s_clause 0x1
	scratch_load_b128 v[70:73], off, s28
	scratch_load_b128 v[74:77], v1, off offset:-16
	s_wait_loadcnt 0x1
	ds_store_2addr_b64 v0, v[70:71], v[72:73] offset1:1
	s_wait_loadcnt 0x0
	s_clause 0x1
	scratch_store_b128 off, v[74:77], s28
	scratch_store_b128 v1, v[70:73], off offset:-16
.LBB49_324:
	;; [unrolled: 37-line block ×23, first 2 shown]
	s_wait_xcnt 0x0
	v_mov_b32_e32 v1, 0
	global_load_b32 v70, v1, s[16:17] offset:4
	s_wait_loadcnt 0x0
	v_cmp_eq_u32_e32 vcc_lo, 2, v70
	s_cbranch_vccnz .LBB49_410
; %bb.409:
	v_lshlrev_b32_e32 v70, 4, v70
	s_delay_alu instid0(VALU_DEP_1)
	v_mov_b32_e32 v78, v70
	s_clause 0x1
	scratch_load_b128 v[70:73], off, s50
	scratch_load_b128 v[74:77], v78, off offset:-16
	s_wait_loadcnt 0x1
	ds_store_2addr_b64 v0, v[70:71], v[72:73] offset1:1
	s_wait_loadcnt 0x0
	s_clause 0x1
	scratch_store_b128 off, v[74:77], s50
	scratch_store_b128 v78, v[70:73], off offset:-16
.LBB49_410:
	global_load_b32 v1, v1, s[16:17]
	s_wait_loadcnt 0x0
	v_cmp_eq_u32_e32 vcc_lo, 1, v1
	s_cbranch_vccnz .LBB49_412
; %bb.411:
	s_wait_xcnt 0x0
	v_lshlrev_b32_e32 v1, 4, v1
	scratch_load_b128 v[70:73], off, off
	scratch_load_b128 v[74:77], v1, off offset:-16
	s_wait_loadcnt 0x1
	ds_store_2addr_b64 v0, v[70:71], v[72:73] offset1:1
	s_wait_loadcnt 0x0
	scratch_store_b128 off, v[74:77], off
	scratch_store_b128 v1, v[70:73], off offset:-16
.LBB49_412:
	scratch_load_b128 v[70:73], off, off
	s_clause 0x14
	scratch_load_b128 v[74:77], off, s50
	scratch_load_b128 v[78:81], off, s47
	scratch_load_b128 v[82:85], off, s48
	scratch_load_b128 v[86:89], off, s49
	scratch_load_b128 v[90:93], off, s53
	scratch_load_b128 v[94:97], off, s55
	scratch_load_b128 v[98:101], off, s58
	scratch_load_b128 v[102:105], off, s51
	scratch_load_b128 v[106:109], off, s52
	scratch_load_b128 v[110:113], off, s54
	scratch_load_b128 v[114:117], off, s57
	scratch_load_b128 v[118:121], off, s59
	scratch_load_b128 v[156:159], off, s60
	scratch_load_b128 v[160:163], off, s61
	scratch_load_b128 v[164:167], off, s56
	; meta instruction
	; meta instruction
	;; [unrolled: 1-line block ×15, first 2 shown]
	scratch_load_b128 v[168:171], off, s40
	scratch_load_b128 v[172:175], off, s42
	;; [unrolled: 1-line block ×6, first 2 shown]
	s_wait_loadcnt 0x15
	global_store_b128 v[24:25], v[70:73], off
	s_wait_loadcnt 0x14
	global_store_b128 v[26:27], v[74:77], off
	s_clause 0x1
	scratch_load_b128 v[24:27], off, s39
	scratch_load_b128 v[70:73], off, s41
	s_wait_loadcnt 0x15
	global_store_b128 v[154:155], v[78:81], off
	s_clause 0x1
	scratch_load_b128 v[74:77], off, s37
	scratch_load_b128 v[78:81], off, s38
	s_wait_loadcnt 0x16
	global_store_b128 v[152:153], v[82:85], off
	s_clause 0x1
	scratch_load_b128 v[82:85], off, s35
	scratch_load_b128 v[152:155], off, s36
	s_wait_loadcnt 0x17
	global_store_b128 v[148:149], v[86:89], off
	s_wait_loadcnt 0x16
	global_store_b128 v[150:151], v[90:93], off
	s_clause 0x1
	scratch_load_b128 v[86:89], off, s33
	scratch_load_b128 v[90:93], off, s34
	s_wait_loadcnt 0x17
	global_store_b128 v[146:147], v[94:97], off
	s_clause 0x1
	scratch_load_b128 v[94:97], off, s30
	scratch_load_b128 v[146:149], off, s31
	s_wait_loadcnt 0x18
	global_store_b128 v[144:145], v[98:101], off
	s_clause 0x1
	scratch_load_b128 v[98:101], off, s27
	scratch_load_b128 v[192:195], off, s29
	;; [unrolled: 17-line block ×4, first 2 shown]
	s_wait_loadcnt 0x1d
	global_store_b128 v[124:125], v[168:171], off
	s_wait_loadcnt 0x1c
	global_store_b128 v[126:127], v[172:175], off
	s_clause 0x1
	scratch_load_b128 v[122:125], off, s22
	scratch_load_b128 v[168:171], off, s25
	s_wait_loadcnt 0x1d
	global_store_b128 v[4:5], v[176:179], off
	s_clause 0x1
	scratch_load_b128 v[172:175], off, s14
	scratch_load_b128 v[176:179], off, s20
	s_wait_loadcnt 0x1e
	global_store_b128 v[2:3], v[180:183], off
	s_wait_loadcnt 0x1d
	global_store_b128 v[6:7], v[184:187], off
	;; [unrolled: 2-line block ×29, first 2 shown]
	s_wait_loadcnt 0x0
	s_clause 0x1
	global_store_b128 v[66:67], v[176:179], off
	global_store_b128 v[68:69], v[188:191], off
	s_sendmsg sendmsg(MSG_DEALLOC_VGPRS)
	s_endpgm
	.section	.rodata,"a",@progbits
	.p2align	6, 0x0
	.amdhsa_kernel _ZN9rocsolver6v33100L18getri_kernel_smallILi50E19rocblas_complex_numIdEPS3_EEvT1_iilPiilS6_bb
		.amdhsa_group_segment_fixed_size 2632
		.amdhsa_private_segment_fixed_size 816
		.amdhsa_kernarg_size 60
		.amdhsa_user_sgpr_count 4
		.amdhsa_user_sgpr_dispatch_ptr 1
		.amdhsa_user_sgpr_queue_ptr 0
		.amdhsa_user_sgpr_kernarg_segment_ptr 1
		.amdhsa_user_sgpr_dispatch_id 0
		.amdhsa_user_sgpr_kernarg_preload_length 0
		.amdhsa_user_sgpr_kernarg_preload_offset 0
		.amdhsa_user_sgpr_private_segment_size 0
		.amdhsa_wavefront_size32 1
		.amdhsa_uses_dynamic_stack 0
		.amdhsa_enable_private_segment 1
		.amdhsa_system_sgpr_workgroup_id_x 1
		.amdhsa_system_sgpr_workgroup_id_y 0
		.amdhsa_system_sgpr_workgroup_id_z 0
		.amdhsa_system_sgpr_workgroup_info 0
		.amdhsa_system_vgpr_workitem_id 2
		.amdhsa_next_free_vgpr 202
		.amdhsa_next_free_sgpr 84
		.amdhsa_named_barrier_count 0
		.amdhsa_reserve_vcc 1
		.amdhsa_float_round_mode_32 0
		.amdhsa_float_round_mode_16_64 0
		.amdhsa_float_denorm_mode_32 3
		.amdhsa_float_denorm_mode_16_64 3
		.amdhsa_fp16_overflow 0
		.amdhsa_memory_ordered 1
		.amdhsa_forward_progress 1
		.amdhsa_inst_pref_size 255
		.amdhsa_round_robin_scheduling 0
		.amdhsa_exception_fp_ieee_invalid_op 0
		.amdhsa_exception_fp_denorm_src 0
		.amdhsa_exception_fp_ieee_div_zero 0
		.amdhsa_exception_fp_ieee_overflow 0
		.amdhsa_exception_fp_ieee_underflow 0
		.amdhsa_exception_fp_ieee_inexact 0
		.amdhsa_exception_int_div_zero 0
	.end_amdhsa_kernel
	.section	.text._ZN9rocsolver6v33100L18getri_kernel_smallILi50E19rocblas_complex_numIdEPS3_EEvT1_iilPiilS6_bb,"axG",@progbits,_ZN9rocsolver6v33100L18getri_kernel_smallILi50E19rocblas_complex_numIdEPS3_EEvT1_iilPiilS6_bb,comdat
.Lfunc_end49:
	.size	_ZN9rocsolver6v33100L18getri_kernel_smallILi50E19rocblas_complex_numIdEPS3_EEvT1_iilPiilS6_bb, .Lfunc_end49-_ZN9rocsolver6v33100L18getri_kernel_smallILi50E19rocblas_complex_numIdEPS3_EEvT1_iilPiilS6_bb
                                        ; -- End function
	.set _ZN9rocsolver6v33100L18getri_kernel_smallILi50E19rocblas_complex_numIdEPS3_EEvT1_iilPiilS6_bb.num_vgpr, 202
	.set _ZN9rocsolver6v33100L18getri_kernel_smallILi50E19rocblas_complex_numIdEPS3_EEvT1_iilPiilS6_bb.num_agpr, 0
	.set _ZN9rocsolver6v33100L18getri_kernel_smallILi50E19rocblas_complex_numIdEPS3_EEvT1_iilPiilS6_bb.numbered_sgpr, 84
	.set _ZN9rocsolver6v33100L18getri_kernel_smallILi50E19rocblas_complex_numIdEPS3_EEvT1_iilPiilS6_bb.num_named_barrier, 0
	.set _ZN9rocsolver6v33100L18getri_kernel_smallILi50E19rocblas_complex_numIdEPS3_EEvT1_iilPiilS6_bb.private_seg_size, 816
	.set _ZN9rocsolver6v33100L18getri_kernel_smallILi50E19rocblas_complex_numIdEPS3_EEvT1_iilPiilS6_bb.uses_vcc, 1
	.set _ZN9rocsolver6v33100L18getri_kernel_smallILi50E19rocblas_complex_numIdEPS3_EEvT1_iilPiilS6_bb.uses_flat_scratch, 1
	.set _ZN9rocsolver6v33100L18getri_kernel_smallILi50E19rocblas_complex_numIdEPS3_EEvT1_iilPiilS6_bb.has_dyn_sized_stack, 0
	.set _ZN9rocsolver6v33100L18getri_kernel_smallILi50E19rocblas_complex_numIdEPS3_EEvT1_iilPiilS6_bb.has_recursion, 0
	.set _ZN9rocsolver6v33100L18getri_kernel_smallILi50E19rocblas_complex_numIdEPS3_EEvT1_iilPiilS6_bb.has_indirect_call, 0
	.section	.AMDGPU.csdata,"",@progbits
; Kernel info:
; codeLenInByte = 94888
; TotalNumSgprs: 86
; NumVgprs: 202
; ScratchSize: 816
; MemoryBound: 0
; FloatMode: 240
; IeeeMode: 1
; LDSByteSize: 2632 bytes/workgroup (compile time only)
; SGPRBlocks: 0
; VGPRBlocks: 12
; NumSGPRsForWavesPerEU: 86
; NumVGPRsForWavesPerEU: 202
; NamedBarCnt: 0
; Occupancy: 4
; WaveLimiterHint : 1
; COMPUTE_PGM_RSRC2:SCRATCH_EN: 1
; COMPUTE_PGM_RSRC2:USER_SGPR: 4
; COMPUTE_PGM_RSRC2:TRAP_HANDLER: 0
; COMPUTE_PGM_RSRC2:TGID_X_EN: 1
; COMPUTE_PGM_RSRC2:TGID_Y_EN: 0
; COMPUTE_PGM_RSRC2:TGID_Z_EN: 0
; COMPUTE_PGM_RSRC2:TIDIG_COMP_CNT: 2
	.section	.text._ZN9rocsolver6v33100L18getri_kernel_smallILi51E19rocblas_complex_numIdEPS3_EEvT1_iilPiilS6_bb,"axG",@progbits,_ZN9rocsolver6v33100L18getri_kernel_smallILi51E19rocblas_complex_numIdEPS3_EEvT1_iilPiilS6_bb,comdat
	.globl	_ZN9rocsolver6v33100L18getri_kernel_smallILi51E19rocblas_complex_numIdEPS3_EEvT1_iilPiilS6_bb ; -- Begin function _ZN9rocsolver6v33100L18getri_kernel_smallILi51E19rocblas_complex_numIdEPS3_EEvT1_iilPiilS6_bb
	.p2align	8
	.type	_ZN9rocsolver6v33100L18getri_kernel_smallILi51E19rocblas_complex_numIdEPS3_EEvT1_iilPiilS6_bb,@function
_ZN9rocsolver6v33100L18getri_kernel_smallILi51E19rocblas_complex_numIdEPS3_EEvT1_iilPiilS6_bb: ; @_ZN9rocsolver6v33100L18getri_kernel_smallILi51E19rocblas_complex_numIdEPS3_EEvT1_iilPiilS6_bb
; %bb.0:
	v_and_b32_e32 v1, 0x3ff, v0
	s_mov_b32 s4, exec_lo
	s_delay_alu instid0(VALU_DEP_1)
	v_cmpx_gt_u32_e32 51, v1
	s_cbranch_execz .LBB50_218
; %bb.1:
	s_clause 0x2
	s_load_b32 s8, s[2:3], 0x38
	s_load_b128 s[12:15], s[2:3], 0x10
	s_load_b128 s[4:7], s[2:3], 0x28
	s_getreg_b32 s11, hwreg(HW_REG_IB_STS2, 6, 4)
                                        ; implicit-def: $sgpr16_sgpr17
	s_wait_kmcnt 0x0
	s_bitcmp1_b32 s8, 8
	s_cselect_b32 s63, -1, 0
	s_bfe_u32 s9, ttmp6, 0x4000c
	s_and_b32 s10, ttmp6, 15
	s_add_co_i32 s9, s9, 1
	s_delay_alu instid0(SALU_CYCLE_1) | instskip(NEXT) | instid1(SALU_CYCLE_1)
	s_mul_i32 s9, ttmp9, s9
	s_add_co_i32 s10, s10, s9
	s_cmp_eq_u32 s11, 0
	s_cselect_b32 s18, ttmp9, s10
	s_bfe_u32 s8, s8, 0x10008
	s_ashr_i32 s19, s18, 31
	s_cmp_eq_u32 s8, 0
	s_cbranch_scc1 .LBB50_3
; %bb.2:
	s_load_b32 s8, s[2:3], 0x20
	s_mul_u64 s[4:5], s[4:5], s[18:19]
	s_delay_alu instid0(SALU_CYCLE_1) | instskip(NEXT) | instid1(SALU_CYCLE_1)
	s_lshl_b64 s[4:5], s[4:5], 2
	s_add_nc_u64 s[4:5], s[14:15], s[4:5]
	s_wait_kmcnt 0x0
	s_ashr_i32 s9, s8, 31
	s_delay_alu instid0(SALU_CYCLE_1) | instskip(NEXT) | instid1(SALU_CYCLE_1)
	s_lshl_b64 s[8:9], s[8:9], 2
	s_add_nc_u64 s[16:17], s[4:5], s[8:9]
.LBB50_3:
	s_load_b128 s[8:11], s[2:3], 0x0
	s_mul_u64 s[4:5], s[12:13], s[18:19]
	s_wait_xcnt 0x0
	s_load_b32 s2, s[2:3], 0x38
	s_lshl_b64 s[4:5], s[4:5], 4
	s_movk_i32 s64, 0x1d0
	s_movk_i32 s65, 0x1e0
	;; [unrolled: 1-line block ×16, first 2 shown]
	s_wait_kmcnt 0x0
	s_ashr_i32 s13, s10, 31
	s_mov_b32 s12, s10
	s_add_nc_u64 s[4:5], s[8:9], s[4:5]
	s_lshl_b64 s[8:9], s[12:13], 4
	v_add3_u32 v28, s11, s11, v1
	s_add_nc_u64 s[4:5], s[4:5], s[8:9]
	s_ashr_i32 s9, s11, 31
	global_load_b128 v[2:5], v1, s[4:5] scale_offset
	s_mov_b32 s8, s11
	v_add_nc_u32_e32 v30, s11, v28
	global_load_b128 v[6:9], v28, s[4:5] scale_offset
	s_movk_i32 s80, 0x2d0
	s_movk_i32 s81, 0x2e0
	;; [unrolled: 1-line block ×3, first 2 shown]
	v_add_nc_u32_e32 v32, s11, v30
	s_movk_i32 s83, 0x300
	s_movk_i32 s84, 0x310
	;; [unrolled: 1-line block ×3, first 2 shown]
	s_mov_b32 s47, 16
	v_add_nc_u32_e32 v34, s11, v32
	s_mov_b32 s41, 32
	s_mov_b32 s43, 48
	;; [unrolled: 1-line block ×3, first 2 shown]
	s_movk_i32 s54, 0x50
	v_add_nc_u32_e32 v36, s11, v34
	global_load_b128 v[10:13], v30, s[4:5] scale_offset
	s_movk_i32 s56, 0x60
	s_movk_i32 s59, 0x70
	s_movk_i32 s52, 0x80
	v_add_nc_u32_e32 v38, s11, v36
	global_load_b128 v[16:19], v32, s[4:5] scale_offset
	s_movk_i32 s53, 0x90
	s_movk_i32 s55, 0xa0
	;; [unrolled: 5-line block ×3, first 2 shown]
	s_movk_i32 s62, 0xe0
	v_add_nc_u32_e32 v42, s11, v40
	s_movk_i32 s57, 0xf0
	s_movk_i32 s46, 0x100
	;; [unrolled: 1-line block ×4, first 2 shown]
	v_dual_add_nc_u32 v44, s11, v42 :: v_dual_lshlrev_b32 v14, 4, v1
	s_movk_i32 s50, 0x130
	s_movk_i32 s51, 0x140
	;; [unrolled: 1-line block ×3, first 2 shown]
	s_delay_alu instid0(VALU_DEP_1)
	v_add_nc_u32_e32 v46, s11, v44
	s_movk_i32 s44, 0x160
	s_movk_i32 s39, 0x170
	;; [unrolled: 1-line block ×4, first 2 shown]
	v_add_nc_u32_e32 v48, s11, v46
	s_movk_i32 s38, 0x1a0
	s_movk_i32 s35, 0x1b0
	;; [unrolled: 1-line block ×3, first 2 shown]
	s_mov_b32 s33, s64
	v_dual_mov_b32 v15, 0 :: v_dual_add_nc_u32 v50, s11, v48
	s_mov_b32 s34, s65
	s_mov_b32 s30, s66
	;; [unrolled: 1-line block ×3, first 2 shown]
	s_delay_alu instid0(VALU_DEP_1)
	v_add_nc_u32_e32 v52, s11, v50
	v_add_nc_u64_e32 v[26:27], s[4:5], v[14:15]
	s_mov_b32 s28, s68
	s_mov_b32 s29, s69
	;; [unrolled: 1-line block ×3, first 2 shown]
	v_add_nc_u32_e32 v54, s11, v52
	s_mov_b32 s27, s71
	s_mov_b32 s24, s72
	v_lshl_add_u64 v[24:25], s[8:9], 4, v[26:27]
	s_mov_b32 s25, s73
	v_add_nc_u32_e32 v56, s11, v54
	s_mov_b32 s21, s74
	s_mov_b32 s22, s75
	s_clause 0x2
	global_load_b128 v[20:23], v[24:25], off
	global_load_b128 v[108:111], v36, s[4:5] scale_offset
	global_load_b128 v[112:115], v38, s[4:5] scale_offset
	v_add_nc_u32_e32 v58, s11, v56
	s_clause 0x6
	global_load_b128 v[116:119], v40, s[4:5] scale_offset
	global_load_b128 v[120:123], v42, s[4:5] scale_offset
	;; [unrolled: 1-line block ×7, first 2 shown]
	s_mov_b32 s13, s76
	v_add_nc_u32_e32 v60, s11, v58
	s_mov_b32 s15, s77
	s_mov_b32 s12, s79
	s_mov_b32 s9, s80
	s_mov_b32 s10, s81
	v_add_nc_u32_e32 v62, s11, v60
	s_mov_b32 s8, s82
	s_mov_b32 s23, s83
	;; [unrolled: 1-line block ×4, first 2 shown]
	v_add_nc_u32_e32 v64, s11, v62
	s_clause 0x4
	global_load_b128 v[144:147], v54, s[4:5] scale_offset
	global_load_b128 v[148:151], v56, s[4:5] scale_offset
	;; [unrolled: 1-line block ×5, first 2 shown]
	s_bitcmp0_b32 s2, 0
	s_mov_b32 s3, -1
	v_add_nc_u32_e32 v66, s11, v64
	s_delay_alu instid0(VALU_DEP_1) | instskip(NEXT) | instid1(VALU_DEP_1)
	v_add_nc_u32_e32 v68, s11, v66
	v_add_nc_u32_e32 v70, s11, v68
	s_delay_alu instid0(VALU_DEP_1) | instskip(SKIP_4) | instid1(VALU_DEP_1)
	v_add_nc_u32_e32 v72, s11, v70
	s_clause 0x1
	global_load_b128 v[164:167], v64, s[4:5] scale_offset
	global_load_b128 v[168:171], v66, s[4:5] scale_offset
	v_add_nc_u32_e32 v74, s11, v72
	v_add_nc_u32_e32 v76, s11, v74
	s_clause 0x4
	global_load_b128 v[172:175], v68, s[4:5] scale_offset
	global_load_b128 v[176:179], v70, s[4:5] scale_offset
	;; [unrolled: 1-line block ×5, first 2 shown]
	v_add_nc_u32_e32 v78, s11, v76
	s_delay_alu instid0(VALU_DEP_1) | instskip(NEXT) | instid1(VALU_DEP_1)
	v_add_nc_u32_e32 v80, s11, v78
	v_add_nc_u32_e32 v82, s11, v80
	s_delay_alu instid0(VALU_DEP_1) | instskip(NEXT) | instid1(VALU_DEP_1)
	v_add_nc_u32_e32 v84, s11, v82
	v_add_nc_u32_e32 v86, s11, v84
	s_delay_alu instid0(VALU_DEP_1)
	v_add_nc_u32_e32 v88, s11, v86
	s_clause 0x2
	global_load_b128 v[192:195], v78, s[4:5] scale_offset
	global_load_b128 v[196:199], v80, s[4:5] scale_offset
	;; [unrolled: 1-line block ×3, first 2 shown]
	v_add_nc_u32_e32 v90, s11, v88
	s_delay_alu instid0(VALU_DEP_1) | instskip(NEXT) | instid1(VALU_DEP_1)
	v_add_nc_u32_e32 v92, s11, v90
	v_add_nc_u32_e32 v94, s11, v92
	s_delay_alu instid0(VALU_DEP_1) | instskip(NEXT) | instid1(VALU_DEP_1)
	v_add_nc_u32_e32 v96, s11, v94
	;; [unrolled: 3-line block ×3, first 2 shown]
	v_add_nc_u32_e32 v102, s11, v100
	s_wait_loadcnt 0x1d
	scratch_store_b128 off, v[2:5], off
	global_load_b128 v[2:5], v84, s[4:5] scale_offset
	s_wait_loadcnt 0x1d
	scratch_store_b128 off, v[6:9], off offset:32
	global_load_b128 v[6:9], v86, s[4:5] scale_offset
	s_wait_loadcnt 0x1d
	scratch_store_b128 off, v[10:13], off offset:48
	s_wait_loadcnt 0x1c
	scratch_store_b128 off, v[16:19], off offset:64
	;; [unrolled: 2-line block ×3, first 2 shown]
	s_wait_xcnt 0x0
	v_add_nc_u32_e32 v104, s11, v102
	s_delay_alu instid0(VALU_DEP_1)
	v_add_nc_u32_e32 v106, s11, v104
	s_wait_loadcnt 0x19
	scratch_store_b128 off, v[108:111], off offset:96
	s_wait_loadcnt 0x18
	scratch_store_b128 off, v[112:115], off offset:112
	s_wait_xcnt 0x1
	v_add_nc_u32_e32 v108, s11, v106
	scratch_store_b128 off, v[20:23], off offset:16
	s_wait_loadcnt 0x17
	scratch_store_b128 off, v[116:119], off offset:128
	s_wait_loadcnt 0x16
	scratch_store_b128 off, v[120:123], off offset:144
	s_clause 0x1
	global_load_b128 v[10:13], v88, s[4:5] scale_offset
	global_load_b128 v[16:19], v90, s[4:5] scale_offset
	s_wait_loadcnt 0x17
	scratch_store_b128 off, v[124:127], off offset:160
	s_wait_loadcnt 0x16
	scratch_store_b128 off, v[128:131], off offset:176
	v_add_nc_u32_e32 v110, s11, v108
	s_clause 0x1
	global_load_b128 v[20:23], v92, s[4:5] scale_offset
	global_load_b128 v[126:129], v94, s[4:5] scale_offset
	s_wait_loadcnt 0x17
	scratch_store_b128 off, v[132:135], off offset:192
	s_wait_loadcnt 0x16
	scratch_store_b128 off, v[136:139], off offset:208
	;; [unrolled: 2-line block ×3, first 2 shown]
	s_clause 0x1
	global_load_b128 v[130:133], v96, s[4:5] scale_offset
	global_load_b128 v[134:137], v98, s[4:5] scale_offset
	v_add_nc_u32_e32 v112, s11, v110
	s_wait_loadcnt 0x16
	scratch_store_b128 off, v[144:147], off offset:240
	s_wait_loadcnt 0x15
	scratch_store_b128 off, v[148:151], off offset:256
	v_add_nc_u32_e32 v114, s11, v112
	s_clause 0x1
	global_load_b128 v[138:141], v100, s[4:5] scale_offset
	global_load_b128 v[142:145], v102, s[4:5] scale_offset
	s_wait_loadcnt 0x16
	scratch_store_b128 off, v[152:155], off offset:272
	s_wait_loadcnt 0x15
	scratch_store_b128 off, v[156:159], off offset:288
	;; [unrolled: 2-line block ×3, first 2 shown]
	s_clause 0x1
	global_load_b128 v[146:149], v104, s[4:5] scale_offset
	global_load_b128 v[150:153], v106, s[4:5] scale_offset
	v_add_nc_u32_e32 v116, s11, v114
	s_wait_loadcnt 0x15
	scratch_store_b128 off, v[164:167], off offset:320
	s_wait_loadcnt 0x14
	scratch_store_b128 off, v[168:171], off offset:336
	v_add_nc_u32_e32 v118, s11, v116
	s_clause 0x1
	global_load_b128 v[154:157], v108, s[4:5] scale_offset
	global_load_b128 v[158:161], v110, s[4:5] scale_offset
	v_add_nc_u32_e32 v120, s11, v118
	s_wait_loadcnt 0x15
	scratch_store_b128 off, v[172:175], off offset:352
	s_wait_loadcnt 0x14
	scratch_store_b128 off, v[176:179], off offset:368
	s_wait_loadcnt 0x13
	scratch_store_b128 off, v[180:183], off offset:384
	v_add_nc_u32_e32 v122, s11, v120
	s_clause 0x1
	global_load_b128 v[162:165], v112, s[4:5] scale_offset
	global_load_b128 v[166:169], v114, s[4:5] scale_offset
	s_wait_loadcnt 0x14
	scratch_store_b128 off, v[184:187], off offset:400
	s_wait_loadcnt 0x13
	scratch_store_b128 off, v[188:191], off offset:416
	v_add_nc_u32_e32 v124, s11, v122
	s_clause 0x1
	global_load_b128 v[170:173], v116, s[4:5] scale_offset
	global_load_b128 v[174:177], v118, s[4:5] scale_offset
	s_mov_b32 s11, s78
	s_wait_loadcnt 0x14
	scratch_store_b128 off, v[192:195], off offset:432
	s_wait_loadcnt 0x13
	scratch_store_b128 off, v[196:199], off offset:448
	s_clause 0x1
	global_load_b128 v[178:181], v120, s[4:5] scale_offset
	global_load_b128 v[182:185], v122, s[4:5] scale_offset
	s_wait_loadcnt 0x14
	scratch_store_b128 off, v[200:203], off offset:464
	s_wait_loadcnt 0x13
	scratch_store_b128 off, v[2:5], off offset:480
	global_load_b128 v[2:5], v124, s[4:5] scale_offset
	s_wait_loadcnt 0x13
	scratch_store_b128 off, v[6:9], off offset:496
	s_wait_loadcnt 0x12
	scratch_store_b128 off, v[10:13], off offset:512
	;; [unrolled: 2-line block ×20, first 2 shown]
	s_cbranch_scc1 .LBB50_216
; %bb.4:
	v_cmp_eq_u32_e64 s2, 0, v1
	s_wait_xcnt 0x0
	s_and_saveexec_b32 s3, s2
; %bb.5:
	v_mov_b32_e32 v2, 0
	ds_store_b32 v2, v2 offset:1632
; %bb.6:
	s_or_b32 exec_lo, exec_lo, s3
	s_wait_storecnt_dscnt 0x0
	s_barrier_signal -1
	s_barrier_wait -1
	scratch_load_b128 v[2:5], v1, off scale_offset
	s_wait_loadcnt 0x0
	v_cmp_eq_f64_e32 vcc_lo, 0, v[2:3]
	v_cmp_eq_f64_e64 s3, 0, v[4:5]
	s_and_b32 s3, vcc_lo, s3
	s_delay_alu instid0(SALU_CYCLE_1)
	s_and_saveexec_b32 s64, s3
	s_cbranch_execz .LBB50_10
; %bb.7:
	v_mov_b32_e32 v2, 0
	s_mov_b32 s65, 0
	ds_load_b32 v3, v2 offset:1632
	s_wait_dscnt 0x0
	v_readfirstlane_b32 s3, v3
	v_add_nc_u32_e32 v3, 1, v1
	s_cmp_eq_u32 s3, 0
	s_delay_alu instid0(VALU_DEP_1) | instskip(SKIP_1) | instid1(SALU_CYCLE_1)
	v_cmp_gt_i32_e32 vcc_lo, s3, v3
	s_cselect_b32 s66, -1, 0
	s_or_b32 s66, s66, vcc_lo
	s_delay_alu instid0(SALU_CYCLE_1)
	s_and_b32 exec_lo, exec_lo, s66
	s_cbranch_execz .LBB50_10
; %bb.8:
	v_mov_b32_e32 v4, s3
.LBB50_9:                               ; =>This Inner Loop Header: Depth=1
	ds_cmpstore_rtn_b32 v4, v2, v3, v4 offset:1632
	s_wait_dscnt 0x0
	v_cmp_ne_u32_e32 vcc_lo, 0, v4
	v_cmp_le_i32_e64 s3, v4, v3
	s_and_b32 s3, vcc_lo, s3
	s_delay_alu instid0(SALU_CYCLE_1) | instskip(NEXT) | instid1(SALU_CYCLE_1)
	s_and_b32 s3, exec_lo, s3
	s_or_b32 s65, s3, s65
	s_delay_alu instid0(SALU_CYCLE_1)
	s_and_not1_b32 exec_lo, exec_lo, s65
	s_cbranch_execnz .LBB50_9
.LBB50_10:
	s_or_b32 exec_lo, exec_lo, s64
	v_mov_b32_e32 v2, 0
	s_barrier_signal -1
	s_barrier_wait -1
	ds_load_b32 v3, v2 offset:1632
	s_and_saveexec_b32 s3, s2
	s_cbranch_execz .LBB50_12
; %bb.11:
	s_lshl_b64 s[64:65], s[18:19], 2
	s_delay_alu instid0(SALU_CYCLE_1)
	s_add_nc_u64 s[64:65], s[6:7], s[64:65]
	s_wait_dscnt 0x0
	global_store_b32 v2, v3, s[64:65]
.LBB50_12:
	s_wait_xcnt 0x0
	s_or_b32 exec_lo, exec_lo, s3
	s_wait_dscnt 0x0
	v_cmp_ne_u32_e32 vcc_lo, 0, v3
	s_mov_b32 s3, 0
	s_cbranch_vccnz .LBB50_216
; %bb.13:
	v_lshl_add_u32 v15, v1, 4, 0
                                        ; implicit-def: $vgpr6_vgpr7
                                        ; implicit-def: $vgpr10_vgpr11
	scratch_load_b128 v[2:5], v15, off
	s_wait_loadcnt 0x0
	v_cmp_ngt_f64_e64 s3, |v[2:3]|, |v[4:5]|
	s_wait_xcnt 0x0
	s_and_saveexec_b32 s64, s3
	s_delay_alu instid0(SALU_CYCLE_1)
	s_xor_b32 s3, exec_lo, s64
	s_cbranch_execz .LBB50_15
; %bb.14:
	v_div_scale_f64 v[6:7], null, v[4:5], v[4:5], v[2:3]
	v_div_scale_f64 v[12:13], vcc_lo, v[2:3], v[4:5], v[2:3]
	s_delay_alu instid0(VALU_DEP_2) | instskip(SKIP_1) | instid1(TRANS32_DEP_1)
	v_rcp_f64_e32 v[8:9], v[6:7]
	v_nop
	v_fma_f64 v[10:11], -v[6:7], v[8:9], 1.0
	s_delay_alu instid0(VALU_DEP_1) | instskip(NEXT) | instid1(VALU_DEP_1)
	v_fmac_f64_e32 v[8:9], v[8:9], v[10:11]
	v_fma_f64 v[10:11], -v[6:7], v[8:9], 1.0
	s_delay_alu instid0(VALU_DEP_1) | instskip(NEXT) | instid1(VALU_DEP_1)
	v_fmac_f64_e32 v[8:9], v[8:9], v[10:11]
	v_mul_f64_e32 v[10:11], v[12:13], v[8:9]
	s_delay_alu instid0(VALU_DEP_1) | instskip(NEXT) | instid1(VALU_DEP_1)
	v_fma_f64 v[6:7], -v[6:7], v[10:11], v[12:13]
	v_div_fmas_f64 v[6:7], v[6:7], v[8:9], v[10:11]
	s_delay_alu instid0(VALU_DEP_1) | instskip(NEXT) | instid1(VALU_DEP_1)
	v_div_fixup_f64 v[6:7], v[6:7], v[4:5], v[2:3]
	v_fmac_f64_e32 v[4:5], v[2:3], v[6:7]
	s_delay_alu instid0(VALU_DEP_1) | instskip(SKIP_1) | instid1(VALU_DEP_2)
	v_div_scale_f64 v[2:3], null, v[4:5], v[4:5], 1.0
	v_div_scale_f64 v[12:13], vcc_lo, 1.0, v[4:5], 1.0
	v_rcp_f64_e32 v[8:9], v[2:3]
	v_nop
	s_delay_alu instid0(TRANS32_DEP_1) | instskip(NEXT) | instid1(VALU_DEP_1)
	v_fma_f64 v[10:11], -v[2:3], v[8:9], 1.0
	v_fmac_f64_e32 v[8:9], v[8:9], v[10:11]
	s_delay_alu instid0(VALU_DEP_1) | instskip(NEXT) | instid1(VALU_DEP_1)
	v_fma_f64 v[10:11], -v[2:3], v[8:9], 1.0
	v_fmac_f64_e32 v[8:9], v[8:9], v[10:11]
	s_delay_alu instid0(VALU_DEP_1) | instskip(NEXT) | instid1(VALU_DEP_1)
	v_mul_f64_e32 v[10:11], v[12:13], v[8:9]
	v_fma_f64 v[2:3], -v[2:3], v[10:11], v[12:13]
	s_delay_alu instid0(VALU_DEP_1) | instskip(NEXT) | instid1(VALU_DEP_1)
	v_div_fmas_f64 v[2:3], v[2:3], v[8:9], v[10:11]
	v_div_fixup_f64 v[8:9], v[2:3], v[4:5], 1.0
                                        ; implicit-def: $vgpr2_vgpr3
	s_delay_alu instid0(VALU_DEP_1) | instskip(SKIP_1) | instid1(VALU_DEP_2)
	v_mul_f64_e32 v[6:7], v[6:7], v[8:9]
	v_xor_b32_e32 v9, 0x80000000, v9
	v_xor_b32_e32 v11, 0x80000000, v7
	s_delay_alu instid0(VALU_DEP_3)
	v_mov_b32_e32 v10, v6
.LBB50_15:
	s_and_not1_saveexec_b32 s3, s3
	s_cbranch_execz .LBB50_17
; %bb.16:
	v_div_scale_f64 v[6:7], null, v[2:3], v[2:3], v[4:5]
	v_div_scale_f64 v[12:13], vcc_lo, v[4:5], v[2:3], v[4:5]
	s_delay_alu instid0(VALU_DEP_2) | instskip(SKIP_1) | instid1(TRANS32_DEP_1)
	v_rcp_f64_e32 v[8:9], v[6:7]
	v_nop
	v_fma_f64 v[10:11], -v[6:7], v[8:9], 1.0
	s_delay_alu instid0(VALU_DEP_1) | instskip(NEXT) | instid1(VALU_DEP_1)
	v_fmac_f64_e32 v[8:9], v[8:9], v[10:11]
	v_fma_f64 v[10:11], -v[6:7], v[8:9], 1.0
	s_delay_alu instid0(VALU_DEP_1) | instskip(NEXT) | instid1(VALU_DEP_1)
	v_fmac_f64_e32 v[8:9], v[8:9], v[10:11]
	v_mul_f64_e32 v[10:11], v[12:13], v[8:9]
	s_delay_alu instid0(VALU_DEP_1) | instskip(NEXT) | instid1(VALU_DEP_1)
	v_fma_f64 v[6:7], -v[6:7], v[10:11], v[12:13]
	v_div_fmas_f64 v[6:7], v[6:7], v[8:9], v[10:11]
	s_delay_alu instid0(VALU_DEP_1) | instskip(NEXT) | instid1(VALU_DEP_1)
	v_div_fixup_f64 v[8:9], v[6:7], v[2:3], v[4:5]
	v_fmac_f64_e32 v[2:3], v[4:5], v[8:9]
	s_delay_alu instid0(VALU_DEP_1) | instskip(NEXT) | instid1(VALU_DEP_1)
	v_div_scale_f64 v[4:5], null, v[2:3], v[2:3], 1.0
	v_rcp_f64_e32 v[6:7], v[4:5]
	v_nop
	s_delay_alu instid0(TRANS32_DEP_1) | instskip(NEXT) | instid1(VALU_DEP_1)
	v_fma_f64 v[10:11], -v[4:5], v[6:7], 1.0
	v_fmac_f64_e32 v[6:7], v[6:7], v[10:11]
	s_delay_alu instid0(VALU_DEP_1) | instskip(NEXT) | instid1(VALU_DEP_1)
	v_fma_f64 v[10:11], -v[4:5], v[6:7], 1.0
	v_fmac_f64_e32 v[6:7], v[6:7], v[10:11]
	v_div_scale_f64 v[10:11], vcc_lo, 1.0, v[2:3], 1.0
	s_delay_alu instid0(VALU_DEP_1) | instskip(NEXT) | instid1(VALU_DEP_1)
	v_mul_f64_e32 v[12:13], v[10:11], v[6:7]
	v_fma_f64 v[4:5], -v[4:5], v[12:13], v[10:11]
	s_delay_alu instid0(VALU_DEP_1) | instskip(NEXT) | instid1(VALU_DEP_1)
	v_div_fmas_f64 v[4:5], v[4:5], v[6:7], v[12:13]
	v_div_fixup_f64 v[6:7], v[4:5], v[2:3], 1.0
	s_delay_alu instid0(VALU_DEP_1)
	v_mul_f64_e64 v[8:9], v[8:9], -v[6:7]
	v_xor_b32_e32 v11, 0x80000000, v7
	v_mov_b32_e32 v10, v6
.LBB50_17:
	s_or_b32 exec_lo, exec_lo, s3
	s_clause 0x1
	scratch_store_b128 v15, v[6:9], off
	scratch_load_b128 v[2:5], off, s47
	v_xor_b32_e32 v13, 0x80000000, v9
	v_mov_b32_e32 v12, v8
	s_wait_xcnt 0x1
	v_add_nc_u32_e32 v6, 0x330, v14
	ds_store_b128 v14, v[10:13]
	s_wait_loadcnt 0x0
	ds_store_b128 v14, v[2:5] offset:816
	s_wait_storecnt_dscnt 0x0
	s_barrier_signal -1
	s_barrier_wait -1
	s_wait_xcnt 0x0
	s_and_saveexec_b32 s3, s2
	s_cbranch_execz .LBB50_19
; %bb.18:
	scratch_load_b128 v[2:5], v15, off
	ds_load_b128 v[8:11], v6
	v_mov_b32_e32 v7, 0
	ds_load_b128 v[16:19], v7 offset:16
	s_wait_loadcnt_dscnt 0x1
	v_mul_f64_e32 v[12:13], v[8:9], v[4:5]
	v_mul_f64_e32 v[4:5], v[10:11], v[4:5]
	s_delay_alu instid0(VALU_DEP_2) | instskip(NEXT) | instid1(VALU_DEP_2)
	v_fmac_f64_e32 v[12:13], v[10:11], v[2:3]
	v_fma_f64 v[2:3], v[8:9], v[2:3], -v[4:5]
	s_delay_alu instid0(VALU_DEP_2) | instskip(NEXT) | instid1(VALU_DEP_2)
	v_add_f64_e32 v[8:9], 0, v[12:13]
	v_add_f64_e32 v[2:3], 0, v[2:3]
	s_wait_dscnt 0x0
	s_delay_alu instid0(VALU_DEP_2) | instskip(NEXT) | instid1(VALU_DEP_2)
	v_mul_f64_e32 v[10:11], v[8:9], v[18:19]
	v_mul_f64_e32 v[4:5], v[2:3], v[18:19]
	s_delay_alu instid0(VALU_DEP_2) | instskip(NEXT) | instid1(VALU_DEP_2)
	v_fma_f64 v[2:3], v[2:3], v[16:17], -v[10:11]
	v_fmac_f64_e32 v[4:5], v[8:9], v[16:17]
	scratch_store_b128 off, v[2:5], off offset:16
.LBB50_19:
	s_wait_xcnt 0x0
	s_or_b32 exec_lo, exec_lo, s3
	s_wait_storecnt 0x0
	s_barrier_signal -1
	s_barrier_wait -1
	scratch_load_b128 v[2:5], off, s41
	s_mov_b32 s3, exec_lo
	s_wait_loadcnt 0x0
	ds_store_b128 v6, v[2:5]
	s_wait_dscnt 0x0
	s_barrier_signal -1
	s_barrier_wait -1
	v_cmpx_gt_u32_e32 2, v1
	s_cbranch_execz .LBB50_23
; %bb.20:
	scratch_load_b128 v[2:5], v15, off
	ds_load_b128 v[8:11], v6
	s_wait_loadcnt_dscnt 0x0
	v_mul_f64_e32 v[12:13], v[10:11], v[4:5]
	v_mul_f64_e32 v[16:17], v[8:9], v[4:5]
	s_delay_alu instid0(VALU_DEP_2) | instskip(NEXT) | instid1(VALU_DEP_2)
	v_fma_f64 v[4:5], v[8:9], v[2:3], -v[12:13]
	v_fmac_f64_e32 v[16:17], v[10:11], v[2:3]
	s_delay_alu instid0(VALU_DEP_2) | instskip(NEXT) | instid1(VALU_DEP_2)
	v_add_f64_e32 v[4:5], 0, v[4:5]
	v_add_f64_e32 v[2:3], 0, v[16:17]
	s_and_saveexec_b32 s64, s2
	s_cbranch_execz .LBB50_22
; %bb.21:
	scratch_load_b128 v[8:11], off, off offset:16
	v_mov_b32_e32 v7, 0
	ds_load_b128 v[16:19], v7 offset:832
	s_wait_loadcnt_dscnt 0x0
	v_mul_f64_e32 v[12:13], v[16:17], v[10:11]
	v_mul_f64_e32 v[10:11], v[18:19], v[10:11]
	s_delay_alu instid0(VALU_DEP_2) | instskip(NEXT) | instid1(VALU_DEP_2)
	v_fmac_f64_e32 v[12:13], v[18:19], v[8:9]
	v_fma_f64 v[8:9], v[16:17], v[8:9], -v[10:11]
	s_delay_alu instid0(VALU_DEP_2) | instskip(NEXT) | instid1(VALU_DEP_2)
	v_add_f64_e32 v[2:3], v[2:3], v[12:13]
	v_add_f64_e32 v[4:5], v[4:5], v[8:9]
.LBB50_22:
	s_or_b32 exec_lo, exec_lo, s64
	v_mov_b32_e32 v7, 0
	ds_load_b128 v[8:11], v7 offset:32
	s_wait_dscnt 0x0
	v_mul_f64_e32 v[16:17], v[2:3], v[10:11]
	v_mul_f64_e32 v[12:13], v[4:5], v[10:11]
	s_delay_alu instid0(VALU_DEP_2) | instskip(NEXT) | instid1(VALU_DEP_2)
	v_fma_f64 v[10:11], v[4:5], v[8:9], -v[16:17]
	v_fmac_f64_e32 v[12:13], v[2:3], v[8:9]
	scratch_store_b128 off, v[10:13], off offset:32
.LBB50_23:
	s_wait_xcnt 0x0
	s_or_b32 exec_lo, exec_lo, s3
	s_wait_storecnt 0x0
	s_barrier_signal -1
	s_barrier_wait -1
	scratch_load_b128 v[2:5], off, s43
	v_add_nc_u32_e32 v7, -1, v1
	s_mov_b32 s2, exec_lo
	s_wait_loadcnt 0x0
	ds_store_b128 v6, v[2:5]
	s_wait_dscnt 0x0
	s_barrier_signal -1
	s_barrier_wait -1
	v_cmpx_gt_u32_e32 3, v1
	s_cbranch_execz .LBB50_27
; %bb.24:
	v_dual_mov_b32 v10, v14 :: v_dual_add_nc_u32 v8, -1, v1
	v_mov_b64_e32 v[2:3], 0
	v_mov_b64_e32 v[4:5], 0
	v_add_nc_u32_e32 v9, 0x330, v14
	s_delay_alu instid0(VALU_DEP_4)
	v_or_b32_e32 v10, 8, v10
	s_mov_b32 s3, 0
.LBB50_25:                              ; =>This Inner Loop Header: Depth=1
	scratch_load_b128 v[16:19], v10, off offset:-8
	ds_load_b128 v[20:23], v9
	v_dual_add_nc_u32 v8, 1, v8 :: v_dual_add_nc_u32 v9, 16, v9
	s_wait_xcnt 0x0
	v_add_nc_u32_e32 v10, 16, v10
	s_delay_alu instid0(VALU_DEP_2) | instskip(SKIP_4) | instid1(VALU_DEP_2)
	v_cmp_lt_u32_e32 vcc_lo, 1, v8
	s_or_b32 s3, vcc_lo, s3
	s_wait_loadcnt_dscnt 0x0
	v_mul_f64_e32 v[12:13], v[22:23], v[18:19]
	v_mul_f64_e32 v[18:19], v[20:21], v[18:19]
	v_fma_f64 v[12:13], v[20:21], v[16:17], -v[12:13]
	s_delay_alu instid0(VALU_DEP_2) | instskip(NEXT) | instid1(VALU_DEP_2)
	v_fmac_f64_e32 v[18:19], v[22:23], v[16:17]
	v_add_f64_e32 v[4:5], v[4:5], v[12:13]
	s_delay_alu instid0(VALU_DEP_2)
	v_add_f64_e32 v[2:3], v[2:3], v[18:19]
	s_and_not1_b32 exec_lo, exec_lo, s3
	s_cbranch_execnz .LBB50_25
; %bb.26:
	s_or_b32 exec_lo, exec_lo, s3
	v_mov_b32_e32 v8, 0
	ds_load_b128 v[8:11], v8 offset:48
	s_wait_dscnt 0x0
	v_mul_f64_e32 v[16:17], v[2:3], v[10:11]
	v_mul_f64_e32 v[12:13], v[4:5], v[10:11]
	s_delay_alu instid0(VALU_DEP_2) | instskip(NEXT) | instid1(VALU_DEP_2)
	v_fma_f64 v[10:11], v[4:5], v[8:9], -v[16:17]
	v_fmac_f64_e32 v[12:13], v[2:3], v[8:9]
	scratch_store_b128 off, v[10:13], off offset:48
.LBB50_27:
	s_wait_xcnt 0x0
	s_or_b32 exec_lo, exec_lo, s2
	s_wait_storecnt 0x0
	s_barrier_signal -1
	s_barrier_wait -1
	scratch_load_b128 v[2:5], off, s45
	s_mov_b32 s2, exec_lo
	s_wait_loadcnt 0x0
	ds_store_b128 v6, v[2:5]
	s_wait_dscnt 0x0
	s_barrier_signal -1
	s_barrier_wait -1
	v_cmpx_gt_u32_e32 4, v1
	s_cbranch_execz .LBB50_31
; %bb.28:
	v_dual_mov_b32 v10, v14 :: v_dual_add_nc_u32 v8, -1, v1
	v_mov_b64_e32 v[2:3], 0
	v_mov_b64_e32 v[4:5], 0
	v_add_nc_u32_e32 v9, 0x330, v14
	s_delay_alu instid0(VALU_DEP_4)
	v_or_b32_e32 v10, 8, v10
	s_mov_b32 s3, 0
.LBB50_29:                              ; =>This Inner Loop Header: Depth=1
	scratch_load_b128 v[16:19], v10, off offset:-8
	ds_load_b128 v[20:23], v9
	v_dual_add_nc_u32 v8, 1, v8 :: v_dual_add_nc_u32 v9, 16, v9
	s_wait_xcnt 0x0
	v_add_nc_u32_e32 v10, 16, v10
	s_delay_alu instid0(VALU_DEP_2) | instskip(SKIP_4) | instid1(VALU_DEP_2)
	v_cmp_lt_u32_e32 vcc_lo, 2, v8
	s_or_b32 s3, vcc_lo, s3
	s_wait_loadcnt_dscnt 0x0
	v_mul_f64_e32 v[12:13], v[22:23], v[18:19]
	v_mul_f64_e32 v[18:19], v[20:21], v[18:19]
	v_fma_f64 v[12:13], v[20:21], v[16:17], -v[12:13]
	s_delay_alu instid0(VALU_DEP_2) | instskip(NEXT) | instid1(VALU_DEP_2)
	v_fmac_f64_e32 v[18:19], v[22:23], v[16:17]
	v_add_f64_e32 v[4:5], v[4:5], v[12:13]
	s_delay_alu instid0(VALU_DEP_2)
	v_add_f64_e32 v[2:3], v[2:3], v[18:19]
	s_and_not1_b32 exec_lo, exec_lo, s3
	s_cbranch_execnz .LBB50_29
; %bb.30:
	s_or_b32 exec_lo, exec_lo, s3
	v_mov_b32_e32 v8, 0
	ds_load_b128 v[8:11], v8 offset:64
	s_wait_dscnt 0x0
	v_mul_f64_e32 v[16:17], v[2:3], v[10:11]
	v_mul_f64_e32 v[12:13], v[4:5], v[10:11]
	s_delay_alu instid0(VALU_DEP_2) | instskip(NEXT) | instid1(VALU_DEP_2)
	v_fma_f64 v[10:11], v[4:5], v[8:9], -v[16:17]
	v_fmac_f64_e32 v[12:13], v[2:3], v[8:9]
	scratch_store_b128 off, v[10:13], off offset:64
.LBB50_31:
	s_wait_xcnt 0x0
	s_or_b32 exec_lo, exec_lo, s2
	s_wait_storecnt 0x0
	s_barrier_signal -1
	s_barrier_wait -1
	scratch_load_b128 v[2:5], off, s54
	s_mov_b32 s2, exec_lo
	s_wait_loadcnt 0x0
	ds_store_b128 v6, v[2:5]
	s_wait_dscnt 0x0
	s_barrier_signal -1
	s_barrier_wait -1
	v_cmpx_gt_u32_e32 5, v1
	s_cbranch_execz .LBB50_35
; %bb.32:
	v_dual_mov_b32 v10, v14 :: v_dual_add_nc_u32 v8, -1, v1
	v_mov_b64_e32 v[2:3], 0
	v_mov_b64_e32 v[4:5], 0
	v_add_nc_u32_e32 v9, 0x330, v14
	s_delay_alu instid0(VALU_DEP_4)
	v_or_b32_e32 v10, 8, v10
	s_mov_b32 s3, 0
.LBB50_33:                              ; =>This Inner Loop Header: Depth=1
	scratch_load_b128 v[16:19], v10, off offset:-8
	ds_load_b128 v[20:23], v9
	v_dual_add_nc_u32 v8, 1, v8 :: v_dual_add_nc_u32 v9, 16, v9
	s_wait_xcnt 0x0
	v_add_nc_u32_e32 v10, 16, v10
	s_delay_alu instid0(VALU_DEP_2) | instskip(SKIP_4) | instid1(VALU_DEP_2)
	v_cmp_lt_u32_e32 vcc_lo, 3, v8
	s_or_b32 s3, vcc_lo, s3
	s_wait_loadcnt_dscnt 0x0
	v_mul_f64_e32 v[12:13], v[22:23], v[18:19]
	v_mul_f64_e32 v[18:19], v[20:21], v[18:19]
	v_fma_f64 v[12:13], v[20:21], v[16:17], -v[12:13]
	s_delay_alu instid0(VALU_DEP_2) | instskip(NEXT) | instid1(VALU_DEP_2)
	v_fmac_f64_e32 v[18:19], v[22:23], v[16:17]
	v_add_f64_e32 v[4:5], v[4:5], v[12:13]
	s_delay_alu instid0(VALU_DEP_2)
	v_add_f64_e32 v[2:3], v[2:3], v[18:19]
	s_and_not1_b32 exec_lo, exec_lo, s3
	s_cbranch_execnz .LBB50_33
; %bb.34:
	s_or_b32 exec_lo, exec_lo, s3
	v_mov_b32_e32 v8, 0
	ds_load_b128 v[8:11], v8 offset:80
	s_wait_dscnt 0x0
	v_mul_f64_e32 v[16:17], v[2:3], v[10:11]
	v_mul_f64_e32 v[12:13], v[4:5], v[10:11]
	s_delay_alu instid0(VALU_DEP_2) | instskip(NEXT) | instid1(VALU_DEP_2)
	v_fma_f64 v[10:11], v[4:5], v[8:9], -v[16:17]
	v_fmac_f64_e32 v[12:13], v[2:3], v[8:9]
	scratch_store_b128 off, v[10:13], off offset:80
.LBB50_35:
	s_wait_xcnt 0x0
	s_or_b32 exec_lo, exec_lo, s2
	s_wait_storecnt 0x0
	s_barrier_signal -1
	s_barrier_wait -1
	scratch_load_b128 v[2:5], off, s56
	s_mov_b32 s2, exec_lo
	s_wait_loadcnt 0x0
	ds_store_b128 v6, v[2:5]
	s_wait_dscnt 0x0
	s_barrier_signal -1
	s_barrier_wait -1
	v_cmpx_gt_u32_e32 6, v1
	s_cbranch_execz .LBB50_39
; %bb.36:
	v_dual_mov_b32 v10, v14 :: v_dual_add_nc_u32 v8, -1, v1
	v_mov_b64_e32 v[2:3], 0
	v_mov_b64_e32 v[4:5], 0
	v_add_nc_u32_e32 v9, 0x330, v14
	s_delay_alu instid0(VALU_DEP_4)
	v_or_b32_e32 v10, 8, v10
	s_mov_b32 s3, 0
.LBB50_37:                              ; =>This Inner Loop Header: Depth=1
	scratch_load_b128 v[16:19], v10, off offset:-8
	ds_load_b128 v[20:23], v9
	v_dual_add_nc_u32 v8, 1, v8 :: v_dual_add_nc_u32 v9, 16, v9
	s_wait_xcnt 0x0
	v_add_nc_u32_e32 v10, 16, v10
	s_delay_alu instid0(VALU_DEP_2) | instskip(SKIP_4) | instid1(VALU_DEP_2)
	v_cmp_lt_u32_e32 vcc_lo, 4, v8
	s_or_b32 s3, vcc_lo, s3
	s_wait_loadcnt_dscnt 0x0
	v_mul_f64_e32 v[12:13], v[22:23], v[18:19]
	v_mul_f64_e32 v[18:19], v[20:21], v[18:19]
	v_fma_f64 v[12:13], v[20:21], v[16:17], -v[12:13]
	s_delay_alu instid0(VALU_DEP_2) | instskip(NEXT) | instid1(VALU_DEP_2)
	v_fmac_f64_e32 v[18:19], v[22:23], v[16:17]
	v_add_f64_e32 v[4:5], v[4:5], v[12:13]
	s_delay_alu instid0(VALU_DEP_2)
	v_add_f64_e32 v[2:3], v[2:3], v[18:19]
	s_and_not1_b32 exec_lo, exec_lo, s3
	s_cbranch_execnz .LBB50_37
; %bb.38:
	s_or_b32 exec_lo, exec_lo, s3
	v_mov_b32_e32 v8, 0
	ds_load_b128 v[8:11], v8 offset:96
	s_wait_dscnt 0x0
	v_mul_f64_e32 v[16:17], v[2:3], v[10:11]
	v_mul_f64_e32 v[12:13], v[4:5], v[10:11]
	s_delay_alu instid0(VALU_DEP_2) | instskip(NEXT) | instid1(VALU_DEP_2)
	v_fma_f64 v[10:11], v[4:5], v[8:9], -v[16:17]
	v_fmac_f64_e32 v[12:13], v[2:3], v[8:9]
	scratch_store_b128 off, v[10:13], off offset:96
.LBB50_39:
	s_wait_xcnt 0x0
	s_or_b32 exec_lo, exec_lo, s2
	s_wait_storecnt 0x0
	s_barrier_signal -1
	s_barrier_wait -1
	scratch_load_b128 v[2:5], off, s59
	s_mov_b32 s2, exec_lo
	s_wait_loadcnt 0x0
	ds_store_b128 v6, v[2:5]
	s_wait_dscnt 0x0
	s_barrier_signal -1
	s_barrier_wait -1
	v_cmpx_gt_u32_e32 7, v1
	s_cbranch_execz .LBB50_43
; %bb.40:
	v_dual_mov_b32 v10, v14 :: v_dual_add_nc_u32 v8, -1, v1
	v_mov_b64_e32 v[2:3], 0
	v_mov_b64_e32 v[4:5], 0
	v_add_nc_u32_e32 v9, 0x330, v14
	s_delay_alu instid0(VALU_DEP_4)
	v_or_b32_e32 v10, 8, v10
	s_mov_b32 s3, 0
.LBB50_41:                              ; =>This Inner Loop Header: Depth=1
	scratch_load_b128 v[16:19], v10, off offset:-8
	ds_load_b128 v[20:23], v9
	v_dual_add_nc_u32 v8, 1, v8 :: v_dual_add_nc_u32 v9, 16, v9
	s_wait_xcnt 0x0
	v_add_nc_u32_e32 v10, 16, v10
	s_delay_alu instid0(VALU_DEP_2) | instskip(SKIP_4) | instid1(VALU_DEP_2)
	v_cmp_lt_u32_e32 vcc_lo, 5, v8
	s_or_b32 s3, vcc_lo, s3
	s_wait_loadcnt_dscnt 0x0
	v_mul_f64_e32 v[12:13], v[22:23], v[18:19]
	v_mul_f64_e32 v[18:19], v[20:21], v[18:19]
	v_fma_f64 v[12:13], v[20:21], v[16:17], -v[12:13]
	s_delay_alu instid0(VALU_DEP_2) | instskip(NEXT) | instid1(VALU_DEP_2)
	v_fmac_f64_e32 v[18:19], v[22:23], v[16:17]
	v_add_f64_e32 v[4:5], v[4:5], v[12:13]
	s_delay_alu instid0(VALU_DEP_2)
	v_add_f64_e32 v[2:3], v[2:3], v[18:19]
	s_and_not1_b32 exec_lo, exec_lo, s3
	s_cbranch_execnz .LBB50_41
; %bb.42:
	s_or_b32 exec_lo, exec_lo, s3
	v_mov_b32_e32 v8, 0
	ds_load_b128 v[8:11], v8 offset:112
	s_wait_dscnt 0x0
	v_mul_f64_e32 v[16:17], v[2:3], v[10:11]
	v_mul_f64_e32 v[12:13], v[4:5], v[10:11]
	s_delay_alu instid0(VALU_DEP_2) | instskip(NEXT) | instid1(VALU_DEP_2)
	v_fma_f64 v[10:11], v[4:5], v[8:9], -v[16:17]
	v_fmac_f64_e32 v[12:13], v[2:3], v[8:9]
	scratch_store_b128 off, v[10:13], off offset:112
.LBB50_43:
	s_wait_xcnt 0x0
	s_or_b32 exec_lo, exec_lo, s2
	s_wait_storecnt 0x0
	s_barrier_signal -1
	s_barrier_wait -1
	scratch_load_b128 v[2:5], off, s52
	s_mov_b32 s2, exec_lo
	s_wait_loadcnt 0x0
	ds_store_b128 v6, v[2:5]
	s_wait_dscnt 0x0
	s_barrier_signal -1
	s_barrier_wait -1
	v_cmpx_gt_u32_e32 8, v1
	s_cbranch_execz .LBB50_47
; %bb.44:
	v_dual_mov_b32 v10, v14 :: v_dual_add_nc_u32 v8, -1, v1
	v_mov_b64_e32 v[2:3], 0
	v_mov_b64_e32 v[4:5], 0
	v_add_nc_u32_e32 v9, 0x330, v14
	s_delay_alu instid0(VALU_DEP_4)
	v_or_b32_e32 v10, 8, v10
	s_mov_b32 s3, 0
.LBB50_45:                              ; =>This Inner Loop Header: Depth=1
	scratch_load_b128 v[16:19], v10, off offset:-8
	ds_load_b128 v[20:23], v9
	v_dual_add_nc_u32 v8, 1, v8 :: v_dual_add_nc_u32 v9, 16, v9
	s_wait_xcnt 0x0
	v_add_nc_u32_e32 v10, 16, v10
	s_delay_alu instid0(VALU_DEP_2) | instskip(SKIP_4) | instid1(VALU_DEP_2)
	v_cmp_lt_u32_e32 vcc_lo, 6, v8
	s_or_b32 s3, vcc_lo, s3
	s_wait_loadcnt_dscnt 0x0
	v_mul_f64_e32 v[12:13], v[22:23], v[18:19]
	v_mul_f64_e32 v[18:19], v[20:21], v[18:19]
	v_fma_f64 v[12:13], v[20:21], v[16:17], -v[12:13]
	s_delay_alu instid0(VALU_DEP_2) | instskip(NEXT) | instid1(VALU_DEP_2)
	v_fmac_f64_e32 v[18:19], v[22:23], v[16:17]
	v_add_f64_e32 v[4:5], v[4:5], v[12:13]
	s_delay_alu instid0(VALU_DEP_2)
	v_add_f64_e32 v[2:3], v[2:3], v[18:19]
	s_and_not1_b32 exec_lo, exec_lo, s3
	s_cbranch_execnz .LBB50_45
; %bb.46:
	s_or_b32 exec_lo, exec_lo, s3
	v_mov_b32_e32 v8, 0
	ds_load_b128 v[8:11], v8 offset:128
	s_wait_dscnt 0x0
	v_mul_f64_e32 v[16:17], v[2:3], v[10:11]
	v_mul_f64_e32 v[12:13], v[4:5], v[10:11]
	s_delay_alu instid0(VALU_DEP_2) | instskip(NEXT) | instid1(VALU_DEP_2)
	v_fma_f64 v[10:11], v[4:5], v[8:9], -v[16:17]
	v_fmac_f64_e32 v[12:13], v[2:3], v[8:9]
	scratch_store_b128 off, v[10:13], off offset:128
.LBB50_47:
	s_wait_xcnt 0x0
	s_or_b32 exec_lo, exec_lo, s2
	s_wait_storecnt 0x0
	s_barrier_signal -1
	s_barrier_wait -1
	scratch_load_b128 v[2:5], off, s53
	s_mov_b32 s2, exec_lo
	s_wait_loadcnt 0x0
	ds_store_b128 v6, v[2:5]
	s_wait_dscnt 0x0
	s_barrier_signal -1
	s_barrier_wait -1
	v_cmpx_gt_u32_e32 9, v1
	s_cbranch_execz .LBB50_51
; %bb.48:
	v_dual_mov_b32 v10, v14 :: v_dual_add_nc_u32 v8, -1, v1
	v_mov_b64_e32 v[2:3], 0
	v_mov_b64_e32 v[4:5], 0
	v_add_nc_u32_e32 v9, 0x330, v14
	s_delay_alu instid0(VALU_DEP_4)
	v_or_b32_e32 v10, 8, v10
	s_mov_b32 s3, 0
.LBB50_49:                              ; =>This Inner Loop Header: Depth=1
	scratch_load_b128 v[16:19], v10, off offset:-8
	ds_load_b128 v[20:23], v9
	v_dual_add_nc_u32 v8, 1, v8 :: v_dual_add_nc_u32 v9, 16, v9
	s_wait_xcnt 0x0
	v_add_nc_u32_e32 v10, 16, v10
	s_delay_alu instid0(VALU_DEP_2) | instskip(SKIP_4) | instid1(VALU_DEP_2)
	v_cmp_lt_u32_e32 vcc_lo, 7, v8
	s_or_b32 s3, vcc_lo, s3
	s_wait_loadcnt_dscnt 0x0
	v_mul_f64_e32 v[12:13], v[22:23], v[18:19]
	v_mul_f64_e32 v[18:19], v[20:21], v[18:19]
	v_fma_f64 v[12:13], v[20:21], v[16:17], -v[12:13]
	s_delay_alu instid0(VALU_DEP_2) | instskip(NEXT) | instid1(VALU_DEP_2)
	v_fmac_f64_e32 v[18:19], v[22:23], v[16:17]
	v_add_f64_e32 v[4:5], v[4:5], v[12:13]
	s_delay_alu instid0(VALU_DEP_2)
	v_add_f64_e32 v[2:3], v[2:3], v[18:19]
	s_and_not1_b32 exec_lo, exec_lo, s3
	s_cbranch_execnz .LBB50_49
; %bb.50:
	s_or_b32 exec_lo, exec_lo, s3
	v_mov_b32_e32 v8, 0
	ds_load_b128 v[8:11], v8 offset:144
	s_wait_dscnt 0x0
	v_mul_f64_e32 v[16:17], v[2:3], v[10:11]
	v_mul_f64_e32 v[12:13], v[4:5], v[10:11]
	s_delay_alu instid0(VALU_DEP_2) | instskip(NEXT) | instid1(VALU_DEP_2)
	v_fma_f64 v[10:11], v[4:5], v[8:9], -v[16:17]
	v_fmac_f64_e32 v[12:13], v[2:3], v[8:9]
	scratch_store_b128 off, v[10:13], off offset:144
.LBB50_51:
	s_wait_xcnt 0x0
	s_or_b32 exec_lo, exec_lo, s2
	s_wait_storecnt 0x0
	s_barrier_signal -1
	s_barrier_wait -1
	scratch_load_b128 v[2:5], off, s55
	s_mov_b32 s2, exec_lo
	s_wait_loadcnt 0x0
	ds_store_b128 v6, v[2:5]
	s_wait_dscnt 0x0
	s_barrier_signal -1
	s_barrier_wait -1
	v_cmpx_gt_u32_e32 10, v1
	s_cbranch_execz .LBB50_55
; %bb.52:
	v_dual_mov_b32 v10, v14 :: v_dual_add_nc_u32 v8, -1, v1
	v_mov_b64_e32 v[2:3], 0
	v_mov_b64_e32 v[4:5], 0
	v_add_nc_u32_e32 v9, 0x330, v14
	s_delay_alu instid0(VALU_DEP_4)
	v_or_b32_e32 v10, 8, v10
	s_mov_b32 s3, 0
.LBB50_53:                              ; =>This Inner Loop Header: Depth=1
	scratch_load_b128 v[16:19], v10, off offset:-8
	ds_load_b128 v[20:23], v9
	v_dual_add_nc_u32 v8, 1, v8 :: v_dual_add_nc_u32 v9, 16, v9
	s_wait_xcnt 0x0
	v_add_nc_u32_e32 v10, 16, v10
	s_delay_alu instid0(VALU_DEP_2) | instskip(SKIP_4) | instid1(VALU_DEP_2)
	v_cmp_lt_u32_e32 vcc_lo, 8, v8
	s_or_b32 s3, vcc_lo, s3
	s_wait_loadcnt_dscnt 0x0
	v_mul_f64_e32 v[12:13], v[22:23], v[18:19]
	v_mul_f64_e32 v[18:19], v[20:21], v[18:19]
	v_fma_f64 v[12:13], v[20:21], v[16:17], -v[12:13]
	s_delay_alu instid0(VALU_DEP_2) | instskip(NEXT) | instid1(VALU_DEP_2)
	v_fmac_f64_e32 v[18:19], v[22:23], v[16:17]
	v_add_f64_e32 v[4:5], v[4:5], v[12:13]
	s_delay_alu instid0(VALU_DEP_2)
	v_add_f64_e32 v[2:3], v[2:3], v[18:19]
	s_and_not1_b32 exec_lo, exec_lo, s3
	s_cbranch_execnz .LBB50_53
; %bb.54:
	s_or_b32 exec_lo, exec_lo, s3
	v_mov_b32_e32 v8, 0
	ds_load_b128 v[8:11], v8 offset:160
	s_wait_dscnt 0x0
	v_mul_f64_e32 v[16:17], v[2:3], v[10:11]
	v_mul_f64_e32 v[12:13], v[4:5], v[10:11]
	s_delay_alu instid0(VALU_DEP_2) | instskip(NEXT) | instid1(VALU_DEP_2)
	v_fma_f64 v[10:11], v[4:5], v[8:9], -v[16:17]
	v_fmac_f64_e32 v[12:13], v[2:3], v[8:9]
	scratch_store_b128 off, v[10:13], off offset:160
.LBB50_55:
	s_wait_xcnt 0x0
	s_or_b32 exec_lo, exec_lo, s2
	s_wait_storecnt 0x0
	s_barrier_signal -1
	s_barrier_wait -1
	scratch_load_b128 v[2:5], off, s58
	s_mov_b32 s2, exec_lo
	s_wait_loadcnt 0x0
	ds_store_b128 v6, v[2:5]
	s_wait_dscnt 0x0
	s_barrier_signal -1
	s_barrier_wait -1
	v_cmpx_gt_u32_e32 11, v1
	s_cbranch_execz .LBB50_59
; %bb.56:
	v_dual_mov_b32 v10, v14 :: v_dual_add_nc_u32 v8, -1, v1
	v_mov_b64_e32 v[2:3], 0
	v_mov_b64_e32 v[4:5], 0
	v_add_nc_u32_e32 v9, 0x330, v14
	s_delay_alu instid0(VALU_DEP_4)
	v_or_b32_e32 v10, 8, v10
	s_mov_b32 s3, 0
.LBB50_57:                              ; =>This Inner Loop Header: Depth=1
	scratch_load_b128 v[16:19], v10, off offset:-8
	ds_load_b128 v[20:23], v9
	v_dual_add_nc_u32 v8, 1, v8 :: v_dual_add_nc_u32 v9, 16, v9
	s_wait_xcnt 0x0
	v_add_nc_u32_e32 v10, 16, v10
	s_delay_alu instid0(VALU_DEP_2) | instskip(SKIP_4) | instid1(VALU_DEP_2)
	v_cmp_lt_u32_e32 vcc_lo, 9, v8
	s_or_b32 s3, vcc_lo, s3
	s_wait_loadcnt_dscnt 0x0
	v_mul_f64_e32 v[12:13], v[22:23], v[18:19]
	v_mul_f64_e32 v[18:19], v[20:21], v[18:19]
	v_fma_f64 v[12:13], v[20:21], v[16:17], -v[12:13]
	s_delay_alu instid0(VALU_DEP_2) | instskip(NEXT) | instid1(VALU_DEP_2)
	v_fmac_f64_e32 v[18:19], v[22:23], v[16:17]
	v_add_f64_e32 v[4:5], v[4:5], v[12:13]
	s_delay_alu instid0(VALU_DEP_2)
	v_add_f64_e32 v[2:3], v[2:3], v[18:19]
	s_and_not1_b32 exec_lo, exec_lo, s3
	s_cbranch_execnz .LBB50_57
; %bb.58:
	s_or_b32 exec_lo, exec_lo, s3
	v_mov_b32_e32 v8, 0
	ds_load_b128 v[8:11], v8 offset:176
	s_wait_dscnt 0x0
	v_mul_f64_e32 v[16:17], v[2:3], v[10:11]
	v_mul_f64_e32 v[12:13], v[4:5], v[10:11]
	s_delay_alu instid0(VALU_DEP_2) | instskip(NEXT) | instid1(VALU_DEP_2)
	v_fma_f64 v[10:11], v[4:5], v[8:9], -v[16:17]
	v_fmac_f64_e32 v[12:13], v[2:3], v[8:9]
	scratch_store_b128 off, v[10:13], off offset:176
.LBB50_59:
	s_wait_xcnt 0x0
	s_or_b32 exec_lo, exec_lo, s2
	s_wait_storecnt 0x0
	s_barrier_signal -1
	s_barrier_wait -1
	scratch_load_b128 v[2:5], off, s60
	s_mov_b32 s2, exec_lo
	s_wait_loadcnt 0x0
	ds_store_b128 v6, v[2:5]
	s_wait_dscnt 0x0
	s_barrier_signal -1
	s_barrier_wait -1
	v_cmpx_gt_u32_e32 12, v1
	s_cbranch_execz .LBB50_63
; %bb.60:
	v_dual_mov_b32 v10, v14 :: v_dual_add_nc_u32 v8, -1, v1
	v_mov_b64_e32 v[2:3], 0
	v_mov_b64_e32 v[4:5], 0
	v_add_nc_u32_e32 v9, 0x330, v14
	s_delay_alu instid0(VALU_DEP_4)
	v_or_b32_e32 v10, 8, v10
	s_mov_b32 s3, 0
.LBB50_61:                              ; =>This Inner Loop Header: Depth=1
	scratch_load_b128 v[16:19], v10, off offset:-8
	ds_load_b128 v[20:23], v9
	v_dual_add_nc_u32 v8, 1, v8 :: v_dual_add_nc_u32 v9, 16, v9
	s_wait_xcnt 0x0
	v_add_nc_u32_e32 v10, 16, v10
	s_delay_alu instid0(VALU_DEP_2) | instskip(SKIP_4) | instid1(VALU_DEP_2)
	v_cmp_lt_u32_e32 vcc_lo, 10, v8
	s_or_b32 s3, vcc_lo, s3
	s_wait_loadcnt_dscnt 0x0
	v_mul_f64_e32 v[12:13], v[22:23], v[18:19]
	v_mul_f64_e32 v[18:19], v[20:21], v[18:19]
	v_fma_f64 v[12:13], v[20:21], v[16:17], -v[12:13]
	s_delay_alu instid0(VALU_DEP_2) | instskip(NEXT) | instid1(VALU_DEP_2)
	v_fmac_f64_e32 v[18:19], v[22:23], v[16:17]
	v_add_f64_e32 v[4:5], v[4:5], v[12:13]
	s_delay_alu instid0(VALU_DEP_2)
	v_add_f64_e32 v[2:3], v[2:3], v[18:19]
	s_and_not1_b32 exec_lo, exec_lo, s3
	s_cbranch_execnz .LBB50_61
; %bb.62:
	s_or_b32 exec_lo, exec_lo, s3
	v_mov_b32_e32 v8, 0
	ds_load_b128 v[8:11], v8 offset:192
	s_wait_dscnt 0x0
	v_mul_f64_e32 v[16:17], v[2:3], v[10:11]
	v_mul_f64_e32 v[12:13], v[4:5], v[10:11]
	s_delay_alu instid0(VALU_DEP_2) | instskip(NEXT) | instid1(VALU_DEP_2)
	v_fma_f64 v[10:11], v[4:5], v[8:9], -v[16:17]
	v_fmac_f64_e32 v[12:13], v[2:3], v[8:9]
	scratch_store_b128 off, v[10:13], off offset:192
.LBB50_63:
	s_wait_xcnt 0x0
	s_or_b32 exec_lo, exec_lo, s2
	s_wait_storecnt 0x0
	s_barrier_signal -1
	s_barrier_wait -1
	scratch_load_b128 v[2:5], off, s61
	s_mov_b32 s2, exec_lo
	s_wait_loadcnt 0x0
	ds_store_b128 v6, v[2:5]
	s_wait_dscnt 0x0
	s_barrier_signal -1
	s_barrier_wait -1
	v_cmpx_gt_u32_e32 13, v1
	s_cbranch_execz .LBB50_67
; %bb.64:
	v_dual_mov_b32 v10, v14 :: v_dual_add_nc_u32 v8, -1, v1
	v_mov_b64_e32 v[2:3], 0
	v_mov_b64_e32 v[4:5], 0
	v_add_nc_u32_e32 v9, 0x330, v14
	s_delay_alu instid0(VALU_DEP_4)
	v_or_b32_e32 v10, 8, v10
	s_mov_b32 s3, 0
.LBB50_65:                              ; =>This Inner Loop Header: Depth=1
	scratch_load_b128 v[16:19], v10, off offset:-8
	ds_load_b128 v[20:23], v9
	v_dual_add_nc_u32 v8, 1, v8 :: v_dual_add_nc_u32 v9, 16, v9
	s_wait_xcnt 0x0
	v_add_nc_u32_e32 v10, 16, v10
	s_delay_alu instid0(VALU_DEP_2) | instskip(SKIP_4) | instid1(VALU_DEP_2)
	v_cmp_lt_u32_e32 vcc_lo, 11, v8
	s_or_b32 s3, vcc_lo, s3
	s_wait_loadcnt_dscnt 0x0
	v_mul_f64_e32 v[12:13], v[22:23], v[18:19]
	v_mul_f64_e32 v[18:19], v[20:21], v[18:19]
	v_fma_f64 v[12:13], v[20:21], v[16:17], -v[12:13]
	s_delay_alu instid0(VALU_DEP_2) | instskip(NEXT) | instid1(VALU_DEP_2)
	v_fmac_f64_e32 v[18:19], v[22:23], v[16:17]
	v_add_f64_e32 v[4:5], v[4:5], v[12:13]
	s_delay_alu instid0(VALU_DEP_2)
	v_add_f64_e32 v[2:3], v[2:3], v[18:19]
	s_and_not1_b32 exec_lo, exec_lo, s3
	s_cbranch_execnz .LBB50_65
; %bb.66:
	s_or_b32 exec_lo, exec_lo, s3
	v_mov_b32_e32 v8, 0
	ds_load_b128 v[8:11], v8 offset:208
	s_wait_dscnt 0x0
	v_mul_f64_e32 v[16:17], v[2:3], v[10:11]
	v_mul_f64_e32 v[12:13], v[4:5], v[10:11]
	s_delay_alu instid0(VALU_DEP_2) | instskip(NEXT) | instid1(VALU_DEP_2)
	v_fma_f64 v[10:11], v[4:5], v[8:9], -v[16:17]
	v_fmac_f64_e32 v[12:13], v[2:3], v[8:9]
	scratch_store_b128 off, v[10:13], off offset:208
.LBB50_67:
	s_wait_xcnt 0x0
	s_or_b32 exec_lo, exec_lo, s2
	s_wait_storecnt 0x0
	s_barrier_signal -1
	s_barrier_wait -1
	scratch_load_b128 v[2:5], off, s62
	s_mov_b32 s2, exec_lo
	s_wait_loadcnt 0x0
	ds_store_b128 v6, v[2:5]
	s_wait_dscnt 0x0
	s_barrier_signal -1
	s_barrier_wait -1
	v_cmpx_gt_u32_e32 14, v1
	s_cbranch_execz .LBB50_71
; %bb.68:
	v_dual_mov_b32 v10, v14 :: v_dual_add_nc_u32 v8, -1, v1
	v_mov_b64_e32 v[2:3], 0
	v_mov_b64_e32 v[4:5], 0
	v_add_nc_u32_e32 v9, 0x330, v14
	s_delay_alu instid0(VALU_DEP_4)
	v_or_b32_e32 v10, 8, v10
	s_mov_b32 s3, 0
.LBB50_69:                              ; =>This Inner Loop Header: Depth=1
	scratch_load_b128 v[16:19], v10, off offset:-8
	ds_load_b128 v[20:23], v9
	v_dual_add_nc_u32 v8, 1, v8 :: v_dual_add_nc_u32 v9, 16, v9
	s_wait_xcnt 0x0
	v_add_nc_u32_e32 v10, 16, v10
	s_delay_alu instid0(VALU_DEP_2) | instskip(SKIP_4) | instid1(VALU_DEP_2)
	v_cmp_lt_u32_e32 vcc_lo, 12, v8
	s_or_b32 s3, vcc_lo, s3
	s_wait_loadcnt_dscnt 0x0
	v_mul_f64_e32 v[12:13], v[22:23], v[18:19]
	v_mul_f64_e32 v[18:19], v[20:21], v[18:19]
	v_fma_f64 v[12:13], v[20:21], v[16:17], -v[12:13]
	s_delay_alu instid0(VALU_DEP_2) | instskip(NEXT) | instid1(VALU_DEP_2)
	v_fmac_f64_e32 v[18:19], v[22:23], v[16:17]
	v_add_f64_e32 v[4:5], v[4:5], v[12:13]
	s_delay_alu instid0(VALU_DEP_2)
	v_add_f64_e32 v[2:3], v[2:3], v[18:19]
	s_and_not1_b32 exec_lo, exec_lo, s3
	s_cbranch_execnz .LBB50_69
; %bb.70:
	s_or_b32 exec_lo, exec_lo, s3
	v_mov_b32_e32 v8, 0
	ds_load_b128 v[8:11], v8 offset:224
	s_wait_dscnt 0x0
	v_mul_f64_e32 v[16:17], v[2:3], v[10:11]
	v_mul_f64_e32 v[12:13], v[4:5], v[10:11]
	s_delay_alu instid0(VALU_DEP_2) | instskip(NEXT) | instid1(VALU_DEP_2)
	v_fma_f64 v[10:11], v[4:5], v[8:9], -v[16:17]
	v_fmac_f64_e32 v[12:13], v[2:3], v[8:9]
	scratch_store_b128 off, v[10:13], off offset:224
.LBB50_71:
	s_wait_xcnt 0x0
	s_or_b32 exec_lo, exec_lo, s2
	s_wait_storecnt 0x0
	s_barrier_signal -1
	s_barrier_wait -1
	scratch_load_b128 v[2:5], off, s57
	s_mov_b32 s2, exec_lo
	s_wait_loadcnt 0x0
	ds_store_b128 v6, v[2:5]
	s_wait_dscnt 0x0
	s_barrier_signal -1
	s_barrier_wait -1
	v_cmpx_gt_u32_e32 15, v1
	s_cbranch_execz .LBB50_75
; %bb.72:
	v_dual_mov_b32 v10, v14 :: v_dual_add_nc_u32 v8, -1, v1
	v_mov_b64_e32 v[2:3], 0
	v_mov_b64_e32 v[4:5], 0
	v_add_nc_u32_e32 v9, 0x330, v14
	s_delay_alu instid0(VALU_DEP_4)
	v_or_b32_e32 v10, 8, v10
	s_mov_b32 s3, 0
.LBB50_73:                              ; =>This Inner Loop Header: Depth=1
	scratch_load_b128 v[16:19], v10, off offset:-8
	ds_load_b128 v[20:23], v9
	v_dual_add_nc_u32 v8, 1, v8 :: v_dual_add_nc_u32 v9, 16, v9
	s_wait_xcnt 0x0
	v_add_nc_u32_e32 v10, 16, v10
	s_delay_alu instid0(VALU_DEP_2) | instskip(SKIP_4) | instid1(VALU_DEP_2)
	v_cmp_lt_u32_e32 vcc_lo, 13, v8
	s_or_b32 s3, vcc_lo, s3
	s_wait_loadcnt_dscnt 0x0
	v_mul_f64_e32 v[12:13], v[22:23], v[18:19]
	v_mul_f64_e32 v[18:19], v[20:21], v[18:19]
	v_fma_f64 v[12:13], v[20:21], v[16:17], -v[12:13]
	s_delay_alu instid0(VALU_DEP_2) | instskip(NEXT) | instid1(VALU_DEP_2)
	v_fmac_f64_e32 v[18:19], v[22:23], v[16:17]
	v_add_f64_e32 v[4:5], v[4:5], v[12:13]
	s_delay_alu instid0(VALU_DEP_2)
	v_add_f64_e32 v[2:3], v[2:3], v[18:19]
	s_and_not1_b32 exec_lo, exec_lo, s3
	s_cbranch_execnz .LBB50_73
; %bb.74:
	s_or_b32 exec_lo, exec_lo, s3
	v_mov_b32_e32 v8, 0
	ds_load_b128 v[8:11], v8 offset:240
	s_wait_dscnt 0x0
	v_mul_f64_e32 v[16:17], v[2:3], v[10:11]
	v_mul_f64_e32 v[12:13], v[4:5], v[10:11]
	s_delay_alu instid0(VALU_DEP_2) | instskip(NEXT) | instid1(VALU_DEP_2)
	v_fma_f64 v[10:11], v[4:5], v[8:9], -v[16:17]
	v_fmac_f64_e32 v[12:13], v[2:3], v[8:9]
	scratch_store_b128 off, v[10:13], off offset:240
.LBB50_75:
	s_wait_xcnt 0x0
	s_or_b32 exec_lo, exec_lo, s2
	s_wait_storecnt 0x0
	s_barrier_signal -1
	s_barrier_wait -1
	scratch_load_b128 v[2:5], off, s46
	s_mov_b32 s2, exec_lo
	s_wait_loadcnt 0x0
	ds_store_b128 v6, v[2:5]
	s_wait_dscnt 0x0
	s_barrier_signal -1
	s_barrier_wait -1
	v_cmpx_gt_u32_e32 16, v1
	s_cbranch_execz .LBB50_79
; %bb.76:
	v_dual_mov_b32 v10, v14 :: v_dual_add_nc_u32 v8, -1, v1
	v_mov_b64_e32 v[2:3], 0
	v_mov_b64_e32 v[4:5], 0
	v_add_nc_u32_e32 v9, 0x330, v14
	s_delay_alu instid0(VALU_DEP_4)
	v_or_b32_e32 v10, 8, v10
	s_mov_b32 s3, 0
.LBB50_77:                              ; =>This Inner Loop Header: Depth=1
	scratch_load_b128 v[16:19], v10, off offset:-8
	ds_load_b128 v[20:23], v9
	v_dual_add_nc_u32 v8, 1, v8 :: v_dual_add_nc_u32 v9, 16, v9
	s_wait_xcnt 0x0
	v_add_nc_u32_e32 v10, 16, v10
	s_delay_alu instid0(VALU_DEP_2) | instskip(SKIP_4) | instid1(VALU_DEP_2)
	v_cmp_lt_u32_e32 vcc_lo, 14, v8
	s_or_b32 s3, vcc_lo, s3
	s_wait_loadcnt_dscnt 0x0
	v_mul_f64_e32 v[12:13], v[22:23], v[18:19]
	v_mul_f64_e32 v[18:19], v[20:21], v[18:19]
	v_fma_f64 v[12:13], v[20:21], v[16:17], -v[12:13]
	s_delay_alu instid0(VALU_DEP_2) | instskip(NEXT) | instid1(VALU_DEP_2)
	v_fmac_f64_e32 v[18:19], v[22:23], v[16:17]
	v_add_f64_e32 v[4:5], v[4:5], v[12:13]
	s_delay_alu instid0(VALU_DEP_2)
	v_add_f64_e32 v[2:3], v[2:3], v[18:19]
	s_and_not1_b32 exec_lo, exec_lo, s3
	s_cbranch_execnz .LBB50_77
; %bb.78:
	s_or_b32 exec_lo, exec_lo, s3
	v_mov_b32_e32 v8, 0
	ds_load_b128 v[8:11], v8 offset:256
	s_wait_dscnt 0x0
	v_mul_f64_e32 v[16:17], v[2:3], v[10:11]
	v_mul_f64_e32 v[12:13], v[4:5], v[10:11]
	s_delay_alu instid0(VALU_DEP_2) | instskip(NEXT) | instid1(VALU_DEP_2)
	v_fma_f64 v[10:11], v[4:5], v[8:9], -v[16:17]
	v_fmac_f64_e32 v[12:13], v[2:3], v[8:9]
	scratch_store_b128 off, v[10:13], off offset:256
.LBB50_79:
	s_wait_xcnt 0x0
	s_or_b32 exec_lo, exec_lo, s2
	s_wait_storecnt 0x0
	s_barrier_signal -1
	s_barrier_wait -1
	scratch_load_b128 v[2:5], off, s48
	s_mov_b32 s2, exec_lo
	s_wait_loadcnt 0x0
	ds_store_b128 v6, v[2:5]
	s_wait_dscnt 0x0
	s_barrier_signal -1
	s_barrier_wait -1
	v_cmpx_gt_u32_e32 17, v1
	s_cbranch_execz .LBB50_83
; %bb.80:
	v_dual_mov_b32 v10, v14 :: v_dual_add_nc_u32 v8, -1, v1
	v_mov_b64_e32 v[2:3], 0
	v_mov_b64_e32 v[4:5], 0
	v_add_nc_u32_e32 v9, 0x330, v14
	s_delay_alu instid0(VALU_DEP_4)
	v_or_b32_e32 v10, 8, v10
	s_mov_b32 s3, 0
.LBB50_81:                              ; =>This Inner Loop Header: Depth=1
	scratch_load_b128 v[16:19], v10, off offset:-8
	ds_load_b128 v[20:23], v9
	v_dual_add_nc_u32 v8, 1, v8 :: v_dual_add_nc_u32 v9, 16, v9
	s_wait_xcnt 0x0
	v_add_nc_u32_e32 v10, 16, v10
	s_delay_alu instid0(VALU_DEP_2) | instskip(SKIP_4) | instid1(VALU_DEP_2)
	v_cmp_lt_u32_e32 vcc_lo, 15, v8
	s_or_b32 s3, vcc_lo, s3
	s_wait_loadcnt_dscnt 0x0
	v_mul_f64_e32 v[12:13], v[22:23], v[18:19]
	v_mul_f64_e32 v[18:19], v[20:21], v[18:19]
	v_fma_f64 v[12:13], v[20:21], v[16:17], -v[12:13]
	s_delay_alu instid0(VALU_DEP_2) | instskip(NEXT) | instid1(VALU_DEP_2)
	v_fmac_f64_e32 v[18:19], v[22:23], v[16:17]
	v_add_f64_e32 v[4:5], v[4:5], v[12:13]
	s_delay_alu instid0(VALU_DEP_2)
	v_add_f64_e32 v[2:3], v[2:3], v[18:19]
	s_and_not1_b32 exec_lo, exec_lo, s3
	s_cbranch_execnz .LBB50_81
; %bb.82:
	s_or_b32 exec_lo, exec_lo, s3
	v_mov_b32_e32 v8, 0
	ds_load_b128 v[8:11], v8 offset:272
	s_wait_dscnt 0x0
	v_mul_f64_e32 v[16:17], v[2:3], v[10:11]
	v_mul_f64_e32 v[12:13], v[4:5], v[10:11]
	s_delay_alu instid0(VALU_DEP_2) | instskip(NEXT) | instid1(VALU_DEP_2)
	v_fma_f64 v[10:11], v[4:5], v[8:9], -v[16:17]
	v_fmac_f64_e32 v[12:13], v[2:3], v[8:9]
	scratch_store_b128 off, v[10:13], off offset:272
.LBB50_83:
	s_wait_xcnt 0x0
	s_or_b32 exec_lo, exec_lo, s2
	s_wait_storecnt 0x0
	s_barrier_signal -1
	s_barrier_wait -1
	scratch_load_b128 v[2:5], off, s49
	s_mov_b32 s2, exec_lo
	s_wait_loadcnt 0x0
	ds_store_b128 v6, v[2:5]
	s_wait_dscnt 0x0
	s_barrier_signal -1
	s_barrier_wait -1
	v_cmpx_gt_u32_e32 18, v1
	s_cbranch_execz .LBB50_87
; %bb.84:
	v_dual_mov_b32 v10, v14 :: v_dual_add_nc_u32 v8, -1, v1
	v_mov_b64_e32 v[2:3], 0
	v_mov_b64_e32 v[4:5], 0
	v_add_nc_u32_e32 v9, 0x330, v14
	s_delay_alu instid0(VALU_DEP_4)
	v_or_b32_e32 v10, 8, v10
	s_mov_b32 s3, 0
.LBB50_85:                              ; =>This Inner Loop Header: Depth=1
	scratch_load_b128 v[16:19], v10, off offset:-8
	ds_load_b128 v[20:23], v9
	v_dual_add_nc_u32 v8, 1, v8 :: v_dual_add_nc_u32 v9, 16, v9
	s_wait_xcnt 0x0
	v_add_nc_u32_e32 v10, 16, v10
	s_delay_alu instid0(VALU_DEP_2) | instskip(SKIP_4) | instid1(VALU_DEP_2)
	v_cmp_lt_u32_e32 vcc_lo, 16, v8
	s_or_b32 s3, vcc_lo, s3
	s_wait_loadcnt_dscnt 0x0
	v_mul_f64_e32 v[12:13], v[22:23], v[18:19]
	v_mul_f64_e32 v[18:19], v[20:21], v[18:19]
	v_fma_f64 v[12:13], v[20:21], v[16:17], -v[12:13]
	s_delay_alu instid0(VALU_DEP_2) | instskip(NEXT) | instid1(VALU_DEP_2)
	v_fmac_f64_e32 v[18:19], v[22:23], v[16:17]
	v_add_f64_e32 v[4:5], v[4:5], v[12:13]
	s_delay_alu instid0(VALU_DEP_2)
	v_add_f64_e32 v[2:3], v[2:3], v[18:19]
	s_and_not1_b32 exec_lo, exec_lo, s3
	s_cbranch_execnz .LBB50_85
; %bb.86:
	s_or_b32 exec_lo, exec_lo, s3
	v_mov_b32_e32 v8, 0
	ds_load_b128 v[8:11], v8 offset:288
	s_wait_dscnt 0x0
	v_mul_f64_e32 v[16:17], v[2:3], v[10:11]
	v_mul_f64_e32 v[12:13], v[4:5], v[10:11]
	s_delay_alu instid0(VALU_DEP_2) | instskip(NEXT) | instid1(VALU_DEP_2)
	v_fma_f64 v[10:11], v[4:5], v[8:9], -v[16:17]
	v_fmac_f64_e32 v[12:13], v[2:3], v[8:9]
	scratch_store_b128 off, v[10:13], off offset:288
.LBB50_87:
	s_wait_xcnt 0x0
	s_or_b32 exec_lo, exec_lo, s2
	s_wait_storecnt 0x0
	s_barrier_signal -1
	s_barrier_wait -1
	scratch_load_b128 v[2:5], off, s50
	s_mov_b32 s2, exec_lo
	s_wait_loadcnt 0x0
	ds_store_b128 v6, v[2:5]
	s_wait_dscnt 0x0
	s_barrier_signal -1
	s_barrier_wait -1
	v_cmpx_gt_u32_e32 19, v1
	s_cbranch_execz .LBB50_91
; %bb.88:
	v_dual_mov_b32 v10, v14 :: v_dual_add_nc_u32 v8, -1, v1
	v_mov_b64_e32 v[2:3], 0
	v_mov_b64_e32 v[4:5], 0
	v_add_nc_u32_e32 v9, 0x330, v14
	s_delay_alu instid0(VALU_DEP_4)
	v_or_b32_e32 v10, 8, v10
	s_mov_b32 s3, 0
.LBB50_89:                              ; =>This Inner Loop Header: Depth=1
	scratch_load_b128 v[16:19], v10, off offset:-8
	ds_load_b128 v[20:23], v9
	v_dual_add_nc_u32 v8, 1, v8 :: v_dual_add_nc_u32 v9, 16, v9
	s_wait_xcnt 0x0
	v_add_nc_u32_e32 v10, 16, v10
	s_delay_alu instid0(VALU_DEP_2) | instskip(SKIP_4) | instid1(VALU_DEP_2)
	v_cmp_lt_u32_e32 vcc_lo, 17, v8
	s_or_b32 s3, vcc_lo, s3
	s_wait_loadcnt_dscnt 0x0
	v_mul_f64_e32 v[12:13], v[22:23], v[18:19]
	v_mul_f64_e32 v[18:19], v[20:21], v[18:19]
	v_fma_f64 v[12:13], v[20:21], v[16:17], -v[12:13]
	s_delay_alu instid0(VALU_DEP_2) | instskip(NEXT) | instid1(VALU_DEP_2)
	v_fmac_f64_e32 v[18:19], v[22:23], v[16:17]
	v_add_f64_e32 v[4:5], v[4:5], v[12:13]
	s_delay_alu instid0(VALU_DEP_2)
	v_add_f64_e32 v[2:3], v[2:3], v[18:19]
	s_and_not1_b32 exec_lo, exec_lo, s3
	s_cbranch_execnz .LBB50_89
; %bb.90:
	s_or_b32 exec_lo, exec_lo, s3
	v_mov_b32_e32 v8, 0
	ds_load_b128 v[8:11], v8 offset:304
	s_wait_dscnt 0x0
	v_mul_f64_e32 v[16:17], v[2:3], v[10:11]
	v_mul_f64_e32 v[12:13], v[4:5], v[10:11]
	s_delay_alu instid0(VALU_DEP_2) | instskip(NEXT) | instid1(VALU_DEP_2)
	v_fma_f64 v[10:11], v[4:5], v[8:9], -v[16:17]
	v_fmac_f64_e32 v[12:13], v[2:3], v[8:9]
	scratch_store_b128 off, v[10:13], off offset:304
.LBB50_91:
	s_wait_xcnt 0x0
	s_or_b32 exec_lo, exec_lo, s2
	s_wait_storecnt 0x0
	s_barrier_signal -1
	s_barrier_wait -1
	scratch_load_b128 v[2:5], off, s51
	s_mov_b32 s2, exec_lo
	s_wait_loadcnt 0x0
	ds_store_b128 v6, v[2:5]
	s_wait_dscnt 0x0
	s_barrier_signal -1
	s_barrier_wait -1
	v_cmpx_gt_u32_e32 20, v1
	s_cbranch_execz .LBB50_95
; %bb.92:
	v_dual_mov_b32 v10, v14 :: v_dual_add_nc_u32 v8, -1, v1
	v_mov_b64_e32 v[2:3], 0
	v_mov_b64_e32 v[4:5], 0
	v_add_nc_u32_e32 v9, 0x330, v14
	s_delay_alu instid0(VALU_DEP_4)
	v_or_b32_e32 v10, 8, v10
	s_mov_b32 s3, 0
.LBB50_93:                              ; =>This Inner Loop Header: Depth=1
	scratch_load_b128 v[16:19], v10, off offset:-8
	ds_load_b128 v[20:23], v9
	v_dual_add_nc_u32 v8, 1, v8 :: v_dual_add_nc_u32 v9, 16, v9
	s_wait_xcnt 0x0
	v_add_nc_u32_e32 v10, 16, v10
	s_delay_alu instid0(VALU_DEP_2) | instskip(SKIP_4) | instid1(VALU_DEP_2)
	v_cmp_lt_u32_e32 vcc_lo, 18, v8
	s_or_b32 s3, vcc_lo, s3
	s_wait_loadcnt_dscnt 0x0
	v_mul_f64_e32 v[12:13], v[22:23], v[18:19]
	v_mul_f64_e32 v[18:19], v[20:21], v[18:19]
	v_fma_f64 v[12:13], v[20:21], v[16:17], -v[12:13]
	s_delay_alu instid0(VALU_DEP_2) | instskip(NEXT) | instid1(VALU_DEP_2)
	v_fmac_f64_e32 v[18:19], v[22:23], v[16:17]
	v_add_f64_e32 v[4:5], v[4:5], v[12:13]
	s_delay_alu instid0(VALU_DEP_2)
	v_add_f64_e32 v[2:3], v[2:3], v[18:19]
	s_and_not1_b32 exec_lo, exec_lo, s3
	s_cbranch_execnz .LBB50_93
; %bb.94:
	s_or_b32 exec_lo, exec_lo, s3
	v_mov_b32_e32 v8, 0
	ds_load_b128 v[8:11], v8 offset:320
	s_wait_dscnt 0x0
	v_mul_f64_e32 v[16:17], v[2:3], v[10:11]
	v_mul_f64_e32 v[12:13], v[4:5], v[10:11]
	s_delay_alu instid0(VALU_DEP_2) | instskip(NEXT) | instid1(VALU_DEP_2)
	v_fma_f64 v[10:11], v[4:5], v[8:9], -v[16:17]
	v_fmac_f64_e32 v[12:13], v[2:3], v[8:9]
	scratch_store_b128 off, v[10:13], off offset:320
.LBB50_95:
	s_wait_xcnt 0x0
	s_or_b32 exec_lo, exec_lo, s2
	s_wait_storecnt 0x0
	s_barrier_signal -1
	s_barrier_wait -1
	scratch_load_b128 v[2:5], off, s42
	s_mov_b32 s2, exec_lo
	s_wait_loadcnt 0x0
	ds_store_b128 v6, v[2:5]
	s_wait_dscnt 0x0
	s_barrier_signal -1
	s_barrier_wait -1
	v_cmpx_gt_u32_e32 21, v1
	s_cbranch_execz .LBB50_99
; %bb.96:
	v_dual_mov_b32 v10, v14 :: v_dual_add_nc_u32 v8, -1, v1
	v_mov_b64_e32 v[2:3], 0
	v_mov_b64_e32 v[4:5], 0
	v_add_nc_u32_e32 v9, 0x330, v14
	s_delay_alu instid0(VALU_DEP_4)
	v_or_b32_e32 v10, 8, v10
	s_mov_b32 s3, 0
.LBB50_97:                              ; =>This Inner Loop Header: Depth=1
	scratch_load_b128 v[16:19], v10, off offset:-8
	ds_load_b128 v[20:23], v9
	v_dual_add_nc_u32 v8, 1, v8 :: v_dual_add_nc_u32 v9, 16, v9
	s_wait_xcnt 0x0
	v_add_nc_u32_e32 v10, 16, v10
	s_delay_alu instid0(VALU_DEP_2) | instskip(SKIP_4) | instid1(VALU_DEP_2)
	v_cmp_lt_u32_e32 vcc_lo, 19, v8
	s_or_b32 s3, vcc_lo, s3
	s_wait_loadcnt_dscnt 0x0
	v_mul_f64_e32 v[12:13], v[22:23], v[18:19]
	v_mul_f64_e32 v[18:19], v[20:21], v[18:19]
	v_fma_f64 v[12:13], v[20:21], v[16:17], -v[12:13]
	s_delay_alu instid0(VALU_DEP_2) | instskip(NEXT) | instid1(VALU_DEP_2)
	v_fmac_f64_e32 v[18:19], v[22:23], v[16:17]
	v_add_f64_e32 v[4:5], v[4:5], v[12:13]
	s_delay_alu instid0(VALU_DEP_2)
	v_add_f64_e32 v[2:3], v[2:3], v[18:19]
	s_and_not1_b32 exec_lo, exec_lo, s3
	s_cbranch_execnz .LBB50_97
; %bb.98:
	s_or_b32 exec_lo, exec_lo, s3
	v_mov_b32_e32 v8, 0
	ds_load_b128 v[8:11], v8 offset:336
	s_wait_dscnt 0x0
	v_mul_f64_e32 v[16:17], v[2:3], v[10:11]
	v_mul_f64_e32 v[12:13], v[4:5], v[10:11]
	s_delay_alu instid0(VALU_DEP_2) | instskip(NEXT) | instid1(VALU_DEP_2)
	v_fma_f64 v[10:11], v[4:5], v[8:9], -v[16:17]
	v_fmac_f64_e32 v[12:13], v[2:3], v[8:9]
	scratch_store_b128 off, v[10:13], off offset:336
.LBB50_99:
	s_wait_xcnt 0x0
	s_or_b32 exec_lo, exec_lo, s2
	s_wait_storecnt 0x0
	s_barrier_signal -1
	s_barrier_wait -1
	scratch_load_b128 v[2:5], off, s44
	s_mov_b32 s2, exec_lo
	s_wait_loadcnt 0x0
	ds_store_b128 v6, v[2:5]
	s_wait_dscnt 0x0
	s_barrier_signal -1
	s_barrier_wait -1
	v_cmpx_gt_u32_e32 22, v1
	s_cbranch_execz .LBB50_103
; %bb.100:
	v_dual_mov_b32 v10, v14 :: v_dual_add_nc_u32 v8, -1, v1
	v_mov_b64_e32 v[2:3], 0
	v_mov_b64_e32 v[4:5], 0
	v_add_nc_u32_e32 v9, 0x330, v14
	s_delay_alu instid0(VALU_DEP_4)
	v_or_b32_e32 v10, 8, v10
	s_mov_b32 s3, 0
.LBB50_101:                             ; =>This Inner Loop Header: Depth=1
	scratch_load_b128 v[16:19], v10, off offset:-8
	ds_load_b128 v[20:23], v9
	v_dual_add_nc_u32 v8, 1, v8 :: v_dual_add_nc_u32 v9, 16, v9
	s_wait_xcnt 0x0
	v_add_nc_u32_e32 v10, 16, v10
	s_delay_alu instid0(VALU_DEP_2) | instskip(SKIP_4) | instid1(VALU_DEP_2)
	v_cmp_lt_u32_e32 vcc_lo, 20, v8
	s_or_b32 s3, vcc_lo, s3
	s_wait_loadcnt_dscnt 0x0
	v_mul_f64_e32 v[12:13], v[22:23], v[18:19]
	v_mul_f64_e32 v[18:19], v[20:21], v[18:19]
	v_fma_f64 v[12:13], v[20:21], v[16:17], -v[12:13]
	s_delay_alu instid0(VALU_DEP_2) | instskip(NEXT) | instid1(VALU_DEP_2)
	v_fmac_f64_e32 v[18:19], v[22:23], v[16:17]
	v_add_f64_e32 v[4:5], v[4:5], v[12:13]
	s_delay_alu instid0(VALU_DEP_2)
	v_add_f64_e32 v[2:3], v[2:3], v[18:19]
	s_and_not1_b32 exec_lo, exec_lo, s3
	s_cbranch_execnz .LBB50_101
; %bb.102:
	s_or_b32 exec_lo, exec_lo, s3
	v_mov_b32_e32 v8, 0
	ds_load_b128 v[8:11], v8 offset:352
	s_wait_dscnt 0x0
	v_mul_f64_e32 v[16:17], v[2:3], v[10:11]
	v_mul_f64_e32 v[12:13], v[4:5], v[10:11]
	s_delay_alu instid0(VALU_DEP_2) | instskip(NEXT) | instid1(VALU_DEP_2)
	v_fma_f64 v[10:11], v[4:5], v[8:9], -v[16:17]
	v_fmac_f64_e32 v[12:13], v[2:3], v[8:9]
	scratch_store_b128 off, v[10:13], off offset:352
.LBB50_103:
	s_wait_xcnt 0x0
	s_or_b32 exec_lo, exec_lo, s2
	s_wait_storecnt 0x0
	s_barrier_signal -1
	s_barrier_wait -1
	scratch_load_b128 v[2:5], off, s39
	s_mov_b32 s2, exec_lo
	s_wait_loadcnt 0x0
	ds_store_b128 v6, v[2:5]
	s_wait_dscnt 0x0
	s_barrier_signal -1
	s_barrier_wait -1
	v_cmpx_gt_u32_e32 23, v1
	s_cbranch_execz .LBB50_107
; %bb.104:
	v_dual_mov_b32 v10, v14 :: v_dual_add_nc_u32 v8, -1, v1
	v_mov_b64_e32 v[2:3], 0
	v_mov_b64_e32 v[4:5], 0
	v_add_nc_u32_e32 v9, 0x330, v14
	s_delay_alu instid0(VALU_DEP_4)
	v_or_b32_e32 v10, 8, v10
	s_mov_b32 s3, 0
.LBB50_105:                             ; =>This Inner Loop Header: Depth=1
	scratch_load_b128 v[16:19], v10, off offset:-8
	ds_load_b128 v[20:23], v9
	v_dual_add_nc_u32 v8, 1, v8 :: v_dual_add_nc_u32 v9, 16, v9
	s_wait_xcnt 0x0
	v_add_nc_u32_e32 v10, 16, v10
	s_delay_alu instid0(VALU_DEP_2) | instskip(SKIP_4) | instid1(VALU_DEP_2)
	v_cmp_lt_u32_e32 vcc_lo, 21, v8
	s_or_b32 s3, vcc_lo, s3
	s_wait_loadcnt_dscnt 0x0
	v_mul_f64_e32 v[12:13], v[22:23], v[18:19]
	v_mul_f64_e32 v[18:19], v[20:21], v[18:19]
	v_fma_f64 v[12:13], v[20:21], v[16:17], -v[12:13]
	s_delay_alu instid0(VALU_DEP_2) | instskip(NEXT) | instid1(VALU_DEP_2)
	v_fmac_f64_e32 v[18:19], v[22:23], v[16:17]
	v_add_f64_e32 v[4:5], v[4:5], v[12:13]
	s_delay_alu instid0(VALU_DEP_2)
	v_add_f64_e32 v[2:3], v[2:3], v[18:19]
	s_and_not1_b32 exec_lo, exec_lo, s3
	s_cbranch_execnz .LBB50_105
; %bb.106:
	s_or_b32 exec_lo, exec_lo, s3
	v_mov_b32_e32 v8, 0
	ds_load_b128 v[8:11], v8 offset:368
	s_wait_dscnt 0x0
	v_mul_f64_e32 v[16:17], v[2:3], v[10:11]
	v_mul_f64_e32 v[12:13], v[4:5], v[10:11]
	s_delay_alu instid0(VALU_DEP_2) | instskip(NEXT) | instid1(VALU_DEP_2)
	v_fma_f64 v[10:11], v[4:5], v[8:9], -v[16:17]
	v_fmac_f64_e32 v[12:13], v[2:3], v[8:9]
	scratch_store_b128 off, v[10:13], off offset:368
.LBB50_107:
	s_wait_xcnt 0x0
	s_or_b32 exec_lo, exec_lo, s2
	s_wait_storecnt 0x0
	s_barrier_signal -1
	s_barrier_wait -1
	scratch_load_b128 v[2:5], off, s40
	;; [unrolled: 54-line block ×28, first 2 shown]
	s_mov_b32 s2, exec_lo
	s_wait_loadcnt 0x0
	ds_store_b128 v6, v[2:5]
	s_wait_dscnt 0x0
	s_barrier_signal -1
	s_barrier_wait -1
	v_cmpx_ne_u32_e32 50, v1
	s_cbranch_execz .LBB50_215
; %bb.212:
	v_mov_b32_e32 v8, v14
	v_mov_b64_e32 v[2:3], 0
	v_mov_b64_e32 v[4:5], 0
	s_mov_b32 s3, 0
	s_delay_alu instid0(VALU_DEP_3)
	v_or_b32_e32 v8, 8, v8
.LBB50_213:                             ; =>This Inner Loop Header: Depth=1
	scratch_load_b128 v[10:13], v8, off offset:-8
	ds_load_b128 v[14:17], v6
	v_dual_add_nc_u32 v7, 1, v7 :: v_dual_add_nc_u32 v6, 16, v6
	s_wait_xcnt 0x0
	v_add_nc_u32_e32 v8, 16, v8
	s_delay_alu instid0(VALU_DEP_2) | instskip(SKIP_4) | instid1(VALU_DEP_2)
	v_cmp_lt_u32_e32 vcc_lo, 48, v7
	s_or_b32 s3, vcc_lo, s3
	s_wait_loadcnt_dscnt 0x0
	v_mul_f64_e32 v[18:19], v[16:17], v[12:13]
	v_mul_f64_e32 v[12:13], v[14:15], v[12:13]
	v_fma_f64 v[14:15], v[14:15], v[10:11], -v[18:19]
	s_delay_alu instid0(VALU_DEP_2) | instskip(NEXT) | instid1(VALU_DEP_2)
	v_fmac_f64_e32 v[12:13], v[16:17], v[10:11]
	v_add_f64_e32 v[4:5], v[4:5], v[14:15]
	s_delay_alu instid0(VALU_DEP_2)
	v_add_f64_e32 v[2:3], v[2:3], v[12:13]
	s_and_not1_b32 exec_lo, exec_lo, s3
	s_cbranch_execnz .LBB50_213
; %bb.214:
	s_or_b32 exec_lo, exec_lo, s3
	v_mov_b32_e32 v6, 0
	ds_load_b128 v[6:9], v6 offset:800
	s_wait_dscnt 0x0
	v_mul_f64_e32 v[12:13], v[2:3], v[8:9]
	v_mul_f64_e32 v[10:11], v[4:5], v[8:9]
	s_delay_alu instid0(VALU_DEP_2) | instskip(NEXT) | instid1(VALU_DEP_2)
	v_fma_f64 v[8:9], v[4:5], v[6:7], -v[12:13]
	v_fmac_f64_e32 v[10:11], v[2:3], v[6:7]
	scratch_store_b128 off, v[8:11], off offset:800
.LBB50_215:
	s_wait_xcnt 0x0
	s_or_b32 exec_lo, exec_lo, s2
	s_mov_b32 s3, -1
	s_wait_storecnt 0x0
	s_barrier_signal -1
	s_barrier_wait -1
.LBB50_216:
	s_and_b32 vcc_lo, exec_lo, s3
	s_cbranch_vccz .LBB50_218
; %bb.217:
	s_wait_xcnt 0x0
	v_mov_b32_e32 v2, 0
	s_lshl_b64 s[2:3], s[18:19], 2
	s_delay_alu instid0(SALU_CYCLE_1)
	s_add_nc_u64 s[2:3], s[6:7], s[2:3]
	global_load_b32 v2, v2, s[2:3]
	s_wait_loadcnt 0x0
	v_cmp_ne_u32_e32 vcc_lo, 0, v2
	s_cbranch_vccz .LBB50_219
.LBB50_218:
	s_sendmsg sendmsg(MSG_DEALLOC_VGPRS)
	s_endpgm
.LBB50_219:
	v_lshl_add_u32 v126, v1, 4, 0x330
	s_wait_xcnt 0x0
	s_mov_b32 s2, exec_lo
	v_cmpx_eq_u32_e32 50, v1
	s_cbranch_execz .LBB50_221
; %bb.220:
	scratch_load_b128 v[2:5], off, s14
	v_mov_b32_e32 v6, 0
	s_delay_alu instid0(VALU_DEP_1)
	v_dual_mov_b32 v7, v6 :: v_dual_mov_b32 v8, v6
	v_mov_b32_e32 v9, v6
	scratch_store_b128 off, v[6:9], off offset:784
	s_wait_loadcnt 0x0
	ds_store_b128 v126, v[2:5]
.LBB50_221:
	s_wait_xcnt 0x0
	s_or_b32 exec_lo, exec_lo, s2
	s_wait_storecnt_dscnt 0x0
	s_barrier_signal -1
	s_barrier_wait -1
	s_clause 0x1
	scratch_load_b128 v[4:7], off, off offset:800
	scratch_load_b128 v[8:11], off, off offset:784
	v_mov_b32_e32 v2, 0
	s_mov_b32 s2, exec_lo
	ds_load_b128 v[12:15], v2 offset:1616
	s_wait_loadcnt_dscnt 0x100
	v_mul_f64_e32 v[16:17], v[14:15], v[6:7]
	v_mul_f64_e32 v[6:7], v[12:13], v[6:7]
	s_delay_alu instid0(VALU_DEP_2) | instskip(NEXT) | instid1(VALU_DEP_2)
	v_fma_f64 v[12:13], v[12:13], v[4:5], -v[16:17]
	v_fmac_f64_e32 v[6:7], v[14:15], v[4:5]
	s_delay_alu instid0(VALU_DEP_2) | instskip(NEXT) | instid1(VALU_DEP_2)
	v_add_f64_e32 v[4:5], 0, v[12:13]
	v_add_f64_e32 v[6:7], 0, v[6:7]
	s_wait_loadcnt 0x0
	s_delay_alu instid0(VALU_DEP_2) | instskip(NEXT) | instid1(VALU_DEP_2)
	v_add_f64_e64 v[4:5], v[8:9], -v[4:5]
	v_add_f64_e64 v[6:7], v[10:11], -v[6:7]
	scratch_store_b128 off, v[4:7], off offset:784
	s_wait_xcnt 0x0
	v_cmpx_lt_u32_e32 48, v1
	s_cbranch_execz .LBB50_223
; %bb.222:
	scratch_load_b128 v[6:9], off, s23
	v_dual_mov_b32 v3, v2 :: v_dual_mov_b32 v4, v2
	v_mov_b32_e32 v5, v2
	scratch_store_b128 off, v[2:5], off offset:768
	s_wait_loadcnt 0x0
	ds_store_b128 v126, v[6:9]
.LBB50_223:
	s_wait_xcnt 0x0
	s_or_b32 exec_lo, exec_lo, s2
	s_wait_storecnt_dscnt 0x0
	s_barrier_signal -1
	s_barrier_wait -1
	s_clause 0x2
	scratch_load_b128 v[4:7], off, off offset:784
	scratch_load_b128 v[8:11], off, off offset:800
	;; [unrolled: 1-line block ×3, first 2 shown]
	ds_load_b128 v[16:19], v2 offset:1600
	ds_load_b128 v[20:23], v2 offset:1616
	s_mov_b32 s2, exec_lo
	s_wait_loadcnt_dscnt 0x201
	v_mul_f64_e32 v[2:3], v[18:19], v[6:7]
	v_mul_f64_e32 v[6:7], v[16:17], v[6:7]
	s_wait_loadcnt_dscnt 0x100
	v_mul_f64_e32 v[128:129], v[20:21], v[10:11]
	v_mul_f64_e32 v[10:11], v[22:23], v[10:11]
	s_delay_alu instid0(VALU_DEP_4) | instskip(NEXT) | instid1(VALU_DEP_4)
	v_fma_f64 v[2:3], v[16:17], v[4:5], -v[2:3]
	v_fmac_f64_e32 v[6:7], v[18:19], v[4:5]
	s_delay_alu instid0(VALU_DEP_4) | instskip(NEXT) | instid1(VALU_DEP_4)
	v_fmac_f64_e32 v[128:129], v[22:23], v[8:9]
	v_fma_f64 v[4:5], v[20:21], v[8:9], -v[10:11]
	s_delay_alu instid0(VALU_DEP_4) | instskip(NEXT) | instid1(VALU_DEP_4)
	v_add_f64_e32 v[2:3], 0, v[2:3]
	v_add_f64_e32 v[6:7], 0, v[6:7]
	s_delay_alu instid0(VALU_DEP_2) | instskip(NEXT) | instid1(VALU_DEP_2)
	v_add_f64_e32 v[2:3], v[2:3], v[4:5]
	v_add_f64_e32 v[4:5], v[6:7], v[128:129]
	s_wait_loadcnt 0x0
	s_delay_alu instid0(VALU_DEP_2) | instskip(NEXT) | instid1(VALU_DEP_2)
	v_add_f64_e64 v[2:3], v[12:13], -v[2:3]
	v_add_f64_e64 v[4:5], v[14:15], -v[4:5]
	scratch_store_b128 off, v[2:5], off offset:768
	s_wait_xcnt 0x0
	v_cmpx_lt_u32_e32 47, v1
	s_cbranch_execz .LBB50_225
; %bb.224:
	scratch_load_b128 v[2:5], off, s8
	v_mov_b32_e32 v6, 0
	s_delay_alu instid0(VALU_DEP_1)
	v_dual_mov_b32 v7, v6 :: v_dual_mov_b32 v8, v6
	v_mov_b32_e32 v9, v6
	scratch_store_b128 off, v[6:9], off offset:752
	s_wait_loadcnt 0x0
	ds_store_b128 v126, v[2:5]
.LBB50_225:
	s_wait_xcnt 0x0
	s_or_b32 exec_lo, exec_lo, s2
	s_wait_storecnt_dscnt 0x0
	s_barrier_signal -1
	s_barrier_wait -1
	s_clause 0x3
	scratch_load_b128 v[4:7], off, off offset:768
	scratch_load_b128 v[8:11], off, off offset:784
	;; [unrolled: 1-line block ×4, first 2 shown]
	v_mov_b32_e32 v2, 0
	ds_load_b128 v[20:23], v2 offset:1584
	ds_load_b128 v[128:131], v2 offset:1600
	s_mov_b32 s2, exec_lo
	s_wait_loadcnt_dscnt 0x301
	v_mul_f64_e32 v[132:133], v[22:23], v[6:7]
	v_mul_f64_e32 v[134:135], v[20:21], v[6:7]
	s_wait_loadcnt_dscnt 0x200
	v_mul_f64_e32 v[136:137], v[128:129], v[10:11]
	v_mul_f64_e32 v[10:11], v[130:131], v[10:11]
	s_delay_alu instid0(VALU_DEP_4) | instskip(NEXT) | instid1(VALU_DEP_4)
	v_fma_f64 v[20:21], v[20:21], v[4:5], -v[132:133]
	v_fmac_f64_e32 v[134:135], v[22:23], v[4:5]
	ds_load_b128 v[4:7], v2 offset:1616
	v_fmac_f64_e32 v[136:137], v[130:131], v[8:9]
	v_fma_f64 v[8:9], v[128:129], v[8:9], -v[10:11]
	s_wait_loadcnt_dscnt 0x100
	v_mul_f64_e32 v[22:23], v[4:5], v[14:15]
	v_mul_f64_e32 v[14:15], v[6:7], v[14:15]
	v_add_f64_e32 v[10:11], 0, v[20:21]
	v_add_f64_e32 v[20:21], 0, v[134:135]
	s_delay_alu instid0(VALU_DEP_4) | instskip(NEXT) | instid1(VALU_DEP_4)
	v_fmac_f64_e32 v[22:23], v[6:7], v[12:13]
	v_fma_f64 v[4:5], v[4:5], v[12:13], -v[14:15]
	s_delay_alu instid0(VALU_DEP_4) | instskip(NEXT) | instid1(VALU_DEP_4)
	v_add_f64_e32 v[6:7], v[10:11], v[8:9]
	v_add_f64_e32 v[8:9], v[20:21], v[136:137]
	s_delay_alu instid0(VALU_DEP_2) | instskip(NEXT) | instid1(VALU_DEP_2)
	v_add_f64_e32 v[4:5], v[6:7], v[4:5]
	v_add_f64_e32 v[6:7], v[8:9], v[22:23]
	s_wait_loadcnt 0x0
	s_delay_alu instid0(VALU_DEP_2) | instskip(NEXT) | instid1(VALU_DEP_2)
	v_add_f64_e64 v[4:5], v[16:17], -v[4:5]
	v_add_f64_e64 v[6:7], v[18:19], -v[6:7]
	scratch_store_b128 off, v[4:7], off offset:752
	s_wait_xcnt 0x0
	v_cmpx_lt_u32_e32 46, v1
	s_cbranch_execz .LBB50_227
; %bb.226:
	scratch_load_b128 v[6:9], off, s10
	v_dual_mov_b32 v3, v2 :: v_dual_mov_b32 v4, v2
	v_mov_b32_e32 v5, v2
	scratch_store_b128 off, v[2:5], off offset:736
	s_wait_loadcnt 0x0
	ds_store_b128 v126, v[6:9]
.LBB50_227:
	s_wait_xcnt 0x0
	s_or_b32 exec_lo, exec_lo, s2
	s_wait_storecnt_dscnt 0x0
	s_barrier_signal -1
	s_barrier_wait -1
	s_clause 0x4
	scratch_load_b128 v[4:7], off, off offset:752
	scratch_load_b128 v[8:11], off, off offset:768
	;; [unrolled: 1-line block ×5, first 2 shown]
	ds_load_b128 v[128:131], v2 offset:1568
	ds_load_b128 v[132:135], v2 offset:1584
	s_mov_b32 s2, exec_lo
	s_wait_loadcnt_dscnt 0x401
	v_mul_f64_e32 v[136:137], v[130:131], v[6:7]
	v_mul_f64_e32 v[138:139], v[128:129], v[6:7]
	s_wait_loadcnt_dscnt 0x300
	v_mul_f64_e32 v[140:141], v[132:133], v[10:11]
	v_mul_f64_e32 v[10:11], v[134:135], v[10:11]
	s_delay_alu instid0(VALU_DEP_4) | instskip(NEXT) | instid1(VALU_DEP_4)
	v_fma_f64 v[136:137], v[128:129], v[4:5], -v[136:137]
	v_fmac_f64_e32 v[138:139], v[130:131], v[4:5]
	ds_load_b128 v[4:7], v2 offset:1600
	ds_load_b128 v[128:131], v2 offset:1616
	v_fmac_f64_e32 v[140:141], v[134:135], v[8:9]
	v_fma_f64 v[8:9], v[132:133], v[8:9], -v[10:11]
	s_wait_loadcnt_dscnt 0x201
	v_mul_f64_e32 v[2:3], v[4:5], v[14:15]
	v_mul_f64_e32 v[14:15], v[6:7], v[14:15]
	s_wait_loadcnt_dscnt 0x100
	v_mul_f64_e32 v[134:135], v[128:129], v[18:19]
	v_mul_f64_e32 v[18:19], v[130:131], v[18:19]
	v_add_f64_e32 v[10:11], 0, v[136:137]
	v_add_f64_e32 v[132:133], 0, v[138:139]
	v_fmac_f64_e32 v[2:3], v[6:7], v[12:13]
	v_fma_f64 v[4:5], v[4:5], v[12:13], -v[14:15]
	v_fmac_f64_e32 v[134:135], v[130:131], v[16:17]
	v_add_f64_e32 v[6:7], v[10:11], v[8:9]
	v_add_f64_e32 v[8:9], v[132:133], v[140:141]
	v_fma_f64 v[10:11], v[128:129], v[16:17], -v[18:19]
	s_delay_alu instid0(VALU_DEP_3) | instskip(NEXT) | instid1(VALU_DEP_3)
	v_add_f64_e32 v[4:5], v[6:7], v[4:5]
	v_add_f64_e32 v[2:3], v[8:9], v[2:3]
	s_delay_alu instid0(VALU_DEP_2) | instskip(NEXT) | instid1(VALU_DEP_2)
	v_add_f64_e32 v[4:5], v[4:5], v[10:11]
	v_add_f64_e32 v[6:7], v[2:3], v[134:135]
	s_wait_loadcnt 0x0
	s_delay_alu instid0(VALU_DEP_2) | instskip(NEXT) | instid1(VALU_DEP_2)
	v_add_f64_e64 v[2:3], v[20:21], -v[4:5]
	v_add_f64_e64 v[4:5], v[22:23], -v[6:7]
	scratch_store_b128 off, v[2:5], off offset:736
	s_wait_xcnt 0x0
	v_cmpx_lt_u32_e32 45, v1
	s_cbranch_execz .LBB50_229
; %bb.228:
	scratch_load_b128 v[2:5], off, s9
	v_mov_b32_e32 v6, 0
	s_delay_alu instid0(VALU_DEP_1)
	v_dual_mov_b32 v7, v6 :: v_dual_mov_b32 v8, v6
	v_mov_b32_e32 v9, v6
	scratch_store_b128 off, v[6:9], off offset:720
	s_wait_loadcnt 0x0
	ds_store_b128 v126, v[2:5]
.LBB50_229:
	s_wait_xcnt 0x0
	s_or_b32 exec_lo, exec_lo, s2
	s_wait_storecnt_dscnt 0x0
	s_barrier_signal -1
	s_barrier_wait -1
	s_clause 0x5
	scratch_load_b128 v[4:7], off, off offset:736
	scratch_load_b128 v[8:11], off, off offset:752
	;; [unrolled: 1-line block ×6, first 2 shown]
	v_mov_b32_e32 v2, 0
	ds_load_b128 v[132:135], v2 offset:1552
	ds_load_b128 v[136:139], v2 offset:1568
	s_mov_b32 s2, exec_lo
	s_wait_loadcnt_dscnt 0x501
	v_mul_f64_e32 v[140:141], v[134:135], v[6:7]
	v_mul_f64_e32 v[142:143], v[132:133], v[6:7]
	s_wait_loadcnt_dscnt 0x400
	v_mul_f64_e32 v[144:145], v[136:137], v[10:11]
	v_mul_f64_e32 v[10:11], v[138:139], v[10:11]
	s_delay_alu instid0(VALU_DEP_4) | instskip(NEXT) | instid1(VALU_DEP_4)
	v_fma_f64 v[140:141], v[132:133], v[4:5], -v[140:141]
	v_fmac_f64_e32 v[142:143], v[134:135], v[4:5]
	ds_load_b128 v[4:7], v2 offset:1584
	ds_load_b128 v[132:135], v2 offset:1600
	v_fmac_f64_e32 v[144:145], v[138:139], v[8:9]
	v_fma_f64 v[8:9], v[136:137], v[8:9], -v[10:11]
	s_wait_loadcnt_dscnt 0x301
	v_mul_f64_e32 v[146:147], v[4:5], v[14:15]
	v_mul_f64_e32 v[14:15], v[6:7], v[14:15]
	s_wait_loadcnt_dscnt 0x200
	v_mul_f64_e32 v[138:139], v[132:133], v[18:19]
	v_mul_f64_e32 v[18:19], v[134:135], v[18:19]
	v_add_f64_e32 v[10:11], 0, v[140:141]
	v_add_f64_e32 v[136:137], 0, v[142:143]
	v_fmac_f64_e32 v[146:147], v[6:7], v[12:13]
	v_fma_f64 v[12:13], v[4:5], v[12:13], -v[14:15]
	ds_load_b128 v[4:7], v2 offset:1616
	v_fmac_f64_e32 v[138:139], v[134:135], v[16:17]
	v_fma_f64 v[16:17], v[132:133], v[16:17], -v[18:19]
	v_add_f64_e32 v[8:9], v[10:11], v[8:9]
	v_add_f64_e32 v[10:11], v[136:137], v[144:145]
	s_wait_loadcnt_dscnt 0x100
	v_mul_f64_e32 v[14:15], v[4:5], v[22:23]
	v_mul_f64_e32 v[22:23], v[6:7], v[22:23]
	s_delay_alu instid0(VALU_DEP_4) | instskip(NEXT) | instid1(VALU_DEP_4)
	v_add_f64_e32 v[8:9], v[8:9], v[12:13]
	v_add_f64_e32 v[10:11], v[10:11], v[146:147]
	s_delay_alu instid0(VALU_DEP_4) | instskip(NEXT) | instid1(VALU_DEP_4)
	v_fmac_f64_e32 v[14:15], v[6:7], v[20:21]
	v_fma_f64 v[4:5], v[4:5], v[20:21], -v[22:23]
	s_delay_alu instid0(VALU_DEP_4) | instskip(NEXT) | instid1(VALU_DEP_4)
	v_add_f64_e32 v[6:7], v[8:9], v[16:17]
	v_add_f64_e32 v[8:9], v[10:11], v[138:139]
	s_delay_alu instid0(VALU_DEP_2) | instskip(NEXT) | instid1(VALU_DEP_2)
	v_add_f64_e32 v[4:5], v[6:7], v[4:5]
	v_add_f64_e32 v[6:7], v[8:9], v[14:15]
	s_wait_loadcnt 0x0
	s_delay_alu instid0(VALU_DEP_2) | instskip(NEXT) | instid1(VALU_DEP_2)
	v_add_f64_e64 v[4:5], v[128:129], -v[4:5]
	v_add_f64_e64 v[6:7], v[130:131], -v[6:7]
	scratch_store_b128 off, v[4:7], off offset:720
	s_wait_xcnt 0x0
	v_cmpx_lt_u32_e32 44, v1
	s_cbranch_execz .LBB50_231
; %bb.230:
	scratch_load_b128 v[6:9], off, s12
	v_dual_mov_b32 v3, v2 :: v_dual_mov_b32 v4, v2
	v_mov_b32_e32 v5, v2
	scratch_store_b128 off, v[2:5], off offset:704
	s_wait_loadcnt 0x0
	ds_store_b128 v126, v[6:9]
.LBB50_231:
	s_wait_xcnt 0x0
	s_or_b32 exec_lo, exec_lo, s2
	s_wait_storecnt_dscnt 0x0
	s_barrier_signal -1
	s_barrier_wait -1
	s_clause 0x6
	scratch_load_b128 v[4:7], off, off offset:720
	scratch_load_b128 v[8:11], off, off offset:736
	;; [unrolled: 1-line block ×7, first 2 shown]
	ds_load_b128 v[136:139], v2 offset:1536
	ds_load_b128 v[140:143], v2 offset:1552
	s_mov_b32 s2, exec_lo
	s_wait_loadcnt_dscnt 0x601
	v_mul_f64_e32 v[144:145], v[138:139], v[6:7]
	v_mul_f64_e32 v[146:147], v[136:137], v[6:7]
	s_wait_loadcnt_dscnt 0x500
	v_mul_f64_e32 v[148:149], v[140:141], v[10:11]
	v_mul_f64_e32 v[10:11], v[142:143], v[10:11]
	s_delay_alu instid0(VALU_DEP_4) | instskip(NEXT) | instid1(VALU_DEP_4)
	v_fma_f64 v[144:145], v[136:137], v[4:5], -v[144:145]
	v_fmac_f64_e32 v[146:147], v[138:139], v[4:5]
	ds_load_b128 v[4:7], v2 offset:1568
	ds_load_b128 v[136:139], v2 offset:1584
	v_fmac_f64_e32 v[148:149], v[142:143], v[8:9]
	v_fma_f64 v[8:9], v[140:141], v[8:9], -v[10:11]
	s_wait_loadcnt_dscnt 0x401
	v_mul_f64_e32 v[150:151], v[4:5], v[14:15]
	v_mul_f64_e32 v[14:15], v[6:7], v[14:15]
	s_wait_loadcnt_dscnt 0x300
	v_mul_f64_e32 v[142:143], v[136:137], v[18:19]
	v_mul_f64_e32 v[18:19], v[138:139], v[18:19]
	v_add_f64_e32 v[10:11], 0, v[144:145]
	v_add_f64_e32 v[140:141], 0, v[146:147]
	v_fmac_f64_e32 v[150:151], v[6:7], v[12:13]
	v_fma_f64 v[12:13], v[4:5], v[12:13], -v[14:15]
	v_fmac_f64_e32 v[142:143], v[138:139], v[16:17]
	v_fma_f64 v[16:17], v[136:137], v[16:17], -v[18:19]
	v_add_f64_e32 v[14:15], v[10:11], v[8:9]
	v_add_f64_e32 v[140:141], v[140:141], v[148:149]
	ds_load_b128 v[4:7], v2 offset:1600
	ds_load_b128 v[8:11], v2 offset:1616
	s_wait_loadcnt_dscnt 0x201
	v_mul_f64_e32 v[2:3], v[4:5], v[22:23]
	v_mul_f64_e32 v[22:23], v[6:7], v[22:23]
	s_wait_loadcnt_dscnt 0x100
	v_mul_f64_e32 v[18:19], v[8:9], v[130:131]
	v_mul_f64_e32 v[130:131], v[10:11], v[130:131]
	v_add_f64_e32 v[12:13], v[14:15], v[12:13]
	v_add_f64_e32 v[14:15], v[140:141], v[150:151]
	v_fmac_f64_e32 v[2:3], v[6:7], v[20:21]
	v_fma_f64 v[4:5], v[4:5], v[20:21], -v[22:23]
	v_fmac_f64_e32 v[18:19], v[10:11], v[128:129]
	v_fma_f64 v[8:9], v[8:9], v[128:129], -v[130:131]
	v_add_f64_e32 v[6:7], v[12:13], v[16:17]
	v_add_f64_e32 v[12:13], v[14:15], v[142:143]
	s_delay_alu instid0(VALU_DEP_2) | instskip(NEXT) | instid1(VALU_DEP_2)
	v_add_f64_e32 v[4:5], v[6:7], v[4:5]
	v_add_f64_e32 v[2:3], v[12:13], v[2:3]
	s_delay_alu instid0(VALU_DEP_2) | instskip(NEXT) | instid1(VALU_DEP_2)
	v_add_f64_e32 v[4:5], v[4:5], v[8:9]
	v_add_f64_e32 v[6:7], v[2:3], v[18:19]
	s_wait_loadcnt 0x0
	s_delay_alu instid0(VALU_DEP_2) | instskip(NEXT) | instid1(VALU_DEP_2)
	v_add_f64_e64 v[2:3], v[132:133], -v[4:5]
	v_add_f64_e64 v[4:5], v[134:135], -v[6:7]
	scratch_store_b128 off, v[2:5], off offset:704
	s_wait_xcnt 0x0
	v_cmpx_lt_u32_e32 43, v1
	s_cbranch_execz .LBB50_233
; %bb.232:
	scratch_load_b128 v[2:5], off, s11
	v_mov_b32_e32 v6, 0
	s_delay_alu instid0(VALU_DEP_1)
	v_dual_mov_b32 v7, v6 :: v_dual_mov_b32 v8, v6
	v_mov_b32_e32 v9, v6
	scratch_store_b128 off, v[6:9], off offset:688
	s_wait_loadcnt 0x0
	ds_store_b128 v126, v[2:5]
.LBB50_233:
	s_wait_xcnt 0x0
	s_or_b32 exec_lo, exec_lo, s2
	s_wait_storecnt_dscnt 0x0
	s_barrier_signal -1
	s_barrier_wait -1
	s_clause 0x7
	scratch_load_b128 v[4:7], off, off offset:704
	scratch_load_b128 v[8:11], off, off offset:720
	;; [unrolled: 1-line block ×8, first 2 shown]
	v_mov_b32_e32 v2, 0
	ds_load_b128 v[140:143], v2 offset:1520
	ds_load_b128 v[144:147], v2 offset:1536
	s_mov_b32 s2, exec_lo
	s_wait_loadcnt_dscnt 0x701
	v_mul_f64_e32 v[148:149], v[142:143], v[6:7]
	v_mul_f64_e32 v[150:151], v[140:141], v[6:7]
	s_wait_loadcnt_dscnt 0x600
	v_mul_f64_e32 v[152:153], v[144:145], v[10:11]
	v_mul_f64_e32 v[10:11], v[146:147], v[10:11]
	s_delay_alu instid0(VALU_DEP_4) | instskip(NEXT) | instid1(VALU_DEP_4)
	v_fma_f64 v[148:149], v[140:141], v[4:5], -v[148:149]
	v_fmac_f64_e32 v[150:151], v[142:143], v[4:5]
	ds_load_b128 v[4:7], v2 offset:1552
	ds_load_b128 v[140:143], v2 offset:1568
	v_fmac_f64_e32 v[152:153], v[146:147], v[8:9]
	v_fma_f64 v[8:9], v[144:145], v[8:9], -v[10:11]
	s_wait_loadcnt_dscnt 0x501
	v_mul_f64_e32 v[154:155], v[4:5], v[14:15]
	v_mul_f64_e32 v[14:15], v[6:7], v[14:15]
	s_wait_loadcnt_dscnt 0x400
	v_mul_f64_e32 v[146:147], v[140:141], v[18:19]
	v_mul_f64_e32 v[18:19], v[142:143], v[18:19]
	v_add_f64_e32 v[10:11], 0, v[148:149]
	v_add_f64_e32 v[144:145], 0, v[150:151]
	v_fmac_f64_e32 v[154:155], v[6:7], v[12:13]
	v_fma_f64 v[12:13], v[4:5], v[12:13], -v[14:15]
	v_fmac_f64_e32 v[146:147], v[142:143], v[16:17]
	v_fma_f64 v[16:17], v[140:141], v[16:17], -v[18:19]
	v_add_f64_e32 v[14:15], v[10:11], v[8:9]
	v_add_f64_e32 v[144:145], v[144:145], v[152:153]
	ds_load_b128 v[4:7], v2 offset:1584
	ds_load_b128 v[8:11], v2 offset:1600
	s_wait_loadcnt_dscnt 0x301
	v_mul_f64_e32 v[148:149], v[4:5], v[22:23]
	v_mul_f64_e32 v[22:23], v[6:7], v[22:23]
	s_wait_loadcnt_dscnt 0x200
	v_mul_f64_e32 v[18:19], v[8:9], v[130:131]
	v_mul_f64_e32 v[130:131], v[10:11], v[130:131]
	v_add_f64_e32 v[12:13], v[14:15], v[12:13]
	v_add_f64_e32 v[14:15], v[144:145], v[154:155]
	v_fmac_f64_e32 v[148:149], v[6:7], v[20:21]
	v_fma_f64 v[20:21], v[4:5], v[20:21], -v[22:23]
	ds_load_b128 v[4:7], v2 offset:1616
	v_fmac_f64_e32 v[18:19], v[10:11], v[128:129]
	v_fma_f64 v[8:9], v[8:9], v[128:129], -v[130:131]
	v_add_f64_e32 v[12:13], v[12:13], v[16:17]
	v_add_f64_e32 v[14:15], v[14:15], v[146:147]
	s_wait_loadcnt_dscnt 0x100
	v_mul_f64_e32 v[16:17], v[4:5], v[134:135]
	v_mul_f64_e32 v[22:23], v[6:7], v[134:135]
	s_delay_alu instid0(VALU_DEP_4) | instskip(NEXT) | instid1(VALU_DEP_4)
	v_add_f64_e32 v[10:11], v[12:13], v[20:21]
	v_add_f64_e32 v[12:13], v[14:15], v[148:149]
	s_delay_alu instid0(VALU_DEP_4) | instskip(NEXT) | instid1(VALU_DEP_4)
	v_fmac_f64_e32 v[16:17], v[6:7], v[132:133]
	v_fma_f64 v[4:5], v[4:5], v[132:133], -v[22:23]
	s_delay_alu instid0(VALU_DEP_4) | instskip(NEXT) | instid1(VALU_DEP_4)
	v_add_f64_e32 v[6:7], v[10:11], v[8:9]
	v_add_f64_e32 v[8:9], v[12:13], v[18:19]
	s_delay_alu instid0(VALU_DEP_2) | instskip(NEXT) | instid1(VALU_DEP_2)
	v_add_f64_e32 v[4:5], v[6:7], v[4:5]
	v_add_f64_e32 v[6:7], v[8:9], v[16:17]
	s_wait_loadcnt 0x0
	s_delay_alu instid0(VALU_DEP_2) | instskip(NEXT) | instid1(VALU_DEP_2)
	v_add_f64_e64 v[4:5], v[136:137], -v[4:5]
	v_add_f64_e64 v[6:7], v[138:139], -v[6:7]
	scratch_store_b128 off, v[4:7], off offset:688
	s_wait_xcnt 0x0
	v_cmpx_lt_u32_e32 42, v1
	s_cbranch_execz .LBB50_235
; %bb.234:
	scratch_load_b128 v[6:9], off, s15
	v_dual_mov_b32 v3, v2 :: v_dual_mov_b32 v4, v2
	v_mov_b32_e32 v5, v2
	scratch_store_b128 off, v[2:5], off offset:672
	s_wait_loadcnt 0x0
	ds_store_b128 v126, v[6:9]
.LBB50_235:
	s_wait_xcnt 0x0
	s_or_b32 exec_lo, exec_lo, s2
	s_wait_storecnt_dscnt 0x0
	s_barrier_signal -1
	s_barrier_wait -1
	s_clause 0x7
	scratch_load_b128 v[4:7], off, off offset:688
	scratch_load_b128 v[8:11], off, off offset:704
	scratch_load_b128 v[12:15], off, off offset:720
	scratch_load_b128 v[16:19], off, off offset:736
	scratch_load_b128 v[20:23], off, off offset:752
	scratch_load_b128 v[128:131], off, off offset:768
	scratch_load_b128 v[132:135], off, off offset:784
	scratch_load_b128 v[136:139], off, off offset:800
	ds_load_b128 v[140:143], v2 offset:1504
	ds_load_b128 v[144:147], v2 offset:1520
	scratch_load_b128 v[148:151], off, off offset:672
	s_mov_b32 s2, exec_lo
	s_wait_loadcnt_dscnt 0x801
	v_mul_f64_e32 v[152:153], v[142:143], v[6:7]
	v_mul_f64_e32 v[154:155], v[140:141], v[6:7]
	s_wait_loadcnt_dscnt 0x700
	v_mul_f64_e32 v[156:157], v[144:145], v[10:11]
	v_mul_f64_e32 v[10:11], v[146:147], v[10:11]
	s_delay_alu instid0(VALU_DEP_4) | instskip(NEXT) | instid1(VALU_DEP_4)
	v_fma_f64 v[152:153], v[140:141], v[4:5], -v[152:153]
	v_fmac_f64_e32 v[154:155], v[142:143], v[4:5]
	ds_load_b128 v[4:7], v2 offset:1536
	ds_load_b128 v[140:143], v2 offset:1552
	v_fmac_f64_e32 v[156:157], v[146:147], v[8:9]
	v_fma_f64 v[8:9], v[144:145], v[8:9], -v[10:11]
	s_wait_loadcnt_dscnt 0x601
	v_mul_f64_e32 v[158:159], v[4:5], v[14:15]
	v_mul_f64_e32 v[14:15], v[6:7], v[14:15]
	s_wait_loadcnt_dscnt 0x500
	v_mul_f64_e32 v[146:147], v[140:141], v[18:19]
	v_mul_f64_e32 v[18:19], v[142:143], v[18:19]
	v_add_f64_e32 v[10:11], 0, v[152:153]
	v_add_f64_e32 v[144:145], 0, v[154:155]
	v_fmac_f64_e32 v[158:159], v[6:7], v[12:13]
	v_fma_f64 v[12:13], v[4:5], v[12:13], -v[14:15]
	v_fmac_f64_e32 v[146:147], v[142:143], v[16:17]
	v_fma_f64 v[16:17], v[140:141], v[16:17], -v[18:19]
	v_add_f64_e32 v[14:15], v[10:11], v[8:9]
	v_add_f64_e32 v[144:145], v[144:145], v[156:157]
	ds_load_b128 v[4:7], v2 offset:1568
	ds_load_b128 v[8:11], v2 offset:1584
	s_wait_loadcnt_dscnt 0x401
	v_mul_f64_e32 v[152:153], v[4:5], v[22:23]
	v_mul_f64_e32 v[22:23], v[6:7], v[22:23]
	s_wait_loadcnt_dscnt 0x300
	v_mul_f64_e32 v[18:19], v[8:9], v[130:131]
	v_mul_f64_e32 v[130:131], v[10:11], v[130:131]
	v_add_f64_e32 v[12:13], v[14:15], v[12:13]
	v_add_f64_e32 v[14:15], v[144:145], v[158:159]
	v_fmac_f64_e32 v[152:153], v[6:7], v[20:21]
	v_fma_f64 v[20:21], v[4:5], v[20:21], -v[22:23]
	v_fmac_f64_e32 v[18:19], v[10:11], v[128:129]
	v_fma_f64 v[8:9], v[8:9], v[128:129], -v[130:131]
	v_add_f64_e32 v[16:17], v[12:13], v[16:17]
	v_add_f64_e32 v[22:23], v[14:15], v[146:147]
	ds_load_b128 v[4:7], v2 offset:1600
	ds_load_b128 v[12:15], v2 offset:1616
	s_wait_loadcnt_dscnt 0x201
	v_mul_f64_e32 v[2:3], v[4:5], v[134:135]
	v_mul_f64_e32 v[134:135], v[6:7], v[134:135]
	v_add_f64_e32 v[10:11], v[16:17], v[20:21]
	v_add_f64_e32 v[16:17], v[22:23], v[152:153]
	s_wait_loadcnt_dscnt 0x100
	v_mul_f64_e32 v[20:21], v[12:13], v[138:139]
	v_mul_f64_e32 v[22:23], v[14:15], v[138:139]
	v_fmac_f64_e32 v[2:3], v[6:7], v[132:133]
	v_fma_f64 v[4:5], v[4:5], v[132:133], -v[134:135]
	v_add_f64_e32 v[6:7], v[10:11], v[8:9]
	v_add_f64_e32 v[8:9], v[16:17], v[18:19]
	v_fmac_f64_e32 v[20:21], v[14:15], v[136:137]
	v_fma_f64 v[10:11], v[12:13], v[136:137], -v[22:23]
	s_delay_alu instid0(VALU_DEP_4) | instskip(NEXT) | instid1(VALU_DEP_4)
	v_add_f64_e32 v[4:5], v[6:7], v[4:5]
	v_add_f64_e32 v[2:3], v[8:9], v[2:3]
	s_delay_alu instid0(VALU_DEP_2) | instskip(NEXT) | instid1(VALU_DEP_2)
	v_add_f64_e32 v[4:5], v[4:5], v[10:11]
	v_add_f64_e32 v[6:7], v[2:3], v[20:21]
	s_wait_loadcnt 0x0
	s_delay_alu instid0(VALU_DEP_2) | instskip(NEXT) | instid1(VALU_DEP_2)
	v_add_f64_e64 v[2:3], v[148:149], -v[4:5]
	v_add_f64_e64 v[4:5], v[150:151], -v[6:7]
	scratch_store_b128 off, v[2:5], off offset:672
	s_wait_xcnt 0x0
	v_cmpx_lt_u32_e32 41, v1
	s_cbranch_execz .LBB50_237
; %bb.236:
	scratch_load_b128 v[2:5], off, s13
	v_mov_b32_e32 v6, 0
	s_delay_alu instid0(VALU_DEP_1)
	v_dual_mov_b32 v7, v6 :: v_dual_mov_b32 v8, v6
	v_mov_b32_e32 v9, v6
	scratch_store_b128 off, v[6:9], off offset:656
	s_wait_loadcnt 0x0
	ds_store_b128 v126, v[2:5]
.LBB50_237:
	s_wait_xcnt 0x0
	s_or_b32 exec_lo, exec_lo, s2
	s_wait_storecnt_dscnt 0x0
	s_barrier_signal -1
	s_barrier_wait -1
	s_clause 0x8
	scratch_load_b128 v[4:7], off, off offset:672
	scratch_load_b128 v[8:11], off, off offset:688
	;; [unrolled: 1-line block ×9, first 2 shown]
	v_mov_b32_e32 v2, 0
	scratch_load_b128 v[148:151], off, off offset:656
	s_mov_b32 s2, exec_lo
	ds_load_b128 v[144:147], v2 offset:1488
	ds_load_b128 v[152:155], v2 offset:1504
	s_wait_loadcnt_dscnt 0x901
	v_mul_f64_e32 v[156:157], v[146:147], v[6:7]
	v_mul_f64_e32 v[158:159], v[144:145], v[6:7]
	s_wait_loadcnt_dscnt 0x800
	v_mul_f64_e32 v[160:161], v[152:153], v[10:11]
	v_mul_f64_e32 v[10:11], v[154:155], v[10:11]
	s_delay_alu instid0(VALU_DEP_4) | instskip(NEXT) | instid1(VALU_DEP_4)
	v_fma_f64 v[156:157], v[144:145], v[4:5], -v[156:157]
	v_fmac_f64_e32 v[158:159], v[146:147], v[4:5]
	ds_load_b128 v[4:7], v2 offset:1520
	ds_load_b128 v[144:147], v2 offset:1536
	v_fmac_f64_e32 v[160:161], v[154:155], v[8:9]
	v_fma_f64 v[8:9], v[152:153], v[8:9], -v[10:11]
	s_wait_loadcnt_dscnt 0x701
	v_mul_f64_e32 v[162:163], v[4:5], v[14:15]
	v_mul_f64_e32 v[14:15], v[6:7], v[14:15]
	s_wait_loadcnt_dscnt 0x600
	v_mul_f64_e32 v[154:155], v[144:145], v[18:19]
	v_mul_f64_e32 v[18:19], v[146:147], v[18:19]
	v_add_f64_e32 v[10:11], 0, v[156:157]
	v_add_f64_e32 v[152:153], 0, v[158:159]
	v_fmac_f64_e32 v[162:163], v[6:7], v[12:13]
	v_fma_f64 v[12:13], v[4:5], v[12:13], -v[14:15]
	v_fmac_f64_e32 v[154:155], v[146:147], v[16:17]
	v_fma_f64 v[16:17], v[144:145], v[16:17], -v[18:19]
	v_add_f64_e32 v[14:15], v[10:11], v[8:9]
	v_add_f64_e32 v[152:153], v[152:153], v[160:161]
	ds_load_b128 v[4:7], v2 offset:1552
	ds_load_b128 v[8:11], v2 offset:1568
	s_wait_loadcnt_dscnt 0x501
	v_mul_f64_e32 v[156:157], v[4:5], v[22:23]
	v_mul_f64_e32 v[22:23], v[6:7], v[22:23]
	s_wait_loadcnt_dscnt 0x400
	v_mul_f64_e32 v[18:19], v[8:9], v[130:131]
	v_mul_f64_e32 v[130:131], v[10:11], v[130:131]
	v_add_f64_e32 v[12:13], v[14:15], v[12:13]
	v_add_f64_e32 v[14:15], v[152:153], v[162:163]
	v_fmac_f64_e32 v[156:157], v[6:7], v[20:21]
	v_fma_f64 v[20:21], v[4:5], v[20:21], -v[22:23]
	v_fmac_f64_e32 v[18:19], v[10:11], v[128:129]
	v_fma_f64 v[8:9], v[8:9], v[128:129], -v[130:131]
	v_add_f64_e32 v[16:17], v[12:13], v[16:17]
	v_add_f64_e32 v[22:23], v[14:15], v[154:155]
	ds_load_b128 v[4:7], v2 offset:1584
	ds_load_b128 v[12:15], v2 offset:1600
	s_wait_loadcnt_dscnt 0x301
	v_mul_f64_e32 v[144:145], v[4:5], v[134:135]
	v_mul_f64_e32 v[134:135], v[6:7], v[134:135]
	v_add_f64_e32 v[10:11], v[16:17], v[20:21]
	v_add_f64_e32 v[16:17], v[22:23], v[156:157]
	s_wait_loadcnt_dscnt 0x200
	v_mul_f64_e32 v[20:21], v[12:13], v[138:139]
	v_mul_f64_e32 v[22:23], v[14:15], v[138:139]
	v_fmac_f64_e32 v[144:145], v[6:7], v[132:133]
	v_fma_f64 v[128:129], v[4:5], v[132:133], -v[134:135]
	ds_load_b128 v[4:7], v2 offset:1616
	v_add_f64_e32 v[8:9], v[10:11], v[8:9]
	v_add_f64_e32 v[10:11], v[16:17], v[18:19]
	v_fmac_f64_e32 v[20:21], v[14:15], v[136:137]
	v_fma_f64 v[12:13], v[12:13], v[136:137], -v[22:23]
	s_wait_loadcnt_dscnt 0x100
	v_mul_f64_e32 v[16:17], v[4:5], v[142:143]
	v_mul_f64_e32 v[18:19], v[6:7], v[142:143]
	v_add_f64_e32 v[8:9], v[8:9], v[128:129]
	v_add_f64_e32 v[10:11], v[10:11], v[144:145]
	s_delay_alu instid0(VALU_DEP_4) | instskip(NEXT) | instid1(VALU_DEP_4)
	v_fmac_f64_e32 v[16:17], v[6:7], v[140:141]
	v_fma_f64 v[4:5], v[4:5], v[140:141], -v[18:19]
	s_delay_alu instid0(VALU_DEP_4) | instskip(NEXT) | instid1(VALU_DEP_4)
	v_add_f64_e32 v[6:7], v[8:9], v[12:13]
	v_add_f64_e32 v[8:9], v[10:11], v[20:21]
	s_delay_alu instid0(VALU_DEP_2) | instskip(NEXT) | instid1(VALU_DEP_2)
	v_add_f64_e32 v[4:5], v[6:7], v[4:5]
	v_add_f64_e32 v[6:7], v[8:9], v[16:17]
	s_wait_loadcnt 0x0
	s_delay_alu instid0(VALU_DEP_2) | instskip(NEXT) | instid1(VALU_DEP_2)
	v_add_f64_e64 v[4:5], v[148:149], -v[4:5]
	v_add_f64_e64 v[6:7], v[150:151], -v[6:7]
	scratch_store_b128 off, v[4:7], off offset:656
	s_wait_xcnt 0x0
	v_cmpx_lt_u32_e32 40, v1
	s_cbranch_execz .LBB50_239
; %bb.238:
	scratch_load_b128 v[6:9], off, s22
	v_dual_mov_b32 v3, v2 :: v_dual_mov_b32 v4, v2
	v_mov_b32_e32 v5, v2
	scratch_store_b128 off, v[2:5], off offset:640
	s_wait_loadcnt 0x0
	ds_store_b128 v126, v[6:9]
.LBB50_239:
	s_wait_xcnt 0x0
	s_or_b32 exec_lo, exec_lo, s2
	s_wait_storecnt_dscnt 0x0
	s_barrier_signal -1
	s_barrier_wait -1
	s_clause 0x9
	scratch_load_b128 v[4:7], off, off offset:656
	scratch_load_b128 v[8:11], off, off offset:672
	;; [unrolled: 1-line block ×10, first 2 shown]
	ds_load_b128 v[148:151], v2 offset:1472
	ds_load_b128 v[152:155], v2 offset:1488
	scratch_load_b128 v[156:159], off, off offset:640
	s_mov_b32 s2, exec_lo
	s_wait_loadcnt_dscnt 0xa01
	v_mul_f64_e32 v[160:161], v[150:151], v[6:7]
	v_mul_f64_e32 v[162:163], v[148:149], v[6:7]
	s_wait_loadcnt_dscnt 0x900
	v_mul_f64_e32 v[164:165], v[152:153], v[10:11]
	v_mul_f64_e32 v[10:11], v[154:155], v[10:11]
	s_delay_alu instid0(VALU_DEP_4) | instskip(NEXT) | instid1(VALU_DEP_4)
	v_fma_f64 v[160:161], v[148:149], v[4:5], -v[160:161]
	v_fmac_f64_e32 v[162:163], v[150:151], v[4:5]
	ds_load_b128 v[4:7], v2 offset:1504
	ds_load_b128 v[148:151], v2 offset:1520
	v_fmac_f64_e32 v[164:165], v[154:155], v[8:9]
	v_fma_f64 v[8:9], v[152:153], v[8:9], -v[10:11]
	s_wait_loadcnt_dscnt 0x801
	v_mul_f64_e32 v[166:167], v[4:5], v[14:15]
	v_mul_f64_e32 v[14:15], v[6:7], v[14:15]
	s_wait_loadcnt_dscnt 0x700
	v_mul_f64_e32 v[154:155], v[148:149], v[18:19]
	v_mul_f64_e32 v[18:19], v[150:151], v[18:19]
	v_add_f64_e32 v[10:11], 0, v[160:161]
	v_add_f64_e32 v[152:153], 0, v[162:163]
	v_fmac_f64_e32 v[166:167], v[6:7], v[12:13]
	v_fma_f64 v[12:13], v[4:5], v[12:13], -v[14:15]
	v_fmac_f64_e32 v[154:155], v[150:151], v[16:17]
	v_fma_f64 v[16:17], v[148:149], v[16:17], -v[18:19]
	v_add_f64_e32 v[14:15], v[10:11], v[8:9]
	v_add_f64_e32 v[152:153], v[152:153], v[164:165]
	ds_load_b128 v[4:7], v2 offset:1536
	ds_load_b128 v[8:11], v2 offset:1552
	s_wait_loadcnt_dscnt 0x601
	v_mul_f64_e32 v[160:161], v[4:5], v[22:23]
	v_mul_f64_e32 v[22:23], v[6:7], v[22:23]
	s_wait_loadcnt_dscnt 0x500
	v_mul_f64_e32 v[18:19], v[8:9], v[130:131]
	v_mul_f64_e32 v[130:131], v[10:11], v[130:131]
	v_add_f64_e32 v[12:13], v[14:15], v[12:13]
	v_add_f64_e32 v[14:15], v[152:153], v[166:167]
	v_fmac_f64_e32 v[160:161], v[6:7], v[20:21]
	v_fma_f64 v[20:21], v[4:5], v[20:21], -v[22:23]
	v_fmac_f64_e32 v[18:19], v[10:11], v[128:129]
	v_fma_f64 v[8:9], v[8:9], v[128:129], -v[130:131]
	v_add_f64_e32 v[16:17], v[12:13], v[16:17]
	v_add_f64_e32 v[22:23], v[14:15], v[154:155]
	ds_load_b128 v[4:7], v2 offset:1568
	ds_load_b128 v[12:15], v2 offset:1584
	s_wait_loadcnt_dscnt 0x401
	v_mul_f64_e32 v[148:149], v[4:5], v[134:135]
	v_mul_f64_e32 v[134:135], v[6:7], v[134:135]
	v_add_f64_e32 v[10:11], v[16:17], v[20:21]
	v_add_f64_e32 v[16:17], v[22:23], v[160:161]
	s_wait_loadcnt_dscnt 0x300
	v_mul_f64_e32 v[20:21], v[12:13], v[138:139]
	v_mul_f64_e32 v[22:23], v[14:15], v[138:139]
	v_fmac_f64_e32 v[148:149], v[6:7], v[132:133]
	v_fma_f64 v[128:129], v[4:5], v[132:133], -v[134:135]
	v_add_f64_e32 v[130:131], v[10:11], v[8:9]
	v_add_f64_e32 v[16:17], v[16:17], v[18:19]
	ds_load_b128 v[4:7], v2 offset:1600
	ds_load_b128 v[8:11], v2 offset:1616
	v_fmac_f64_e32 v[20:21], v[14:15], v[136:137]
	v_fma_f64 v[12:13], v[12:13], v[136:137], -v[22:23]
	s_wait_loadcnt_dscnt 0x201
	v_mul_f64_e32 v[2:3], v[4:5], v[142:143]
	v_mul_f64_e32 v[18:19], v[6:7], v[142:143]
	s_wait_loadcnt_dscnt 0x100
	v_mul_f64_e32 v[22:23], v[8:9], v[146:147]
	v_add_f64_e32 v[14:15], v[130:131], v[128:129]
	v_add_f64_e32 v[16:17], v[16:17], v[148:149]
	v_mul_f64_e32 v[128:129], v[10:11], v[146:147]
	v_fmac_f64_e32 v[2:3], v[6:7], v[140:141]
	v_fma_f64 v[4:5], v[4:5], v[140:141], -v[18:19]
	v_fmac_f64_e32 v[22:23], v[10:11], v[144:145]
	v_add_f64_e32 v[6:7], v[14:15], v[12:13]
	v_add_f64_e32 v[12:13], v[16:17], v[20:21]
	v_fma_f64 v[8:9], v[8:9], v[144:145], -v[128:129]
	s_delay_alu instid0(VALU_DEP_3) | instskip(NEXT) | instid1(VALU_DEP_3)
	v_add_f64_e32 v[4:5], v[6:7], v[4:5]
	v_add_f64_e32 v[2:3], v[12:13], v[2:3]
	s_delay_alu instid0(VALU_DEP_2) | instskip(NEXT) | instid1(VALU_DEP_2)
	v_add_f64_e32 v[4:5], v[4:5], v[8:9]
	v_add_f64_e32 v[6:7], v[2:3], v[22:23]
	s_wait_loadcnt 0x0
	s_delay_alu instid0(VALU_DEP_2) | instskip(NEXT) | instid1(VALU_DEP_2)
	v_add_f64_e64 v[2:3], v[156:157], -v[4:5]
	v_add_f64_e64 v[4:5], v[158:159], -v[6:7]
	scratch_store_b128 off, v[2:5], off offset:640
	s_wait_xcnt 0x0
	v_cmpx_lt_u32_e32 39, v1
	s_cbranch_execz .LBB50_241
; %bb.240:
	scratch_load_b128 v[2:5], off, s21
	v_mov_b32_e32 v6, 0
	s_delay_alu instid0(VALU_DEP_1)
	v_dual_mov_b32 v7, v6 :: v_dual_mov_b32 v8, v6
	v_mov_b32_e32 v9, v6
	scratch_store_b128 off, v[6:9], off offset:624
	s_wait_loadcnt 0x0
	ds_store_b128 v126, v[2:5]
.LBB50_241:
	s_wait_xcnt 0x0
	s_or_b32 exec_lo, exec_lo, s2
	s_wait_storecnt_dscnt 0x0
	s_barrier_signal -1
	s_barrier_wait -1
	s_clause 0x9
	scratch_load_b128 v[4:7], off, off offset:640
	scratch_load_b128 v[8:11], off, off offset:656
	;; [unrolled: 1-line block ×10, first 2 shown]
	v_mov_b32_e32 v2, 0
	s_mov_b32 s2, exec_lo
	ds_load_b128 v[148:151], v2 offset:1456
	s_clause 0x1
	scratch_load_b128 v[152:155], off, off offset:800
	scratch_load_b128 v[156:159], off, off offset:624
	s_wait_loadcnt_dscnt 0xb00
	v_mul_f64_e32 v[164:165], v[150:151], v[6:7]
	v_mul_f64_e32 v[166:167], v[148:149], v[6:7]
	ds_load_b128 v[160:163], v2 offset:1472
	s_wait_loadcnt_dscnt 0xa00
	v_mul_f64_e32 v[168:169], v[160:161], v[10:11]
	v_mul_f64_e32 v[10:11], v[162:163], v[10:11]
	v_fma_f64 v[164:165], v[148:149], v[4:5], -v[164:165]
	v_fmac_f64_e32 v[166:167], v[150:151], v[4:5]
	ds_load_b128 v[4:7], v2 offset:1488
	ds_load_b128 v[148:151], v2 offset:1504
	s_wait_loadcnt_dscnt 0x901
	v_mul_f64_e32 v[170:171], v[4:5], v[14:15]
	v_mul_f64_e32 v[14:15], v[6:7], v[14:15]
	v_fmac_f64_e32 v[168:169], v[162:163], v[8:9]
	v_fma_f64 v[8:9], v[160:161], v[8:9], -v[10:11]
	s_wait_loadcnt_dscnt 0x800
	v_mul_f64_e32 v[162:163], v[148:149], v[18:19]
	v_mul_f64_e32 v[18:19], v[150:151], v[18:19]
	v_add_f64_e32 v[10:11], 0, v[164:165]
	v_add_f64_e32 v[160:161], 0, v[166:167]
	v_fmac_f64_e32 v[170:171], v[6:7], v[12:13]
	v_fma_f64 v[12:13], v[4:5], v[12:13], -v[14:15]
	v_fmac_f64_e32 v[162:163], v[150:151], v[16:17]
	v_fma_f64 v[16:17], v[148:149], v[16:17], -v[18:19]
	v_add_f64_e32 v[14:15], v[10:11], v[8:9]
	v_add_f64_e32 v[160:161], v[160:161], v[168:169]
	ds_load_b128 v[4:7], v2 offset:1520
	ds_load_b128 v[8:11], v2 offset:1536
	s_wait_loadcnt_dscnt 0x701
	v_mul_f64_e32 v[164:165], v[4:5], v[22:23]
	v_mul_f64_e32 v[22:23], v[6:7], v[22:23]
	s_wait_loadcnt_dscnt 0x600
	v_mul_f64_e32 v[18:19], v[8:9], v[130:131]
	v_mul_f64_e32 v[130:131], v[10:11], v[130:131]
	v_add_f64_e32 v[12:13], v[14:15], v[12:13]
	v_add_f64_e32 v[14:15], v[160:161], v[170:171]
	v_fmac_f64_e32 v[164:165], v[6:7], v[20:21]
	v_fma_f64 v[20:21], v[4:5], v[20:21], -v[22:23]
	v_fmac_f64_e32 v[18:19], v[10:11], v[128:129]
	v_fma_f64 v[8:9], v[8:9], v[128:129], -v[130:131]
	v_add_f64_e32 v[16:17], v[12:13], v[16:17]
	v_add_f64_e32 v[22:23], v[14:15], v[162:163]
	ds_load_b128 v[4:7], v2 offset:1552
	ds_load_b128 v[12:15], v2 offset:1568
	s_wait_loadcnt_dscnt 0x501
	v_mul_f64_e32 v[148:149], v[4:5], v[134:135]
	v_mul_f64_e32 v[134:135], v[6:7], v[134:135]
	v_add_f64_e32 v[10:11], v[16:17], v[20:21]
	v_add_f64_e32 v[16:17], v[22:23], v[164:165]
	s_wait_loadcnt_dscnt 0x400
	v_mul_f64_e32 v[20:21], v[12:13], v[138:139]
	v_mul_f64_e32 v[22:23], v[14:15], v[138:139]
	v_fmac_f64_e32 v[148:149], v[6:7], v[132:133]
	v_fma_f64 v[128:129], v[4:5], v[132:133], -v[134:135]
	v_add_f64_e32 v[130:131], v[10:11], v[8:9]
	v_add_f64_e32 v[16:17], v[16:17], v[18:19]
	ds_load_b128 v[4:7], v2 offset:1584
	ds_load_b128 v[8:11], v2 offset:1600
	v_fmac_f64_e32 v[20:21], v[14:15], v[136:137]
	v_fma_f64 v[12:13], v[12:13], v[136:137], -v[22:23]
	s_wait_loadcnt_dscnt 0x301
	v_mul_f64_e32 v[18:19], v[4:5], v[142:143]
	v_mul_f64_e32 v[132:133], v[6:7], v[142:143]
	s_wait_loadcnt_dscnt 0x200
	v_mul_f64_e32 v[22:23], v[8:9], v[146:147]
	v_add_f64_e32 v[14:15], v[130:131], v[128:129]
	v_add_f64_e32 v[16:17], v[16:17], v[148:149]
	v_mul_f64_e32 v[128:129], v[10:11], v[146:147]
	v_fmac_f64_e32 v[18:19], v[6:7], v[140:141]
	v_fma_f64 v[130:131], v[4:5], v[140:141], -v[132:133]
	ds_load_b128 v[4:7], v2 offset:1616
	v_fmac_f64_e32 v[22:23], v[10:11], v[144:145]
	v_add_f64_e32 v[12:13], v[14:15], v[12:13]
	v_add_f64_e32 v[14:15], v[16:17], v[20:21]
	v_fma_f64 v[8:9], v[8:9], v[144:145], -v[128:129]
	s_wait_loadcnt_dscnt 0x100
	v_mul_f64_e32 v[16:17], v[4:5], v[154:155]
	v_mul_f64_e32 v[20:21], v[6:7], v[154:155]
	v_add_f64_e32 v[10:11], v[12:13], v[130:131]
	v_add_f64_e32 v[12:13], v[14:15], v[18:19]
	s_delay_alu instid0(VALU_DEP_4) | instskip(NEXT) | instid1(VALU_DEP_4)
	v_fmac_f64_e32 v[16:17], v[6:7], v[152:153]
	v_fma_f64 v[4:5], v[4:5], v[152:153], -v[20:21]
	s_delay_alu instid0(VALU_DEP_4) | instskip(NEXT) | instid1(VALU_DEP_4)
	v_add_f64_e32 v[6:7], v[10:11], v[8:9]
	v_add_f64_e32 v[8:9], v[12:13], v[22:23]
	s_delay_alu instid0(VALU_DEP_2) | instskip(NEXT) | instid1(VALU_DEP_2)
	v_add_f64_e32 v[4:5], v[6:7], v[4:5]
	v_add_f64_e32 v[6:7], v[8:9], v[16:17]
	s_wait_loadcnt 0x0
	s_delay_alu instid0(VALU_DEP_2) | instskip(NEXT) | instid1(VALU_DEP_2)
	v_add_f64_e64 v[4:5], v[156:157], -v[4:5]
	v_add_f64_e64 v[6:7], v[158:159], -v[6:7]
	scratch_store_b128 off, v[4:7], off offset:624
	s_wait_xcnt 0x0
	v_cmpx_lt_u32_e32 38, v1
	s_cbranch_execz .LBB50_243
; %bb.242:
	scratch_load_b128 v[6:9], off, s25
	v_dual_mov_b32 v3, v2 :: v_dual_mov_b32 v4, v2
	v_mov_b32_e32 v5, v2
	scratch_store_b128 off, v[2:5], off offset:608
	s_wait_loadcnt 0x0
	ds_store_b128 v126, v[6:9]
.LBB50_243:
	s_wait_xcnt 0x0
	s_or_b32 exec_lo, exec_lo, s2
	s_wait_storecnt_dscnt 0x0
	s_barrier_signal -1
	s_barrier_wait -1
	s_clause 0x9
	scratch_load_b128 v[4:7], off, off offset:624
	scratch_load_b128 v[8:11], off, off offset:640
	;; [unrolled: 1-line block ×10, first 2 shown]
	ds_load_b128 v[148:151], v2 offset:1440
	ds_load_b128 v[156:159], v2 offset:1456
	s_clause 0x2
	scratch_load_b128 v[152:155], off, off offset:784
	scratch_load_b128 v[160:163], off, off offset:608
	;; [unrolled: 1-line block ×3, first 2 shown]
	s_mov_b32 s2, exec_lo
	s_wait_loadcnt_dscnt 0xc01
	v_mul_f64_e32 v[168:169], v[150:151], v[6:7]
	v_mul_f64_e32 v[170:171], v[148:149], v[6:7]
	s_wait_loadcnt_dscnt 0xb00
	v_mul_f64_e32 v[172:173], v[156:157], v[10:11]
	v_mul_f64_e32 v[10:11], v[158:159], v[10:11]
	s_delay_alu instid0(VALU_DEP_4) | instskip(NEXT) | instid1(VALU_DEP_4)
	v_fma_f64 v[168:169], v[148:149], v[4:5], -v[168:169]
	v_fmac_f64_e32 v[170:171], v[150:151], v[4:5]
	ds_load_b128 v[4:7], v2 offset:1472
	ds_load_b128 v[148:151], v2 offset:1488
	v_fmac_f64_e32 v[172:173], v[158:159], v[8:9]
	v_fma_f64 v[8:9], v[156:157], v[8:9], -v[10:11]
	s_wait_loadcnt_dscnt 0xa01
	v_mul_f64_e32 v[174:175], v[4:5], v[14:15]
	v_mul_f64_e32 v[14:15], v[6:7], v[14:15]
	s_wait_loadcnt_dscnt 0x900
	v_mul_f64_e32 v[158:159], v[148:149], v[18:19]
	v_mul_f64_e32 v[18:19], v[150:151], v[18:19]
	v_add_f64_e32 v[10:11], 0, v[168:169]
	v_add_f64_e32 v[156:157], 0, v[170:171]
	v_fmac_f64_e32 v[174:175], v[6:7], v[12:13]
	v_fma_f64 v[12:13], v[4:5], v[12:13], -v[14:15]
	v_fmac_f64_e32 v[158:159], v[150:151], v[16:17]
	v_fma_f64 v[16:17], v[148:149], v[16:17], -v[18:19]
	v_add_f64_e32 v[14:15], v[10:11], v[8:9]
	v_add_f64_e32 v[156:157], v[156:157], v[172:173]
	ds_load_b128 v[4:7], v2 offset:1504
	ds_load_b128 v[8:11], v2 offset:1520
	s_wait_loadcnt_dscnt 0x801
	v_mul_f64_e32 v[168:169], v[4:5], v[22:23]
	v_mul_f64_e32 v[22:23], v[6:7], v[22:23]
	s_wait_loadcnt_dscnt 0x700
	v_mul_f64_e32 v[18:19], v[8:9], v[130:131]
	v_mul_f64_e32 v[130:131], v[10:11], v[130:131]
	v_add_f64_e32 v[12:13], v[14:15], v[12:13]
	v_add_f64_e32 v[14:15], v[156:157], v[174:175]
	v_fmac_f64_e32 v[168:169], v[6:7], v[20:21]
	v_fma_f64 v[20:21], v[4:5], v[20:21], -v[22:23]
	v_fmac_f64_e32 v[18:19], v[10:11], v[128:129]
	v_fma_f64 v[8:9], v[8:9], v[128:129], -v[130:131]
	v_add_f64_e32 v[16:17], v[12:13], v[16:17]
	v_add_f64_e32 v[22:23], v[14:15], v[158:159]
	ds_load_b128 v[4:7], v2 offset:1536
	ds_load_b128 v[12:15], v2 offset:1552
	s_wait_loadcnt_dscnt 0x601
	v_mul_f64_e32 v[148:149], v[4:5], v[134:135]
	v_mul_f64_e32 v[134:135], v[6:7], v[134:135]
	v_add_f64_e32 v[10:11], v[16:17], v[20:21]
	v_add_f64_e32 v[16:17], v[22:23], v[168:169]
	s_wait_loadcnt_dscnt 0x500
	v_mul_f64_e32 v[20:21], v[12:13], v[138:139]
	v_mul_f64_e32 v[22:23], v[14:15], v[138:139]
	v_fmac_f64_e32 v[148:149], v[6:7], v[132:133]
	v_fma_f64 v[128:129], v[4:5], v[132:133], -v[134:135]
	v_add_f64_e32 v[130:131], v[10:11], v[8:9]
	v_add_f64_e32 v[16:17], v[16:17], v[18:19]
	ds_load_b128 v[4:7], v2 offset:1568
	ds_load_b128 v[8:11], v2 offset:1584
	v_fmac_f64_e32 v[20:21], v[14:15], v[136:137]
	v_fma_f64 v[12:13], v[12:13], v[136:137], -v[22:23]
	s_wait_loadcnt_dscnt 0x401
	v_mul_f64_e32 v[18:19], v[4:5], v[142:143]
	v_mul_f64_e32 v[132:133], v[6:7], v[142:143]
	s_wait_loadcnt_dscnt 0x300
	v_mul_f64_e32 v[22:23], v[8:9], v[146:147]
	v_add_f64_e32 v[14:15], v[130:131], v[128:129]
	v_add_f64_e32 v[16:17], v[16:17], v[148:149]
	v_mul_f64_e32 v[128:129], v[10:11], v[146:147]
	v_fmac_f64_e32 v[18:19], v[6:7], v[140:141]
	v_fma_f64 v[130:131], v[4:5], v[140:141], -v[132:133]
	v_fmac_f64_e32 v[22:23], v[10:11], v[144:145]
	v_add_f64_e32 v[132:133], v[14:15], v[12:13]
	v_add_f64_e32 v[16:17], v[16:17], v[20:21]
	ds_load_b128 v[4:7], v2 offset:1600
	ds_load_b128 v[12:15], v2 offset:1616
	v_fma_f64 v[8:9], v[8:9], v[144:145], -v[128:129]
	s_wait_loadcnt_dscnt 0x201
	v_mul_f64_e32 v[2:3], v[4:5], v[154:155]
	v_mul_f64_e32 v[20:21], v[6:7], v[154:155]
	s_wait_loadcnt_dscnt 0x0
	v_mul_f64_e32 v[128:129], v[14:15], v[166:167]
	v_add_f64_e32 v[10:11], v[132:133], v[130:131]
	v_add_f64_e32 v[16:17], v[16:17], v[18:19]
	v_mul_f64_e32 v[18:19], v[12:13], v[166:167]
	v_fmac_f64_e32 v[2:3], v[6:7], v[152:153]
	v_fma_f64 v[4:5], v[4:5], v[152:153], -v[20:21]
	v_add_f64_e32 v[6:7], v[10:11], v[8:9]
	v_add_f64_e32 v[8:9], v[16:17], v[22:23]
	v_fmac_f64_e32 v[18:19], v[14:15], v[164:165]
	v_fma_f64 v[10:11], v[12:13], v[164:165], -v[128:129]
	s_delay_alu instid0(VALU_DEP_4) | instskip(NEXT) | instid1(VALU_DEP_4)
	v_add_f64_e32 v[4:5], v[6:7], v[4:5]
	v_add_f64_e32 v[2:3], v[8:9], v[2:3]
	s_delay_alu instid0(VALU_DEP_2) | instskip(NEXT) | instid1(VALU_DEP_2)
	v_add_f64_e32 v[4:5], v[4:5], v[10:11]
	v_add_f64_e32 v[6:7], v[2:3], v[18:19]
	s_delay_alu instid0(VALU_DEP_2) | instskip(NEXT) | instid1(VALU_DEP_2)
	v_add_f64_e64 v[2:3], v[160:161], -v[4:5]
	v_add_f64_e64 v[4:5], v[162:163], -v[6:7]
	scratch_store_b128 off, v[2:5], off offset:608
	s_wait_xcnt 0x0
	v_cmpx_lt_u32_e32 37, v1
	s_cbranch_execz .LBB50_245
; %bb.244:
	scratch_load_b128 v[2:5], off, s24
	v_mov_b32_e32 v6, 0
	s_delay_alu instid0(VALU_DEP_1)
	v_dual_mov_b32 v7, v6 :: v_dual_mov_b32 v8, v6
	v_mov_b32_e32 v9, v6
	scratch_store_b128 off, v[6:9], off offset:592
	s_wait_loadcnt 0x0
	ds_store_b128 v126, v[2:5]
.LBB50_245:
	s_wait_xcnt 0x0
	s_or_b32 exec_lo, exec_lo, s2
	s_wait_storecnt_dscnt 0x0
	s_barrier_signal -1
	s_barrier_wait -1
	s_clause 0x9
	scratch_load_b128 v[4:7], off, off offset:608
	scratch_load_b128 v[8:11], off, off offset:624
	;; [unrolled: 1-line block ×10, first 2 shown]
	v_mov_b32_e32 v2, 0
	s_mov_b32 s2, exec_lo
	ds_load_b128 v[148:151], v2 offset:1424
	s_clause 0x2
	scratch_load_b128 v[152:155], off, off offset:768
	scratch_load_b128 v[156:159], off, off offset:592
	;; [unrolled: 1-line block ×3, first 2 shown]
	s_wait_loadcnt_dscnt 0xc00
	v_mul_f64_e32 v[168:169], v[150:151], v[6:7]
	v_mul_f64_e32 v[172:173], v[148:149], v[6:7]
	ds_load_b128 v[160:163], v2 offset:1440
	v_fma_f64 v[176:177], v[148:149], v[4:5], -v[168:169]
	v_fmac_f64_e32 v[172:173], v[150:151], v[4:5]
	ds_load_b128 v[4:7], v2 offset:1456
	s_wait_loadcnt_dscnt 0xb01
	v_mul_f64_e32 v[174:175], v[160:161], v[10:11]
	v_mul_f64_e32 v[10:11], v[162:163], v[10:11]
	scratch_load_b128 v[148:151], off, off offset:800
	ds_load_b128 v[168:171], v2 offset:1472
	s_wait_loadcnt_dscnt 0xb01
	v_mul_f64_e32 v[178:179], v[4:5], v[14:15]
	v_mul_f64_e32 v[14:15], v[6:7], v[14:15]
	v_fmac_f64_e32 v[174:175], v[162:163], v[8:9]
	v_fma_f64 v[8:9], v[160:161], v[8:9], -v[10:11]
	v_add_f64_e32 v[10:11], 0, v[176:177]
	v_add_f64_e32 v[160:161], 0, v[172:173]
	s_wait_loadcnt_dscnt 0xa00
	v_mul_f64_e32 v[162:163], v[168:169], v[18:19]
	v_mul_f64_e32 v[18:19], v[170:171], v[18:19]
	v_fmac_f64_e32 v[178:179], v[6:7], v[12:13]
	v_fma_f64 v[12:13], v[4:5], v[12:13], -v[14:15]
	v_add_f64_e32 v[14:15], v[10:11], v[8:9]
	v_add_f64_e32 v[160:161], v[160:161], v[174:175]
	ds_load_b128 v[4:7], v2 offset:1488
	ds_load_b128 v[8:11], v2 offset:1504
	v_fmac_f64_e32 v[162:163], v[170:171], v[16:17]
	v_fma_f64 v[16:17], v[168:169], v[16:17], -v[18:19]
	s_wait_loadcnt_dscnt 0x901
	v_mul_f64_e32 v[172:173], v[4:5], v[22:23]
	v_mul_f64_e32 v[22:23], v[6:7], v[22:23]
	s_wait_loadcnt_dscnt 0x800
	v_mul_f64_e32 v[18:19], v[8:9], v[130:131]
	v_mul_f64_e32 v[130:131], v[10:11], v[130:131]
	v_add_f64_e32 v[12:13], v[14:15], v[12:13]
	v_add_f64_e32 v[14:15], v[160:161], v[178:179]
	v_fmac_f64_e32 v[172:173], v[6:7], v[20:21]
	v_fma_f64 v[20:21], v[4:5], v[20:21], -v[22:23]
	v_fmac_f64_e32 v[18:19], v[10:11], v[128:129]
	v_fma_f64 v[8:9], v[8:9], v[128:129], -v[130:131]
	v_add_f64_e32 v[16:17], v[12:13], v[16:17]
	v_add_f64_e32 v[22:23], v[14:15], v[162:163]
	ds_load_b128 v[4:7], v2 offset:1520
	ds_load_b128 v[12:15], v2 offset:1536
	s_wait_loadcnt_dscnt 0x701
	v_mul_f64_e32 v[160:161], v[4:5], v[134:135]
	v_mul_f64_e32 v[134:135], v[6:7], v[134:135]
	v_add_f64_e32 v[10:11], v[16:17], v[20:21]
	v_add_f64_e32 v[16:17], v[22:23], v[172:173]
	s_wait_loadcnt_dscnt 0x600
	v_mul_f64_e32 v[20:21], v[12:13], v[138:139]
	v_mul_f64_e32 v[22:23], v[14:15], v[138:139]
	v_fmac_f64_e32 v[160:161], v[6:7], v[132:133]
	v_fma_f64 v[128:129], v[4:5], v[132:133], -v[134:135]
	v_add_f64_e32 v[130:131], v[10:11], v[8:9]
	v_add_f64_e32 v[16:17], v[16:17], v[18:19]
	ds_load_b128 v[4:7], v2 offset:1552
	ds_load_b128 v[8:11], v2 offset:1568
	v_fmac_f64_e32 v[20:21], v[14:15], v[136:137]
	v_fma_f64 v[12:13], v[12:13], v[136:137], -v[22:23]
	s_wait_loadcnt_dscnt 0x501
	v_mul_f64_e32 v[18:19], v[4:5], v[142:143]
	v_mul_f64_e32 v[132:133], v[6:7], v[142:143]
	s_wait_loadcnt_dscnt 0x400
	v_mul_f64_e32 v[22:23], v[8:9], v[146:147]
	v_add_f64_e32 v[14:15], v[130:131], v[128:129]
	v_add_f64_e32 v[16:17], v[16:17], v[160:161]
	v_mul_f64_e32 v[128:129], v[10:11], v[146:147]
	v_fmac_f64_e32 v[18:19], v[6:7], v[140:141]
	v_fma_f64 v[130:131], v[4:5], v[140:141], -v[132:133]
	v_fmac_f64_e32 v[22:23], v[10:11], v[144:145]
	v_add_f64_e32 v[132:133], v[14:15], v[12:13]
	v_add_f64_e32 v[16:17], v[16:17], v[20:21]
	ds_load_b128 v[4:7], v2 offset:1584
	ds_load_b128 v[12:15], v2 offset:1600
	v_fma_f64 v[8:9], v[8:9], v[144:145], -v[128:129]
	s_wait_loadcnt_dscnt 0x301
	v_mul_f64_e32 v[20:21], v[4:5], v[154:155]
	v_mul_f64_e32 v[134:135], v[6:7], v[154:155]
	s_wait_loadcnt_dscnt 0x100
	v_mul_f64_e32 v[128:129], v[14:15], v[166:167]
	v_add_f64_e32 v[10:11], v[132:133], v[130:131]
	v_add_f64_e32 v[16:17], v[16:17], v[18:19]
	v_mul_f64_e32 v[18:19], v[12:13], v[166:167]
	v_fmac_f64_e32 v[20:21], v[6:7], v[152:153]
	v_fma_f64 v[130:131], v[4:5], v[152:153], -v[134:135]
	ds_load_b128 v[4:7], v2 offset:1616
	v_fma_f64 v[12:13], v[12:13], v[164:165], -v[128:129]
	v_add_f64_e32 v[8:9], v[10:11], v[8:9]
	v_add_f64_e32 v[10:11], v[16:17], v[22:23]
	v_fmac_f64_e32 v[18:19], v[14:15], v[164:165]
	s_wait_loadcnt_dscnt 0x0
	v_mul_f64_e32 v[16:17], v[4:5], v[150:151]
	v_mul_f64_e32 v[22:23], v[6:7], v[150:151]
	v_add_f64_e32 v[8:9], v[8:9], v[130:131]
	v_add_f64_e32 v[10:11], v[10:11], v[20:21]
	s_delay_alu instid0(VALU_DEP_4) | instskip(NEXT) | instid1(VALU_DEP_4)
	v_fmac_f64_e32 v[16:17], v[6:7], v[148:149]
	v_fma_f64 v[4:5], v[4:5], v[148:149], -v[22:23]
	s_delay_alu instid0(VALU_DEP_4) | instskip(NEXT) | instid1(VALU_DEP_4)
	v_add_f64_e32 v[6:7], v[8:9], v[12:13]
	v_add_f64_e32 v[8:9], v[10:11], v[18:19]
	s_delay_alu instid0(VALU_DEP_2) | instskip(NEXT) | instid1(VALU_DEP_2)
	v_add_f64_e32 v[4:5], v[6:7], v[4:5]
	v_add_f64_e32 v[6:7], v[8:9], v[16:17]
	s_delay_alu instid0(VALU_DEP_2) | instskip(NEXT) | instid1(VALU_DEP_2)
	v_add_f64_e64 v[4:5], v[156:157], -v[4:5]
	v_add_f64_e64 v[6:7], v[158:159], -v[6:7]
	scratch_store_b128 off, v[4:7], off offset:592
	s_wait_xcnt 0x0
	v_cmpx_lt_u32_e32 36, v1
	s_cbranch_execz .LBB50_247
; %bb.246:
	scratch_load_b128 v[6:9], off, s27
	v_dual_mov_b32 v3, v2 :: v_dual_mov_b32 v4, v2
	v_mov_b32_e32 v5, v2
	scratch_store_b128 off, v[2:5], off offset:576
	s_wait_loadcnt 0x0
	ds_store_b128 v126, v[6:9]
.LBB50_247:
	s_wait_xcnt 0x0
	s_or_b32 exec_lo, exec_lo, s2
	s_wait_storecnt_dscnt 0x0
	s_barrier_signal -1
	s_barrier_wait -1
	s_clause 0x9
	scratch_load_b128 v[4:7], off, off offset:592
	scratch_load_b128 v[8:11], off, off offset:608
	;; [unrolled: 1-line block ×10, first 2 shown]
	ds_load_b128 v[148:151], v2 offset:1408
	ds_load_b128 v[156:159], v2 offset:1424
	s_clause 0x2
	scratch_load_b128 v[152:155], off, off offset:752
	scratch_load_b128 v[160:163], off, off offset:576
	;; [unrolled: 1-line block ×3, first 2 shown]
	s_mov_b32 s2, exec_lo
	s_wait_loadcnt_dscnt 0xc01
	v_mul_f64_e32 v[168:169], v[150:151], v[6:7]
	v_mul_f64_e32 v[172:173], v[148:149], v[6:7]
	s_wait_loadcnt_dscnt 0xb00
	v_mul_f64_e32 v[174:175], v[156:157], v[10:11]
	v_mul_f64_e32 v[10:11], v[158:159], v[10:11]
	s_delay_alu instid0(VALU_DEP_4) | instskip(NEXT) | instid1(VALU_DEP_4)
	v_fma_f64 v[176:177], v[148:149], v[4:5], -v[168:169]
	v_fmac_f64_e32 v[172:173], v[150:151], v[4:5]
	ds_load_b128 v[4:7], v2 offset:1440
	ds_load_b128 v[148:151], v2 offset:1456
	scratch_load_b128 v[168:171], off, off offset:784
	v_fmac_f64_e32 v[174:175], v[158:159], v[8:9]
	v_fma_f64 v[156:157], v[156:157], v[8:9], -v[10:11]
	scratch_load_b128 v[8:11], off, off offset:800
	s_wait_loadcnt_dscnt 0xc01
	v_mul_f64_e32 v[178:179], v[4:5], v[14:15]
	v_mul_f64_e32 v[14:15], v[6:7], v[14:15]
	v_add_f64_e32 v[158:159], 0, v[176:177]
	v_add_f64_e32 v[172:173], 0, v[172:173]
	s_wait_loadcnt_dscnt 0xb00
	v_mul_f64_e32 v[176:177], v[148:149], v[18:19]
	v_mul_f64_e32 v[18:19], v[150:151], v[18:19]
	v_fmac_f64_e32 v[178:179], v[6:7], v[12:13]
	v_fma_f64 v[180:181], v[4:5], v[12:13], -v[14:15]
	ds_load_b128 v[4:7], v2 offset:1472
	ds_load_b128 v[12:15], v2 offset:1488
	v_add_f64_e32 v[156:157], v[158:159], v[156:157]
	v_add_f64_e32 v[158:159], v[172:173], v[174:175]
	v_fmac_f64_e32 v[176:177], v[150:151], v[16:17]
	v_fma_f64 v[16:17], v[148:149], v[16:17], -v[18:19]
	s_wait_loadcnt_dscnt 0xa01
	v_mul_f64_e32 v[172:173], v[4:5], v[22:23]
	v_mul_f64_e32 v[22:23], v[6:7], v[22:23]
	s_wait_loadcnt_dscnt 0x900
	v_mul_f64_e32 v[150:151], v[12:13], v[130:131]
	v_mul_f64_e32 v[130:131], v[14:15], v[130:131]
	v_add_f64_e32 v[18:19], v[156:157], v[180:181]
	v_add_f64_e32 v[148:149], v[158:159], v[178:179]
	v_fmac_f64_e32 v[172:173], v[6:7], v[20:21]
	v_fma_f64 v[20:21], v[4:5], v[20:21], -v[22:23]
	v_fmac_f64_e32 v[150:151], v[14:15], v[128:129]
	v_fma_f64 v[12:13], v[12:13], v[128:129], -v[130:131]
	v_add_f64_e32 v[22:23], v[18:19], v[16:17]
	v_add_f64_e32 v[148:149], v[148:149], v[176:177]
	ds_load_b128 v[4:7], v2 offset:1504
	ds_load_b128 v[16:19], v2 offset:1520
	s_wait_loadcnt_dscnt 0x801
	v_mul_f64_e32 v[156:157], v[4:5], v[134:135]
	v_mul_f64_e32 v[134:135], v[6:7], v[134:135]
	s_wait_loadcnt_dscnt 0x700
	v_mul_f64_e32 v[128:129], v[18:19], v[138:139]
	v_add_f64_e32 v[14:15], v[22:23], v[20:21]
	v_add_f64_e32 v[20:21], v[148:149], v[172:173]
	v_mul_f64_e32 v[22:23], v[16:17], v[138:139]
	v_fmac_f64_e32 v[156:157], v[6:7], v[132:133]
	v_fma_f64 v[130:131], v[4:5], v[132:133], -v[134:135]
	v_fma_f64 v[16:17], v[16:17], v[136:137], -v[128:129]
	v_add_f64_e32 v[132:133], v[14:15], v[12:13]
	v_add_f64_e32 v[20:21], v[20:21], v[150:151]
	ds_load_b128 v[4:7], v2 offset:1536
	ds_load_b128 v[12:15], v2 offset:1552
	v_fmac_f64_e32 v[22:23], v[18:19], v[136:137]
	s_wait_loadcnt_dscnt 0x601
	v_mul_f64_e32 v[134:135], v[4:5], v[142:143]
	v_mul_f64_e32 v[138:139], v[6:7], v[142:143]
	s_wait_loadcnt_dscnt 0x500
	v_mul_f64_e32 v[128:129], v[12:13], v[146:147]
	v_add_f64_e32 v[18:19], v[132:133], v[130:131]
	v_add_f64_e32 v[20:21], v[20:21], v[156:157]
	v_mul_f64_e32 v[130:131], v[14:15], v[146:147]
	v_fmac_f64_e32 v[134:135], v[6:7], v[140:141]
	v_fma_f64 v[132:133], v[4:5], v[140:141], -v[138:139]
	v_fmac_f64_e32 v[128:129], v[14:15], v[144:145]
	v_add_f64_e32 v[136:137], v[18:19], v[16:17]
	v_add_f64_e32 v[20:21], v[20:21], v[22:23]
	ds_load_b128 v[4:7], v2 offset:1568
	ds_load_b128 v[16:19], v2 offset:1584
	v_fma_f64 v[12:13], v[12:13], v[144:145], -v[130:131]
	s_wait_loadcnt_dscnt 0x401
	v_mul_f64_e32 v[22:23], v[4:5], v[154:155]
	v_mul_f64_e32 v[138:139], v[6:7], v[154:155]
	s_wait_loadcnt_dscnt 0x200
	v_mul_f64_e32 v[130:131], v[16:17], v[166:167]
	v_add_f64_e32 v[14:15], v[136:137], v[132:133]
	v_add_f64_e32 v[20:21], v[20:21], v[134:135]
	v_mul_f64_e32 v[132:133], v[18:19], v[166:167]
	v_fmac_f64_e32 v[22:23], v[6:7], v[152:153]
	v_fma_f64 v[134:135], v[4:5], v[152:153], -v[138:139]
	v_fmac_f64_e32 v[130:131], v[18:19], v[164:165]
	v_add_f64_e32 v[136:137], v[14:15], v[12:13]
	v_add_f64_e32 v[20:21], v[20:21], v[128:129]
	ds_load_b128 v[4:7], v2 offset:1600
	ds_load_b128 v[12:15], v2 offset:1616
	v_fma_f64 v[16:17], v[16:17], v[164:165], -v[132:133]
	s_wait_loadcnt_dscnt 0x101
	v_mul_f64_e32 v[2:3], v[4:5], v[170:171]
	v_mul_f64_e32 v[128:129], v[6:7], v[170:171]
	v_add_f64_e32 v[18:19], v[136:137], v[134:135]
	v_add_f64_e32 v[20:21], v[20:21], v[22:23]
	s_wait_loadcnt_dscnt 0x0
	v_mul_f64_e32 v[22:23], v[12:13], v[10:11]
	v_mul_f64_e32 v[10:11], v[14:15], v[10:11]
	v_fmac_f64_e32 v[2:3], v[6:7], v[168:169]
	v_fma_f64 v[4:5], v[4:5], v[168:169], -v[128:129]
	v_add_f64_e32 v[6:7], v[18:19], v[16:17]
	v_add_f64_e32 v[16:17], v[20:21], v[130:131]
	v_fmac_f64_e32 v[22:23], v[14:15], v[8:9]
	v_fma_f64 v[8:9], v[12:13], v[8:9], -v[10:11]
	s_delay_alu instid0(VALU_DEP_4) | instskip(NEXT) | instid1(VALU_DEP_4)
	v_add_f64_e32 v[4:5], v[6:7], v[4:5]
	v_add_f64_e32 v[2:3], v[16:17], v[2:3]
	s_delay_alu instid0(VALU_DEP_2) | instskip(NEXT) | instid1(VALU_DEP_2)
	v_add_f64_e32 v[4:5], v[4:5], v[8:9]
	v_add_f64_e32 v[6:7], v[2:3], v[22:23]
	s_delay_alu instid0(VALU_DEP_2) | instskip(NEXT) | instid1(VALU_DEP_2)
	v_add_f64_e64 v[2:3], v[160:161], -v[4:5]
	v_add_f64_e64 v[4:5], v[162:163], -v[6:7]
	scratch_store_b128 off, v[2:5], off offset:576
	s_wait_xcnt 0x0
	v_cmpx_lt_u32_e32 35, v1
	s_cbranch_execz .LBB50_249
; %bb.248:
	scratch_load_b128 v[2:5], off, s26
	v_mov_b32_e32 v6, 0
	s_delay_alu instid0(VALU_DEP_1)
	v_dual_mov_b32 v7, v6 :: v_dual_mov_b32 v8, v6
	v_mov_b32_e32 v9, v6
	scratch_store_b128 off, v[6:9], off offset:560
	s_wait_loadcnt 0x0
	ds_store_b128 v126, v[2:5]
.LBB50_249:
	s_wait_xcnt 0x0
	s_or_b32 exec_lo, exec_lo, s2
	s_wait_storecnt_dscnt 0x0
	s_barrier_signal -1
	s_barrier_wait -1
	s_clause 0x9
	scratch_load_b128 v[4:7], off, off offset:576
	scratch_load_b128 v[8:11], off, off offset:592
	;; [unrolled: 1-line block ×10, first 2 shown]
	v_mov_b32_e32 v2, 0
	s_mov_b32 s2, exec_lo
	ds_load_b128 v[148:151], v2 offset:1392
	s_clause 0x2
	scratch_load_b128 v[152:155], off, off offset:736
	scratch_load_b128 v[156:159], off, off offset:560
	scratch_load_b128 v[164:167], off, off offset:752
	s_wait_loadcnt_dscnt 0xc00
	v_mul_f64_e32 v[168:169], v[150:151], v[6:7]
	v_mul_f64_e32 v[172:173], v[148:149], v[6:7]
	ds_load_b128 v[160:163], v2 offset:1408
	v_fma_f64 v[176:177], v[148:149], v[4:5], -v[168:169]
	v_fmac_f64_e32 v[172:173], v[150:151], v[4:5]
	ds_load_b128 v[4:7], v2 offset:1424
	s_wait_loadcnt_dscnt 0xb01
	v_mul_f64_e32 v[174:175], v[160:161], v[10:11]
	v_mul_f64_e32 v[10:11], v[162:163], v[10:11]
	scratch_load_b128 v[148:151], off, off offset:768
	ds_load_b128 v[168:171], v2 offset:1440
	s_wait_loadcnt_dscnt 0xb01
	v_mul_f64_e32 v[178:179], v[4:5], v[14:15]
	v_mul_f64_e32 v[14:15], v[6:7], v[14:15]
	v_add_f64_e32 v[172:173], 0, v[172:173]
	v_fmac_f64_e32 v[174:175], v[162:163], v[8:9]
	v_fma_f64 v[160:161], v[160:161], v[8:9], -v[10:11]
	v_add_f64_e32 v[162:163], 0, v[176:177]
	scratch_load_b128 v[8:11], off, off offset:784
	v_fmac_f64_e32 v[178:179], v[6:7], v[12:13]
	v_fma_f64 v[180:181], v[4:5], v[12:13], -v[14:15]
	ds_load_b128 v[4:7], v2 offset:1456
	s_wait_loadcnt_dscnt 0xb01
	v_mul_f64_e32 v[176:177], v[168:169], v[18:19]
	v_mul_f64_e32 v[18:19], v[170:171], v[18:19]
	scratch_load_b128 v[12:15], off, off offset:800
	v_add_f64_e32 v[172:173], v[172:173], v[174:175]
	v_add_f64_e32 v[182:183], v[162:163], v[160:161]
	ds_load_b128 v[160:163], v2 offset:1472
	s_wait_loadcnt_dscnt 0xb01
	v_mul_f64_e32 v[174:175], v[4:5], v[22:23]
	v_mul_f64_e32 v[22:23], v[6:7], v[22:23]
	v_fmac_f64_e32 v[176:177], v[170:171], v[16:17]
	v_fma_f64 v[16:17], v[168:169], v[16:17], -v[18:19]
	s_wait_loadcnt_dscnt 0xa00
	v_mul_f64_e32 v[170:171], v[160:161], v[130:131]
	v_mul_f64_e32 v[130:131], v[162:163], v[130:131]
	v_add_f64_e32 v[168:169], v[172:173], v[178:179]
	v_add_f64_e32 v[18:19], v[182:183], v[180:181]
	v_fmac_f64_e32 v[174:175], v[6:7], v[20:21]
	v_fma_f64 v[20:21], v[4:5], v[20:21], -v[22:23]
	v_fmac_f64_e32 v[170:171], v[162:163], v[128:129]
	v_fma_f64 v[128:129], v[160:161], v[128:129], -v[130:131]
	v_add_f64_e32 v[168:169], v[168:169], v[176:177]
	v_add_f64_e32 v[22:23], v[18:19], v[16:17]
	ds_load_b128 v[4:7], v2 offset:1488
	ds_load_b128 v[16:19], v2 offset:1504
	s_wait_loadcnt_dscnt 0x901
	v_mul_f64_e32 v[172:173], v[4:5], v[134:135]
	v_mul_f64_e32 v[134:135], v[6:7], v[134:135]
	s_wait_loadcnt_dscnt 0x800
	v_mul_f64_e32 v[130:131], v[16:17], v[138:139]
	v_mul_f64_e32 v[138:139], v[18:19], v[138:139]
	v_add_f64_e32 v[20:21], v[22:23], v[20:21]
	v_add_f64_e32 v[22:23], v[168:169], v[174:175]
	v_fmac_f64_e32 v[172:173], v[6:7], v[132:133]
	v_fma_f64 v[132:133], v[4:5], v[132:133], -v[134:135]
	v_fmac_f64_e32 v[130:131], v[18:19], v[136:137]
	v_fma_f64 v[16:17], v[16:17], v[136:137], -v[138:139]
	v_add_f64_e32 v[128:129], v[20:21], v[128:129]
	v_add_f64_e32 v[134:135], v[22:23], v[170:171]
	ds_load_b128 v[4:7], v2 offset:1520
	ds_load_b128 v[20:23], v2 offset:1536
	s_wait_loadcnt_dscnt 0x701
	v_mul_f64_e32 v[160:161], v[4:5], v[142:143]
	v_mul_f64_e32 v[142:143], v[6:7], v[142:143]
	v_add_f64_e32 v[18:19], v[128:129], v[132:133]
	v_add_f64_e32 v[128:129], v[134:135], v[172:173]
	s_wait_loadcnt_dscnt 0x600
	v_mul_f64_e32 v[132:133], v[20:21], v[146:147]
	v_mul_f64_e32 v[134:135], v[22:23], v[146:147]
	v_fmac_f64_e32 v[160:161], v[6:7], v[140:141]
	v_fma_f64 v[136:137], v[4:5], v[140:141], -v[142:143]
	v_add_f64_e32 v[138:139], v[18:19], v[16:17]
	v_add_f64_e32 v[128:129], v[128:129], v[130:131]
	ds_load_b128 v[4:7], v2 offset:1552
	ds_load_b128 v[16:19], v2 offset:1568
	v_fmac_f64_e32 v[132:133], v[22:23], v[144:145]
	v_fma_f64 v[20:21], v[20:21], v[144:145], -v[134:135]
	s_wait_loadcnt_dscnt 0x501
	v_mul_f64_e32 v[130:131], v[4:5], v[154:155]
	v_mul_f64_e32 v[140:141], v[6:7], v[154:155]
	s_wait_loadcnt_dscnt 0x300
	v_mul_f64_e32 v[134:135], v[16:17], v[166:167]
	v_add_f64_e32 v[22:23], v[138:139], v[136:137]
	v_add_f64_e32 v[128:129], v[128:129], v[160:161]
	v_mul_f64_e32 v[136:137], v[18:19], v[166:167]
	v_fmac_f64_e32 v[130:131], v[6:7], v[152:153]
	v_fma_f64 v[138:139], v[4:5], v[152:153], -v[140:141]
	v_fmac_f64_e32 v[134:135], v[18:19], v[164:165]
	v_add_f64_e32 v[140:141], v[22:23], v[20:21]
	v_add_f64_e32 v[128:129], v[128:129], v[132:133]
	ds_load_b128 v[4:7], v2 offset:1584
	ds_load_b128 v[20:23], v2 offset:1600
	v_fma_f64 v[16:17], v[16:17], v[164:165], -v[136:137]
	s_wait_loadcnt_dscnt 0x201
	v_mul_f64_e32 v[132:133], v[4:5], v[150:151]
	v_mul_f64_e32 v[142:143], v[6:7], v[150:151]
	v_add_f64_e32 v[18:19], v[140:141], v[138:139]
	v_add_f64_e32 v[128:129], v[128:129], v[130:131]
	s_wait_loadcnt_dscnt 0x100
	v_mul_f64_e32 v[130:131], v[20:21], v[10:11]
	v_mul_f64_e32 v[10:11], v[22:23], v[10:11]
	v_fmac_f64_e32 v[132:133], v[6:7], v[148:149]
	v_fma_f64 v[136:137], v[4:5], v[148:149], -v[142:143]
	ds_load_b128 v[4:7], v2 offset:1616
	v_add_f64_e32 v[16:17], v[18:19], v[16:17]
	v_add_f64_e32 v[18:19], v[128:129], v[134:135]
	v_fmac_f64_e32 v[130:131], v[22:23], v[8:9]
	v_fma_f64 v[8:9], v[20:21], v[8:9], -v[10:11]
	s_wait_loadcnt_dscnt 0x0
	v_mul_f64_e32 v[128:129], v[4:5], v[14:15]
	v_mul_f64_e32 v[14:15], v[6:7], v[14:15]
	v_add_f64_e32 v[10:11], v[16:17], v[136:137]
	v_add_f64_e32 v[16:17], v[18:19], v[132:133]
	s_delay_alu instid0(VALU_DEP_4) | instskip(NEXT) | instid1(VALU_DEP_4)
	v_fmac_f64_e32 v[128:129], v[6:7], v[12:13]
	v_fma_f64 v[4:5], v[4:5], v[12:13], -v[14:15]
	s_delay_alu instid0(VALU_DEP_4) | instskip(NEXT) | instid1(VALU_DEP_4)
	v_add_f64_e32 v[6:7], v[10:11], v[8:9]
	v_add_f64_e32 v[8:9], v[16:17], v[130:131]
	s_delay_alu instid0(VALU_DEP_2) | instskip(NEXT) | instid1(VALU_DEP_2)
	v_add_f64_e32 v[4:5], v[6:7], v[4:5]
	v_add_f64_e32 v[6:7], v[8:9], v[128:129]
	s_delay_alu instid0(VALU_DEP_2) | instskip(NEXT) | instid1(VALU_DEP_2)
	v_add_f64_e64 v[4:5], v[156:157], -v[4:5]
	v_add_f64_e64 v[6:7], v[158:159], -v[6:7]
	scratch_store_b128 off, v[4:7], off offset:560
	s_wait_xcnt 0x0
	v_cmpx_lt_u32_e32 34, v1
	s_cbranch_execz .LBB50_251
; %bb.250:
	scratch_load_b128 v[6:9], off, s29
	v_dual_mov_b32 v3, v2 :: v_dual_mov_b32 v4, v2
	v_mov_b32_e32 v5, v2
	scratch_store_b128 off, v[2:5], off offset:544
	s_wait_loadcnt 0x0
	ds_store_b128 v126, v[6:9]
.LBB50_251:
	s_wait_xcnt 0x0
	s_or_b32 exec_lo, exec_lo, s2
	s_wait_storecnt_dscnt 0x0
	s_barrier_signal -1
	s_barrier_wait -1
	s_clause 0x9
	scratch_load_b128 v[4:7], off, off offset:560
	scratch_load_b128 v[8:11], off, off offset:576
	;; [unrolled: 1-line block ×10, first 2 shown]
	ds_load_b128 v[148:151], v2 offset:1376
	ds_load_b128 v[156:159], v2 offset:1392
	s_clause 0x2
	scratch_load_b128 v[152:155], off, off offset:720
	scratch_load_b128 v[160:163], off, off offset:544
	;; [unrolled: 1-line block ×3, first 2 shown]
	s_mov_b32 s2, exec_lo
	s_wait_loadcnt_dscnt 0xc01
	v_mul_f64_e32 v[168:169], v[150:151], v[6:7]
	v_mul_f64_e32 v[172:173], v[148:149], v[6:7]
	s_wait_loadcnt_dscnt 0xb00
	v_mul_f64_e32 v[174:175], v[156:157], v[10:11]
	v_mul_f64_e32 v[10:11], v[158:159], v[10:11]
	s_delay_alu instid0(VALU_DEP_4) | instskip(NEXT) | instid1(VALU_DEP_4)
	v_fma_f64 v[176:177], v[148:149], v[4:5], -v[168:169]
	v_fmac_f64_e32 v[172:173], v[150:151], v[4:5]
	ds_load_b128 v[4:7], v2 offset:1408
	ds_load_b128 v[148:151], v2 offset:1424
	scratch_load_b128 v[168:171], off, off offset:752
	v_fmac_f64_e32 v[174:175], v[158:159], v[8:9]
	v_fma_f64 v[156:157], v[156:157], v[8:9], -v[10:11]
	scratch_load_b128 v[8:11], off, off offset:768
	s_wait_loadcnt_dscnt 0xc01
	v_mul_f64_e32 v[178:179], v[4:5], v[14:15]
	v_mul_f64_e32 v[14:15], v[6:7], v[14:15]
	v_add_f64_e32 v[158:159], 0, v[176:177]
	v_add_f64_e32 v[172:173], 0, v[172:173]
	s_wait_loadcnt_dscnt 0xb00
	v_mul_f64_e32 v[176:177], v[148:149], v[18:19]
	v_mul_f64_e32 v[18:19], v[150:151], v[18:19]
	v_fmac_f64_e32 v[178:179], v[6:7], v[12:13]
	v_fma_f64 v[180:181], v[4:5], v[12:13], -v[14:15]
	ds_load_b128 v[4:7], v2 offset:1440
	ds_load_b128 v[12:15], v2 offset:1456
	v_add_f64_e32 v[182:183], v[158:159], v[156:157]
	v_add_f64_e32 v[172:173], v[172:173], v[174:175]
	scratch_load_b128 v[156:159], off, off offset:784
	v_fmac_f64_e32 v[176:177], v[150:151], v[16:17]
	v_fma_f64 v[148:149], v[148:149], v[16:17], -v[18:19]
	scratch_load_b128 v[16:19], off, off offset:800
	s_wait_loadcnt_dscnt 0xc01
	v_mul_f64_e32 v[174:175], v[4:5], v[22:23]
	v_mul_f64_e32 v[22:23], v[6:7], v[22:23]
	v_add_f64_e32 v[150:151], v[182:183], v[180:181]
	v_add_f64_e32 v[172:173], v[172:173], v[178:179]
	s_wait_loadcnt_dscnt 0xb00
	v_mul_f64_e32 v[178:179], v[12:13], v[130:131]
	v_mul_f64_e32 v[130:131], v[14:15], v[130:131]
	v_fmac_f64_e32 v[174:175], v[6:7], v[20:21]
	v_fma_f64 v[180:181], v[4:5], v[20:21], -v[22:23]
	ds_load_b128 v[4:7], v2 offset:1472
	ds_load_b128 v[20:23], v2 offset:1488
	v_add_f64_e32 v[148:149], v[150:151], v[148:149]
	v_add_f64_e32 v[150:151], v[172:173], v[176:177]
	s_wait_loadcnt_dscnt 0xa01
	v_mul_f64_e32 v[172:173], v[4:5], v[134:135]
	v_mul_f64_e32 v[134:135], v[6:7], v[134:135]
	v_fmac_f64_e32 v[178:179], v[14:15], v[128:129]
	v_fma_f64 v[12:13], v[12:13], v[128:129], -v[130:131]
	s_wait_loadcnt_dscnt 0x900
	v_mul_f64_e32 v[130:131], v[20:21], v[138:139]
	v_mul_f64_e32 v[138:139], v[22:23], v[138:139]
	v_add_f64_e32 v[14:15], v[148:149], v[180:181]
	v_add_f64_e32 v[128:129], v[150:151], v[174:175]
	v_fmac_f64_e32 v[172:173], v[6:7], v[132:133]
	v_fma_f64 v[132:133], v[4:5], v[132:133], -v[134:135]
	v_fmac_f64_e32 v[130:131], v[22:23], v[136:137]
	v_fma_f64 v[20:21], v[20:21], v[136:137], -v[138:139]
	v_add_f64_e32 v[134:135], v[14:15], v[12:13]
	v_add_f64_e32 v[128:129], v[128:129], v[178:179]
	ds_load_b128 v[4:7], v2 offset:1504
	ds_load_b128 v[12:15], v2 offset:1520
	s_wait_loadcnt_dscnt 0x801
	v_mul_f64_e32 v[148:149], v[4:5], v[142:143]
	v_mul_f64_e32 v[142:143], v[6:7], v[142:143]
	v_add_f64_e32 v[22:23], v[134:135], v[132:133]
	v_add_f64_e32 v[128:129], v[128:129], v[172:173]
	s_wait_loadcnt_dscnt 0x700
	v_mul_f64_e32 v[132:133], v[12:13], v[146:147]
	v_mul_f64_e32 v[134:135], v[14:15], v[146:147]
	v_fmac_f64_e32 v[148:149], v[6:7], v[140:141]
	v_fma_f64 v[136:137], v[4:5], v[140:141], -v[142:143]
	v_add_f64_e32 v[138:139], v[22:23], v[20:21]
	v_add_f64_e32 v[128:129], v[128:129], v[130:131]
	ds_load_b128 v[4:7], v2 offset:1536
	ds_load_b128 v[20:23], v2 offset:1552
	v_fmac_f64_e32 v[132:133], v[14:15], v[144:145]
	v_fma_f64 v[12:13], v[12:13], v[144:145], -v[134:135]
	s_wait_loadcnt_dscnt 0x601
	v_mul_f64_e32 v[130:131], v[4:5], v[154:155]
	v_mul_f64_e32 v[140:141], v[6:7], v[154:155]
	s_wait_loadcnt_dscnt 0x400
	v_mul_f64_e32 v[134:135], v[20:21], v[166:167]
	v_add_f64_e32 v[14:15], v[138:139], v[136:137]
	v_add_f64_e32 v[128:129], v[128:129], v[148:149]
	v_mul_f64_e32 v[136:137], v[22:23], v[166:167]
	v_fmac_f64_e32 v[130:131], v[6:7], v[152:153]
	v_fma_f64 v[138:139], v[4:5], v[152:153], -v[140:141]
	v_fmac_f64_e32 v[134:135], v[22:23], v[164:165]
	v_add_f64_e32 v[140:141], v[14:15], v[12:13]
	v_add_f64_e32 v[128:129], v[128:129], v[132:133]
	ds_load_b128 v[4:7], v2 offset:1568
	ds_load_b128 v[12:15], v2 offset:1584
	v_fma_f64 v[20:21], v[20:21], v[164:165], -v[136:137]
	s_wait_loadcnt_dscnt 0x301
	v_mul_f64_e32 v[132:133], v[4:5], v[170:171]
	v_mul_f64_e32 v[142:143], v[6:7], v[170:171]
	v_add_f64_e32 v[22:23], v[140:141], v[138:139]
	v_add_f64_e32 v[128:129], v[128:129], v[130:131]
	s_wait_loadcnt_dscnt 0x200
	v_mul_f64_e32 v[130:131], v[12:13], v[10:11]
	v_mul_f64_e32 v[10:11], v[14:15], v[10:11]
	v_fmac_f64_e32 v[132:133], v[6:7], v[168:169]
	v_fma_f64 v[136:137], v[4:5], v[168:169], -v[142:143]
	v_add_f64_e32 v[138:139], v[22:23], v[20:21]
	v_add_f64_e32 v[128:129], v[128:129], v[134:135]
	ds_load_b128 v[4:7], v2 offset:1600
	ds_load_b128 v[20:23], v2 offset:1616
	v_fmac_f64_e32 v[130:131], v[14:15], v[8:9]
	v_fma_f64 v[8:9], v[12:13], v[8:9], -v[10:11]
	s_wait_loadcnt_dscnt 0x101
	v_mul_f64_e32 v[2:3], v[4:5], v[158:159]
	v_mul_f64_e32 v[134:135], v[6:7], v[158:159]
	s_wait_loadcnt_dscnt 0x0
	v_mul_f64_e32 v[14:15], v[20:21], v[18:19]
	v_mul_f64_e32 v[18:19], v[22:23], v[18:19]
	v_add_f64_e32 v[10:11], v[138:139], v[136:137]
	v_add_f64_e32 v[12:13], v[128:129], v[132:133]
	v_fmac_f64_e32 v[2:3], v[6:7], v[156:157]
	v_fma_f64 v[4:5], v[4:5], v[156:157], -v[134:135]
	v_fmac_f64_e32 v[14:15], v[22:23], v[16:17]
	v_add_f64_e32 v[6:7], v[10:11], v[8:9]
	v_add_f64_e32 v[8:9], v[12:13], v[130:131]
	v_fma_f64 v[10:11], v[20:21], v[16:17], -v[18:19]
	s_delay_alu instid0(VALU_DEP_3) | instskip(NEXT) | instid1(VALU_DEP_3)
	v_add_f64_e32 v[4:5], v[6:7], v[4:5]
	v_add_f64_e32 v[2:3], v[8:9], v[2:3]
	s_delay_alu instid0(VALU_DEP_2) | instskip(NEXT) | instid1(VALU_DEP_2)
	v_add_f64_e32 v[4:5], v[4:5], v[10:11]
	v_add_f64_e32 v[6:7], v[2:3], v[14:15]
	s_delay_alu instid0(VALU_DEP_2) | instskip(NEXT) | instid1(VALU_DEP_2)
	v_add_f64_e64 v[2:3], v[160:161], -v[4:5]
	v_add_f64_e64 v[4:5], v[162:163], -v[6:7]
	scratch_store_b128 off, v[2:5], off offset:544
	s_wait_xcnt 0x0
	v_cmpx_lt_u32_e32 33, v1
	s_cbranch_execz .LBB50_253
; %bb.252:
	scratch_load_b128 v[2:5], off, s28
	v_mov_b32_e32 v6, 0
	s_delay_alu instid0(VALU_DEP_1)
	v_dual_mov_b32 v7, v6 :: v_dual_mov_b32 v8, v6
	v_mov_b32_e32 v9, v6
	scratch_store_b128 off, v[6:9], off offset:528
	s_wait_loadcnt 0x0
	ds_store_b128 v126, v[2:5]
.LBB50_253:
	s_wait_xcnt 0x0
	s_or_b32 exec_lo, exec_lo, s2
	s_wait_storecnt_dscnt 0x0
	s_barrier_signal -1
	s_barrier_wait -1
	s_clause 0x9
	scratch_load_b128 v[4:7], off, off offset:544
	scratch_load_b128 v[8:11], off, off offset:560
	;; [unrolled: 1-line block ×10, first 2 shown]
	v_mov_b32_e32 v2, 0
	s_mov_b32 s2, exec_lo
	ds_load_b128 v[148:151], v2 offset:1360
	s_clause 0x2
	scratch_load_b128 v[152:155], off, off offset:704
	scratch_load_b128 v[156:159], off, off offset:528
	;; [unrolled: 1-line block ×3, first 2 shown]
	s_wait_loadcnt_dscnt 0xc00
	v_mul_f64_e32 v[168:169], v[150:151], v[6:7]
	v_mul_f64_e32 v[172:173], v[148:149], v[6:7]
	ds_load_b128 v[160:163], v2 offset:1376
	v_fma_f64 v[176:177], v[148:149], v[4:5], -v[168:169]
	v_fmac_f64_e32 v[172:173], v[150:151], v[4:5]
	ds_load_b128 v[4:7], v2 offset:1392
	s_wait_loadcnt_dscnt 0xb01
	v_mul_f64_e32 v[174:175], v[160:161], v[10:11]
	v_mul_f64_e32 v[10:11], v[162:163], v[10:11]
	scratch_load_b128 v[148:151], off, off offset:736
	ds_load_b128 v[168:171], v2 offset:1408
	s_wait_loadcnt_dscnt 0xb01
	v_mul_f64_e32 v[178:179], v[4:5], v[14:15]
	v_mul_f64_e32 v[14:15], v[6:7], v[14:15]
	v_add_f64_e32 v[172:173], 0, v[172:173]
	v_fmac_f64_e32 v[174:175], v[162:163], v[8:9]
	v_fma_f64 v[160:161], v[160:161], v[8:9], -v[10:11]
	v_add_f64_e32 v[162:163], 0, v[176:177]
	scratch_load_b128 v[8:11], off, off offset:752
	v_fmac_f64_e32 v[178:179], v[6:7], v[12:13]
	v_fma_f64 v[180:181], v[4:5], v[12:13], -v[14:15]
	ds_load_b128 v[4:7], v2 offset:1424
	s_wait_loadcnt_dscnt 0xb01
	v_mul_f64_e32 v[176:177], v[168:169], v[18:19]
	v_mul_f64_e32 v[18:19], v[170:171], v[18:19]
	scratch_load_b128 v[12:15], off, off offset:768
	v_add_f64_e32 v[172:173], v[172:173], v[174:175]
	v_add_f64_e32 v[182:183], v[162:163], v[160:161]
	ds_load_b128 v[160:163], v2 offset:1440
	s_wait_loadcnt_dscnt 0xb01
	v_mul_f64_e32 v[174:175], v[4:5], v[22:23]
	v_mul_f64_e32 v[22:23], v[6:7], v[22:23]
	v_fmac_f64_e32 v[176:177], v[170:171], v[16:17]
	v_fma_f64 v[168:169], v[168:169], v[16:17], -v[18:19]
	scratch_load_b128 v[16:19], off, off offset:784
	v_add_f64_e32 v[172:173], v[172:173], v[178:179]
	v_add_f64_e32 v[170:171], v[182:183], v[180:181]
	v_fmac_f64_e32 v[174:175], v[6:7], v[20:21]
	v_fma_f64 v[180:181], v[4:5], v[20:21], -v[22:23]
	ds_load_b128 v[4:7], v2 offset:1456
	s_wait_loadcnt_dscnt 0xb01
	v_mul_f64_e32 v[178:179], v[160:161], v[130:131]
	v_mul_f64_e32 v[130:131], v[162:163], v[130:131]
	scratch_load_b128 v[20:23], off, off offset:800
	v_add_f64_e32 v[172:173], v[172:173], v[176:177]
	s_wait_loadcnt_dscnt 0xb00
	v_mul_f64_e32 v[176:177], v[4:5], v[134:135]
	v_add_f64_e32 v[182:183], v[170:171], v[168:169]
	v_mul_f64_e32 v[134:135], v[6:7], v[134:135]
	ds_load_b128 v[168:171], v2 offset:1472
	v_fmac_f64_e32 v[178:179], v[162:163], v[128:129]
	v_fma_f64 v[128:129], v[160:161], v[128:129], -v[130:131]
	s_wait_loadcnt_dscnt 0xa00
	v_mul_f64_e32 v[162:163], v[168:169], v[138:139]
	v_mul_f64_e32 v[138:139], v[170:171], v[138:139]
	v_add_f64_e32 v[160:161], v[172:173], v[174:175]
	v_fmac_f64_e32 v[176:177], v[6:7], v[132:133]
	v_add_f64_e32 v[130:131], v[182:183], v[180:181]
	v_fma_f64 v[132:133], v[4:5], v[132:133], -v[134:135]
	v_fmac_f64_e32 v[162:163], v[170:171], v[136:137]
	v_fma_f64 v[136:137], v[168:169], v[136:137], -v[138:139]
	v_add_f64_e32 v[160:161], v[160:161], v[178:179]
	v_add_f64_e32 v[134:135], v[130:131], v[128:129]
	ds_load_b128 v[4:7], v2 offset:1488
	ds_load_b128 v[128:131], v2 offset:1504
	s_wait_loadcnt_dscnt 0x901
	v_mul_f64_e32 v[172:173], v[4:5], v[142:143]
	v_mul_f64_e32 v[142:143], v[6:7], v[142:143]
	s_wait_loadcnt_dscnt 0x800
	v_mul_f64_e32 v[138:139], v[128:129], v[146:147]
	v_mul_f64_e32 v[146:147], v[130:131], v[146:147]
	v_add_f64_e32 v[132:133], v[134:135], v[132:133]
	v_add_f64_e32 v[134:135], v[160:161], v[176:177]
	v_fmac_f64_e32 v[172:173], v[6:7], v[140:141]
	v_fma_f64 v[140:141], v[4:5], v[140:141], -v[142:143]
	v_fmac_f64_e32 v[138:139], v[130:131], v[144:145]
	v_fma_f64 v[128:129], v[128:129], v[144:145], -v[146:147]
	v_add_f64_e32 v[136:137], v[132:133], v[136:137]
	v_add_f64_e32 v[142:143], v[134:135], v[162:163]
	ds_load_b128 v[4:7], v2 offset:1520
	ds_load_b128 v[132:135], v2 offset:1536
	s_wait_loadcnt_dscnt 0x701
	v_mul_f64_e32 v[160:161], v[4:5], v[154:155]
	v_mul_f64_e32 v[154:155], v[6:7], v[154:155]
	v_add_f64_e32 v[130:131], v[136:137], v[140:141]
	v_add_f64_e32 v[136:137], v[142:143], v[172:173]
	s_wait_loadcnt_dscnt 0x500
	v_mul_f64_e32 v[140:141], v[132:133], v[166:167]
	v_mul_f64_e32 v[142:143], v[134:135], v[166:167]
	v_fmac_f64_e32 v[160:161], v[6:7], v[152:153]
	v_fma_f64 v[144:145], v[4:5], v[152:153], -v[154:155]
	v_add_f64_e32 v[146:147], v[130:131], v[128:129]
	v_add_f64_e32 v[136:137], v[136:137], v[138:139]
	ds_load_b128 v[4:7], v2 offset:1552
	ds_load_b128 v[128:131], v2 offset:1568
	v_fmac_f64_e32 v[140:141], v[134:135], v[164:165]
	v_fma_f64 v[132:133], v[132:133], v[164:165], -v[142:143]
	s_wait_loadcnt_dscnt 0x401
	v_mul_f64_e32 v[138:139], v[4:5], v[150:151]
	v_mul_f64_e32 v[150:151], v[6:7], v[150:151]
	v_add_f64_e32 v[134:135], v[146:147], v[144:145]
	v_add_f64_e32 v[136:137], v[136:137], v[160:161]
	s_wait_loadcnt_dscnt 0x300
	v_mul_f64_e32 v[142:143], v[128:129], v[10:11]
	v_mul_f64_e32 v[10:11], v[130:131], v[10:11]
	v_fmac_f64_e32 v[138:139], v[6:7], v[148:149]
	v_fma_f64 v[144:145], v[4:5], v[148:149], -v[150:151]
	v_add_f64_e32 v[146:147], v[134:135], v[132:133]
	v_add_f64_e32 v[136:137], v[136:137], v[140:141]
	ds_load_b128 v[4:7], v2 offset:1584
	ds_load_b128 v[132:135], v2 offset:1600
	v_fmac_f64_e32 v[142:143], v[130:131], v[8:9]
	v_fma_f64 v[8:9], v[128:129], v[8:9], -v[10:11]
	s_wait_loadcnt_dscnt 0x201
	v_mul_f64_e32 v[140:141], v[4:5], v[14:15]
	v_mul_f64_e32 v[14:15], v[6:7], v[14:15]
	s_wait_loadcnt_dscnt 0x100
	v_mul_f64_e32 v[130:131], v[132:133], v[18:19]
	v_mul_f64_e32 v[18:19], v[134:135], v[18:19]
	v_add_f64_e32 v[10:11], v[146:147], v[144:145]
	v_add_f64_e32 v[128:129], v[136:137], v[138:139]
	v_fmac_f64_e32 v[140:141], v[6:7], v[12:13]
	v_fma_f64 v[12:13], v[4:5], v[12:13], -v[14:15]
	ds_load_b128 v[4:7], v2 offset:1616
	v_fmac_f64_e32 v[130:131], v[134:135], v[16:17]
	v_fma_f64 v[16:17], v[132:133], v[16:17], -v[18:19]
	v_add_f64_e32 v[8:9], v[10:11], v[8:9]
	v_add_f64_e32 v[10:11], v[128:129], v[142:143]
	s_wait_loadcnt_dscnt 0x0
	v_mul_f64_e32 v[14:15], v[4:5], v[22:23]
	v_mul_f64_e32 v[22:23], v[6:7], v[22:23]
	s_delay_alu instid0(VALU_DEP_4) | instskip(NEXT) | instid1(VALU_DEP_4)
	v_add_f64_e32 v[8:9], v[8:9], v[12:13]
	v_add_f64_e32 v[10:11], v[10:11], v[140:141]
	s_delay_alu instid0(VALU_DEP_4) | instskip(NEXT) | instid1(VALU_DEP_4)
	v_fmac_f64_e32 v[14:15], v[6:7], v[20:21]
	v_fma_f64 v[4:5], v[4:5], v[20:21], -v[22:23]
	s_delay_alu instid0(VALU_DEP_4) | instskip(NEXT) | instid1(VALU_DEP_4)
	v_add_f64_e32 v[6:7], v[8:9], v[16:17]
	v_add_f64_e32 v[8:9], v[10:11], v[130:131]
	s_delay_alu instid0(VALU_DEP_2) | instskip(NEXT) | instid1(VALU_DEP_2)
	v_add_f64_e32 v[4:5], v[6:7], v[4:5]
	v_add_f64_e32 v[6:7], v[8:9], v[14:15]
	s_delay_alu instid0(VALU_DEP_2) | instskip(NEXT) | instid1(VALU_DEP_2)
	v_add_f64_e64 v[4:5], v[156:157], -v[4:5]
	v_add_f64_e64 v[6:7], v[158:159], -v[6:7]
	scratch_store_b128 off, v[4:7], off offset:528
	s_wait_xcnt 0x0
	v_cmpx_lt_u32_e32 32, v1
	s_cbranch_execz .LBB50_255
; %bb.254:
	scratch_load_b128 v[6:9], off, s31
	v_dual_mov_b32 v3, v2 :: v_dual_mov_b32 v4, v2
	v_mov_b32_e32 v5, v2
	scratch_store_b128 off, v[2:5], off offset:512
	s_wait_loadcnt 0x0
	ds_store_b128 v126, v[6:9]
.LBB50_255:
	s_wait_xcnt 0x0
	s_or_b32 exec_lo, exec_lo, s2
	s_wait_storecnt_dscnt 0x0
	s_barrier_signal -1
	s_barrier_wait -1
	s_clause 0x9
	scratch_load_b128 v[4:7], off, off offset:528
	scratch_load_b128 v[8:11], off, off offset:544
	;; [unrolled: 1-line block ×10, first 2 shown]
	ds_load_b128 v[148:151], v2 offset:1344
	ds_load_b128 v[156:159], v2 offset:1360
	s_clause 0x2
	scratch_load_b128 v[152:155], off, off offset:688
	scratch_load_b128 v[160:163], off, off offset:512
	;; [unrolled: 1-line block ×3, first 2 shown]
	s_mov_b32 s2, exec_lo
	s_wait_loadcnt_dscnt 0xc01
	v_mul_f64_e32 v[168:169], v[150:151], v[6:7]
	v_mul_f64_e32 v[172:173], v[148:149], v[6:7]
	s_wait_loadcnt_dscnt 0xb00
	v_mul_f64_e32 v[174:175], v[156:157], v[10:11]
	v_mul_f64_e32 v[10:11], v[158:159], v[10:11]
	s_delay_alu instid0(VALU_DEP_4) | instskip(NEXT) | instid1(VALU_DEP_4)
	v_fma_f64 v[176:177], v[148:149], v[4:5], -v[168:169]
	v_fmac_f64_e32 v[172:173], v[150:151], v[4:5]
	ds_load_b128 v[4:7], v2 offset:1376
	ds_load_b128 v[148:151], v2 offset:1392
	scratch_load_b128 v[168:171], off, off offset:720
	v_fmac_f64_e32 v[174:175], v[158:159], v[8:9]
	v_fma_f64 v[156:157], v[156:157], v[8:9], -v[10:11]
	scratch_load_b128 v[8:11], off, off offset:736
	s_wait_loadcnt_dscnt 0xc01
	v_mul_f64_e32 v[178:179], v[4:5], v[14:15]
	v_mul_f64_e32 v[14:15], v[6:7], v[14:15]
	v_add_f64_e32 v[158:159], 0, v[176:177]
	v_add_f64_e32 v[172:173], 0, v[172:173]
	s_wait_loadcnt_dscnt 0xb00
	v_mul_f64_e32 v[176:177], v[148:149], v[18:19]
	v_mul_f64_e32 v[18:19], v[150:151], v[18:19]
	v_fmac_f64_e32 v[178:179], v[6:7], v[12:13]
	v_fma_f64 v[180:181], v[4:5], v[12:13], -v[14:15]
	ds_load_b128 v[4:7], v2 offset:1408
	ds_load_b128 v[12:15], v2 offset:1424
	v_add_f64_e32 v[182:183], v[158:159], v[156:157]
	v_add_f64_e32 v[172:173], v[172:173], v[174:175]
	scratch_load_b128 v[156:159], off, off offset:752
	v_fmac_f64_e32 v[176:177], v[150:151], v[16:17]
	v_fma_f64 v[148:149], v[148:149], v[16:17], -v[18:19]
	scratch_load_b128 v[16:19], off, off offset:768
	s_wait_loadcnt_dscnt 0xc01
	v_mul_f64_e32 v[174:175], v[4:5], v[22:23]
	v_mul_f64_e32 v[22:23], v[6:7], v[22:23]
	v_add_f64_e32 v[150:151], v[182:183], v[180:181]
	v_add_f64_e32 v[172:173], v[172:173], v[178:179]
	s_wait_loadcnt_dscnt 0xb00
	v_mul_f64_e32 v[178:179], v[12:13], v[130:131]
	v_mul_f64_e32 v[130:131], v[14:15], v[130:131]
	v_fmac_f64_e32 v[174:175], v[6:7], v[20:21]
	v_fma_f64 v[180:181], v[4:5], v[20:21], -v[22:23]
	ds_load_b128 v[4:7], v2 offset:1440
	ds_load_b128 v[20:23], v2 offset:1456
	v_add_f64_e32 v[182:183], v[150:151], v[148:149]
	v_add_f64_e32 v[172:173], v[172:173], v[176:177]
	scratch_load_b128 v[148:151], off, off offset:784
	s_wait_loadcnt_dscnt 0xb01
	v_mul_f64_e32 v[176:177], v[4:5], v[134:135]
	v_mul_f64_e32 v[134:135], v[6:7], v[134:135]
	v_fmac_f64_e32 v[178:179], v[14:15], v[128:129]
	v_fma_f64 v[128:129], v[12:13], v[128:129], -v[130:131]
	scratch_load_b128 v[12:15], off, off offset:800
	v_add_f64_e32 v[130:131], v[182:183], v[180:181]
	v_add_f64_e32 v[172:173], v[172:173], v[174:175]
	s_wait_loadcnt_dscnt 0xb00
	v_mul_f64_e32 v[174:175], v[20:21], v[138:139]
	v_mul_f64_e32 v[138:139], v[22:23], v[138:139]
	v_fmac_f64_e32 v[176:177], v[6:7], v[132:133]
	v_fma_f64 v[132:133], v[4:5], v[132:133], -v[134:135]
	v_add_f64_e32 v[134:135], v[130:131], v[128:129]
	v_add_f64_e32 v[172:173], v[172:173], v[178:179]
	ds_load_b128 v[4:7], v2 offset:1472
	ds_load_b128 v[128:131], v2 offset:1488
	v_fmac_f64_e32 v[174:175], v[22:23], v[136:137]
	v_fma_f64 v[20:21], v[20:21], v[136:137], -v[138:139]
	s_wait_loadcnt_dscnt 0xa01
	v_mul_f64_e32 v[178:179], v[4:5], v[142:143]
	v_mul_f64_e32 v[142:143], v[6:7], v[142:143]
	s_wait_loadcnt_dscnt 0x900
	v_mul_f64_e32 v[136:137], v[130:131], v[146:147]
	v_add_f64_e32 v[22:23], v[134:135], v[132:133]
	v_add_f64_e32 v[132:133], v[172:173], v[176:177]
	v_mul_f64_e32 v[134:135], v[128:129], v[146:147]
	v_fmac_f64_e32 v[178:179], v[6:7], v[140:141]
	v_fma_f64 v[138:139], v[4:5], v[140:141], -v[142:143]
	v_fma_f64 v[128:129], v[128:129], v[144:145], -v[136:137]
	v_add_f64_e32 v[140:141], v[22:23], v[20:21]
	v_add_f64_e32 v[132:133], v[132:133], v[174:175]
	ds_load_b128 v[4:7], v2 offset:1504
	ds_load_b128 v[20:23], v2 offset:1520
	v_fmac_f64_e32 v[134:135], v[130:131], v[144:145]
	s_wait_loadcnt_dscnt 0x801
	v_mul_f64_e32 v[142:143], v[4:5], v[154:155]
	v_mul_f64_e32 v[146:147], v[6:7], v[154:155]
	s_wait_loadcnt_dscnt 0x600
	v_mul_f64_e32 v[136:137], v[20:21], v[166:167]
	v_add_f64_e32 v[130:131], v[140:141], v[138:139]
	v_add_f64_e32 v[132:133], v[132:133], v[178:179]
	v_mul_f64_e32 v[138:139], v[22:23], v[166:167]
	v_fmac_f64_e32 v[142:143], v[6:7], v[152:153]
	v_fma_f64 v[140:141], v[4:5], v[152:153], -v[146:147]
	v_fmac_f64_e32 v[136:137], v[22:23], v[164:165]
	v_add_f64_e32 v[144:145], v[130:131], v[128:129]
	v_add_f64_e32 v[132:133], v[132:133], v[134:135]
	ds_load_b128 v[4:7], v2 offset:1536
	ds_load_b128 v[128:131], v2 offset:1552
	v_fma_f64 v[20:21], v[20:21], v[164:165], -v[138:139]
	s_wait_loadcnt_dscnt 0x501
	v_mul_f64_e32 v[134:135], v[4:5], v[170:171]
	v_mul_f64_e32 v[146:147], v[6:7], v[170:171]
	s_wait_loadcnt_dscnt 0x400
	v_mul_f64_e32 v[138:139], v[128:129], v[10:11]
	v_mul_f64_e32 v[10:11], v[130:131], v[10:11]
	v_add_f64_e32 v[22:23], v[144:145], v[140:141]
	v_add_f64_e32 v[132:133], v[132:133], v[142:143]
	v_fmac_f64_e32 v[134:135], v[6:7], v[168:169]
	v_fma_f64 v[140:141], v[4:5], v[168:169], -v[146:147]
	v_fmac_f64_e32 v[138:139], v[130:131], v[8:9]
	v_fma_f64 v[8:9], v[128:129], v[8:9], -v[10:11]
	v_add_f64_e32 v[142:143], v[22:23], v[20:21]
	v_add_f64_e32 v[132:133], v[132:133], v[136:137]
	ds_load_b128 v[4:7], v2 offset:1568
	ds_load_b128 v[20:23], v2 offset:1584
	s_wait_loadcnt_dscnt 0x301
	v_mul_f64_e32 v[136:137], v[4:5], v[158:159]
	v_mul_f64_e32 v[144:145], v[6:7], v[158:159]
	s_wait_loadcnt_dscnt 0x200
	v_mul_f64_e32 v[130:131], v[20:21], v[18:19]
	v_mul_f64_e32 v[18:19], v[22:23], v[18:19]
	v_add_f64_e32 v[10:11], v[142:143], v[140:141]
	v_add_f64_e32 v[128:129], v[132:133], v[134:135]
	v_fmac_f64_e32 v[136:137], v[6:7], v[156:157]
	v_fma_f64 v[132:133], v[4:5], v[156:157], -v[144:145]
	v_fmac_f64_e32 v[130:131], v[22:23], v[16:17]
	v_fma_f64 v[16:17], v[20:21], v[16:17], -v[18:19]
	v_add_f64_e32 v[134:135], v[10:11], v[8:9]
	v_add_f64_e32 v[128:129], v[128:129], v[138:139]
	ds_load_b128 v[4:7], v2 offset:1600
	ds_load_b128 v[8:11], v2 offset:1616
	s_wait_loadcnt_dscnt 0x101
	v_mul_f64_e32 v[2:3], v[4:5], v[150:151]
	v_mul_f64_e32 v[138:139], v[6:7], v[150:151]
	s_wait_loadcnt_dscnt 0x0
	v_mul_f64_e32 v[22:23], v[8:9], v[14:15]
	v_mul_f64_e32 v[14:15], v[10:11], v[14:15]
	v_add_f64_e32 v[18:19], v[134:135], v[132:133]
	v_add_f64_e32 v[20:21], v[128:129], v[136:137]
	v_fmac_f64_e32 v[2:3], v[6:7], v[148:149]
	v_fma_f64 v[4:5], v[4:5], v[148:149], -v[138:139]
	v_fmac_f64_e32 v[22:23], v[10:11], v[12:13]
	v_fma_f64 v[8:9], v[8:9], v[12:13], -v[14:15]
	v_add_f64_e32 v[6:7], v[18:19], v[16:17]
	v_add_f64_e32 v[16:17], v[20:21], v[130:131]
	s_delay_alu instid0(VALU_DEP_2) | instskip(NEXT) | instid1(VALU_DEP_2)
	v_add_f64_e32 v[4:5], v[6:7], v[4:5]
	v_add_f64_e32 v[2:3], v[16:17], v[2:3]
	s_delay_alu instid0(VALU_DEP_2) | instskip(NEXT) | instid1(VALU_DEP_2)
	;; [unrolled: 3-line block ×3, first 2 shown]
	v_add_f64_e64 v[2:3], v[160:161], -v[4:5]
	v_add_f64_e64 v[4:5], v[162:163], -v[6:7]
	scratch_store_b128 off, v[2:5], off offset:512
	s_wait_xcnt 0x0
	v_cmpx_lt_u32_e32 31, v1
	s_cbranch_execz .LBB50_257
; %bb.256:
	scratch_load_b128 v[2:5], off, s30
	v_mov_b32_e32 v6, 0
	s_delay_alu instid0(VALU_DEP_1)
	v_dual_mov_b32 v7, v6 :: v_dual_mov_b32 v8, v6
	v_mov_b32_e32 v9, v6
	scratch_store_b128 off, v[6:9], off offset:496
	s_wait_loadcnt 0x0
	ds_store_b128 v126, v[2:5]
.LBB50_257:
	s_wait_xcnt 0x0
	s_or_b32 exec_lo, exec_lo, s2
	s_wait_storecnt_dscnt 0x0
	s_barrier_signal -1
	s_barrier_wait -1
	s_clause 0x9
	scratch_load_b128 v[4:7], off, off offset:512
	scratch_load_b128 v[8:11], off, off offset:528
	;; [unrolled: 1-line block ×10, first 2 shown]
	v_mov_b32_e32 v2, 0
	s_mov_b32 s2, exec_lo
	ds_load_b128 v[148:151], v2 offset:1328
	s_clause 0x2
	scratch_load_b128 v[152:155], off, off offset:672
	scratch_load_b128 v[156:159], off, off offset:496
	;; [unrolled: 1-line block ×3, first 2 shown]
	s_wait_loadcnt_dscnt 0xc00
	v_mul_f64_e32 v[168:169], v[150:151], v[6:7]
	v_mul_f64_e32 v[172:173], v[148:149], v[6:7]
	ds_load_b128 v[160:163], v2 offset:1344
	v_fma_f64 v[176:177], v[148:149], v[4:5], -v[168:169]
	v_fmac_f64_e32 v[172:173], v[150:151], v[4:5]
	ds_load_b128 v[4:7], v2 offset:1360
	s_wait_loadcnt_dscnt 0xb01
	v_mul_f64_e32 v[174:175], v[160:161], v[10:11]
	v_mul_f64_e32 v[10:11], v[162:163], v[10:11]
	scratch_load_b128 v[148:151], off, off offset:704
	ds_load_b128 v[168:171], v2 offset:1376
	s_wait_loadcnt_dscnt 0xb01
	v_mul_f64_e32 v[178:179], v[4:5], v[14:15]
	v_mul_f64_e32 v[14:15], v[6:7], v[14:15]
	v_add_f64_e32 v[172:173], 0, v[172:173]
	v_fmac_f64_e32 v[174:175], v[162:163], v[8:9]
	v_fma_f64 v[160:161], v[160:161], v[8:9], -v[10:11]
	v_add_f64_e32 v[162:163], 0, v[176:177]
	scratch_load_b128 v[8:11], off, off offset:720
	v_fmac_f64_e32 v[178:179], v[6:7], v[12:13]
	v_fma_f64 v[180:181], v[4:5], v[12:13], -v[14:15]
	ds_load_b128 v[4:7], v2 offset:1392
	s_wait_loadcnt_dscnt 0xb01
	v_mul_f64_e32 v[176:177], v[168:169], v[18:19]
	v_mul_f64_e32 v[18:19], v[170:171], v[18:19]
	scratch_load_b128 v[12:15], off, off offset:736
	v_add_f64_e32 v[172:173], v[172:173], v[174:175]
	v_add_f64_e32 v[182:183], v[162:163], v[160:161]
	ds_load_b128 v[160:163], v2 offset:1408
	s_wait_loadcnt_dscnt 0xb01
	v_mul_f64_e32 v[174:175], v[4:5], v[22:23]
	v_mul_f64_e32 v[22:23], v[6:7], v[22:23]
	v_fmac_f64_e32 v[176:177], v[170:171], v[16:17]
	v_fma_f64 v[168:169], v[168:169], v[16:17], -v[18:19]
	scratch_load_b128 v[16:19], off, off offset:752
	v_add_f64_e32 v[172:173], v[172:173], v[178:179]
	v_add_f64_e32 v[170:171], v[182:183], v[180:181]
	v_fmac_f64_e32 v[174:175], v[6:7], v[20:21]
	v_fma_f64 v[180:181], v[4:5], v[20:21], -v[22:23]
	ds_load_b128 v[4:7], v2 offset:1424
	s_wait_loadcnt_dscnt 0xb01
	v_mul_f64_e32 v[178:179], v[160:161], v[130:131]
	v_mul_f64_e32 v[130:131], v[162:163], v[130:131]
	scratch_load_b128 v[20:23], off, off offset:768
	v_add_f64_e32 v[172:173], v[172:173], v[176:177]
	s_wait_loadcnt_dscnt 0xb00
	v_mul_f64_e32 v[176:177], v[4:5], v[134:135]
	v_add_f64_e32 v[182:183], v[170:171], v[168:169]
	v_mul_f64_e32 v[134:135], v[6:7], v[134:135]
	ds_load_b128 v[168:171], v2 offset:1440
	v_fmac_f64_e32 v[178:179], v[162:163], v[128:129]
	v_fma_f64 v[160:161], v[160:161], v[128:129], -v[130:131]
	scratch_load_b128 v[128:131], off, off offset:784
	v_add_f64_e32 v[172:173], v[172:173], v[174:175]
	v_fmac_f64_e32 v[176:177], v[6:7], v[132:133]
	v_add_f64_e32 v[162:163], v[182:183], v[180:181]
	v_fma_f64 v[180:181], v[4:5], v[132:133], -v[134:135]
	ds_load_b128 v[4:7], v2 offset:1456
	s_wait_loadcnt_dscnt 0xb01
	v_mul_f64_e32 v[174:175], v[168:169], v[138:139]
	v_mul_f64_e32 v[138:139], v[170:171], v[138:139]
	scratch_load_b128 v[132:135], off, off offset:800
	v_add_f64_e32 v[172:173], v[172:173], v[178:179]
	s_wait_loadcnt_dscnt 0xb00
	v_mul_f64_e32 v[178:179], v[4:5], v[142:143]
	v_add_f64_e32 v[182:183], v[162:163], v[160:161]
	v_mul_f64_e32 v[142:143], v[6:7], v[142:143]
	ds_load_b128 v[160:163], v2 offset:1472
	v_fmac_f64_e32 v[174:175], v[170:171], v[136:137]
	v_fma_f64 v[136:137], v[168:169], v[136:137], -v[138:139]
	s_wait_loadcnt_dscnt 0xa00
	v_mul_f64_e32 v[170:171], v[160:161], v[146:147]
	v_mul_f64_e32 v[146:147], v[162:163], v[146:147]
	v_add_f64_e32 v[168:169], v[172:173], v[176:177]
	v_fmac_f64_e32 v[178:179], v[6:7], v[140:141]
	v_add_f64_e32 v[138:139], v[182:183], v[180:181]
	v_fma_f64 v[140:141], v[4:5], v[140:141], -v[142:143]
	v_fmac_f64_e32 v[170:171], v[162:163], v[144:145]
	v_fma_f64 v[144:145], v[160:161], v[144:145], -v[146:147]
	v_add_f64_e32 v[168:169], v[168:169], v[174:175]
	v_add_f64_e32 v[142:143], v[138:139], v[136:137]
	ds_load_b128 v[4:7], v2 offset:1488
	ds_load_b128 v[136:139], v2 offset:1504
	s_wait_loadcnt_dscnt 0x901
	v_mul_f64_e32 v[172:173], v[4:5], v[154:155]
	v_mul_f64_e32 v[154:155], v[6:7], v[154:155]
	s_wait_loadcnt_dscnt 0x700
	v_mul_f64_e32 v[146:147], v[136:137], v[166:167]
	v_mul_f64_e32 v[160:161], v[138:139], v[166:167]
	v_add_f64_e32 v[140:141], v[142:143], v[140:141]
	v_add_f64_e32 v[142:143], v[168:169], v[178:179]
	v_fmac_f64_e32 v[172:173], v[6:7], v[152:153]
	v_fma_f64 v[152:153], v[4:5], v[152:153], -v[154:155]
	v_fmac_f64_e32 v[146:147], v[138:139], v[164:165]
	v_fma_f64 v[136:137], v[136:137], v[164:165], -v[160:161]
	v_add_f64_e32 v[144:145], v[140:141], v[144:145]
	v_add_f64_e32 v[154:155], v[142:143], v[170:171]
	ds_load_b128 v[4:7], v2 offset:1520
	ds_load_b128 v[140:143], v2 offset:1536
	s_wait_loadcnt_dscnt 0x601
	v_mul_f64_e32 v[162:163], v[4:5], v[150:151]
	v_mul_f64_e32 v[150:151], v[6:7], v[150:151]
	v_add_f64_e32 v[138:139], v[144:145], v[152:153]
	v_add_f64_e32 v[144:145], v[154:155], v[172:173]
	s_wait_loadcnt_dscnt 0x500
	v_mul_f64_e32 v[152:153], v[140:141], v[10:11]
	v_mul_f64_e32 v[10:11], v[142:143], v[10:11]
	v_fmac_f64_e32 v[162:163], v[6:7], v[148:149]
	v_fma_f64 v[148:149], v[4:5], v[148:149], -v[150:151]
	v_add_f64_e32 v[150:151], v[138:139], v[136:137]
	v_add_f64_e32 v[144:145], v[144:145], v[146:147]
	ds_load_b128 v[4:7], v2 offset:1552
	ds_load_b128 v[136:139], v2 offset:1568
	v_fmac_f64_e32 v[152:153], v[142:143], v[8:9]
	v_fma_f64 v[8:9], v[140:141], v[8:9], -v[10:11]
	s_wait_loadcnt_dscnt 0x401
	v_mul_f64_e32 v[146:147], v[4:5], v[14:15]
	v_mul_f64_e32 v[14:15], v[6:7], v[14:15]
	s_wait_loadcnt_dscnt 0x300
	v_mul_f64_e32 v[142:143], v[136:137], v[18:19]
	v_mul_f64_e32 v[18:19], v[138:139], v[18:19]
	v_add_f64_e32 v[10:11], v[150:151], v[148:149]
	v_add_f64_e32 v[140:141], v[144:145], v[162:163]
	v_fmac_f64_e32 v[146:147], v[6:7], v[12:13]
	v_fma_f64 v[12:13], v[4:5], v[12:13], -v[14:15]
	v_fmac_f64_e32 v[142:143], v[138:139], v[16:17]
	v_fma_f64 v[16:17], v[136:137], v[16:17], -v[18:19]
	v_add_f64_e32 v[14:15], v[10:11], v[8:9]
	v_add_f64_e32 v[140:141], v[140:141], v[152:153]
	ds_load_b128 v[4:7], v2 offset:1584
	ds_load_b128 v[8:11], v2 offset:1600
	s_wait_loadcnt_dscnt 0x201
	v_mul_f64_e32 v[144:145], v[4:5], v[22:23]
	v_mul_f64_e32 v[22:23], v[6:7], v[22:23]
	s_wait_loadcnt_dscnt 0x100
	v_mul_f64_e32 v[18:19], v[8:9], v[130:131]
	v_mul_f64_e32 v[130:131], v[10:11], v[130:131]
	v_add_f64_e32 v[12:13], v[14:15], v[12:13]
	v_add_f64_e32 v[14:15], v[140:141], v[146:147]
	v_fmac_f64_e32 v[144:145], v[6:7], v[20:21]
	v_fma_f64 v[20:21], v[4:5], v[20:21], -v[22:23]
	ds_load_b128 v[4:7], v2 offset:1616
	v_fmac_f64_e32 v[18:19], v[10:11], v[128:129]
	v_fma_f64 v[8:9], v[8:9], v[128:129], -v[130:131]
	v_add_f64_e32 v[12:13], v[12:13], v[16:17]
	v_add_f64_e32 v[14:15], v[14:15], v[142:143]
	s_wait_loadcnt_dscnt 0x0
	v_mul_f64_e32 v[16:17], v[4:5], v[134:135]
	v_mul_f64_e32 v[22:23], v[6:7], v[134:135]
	s_delay_alu instid0(VALU_DEP_4) | instskip(NEXT) | instid1(VALU_DEP_4)
	v_add_f64_e32 v[10:11], v[12:13], v[20:21]
	v_add_f64_e32 v[12:13], v[14:15], v[144:145]
	s_delay_alu instid0(VALU_DEP_4) | instskip(NEXT) | instid1(VALU_DEP_4)
	v_fmac_f64_e32 v[16:17], v[6:7], v[132:133]
	v_fma_f64 v[4:5], v[4:5], v[132:133], -v[22:23]
	s_delay_alu instid0(VALU_DEP_4) | instskip(NEXT) | instid1(VALU_DEP_4)
	v_add_f64_e32 v[6:7], v[10:11], v[8:9]
	v_add_f64_e32 v[8:9], v[12:13], v[18:19]
	s_delay_alu instid0(VALU_DEP_2) | instskip(NEXT) | instid1(VALU_DEP_2)
	v_add_f64_e32 v[4:5], v[6:7], v[4:5]
	v_add_f64_e32 v[6:7], v[8:9], v[16:17]
	s_delay_alu instid0(VALU_DEP_2) | instskip(NEXT) | instid1(VALU_DEP_2)
	v_add_f64_e64 v[4:5], v[156:157], -v[4:5]
	v_add_f64_e64 v[6:7], v[158:159], -v[6:7]
	scratch_store_b128 off, v[4:7], off offset:496
	s_wait_xcnt 0x0
	v_cmpx_lt_u32_e32 30, v1
	s_cbranch_execz .LBB50_259
; %bb.258:
	scratch_load_b128 v[6:9], off, s34
	v_dual_mov_b32 v3, v2 :: v_dual_mov_b32 v4, v2
	v_mov_b32_e32 v5, v2
	scratch_store_b128 off, v[2:5], off offset:480
	s_wait_loadcnt 0x0
	ds_store_b128 v126, v[6:9]
.LBB50_259:
	s_wait_xcnt 0x0
	s_or_b32 exec_lo, exec_lo, s2
	s_wait_storecnt_dscnt 0x0
	s_barrier_signal -1
	s_barrier_wait -1
	s_clause 0x9
	scratch_load_b128 v[4:7], off, off offset:496
	scratch_load_b128 v[8:11], off, off offset:512
	;; [unrolled: 1-line block ×10, first 2 shown]
	ds_load_b128 v[148:151], v2 offset:1312
	ds_load_b128 v[156:159], v2 offset:1328
	s_clause 0x2
	scratch_load_b128 v[152:155], off, off offset:656
	scratch_load_b128 v[160:163], off, off offset:480
	;; [unrolled: 1-line block ×3, first 2 shown]
	s_mov_b32 s2, exec_lo
	s_wait_loadcnt_dscnt 0xc01
	v_mul_f64_e32 v[168:169], v[150:151], v[6:7]
	v_mul_f64_e32 v[172:173], v[148:149], v[6:7]
	s_wait_loadcnt_dscnt 0xb00
	v_mul_f64_e32 v[174:175], v[156:157], v[10:11]
	v_mul_f64_e32 v[10:11], v[158:159], v[10:11]
	s_delay_alu instid0(VALU_DEP_4) | instskip(NEXT) | instid1(VALU_DEP_4)
	v_fma_f64 v[176:177], v[148:149], v[4:5], -v[168:169]
	v_fmac_f64_e32 v[172:173], v[150:151], v[4:5]
	ds_load_b128 v[4:7], v2 offset:1344
	ds_load_b128 v[148:151], v2 offset:1360
	scratch_load_b128 v[168:171], off, off offset:688
	v_fmac_f64_e32 v[174:175], v[158:159], v[8:9]
	v_fma_f64 v[156:157], v[156:157], v[8:9], -v[10:11]
	scratch_load_b128 v[8:11], off, off offset:704
	s_wait_loadcnt_dscnt 0xc01
	v_mul_f64_e32 v[178:179], v[4:5], v[14:15]
	v_mul_f64_e32 v[14:15], v[6:7], v[14:15]
	v_add_f64_e32 v[158:159], 0, v[176:177]
	v_add_f64_e32 v[172:173], 0, v[172:173]
	s_wait_loadcnt_dscnt 0xb00
	v_mul_f64_e32 v[176:177], v[148:149], v[18:19]
	v_mul_f64_e32 v[18:19], v[150:151], v[18:19]
	v_fmac_f64_e32 v[178:179], v[6:7], v[12:13]
	v_fma_f64 v[180:181], v[4:5], v[12:13], -v[14:15]
	ds_load_b128 v[4:7], v2 offset:1376
	ds_load_b128 v[12:15], v2 offset:1392
	v_add_f64_e32 v[182:183], v[158:159], v[156:157]
	v_add_f64_e32 v[172:173], v[172:173], v[174:175]
	scratch_load_b128 v[156:159], off, off offset:720
	v_fmac_f64_e32 v[176:177], v[150:151], v[16:17]
	v_fma_f64 v[148:149], v[148:149], v[16:17], -v[18:19]
	scratch_load_b128 v[16:19], off, off offset:736
	s_wait_loadcnt_dscnt 0xc01
	v_mul_f64_e32 v[174:175], v[4:5], v[22:23]
	v_mul_f64_e32 v[22:23], v[6:7], v[22:23]
	v_add_f64_e32 v[150:151], v[182:183], v[180:181]
	v_add_f64_e32 v[172:173], v[172:173], v[178:179]
	s_wait_loadcnt_dscnt 0xb00
	v_mul_f64_e32 v[178:179], v[12:13], v[130:131]
	v_mul_f64_e32 v[130:131], v[14:15], v[130:131]
	v_fmac_f64_e32 v[174:175], v[6:7], v[20:21]
	v_fma_f64 v[180:181], v[4:5], v[20:21], -v[22:23]
	ds_load_b128 v[4:7], v2 offset:1408
	ds_load_b128 v[20:23], v2 offset:1424
	v_add_f64_e32 v[182:183], v[150:151], v[148:149]
	v_add_f64_e32 v[172:173], v[172:173], v[176:177]
	scratch_load_b128 v[148:151], off, off offset:752
	s_wait_loadcnt_dscnt 0xb01
	v_mul_f64_e32 v[176:177], v[4:5], v[134:135]
	v_mul_f64_e32 v[134:135], v[6:7], v[134:135]
	v_fmac_f64_e32 v[178:179], v[14:15], v[128:129]
	v_fma_f64 v[128:129], v[12:13], v[128:129], -v[130:131]
	scratch_load_b128 v[12:15], off, off offset:768
	v_add_f64_e32 v[130:131], v[182:183], v[180:181]
	v_add_f64_e32 v[172:173], v[172:173], v[174:175]
	s_wait_loadcnt_dscnt 0xb00
	v_mul_f64_e32 v[174:175], v[20:21], v[138:139]
	v_mul_f64_e32 v[138:139], v[22:23], v[138:139]
	v_fmac_f64_e32 v[176:177], v[6:7], v[132:133]
	v_fma_f64 v[180:181], v[4:5], v[132:133], -v[134:135]
	v_add_f64_e32 v[182:183], v[130:131], v[128:129]
	v_add_f64_e32 v[172:173], v[172:173], v[178:179]
	ds_load_b128 v[4:7], v2 offset:1440
	ds_load_b128 v[128:131], v2 offset:1456
	scratch_load_b128 v[132:135], off, off offset:784
	v_fmac_f64_e32 v[174:175], v[22:23], v[136:137]
	v_fma_f64 v[136:137], v[20:21], v[136:137], -v[138:139]
	scratch_load_b128 v[20:23], off, off offset:800
	s_wait_loadcnt_dscnt 0xc01
	v_mul_f64_e32 v[178:179], v[4:5], v[142:143]
	v_mul_f64_e32 v[142:143], v[6:7], v[142:143]
	v_add_f64_e32 v[138:139], v[182:183], v[180:181]
	v_add_f64_e32 v[172:173], v[172:173], v[176:177]
	s_wait_loadcnt_dscnt 0xb00
	v_mul_f64_e32 v[176:177], v[128:129], v[146:147]
	v_mul_f64_e32 v[146:147], v[130:131], v[146:147]
	v_fmac_f64_e32 v[178:179], v[6:7], v[140:141]
	v_fma_f64 v[140:141], v[4:5], v[140:141], -v[142:143]
	v_add_f64_e32 v[142:143], v[138:139], v[136:137]
	v_add_f64_e32 v[172:173], v[172:173], v[174:175]
	ds_load_b128 v[4:7], v2 offset:1472
	ds_load_b128 v[136:139], v2 offset:1488
	v_fmac_f64_e32 v[176:177], v[130:131], v[144:145]
	v_fma_f64 v[128:129], v[128:129], v[144:145], -v[146:147]
	s_wait_loadcnt_dscnt 0xa01
	v_mul_f64_e32 v[174:175], v[4:5], v[154:155]
	v_mul_f64_e32 v[154:155], v[6:7], v[154:155]
	s_wait_loadcnt_dscnt 0x800
	v_mul_f64_e32 v[144:145], v[138:139], v[166:167]
	v_add_f64_e32 v[130:131], v[142:143], v[140:141]
	v_add_f64_e32 v[140:141], v[172:173], v[178:179]
	v_mul_f64_e32 v[142:143], v[136:137], v[166:167]
	v_fmac_f64_e32 v[174:175], v[6:7], v[152:153]
	v_fma_f64 v[146:147], v[4:5], v[152:153], -v[154:155]
	v_fma_f64 v[136:137], v[136:137], v[164:165], -v[144:145]
	v_add_f64_e32 v[152:153], v[130:131], v[128:129]
	v_add_f64_e32 v[140:141], v[140:141], v[176:177]
	ds_load_b128 v[4:7], v2 offset:1504
	ds_load_b128 v[128:131], v2 offset:1520
	v_fmac_f64_e32 v[142:143], v[138:139], v[164:165]
	s_wait_loadcnt_dscnt 0x701
	v_mul_f64_e32 v[154:155], v[4:5], v[170:171]
	v_mul_f64_e32 v[166:167], v[6:7], v[170:171]
	s_wait_loadcnt_dscnt 0x600
	v_mul_f64_e32 v[144:145], v[128:129], v[10:11]
	v_mul_f64_e32 v[10:11], v[130:131], v[10:11]
	v_add_f64_e32 v[138:139], v[152:153], v[146:147]
	v_add_f64_e32 v[140:141], v[140:141], v[174:175]
	v_fmac_f64_e32 v[154:155], v[6:7], v[168:169]
	v_fma_f64 v[146:147], v[4:5], v[168:169], -v[166:167]
	v_fmac_f64_e32 v[144:145], v[130:131], v[8:9]
	v_fma_f64 v[8:9], v[128:129], v[8:9], -v[10:11]
	v_add_f64_e32 v[152:153], v[138:139], v[136:137]
	v_add_f64_e32 v[140:141], v[140:141], v[142:143]
	ds_load_b128 v[4:7], v2 offset:1536
	ds_load_b128 v[136:139], v2 offset:1552
	s_wait_loadcnt_dscnt 0x501
	v_mul_f64_e32 v[142:143], v[4:5], v[158:159]
	v_mul_f64_e32 v[158:159], v[6:7], v[158:159]
	s_wait_loadcnt_dscnt 0x400
	v_mul_f64_e32 v[130:131], v[136:137], v[18:19]
	v_mul_f64_e32 v[18:19], v[138:139], v[18:19]
	v_add_f64_e32 v[10:11], v[152:153], v[146:147]
	v_add_f64_e32 v[128:129], v[140:141], v[154:155]
	v_fmac_f64_e32 v[142:143], v[6:7], v[156:157]
	v_fma_f64 v[140:141], v[4:5], v[156:157], -v[158:159]
	v_fmac_f64_e32 v[130:131], v[138:139], v[16:17]
	v_fma_f64 v[16:17], v[136:137], v[16:17], -v[18:19]
	v_add_f64_e32 v[146:147], v[10:11], v[8:9]
	v_add_f64_e32 v[128:129], v[128:129], v[144:145]
	ds_load_b128 v[4:7], v2 offset:1568
	ds_load_b128 v[8:11], v2 offset:1584
	;; [unrolled: 16-line block ×3, first 2 shown]
	s_wait_loadcnt_dscnt 0x101
	v_mul_f64_e32 v[2:3], v[4:5], v[134:135]
	v_mul_f64_e32 v[130:131], v[6:7], v[134:135]
	v_add_f64_e32 v[10:11], v[18:19], v[140:141]
	v_add_f64_e32 v[12:13], v[128:129], v[144:145]
	s_wait_loadcnt_dscnt 0x0
	v_mul_f64_e32 v[18:19], v[14:15], v[22:23]
	v_mul_f64_e32 v[22:23], v[16:17], v[22:23]
	v_fmac_f64_e32 v[2:3], v[6:7], v[132:133]
	v_fma_f64 v[4:5], v[4:5], v[132:133], -v[130:131]
	v_add_f64_e32 v[6:7], v[10:11], v[8:9]
	v_add_f64_e32 v[8:9], v[12:13], v[136:137]
	v_fmac_f64_e32 v[18:19], v[16:17], v[20:21]
	v_fma_f64 v[10:11], v[14:15], v[20:21], -v[22:23]
	s_delay_alu instid0(VALU_DEP_4) | instskip(NEXT) | instid1(VALU_DEP_4)
	v_add_f64_e32 v[4:5], v[6:7], v[4:5]
	v_add_f64_e32 v[2:3], v[8:9], v[2:3]
	s_delay_alu instid0(VALU_DEP_2) | instskip(NEXT) | instid1(VALU_DEP_2)
	v_add_f64_e32 v[4:5], v[4:5], v[10:11]
	v_add_f64_e32 v[6:7], v[2:3], v[18:19]
	s_delay_alu instid0(VALU_DEP_2) | instskip(NEXT) | instid1(VALU_DEP_2)
	v_add_f64_e64 v[2:3], v[160:161], -v[4:5]
	v_add_f64_e64 v[4:5], v[162:163], -v[6:7]
	scratch_store_b128 off, v[2:5], off offset:480
	s_wait_xcnt 0x0
	v_cmpx_lt_u32_e32 29, v1
	s_cbranch_execz .LBB50_261
; %bb.260:
	scratch_load_b128 v[2:5], off, s33
	v_mov_b32_e32 v6, 0
	s_delay_alu instid0(VALU_DEP_1)
	v_dual_mov_b32 v7, v6 :: v_dual_mov_b32 v8, v6
	v_mov_b32_e32 v9, v6
	scratch_store_b128 off, v[6:9], off offset:464
	s_wait_loadcnt 0x0
	ds_store_b128 v126, v[2:5]
.LBB50_261:
	s_wait_xcnt 0x0
	s_or_b32 exec_lo, exec_lo, s2
	s_wait_storecnt_dscnt 0x0
	s_barrier_signal -1
	s_barrier_wait -1
	s_clause 0x9
	scratch_load_b128 v[4:7], off, off offset:480
	scratch_load_b128 v[8:11], off, off offset:496
	;; [unrolled: 1-line block ×10, first 2 shown]
	v_mov_b32_e32 v2, 0
	s_mov_b32 s2, exec_lo
	ds_load_b128 v[148:151], v2 offset:1296
	s_clause 0x2
	scratch_load_b128 v[152:155], off, off offset:640
	scratch_load_b128 v[156:159], off, off offset:464
	;; [unrolled: 1-line block ×3, first 2 shown]
	s_wait_loadcnt_dscnt 0xc00
	v_mul_f64_e32 v[168:169], v[150:151], v[6:7]
	v_mul_f64_e32 v[172:173], v[148:149], v[6:7]
	ds_load_b128 v[160:163], v2 offset:1312
	v_fma_f64 v[176:177], v[148:149], v[4:5], -v[168:169]
	v_fmac_f64_e32 v[172:173], v[150:151], v[4:5]
	ds_load_b128 v[4:7], v2 offset:1328
	s_wait_loadcnt_dscnt 0xb01
	v_mul_f64_e32 v[174:175], v[160:161], v[10:11]
	v_mul_f64_e32 v[10:11], v[162:163], v[10:11]
	scratch_load_b128 v[148:151], off, off offset:672
	ds_load_b128 v[168:171], v2 offset:1344
	s_wait_loadcnt_dscnt 0xb01
	v_mul_f64_e32 v[178:179], v[4:5], v[14:15]
	v_mul_f64_e32 v[14:15], v[6:7], v[14:15]
	v_add_f64_e32 v[172:173], 0, v[172:173]
	v_fmac_f64_e32 v[174:175], v[162:163], v[8:9]
	v_fma_f64 v[160:161], v[160:161], v[8:9], -v[10:11]
	v_add_f64_e32 v[162:163], 0, v[176:177]
	scratch_load_b128 v[8:11], off, off offset:688
	v_fmac_f64_e32 v[178:179], v[6:7], v[12:13]
	v_fma_f64 v[180:181], v[4:5], v[12:13], -v[14:15]
	ds_load_b128 v[4:7], v2 offset:1360
	s_wait_loadcnt_dscnt 0xb01
	v_mul_f64_e32 v[176:177], v[168:169], v[18:19]
	v_mul_f64_e32 v[18:19], v[170:171], v[18:19]
	scratch_load_b128 v[12:15], off, off offset:704
	v_add_f64_e32 v[172:173], v[172:173], v[174:175]
	v_add_f64_e32 v[182:183], v[162:163], v[160:161]
	ds_load_b128 v[160:163], v2 offset:1376
	s_wait_loadcnt_dscnt 0xb01
	v_mul_f64_e32 v[174:175], v[4:5], v[22:23]
	v_mul_f64_e32 v[22:23], v[6:7], v[22:23]
	v_fmac_f64_e32 v[176:177], v[170:171], v[16:17]
	v_fma_f64 v[168:169], v[168:169], v[16:17], -v[18:19]
	scratch_load_b128 v[16:19], off, off offset:720
	v_add_f64_e32 v[172:173], v[172:173], v[178:179]
	v_add_f64_e32 v[170:171], v[182:183], v[180:181]
	v_fmac_f64_e32 v[174:175], v[6:7], v[20:21]
	v_fma_f64 v[180:181], v[4:5], v[20:21], -v[22:23]
	ds_load_b128 v[4:7], v2 offset:1392
	s_wait_loadcnt_dscnt 0xb01
	v_mul_f64_e32 v[178:179], v[160:161], v[130:131]
	v_mul_f64_e32 v[130:131], v[162:163], v[130:131]
	scratch_load_b128 v[20:23], off, off offset:736
	v_add_f64_e32 v[172:173], v[172:173], v[176:177]
	s_wait_loadcnt_dscnt 0xb00
	v_mul_f64_e32 v[176:177], v[4:5], v[134:135]
	v_add_f64_e32 v[182:183], v[170:171], v[168:169]
	v_mul_f64_e32 v[134:135], v[6:7], v[134:135]
	ds_load_b128 v[168:171], v2 offset:1408
	v_fmac_f64_e32 v[178:179], v[162:163], v[128:129]
	v_fma_f64 v[160:161], v[160:161], v[128:129], -v[130:131]
	scratch_load_b128 v[128:131], off, off offset:752
	v_add_f64_e32 v[172:173], v[172:173], v[174:175]
	v_fmac_f64_e32 v[176:177], v[6:7], v[132:133]
	v_add_f64_e32 v[162:163], v[182:183], v[180:181]
	v_fma_f64 v[180:181], v[4:5], v[132:133], -v[134:135]
	ds_load_b128 v[4:7], v2 offset:1424
	s_wait_loadcnt_dscnt 0xb01
	v_mul_f64_e32 v[174:175], v[168:169], v[138:139]
	v_mul_f64_e32 v[138:139], v[170:171], v[138:139]
	scratch_load_b128 v[132:135], off, off offset:768
	v_add_f64_e32 v[172:173], v[172:173], v[178:179]
	s_wait_loadcnt_dscnt 0xb00
	v_mul_f64_e32 v[178:179], v[4:5], v[142:143]
	v_add_f64_e32 v[182:183], v[162:163], v[160:161]
	v_mul_f64_e32 v[142:143], v[6:7], v[142:143]
	ds_load_b128 v[160:163], v2 offset:1440
	v_fmac_f64_e32 v[174:175], v[170:171], v[136:137]
	v_fma_f64 v[168:169], v[168:169], v[136:137], -v[138:139]
	scratch_load_b128 v[136:139], off, off offset:784
	v_add_f64_e32 v[172:173], v[172:173], v[176:177]
	v_fmac_f64_e32 v[178:179], v[6:7], v[140:141]
	v_add_f64_e32 v[170:171], v[182:183], v[180:181]
	v_fma_f64 v[180:181], v[4:5], v[140:141], -v[142:143]
	ds_load_b128 v[4:7], v2 offset:1456
	s_wait_loadcnt_dscnt 0xb01
	v_mul_f64_e32 v[176:177], v[160:161], v[146:147]
	v_mul_f64_e32 v[146:147], v[162:163], v[146:147]
	scratch_load_b128 v[140:143], off, off offset:800
	v_add_f64_e32 v[172:173], v[172:173], v[174:175]
	s_wait_loadcnt_dscnt 0xb00
	v_mul_f64_e32 v[174:175], v[4:5], v[154:155]
	v_add_f64_e32 v[182:183], v[170:171], v[168:169]
	v_mul_f64_e32 v[154:155], v[6:7], v[154:155]
	ds_load_b128 v[168:171], v2 offset:1472
	v_fmac_f64_e32 v[176:177], v[162:163], v[144:145]
	v_fma_f64 v[144:145], v[160:161], v[144:145], -v[146:147]
	s_wait_loadcnt_dscnt 0x900
	v_mul_f64_e32 v[162:163], v[168:169], v[166:167]
	v_mul_f64_e32 v[166:167], v[170:171], v[166:167]
	v_add_f64_e32 v[160:161], v[172:173], v[178:179]
	v_fmac_f64_e32 v[174:175], v[6:7], v[152:153]
	v_add_f64_e32 v[146:147], v[182:183], v[180:181]
	v_fma_f64 v[152:153], v[4:5], v[152:153], -v[154:155]
	v_fmac_f64_e32 v[162:163], v[170:171], v[164:165]
	v_fma_f64 v[164:165], v[168:169], v[164:165], -v[166:167]
	v_add_f64_e32 v[160:161], v[160:161], v[176:177]
	v_add_f64_e32 v[154:155], v[146:147], v[144:145]
	ds_load_b128 v[4:7], v2 offset:1488
	ds_load_b128 v[144:147], v2 offset:1504
	s_wait_loadcnt_dscnt 0x801
	v_mul_f64_e32 v[172:173], v[4:5], v[150:151]
	v_mul_f64_e32 v[150:151], v[6:7], v[150:151]
	v_add_f64_e32 v[152:153], v[154:155], v[152:153]
	v_add_f64_e32 v[154:155], v[160:161], v[174:175]
	s_wait_loadcnt_dscnt 0x700
	v_mul_f64_e32 v[160:161], v[144:145], v[10:11]
	v_mul_f64_e32 v[10:11], v[146:147], v[10:11]
	v_fmac_f64_e32 v[172:173], v[6:7], v[148:149]
	v_fma_f64 v[166:167], v[4:5], v[148:149], -v[150:151]
	ds_load_b128 v[4:7], v2 offset:1520
	ds_load_b128 v[148:151], v2 offset:1536
	v_add_f64_e32 v[152:153], v[152:153], v[164:165]
	v_add_f64_e32 v[154:155], v[154:155], v[162:163]
	v_fmac_f64_e32 v[160:161], v[146:147], v[8:9]
	v_fma_f64 v[8:9], v[144:145], v[8:9], -v[10:11]
	s_wait_loadcnt_dscnt 0x601
	v_mul_f64_e32 v[162:163], v[4:5], v[14:15]
	v_mul_f64_e32 v[14:15], v[6:7], v[14:15]
	s_wait_loadcnt_dscnt 0x500
	v_mul_f64_e32 v[146:147], v[148:149], v[18:19]
	v_mul_f64_e32 v[18:19], v[150:151], v[18:19]
	v_add_f64_e32 v[10:11], v[152:153], v[166:167]
	v_add_f64_e32 v[144:145], v[154:155], v[172:173]
	v_fmac_f64_e32 v[162:163], v[6:7], v[12:13]
	v_fma_f64 v[12:13], v[4:5], v[12:13], -v[14:15]
	v_fmac_f64_e32 v[146:147], v[150:151], v[16:17]
	v_fma_f64 v[16:17], v[148:149], v[16:17], -v[18:19]
	v_add_f64_e32 v[14:15], v[10:11], v[8:9]
	v_add_f64_e32 v[144:145], v[144:145], v[160:161]
	ds_load_b128 v[4:7], v2 offset:1552
	ds_load_b128 v[8:11], v2 offset:1568
	s_wait_loadcnt_dscnt 0x401
	v_mul_f64_e32 v[152:153], v[4:5], v[22:23]
	v_mul_f64_e32 v[22:23], v[6:7], v[22:23]
	s_wait_loadcnt_dscnt 0x300
	v_mul_f64_e32 v[18:19], v[8:9], v[130:131]
	v_mul_f64_e32 v[130:131], v[10:11], v[130:131]
	v_add_f64_e32 v[12:13], v[14:15], v[12:13]
	v_add_f64_e32 v[14:15], v[144:145], v[162:163]
	v_fmac_f64_e32 v[152:153], v[6:7], v[20:21]
	v_fma_f64 v[20:21], v[4:5], v[20:21], -v[22:23]
	v_fmac_f64_e32 v[18:19], v[10:11], v[128:129]
	v_fma_f64 v[8:9], v[8:9], v[128:129], -v[130:131]
	v_add_f64_e32 v[16:17], v[12:13], v[16:17]
	v_add_f64_e32 v[22:23], v[14:15], v[146:147]
	ds_load_b128 v[4:7], v2 offset:1584
	ds_load_b128 v[12:15], v2 offset:1600
	s_wait_loadcnt_dscnt 0x201
	v_mul_f64_e32 v[144:145], v[4:5], v[134:135]
	v_mul_f64_e32 v[134:135], v[6:7], v[134:135]
	v_add_f64_e32 v[10:11], v[16:17], v[20:21]
	v_add_f64_e32 v[16:17], v[22:23], v[152:153]
	s_wait_loadcnt_dscnt 0x100
	v_mul_f64_e32 v[20:21], v[12:13], v[138:139]
	v_mul_f64_e32 v[22:23], v[14:15], v[138:139]
	v_fmac_f64_e32 v[144:145], v[6:7], v[132:133]
	v_fma_f64 v[128:129], v[4:5], v[132:133], -v[134:135]
	ds_load_b128 v[4:7], v2 offset:1616
	v_add_f64_e32 v[8:9], v[10:11], v[8:9]
	v_add_f64_e32 v[10:11], v[16:17], v[18:19]
	v_fmac_f64_e32 v[20:21], v[14:15], v[136:137]
	v_fma_f64 v[12:13], v[12:13], v[136:137], -v[22:23]
	s_wait_loadcnt_dscnt 0x0
	v_mul_f64_e32 v[16:17], v[4:5], v[142:143]
	v_mul_f64_e32 v[18:19], v[6:7], v[142:143]
	v_add_f64_e32 v[8:9], v[8:9], v[128:129]
	v_add_f64_e32 v[10:11], v[10:11], v[144:145]
	s_delay_alu instid0(VALU_DEP_4) | instskip(NEXT) | instid1(VALU_DEP_4)
	v_fmac_f64_e32 v[16:17], v[6:7], v[140:141]
	v_fma_f64 v[4:5], v[4:5], v[140:141], -v[18:19]
	s_delay_alu instid0(VALU_DEP_4) | instskip(NEXT) | instid1(VALU_DEP_4)
	v_add_f64_e32 v[6:7], v[8:9], v[12:13]
	v_add_f64_e32 v[8:9], v[10:11], v[20:21]
	s_delay_alu instid0(VALU_DEP_2) | instskip(NEXT) | instid1(VALU_DEP_2)
	v_add_f64_e32 v[4:5], v[6:7], v[4:5]
	v_add_f64_e32 v[6:7], v[8:9], v[16:17]
	s_delay_alu instid0(VALU_DEP_2) | instskip(NEXT) | instid1(VALU_DEP_2)
	v_add_f64_e64 v[4:5], v[156:157], -v[4:5]
	v_add_f64_e64 v[6:7], v[158:159], -v[6:7]
	scratch_store_b128 off, v[4:7], off offset:464
	s_wait_xcnt 0x0
	v_cmpx_lt_u32_e32 28, v1
	s_cbranch_execz .LBB50_263
; %bb.262:
	scratch_load_b128 v[6:9], off, s36
	v_dual_mov_b32 v3, v2 :: v_dual_mov_b32 v4, v2
	v_mov_b32_e32 v5, v2
	scratch_store_b128 off, v[2:5], off offset:448
	s_wait_loadcnt 0x0
	ds_store_b128 v126, v[6:9]
.LBB50_263:
	s_wait_xcnt 0x0
	s_or_b32 exec_lo, exec_lo, s2
	s_wait_storecnt_dscnt 0x0
	s_barrier_signal -1
	s_barrier_wait -1
	s_clause 0x9
	scratch_load_b128 v[4:7], off, off offset:464
	scratch_load_b128 v[8:11], off, off offset:480
	;; [unrolled: 1-line block ×10, first 2 shown]
	ds_load_b128 v[148:151], v2 offset:1280
	ds_load_b128 v[156:159], v2 offset:1296
	s_clause 0x2
	scratch_load_b128 v[152:155], off, off offset:624
	scratch_load_b128 v[160:163], off, off offset:448
	scratch_load_b128 v[164:167], off, off offset:640
	s_mov_b32 s2, exec_lo
	s_wait_loadcnt_dscnt 0xc01
	v_mul_f64_e32 v[168:169], v[150:151], v[6:7]
	v_mul_f64_e32 v[172:173], v[148:149], v[6:7]
	s_wait_loadcnt_dscnt 0xb00
	v_mul_f64_e32 v[174:175], v[156:157], v[10:11]
	v_mul_f64_e32 v[10:11], v[158:159], v[10:11]
	s_delay_alu instid0(VALU_DEP_4) | instskip(NEXT) | instid1(VALU_DEP_4)
	v_fma_f64 v[176:177], v[148:149], v[4:5], -v[168:169]
	v_fmac_f64_e32 v[172:173], v[150:151], v[4:5]
	ds_load_b128 v[4:7], v2 offset:1312
	ds_load_b128 v[148:151], v2 offset:1328
	scratch_load_b128 v[168:171], off, off offset:656
	v_fmac_f64_e32 v[174:175], v[158:159], v[8:9]
	v_fma_f64 v[156:157], v[156:157], v[8:9], -v[10:11]
	scratch_load_b128 v[8:11], off, off offset:672
	s_wait_loadcnt_dscnt 0xc01
	v_mul_f64_e32 v[178:179], v[4:5], v[14:15]
	v_mul_f64_e32 v[14:15], v[6:7], v[14:15]
	v_add_f64_e32 v[158:159], 0, v[176:177]
	v_add_f64_e32 v[172:173], 0, v[172:173]
	s_wait_loadcnt_dscnt 0xb00
	v_mul_f64_e32 v[176:177], v[148:149], v[18:19]
	v_mul_f64_e32 v[18:19], v[150:151], v[18:19]
	v_fmac_f64_e32 v[178:179], v[6:7], v[12:13]
	v_fma_f64 v[180:181], v[4:5], v[12:13], -v[14:15]
	ds_load_b128 v[4:7], v2 offset:1344
	ds_load_b128 v[12:15], v2 offset:1360
	v_add_f64_e32 v[182:183], v[158:159], v[156:157]
	v_add_f64_e32 v[172:173], v[172:173], v[174:175]
	scratch_load_b128 v[156:159], off, off offset:688
	v_fmac_f64_e32 v[176:177], v[150:151], v[16:17]
	v_fma_f64 v[148:149], v[148:149], v[16:17], -v[18:19]
	scratch_load_b128 v[16:19], off, off offset:704
	s_wait_loadcnt_dscnt 0xc01
	v_mul_f64_e32 v[174:175], v[4:5], v[22:23]
	v_mul_f64_e32 v[22:23], v[6:7], v[22:23]
	v_add_f64_e32 v[150:151], v[182:183], v[180:181]
	v_add_f64_e32 v[172:173], v[172:173], v[178:179]
	s_wait_loadcnt_dscnt 0xb00
	v_mul_f64_e32 v[178:179], v[12:13], v[130:131]
	v_mul_f64_e32 v[130:131], v[14:15], v[130:131]
	v_fmac_f64_e32 v[174:175], v[6:7], v[20:21]
	v_fma_f64 v[180:181], v[4:5], v[20:21], -v[22:23]
	ds_load_b128 v[4:7], v2 offset:1376
	ds_load_b128 v[20:23], v2 offset:1392
	v_add_f64_e32 v[182:183], v[150:151], v[148:149]
	v_add_f64_e32 v[172:173], v[172:173], v[176:177]
	scratch_load_b128 v[148:151], off, off offset:720
	s_wait_loadcnt_dscnt 0xb01
	v_mul_f64_e32 v[176:177], v[4:5], v[134:135]
	v_mul_f64_e32 v[134:135], v[6:7], v[134:135]
	v_fmac_f64_e32 v[178:179], v[14:15], v[128:129]
	v_fma_f64 v[128:129], v[12:13], v[128:129], -v[130:131]
	scratch_load_b128 v[12:15], off, off offset:736
	v_add_f64_e32 v[130:131], v[182:183], v[180:181]
	v_add_f64_e32 v[172:173], v[172:173], v[174:175]
	s_wait_loadcnt_dscnt 0xb00
	v_mul_f64_e32 v[174:175], v[20:21], v[138:139]
	v_mul_f64_e32 v[138:139], v[22:23], v[138:139]
	v_fmac_f64_e32 v[176:177], v[6:7], v[132:133]
	v_fma_f64 v[180:181], v[4:5], v[132:133], -v[134:135]
	v_add_f64_e32 v[182:183], v[130:131], v[128:129]
	v_add_f64_e32 v[172:173], v[172:173], v[178:179]
	ds_load_b128 v[4:7], v2 offset:1408
	ds_load_b128 v[128:131], v2 offset:1424
	scratch_load_b128 v[132:135], off, off offset:752
	v_fmac_f64_e32 v[174:175], v[22:23], v[136:137]
	v_fma_f64 v[136:137], v[20:21], v[136:137], -v[138:139]
	scratch_load_b128 v[20:23], off, off offset:768
	s_wait_loadcnt_dscnt 0xc01
	v_mul_f64_e32 v[178:179], v[4:5], v[142:143]
	v_mul_f64_e32 v[142:143], v[6:7], v[142:143]
	v_add_f64_e32 v[138:139], v[182:183], v[180:181]
	v_add_f64_e32 v[172:173], v[172:173], v[176:177]
	s_wait_loadcnt_dscnt 0xb00
	v_mul_f64_e32 v[176:177], v[128:129], v[146:147]
	v_mul_f64_e32 v[146:147], v[130:131], v[146:147]
	v_fmac_f64_e32 v[178:179], v[6:7], v[140:141]
	v_fma_f64 v[180:181], v[4:5], v[140:141], -v[142:143]
	v_add_f64_e32 v[182:183], v[138:139], v[136:137]
	v_add_f64_e32 v[172:173], v[172:173], v[174:175]
	ds_load_b128 v[4:7], v2 offset:1440
	ds_load_b128 v[136:139], v2 offset:1456
	scratch_load_b128 v[140:143], off, off offset:784
	v_fmac_f64_e32 v[176:177], v[130:131], v[144:145]
	v_fma_f64 v[144:145], v[128:129], v[144:145], -v[146:147]
	scratch_load_b128 v[128:131], off, off offset:800
	s_wait_loadcnt_dscnt 0xc01
	v_mul_f64_e32 v[174:175], v[4:5], v[154:155]
	v_mul_f64_e32 v[154:155], v[6:7], v[154:155]
	v_add_f64_e32 v[146:147], v[182:183], v[180:181]
	v_add_f64_e32 v[172:173], v[172:173], v[178:179]
	s_wait_loadcnt_dscnt 0xa00
	v_mul_f64_e32 v[178:179], v[136:137], v[166:167]
	v_mul_f64_e32 v[166:167], v[138:139], v[166:167]
	v_fmac_f64_e32 v[174:175], v[6:7], v[152:153]
	v_fma_f64 v[152:153], v[4:5], v[152:153], -v[154:155]
	v_add_f64_e32 v[154:155], v[146:147], v[144:145]
	v_add_f64_e32 v[172:173], v[172:173], v[176:177]
	ds_load_b128 v[4:7], v2 offset:1472
	ds_load_b128 v[144:147], v2 offset:1488
	v_fmac_f64_e32 v[178:179], v[138:139], v[164:165]
	v_fma_f64 v[136:137], v[136:137], v[164:165], -v[166:167]
	s_wait_loadcnt_dscnt 0x901
	v_mul_f64_e32 v[176:177], v[4:5], v[170:171]
	v_mul_f64_e32 v[170:171], v[6:7], v[170:171]
	v_add_f64_e32 v[138:139], v[154:155], v[152:153]
	v_add_f64_e32 v[152:153], v[172:173], v[174:175]
	s_wait_loadcnt_dscnt 0x800
	v_mul_f64_e32 v[154:155], v[144:145], v[10:11]
	v_mul_f64_e32 v[10:11], v[146:147], v[10:11]
	v_fmac_f64_e32 v[176:177], v[6:7], v[168:169]
	v_fma_f64 v[164:165], v[4:5], v[168:169], -v[170:171]
	v_add_f64_e32 v[166:167], v[138:139], v[136:137]
	v_add_f64_e32 v[152:153], v[152:153], v[178:179]
	ds_load_b128 v[4:7], v2 offset:1504
	ds_load_b128 v[136:139], v2 offset:1520
	v_fmac_f64_e32 v[154:155], v[146:147], v[8:9]
	v_fma_f64 v[8:9], v[144:145], v[8:9], -v[10:11]
	s_wait_loadcnt_dscnt 0x701
	v_mul_f64_e32 v[168:169], v[4:5], v[158:159]
	v_mul_f64_e32 v[158:159], v[6:7], v[158:159]
	s_wait_loadcnt_dscnt 0x600
	v_mul_f64_e32 v[146:147], v[136:137], v[18:19]
	v_mul_f64_e32 v[18:19], v[138:139], v[18:19]
	v_add_f64_e32 v[10:11], v[166:167], v[164:165]
	v_add_f64_e32 v[144:145], v[152:153], v[176:177]
	v_fmac_f64_e32 v[168:169], v[6:7], v[156:157]
	v_fma_f64 v[152:153], v[4:5], v[156:157], -v[158:159]
	v_fmac_f64_e32 v[146:147], v[138:139], v[16:17]
	v_fma_f64 v[16:17], v[136:137], v[16:17], -v[18:19]
	v_add_f64_e32 v[156:157], v[10:11], v[8:9]
	v_add_f64_e32 v[144:145], v[144:145], v[154:155]
	ds_load_b128 v[4:7], v2 offset:1536
	ds_load_b128 v[8:11], v2 offset:1552
	s_wait_loadcnt_dscnt 0x501
	v_mul_f64_e32 v[154:155], v[4:5], v[150:151]
	v_mul_f64_e32 v[150:151], v[6:7], v[150:151]
	s_wait_loadcnt_dscnt 0x400
	v_mul_f64_e32 v[138:139], v[8:9], v[14:15]
	v_add_f64_e32 v[18:19], v[156:157], v[152:153]
	v_add_f64_e32 v[136:137], v[144:145], v[168:169]
	v_mul_f64_e32 v[144:145], v[10:11], v[14:15]
	v_fmac_f64_e32 v[154:155], v[6:7], v[148:149]
	v_fma_f64 v[148:149], v[4:5], v[148:149], -v[150:151]
	v_fmac_f64_e32 v[138:139], v[10:11], v[12:13]
	v_add_f64_e32 v[18:19], v[18:19], v[16:17]
	v_add_f64_e32 v[136:137], v[136:137], v[146:147]
	ds_load_b128 v[4:7], v2 offset:1568
	ds_load_b128 v[14:17], v2 offset:1584
	v_fma_f64 v[8:9], v[8:9], v[12:13], -v[144:145]
	s_wait_loadcnt_dscnt 0x301
	v_mul_f64_e32 v[146:147], v[4:5], v[134:135]
	v_mul_f64_e32 v[134:135], v[6:7], v[134:135]
	v_add_f64_e32 v[10:11], v[18:19], v[148:149]
	v_add_f64_e32 v[12:13], v[136:137], v[154:155]
	s_wait_loadcnt_dscnt 0x200
	v_mul_f64_e32 v[18:19], v[14:15], v[22:23]
	v_mul_f64_e32 v[22:23], v[16:17], v[22:23]
	v_fmac_f64_e32 v[146:147], v[6:7], v[132:133]
	v_fma_f64 v[132:133], v[4:5], v[132:133], -v[134:135]
	v_add_f64_e32 v[134:135], v[10:11], v[8:9]
	v_add_f64_e32 v[12:13], v[12:13], v[138:139]
	ds_load_b128 v[4:7], v2 offset:1600
	ds_load_b128 v[8:11], v2 offset:1616
	v_fmac_f64_e32 v[18:19], v[16:17], v[20:21]
	v_fma_f64 v[14:15], v[14:15], v[20:21], -v[22:23]
	s_wait_loadcnt_dscnt 0x101
	v_mul_f64_e32 v[2:3], v[4:5], v[142:143]
	v_mul_f64_e32 v[136:137], v[6:7], v[142:143]
	s_wait_loadcnt_dscnt 0x0
	v_mul_f64_e32 v[20:21], v[8:9], v[130:131]
	v_mul_f64_e32 v[22:23], v[10:11], v[130:131]
	v_add_f64_e32 v[16:17], v[134:135], v[132:133]
	v_add_f64_e32 v[12:13], v[12:13], v[146:147]
	v_fmac_f64_e32 v[2:3], v[6:7], v[140:141]
	v_fma_f64 v[4:5], v[4:5], v[140:141], -v[136:137]
	v_fmac_f64_e32 v[20:21], v[10:11], v[128:129]
	v_fma_f64 v[8:9], v[8:9], v[128:129], -v[22:23]
	v_add_f64_e32 v[6:7], v[16:17], v[14:15]
	v_add_f64_e32 v[12:13], v[12:13], v[18:19]
	s_delay_alu instid0(VALU_DEP_2) | instskip(NEXT) | instid1(VALU_DEP_2)
	v_add_f64_e32 v[4:5], v[6:7], v[4:5]
	v_add_f64_e32 v[2:3], v[12:13], v[2:3]
	s_delay_alu instid0(VALU_DEP_2) | instskip(NEXT) | instid1(VALU_DEP_2)
	;; [unrolled: 3-line block ×3, first 2 shown]
	v_add_f64_e64 v[2:3], v[160:161], -v[4:5]
	v_add_f64_e64 v[4:5], v[162:163], -v[6:7]
	scratch_store_b128 off, v[2:5], off offset:448
	s_wait_xcnt 0x0
	v_cmpx_lt_u32_e32 27, v1
	s_cbranch_execz .LBB50_265
; %bb.264:
	scratch_load_b128 v[2:5], off, s35
	v_mov_b32_e32 v6, 0
	s_delay_alu instid0(VALU_DEP_1)
	v_dual_mov_b32 v7, v6 :: v_dual_mov_b32 v8, v6
	v_mov_b32_e32 v9, v6
	scratch_store_b128 off, v[6:9], off offset:432
	s_wait_loadcnt 0x0
	ds_store_b128 v126, v[2:5]
.LBB50_265:
	s_wait_xcnt 0x0
	s_or_b32 exec_lo, exec_lo, s2
	s_wait_storecnt_dscnt 0x0
	s_barrier_signal -1
	s_barrier_wait -1
	s_clause 0x9
	scratch_load_b128 v[4:7], off, off offset:448
	scratch_load_b128 v[8:11], off, off offset:464
	;; [unrolled: 1-line block ×10, first 2 shown]
	v_mov_b32_e32 v2, 0
	s_mov_b32 s2, exec_lo
	ds_load_b128 v[148:151], v2 offset:1264
	s_clause 0x2
	scratch_load_b128 v[152:155], off, off offset:608
	scratch_load_b128 v[156:159], off, off offset:432
	;; [unrolled: 1-line block ×3, first 2 shown]
	s_wait_loadcnt_dscnt 0xc00
	v_mul_f64_e32 v[168:169], v[150:151], v[6:7]
	v_mul_f64_e32 v[172:173], v[148:149], v[6:7]
	ds_load_b128 v[160:163], v2 offset:1280
	v_fma_f64 v[176:177], v[148:149], v[4:5], -v[168:169]
	v_fmac_f64_e32 v[172:173], v[150:151], v[4:5]
	ds_load_b128 v[4:7], v2 offset:1296
	s_wait_loadcnt_dscnt 0xb01
	v_mul_f64_e32 v[174:175], v[160:161], v[10:11]
	v_mul_f64_e32 v[10:11], v[162:163], v[10:11]
	scratch_load_b128 v[148:151], off, off offset:640
	ds_load_b128 v[168:171], v2 offset:1312
	s_wait_loadcnt_dscnt 0xb01
	v_mul_f64_e32 v[178:179], v[4:5], v[14:15]
	v_mul_f64_e32 v[14:15], v[6:7], v[14:15]
	v_add_f64_e32 v[172:173], 0, v[172:173]
	v_fmac_f64_e32 v[174:175], v[162:163], v[8:9]
	v_fma_f64 v[160:161], v[160:161], v[8:9], -v[10:11]
	v_add_f64_e32 v[162:163], 0, v[176:177]
	scratch_load_b128 v[8:11], off, off offset:656
	v_fmac_f64_e32 v[178:179], v[6:7], v[12:13]
	v_fma_f64 v[180:181], v[4:5], v[12:13], -v[14:15]
	ds_load_b128 v[4:7], v2 offset:1328
	s_wait_loadcnt_dscnt 0xb01
	v_mul_f64_e32 v[176:177], v[168:169], v[18:19]
	v_mul_f64_e32 v[18:19], v[170:171], v[18:19]
	scratch_load_b128 v[12:15], off, off offset:672
	v_add_f64_e32 v[172:173], v[172:173], v[174:175]
	v_add_f64_e32 v[182:183], v[162:163], v[160:161]
	ds_load_b128 v[160:163], v2 offset:1344
	s_wait_loadcnt_dscnt 0xb01
	v_mul_f64_e32 v[174:175], v[4:5], v[22:23]
	v_mul_f64_e32 v[22:23], v[6:7], v[22:23]
	v_fmac_f64_e32 v[176:177], v[170:171], v[16:17]
	v_fma_f64 v[168:169], v[168:169], v[16:17], -v[18:19]
	scratch_load_b128 v[16:19], off, off offset:688
	v_add_f64_e32 v[172:173], v[172:173], v[178:179]
	v_add_f64_e32 v[170:171], v[182:183], v[180:181]
	v_fmac_f64_e32 v[174:175], v[6:7], v[20:21]
	v_fma_f64 v[180:181], v[4:5], v[20:21], -v[22:23]
	ds_load_b128 v[4:7], v2 offset:1360
	s_wait_loadcnt_dscnt 0xb01
	v_mul_f64_e32 v[178:179], v[160:161], v[130:131]
	v_mul_f64_e32 v[130:131], v[162:163], v[130:131]
	scratch_load_b128 v[20:23], off, off offset:704
	v_add_f64_e32 v[172:173], v[172:173], v[176:177]
	s_wait_loadcnt_dscnt 0xb00
	v_mul_f64_e32 v[176:177], v[4:5], v[134:135]
	v_add_f64_e32 v[182:183], v[170:171], v[168:169]
	v_mul_f64_e32 v[134:135], v[6:7], v[134:135]
	ds_load_b128 v[168:171], v2 offset:1376
	v_fmac_f64_e32 v[178:179], v[162:163], v[128:129]
	v_fma_f64 v[160:161], v[160:161], v[128:129], -v[130:131]
	scratch_load_b128 v[128:131], off, off offset:720
	v_add_f64_e32 v[172:173], v[172:173], v[174:175]
	v_fmac_f64_e32 v[176:177], v[6:7], v[132:133]
	v_add_f64_e32 v[162:163], v[182:183], v[180:181]
	v_fma_f64 v[180:181], v[4:5], v[132:133], -v[134:135]
	ds_load_b128 v[4:7], v2 offset:1392
	s_wait_loadcnt_dscnt 0xb01
	v_mul_f64_e32 v[174:175], v[168:169], v[138:139]
	v_mul_f64_e32 v[138:139], v[170:171], v[138:139]
	scratch_load_b128 v[132:135], off, off offset:736
	v_add_f64_e32 v[172:173], v[172:173], v[178:179]
	s_wait_loadcnt_dscnt 0xb00
	v_mul_f64_e32 v[178:179], v[4:5], v[142:143]
	v_add_f64_e32 v[182:183], v[162:163], v[160:161]
	v_mul_f64_e32 v[142:143], v[6:7], v[142:143]
	ds_load_b128 v[160:163], v2 offset:1408
	v_fmac_f64_e32 v[174:175], v[170:171], v[136:137]
	v_fma_f64 v[168:169], v[168:169], v[136:137], -v[138:139]
	scratch_load_b128 v[136:139], off, off offset:752
	v_add_f64_e32 v[172:173], v[172:173], v[176:177]
	v_fmac_f64_e32 v[178:179], v[6:7], v[140:141]
	v_add_f64_e32 v[170:171], v[182:183], v[180:181]
	;; [unrolled: 18-line block ×3, first 2 shown]
	v_fma_f64 v[180:181], v[4:5], v[152:153], -v[154:155]
	ds_load_b128 v[4:7], v2 offset:1456
	s_wait_loadcnt_dscnt 0xa01
	v_mul_f64_e32 v[178:179], v[168:169], v[166:167]
	v_mul_f64_e32 v[166:167], v[170:171], v[166:167]
	scratch_load_b128 v[152:155], off, off offset:800
	v_add_f64_e32 v[172:173], v[172:173], v[176:177]
	v_add_f64_e32 v[182:183], v[162:163], v[160:161]
	s_wait_loadcnt_dscnt 0xa00
	v_mul_f64_e32 v[176:177], v[4:5], v[150:151]
	v_mul_f64_e32 v[150:151], v[6:7], v[150:151]
	v_fmac_f64_e32 v[178:179], v[170:171], v[164:165]
	v_fma_f64 v[164:165], v[168:169], v[164:165], -v[166:167]
	ds_load_b128 v[160:163], v2 offset:1472
	v_add_f64_e32 v[168:169], v[172:173], v[174:175]
	v_add_f64_e32 v[166:167], v[182:183], v[180:181]
	s_wait_loadcnt_dscnt 0x900
	v_mul_f64_e32 v[170:171], v[160:161], v[10:11]
	v_mul_f64_e32 v[10:11], v[162:163], v[10:11]
	v_fmac_f64_e32 v[176:177], v[6:7], v[148:149]
	v_fma_f64 v[172:173], v[4:5], v[148:149], -v[150:151]
	ds_load_b128 v[4:7], v2 offset:1488
	ds_load_b128 v[148:151], v2 offset:1504
	v_add_f64_e32 v[164:165], v[166:167], v[164:165]
	v_add_f64_e32 v[166:167], v[168:169], v[178:179]
	s_wait_loadcnt_dscnt 0x801
	v_mul_f64_e32 v[168:169], v[4:5], v[14:15]
	v_mul_f64_e32 v[14:15], v[6:7], v[14:15]
	v_fmac_f64_e32 v[170:171], v[162:163], v[8:9]
	v_fma_f64 v[8:9], v[160:161], v[8:9], -v[10:11]
	s_wait_loadcnt_dscnt 0x700
	v_mul_f64_e32 v[162:163], v[148:149], v[18:19]
	v_mul_f64_e32 v[18:19], v[150:151], v[18:19]
	v_add_f64_e32 v[10:11], v[164:165], v[172:173]
	v_add_f64_e32 v[160:161], v[166:167], v[176:177]
	v_fmac_f64_e32 v[168:169], v[6:7], v[12:13]
	v_fma_f64 v[12:13], v[4:5], v[12:13], -v[14:15]
	v_fmac_f64_e32 v[162:163], v[150:151], v[16:17]
	v_fma_f64 v[16:17], v[148:149], v[16:17], -v[18:19]
	v_add_f64_e32 v[14:15], v[10:11], v[8:9]
	v_add_f64_e32 v[160:161], v[160:161], v[170:171]
	ds_load_b128 v[4:7], v2 offset:1520
	ds_load_b128 v[8:11], v2 offset:1536
	s_wait_loadcnt_dscnt 0x601
	v_mul_f64_e32 v[164:165], v[4:5], v[22:23]
	v_mul_f64_e32 v[22:23], v[6:7], v[22:23]
	s_wait_loadcnt_dscnt 0x500
	v_mul_f64_e32 v[18:19], v[8:9], v[130:131]
	v_mul_f64_e32 v[130:131], v[10:11], v[130:131]
	v_add_f64_e32 v[12:13], v[14:15], v[12:13]
	v_add_f64_e32 v[14:15], v[160:161], v[168:169]
	v_fmac_f64_e32 v[164:165], v[6:7], v[20:21]
	v_fma_f64 v[20:21], v[4:5], v[20:21], -v[22:23]
	v_fmac_f64_e32 v[18:19], v[10:11], v[128:129]
	v_fma_f64 v[8:9], v[8:9], v[128:129], -v[130:131]
	v_add_f64_e32 v[16:17], v[12:13], v[16:17]
	v_add_f64_e32 v[22:23], v[14:15], v[162:163]
	ds_load_b128 v[4:7], v2 offset:1552
	ds_load_b128 v[12:15], v2 offset:1568
	s_wait_loadcnt_dscnt 0x401
	v_mul_f64_e32 v[148:149], v[4:5], v[134:135]
	v_mul_f64_e32 v[134:135], v[6:7], v[134:135]
	v_add_f64_e32 v[10:11], v[16:17], v[20:21]
	v_add_f64_e32 v[16:17], v[22:23], v[164:165]
	s_wait_loadcnt_dscnt 0x300
	v_mul_f64_e32 v[20:21], v[12:13], v[138:139]
	v_mul_f64_e32 v[22:23], v[14:15], v[138:139]
	v_fmac_f64_e32 v[148:149], v[6:7], v[132:133]
	v_fma_f64 v[128:129], v[4:5], v[132:133], -v[134:135]
	v_add_f64_e32 v[130:131], v[10:11], v[8:9]
	v_add_f64_e32 v[16:17], v[16:17], v[18:19]
	ds_load_b128 v[4:7], v2 offset:1584
	ds_load_b128 v[8:11], v2 offset:1600
	v_fmac_f64_e32 v[20:21], v[14:15], v[136:137]
	v_fma_f64 v[12:13], v[12:13], v[136:137], -v[22:23]
	s_wait_loadcnt_dscnt 0x201
	v_mul_f64_e32 v[18:19], v[4:5], v[142:143]
	v_mul_f64_e32 v[132:133], v[6:7], v[142:143]
	s_wait_loadcnt_dscnt 0x100
	v_mul_f64_e32 v[22:23], v[8:9], v[146:147]
	v_add_f64_e32 v[14:15], v[130:131], v[128:129]
	v_add_f64_e32 v[16:17], v[16:17], v[148:149]
	v_mul_f64_e32 v[128:129], v[10:11], v[146:147]
	v_fmac_f64_e32 v[18:19], v[6:7], v[140:141]
	v_fma_f64 v[130:131], v[4:5], v[140:141], -v[132:133]
	ds_load_b128 v[4:7], v2 offset:1616
	v_fmac_f64_e32 v[22:23], v[10:11], v[144:145]
	v_add_f64_e32 v[12:13], v[14:15], v[12:13]
	v_add_f64_e32 v[14:15], v[16:17], v[20:21]
	v_fma_f64 v[8:9], v[8:9], v[144:145], -v[128:129]
	s_wait_loadcnt_dscnt 0x0
	v_mul_f64_e32 v[16:17], v[4:5], v[154:155]
	v_mul_f64_e32 v[20:21], v[6:7], v[154:155]
	v_add_f64_e32 v[10:11], v[12:13], v[130:131]
	v_add_f64_e32 v[12:13], v[14:15], v[18:19]
	s_delay_alu instid0(VALU_DEP_4) | instskip(NEXT) | instid1(VALU_DEP_4)
	v_fmac_f64_e32 v[16:17], v[6:7], v[152:153]
	v_fma_f64 v[4:5], v[4:5], v[152:153], -v[20:21]
	s_delay_alu instid0(VALU_DEP_4) | instskip(NEXT) | instid1(VALU_DEP_4)
	v_add_f64_e32 v[6:7], v[10:11], v[8:9]
	v_add_f64_e32 v[8:9], v[12:13], v[22:23]
	s_delay_alu instid0(VALU_DEP_2) | instskip(NEXT) | instid1(VALU_DEP_2)
	v_add_f64_e32 v[4:5], v[6:7], v[4:5]
	v_add_f64_e32 v[6:7], v[8:9], v[16:17]
	s_delay_alu instid0(VALU_DEP_2) | instskip(NEXT) | instid1(VALU_DEP_2)
	v_add_f64_e64 v[4:5], v[156:157], -v[4:5]
	v_add_f64_e64 v[6:7], v[158:159], -v[6:7]
	scratch_store_b128 off, v[4:7], off offset:432
	s_wait_xcnt 0x0
	v_cmpx_lt_u32_e32 26, v1
	s_cbranch_execz .LBB50_267
; %bb.266:
	scratch_load_b128 v[6:9], off, s38
	v_dual_mov_b32 v3, v2 :: v_dual_mov_b32 v4, v2
	v_mov_b32_e32 v5, v2
	scratch_store_b128 off, v[2:5], off offset:416
	s_wait_loadcnt 0x0
	ds_store_b128 v126, v[6:9]
.LBB50_267:
	s_wait_xcnt 0x0
	s_or_b32 exec_lo, exec_lo, s2
	s_wait_storecnt_dscnt 0x0
	s_barrier_signal -1
	s_barrier_wait -1
	s_clause 0x9
	scratch_load_b128 v[4:7], off, off offset:432
	scratch_load_b128 v[8:11], off, off offset:448
	;; [unrolled: 1-line block ×10, first 2 shown]
	ds_load_b128 v[148:151], v2 offset:1248
	ds_load_b128 v[156:159], v2 offset:1264
	s_clause 0x2
	scratch_load_b128 v[152:155], off, off offset:592
	scratch_load_b128 v[160:163], off, off offset:416
	;; [unrolled: 1-line block ×3, first 2 shown]
	s_mov_b32 s2, exec_lo
	s_wait_loadcnt_dscnt 0xc01
	v_mul_f64_e32 v[168:169], v[150:151], v[6:7]
	v_mul_f64_e32 v[172:173], v[148:149], v[6:7]
	s_wait_loadcnt_dscnt 0xb00
	v_mul_f64_e32 v[174:175], v[156:157], v[10:11]
	v_mul_f64_e32 v[10:11], v[158:159], v[10:11]
	s_delay_alu instid0(VALU_DEP_4) | instskip(NEXT) | instid1(VALU_DEP_4)
	v_fma_f64 v[176:177], v[148:149], v[4:5], -v[168:169]
	v_fmac_f64_e32 v[172:173], v[150:151], v[4:5]
	ds_load_b128 v[4:7], v2 offset:1280
	ds_load_b128 v[148:151], v2 offset:1296
	scratch_load_b128 v[168:171], off, off offset:624
	v_fmac_f64_e32 v[174:175], v[158:159], v[8:9]
	v_fma_f64 v[156:157], v[156:157], v[8:9], -v[10:11]
	scratch_load_b128 v[8:11], off, off offset:640
	s_wait_loadcnt_dscnt 0xc01
	v_mul_f64_e32 v[178:179], v[4:5], v[14:15]
	v_mul_f64_e32 v[14:15], v[6:7], v[14:15]
	v_add_f64_e32 v[158:159], 0, v[176:177]
	v_add_f64_e32 v[172:173], 0, v[172:173]
	s_wait_loadcnt_dscnt 0xb00
	v_mul_f64_e32 v[176:177], v[148:149], v[18:19]
	v_mul_f64_e32 v[18:19], v[150:151], v[18:19]
	v_fmac_f64_e32 v[178:179], v[6:7], v[12:13]
	v_fma_f64 v[180:181], v[4:5], v[12:13], -v[14:15]
	ds_load_b128 v[4:7], v2 offset:1312
	ds_load_b128 v[12:15], v2 offset:1328
	v_add_f64_e32 v[182:183], v[158:159], v[156:157]
	v_add_f64_e32 v[172:173], v[172:173], v[174:175]
	scratch_load_b128 v[156:159], off, off offset:656
	v_fmac_f64_e32 v[176:177], v[150:151], v[16:17]
	v_fma_f64 v[148:149], v[148:149], v[16:17], -v[18:19]
	scratch_load_b128 v[16:19], off, off offset:672
	s_wait_loadcnt_dscnt 0xc01
	v_mul_f64_e32 v[174:175], v[4:5], v[22:23]
	v_mul_f64_e32 v[22:23], v[6:7], v[22:23]
	v_add_f64_e32 v[150:151], v[182:183], v[180:181]
	v_add_f64_e32 v[172:173], v[172:173], v[178:179]
	s_wait_loadcnt_dscnt 0xb00
	v_mul_f64_e32 v[178:179], v[12:13], v[130:131]
	v_mul_f64_e32 v[130:131], v[14:15], v[130:131]
	v_fmac_f64_e32 v[174:175], v[6:7], v[20:21]
	v_fma_f64 v[180:181], v[4:5], v[20:21], -v[22:23]
	ds_load_b128 v[4:7], v2 offset:1344
	ds_load_b128 v[20:23], v2 offset:1360
	v_add_f64_e32 v[182:183], v[150:151], v[148:149]
	v_add_f64_e32 v[172:173], v[172:173], v[176:177]
	scratch_load_b128 v[148:151], off, off offset:688
	s_wait_loadcnt_dscnt 0xb01
	v_mul_f64_e32 v[176:177], v[4:5], v[134:135]
	v_mul_f64_e32 v[134:135], v[6:7], v[134:135]
	v_fmac_f64_e32 v[178:179], v[14:15], v[128:129]
	v_fma_f64 v[128:129], v[12:13], v[128:129], -v[130:131]
	scratch_load_b128 v[12:15], off, off offset:704
	v_add_f64_e32 v[130:131], v[182:183], v[180:181]
	v_add_f64_e32 v[172:173], v[172:173], v[174:175]
	s_wait_loadcnt_dscnt 0xb00
	v_mul_f64_e32 v[174:175], v[20:21], v[138:139]
	v_mul_f64_e32 v[138:139], v[22:23], v[138:139]
	v_fmac_f64_e32 v[176:177], v[6:7], v[132:133]
	v_fma_f64 v[180:181], v[4:5], v[132:133], -v[134:135]
	v_add_f64_e32 v[182:183], v[130:131], v[128:129]
	v_add_f64_e32 v[172:173], v[172:173], v[178:179]
	ds_load_b128 v[4:7], v2 offset:1376
	ds_load_b128 v[128:131], v2 offset:1392
	scratch_load_b128 v[132:135], off, off offset:720
	v_fmac_f64_e32 v[174:175], v[22:23], v[136:137]
	v_fma_f64 v[136:137], v[20:21], v[136:137], -v[138:139]
	scratch_load_b128 v[20:23], off, off offset:736
	s_wait_loadcnt_dscnt 0xc01
	v_mul_f64_e32 v[178:179], v[4:5], v[142:143]
	v_mul_f64_e32 v[142:143], v[6:7], v[142:143]
	v_add_f64_e32 v[138:139], v[182:183], v[180:181]
	v_add_f64_e32 v[172:173], v[172:173], v[176:177]
	s_wait_loadcnt_dscnt 0xb00
	v_mul_f64_e32 v[176:177], v[128:129], v[146:147]
	v_mul_f64_e32 v[146:147], v[130:131], v[146:147]
	v_fmac_f64_e32 v[178:179], v[6:7], v[140:141]
	v_fma_f64 v[180:181], v[4:5], v[140:141], -v[142:143]
	v_add_f64_e32 v[182:183], v[138:139], v[136:137]
	v_add_f64_e32 v[172:173], v[172:173], v[174:175]
	ds_load_b128 v[4:7], v2 offset:1408
	ds_load_b128 v[136:139], v2 offset:1424
	scratch_load_b128 v[140:143], off, off offset:752
	v_fmac_f64_e32 v[176:177], v[130:131], v[144:145]
	v_fma_f64 v[144:145], v[128:129], v[144:145], -v[146:147]
	scratch_load_b128 v[128:131], off, off offset:768
	s_wait_loadcnt_dscnt 0xc01
	v_mul_f64_e32 v[174:175], v[4:5], v[154:155]
	v_mul_f64_e32 v[154:155], v[6:7], v[154:155]
	;; [unrolled: 18-line block ×3, first 2 shown]
	v_add_f64_e32 v[166:167], v[182:183], v[180:181]
	v_add_f64_e32 v[172:173], v[172:173], v[174:175]
	s_wait_loadcnt_dscnt 0xa00
	v_mul_f64_e32 v[174:175], v[144:145], v[10:11]
	v_mul_f64_e32 v[10:11], v[146:147], v[10:11]
	v_fmac_f64_e32 v[176:177], v[6:7], v[168:169]
	v_fma_f64 v[168:169], v[4:5], v[168:169], -v[170:171]
	v_add_f64_e32 v[170:171], v[166:167], v[164:165]
	v_add_f64_e32 v[172:173], v[172:173], v[178:179]
	ds_load_b128 v[4:7], v2 offset:1472
	ds_load_b128 v[164:167], v2 offset:1488
	v_fmac_f64_e32 v[174:175], v[146:147], v[8:9]
	v_fma_f64 v[8:9], v[144:145], v[8:9], -v[10:11]
	s_wait_loadcnt_dscnt 0x901
	v_mul_f64_e32 v[178:179], v[4:5], v[158:159]
	v_mul_f64_e32 v[158:159], v[6:7], v[158:159]
	s_wait_loadcnt_dscnt 0x800
	v_mul_f64_e32 v[146:147], v[164:165], v[18:19]
	v_mul_f64_e32 v[18:19], v[166:167], v[18:19]
	v_add_f64_e32 v[10:11], v[170:171], v[168:169]
	v_add_f64_e32 v[144:145], v[172:173], v[176:177]
	v_fmac_f64_e32 v[178:179], v[6:7], v[156:157]
	v_fma_f64 v[156:157], v[4:5], v[156:157], -v[158:159]
	v_fmac_f64_e32 v[146:147], v[166:167], v[16:17]
	v_fma_f64 v[16:17], v[164:165], v[16:17], -v[18:19]
	v_add_f64_e32 v[158:159], v[10:11], v[8:9]
	v_add_f64_e32 v[144:145], v[144:145], v[174:175]
	ds_load_b128 v[4:7], v2 offset:1504
	ds_load_b128 v[8:11], v2 offset:1520
	s_wait_loadcnt_dscnt 0x701
	v_mul_f64_e32 v[168:169], v[4:5], v[150:151]
	v_mul_f64_e32 v[150:151], v[6:7], v[150:151]
	v_add_f64_e32 v[18:19], v[158:159], v[156:157]
	v_add_f64_e32 v[144:145], v[144:145], v[178:179]
	s_wait_loadcnt_dscnt 0x600
	v_mul_f64_e32 v[156:157], v[8:9], v[14:15]
	v_mul_f64_e32 v[158:159], v[10:11], v[14:15]
	v_fmac_f64_e32 v[168:169], v[6:7], v[148:149]
	v_fma_f64 v[148:149], v[4:5], v[148:149], -v[150:151]
	v_add_f64_e32 v[18:19], v[18:19], v[16:17]
	v_add_f64_e32 v[144:145], v[144:145], v[146:147]
	ds_load_b128 v[4:7], v2 offset:1536
	ds_load_b128 v[14:17], v2 offset:1552
	v_fmac_f64_e32 v[156:157], v[10:11], v[12:13]
	v_fma_f64 v[8:9], v[8:9], v[12:13], -v[158:159]
	s_wait_loadcnt_dscnt 0x501
	v_mul_f64_e32 v[146:147], v[4:5], v[134:135]
	v_mul_f64_e32 v[134:135], v[6:7], v[134:135]
	v_add_f64_e32 v[10:11], v[18:19], v[148:149]
	v_add_f64_e32 v[12:13], v[144:145], v[168:169]
	s_wait_loadcnt_dscnt 0x400
	v_mul_f64_e32 v[18:19], v[14:15], v[22:23]
	v_mul_f64_e32 v[22:23], v[16:17], v[22:23]
	v_fmac_f64_e32 v[146:147], v[6:7], v[132:133]
	v_fma_f64 v[132:133], v[4:5], v[132:133], -v[134:135]
	v_add_f64_e32 v[134:135], v[10:11], v[8:9]
	v_add_f64_e32 v[12:13], v[12:13], v[156:157]
	ds_load_b128 v[4:7], v2 offset:1568
	ds_load_b128 v[8:11], v2 offset:1584
	v_fmac_f64_e32 v[18:19], v[16:17], v[20:21]
	v_fma_f64 v[14:15], v[14:15], v[20:21], -v[22:23]
	s_wait_loadcnt_dscnt 0x301
	v_mul_f64_e32 v[144:145], v[4:5], v[142:143]
	v_mul_f64_e32 v[142:143], v[6:7], v[142:143]
	s_wait_loadcnt_dscnt 0x200
	v_mul_f64_e32 v[20:21], v[8:9], v[130:131]
	v_mul_f64_e32 v[22:23], v[10:11], v[130:131]
	v_add_f64_e32 v[16:17], v[134:135], v[132:133]
	v_add_f64_e32 v[12:13], v[12:13], v[146:147]
	v_fmac_f64_e32 v[144:145], v[6:7], v[140:141]
	v_fma_f64 v[130:131], v[4:5], v[140:141], -v[142:143]
	v_fmac_f64_e32 v[20:21], v[10:11], v[128:129]
	v_fma_f64 v[8:9], v[8:9], v[128:129], -v[22:23]
	v_add_f64_e32 v[16:17], v[16:17], v[14:15]
	v_add_f64_e32 v[18:19], v[12:13], v[18:19]
	ds_load_b128 v[4:7], v2 offset:1600
	ds_load_b128 v[12:15], v2 offset:1616
	s_wait_loadcnt_dscnt 0x101
	v_mul_f64_e32 v[2:3], v[4:5], v[154:155]
	v_mul_f64_e32 v[132:133], v[6:7], v[154:155]
	s_wait_loadcnt_dscnt 0x0
	v_mul_f64_e32 v[22:23], v[14:15], v[138:139]
	v_add_f64_e32 v[10:11], v[16:17], v[130:131]
	v_add_f64_e32 v[16:17], v[18:19], v[144:145]
	v_mul_f64_e32 v[18:19], v[12:13], v[138:139]
	v_fmac_f64_e32 v[2:3], v[6:7], v[152:153]
	v_fma_f64 v[4:5], v[4:5], v[152:153], -v[132:133]
	v_add_f64_e32 v[6:7], v[10:11], v[8:9]
	v_add_f64_e32 v[8:9], v[16:17], v[20:21]
	v_fmac_f64_e32 v[18:19], v[14:15], v[136:137]
	v_fma_f64 v[10:11], v[12:13], v[136:137], -v[22:23]
	s_delay_alu instid0(VALU_DEP_4) | instskip(NEXT) | instid1(VALU_DEP_4)
	v_add_f64_e32 v[4:5], v[6:7], v[4:5]
	v_add_f64_e32 v[2:3], v[8:9], v[2:3]
	s_delay_alu instid0(VALU_DEP_2) | instskip(NEXT) | instid1(VALU_DEP_2)
	v_add_f64_e32 v[4:5], v[4:5], v[10:11]
	v_add_f64_e32 v[6:7], v[2:3], v[18:19]
	s_delay_alu instid0(VALU_DEP_2) | instskip(NEXT) | instid1(VALU_DEP_2)
	v_add_f64_e64 v[2:3], v[160:161], -v[4:5]
	v_add_f64_e64 v[4:5], v[162:163], -v[6:7]
	scratch_store_b128 off, v[2:5], off offset:416
	s_wait_xcnt 0x0
	v_cmpx_lt_u32_e32 25, v1
	s_cbranch_execz .LBB50_269
; %bb.268:
	scratch_load_b128 v[2:5], off, s37
	v_mov_b32_e32 v6, 0
	s_delay_alu instid0(VALU_DEP_1)
	v_dual_mov_b32 v7, v6 :: v_dual_mov_b32 v8, v6
	v_mov_b32_e32 v9, v6
	scratch_store_b128 off, v[6:9], off offset:400
	s_wait_loadcnt 0x0
	ds_store_b128 v126, v[2:5]
.LBB50_269:
	s_wait_xcnt 0x0
	s_or_b32 exec_lo, exec_lo, s2
	s_wait_storecnt_dscnt 0x0
	s_barrier_signal -1
	s_barrier_wait -1
	s_clause 0x9
	scratch_load_b128 v[4:7], off, off offset:416
	scratch_load_b128 v[8:11], off, off offset:432
	;; [unrolled: 1-line block ×10, first 2 shown]
	v_mov_b32_e32 v2, 0
	s_mov_b32 s2, exec_lo
	ds_load_b128 v[148:151], v2 offset:1232
	s_clause 0x2
	scratch_load_b128 v[152:155], off, off offset:576
	scratch_load_b128 v[156:159], off, off offset:400
	;; [unrolled: 1-line block ×3, first 2 shown]
	s_wait_loadcnt_dscnt 0xc00
	v_mul_f64_e32 v[168:169], v[150:151], v[6:7]
	v_mul_f64_e32 v[172:173], v[148:149], v[6:7]
	ds_load_b128 v[160:163], v2 offset:1248
	v_fma_f64 v[176:177], v[148:149], v[4:5], -v[168:169]
	v_fmac_f64_e32 v[172:173], v[150:151], v[4:5]
	ds_load_b128 v[4:7], v2 offset:1264
	s_wait_loadcnt_dscnt 0xb01
	v_mul_f64_e32 v[174:175], v[160:161], v[10:11]
	v_mul_f64_e32 v[10:11], v[162:163], v[10:11]
	scratch_load_b128 v[148:151], off, off offset:608
	ds_load_b128 v[168:171], v2 offset:1280
	s_wait_loadcnt_dscnt 0xb01
	v_mul_f64_e32 v[178:179], v[4:5], v[14:15]
	v_mul_f64_e32 v[14:15], v[6:7], v[14:15]
	v_add_f64_e32 v[172:173], 0, v[172:173]
	v_fmac_f64_e32 v[174:175], v[162:163], v[8:9]
	v_fma_f64 v[160:161], v[160:161], v[8:9], -v[10:11]
	v_add_f64_e32 v[162:163], 0, v[176:177]
	scratch_load_b128 v[8:11], off, off offset:624
	v_fmac_f64_e32 v[178:179], v[6:7], v[12:13]
	v_fma_f64 v[180:181], v[4:5], v[12:13], -v[14:15]
	ds_load_b128 v[4:7], v2 offset:1296
	s_wait_loadcnt_dscnt 0xb01
	v_mul_f64_e32 v[176:177], v[168:169], v[18:19]
	v_mul_f64_e32 v[18:19], v[170:171], v[18:19]
	scratch_load_b128 v[12:15], off, off offset:640
	v_add_f64_e32 v[172:173], v[172:173], v[174:175]
	v_add_f64_e32 v[182:183], v[162:163], v[160:161]
	ds_load_b128 v[160:163], v2 offset:1312
	s_wait_loadcnt_dscnt 0xb01
	v_mul_f64_e32 v[174:175], v[4:5], v[22:23]
	v_mul_f64_e32 v[22:23], v[6:7], v[22:23]
	v_fmac_f64_e32 v[176:177], v[170:171], v[16:17]
	v_fma_f64 v[168:169], v[168:169], v[16:17], -v[18:19]
	scratch_load_b128 v[16:19], off, off offset:656
	v_add_f64_e32 v[172:173], v[172:173], v[178:179]
	v_add_f64_e32 v[170:171], v[182:183], v[180:181]
	v_fmac_f64_e32 v[174:175], v[6:7], v[20:21]
	v_fma_f64 v[180:181], v[4:5], v[20:21], -v[22:23]
	ds_load_b128 v[4:7], v2 offset:1328
	s_wait_loadcnt_dscnt 0xb01
	v_mul_f64_e32 v[178:179], v[160:161], v[130:131]
	v_mul_f64_e32 v[130:131], v[162:163], v[130:131]
	scratch_load_b128 v[20:23], off, off offset:672
	v_add_f64_e32 v[172:173], v[172:173], v[176:177]
	s_wait_loadcnt_dscnt 0xb00
	v_mul_f64_e32 v[176:177], v[4:5], v[134:135]
	v_add_f64_e32 v[182:183], v[170:171], v[168:169]
	v_mul_f64_e32 v[134:135], v[6:7], v[134:135]
	ds_load_b128 v[168:171], v2 offset:1344
	v_fmac_f64_e32 v[178:179], v[162:163], v[128:129]
	v_fma_f64 v[160:161], v[160:161], v[128:129], -v[130:131]
	scratch_load_b128 v[128:131], off, off offset:688
	v_add_f64_e32 v[172:173], v[172:173], v[174:175]
	v_fmac_f64_e32 v[176:177], v[6:7], v[132:133]
	v_add_f64_e32 v[162:163], v[182:183], v[180:181]
	v_fma_f64 v[180:181], v[4:5], v[132:133], -v[134:135]
	ds_load_b128 v[4:7], v2 offset:1360
	s_wait_loadcnt_dscnt 0xb01
	v_mul_f64_e32 v[174:175], v[168:169], v[138:139]
	v_mul_f64_e32 v[138:139], v[170:171], v[138:139]
	scratch_load_b128 v[132:135], off, off offset:704
	v_add_f64_e32 v[172:173], v[172:173], v[178:179]
	s_wait_loadcnt_dscnt 0xb00
	v_mul_f64_e32 v[178:179], v[4:5], v[142:143]
	v_add_f64_e32 v[182:183], v[162:163], v[160:161]
	v_mul_f64_e32 v[142:143], v[6:7], v[142:143]
	ds_load_b128 v[160:163], v2 offset:1376
	v_fmac_f64_e32 v[174:175], v[170:171], v[136:137]
	v_fma_f64 v[168:169], v[168:169], v[136:137], -v[138:139]
	scratch_load_b128 v[136:139], off, off offset:720
	v_add_f64_e32 v[172:173], v[172:173], v[176:177]
	v_fmac_f64_e32 v[178:179], v[6:7], v[140:141]
	v_add_f64_e32 v[170:171], v[182:183], v[180:181]
	v_fma_f64 v[180:181], v[4:5], v[140:141], -v[142:143]
	ds_load_b128 v[4:7], v2 offset:1392
	s_wait_loadcnt_dscnt 0xb01
	v_mul_f64_e32 v[176:177], v[160:161], v[146:147]
	v_mul_f64_e32 v[146:147], v[162:163], v[146:147]
	scratch_load_b128 v[140:143], off, off offset:736
	v_add_f64_e32 v[172:173], v[172:173], v[174:175]
	s_wait_loadcnt_dscnt 0xb00
	v_mul_f64_e32 v[174:175], v[4:5], v[154:155]
	v_add_f64_e32 v[182:183], v[170:171], v[168:169]
	v_mul_f64_e32 v[154:155], v[6:7], v[154:155]
	ds_load_b128 v[168:171], v2 offset:1408
	v_fmac_f64_e32 v[176:177], v[162:163], v[144:145]
	v_fma_f64 v[160:161], v[160:161], v[144:145], -v[146:147]
	scratch_load_b128 v[144:147], off, off offset:752
	v_add_f64_e32 v[172:173], v[172:173], v[178:179]
	v_fmac_f64_e32 v[174:175], v[6:7], v[152:153]
	v_add_f64_e32 v[162:163], v[182:183], v[180:181]
	v_fma_f64 v[180:181], v[4:5], v[152:153], -v[154:155]
	ds_load_b128 v[4:7], v2 offset:1424
	s_wait_loadcnt_dscnt 0xa01
	v_mul_f64_e32 v[178:179], v[168:169], v[166:167]
	v_mul_f64_e32 v[166:167], v[170:171], v[166:167]
	scratch_load_b128 v[152:155], off, off offset:768
	v_add_f64_e32 v[172:173], v[172:173], v[176:177]
	v_add_f64_e32 v[182:183], v[162:163], v[160:161]
	s_wait_loadcnt_dscnt 0xa00
	v_mul_f64_e32 v[176:177], v[4:5], v[150:151]
	v_mul_f64_e32 v[150:151], v[6:7], v[150:151]
	v_fmac_f64_e32 v[178:179], v[170:171], v[164:165]
	v_fma_f64 v[168:169], v[168:169], v[164:165], -v[166:167]
	ds_load_b128 v[160:163], v2 offset:1440
	scratch_load_b128 v[164:167], off, off offset:784
	v_add_f64_e32 v[172:173], v[172:173], v[174:175]
	v_add_f64_e32 v[170:171], v[182:183], v[180:181]
	v_fmac_f64_e32 v[176:177], v[6:7], v[148:149]
	v_fma_f64 v[180:181], v[4:5], v[148:149], -v[150:151]
	ds_load_b128 v[4:7], v2 offset:1456
	s_wait_loadcnt_dscnt 0xa01
	v_mul_f64_e32 v[174:175], v[160:161], v[10:11]
	v_mul_f64_e32 v[10:11], v[162:163], v[10:11]
	scratch_load_b128 v[148:151], off, off offset:800
	v_add_f64_e32 v[172:173], v[172:173], v[178:179]
	s_wait_loadcnt_dscnt 0xa00
	v_mul_f64_e32 v[178:179], v[4:5], v[14:15]
	v_add_f64_e32 v[182:183], v[170:171], v[168:169]
	v_mul_f64_e32 v[14:15], v[6:7], v[14:15]
	ds_load_b128 v[168:171], v2 offset:1472
	v_fmac_f64_e32 v[174:175], v[162:163], v[8:9]
	v_fma_f64 v[8:9], v[160:161], v[8:9], -v[10:11]
	s_wait_loadcnt_dscnt 0x900
	v_mul_f64_e32 v[162:163], v[168:169], v[18:19]
	v_mul_f64_e32 v[18:19], v[170:171], v[18:19]
	v_add_f64_e32 v[160:161], v[172:173], v[176:177]
	v_fmac_f64_e32 v[178:179], v[6:7], v[12:13]
	v_add_f64_e32 v[10:11], v[182:183], v[180:181]
	v_fma_f64 v[12:13], v[4:5], v[12:13], -v[14:15]
	v_fmac_f64_e32 v[162:163], v[170:171], v[16:17]
	v_fma_f64 v[16:17], v[168:169], v[16:17], -v[18:19]
	v_add_f64_e32 v[160:161], v[160:161], v[174:175]
	v_add_f64_e32 v[14:15], v[10:11], v[8:9]
	ds_load_b128 v[4:7], v2 offset:1488
	ds_load_b128 v[8:11], v2 offset:1504
	s_wait_loadcnt_dscnt 0x801
	v_mul_f64_e32 v[172:173], v[4:5], v[22:23]
	v_mul_f64_e32 v[22:23], v[6:7], v[22:23]
	s_wait_loadcnt_dscnt 0x700
	v_mul_f64_e32 v[18:19], v[8:9], v[130:131]
	v_mul_f64_e32 v[130:131], v[10:11], v[130:131]
	v_add_f64_e32 v[12:13], v[14:15], v[12:13]
	v_add_f64_e32 v[14:15], v[160:161], v[178:179]
	v_fmac_f64_e32 v[172:173], v[6:7], v[20:21]
	v_fma_f64 v[20:21], v[4:5], v[20:21], -v[22:23]
	v_fmac_f64_e32 v[18:19], v[10:11], v[128:129]
	v_fma_f64 v[8:9], v[8:9], v[128:129], -v[130:131]
	v_add_f64_e32 v[16:17], v[12:13], v[16:17]
	v_add_f64_e32 v[22:23], v[14:15], v[162:163]
	ds_load_b128 v[4:7], v2 offset:1520
	ds_load_b128 v[12:15], v2 offset:1536
	s_wait_loadcnt_dscnt 0x601
	v_mul_f64_e32 v[160:161], v[4:5], v[134:135]
	v_mul_f64_e32 v[134:135], v[6:7], v[134:135]
	v_add_f64_e32 v[10:11], v[16:17], v[20:21]
	v_add_f64_e32 v[16:17], v[22:23], v[172:173]
	s_wait_loadcnt_dscnt 0x500
	v_mul_f64_e32 v[20:21], v[12:13], v[138:139]
	v_mul_f64_e32 v[22:23], v[14:15], v[138:139]
	v_fmac_f64_e32 v[160:161], v[6:7], v[132:133]
	v_fma_f64 v[128:129], v[4:5], v[132:133], -v[134:135]
	v_add_f64_e32 v[130:131], v[10:11], v[8:9]
	v_add_f64_e32 v[16:17], v[16:17], v[18:19]
	ds_load_b128 v[4:7], v2 offset:1552
	ds_load_b128 v[8:11], v2 offset:1568
	v_fmac_f64_e32 v[20:21], v[14:15], v[136:137]
	v_fma_f64 v[12:13], v[12:13], v[136:137], -v[22:23]
	s_wait_loadcnt_dscnt 0x401
	v_mul_f64_e32 v[18:19], v[4:5], v[142:143]
	v_mul_f64_e32 v[132:133], v[6:7], v[142:143]
	s_wait_loadcnt_dscnt 0x300
	v_mul_f64_e32 v[22:23], v[8:9], v[146:147]
	v_add_f64_e32 v[14:15], v[130:131], v[128:129]
	v_add_f64_e32 v[16:17], v[16:17], v[160:161]
	v_mul_f64_e32 v[128:129], v[10:11], v[146:147]
	v_fmac_f64_e32 v[18:19], v[6:7], v[140:141]
	v_fma_f64 v[130:131], v[4:5], v[140:141], -v[132:133]
	v_fmac_f64_e32 v[22:23], v[10:11], v[144:145]
	v_add_f64_e32 v[132:133], v[14:15], v[12:13]
	v_add_f64_e32 v[16:17], v[16:17], v[20:21]
	ds_load_b128 v[4:7], v2 offset:1584
	ds_load_b128 v[12:15], v2 offset:1600
	v_fma_f64 v[8:9], v[8:9], v[144:145], -v[128:129]
	s_wait_loadcnt_dscnt 0x201
	v_mul_f64_e32 v[20:21], v[4:5], v[154:155]
	v_mul_f64_e32 v[134:135], v[6:7], v[154:155]
	s_wait_loadcnt_dscnt 0x100
	v_mul_f64_e32 v[128:129], v[14:15], v[166:167]
	v_add_f64_e32 v[10:11], v[132:133], v[130:131]
	v_add_f64_e32 v[16:17], v[16:17], v[18:19]
	v_mul_f64_e32 v[18:19], v[12:13], v[166:167]
	v_fmac_f64_e32 v[20:21], v[6:7], v[152:153]
	v_fma_f64 v[130:131], v[4:5], v[152:153], -v[134:135]
	ds_load_b128 v[4:7], v2 offset:1616
	v_fma_f64 v[12:13], v[12:13], v[164:165], -v[128:129]
	v_add_f64_e32 v[8:9], v[10:11], v[8:9]
	v_add_f64_e32 v[10:11], v[16:17], v[22:23]
	v_fmac_f64_e32 v[18:19], v[14:15], v[164:165]
	s_wait_loadcnt_dscnt 0x0
	v_mul_f64_e32 v[16:17], v[4:5], v[150:151]
	v_mul_f64_e32 v[22:23], v[6:7], v[150:151]
	v_add_f64_e32 v[8:9], v[8:9], v[130:131]
	v_add_f64_e32 v[10:11], v[10:11], v[20:21]
	s_delay_alu instid0(VALU_DEP_4) | instskip(NEXT) | instid1(VALU_DEP_4)
	v_fmac_f64_e32 v[16:17], v[6:7], v[148:149]
	v_fma_f64 v[4:5], v[4:5], v[148:149], -v[22:23]
	s_delay_alu instid0(VALU_DEP_4) | instskip(NEXT) | instid1(VALU_DEP_4)
	v_add_f64_e32 v[6:7], v[8:9], v[12:13]
	v_add_f64_e32 v[8:9], v[10:11], v[18:19]
	s_delay_alu instid0(VALU_DEP_2) | instskip(NEXT) | instid1(VALU_DEP_2)
	v_add_f64_e32 v[4:5], v[6:7], v[4:5]
	v_add_f64_e32 v[6:7], v[8:9], v[16:17]
	s_delay_alu instid0(VALU_DEP_2) | instskip(NEXT) | instid1(VALU_DEP_2)
	v_add_f64_e64 v[4:5], v[156:157], -v[4:5]
	v_add_f64_e64 v[6:7], v[158:159], -v[6:7]
	scratch_store_b128 off, v[4:7], off offset:400
	s_wait_xcnt 0x0
	v_cmpx_lt_u32_e32 24, v1
	s_cbranch_execz .LBB50_271
; %bb.270:
	scratch_load_b128 v[6:9], off, s40
	v_dual_mov_b32 v3, v2 :: v_dual_mov_b32 v4, v2
	v_mov_b32_e32 v5, v2
	scratch_store_b128 off, v[2:5], off offset:384
	s_wait_loadcnt 0x0
	ds_store_b128 v126, v[6:9]
.LBB50_271:
	s_wait_xcnt 0x0
	s_or_b32 exec_lo, exec_lo, s2
	s_wait_storecnt_dscnt 0x0
	s_barrier_signal -1
	s_barrier_wait -1
	s_clause 0x9
	scratch_load_b128 v[4:7], off, off offset:400
	scratch_load_b128 v[8:11], off, off offset:416
	;; [unrolled: 1-line block ×10, first 2 shown]
	ds_load_b128 v[148:151], v2 offset:1216
	ds_load_b128 v[156:159], v2 offset:1232
	s_clause 0x2
	scratch_load_b128 v[152:155], off, off offset:560
	scratch_load_b128 v[160:163], off, off offset:384
	;; [unrolled: 1-line block ×3, first 2 shown]
	s_mov_b32 s2, exec_lo
	s_wait_loadcnt_dscnt 0xc01
	v_mul_f64_e32 v[168:169], v[150:151], v[6:7]
	v_mul_f64_e32 v[172:173], v[148:149], v[6:7]
	s_wait_loadcnt_dscnt 0xb00
	v_mul_f64_e32 v[174:175], v[156:157], v[10:11]
	v_mul_f64_e32 v[10:11], v[158:159], v[10:11]
	s_delay_alu instid0(VALU_DEP_4) | instskip(NEXT) | instid1(VALU_DEP_4)
	v_fma_f64 v[176:177], v[148:149], v[4:5], -v[168:169]
	v_fmac_f64_e32 v[172:173], v[150:151], v[4:5]
	ds_load_b128 v[4:7], v2 offset:1248
	ds_load_b128 v[148:151], v2 offset:1264
	scratch_load_b128 v[168:171], off, off offset:592
	v_fmac_f64_e32 v[174:175], v[158:159], v[8:9]
	v_fma_f64 v[156:157], v[156:157], v[8:9], -v[10:11]
	scratch_load_b128 v[8:11], off, off offset:608
	s_wait_loadcnt_dscnt 0xc01
	v_mul_f64_e32 v[178:179], v[4:5], v[14:15]
	v_mul_f64_e32 v[14:15], v[6:7], v[14:15]
	v_add_f64_e32 v[158:159], 0, v[176:177]
	v_add_f64_e32 v[172:173], 0, v[172:173]
	s_wait_loadcnt_dscnt 0xb00
	v_mul_f64_e32 v[176:177], v[148:149], v[18:19]
	v_mul_f64_e32 v[18:19], v[150:151], v[18:19]
	v_fmac_f64_e32 v[178:179], v[6:7], v[12:13]
	v_fma_f64 v[180:181], v[4:5], v[12:13], -v[14:15]
	ds_load_b128 v[4:7], v2 offset:1280
	ds_load_b128 v[12:15], v2 offset:1296
	v_add_f64_e32 v[182:183], v[158:159], v[156:157]
	v_add_f64_e32 v[172:173], v[172:173], v[174:175]
	scratch_load_b128 v[156:159], off, off offset:624
	v_fmac_f64_e32 v[176:177], v[150:151], v[16:17]
	v_fma_f64 v[148:149], v[148:149], v[16:17], -v[18:19]
	scratch_load_b128 v[16:19], off, off offset:640
	s_wait_loadcnt_dscnt 0xc01
	v_mul_f64_e32 v[174:175], v[4:5], v[22:23]
	v_mul_f64_e32 v[22:23], v[6:7], v[22:23]
	v_add_f64_e32 v[150:151], v[182:183], v[180:181]
	v_add_f64_e32 v[172:173], v[172:173], v[178:179]
	s_wait_loadcnt_dscnt 0xb00
	v_mul_f64_e32 v[178:179], v[12:13], v[130:131]
	v_mul_f64_e32 v[130:131], v[14:15], v[130:131]
	v_fmac_f64_e32 v[174:175], v[6:7], v[20:21]
	v_fma_f64 v[180:181], v[4:5], v[20:21], -v[22:23]
	ds_load_b128 v[4:7], v2 offset:1312
	ds_load_b128 v[20:23], v2 offset:1328
	v_add_f64_e32 v[182:183], v[150:151], v[148:149]
	v_add_f64_e32 v[172:173], v[172:173], v[176:177]
	scratch_load_b128 v[148:151], off, off offset:656
	s_wait_loadcnt_dscnt 0xb01
	v_mul_f64_e32 v[176:177], v[4:5], v[134:135]
	v_mul_f64_e32 v[134:135], v[6:7], v[134:135]
	v_fmac_f64_e32 v[178:179], v[14:15], v[128:129]
	v_fma_f64 v[128:129], v[12:13], v[128:129], -v[130:131]
	scratch_load_b128 v[12:15], off, off offset:672
	v_add_f64_e32 v[130:131], v[182:183], v[180:181]
	v_add_f64_e32 v[172:173], v[172:173], v[174:175]
	s_wait_loadcnt_dscnt 0xb00
	v_mul_f64_e32 v[174:175], v[20:21], v[138:139]
	v_mul_f64_e32 v[138:139], v[22:23], v[138:139]
	v_fmac_f64_e32 v[176:177], v[6:7], v[132:133]
	v_fma_f64 v[180:181], v[4:5], v[132:133], -v[134:135]
	v_add_f64_e32 v[182:183], v[130:131], v[128:129]
	v_add_f64_e32 v[172:173], v[172:173], v[178:179]
	ds_load_b128 v[4:7], v2 offset:1344
	ds_load_b128 v[128:131], v2 offset:1360
	scratch_load_b128 v[132:135], off, off offset:688
	v_fmac_f64_e32 v[174:175], v[22:23], v[136:137]
	v_fma_f64 v[136:137], v[20:21], v[136:137], -v[138:139]
	scratch_load_b128 v[20:23], off, off offset:704
	s_wait_loadcnt_dscnt 0xc01
	v_mul_f64_e32 v[178:179], v[4:5], v[142:143]
	v_mul_f64_e32 v[142:143], v[6:7], v[142:143]
	v_add_f64_e32 v[138:139], v[182:183], v[180:181]
	v_add_f64_e32 v[172:173], v[172:173], v[176:177]
	s_wait_loadcnt_dscnt 0xb00
	v_mul_f64_e32 v[176:177], v[128:129], v[146:147]
	v_mul_f64_e32 v[146:147], v[130:131], v[146:147]
	v_fmac_f64_e32 v[178:179], v[6:7], v[140:141]
	v_fma_f64 v[180:181], v[4:5], v[140:141], -v[142:143]
	v_add_f64_e32 v[182:183], v[138:139], v[136:137]
	v_add_f64_e32 v[172:173], v[172:173], v[174:175]
	ds_load_b128 v[4:7], v2 offset:1376
	ds_load_b128 v[136:139], v2 offset:1392
	scratch_load_b128 v[140:143], off, off offset:720
	v_fmac_f64_e32 v[176:177], v[130:131], v[144:145]
	v_fma_f64 v[144:145], v[128:129], v[144:145], -v[146:147]
	scratch_load_b128 v[128:131], off, off offset:736
	s_wait_loadcnt_dscnt 0xc01
	v_mul_f64_e32 v[174:175], v[4:5], v[154:155]
	v_mul_f64_e32 v[154:155], v[6:7], v[154:155]
	;; [unrolled: 18-line block ×4, first 2 shown]
	v_add_f64_e32 v[146:147], v[182:183], v[180:181]
	v_add_f64_e32 v[172:173], v[172:173], v[176:177]
	s_wait_loadcnt_dscnt 0xa00
	v_mul_f64_e32 v[176:177], v[164:165], v[18:19]
	v_mul_f64_e32 v[18:19], v[166:167], v[18:19]
	v_fmac_f64_e32 v[178:179], v[6:7], v[156:157]
	v_fma_f64 v[156:157], v[4:5], v[156:157], -v[158:159]
	v_add_f64_e32 v[158:159], v[146:147], v[144:145]
	v_add_f64_e32 v[172:173], v[172:173], v[174:175]
	ds_load_b128 v[4:7], v2 offset:1472
	ds_load_b128 v[144:147], v2 offset:1488
	v_fmac_f64_e32 v[176:177], v[166:167], v[16:17]
	v_fma_f64 v[16:17], v[164:165], v[16:17], -v[18:19]
	s_wait_loadcnt_dscnt 0x901
	v_mul_f64_e32 v[174:175], v[4:5], v[150:151]
	v_mul_f64_e32 v[150:151], v[6:7], v[150:151]
	s_wait_loadcnt_dscnt 0x800
	v_mul_f64_e32 v[164:165], v[146:147], v[14:15]
	v_add_f64_e32 v[18:19], v[158:159], v[156:157]
	v_add_f64_e32 v[156:157], v[172:173], v[178:179]
	v_mul_f64_e32 v[158:159], v[144:145], v[14:15]
	v_fmac_f64_e32 v[174:175], v[6:7], v[148:149]
	v_fma_f64 v[148:149], v[4:5], v[148:149], -v[150:151]
	v_add_f64_e32 v[18:19], v[18:19], v[16:17]
	v_add_f64_e32 v[150:151], v[156:157], v[176:177]
	ds_load_b128 v[4:7], v2 offset:1504
	ds_load_b128 v[14:17], v2 offset:1520
	v_fmac_f64_e32 v[158:159], v[146:147], v[12:13]
	v_fma_f64 v[12:13], v[144:145], v[12:13], -v[164:165]
	s_wait_loadcnt_dscnt 0x701
	v_mul_f64_e32 v[156:157], v[4:5], v[134:135]
	v_mul_f64_e32 v[134:135], v[6:7], v[134:135]
	s_wait_loadcnt_dscnt 0x600
	v_mul_f64_e32 v[146:147], v[14:15], v[22:23]
	v_mul_f64_e32 v[22:23], v[16:17], v[22:23]
	v_add_f64_e32 v[18:19], v[18:19], v[148:149]
	v_add_f64_e32 v[144:145], v[150:151], v[174:175]
	v_fmac_f64_e32 v[156:157], v[6:7], v[132:133]
	v_fma_f64 v[148:149], v[4:5], v[132:133], -v[134:135]
	ds_load_b128 v[4:7], v2 offset:1536
	ds_load_b128 v[132:135], v2 offset:1552
	v_fmac_f64_e32 v[146:147], v[16:17], v[20:21]
	v_fma_f64 v[14:15], v[14:15], v[20:21], -v[22:23]
	v_add_f64_e32 v[12:13], v[18:19], v[12:13]
	v_add_f64_e32 v[18:19], v[144:145], v[158:159]
	s_wait_loadcnt_dscnt 0x501
	v_mul_f64_e32 v[144:145], v[4:5], v[142:143]
	v_mul_f64_e32 v[142:143], v[6:7], v[142:143]
	s_wait_loadcnt_dscnt 0x400
	v_mul_f64_e32 v[20:21], v[134:135], v[130:131]
	v_add_f64_e32 v[12:13], v[12:13], v[148:149]
	v_add_f64_e32 v[16:17], v[18:19], v[156:157]
	v_mul_f64_e32 v[18:19], v[132:133], v[130:131]
	v_fmac_f64_e32 v[144:145], v[6:7], v[140:141]
	v_fma_f64 v[22:23], v[4:5], v[140:141], -v[142:143]
	v_fma_f64 v[20:21], v[132:133], v[128:129], -v[20:21]
	v_add_f64_e32 v[130:131], v[12:13], v[14:15]
	v_add_f64_e32 v[16:17], v[16:17], v[146:147]
	ds_load_b128 v[4:7], v2 offset:1568
	ds_load_b128 v[12:15], v2 offset:1584
	v_fmac_f64_e32 v[18:19], v[134:135], v[128:129]
	s_wait_loadcnt_dscnt 0x301
	v_mul_f64_e32 v[140:141], v[4:5], v[154:155]
	v_mul_f64_e32 v[142:143], v[6:7], v[154:155]
	s_wait_loadcnt_dscnt 0x200
	v_mul_f64_e32 v[128:129], v[12:13], v[138:139]
	v_add_f64_e32 v[22:23], v[130:131], v[22:23]
	v_add_f64_e32 v[16:17], v[16:17], v[144:145]
	v_mul_f64_e32 v[130:131], v[14:15], v[138:139]
	v_fmac_f64_e32 v[140:141], v[6:7], v[152:153]
	v_fma_f64 v[132:133], v[4:5], v[152:153], -v[142:143]
	v_fmac_f64_e32 v[128:129], v[14:15], v[136:137]
	v_add_f64_e32 v[20:21], v[22:23], v[20:21]
	v_add_f64_e32 v[22:23], v[16:17], v[18:19]
	ds_load_b128 v[4:7], v2 offset:1600
	ds_load_b128 v[16:19], v2 offset:1616
	v_fma_f64 v[12:13], v[12:13], v[136:137], -v[130:131]
	s_wait_loadcnt_dscnt 0x101
	v_mul_f64_e32 v[2:3], v[4:5], v[170:171]
	v_mul_f64_e32 v[134:135], v[6:7], v[170:171]
	v_add_f64_e32 v[14:15], v[20:21], v[132:133]
	v_add_f64_e32 v[20:21], v[22:23], v[140:141]
	s_wait_loadcnt_dscnt 0x0
	v_mul_f64_e32 v[22:23], v[16:17], v[10:11]
	v_mul_f64_e32 v[10:11], v[18:19], v[10:11]
	v_fmac_f64_e32 v[2:3], v[6:7], v[168:169]
	v_fma_f64 v[4:5], v[4:5], v[168:169], -v[134:135]
	v_add_f64_e32 v[6:7], v[14:15], v[12:13]
	v_add_f64_e32 v[12:13], v[20:21], v[128:129]
	v_fmac_f64_e32 v[22:23], v[18:19], v[8:9]
	v_fma_f64 v[8:9], v[16:17], v[8:9], -v[10:11]
	s_delay_alu instid0(VALU_DEP_4) | instskip(NEXT) | instid1(VALU_DEP_4)
	v_add_f64_e32 v[4:5], v[6:7], v[4:5]
	v_add_f64_e32 v[2:3], v[12:13], v[2:3]
	s_delay_alu instid0(VALU_DEP_2) | instskip(NEXT) | instid1(VALU_DEP_2)
	v_add_f64_e32 v[4:5], v[4:5], v[8:9]
	v_add_f64_e32 v[6:7], v[2:3], v[22:23]
	s_delay_alu instid0(VALU_DEP_2) | instskip(NEXT) | instid1(VALU_DEP_2)
	v_add_f64_e64 v[2:3], v[160:161], -v[4:5]
	v_add_f64_e64 v[4:5], v[162:163], -v[6:7]
	scratch_store_b128 off, v[2:5], off offset:384
	s_wait_xcnt 0x0
	v_cmpx_lt_u32_e32 23, v1
	s_cbranch_execz .LBB50_273
; %bb.272:
	scratch_load_b128 v[2:5], off, s39
	v_mov_b32_e32 v6, 0
	s_delay_alu instid0(VALU_DEP_1)
	v_dual_mov_b32 v7, v6 :: v_dual_mov_b32 v8, v6
	v_mov_b32_e32 v9, v6
	scratch_store_b128 off, v[6:9], off offset:368
	s_wait_loadcnt 0x0
	ds_store_b128 v126, v[2:5]
.LBB50_273:
	s_wait_xcnt 0x0
	s_or_b32 exec_lo, exec_lo, s2
	s_wait_storecnt_dscnt 0x0
	s_barrier_signal -1
	s_barrier_wait -1
	s_clause 0x9
	scratch_load_b128 v[4:7], off, off offset:384
	scratch_load_b128 v[8:11], off, off offset:400
	scratch_load_b128 v[12:15], off, off offset:416
	scratch_load_b128 v[16:19], off, off offset:432
	scratch_load_b128 v[20:23], off, off offset:448
	scratch_load_b128 v[128:131], off, off offset:464
	scratch_load_b128 v[132:135], off, off offset:480
	scratch_load_b128 v[136:139], off, off offset:496
	scratch_load_b128 v[140:143], off, off offset:512
	scratch_load_b128 v[144:147], off, off offset:528
	v_mov_b32_e32 v2, 0
	s_mov_b32 s2, exec_lo
	ds_load_b128 v[148:151], v2 offset:1200
	s_clause 0x2
	scratch_load_b128 v[152:155], off, off offset:544
	scratch_load_b128 v[156:159], off, off offset:368
	;; [unrolled: 1-line block ×3, first 2 shown]
	s_wait_loadcnt_dscnt 0xc00
	v_mul_f64_e32 v[168:169], v[150:151], v[6:7]
	v_mul_f64_e32 v[172:173], v[148:149], v[6:7]
	ds_load_b128 v[160:163], v2 offset:1216
	v_fma_f64 v[176:177], v[148:149], v[4:5], -v[168:169]
	v_fmac_f64_e32 v[172:173], v[150:151], v[4:5]
	ds_load_b128 v[4:7], v2 offset:1232
	s_wait_loadcnt_dscnt 0xb01
	v_mul_f64_e32 v[174:175], v[160:161], v[10:11]
	v_mul_f64_e32 v[10:11], v[162:163], v[10:11]
	scratch_load_b128 v[148:151], off, off offset:576
	ds_load_b128 v[168:171], v2 offset:1248
	s_wait_loadcnt_dscnt 0xb01
	v_mul_f64_e32 v[178:179], v[4:5], v[14:15]
	v_mul_f64_e32 v[14:15], v[6:7], v[14:15]
	v_add_f64_e32 v[172:173], 0, v[172:173]
	v_fmac_f64_e32 v[174:175], v[162:163], v[8:9]
	v_fma_f64 v[160:161], v[160:161], v[8:9], -v[10:11]
	v_add_f64_e32 v[162:163], 0, v[176:177]
	scratch_load_b128 v[8:11], off, off offset:592
	v_fmac_f64_e32 v[178:179], v[6:7], v[12:13]
	v_fma_f64 v[180:181], v[4:5], v[12:13], -v[14:15]
	ds_load_b128 v[4:7], v2 offset:1264
	s_wait_loadcnt_dscnt 0xb01
	v_mul_f64_e32 v[176:177], v[168:169], v[18:19]
	v_mul_f64_e32 v[18:19], v[170:171], v[18:19]
	scratch_load_b128 v[12:15], off, off offset:608
	v_add_f64_e32 v[172:173], v[172:173], v[174:175]
	v_add_f64_e32 v[182:183], v[162:163], v[160:161]
	ds_load_b128 v[160:163], v2 offset:1280
	s_wait_loadcnt_dscnt 0xb01
	v_mul_f64_e32 v[174:175], v[4:5], v[22:23]
	v_mul_f64_e32 v[22:23], v[6:7], v[22:23]
	v_fmac_f64_e32 v[176:177], v[170:171], v[16:17]
	v_fma_f64 v[168:169], v[168:169], v[16:17], -v[18:19]
	scratch_load_b128 v[16:19], off, off offset:624
	v_add_f64_e32 v[172:173], v[172:173], v[178:179]
	v_add_f64_e32 v[170:171], v[182:183], v[180:181]
	v_fmac_f64_e32 v[174:175], v[6:7], v[20:21]
	v_fma_f64 v[180:181], v[4:5], v[20:21], -v[22:23]
	ds_load_b128 v[4:7], v2 offset:1296
	s_wait_loadcnt_dscnt 0xb01
	v_mul_f64_e32 v[178:179], v[160:161], v[130:131]
	v_mul_f64_e32 v[130:131], v[162:163], v[130:131]
	scratch_load_b128 v[20:23], off, off offset:640
	v_add_f64_e32 v[172:173], v[172:173], v[176:177]
	s_wait_loadcnt_dscnt 0xb00
	v_mul_f64_e32 v[176:177], v[4:5], v[134:135]
	v_add_f64_e32 v[182:183], v[170:171], v[168:169]
	v_mul_f64_e32 v[134:135], v[6:7], v[134:135]
	ds_load_b128 v[168:171], v2 offset:1312
	v_fmac_f64_e32 v[178:179], v[162:163], v[128:129]
	v_fma_f64 v[160:161], v[160:161], v[128:129], -v[130:131]
	scratch_load_b128 v[128:131], off, off offset:656
	v_add_f64_e32 v[172:173], v[172:173], v[174:175]
	v_fmac_f64_e32 v[176:177], v[6:7], v[132:133]
	v_add_f64_e32 v[162:163], v[182:183], v[180:181]
	v_fma_f64 v[180:181], v[4:5], v[132:133], -v[134:135]
	ds_load_b128 v[4:7], v2 offset:1328
	s_wait_loadcnt_dscnt 0xb01
	v_mul_f64_e32 v[174:175], v[168:169], v[138:139]
	v_mul_f64_e32 v[138:139], v[170:171], v[138:139]
	scratch_load_b128 v[132:135], off, off offset:672
	v_add_f64_e32 v[172:173], v[172:173], v[178:179]
	s_wait_loadcnt_dscnt 0xb00
	v_mul_f64_e32 v[178:179], v[4:5], v[142:143]
	v_add_f64_e32 v[182:183], v[162:163], v[160:161]
	v_mul_f64_e32 v[142:143], v[6:7], v[142:143]
	ds_load_b128 v[160:163], v2 offset:1344
	v_fmac_f64_e32 v[174:175], v[170:171], v[136:137]
	v_fma_f64 v[168:169], v[168:169], v[136:137], -v[138:139]
	scratch_load_b128 v[136:139], off, off offset:688
	v_add_f64_e32 v[172:173], v[172:173], v[176:177]
	v_fmac_f64_e32 v[178:179], v[6:7], v[140:141]
	v_add_f64_e32 v[170:171], v[182:183], v[180:181]
	;; [unrolled: 18-line block ×3, first 2 shown]
	v_fma_f64 v[180:181], v[4:5], v[152:153], -v[154:155]
	ds_load_b128 v[4:7], v2 offset:1392
	s_wait_loadcnt_dscnt 0xa01
	v_mul_f64_e32 v[178:179], v[168:169], v[166:167]
	v_mul_f64_e32 v[166:167], v[170:171], v[166:167]
	scratch_load_b128 v[152:155], off, off offset:736
	v_add_f64_e32 v[172:173], v[172:173], v[176:177]
	v_add_f64_e32 v[182:183], v[162:163], v[160:161]
	s_wait_loadcnt_dscnt 0xa00
	v_mul_f64_e32 v[176:177], v[4:5], v[150:151]
	v_mul_f64_e32 v[150:151], v[6:7], v[150:151]
	v_fmac_f64_e32 v[178:179], v[170:171], v[164:165]
	v_fma_f64 v[168:169], v[168:169], v[164:165], -v[166:167]
	ds_load_b128 v[160:163], v2 offset:1408
	scratch_load_b128 v[164:167], off, off offset:752
	v_add_f64_e32 v[172:173], v[172:173], v[174:175]
	v_add_f64_e32 v[170:171], v[182:183], v[180:181]
	v_fmac_f64_e32 v[176:177], v[6:7], v[148:149]
	v_fma_f64 v[180:181], v[4:5], v[148:149], -v[150:151]
	ds_load_b128 v[4:7], v2 offset:1424
	s_wait_loadcnt_dscnt 0xa01
	v_mul_f64_e32 v[174:175], v[160:161], v[10:11]
	v_mul_f64_e32 v[10:11], v[162:163], v[10:11]
	scratch_load_b128 v[148:151], off, off offset:768
	v_add_f64_e32 v[172:173], v[172:173], v[178:179]
	s_wait_loadcnt_dscnt 0xa00
	v_mul_f64_e32 v[178:179], v[4:5], v[14:15]
	v_add_f64_e32 v[182:183], v[170:171], v[168:169]
	v_mul_f64_e32 v[14:15], v[6:7], v[14:15]
	ds_load_b128 v[168:171], v2 offset:1440
	v_fmac_f64_e32 v[174:175], v[162:163], v[8:9]
	v_fma_f64 v[160:161], v[160:161], v[8:9], -v[10:11]
	scratch_load_b128 v[8:11], off, off offset:784
	v_add_f64_e32 v[172:173], v[172:173], v[176:177]
	v_fmac_f64_e32 v[178:179], v[6:7], v[12:13]
	v_add_f64_e32 v[162:163], v[182:183], v[180:181]
	v_fma_f64 v[180:181], v[4:5], v[12:13], -v[14:15]
	ds_load_b128 v[4:7], v2 offset:1456
	s_wait_loadcnt_dscnt 0xa01
	v_mul_f64_e32 v[176:177], v[168:169], v[18:19]
	v_mul_f64_e32 v[18:19], v[170:171], v[18:19]
	scratch_load_b128 v[12:15], off, off offset:800
	v_add_f64_e32 v[172:173], v[172:173], v[174:175]
	s_wait_loadcnt_dscnt 0xa00
	v_mul_f64_e32 v[174:175], v[4:5], v[22:23]
	v_add_f64_e32 v[182:183], v[162:163], v[160:161]
	v_mul_f64_e32 v[22:23], v[6:7], v[22:23]
	ds_load_b128 v[160:163], v2 offset:1472
	v_fmac_f64_e32 v[176:177], v[170:171], v[16:17]
	v_fma_f64 v[16:17], v[168:169], v[16:17], -v[18:19]
	s_wait_loadcnt_dscnt 0x900
	v_mul_f64_e32 v[170:171], v[160:161], v[130:131]
	v_mul_f64_e32 v[130:131], v[162:163], v[130:131]
	v_add_f64_e32 v[168:169], v[172:173], v[178:179]
	v_fmac_f64_e32 v[174:175], v[6:7], v[20:21]
	v_add_f64_e32 v[18:19], v[182:183], v[180:181]
	v_fma_f64 v[20:21], v[4:5], v[20:21], -v[22:23]
	v_fmac_f64_e32 v[170:171], v[162:163], v[128:129]
	v_fma_f64 v[128:129], v[160:161], v[128:129], -v[130:131]
	v_add_f64_e32 v[168:169], v[168:169], v[176:177]
	v_add_f64_e32 v[22:23], v[18:19], v[16:17]
	ds_load_b128 v[4:7], v2 offset:1488
	ds_load_b128 v[16:19], v2 offset:1504
	s_wait_loadcnt_dscnt 0x801
	v_mul_f64_e32 v[172:173], v[4:5], v[134:135]
	v_mul_f64_e32 v[134:135], v[6:7], v[134:135]
	s_wait_loadcnt_dscnt 0x700
	v_mul_f64_e32 v[130:131], v[16:17], v[138:139]
	v_mul_f64_e32 v[138:139], v[18:19], v[138:139]
	v_add_f64_e32 v[20:21], v[22:23], v[20:21]
	v_add_f64_e32 v[22:23], v[168:169], v[174:175]
	v_fmac_f64_e32 v[172:173], v[6:7], v[132:133]
	v_fma_f64 v[132:133], v[4:5], v[132:133], -v[134:135]
	v_fmac_f64_e32 v[130:131], v[18:19], v[136:137]
	v_fma_f64 v[16:17], v[16:17], v[136:137], -v[138:139]
	v_add_f64_e32 v[128:129], v[20:21], v[128:129]
	v_add_f64_e32 v[134:135], v[22:23], v[170:171]
	ds_load_b128 v[4:7], v2 offset:1520
	ds_load_b128 v[20:23], v2 offset:1536
	s_wait_loadcnt_dscnt 0x601
	v_mul_f64_e32 v[160:161], v[4:5], v[142:143]
	v_mul_f64_e32 v[142:143], v[6:7], v[142:143]
	v_add_f64_e32 v[18:19], v[128:129], v[132:133]
	v_add_f64_e32 v[128:129], v[134:135], v[172:173]
	s_wait_loadcnt_dscnt 0x500
	v_mul_f64_e32 v[132:133], v[20:21], v[146:147]
	v_mul_f64_e32 v[134:135], v[22:23], v[146:147]
	v_fmac_f64_e32 v[160:161], v[6:7], v[140:141]
	v_fma_f64 v[136:137], v[4:5], v[140:141], -v[142:143]
	v_add_f64_e32 v[138:139], v[18:19], v[16:17]
	v_add_f64_e32 v[128:129], v[128:129], v[130:131]
	ds_load_b128 v[4:7], v2 offset:1552
	ds_load_b128 v[16:19], v2 offset:1568
	v_fmac_f64_e32 v[132:133], v[22:23], v[144:145]
	v_fma_f64 v[20:21], v[20:21], v[144:145], -v[134:135]
	s_wait_loadcnt_dscnt 0x401
	v_mul_f64_e32 v[130:131], v[4:5], v[154:155]
	v_mul_f64_e32 v[140:141], v[6:7], v[154:155]
	s_wait_loadcnt_dscnt 0x300
	v_mul_f64_e32 v[134:135], v[16:17], v[166:167]
	v_add_f64_e32 v[22:23], v[138:139], v[136:137]
	v_add_f64_e32 v[128:129], v[128:129], v[160:161]
	v_mul_f64_e32 v[136:137], v[18:19], v[166:167]
	v_fmac_f64_e32 v[130:131], v[6:7], v[152:153]
	v_fma_f64 v[138:139], v[4:5], v[152:153], -v[140:141]
	v_fmac_f64_e32 v[134:135], v[18:19], v[164:165]
	v_add_f64_e32 v[140:141], v[22:23], v[20:21]
	v_add_f64_e32 v[128:129], v[128:129], v[132:133]
	ds_load_b128 v[4:7], v2 offset:1584
	ds_load_b128 v[20:23], v2 offset:1600
	v_fma_f64 v[16:17], v[16:17], v[164:165], -v[136:137]
	s_wait_loadcnt_dscnt 0x201
	v_mul_f64_e32 v[132:133], v[4:5], v[150:151]
	v_mul_f64_e32 v[142:143], v[6:7], v[150:151]
	v_add_f64_e32 v[18:19], v[140:141], v[138:139]
	v_add_f64_e32 v[128:129], v[128:129], v[130:131]
	s_wait_loadcnt_dscnt 0x100
	v_mul_f64_e32 v[130:131], v[20:21], v[10:11]
	v_mul_f64_e32 v[10:11], v[22:23], v[10:11]
	v_fmac_f64_e32 v[132:133], v[6:7], v[148:149]
	v_fma_f64 v[136:137], v[4:5], v[148:149], -v[142:143]
	ds_load_b128 v[4:7], v2 offset:1616
	v_add_f64_e32 v[16:17], v[18:19], v[16:17]
	v_add_f64_e32 v[18:19], v[128:129], v[134:135]
	v_fmac_f64_e32 v[130:131], v[22:23], v[8:9]
	v_fma_f64 v[8:9], v[20:21], v[8:9], -v[10:11]
	s_wait_loadcnt_dscnt 0x0
	v_mul_f64_e32 v[128:129], v[4:5], v[14:15]
	v_mul_f64_e32 v[14:15], v[6:7], v[14:15]
	v_add_f64_e32 v[10:11], v[16:17], v[136:137]
	v_add_f64_e32 v[16:17], v[18:19], v[132:133]
	s_delay_alu instid0(VALU_DEP_4) | instskip(NEXT) | instid1(VALU_DEP_4)
	v_fmac_f64_e32 v[128:129], v[6:7], v[12:13]
	v_fma_f64 v[4:5], v[4:5], v[12:13], -v[14:15]
	s_delay_alu instid0(VALU_DEP_4) | instskip(NEXT) | instid1(VALU_DEP_4)
	v_add_f64_e32 v[6:7], v[10:11], v[8:9]
	v_add_f64_e32 v[8:9], v[16:17], v[130:131]
	s_delay_alu instid0(VALU_DEP_2) | instskip(NEXT) | instid1(VALU_DEP_2)
	v_add_f64_e32 v[4:5], v[6:7], v[4:5]
	v_add_f64_e32 v[6:7], v[8:9], v[128:129]
	s_delay_alu instid0(VALU_DEP_2) | instskip(NEXT) | instid1(VALU_DEP_2)
	v_add_f64_e64 v[4:5], v[156:157], -v[4:5]
	v_add_f64_e64 v[6:7], v[158:159], -v[6:7]
	scratch_store_b128 off, v[4:7], off offset:368
	s_wait_xcnt 0x0
	v_cmpx_lt_u32_e32 22, v1
	s_cbranch_execz .LBB50_275
; %bb.274:
	scratch_load_b128 v[6:9], off, s44
	v_dual_mov_b32 v3, v2 :: v_dual_mov_b32 v4, v2
	v_mov_b32_e32 v5, v2
	scratch_store_b128 off, v[2:5], off offset:352
	s_wait_loadcnt 0x0
	ds_store_b128 v126, v[6:9]
.LBB50_275:
	s_wait_xcnt 0x0
	s_or_b32 exec_lo, exec_lo, s2
	s_wait_storecnt_dscnt 0x0
	s_barrier_signal -1
	s_barrier_wait -1
	s_clause 0x9
	scratch_load_b128 v[4:7], off, off offset:368
	scratch_load_b128 v[8:11], off, off offset:384
	;; [unrolled: 1-line block ×10, first 2 shown]
	ds_load_b128 v[148:151], v2 offset:1184
	ds_load_b128 v[156:159], v2 offset:1200
	s_clause 0x2
	scratch_load_b128 v[152:155], off, off offset:528
	scratch_load_b128 v[160:163], off, off offset:352
	;; [unrolled: 1-line block ×3, first 2 shown]
	s_mov_b32 s2, exec_lo
	s_wait_loadcnt_dscnt 0xc01
	v_mul_f64_e32 v[168:169], v[150:151], v[6:7]
	v_mul_f64_e32 v[172:173], v[148:149], v[6:7]
	s_wait_loadcnt_dscnt 0xb00
	v_mul_f64_e32 v[174:175], v[156:157], v[10:11]
	v_mul_f64_e32 v[10:11], v[158:159], v[10:11]
	s_delay_alu instid0(VALU_DEP_4) | instskip(NEXT) | instid1(VALU_DEP_4)
	v_fma_f64 v[176:177], v[148:149], v[4:5], -v[168:169]
	v_fmac_f64_e32 v[172:173], v[150:151], v[4:5]
	ds_load_b128 v[4:7], v2 offset:1216
	ds_load_b128 v[148:151], v2 offset:1232
	scratch_load_b128 v[168:171], off, off offset:560
	v_fmac_f64_e32 v[174:175], v[158:159], v[8:9]
	v_fma_f64 v[156:157], v[156:157], v[8:9], -v[10:11]
	scratch_load_b128 v[8:11], off, off offset:576
	s_wait_loadcnt_dscnt 0xc01
	v_mul_f64_e32 v[178:179], v[4:5], v[14:15]
	v_mul_f64_e32 v[14:15], v[6:7], v[14:15]
	v_add_f64_e32 v[158:159], 0, v[176:177]
	v_add_f64_e32 v[172:173], 0, v[172:173]
	s_wait_loadcnt_dscnt 0xb00
	v_mul_f64_e32 v[176:177], v[148:149], v[18:19]
	v_mul_f64_e32 v[18:19], v[150:151], v[18:19]
	v_fmac_f64_e32 v[178:179], v[6:7], v[12:13]
	v_fma_f64 v[180:181], v[4:5], v[12:13], -v[14:15]
	ds_load_b128 v[4:7], v2 offset:1248
	ds_load_b128 v[12:15], v2 offset:1264
	v_add_f64_e32 v[182:183], v[158:159], v[156:157]
	v_add_f64_e32 v[172:173], v[172:173], v[174:175]
	scratch_load_b128 v[156:159], off, off offset:592
	v_fmac_f64_e32 v[176:177], v[150:151], v[16:17]
	v_fma_f64 v[148:149], v[148:149], v[16:17], -v[18:19]
	scratch_load_b128 v[16:19], off, off offset:608
	s_wait_loadcnt_dscnt 0xc01
	v_mul_f64_e32 v[174:175], v[4:5], v[22:23]
	v_mul_f64_e32 v[22:23], v[6:7], v[22:23]
	v_add_f64_e32 v[150:151], v[182:183], v[180:181]
	v_add_f64_e32 v[172:173], v[172:173], v[178:179]
	s_wait_loadcnt_dscnt 0xb00
	v_mul_f64_e32 v[178:179], v[12:13], v[130:131]
	v_mul_f64_e32 v[130:131], v[14:15], v[130:131]
	v_fmac_f64_e32 v[174:175], v[6:7], v[20:21]
	v_fma_f64 v[180:181], v[4:5], v[20:21], -v[22:23]
	ds_load_b128 v[4:7], v2 offset:1280
	ds_load_b128 v[20:23], v2 offset:1296
	v_add_f64_e32 v[182:183], v[150:151], v[148:149]
	v_add_f64_e32 v[172:173], v[172:173], v[176:177]
	scratch_load_b128 v[148:151], off, off offset:624
	s_wait_loadcnt_dscnt 0xb01
	v_mul_f64_e32 v[176:177], v[4:5], v[134:135]
	v_mul_f64_e32 v[134:135], v[6:7], v[134:135]
	v_fmac_f64_e32 v[178:179], v[14:15], v[128:129]
	v_fma_f64 v[128:129], v[12:13], v[128:129], -v[130:131]
	scratch_load_b128 v[12:15], off, off offset:640
	v_add_f64_e32 v[130:131], v[182:183], v[180:181]
	v_add_f64_e32 v[172:173], v[172:173], v[174:175]
	s_wait_loadcnt_dscnt 0xb00
	v_mul_f64_e32 v[174:175], v[20:21], v[138:139]
	v_mul_f64_e32 v[138:139], v[22:23], v[138:139]
	v_fmac_f64_e32 v[176:177], v[6:7], v[132:133]
	v_fma_f64 v[180:181], v[4:5], v[132:133], -v[134:135]
	v_add_f64_e32 v[182:183], v[130:131], v[128:129]
	v_add_f64_e32 v[172:173], v[172:173], v[178:179]
	ds_load_b128 v[4:7], v2 offset:1312
	ds_load_b128 v[128:131], v2 offset:1328
	scratch_load_b128 v[132:135], off, off offset:656
	v_fmac_f64_e32 v[174:175], v[22:23], v[136:137]
	v_fma_f64 v[136:137], v[20:21], v[136:137], -v[138:139]
	scratch_load_b128 v[20:23], off, off offset:672
	s_wait_loadcnt_dscnt 0xc01
	v_mul_f64_e32 v[178:179], v[4:5], v[142:143]
	v_mul_f64_e32 v[142:143], v[6:7], v[142:143]
	v_add_f64_e32 v[138:139], v[182:183], v[180:181]
	v_add_f64_e32 v[172:173], v[172:173], v[176:177]
	s_wait_loadcnt_dscnt 0xb00
	v_mul_f64_e32 v[176:177], v[128:129], v[146:147]
	v_mul_f64_e32 v[146:147], v[130:131], v[146:147]
	v_fmac_f64_e32 v[178:179], v[6:7], v[140:141]
	v_fma_f64 v[180:181], v[4:5], v[140:141], -v[142:143]
	v_add_f64_e32 v[182:183], v[138:139], v[136:137]
	v_add_f64_e32 v[172:173], v[172:173], v[174:175]
	ds_load_b128 v[4:7], v2 offset:1344
	ds_load_b128 v[136:139], v2 offset:1360
	scratch_load_b128 v[140:143], off, off offset:688
	v_fmac_f64_e32 v[176:177], v[130:131], v[144:145]
	v_fma_f64 v[144:145], v[128:129], v[144:145], -v[146:147]
	scratch_load_b128 v[128:131], off, off offset:704
	s_wait_loadcnt_dscnt 0xc01
	v_mul_f64_e32 v[174:175], v[4:5], v[154:155]
	v_mul_f64_e32 v[154:155], v[6:7], v[154:155]
	;; [unrolled: 18-line block ×5, first 2 shown]
	v_add_f64_e32 v[166:167], v[182:183], v[180:181]
	v_add_f64_e32 v[172:173], v[172:173], v[178:179]
	s_wait_loadcnt_dscnt 0xa00
	v_mul_f64_e32 v[178:179], v[144:145], v[14:15]
	v_mul_f64_e32 v[14:15], v[146:147], v[14:15]
	v_fmac_f64_e32 v[174:175], v[6:7], v[148:149]
	v_fma_f64 v[180:181], v[4:5], v[148:149], -v[150:151]
	ds_load_b128 v[4:7], v2 offset:1472
	ds_load_b128 v[148:151], v2 offset:1488
	v_add_f64_e32 v[164:165], v[166:167], v[164:165]
	v_add_f64_e32 v[166:167], v[172:173], v[176:177]
	v_fmac_f64_e32 v[178:179], v[146:147], v[12:13]
	v_fma_f64 v[12:13], v[144:145], v[12:13], -v[14:15]
	s_wait_loadcnt_dscnt 0x901
	v_mul_f64_e32 v[172:173], v[4:5], v[134:135]
	v_mul_f64_e32 v[134:135], v[6:7], v[134:135]
	s_wait_loadcnt_dscnt 0x800
	v_mul_f64_e32 v[146:147], v[148:149], v[22:23]
	v_mul_f64_e32 v[22:23], v[150:151], v[22:23]
	v_add_f64_e32 v[14:15], v[164:165], v[180:181]
	v_add_f64_e32 v[144:145], v[166:167], v[174:175]
	v_fmac_f64_e32 v[172:173], v[6:7], v[132:133]
	v_fma_f64 v[132:133], v[4:5], v[132:133], -v[134:135]
	v_fmac_f64_e32 v[146:147], v[150:151], v[20:21]
	v_fma_f64 v[20:21], v[148:149], v[20:21], -v[22:23]
	v_add_f64_e32 v[134:135], v[14:15], v[12:13]
	v_add_f64_e32 v[144:145], v[144:145], v[178:179]
	ds_load_b128 v[4:7], v2 offset:1504
	ds_load_b128 v[12:15], v2 offset:1520
	s_wait_loadcnt_dscnt 0x701
	v_mul_f64_e32 v[164:165], v[4:5], v[142:143]
	v_mul_f64_e32 v[142:143], v[6:7], v[142:143]
	v_add_f64_e32 v[22:23], v[134:135], v[132:133]
	v_add_f64_e32 v[132:133], v[144:145], v[172:173]
	s_wait_loadcnt_dscnt 0x600
	v_mul_f64_e32 v[134:135], v[12:13], v[130:131]
	v_mul_f64_e32 v[130:131], v[14:15], v[130:131]
	v_fmac_f64_e32 v[164:165], v[6:7], v[140:141]
	v_fma_f64 v[140:141], v[4:5], v[140:141], -v[142:143]
	v_add_f64_e32 v[142:143], v[22:23], v[20:21]
	v_add_f64_e32 v[132:133], v[132:133], v[146:147]
	ds_load_b128 v[4:7], v2 offset:1536
	ds_load_b128 v[20:23], v2 offset:1552
	v_fmac_f64_e32 v[134:135], v[14:15], v[128:129]
	v_fma_f64 v[12:13], v[12:13], v[128:129], -v[130:131]
	s_wait_loadcnt_dscnt 0x501
	v_mul_f64_e32 v[144:145], v[4:5], v[154:155]
	v_mul_f64_e32 v[146:147], v[6:7], v[154:155]
	s_wait_loadcnt_dscnt 0x400
	v_mul_f64_e32 v[130:131], v[20:21], v[138:139]
	v_add_f64_e32 v[14:15], v[142:143], v[140:141]
	v_add_f64_e32 v[128:129], v[132:133], v[164:165]
	v_mul_f64_e32 v[132:133], v[22:23], v[138:139]
	v_fmac_f64_e32 v[144:145], v[6:7], v[152:153]
	v_fma_f64 v[138:139], v[4:5], v[152:153], -v[146:147]
	v_fmac_f64_e32 v[130:131], v[22:23], v[136:137]
	v_add_f64_e32 v[140:141], v[14:15], v[12:13]
	v_add_f64_e32 v[128:129], v[128:129], v[134:135]
	ds_load_b128 v[4:7], v2 offset:1568
	ds_load_b128 v[12:15], v2 offset:1584
	v_fma_f64 v[20:21], v[20:21], v[136:137], -v[132:133]
	s_wait_loadcnt_dscnt 0x301
	v_mul_f64_e32 v[134:135], v[4:5], v[170:171]
	v_mul_f64_e32 v[142:143], v[6:7], v[170:171]
	s_wait_loadcnt_dscnt 0x200
	v_mul_f64_e32 v[132:133], v[12:13], v[10:11]
	v_mul_f64_e32 v[10:11], v[14:15], v[10:11]
	v_add_f64_e32 v[22:23], v[140:141], v[138:139]
	v_add_f64_e32 v[128:129], v[128:129], v[144:145]
	v_fmac_f64_e32 v[134:135], v[6:7], v[168:169]
	v_fma_f64 v[136:137], v[4:5], v[168:169], -v[142:143]
	v_fmac_f64_e32 v[132:133], v[14:15], v[8:9]
	v_fma_f64 v[8:9], v[12:13], v[8:9], -v[10:11]
	v_add_f64_e32 v[138:139], v[22:23], v[20:21]
	v_add_f64_e32 v[128:129], v[128:129], v[130:131]
	ds_load_b128 v[4:7], v2 offset:1600
	ds_load_b128 v[20:23], v2 offset:1616
	s_wait_loadcnt_dscnt 0x101
	v_mul_f64_e32 v[2:3], v[4:5], v[158:159]
	v_mul_f64_e32 v[130:131], v[6:7], v[158:159]
	s_wait_loadcnt_dscnt 0x0
	v_mul_f64_e32 v[14:15], v[20:21], v[18:19]
	v_mul_f64_e32 v[18:19], v[22:23], v[18:19]
	v_add_f64_e32 v[10:11], v[138:139], v[136:137]
	v_add_f64_e32 v[12:13], v[128:129], v[134:135]
	v_fmac_f64_e32 v[2:3], v[6:7], v[156:157]
	v_fma_f64 v[4:5], v[4:5], v[156:157], -v[130:131]
	v_fmac_f64_e32 v[14:15], v[22:23], v[16:17]
	v_add_f64_e32 v[6:7], v[10:11], v[8:9]
	v_add_f64_e32 v[8:9], v[12:13], v[132:133]
	v_fma_f64 v[10:11], v[20:21], v[16:17], -v[18:19]
	s_delay_alu instid0(VALU_DEP_3) | instskip(NEXT) | instid1(VALU_DEP_3)
	v_add_f64_e32 v[4:5], v[6:7], v[4:5]
	v_add_f64_e32 v[2:3], v[8:9], v[2:3]
	s_delay_alu instid0(VALU_DEP_2) | instskip(NEXT) | instid1(VALU_DEP_2)
	v_add_f64_e32 v[4:5], v[4:5], v[10:11]
	v_add_f64_e32 v[6:7], v[2:3], v[14:15]
	s_delay_alu instid0(VALU_DEP_2) | instskip(NEXT) | instid1(VALU_DEP_2)
	v_add_f64_e64 v[2:3], v[160:161], -v[4:5]
	v_add_f64_e64 v[4:5], v[162:163], -v[6:7]
	scratch_store_b128 off, v[2:5], off offset:352
	s_wait_xcnt 0x0
	v_cmpx_lt_u32_e32 21, v1
	s_cbranch_execz .LBB50_277
; %bb.276:
	scratch_load_b128 v[2:5], off, s42
	v_mov_b32_e32 v6, 0
	s_delay_alu instid0(VALU_DEP_1)
	v_dual_mov_b32 v7, v6 :: v_dual_mov_b32 v8, v6
	v_mov_b32_e32 v9, v6
	scratch_store_b128 off, v[6:9], off offset:336
	s_wait_loadcnt 0x0
	ds_store_b128 v126, v[2:5]
.LBB50_277:
	s_wait_xcnt 0x0
	s_or_b32 exec_lo, exec_lo, s2
	s_wait_storecnt_dscnt 0x0
	s_barrier_signal -1
	s_barrier_wait -1
	s_clause 0x9
	scratch_load_b128 v[4:7], off, off offset:352
	scratch_load_b128 v[8:11], off, off offset:368
	;; [unrolled: 1-line block ×10, first 2 shown]
	v_mov_b32_e32 v2, 0
	s_mov_b32 s2, exec_lo
	ds_load_b128 v[148:151], v2 offset:1168
	s_clause 0x2
	scratch_load_b128 v[152:155], off, off offset:512
	scratch_load_b128 v[156:159], off, off offset:336
	;; [unrolled: 1-line block ×3, first 2 shown]
	s_wait_loadcnt_dscnt 0xc00
	v_mul_f64_e32 v[168:169], v[150:151], v[6:7]
	v_mul_f64_e32 v[172:173], v[148:149], v[6:7]
	ds_load_b128 v[160:163], v2 offset:1184
	v_fma_f64 v[176:177], v[148:149], v[4:5], -v[168:169]
	v_fmac_f64_e32 v[172:173], v[150:151], v[4:5]
	ds_load_b128 v[4:7], v2 offset:1200
	s_wait_loadcnt_dscnt 0xb01
	v_mul_f64_e32 v[174:175], v[160:161], v[10:11]
	v_mul_f64_e32 v[10:11], v[162:163], v[10:11]
	scratch_load_b128 v[148:151], off, off offset:544
	ds_load_b128 v[168:171], v2 offset:1216
	s_wait_loadcnt_dscnt 0xb01
	v_mul_f64_e32 v[178:179], v[4:5], v[14:15]
	v_mul_f64_e32 v[14:15], v[6:7], v[14:15]
	v_add_f64_e32 v[172:173], 0, v[172:173]
	v_fmac_f64_e32 v[174:175], v[162:163], v[8:9]
	v_fma_f64 v[160:161], v[160:161], v[8:9], -v[10:11]
	v_add_f64_e32 v[162:163], 0, v[176:177]
	scratch_load_b128 v[8:11], off, off offset:560
	v_fmac_f64_e32 v[178:179], v[6:7], v[12:13]
	v_fma_f64 v[180:181], v[4:5], v[12:13], -v[14:15]
	ds_load_b128 v[4:7], v2 offset:1232
	s_wait_loadcnt_dscnt 0xb01
	v_mul_f64_e32 v[176:177], v[168:169], v[18:19]
	v_mul_f64_e32 v[18:19], v[170:171], v[18:19]
	scratch_load_b128 v[12:15], off, off offset:576
	v_add_f64_e32 v[172:173], v[172:173], v[174:175]
	v_add_f64_e32 v[182:183], v[162:163], v[160:161]
	ds_load_b128 v[160:163], v2 offset:1248
	s_wait_loadcnt_dscnt 0xb01
	v_mul_f64_e32 v[174:175], v[4:5], v[22:23]
	v_mul_f64_e32 v[22:23], v[6:7], v[22:23]
	v_fmac_f64_e32 v[176:177], v[170:171], v[16:17]
	v_fma_f64 v[168:169], v[168:169], v[16:17], -v[18:19]
	scratch_load_b128 v[16:19], off, off offset:592
	v_add_f64_e32 v[172:173], v[172:173], v[178:179]
	v_add_f64_e32 v[170:171], v[182:183], v[180:181]
	v_fmac_f64_e32 v[174:175], v[6:7], v[20:21]
	v_fma_f64 v[180:181], v[4:5], v[20:21], -v[22:23]
	ds_load_b128 v[4:7], v2 offset:1264
	s_wait_loadcnt_dscnt 0xb01
	v_mul_f64_e32 v[178:179], v[160:161], v[130:131]
	v_mul_f64_e32 v[130:131], v[162:163], v[130:131]
	scratch_load_b128 v[20:23], off, off offset:608
	v_add_f64_e32 v[172:173], v[172:173], v[176:177]
	s_wait_loadcnt_dscnt 0xb00
	v_mul_f64_e32 v[176:177], v[4:5], v[134:135]
	v_add_f64_e32 v[182:183], v[170:171], v[168:169]
	v_mul_f64_e32 v[134:135], v[6:7], v[134:135]
	ds_load_b128 v[168:171], v2 offset:1280
	v_fmac_f64_e32 v[178:179], v[162:163], v[128:129]
	v_fma_f64 v[160:161], v[160:161], v[128:129], -v[130:131]
	scratch_load_b128 v[128:131], off, off offset:624
	v_add_f64_e32 v[172:173], v[172:173], v[174:175]
	v_fmac_f64_e32 v[176:177], v[6:7], v[132:133]
	v_add_f64_e32 v[162:163], v[182:183], v[180:181]
	v_fma_f64 v[180:181], v[4:5], v[132:133], -v[134:135]
	ds_load_b128 v[4:7], v2 offset:1296
	s_wait_loadcnt_dscnt 0xb01
	v_mul_f64_e32 v[174:175], v[168:169], v[138:139]
	v_mul_f64_e32 v[138:139], v[170:171], v[138:139]
	scratch_load_b128 v[132:135], off, off offset:640
	v_add_f64_e32 v[172:173], v[172:173], v[178:179]
	s_wait_loadcnt_dscnt 0xb00
	v_mul_f64_e32 v[178:179], v[4:5], v[142:143]
	v_add_f64_e32 v[182:183], v[162:163], v[160:161]
	v_mul_f64_e32 v[142:143], v[6:7], v[142:143]
	ds_load_b128 v[160:163], v2 offset:1312
	v_fmac_f64_e32 v[174:175], v[170:171], v[136:137]
	v_fma_f64 v[168:169], v[168:169], v[136:137], -v[138:139]
	scratch_load_b128 v[136:139], off, off offset:656
	v_add_f64_e32 v[172:173], v[172:173], v[176:177]
	v_fmac_f64_e32 v[178:179], v[6:7], v[140:141]
	v_add_f64_e32 v[170:171], v[182:183], v[180:181]
	;; [unrolled: 18-line block ×3, first 2 shown]
	v_fma_f64 v[180:181], v[4:5], v[152:153], -v[154:155]
	ds_load_b128 v[4:7], v2 offset:1360
	s_wait_loadcnt_dscnt 0xa01
	v_mul_f64_e32 v[178:179], v[168:169], v[166:167]
	v_mul_f64_e32 v[166:167], v[170:171], v[166:167]
	scratch_load_b128 v[152:155], off, off offset:704
	v_add_f64_e32 v[172:173], v[172:173], v[176:177]
	v_add_f64_e32 v[182:183], v[162:163], v[160:161]
	s_wait_loadcnt_dscnt 0xa00
	v_mul_f64_e32 v[176:177], v[4:5], v[150:151]
	v_mul_f64_e32 v[150:151], v[6:7], v[150:151]
	v_fmac_f64_e32 v[178:179], v[170:171], v[164:165]
	v_fma_f64 v[168:169], v[168:169], v[164:165], -v[166:167]
	ds_load_b128 v[160:163], v2 offset:1376
	scratch_load_b128 v[164:167], off, off offset:720
	v_add_f64_e32 v[172:173], v[172:173], v[174:175]
	v_add_f64_e32 v[170:171], v[182:183], v[180:181]
	v_fmac_f64_e32 v[176:177], v[6:7], v[148:149]
	v_fma_f64 v[180:181], v[4:5], v[148:149], -v[150:151]
	ds_load_b128 v[4:7], v2 offset:1392
	s_wait_loadcnt_dscnt 0xa01
	v_mul_f64_e32 v[174:175], v[160:161], v[10:11]
	v_mul_f64_e32 v[10:11], v[162:163], v[10:11]
	scratch_load_b128 v[148:151], off, off offset:736
	v_add_f64_e32 v[172:173], v[172:173], v[178:179]
	s_wait_loadcnt_dscnt 0xa00
	v_mul_f64_e32 v[178:179], v[4:5], v[14:15]
	v_add_f64_e32 v[182:183], v[170:171], v[168:169]
	v_mul_f64_e32 v[14:15], v[6:7], v[14:15]
	ds_load_b128 v[168:171], v2 offset:1408
	v_fmac_f64_e32 v[174:175], v[162:163], v[8:9]
	v_fma_f64 v[160:161], v[160:161], v[8:9], -v[10:11]
	scratch_load_b128 v[8:11], off, off offset:752
	v_add_f64_e32 v[172:173], v[172:173], v[176:177]
	v_fmac_f64_e32 v[178:179], v[6:7], v[12:13]
	v_add_f64_e32 v[162:163], v[182:183], v[180:181]
	v_fma_f64 v[180:181], v[4:5], v[12:13], -v[14:15]
	ds_load_b128 v[4:7], v2 offset:1424
	s_wait_loadcnt_dscnt 0xa01
	v_mul_f64_e32 v[176:177], v[168:169], v[18:19]
	v_mul_f64_e32 v[18:19], v[170:171], v[18:19]
	scratch_load_b128 v[12:15], off, off offset:768
	v_add_f64_e32 v[172:173], v[172:173], v[174:175]
	s_wait_loadcnt_dscnt 0xa00
	v_mul_f64_e32 v[174:175], v[4:5], v[22:23]
	v_add_f64_e32 v[182:183], v[162:163], v[160:161]
	v_mul_f64_e32 v[22:23], v[6:7], v[22:23]
	ds_load_b128 v[160:163], v2 offset:1440
	v_fmac_f64_e32 v[176:177], v[170:171], v[16:17]
	v_fma_f64 v[168:169], v[168:169], v[16:17], -v[18:19]
	scratch_load_b128 v[16:19], off, off offset:784
	v_add_f64_e32 v[172:173], v[172:173], v[178:179]
	v_fmac_f64_e32 v[174:175], v[6:7], v[20:21]
	v_add_f64_e32 v[170:171], v[182:183], v[180:181]
	v_fma_f64 v[180:181], v[4:5], v[20:21], -v[22:23]
	ds_load_b128 v[4:7], v2 offset:1456
	s_wait_loadcnt_dscnt 0xa01
	v_mul_f64_e32 v[178:179], v[160:161], v[130:131]
	v_mul_f64_e32 v[130:131], v[162:163], v[130:131]
	scratch_load_b128 v[20:23], off, off offset:800
	v_add_f64_e32 v[172:173], v[172:173], v[176:177]
	s_wait_loadcnt_dscnt 0xa00
	v_mul_f64_e32 v[176:177], v[4:5], v[134:135]
	v_add_f64_e32 v[182:183], v[170:171], v[168:169]
	v_mul_f64_e32 v[134:135], v[6:7], v[134:135]
	ds_load_b128 v[168:171], v2 offset:1472
	v_fmac_f64_e32 v[178:179], v[162:163], v[128:129]
	v_fma_f64 v[128:129], v[160:161], v[128:129], -v[130:131]
	s_wait_loadcnt_dscnt 0x900
	v_mul_f64_e32 v[162:163], v[168:169], v[138:139]
	v_mul_f64_e32 v[138:139], v[170:171], v[138:139]
	v_add_f64_e32 v[160:161], v[172:173], v[174:175]
	v_fmac_f64_e32 v[176:177], v[6:7], v[132:133]
	v_add_f64_e32 v[130:131], v[182:183], v[180:181]
	v_fma_f64 v[132:133], v[4:5], v[132:133], -v[134:135]
	v_fmac_f64_e32 v[162:163], v[170:171], v[136:137]
	v_fma_f64 v[136:137], v[168:169], v[136:137], -v[138:139]
	v_add_f64_e32 v[160:161], v[160:161], v[178:179]
	v_add_f64_e32 v[134:135], v[130:131], v[128:129]
	ds_load_b128 v[4:7], v2 offset:1488
	ds_load_b128 v[128:131], v2 offset:1504
	s_wait_loadcnt_dscnt 0x801
	v_mul_f64_e32 v[172:173], v[4:5], v[142:143]
	v_mul_f64_e32 v[142:143], v[6:7], v[142:143]
	s_wait_loadcnt_dscnt 0x700
	v_mul_f64_e32 v[138:139], v[128:129], v[146:147]
	v_mul_f64_e32 v[146:147], v[130:131], v[146:147]
	v_add_f64_e32 v[132:133], v[134:135], v[132:133]
	v_add_f64_e32 v[134:135], v[160:161], v[176:177]
	v_fmac_f64_e32 v[172:173], v[6:7], v[140:141]
	v_fma_f64 v[140:141], v[4:5], v[140:141], -v[142:143]
	v_fmac_f64_e32 v[138:139], v[130:131], v[144:145]
	v_fma_f64 v[128:129], v[128:129], v[144:145], -v[146:147]
	v_add_f64_e32 v[136:137], v[132:133], v[136:137]
	v_add_f64_e32 v[142:143], v[134:135], v[162:163]
	ds_load_b128 v[4:7], v2 offset:1520
	ds_load_b128 v[132:135], v2 offset:1536
	s_wait_loadcnt_dscnt 0x601
	v_mul_f64_e32 v[160:161], v[4:5], v[154:155]
	v_mul_f64_e32 v[154:155], v[6:7], v[154:155]
	v_add_f64_e32 v[130:131], v[136:137], v[140:141]
	v_add_f64_e32 v[136:137], v[142:143], v[172:173]
	s_wait_loadcnt_dscnt 0x500
	v_mul_f64_e32 v[140:141], v[132:133], v[166:167]
	v_mul_f64_e32 v[142:143], v[134:135], v[166:167]
	v_fmac_f64_e32 v[160:161], v[6:7], v[152:153]
	v_fma_f64 v[144:145], v[4:5], v[152:153], -v[154:155]
	v_add_f64_e32 v[146:147], v[130:131], v[128:129]
	v_add_f64_e32 v[136:137], v[136:137], v[138:139]
	ds_load_b128 v[4:7], v2 offset:1552
	ds_load_b128 v[128:131], v2 offset:1568
	v_fmac_f64_e32 v[140:141], v[134:135], v[164:165]
	v_fma_f64 v[132:133], v[132:133], v[164:165], -v[142:143]
	s_wait_loadcnt_dscnt 0x401
	v_mul_f64_e32 v[138:139], v[4:5], v[150:151]
	v_mul_f64_e32 v[150:151], v[6:7], v[150:151]
	s_wait_loadcnt_dscnt 0x300
	v_mul_f64_e32 v[142:143], v[128:129], v[10:11]
	v_mul_f64_e32 v[10:11], v[130:131], v[10:11]
	v_add_f64_e32 v[134:135], v[146:147], v[144:145]
	v_add_f64_e32 v[136:137], v[136:137], v[160:161]
	v_fmac_f64_e32 v[138:139], v[6:7], v[148:149]
	v_fma_f64 v[144:145], v[4:5], v[148:149], -v[150:151]
	v_fmac_f64_e32 v[142:143], v[130:131], v[8:9]
	v_fma_f64 v[8:9], v[128:129], v[8:9], -v[10:11]
	v_add_f64_e32 v[146:147], v[134:135], v[132:133]
	v_add_f64_e32 v[136:137], v[136:137], v[140:141]
	ds_load_b128 v[4:7], v2 offset:1584
	ds_load_b128 v[132:135], v2 offset:1600
	s_wait_loadcnt_dscnt 0x201
	v_mul_f64_e32 v[140:141], v[4:5], v[14:15]
	v_mul_f64_e32 v[14:15], v[6:7], v[14:15]
	s_wait_loadcnt_dscnt 0x100
	v_mul_f64_e32 v[130:131], v[132:133], v[18:19]
	v_mul_f64_e32 v[18:19], v[134:135], v[18:19]
	v_add_f64_e32 v[10:11], v[146:147], v[144:145]
	v_add_f64_e32 v[128:129], v[136:137], v[138:139]
	v_fmac_f64_e32 v[140:141], v[6:7], v[12:13]
	v_fma_f64 v[12:13], v[4:5], v[12:13], -v[14:15]
	ds_load_b128 v[4:7], v2 offset:1616
	v_fmac_f64_e32 v[130:131], v[134:135], v[16:17]
	v_fma_f64 v[16:17], v[132:133], v[16:17], -v[18:19]
	v_add_f64_e32 v[8:9], v[10:11], v[8:9]
	v_add_f64_e32 v[10:11], v[128:129], v[142:143]
	s_wait_loadcnt_dscnt 0x0
	v_mul_f64_e32 v[14:15], v[4:5], v[22:23]
	v_mul_f64_e32 v[22:23], v[6:7], v[22:23]
	s_delay_alu instid0(VALU_DEP_4) | instskip(NEXT) | instid1(VALU_DEP_4)
	v_add_f64_e32 v[8:9], v[8:9], v[12:13]
	v_add_f64_e32 v[10:11], v[10:11], v[140:141]
	s_delay_alu instid0(VALU_DEP_4) | instskip(NEXT) | instid1(VALU_DEP_4)
	v_fmac_f64_e32 v[14:15], v[6:7], v[20:21]
	v_fma_f64 v[4:5], v[4:5], v[20:21], -v[22:23]
	s_delay_alu instid0(VALU_DEP_4) | instskip(NEXT) | instid1(VALU_DEP_4)
	v_add_f64_e32 v[6:7], v[8:9], v[16:17]
	v_add_f64_e32 v[8:9], v[10:11], v[130:131]
	s_delay_alu instid0(VALU_DEP_2) | instskip(NEXT) | instid1(VALU_DEP_2)
	v_add_f64_e32 v[4:5], v[6:7], v[4:5]
	v_add_f64_e32 v[6:7], v[8:9], v[14:15]
	s_delay_alu instid0(VALU_DEP_2) | instskip(NEXT) | instid1(VALU_DEP_2)
	v_add_f64_e64 v[4:5], v[156:157], -v[4:5]
	v_add_f64_e64 v[6:7], v[158:159], -v[6:7]
	scratch_store_b128 off, v[4:7], off offset:336
	s_wait_xcnt 0x0
	v_cmpx_lt_u32_e32 20, v1
	s_cbranch_execz .LBB50_279
; %bb.278:
	scratch_load_b128 v[6:9], off, s51
	v_dual_mov_b32 v3, v2 :: v_dual_mov_b32 v4, v2
	v_mov_b32_e32 v5, v2
	scratch_store_b128 off, v[2:5], off offset:320
	s_wait_loadcnt 0x0
	ds_store_b128 v126, v[6:9]
.LBB50_279:
	s_wait_xcnt 0x0
	s_or_b32 exec_lo, exec_lo, s2
	s_wait_storecnt_dscnt 0x0
	s_barrier_signal -1
	s_barrier_wait -1
	s_clause 0x9
	scratch_load_b128 v[4:7], off, off offset:336
	scratch_load_b128 v[8:11], off, off offset:352
	;; [unrolled: 1-line block ×10, first 2 shown]
	ds_load_b128 v[148:151], v2 offset:1152
	ds_load_b128 v[156:159], v2 offset:1168
	s_clause 0x2
	scratch_load_b128 v[152:155], off, off offset:496
	scratch_load_b128 v[160:163], off, off offset:320
	;; [unrolled: 1-line block ×3, first 2 shown]
	s_mov_b32 s2, exec_lo
	s_wait_loadcnt_dscnt 0xc01
	v_mul_f64_e32 v[168:169], v[150:151], v[6:7]
	v_mul_f64_e32 v[172:173], v[148:149], v[6:7]
	s_wait_loadcnt_dscnt 0xb00
	v_mul_f64_e32 v[174:175], v[156:157], v[10:11]
	v_mul_f64_e32 v[10:11], v[158:159], v[10:11]
	s_delay_alu instid0(VALU_DEP_4) | instskip(NEXT) | instid1(VALU_DEP_4)
	v_fma_f64 v[176:177], v[148:149], v[4:5], -v[168:169]
	v_fmac_f64_e32 v[172:173], v[150:151], v[4:5]
	ds_load_b128 v[4:7], v2 offset:1184
	ds_load_b128 v[148:151], v2 offset:1200
	scratch_load_b128 v[168:171], off, off offset:528
	v_fmac_f64_e32 v[174:175], v[158:159], v[8:9]
	v_fma_f64 v[156:157], v[156:157], v[8:9], -v[10:11]
	scratch_load_b128 v[8:11], off, off offset:544
	s_wait_loadcnt_dscnt 0xc01
	v_mul_f64_e32 v[178:179], v[4:5], v[14:15]
	v_mul_f64_e32 v[14:15], v[6:7], v[14:15]
	v_add_f64_e32 v[158:159], 0, v[176:177]
	v_add_f64_e32 v[172:173], 0, v[172:173]
	s_wait_loadcnt_dscnt 0xb00
	v_mul_f64_e32 v[176:177], v[148:149], v[18:19]
	v_mul_f64_e32 v[18:19], v[150:151], v[18:19]
	v_fmac_f64_e32 v[178:179], v[6:7], v[12:13]
	v_fma_f64 v[180:181], v[4:5], v[12:13], -v[14:15]
	ds_load_b128 v[4:7], v2 offset:1216
	ds_load_b128 v[12:15], v2 offset:1232
	v_add_f64_e32 v[182:183], v[158:159], v[156:157]
	v_add_f64_e32 v[172:173], v[172:173], v[174:175]
	scratch_load_b128 v[156:159], off, off offset:560
	v_fmac_f64_e32 v[176:177], v[150:151], v[16:17]
	v_fma_f64 v[148:149], v[148:149], v[16:17], -v[18:19]
	scratch_load_b128 v[16:19], off, off offset:576
	s_wait_loadcnt_dscnt 0xc01
	v_mul_f64_e32 v[174:175], v[4:5], v[22:23]
	v_mul_f64_e32 v[22:23], v[6:7], v[22:23]
	v_add_f64_e32 v[150:151], v[182:183], v[180:181]
	v_add_f64_e32 v[172:173], v[172:173], v[178:179]
	s_wait_loadcnt_dscnt 0xb00
	v_mul_f64_e32 v[178:179], v[12:13], v[130:131]
	v_mul_f64_e32 v[130:131], v[14:15], v[130:131]
	v_fmac_f64_e32 v[174:175], v[6:7], v[20:21]
	v_fma_f64 v[180:181], v[4:5], v[20:21], -v[22:23]
	ds_load_b128 v[4:7], v2 offset:1248
	ds_load_b128 v[20:23], v2 offset:1264
	v_add_f64_e32 v[182:183], v[150:151], v[148:149]
	v_add_f64_e32 v[172:173], v[172:173], v[176:177]
	scratch_load_b128 v[148:151], off, off offset:592
	s_wait_loadcnt_dscnt 0xb01
	v_mul_f64_e32 v[176:177], v[4:5], v[134:135]
	v_mul_f64_e32 v[134:135], v[6:7], v[134:135]
	v_fmac_f64_e32 v[178:179], v[14:15], v[128:129]
	v_fma_f64 v[128:129], v[12:13], v[128:129], -v[130:131]
	scratch_load_b128 v[12:15], off, off offset:608
	v_add_f64_e32 v[130:131], v[182:183], v[180:181]
	v_add_f64_e32 v[172:173], v[172:173], v[174:175]
	s_wait_loadcnt_dscnt 0xb00
	v_mul_f64_e32 v[174:175], v[20:21], v[138:139]
	v_mul_f64_e32 v[138:139], v[22:23], v[138:139]
	v_fmac_f64_e32 v[176:177], v[6:7], v[132:133]
	v_fma_f64 v[180:181], v[4:5], v[132:133], -v[134:135]
	v_add_f64_e32 v[182:183], v[130:131], v[128:129]
	v_add_f64_e32 v[172:173], v[172:173], v[178:179]
	ds_load_b128 v[4:7], v2 offset:1280
	ds_load_b128 v[128:131], v2 offset:1296
	scratch_load_b128 v[132:135], off, off offset:624
	v_fmac_f64_e32 v[174:175], v[22:23], v[136:137]
	v_fma_f64 v[136:137], v[20:21], v[136:137], -v[138:139]
	scratch_load_b128 v[20:23], off, off offset:640
	s_wait_loadcnt_dscnt 0xc01
	v_mul_f64_e32 v[178:179], v[4:5], v[142:143]
	v_mul_f64_e32 v[142:143], v[6:7], v[142:143]
	v_add_f64_e32 v[138:139], v[182:183], v[180:181]
	v_add_f64_e32 v[172:173], v[172:173], v[176:177]
	s_wait_loadcnt_dscnt 0xb00
	v_mul_f64_e32 v[176:177], v[128:129], v[146:147]
	v_mul_f64_e32 v[146:147], v[130:131], v[146:147]
	v_fmac_f64_e32 v[178:179], v[6:7], v[140:141]
	v_fma_f64 v[180:181], v[4:5], v[140:141], -v[142:143]
	v_add_f64_e32 v[182:183], v[138:139], v[136:137]
	v_add_f64_e32 v[172:173], v[172:173], v[174:175]
	ds_load_b128 v[4:7], v2 offset:1312
	ds_load_b128 v[136:139], v2 offset:1328
	scratch_load_b128 v[140:143], off, off offset:656
	v_fmac_f64_e32 v[176:177], v[130:131], v[144:145]
	v_fma_f64 v[144:145], v[128:129], v[144:145], -v[146:147]
	scratch_load_b128 v[128:131], off, off offset:672
	s_wait_loadcnt_dscnt 0xc01
	v_mul_f64_e32 v[174:175], v[4:5], v[154:155]
	v_mul_f64_e32 v[154:155], v[6:7], v[154:155]
	;; [unrolled: 18-line block ×5, first 2 shown]
	v_add_f64_e32 v[166:167], v[182:183], v[180:181]
	v_add_f64_e32 v[172:173], v[172:173], v[178:179]
	s_wait_loadcnt_dscnt 0xa00
	v_mul_f64_e32 v[178:179], v[144:145], v[14:15]
	v_mul_f64_e32 v[14:15], v[146:147], v[14:15]
	v_fmac_f64_e32 v[174:175], v[6:7], v[148:149]
	v_fma_f64 v[180:181], v[4:5], v[148:149], -v[150:151]
	ds_load_b128 v[4:7], v2 offset:1440
	ds_load_b128 v[148:151], v2 offset:1456
	v_add_f64_e32 v[182:183], v[166:167], v[164:165]
	v_add_f64_e32 v[172:173], v[172:173], v[176:177]
	scratch_load_b128 v[164:167], off, off offset:784
	v_fmac_f64_e32 v[178:179], v[146:147], v[12:13]
	v_fma_f64 v[144:145], v[144:145], v[12:13], -v[14:15]
	scratch_load_b128 v[12:15], off, off offset:800
	s_wait_loadcnt_dscnt 0xb01
	v_mul_f64_e32 v[176:177], v[4:5], v[134:135]
	v_mul_f64_e32 v[134:135], v[6:7], v[134:135]
	v_add_f64_e32 v[146:147], v[182:183], v[180:181]
	v_add_f64_e32 v[172:173], v[172:173], v[174:175]
	s_wait_loadcnt_dscnt 0xa00
	v_mul_f64_e32 v[174:175], v[148:149], v[22:23]
	v_mul_f64_e32 v[22:23], v[150:151], v[22:23]
	v_fmac_f64_e32 v[176:177], v[6:7], v[132:133]
	v_fma_f64 v[180:181], v[4:5], v[132:133], -v[134:135]
	ds_load_b128 v[4:7], v2 offset:1472
	ds_load_b128 v[132:135], v2 offset:1488
	v_add_f64_e32 v[144:145], v[146:147], v[144:145]
	v_add_f64_e32 v[146:147], v[172:173], v[178:179]
	v_fmac_f64_e32 v[174:175], v[150:151], v[20:21]
	s_wait_loadcnt_dscnt 0x901
	v_mul_f64_e32 v[172:173], v[4:5], v[142:143]
	v_mul_f64_e32 v[142:143], v[6:7], v[142:143]
	v_fma_f64 v[20:21], v[148:149], v[20:21], -v[22:23]
	v_add_f64_e32 v[22:23], v[144:145], v[180:181]
	v_add_f64_e32 v[144:145], v[146:147], v[176:177]
	s_wait_loadcnt_dscnt 0x800
	v_mul_f64_e32 v[146:147], v[132:133], v[130:131]
	v_mul_f64_e32 v[130:131], v[134:135], v[130:131]
	v_fmac_f64_e32 v[172:173], v[6:7], v[140:141]
	v_fma_f64 v[140:141], v[4:5], v[140:141], -v[142:143]
	v_add_f64_e32 v[142:143], v[22:23], v[20:21]
	v_add_f64_e32 v[144:145], v[144:145], v[174:175]
	ds_load_b128 v[4:7], v2 offset:1504
	ds_load_b128 v[20:23], v2 offset:1520
	v_fmac_f64_e32 v[146:147], v[134:135], v[128:129]
	v_fma_f64 v[128:129], v[132:133], v[128:129], -v[130:131]
	s_wait_loadcnt_dscnt 0x701
	v_mul_f64_e32 v[148:149], v[4:5], v[154:155]
	v_mul_f64_e32 v[150:151], v[6:7], v[154:155]
	s_wait_loadcnt_dscnt 0x600
	v_mul_f64_e32 v[134:135], v[20:21], v[138:139]
	v_mul_f64_e32 v[138:139], v[22:23], v[138:139]
	v_add_f64_e32 v[130:131], v[142:143], v[140:141]
	v_add_f64_e32 v[132:133], v[144:145], v[172:173]
	v_fmac_f64_e32 v[148:149], v[6:7], v[152:153]
	v_fma_f64 v[140:141], v[4:5], v[152:153], -v[150:151]
	v_fmac_f64_e32 v[134:135], v[22:23], v[136:137]
	v_fma_f64 v[20:21], v[20:21], v[136:137], -v[138:139]
	v_add_f64_e32 v[142:143], v[130:131], v[128:129]
	v_add_f64_e32 v[132:133], v[132:133], v[146:147]
	ds_load_b128 v[4:7], v2 offset:1536
	ds_load_b128 v[128:131], v2 offset:1552
	s_wait_loadcnt_dscnt 0x501
	v_mul_f64_e32 v[144:145], v[4:5], v[170:171]
	v_mul_f64_e32 v[146:147], v[6:7], v[170:171]
	s_wait_loadcnt_dscnt 0x400
	v_mul_f64_e32 v[136:137], v[128:129], v[10:11]
	v_mul_f64_e32 v[10:11], v[130:131], v[10:11]
	v_add_f64_e32 v[22:23], v[142:143], v[140:141]
	v_add_f64_e32 v[132:133], v[132:133], v[148:149]
	v_fmac_f64_e32 v[144:145], v[6:7], v[168:169]
	v_fma_f64 v[138:139], v[4:5], v[168:169], -v[146:147]
	v_fmac_f64_e32 v[136:137], v[130:131], v[8:9]
	v_fma_f64 v[8:9], v[128:129], v[8:9], -v[10:11]
	v_add_f64_e32 v[140:141], v[22:23], v[20:21]
	v_add_f64_e32 v[132:133], v[132:133], v[134:135]
	ds_load_b128 v[4:7], v2 offset:1568
	ds_load_b128 v[20:23], v2 offset:1584
	;; [unrolled: 16-line block ×3, first 2 shown]
	s_wait_loadcnt_dscnt 0x101
	v_mul_f64_e32 v[2:3], v[4:5], v[166:167]
	v_mul_f64_e32 v[136:137], v[6:7], v[166:167]
	s_wait_loadcnt_dscnt 0x0
	v_mul_f64_e32 v[22:23], v[8:9], v[14:15]
	v_mul_f64_e32 v[14:15], v[10:11], v[14:15]
	v_add_f64_e32 v[18:19], v[138:139], v[132:133]
	v_add_f64_e32 v[20:21], v[128:129], v[134:135]
	v_fmac_f64_e32 v[2:3], v[6:7], v[164:165]
	v_fma_f64 v[4:5], v[4:5], v[164:165], -v[136:137]
	v_fmac_f64_e32 v[22:23], v[10:11], v[12:13]
	v_fma_f64 v[8:9], v[8:9], v[12:13], -v[14:15]
	v_add_f64_e32 v[6:7], v[18:19], v[16:17]
	v_add_f64_e32 v[16:17], v[20:21], v[130:131]
	s_delay_alu instid0(VALU_DEP_2) | instskip(NEXT) | instid1(VALU_DEP_2)
	v_add_f64_e32 v[4:5], v[6:7], v[4:5]
	v_add_f64_e32 v[2:3], v[16:17], v[2:3]
	s_delay_alu instid0(VALU_DEP_2) | instskip(NEXT) | instid1(VALU_DEP_2)
	;; [unrolled: 3-line block ×3, first 2 shown]
	v_add_f64_e64 v[2:3], v[160:161], -v[4:5]
	v_add_f64_e64 v[4:5], v[162:163], -v[6:7]
	scratch_store_b128 off, v[2:5], off offset:320
	s_wait_xcnt 0x0
	v_cmpx_lt_u32_e32 19, v1
	s_cbranch_execz .LBB50_281
; %bb.280:
	scratch_load_b128 v[2:5], off, s50
	v_mov_b32_e32 v6, 0
	s_delay_alu instid0(VALU_DEP_1)
	v_dual_mov_b32 v7, v6 :: v_dual_mov_b32 v8, v6
	v_mov_b32_e32 v9, v6
	scratch_store_b128 off, v[6:9], off offset:304
	s_wait_loadcnt 0x0
	ds_store_b128 v126, v[2:5]
.LBB50_281:
	s_wait_xcnt 0x0
	s_or_b32 exec_lo, exec_lo, s2
	s_wait_storecnt_dscnt 0x0
	s_barrier_signal -1
	s_barrier_wait -1
	s_clause 0x9
	scratch_load_b128 v[4:7], off, off offset:320
	scratch_load_b128 v[8:11], off, off offset:336
	;; [unrolled: 1-line block ×10, first 2 shown]
	v_mov_b32_e32 v2, 0
	s_mov_b32 s2, exec_lo
	ds_load_b128 v[148:151], v2 offset:1136
	s_clause 0x2
	scratch_load_b128 v[152:155], off, off offset:480
	scratch_load_b128 v[156:159], off, off offset:304
	;; [unrolled: 1-line block ×3, first 2 shown]
	s_wait_loadcnt_dscnt 0xc00
	v_mul_f64_e32 v[168:169], v[150:151], v[6:7]
	v_mul_f64_e32 v[172:173], v[148:149], v[6:7]
	ds_load_b128 v[160:163], v2 offset:1152
	v_fma_f64 v[176:177], v[148:149], v[4:5], -v[168:169]
	v_fmac_f64_e32 v[172:173], v[150:151], v[4:5]
	ds_load_b128 v[4:7], v2 offset:1168
	s_wait_loadcnt_dscnt 0xb01
	v_mul_f64_e32 v[174:175], v[160:161], v[10:11]
	v_mul_f64_e32 v[10:11], v[162:163], v[10:11]
	scratch_load_b128 v[148:151], off, off offset:512
	ds_load_b128 v[168:171], v2 offset:1184
	s_wait_loadcnt_dscnt 0xb01
	v_mul_f64_e32 v[178:179], v[4:5], v[14:15]
	v_mul_f64_e32 v[14:15], v[6:7], v[14:15]
	v_add_f64_e32 v[172:173], 0, v[172:173]
	v_fmac_f64_e32 v[174:175], v[162:163], v[8:9]
	v_fma_f64 v[160:161], v[160:161], v[8:9], -v[10:11]
	v_add_f64_e32 v[162:163], 0, v[176:177]
	scratch_load_b128 v[8:11], off, off offset:528
	v_fmac_f64_e32 v[178:179], v[6:7], v[12:13]
	v_fma_f64 v[180:181], v[4:5], v[12:13], -v[14:15]
	ds_load_b128 v[4:7], v2 offset:1200
	s_wait_loadcnt_dscnt 0xb01
	v_mul_f64_e32 v[176:177], v[168:169], v[18:19]
	v_mul_f64_e32 v[18:19], v[170:171], v[18:19]
	scratch_load_b128 v[12:15], off, off offset:544
	v_add_f64_e32 v[172:173], v[172:173], v[174:175]
	v_add_f64_e32 v[182:183], v[162:163], v[160:161]
	ds_load_b128 v[160:163], v2 offset:1216
	s_wait_loadcnt_dscnt 0xb01
	v_mul_f64_e32 v[174:175], v[4:5], v[22:23]
	v_mul_f64_e32 v[22:23], v[6:7], v[22:23]
	v_fmac_f64_e32 v[176:177], v[170:171], v[16:17]
	v_fma_f64 v[168:169], v[168:169], v[16:17], -v[18:19]
	scratch_load_b128 v[16:19], off, off offset:560
	v_add_f64_e32 v[172:173], v[172:173], v[178:179]
	v_add_f64_e32 v[170:171], v[182:183], v[180:181]
	v_fmac_f64_e32 v[174:175], v[6:7], v[20:21]
	v_fma_f64 v[180:181], v[4:5], v[20:21], -v[22:23]
	ds_load_b128 v[4:7], v2 offset:1232
	s_wait_loadcnt_dscnt 0xb01
	v_mul_f64_e32 v[178:179], v[160:161], v[130:131]
	v_mul_f64_e32 v[130:131], v[162:163], v[130:131]
	scratch_load_b128 v[20:23], off, off offset:576
	v_add_f64_e32 v[172:173], v[172:173], v[176:177]
	s_wait_loadcnt_dscnt 0xb00
	v_mul_f64_e32 v[176:177], v[4:5], v[134:135]
	v_add_f64_e32 v[182:183], v[170:171], v[168:169]
	v_mul_f64_e32 v[134:135], v[6:7], v[134:135]
	ds_load_b128 v[168:171], v2 offset:1248
	v_fmac_f64_e32 v[178:179], v[162:163], v[128:129]
	v_fma_f64 v[160:161], v[160:161], v[128:129], -v[130:131]
	scratch_load_b128 v[128:131], off, off offset:592
	v_add_f64_e32 v[172:173], v[172:173], v[174:175]
	v_fmac_f64_e32 v[176:177], v[6:7], v[132:133]
	v_add_f64_e32 v[162:163], v[182:183], v[180:181]
	v_fma_f64 v[180:181], v[4:5], v[132:133], -v[134:135]
	ds_load_b128 v[4:7], v2 offset:1264
	s_wait_loadcnt_dscnt 0xb01
	v_mul_f64_e32 v[174:175], v[168:169], v[138:139]
	v_mul_f64_e32 v[138:139], v[170:171], v[138:139]
	scratch_load_b128 v[132:135], off, off offset:608
	v_add_f64_e32 v[172:173], v[172:173], v[178:179]
	s_wait_loadcnt_dscnt 0xb00
	v_mul_f64_e32 v[178:179], v[4:5], v[142:143]
	v_add_f64_e32 v[182:183], v[162:163], v[160:161]
	v_mul_f64_e32 v[142:143], v[6:7], v[142:143]
	ds_load_b128 v[160:163], v2 offset:1280
	v_fmac_f64_e32 v[174:175], v[170:171], v[136:137]
	v_fma_f64 v[168:169], v[168:169], v[136:137], -v[138:139]
	scratch_load_b128 v[136:139], off, off offset:624
	v_add_f64_e32 v[172:173], v[172:173], v[176:177]
	v_fmac_f64_e32 v[178:179], v[6:7], v[140:141]
	v_add_f64_e32 v[170:171], v[182:183], v[180:181]
	;; [unrolled: 18-line block ×3, first 2 shown]
	v_fma_f64 v[180:181], v[4:5], v[152:153], -v[154:155]
	ds_load_b128 v[4:7], v2 offset:1328
	s_wait_loadcnt_dscnt 0xa01
	v_mul_f64_e32 v[178:179], v[168:169], v[166:167]
	v_mul_f64_e32 v[166:167], v[170:171], v[166:167]
	scratch_load_b128 v[152:155], off, off offset:672
	v_add_f64_e32 v[172:173], v[172:173], v[176:177]
	v_add_f64_e32 v[182:183], v[162:163], v[160:161]
	s_wait_loadcnt_dscnt 0xa00
	v_mul_f64_e32 v[176:177], v[4:5], v[150:151]
	v_mul_f64_e32 v[150:151], v[6:7], v[150:151]
	v_fmac_f64_e32 v[178:179], v[170:171], v[164:165]
	v_fma_f64 v[168:169], v[168:169], v[164:165], -v[166:167]
	ds_load_b128 v[160:163], v2 offset:1344
	scratch_load_b128 v[164:167], off, off offset:688
	v_add_f64_e32 v[172:173], v[172:173], v[174:175]
	v_add_f64_e32 v[170:171], v[182:183], v[180:181]
	v_fmac_f64_e32 v[176:177], v[6:7], v[148:149]
	v_fma_f64 v[180:181], v[4:5], v[148:149], -v[150:151]
	ds_load_b128 v[4:7], v2 offset:1360
	s_wait_loadcnt_dscnt 0xa01
	v_mul_f64_e32 v[174:175], v[160:161], v[10:11]
	v_mul_f64_e32 v[10:11], v[162:163], v[10:11]
	scratch_load_b128 v[148:151], off, off offset:704
	v_add_f64_e32 v[172:173], v[172:173], v[178:179]
	s_wait_loadcnt_dscnt 0xa00
	v_mul_f64_e32 v[178:179], v[4:5], v[14:15]
	v_add_f64_e32 v[182:183], v[170:171], v[168:169]
	v_mul_f64_e32 v[14:15], v[6:7], v[14:15]
	ds_load_b128 v[168:171], v2 offset:1376
	v_fmac_f64_e32 v[174:175], v[162:163], v[8:9]
	v_fma_f64 v[160:161], v[160:161], v[8:9], -v[10:11]
	scratch_load_b128 v[8:11], off, off offset:720
	v_add_f64_e32 v[172:173], v[172:173], v[176:177]
	v_fmac_f64_e32 v[178:179], v[6:7], v[12:13]
	v_add_f64_e32 v[162:163], v[182:183], v[180:181]
	v_fma_f64 v[180:181], v[4:5], v[12:13], -v[14:15]
	ds_load_b128 v[4:7], v2 offset:1392
	s_wait_loadcnt_dscnt 0xa01
	v_mul_f64_e32 v[176:177], v[168:169], v[18:19]
	v_mul_f64_e32 v[18:19], v[170:171], v[18:19]
	scratch_load_b128 v[12:15], off, off offset:736
	v_add_f64_e32 v[172:173], v[172:173], v[174:175]
	s_wait_loadcnt_dscnt 0xa00
	v_mul_f64_e32 v[174:175], v[4:5], v[22:23]
	v_add_f64_e32 v[182:183], v[162:163], v[160:161]
	v_mul_f64_e32 v[22:23], v[6:7], v[22:23]
	ds_load_b128 v[160:163], v2 offset:1408
	v_fmac_f64_e32 v[176:177], v[170:171], v[16:17]
	v_fma_f64 v[168:169], v[168:169], v[16:17], -v[18:19]
	scratch_load_b128 v[16:19], off, off offset:752
	v_add_f64_e32 v[172:173], v[172:173], v[178:179]
	v_fmac_f64_e32 v[174:175], v[6:7], v[20:21]
	v_add_f64_e32 v[170:171], v[182:183], v[180:181]
	;; [unrolled: 18-line block ×3, first 2 shown]
	v_fma_f64 v[180:181], v[4:5], v[132:133], -v[134:135]
	ds_load_b128 v[4:7], v2 offset:1456
	s_wait_loadcnt_dscnt 0xa01
	v_mul_f64_e32 v[174:175], v[168:169], v[138:139]
	v_mul_f64_e32 v[138:139], v[170:171], v[138:139]
	scratch_load_b128 v[132:135], off, off offset:800
	v_add_f64_e32 v[172:173], v[172:173], v[178:179]
	s_wait_loadcnt_dscnt 0xa00
	v_mul_f64_e32 v[178:179], v[4:5], v[142:143]
	v_add_f64_e32 v[182:183], v[162:163], v[160:161]
	v_mul_f64_e32 v[142:143], v[6:7], v[142:143]
	ds_load_b128 v[160:163], v2 offset:1472
	v_fmac_f64_e32 v[174:175], v[170:171], v[136:137]
	v_fma_f64 v[136:137], v[168:169], v[136:137], -v[138:139]
	s_wait_loadcnt_dscnt 0x900
	v_mul_f64_e32 v[170:171], v[160:161], v[146:147]
	v_mul_f64_e32 v[146:147], v[162:163], v[146:147]
	v_add_f64_e32 v[168:169], v[172:173], v[176:177]
	v_fmac_f64_e32 v[178:179], v[6:7], v[140:141]
	v_add_f64_e32 v[138:139], v[182:183], v[180:181]
	v_fma_f64 v[140:141], v[4:5], v[140:141], -v[142:143]
	v_fmac_f64_e32 v[170:171], v[162:163], v[144:145]
	v_fma_f64 v[144:145], v[160:161], v[144:145], -v[146:147]
	v_add_f64_e32 v[168:169], v[168:169], v[174:175]
	v_add_f64_e32 v[142:143], v[138:139], v[136:137]
	ds_load_b128 v[4:7], v2 offset:1488
	ds_load_b128 v[136:139], v2 offset:1504
	s_wait_loadcnt_dscnt 0x801
	v_mul_f64_e32 v[172:173], v[4:5], v[154:155]
	v_mul_f64_e32 v[154:155], v[6:7], v[154:155]
	s_wait_loadcnt_dscnt 0x700
	v_mul_f64_e32 v[146:147], v[136:137], v[166:167]
	v_mul_f64_e32 v[160:161], v[138:139], v[166:167]
	v_add_f64_e32 v[140:141], v[142:143], v[140:141]
	v_add_f64_e32 v[142:143], v[168:169], v[178:179]
	v_fmac_f64_e32 v[172:173], v[6:7], v[152:153]
	v_fma_f64 v[152:153], v[4:5], v[152:153], -v[154:155]
	v_fmac_f64_e32 v[146:147], v[138:139], v[164:165]
	v_fma_f64 v[136:137], v[136:137], v[164:165], -v[160:161]
	v_add_f64_e32 v[144:145], v[140:141], v[144:145]
	v_add_f64_e32 v[154:155], v[142:143], v[170:171]
	ds_load_b128 v[4:7], v2 offset:1520
	ds_load_b128 v[140:143], v2 offset:1536
	s_wait_loadcnt_dscnt 0x601
	v_mul_f64_e32 v[162:163], v[4:5], v[150:151]
	v_mul_f64_e32 v[150:151], v[6:7], v[150:151]
	v_add_f64_e32 v[138:139], v[144:145], v[152:153]
	v_add_f64_e32 v[144:145], v[154:155], v[172:173]
	s_wait_loadcnt_dscnt 0x500
	v_mul_f64_e32 v[152:153], v[140:141], v[10:11]
	v_mul_f64_e32 v[10:11], v[142:143], v[10:11]
	v_fmac_f64_e32 v[162:163], v[6:7], v[148:149]
	v_fma_f64 v[148:149], v[4:5], v[148:149], -v[150:151]
	v_add_f64_e32 v[150:151], v[138:139], v[136:137]
	v_add_f64_e32 v[144:145], v[144:145], v[146:147]
	ds_load_b128 v[4:7], v2 offset:1552
	ds_load_b128 v[136:139], v2 offset:1568
	v_fmac_f64_e32 v[152:153], v[142:143], v[8:9]
	v_fma_f64 v[8:9], v[140:141], v[8:9], -v[10:11]
	s_wait_loadcnt_dscnt 0x401
	v_mul_f64_e32 v[146:147], v[4:5], v[14:15]
	v_mul_f64_e32 v[14:15], v[6:7], v[14:15]
	s_wait_loadcnt_dscnt 0x300
	v_mul_f64_e32 v[142:143], v[136:137], v[18:19]
	v_mul_f64_e32 v[18:19], v[138:139], v[18:19]
	v_add_f64_e32 v[10:11], v[150:151], v[148:149]
	v_add_f64_e32 v[140:141], v[144:145], v[162:163]
	v_fmac_f64_e32 v[146:147], v[6:7], v[12:13]
	v_fma_f64 v[12:13], v[4:5], v[12:13], -v[14:15]
	v_fmac_f64_e32 v[142:143], v[138:139], v[16:17]
	v_fma_f64 v[16:17], v[136:137], v[16:17], -v[18:19]
	v_add_f64_e32 v[14:15], v[10:11], v[8:9]
	v_add_f64_e32 v[140:141], v[140:141], v[152:153]
	ds_load_b128 v[4:7], v2 offset:1584
	ds_load_b128 v[8:11], v2 offset:1600
	s_wait_loadcnt_dscnt 0x201
	v_mul_f64_e32 v[144:145], v[4:5], v[22:23]
	v_mul_f64_e32 v[22:23], v[6:7], v[22:23]
	s_wait_loadcnt_dscnt 0x100
	v_mul_f64_e32 v[18:19], v[8:9], v[130:131]
	v_mul_f64_e32 v[130:131], v[10:11], v[130:131]
	v_add_f64_e32 v[12:13], v[14:15], v[12:13]
	v_add_f64_e32 v[14:15], v[140:141], v[146:147]
	v_fmac_f64_e32 v[144:145], v[6:7], v[20:21]
	v_fma_f64 v[20:21], v[4:5], v[20:21], -v[22:23]
	ds_load_b128 v[4:7], v2 offset:1616
	v_fmac_f64_e32 v[18:19], v[10:11], v[128:129]
	v_fma_f64 v[8:9], v[8:9], v[128:129], -v[130:131]
	v_add_f64_e32 v[12:13], v[12:13], v[16:17]
	v_add_f64_e32 v[14:15], v[14:15], v[142:143]
	s_wait_loadcnt_dscnt 0x0
	v_mul_f64_e32 v[16:17], v[4:5], v[134:135]
	v_mul_f64_e32 v[22:23], v[6:7], v[134:135]
	s_delay_alu instid0(VALU_DEP_4) | instskip(NEXT) | instid1(VALU_DEP_4)
	v_add_f64_e32 v[10:11], v[12:13], v[20:21]
	v_add_f64_e32 v[12:13], v[14:15], v[144:145]
	s_delay_alu instid0(VALU_DEP_4) | instskip(NEXT) | instid1(VALU_DEP_4)
	v_fmac_f64_e32 v[16:17], v[6:7], v[132:133]
	v_fma_f64 v[4:5], v[4:5], v[132:133], -v[22:23]
	s_delay_alu instid0(VALU_DEP_4) | instskip(NEXT) | instid1(VALU_DEP_4)
	v_add_f64_e32 v[6:7], v[10:11], v[8:9]
	v_add_f64_e32 v[8:9], v[12:13], v[18:19]
	s_delay_alu instid0(VALU_DEP_2) | instskip(NEXT) | instid1(VALU_DEP_2)
	v_add_f64_e32 v[4:5], v[6:7], v[4:5]
	v_add_f64_e32 v[6:7], v[8:9], v[16:17]
	s_delay_alu instid0(VALU_DEP_2) | instskip(NEXT) | instid1(VALU_DEP_2)
	v_add_f64_e64 v[4:5], v[156:157], -v[4:5]
	v_add_f64_e64 v[6:7], v[158:159], -v[6:7]
	scratch_store_b128 off, v[4:7], off offset:304
	s_wait_xcnt 0x0
	v_cmpx_lt_u32_e32 18, v1
	s_cbranch_execz .LBB50_283
; %bb.282:
	scratch_load_b128 v[6:9], off, s49
	v_dual_mov_b32 v3, v2 :: v_dual_mov_b32 v4, v2
	v_mov_b32_e32 v5, v2
	scratch_store_b128 off, v[2:5], off offset:288
	s_wait_loadcnt 0x0
	ds_store_b128 v126, v[6:9]
.LBB50_283:
	s_wait_xcnt 0x0
	s_or_b32 exec_lo, exec_lo, s2
	s_wait_storecnt_dscnt 0x0
	s_barrier_signal -1
	s_barrier_wait -1
	s_clause 0x9
	scratch_load_b128 v[4:7], off, off offset:304
	scratch_load_b128 v[8:11], off, off offset:320
	scratch_load_b128 v[12:15], off, off offset:336
	scratch_load_b128 v[16:19], off, off offset:352
	scratch_load_b128 v[20:23], off, off offset:368
	scratch_load_b128 v[128:131], off, off offset:384
	scratch_load_b128 v[132:135], off, off offset:400
	scratch_load_b128 v[136:139], off, off offset:416
	scratch_load_b128 v[140:143], off, off offset:432
	scratch_load_b128 v[144:147], off, off offset:448
	ds_load_b128 v[148:151], v2 offset:1120
	ds_load_b128 v[156:159], v2 offset:1136
	s_clause 0x2
	scratch_load_b128 v[152:155], off, off offset:464
	scratch_load_b128 v[160:163], off, off offset:288
	;; [unrolled: 1-line block ×3, first 2 shown]
	s_mov_b32 s2, exec_lo
	s_wait_loadcnt_dscnt 0xc01
	v_mul_f64_e32 v[168:169], v[150:151], v[6:7]
	v_mul_f64_e32 v[172:173], v[148:149], v[6:7]
	s_wait_loadcnt_dscnt 0xb00
	v_mul_f64_e32 v[174:175], v[156:157], v[10:11]
	v_mul_f64_e32 v[10:11], v[158:159], v[10:11]
	s_delay_alu instid0(VALU_DEP_4) | instskip(NEXT) | instid1(VALU_DEP_4)
	v_fma_f64 v[176:177], v[148:149], v[4:5], -v[168:169]
	v_fmac_f64_e32 v[172:173], v[150:151], v[4:5]
	ds_load_b128 v[4:7], v2 offset:1152
	ds_load_b128 v[148:151], v2 offset:1168
	scratch_load_b128 v[168:171], off, off offset:496
	v_fmac_f64_e32 v[174:175], v[158:159], v[8:9]
	v_fma_f64 v[156:157], v[156:157], v[8:9], -v[10:11]
	scratch_load_b128 v[8:11], off, off offset:512
	s_wait_loadcnt_dscnt 0xc01
	v_mul_f64_e32 v[178:179], v[4:5], v[14:15]
	v_mul_f64_e32 v[14:15], v[6:7], v[14:15]
	v_add_f64_e32 v[158:159], 0, v[176:177]
	v_add_f64_e32 v[172:173], 0, v[172:173]
	s_wait_loadcnt_dscnt 0xb00
	v_mul_f64_e32 v[176:177], v[148:149], v[18:19]
	v_mul_f64_e32 v[18:19], v[150:151], v[18:19]
	v_fmac_f64_e32 v[178:179], v[6:7], v[12:13]
	v_fma_f64 v[180:181], v[4:5], v[12:13], -v[14:15]
	ds_load_b128 v[4:7], v2 offset:1184
	ds_load_b128 v[12:15], v2 offset:1200
	v_add_f64_e32 v[182:183], v[158:159], v[156:157]
	v_add_f64_e32 v[172:173], v[172:173], v[174:175]
	scratch_load_b128 v[156:159], off, off offset:528
	v_fmac_f64_e32 v[176:177], v[150:151], v[16:17]
	v_fma_f64 v[148:149], v[148:149], v[16:17], -v[18:19]
	scratch_load_b128 v[16:19], off, off offset:544
	s_wait_loadcnt_dscnt 0xc01
	v_mul_f64_e32 v[174:175], v[4:5], v[22:23]
	v_mul_f64_e32 v[22:23], v[6:7], v[22:23]
	v_add_f64_e32 v[150:151], v[182:183], v[180:181]
	v_add_f64_e32 v[172:173], v[172:173], v[178:179]
	s_wait_loadcnt_dscnt 0xb00
	v_mul_f64_e32 v[178:179], v[12:13], v[130:131]
	v_mul_f64_e32 v[130:131], v[14:15], v[130:131]
	v_fmac_f64_e32 v[174:175], v[6:7], v[20:21]
	v_fma_f64 v[180:181], v[4:5], v[20:21], -v[22:23]
	ds_load_b128 v[4:7], v2 offset:1216
	ds_load_b128 v[20:23], v2 offset:1232
	v_add_f64_e32 v[182:183], v[150:151], v[148:149]
	v_add_f64_e32 v[172:173], v[172:173], v[176:177]
	scratch_load_b128 v[148:151], off, off offset:560
	s_wait_loadcnt_dscnt 0xb01
	v_mul_f64_e32 v[176:177], v[4:5], v[134:135]
	v_mul_f64_e32 v[134:135], v[6:7], v[134:135]
	v_fmac_f64_e32 v[178:179], v[14:15], v[128:129]
	v_fma_f64 v[128:129], v[12:13], v[128:129], -v[130:131]
	scratch_load_b128 v[12:15], off, off offset:576
	v_add_f64_e32 v[130:131], v[182:183], v[180:181]
	v_add_f64_e32 v[172:173], v[172:173], v[174:175]
	s_wait_loadcnt_dscnt 0xb00
	v_mul_f64_e32 v[174:175], v[20:21], v[138:139]
	v_mul_f64_e32 v[138:139], v[22:23], v[138:139]
	v_fmac_f64_e32 v[176:177], v[6:7], v[132:133]
	v_fma_f64 v[180:181], v[4:5], v[132:133], -v[134:135]
	v_add_f64_e32 v[182:183], v[130:131], v[128:129]
	v_add_f64_e32 v[172:173], v[172:173], v[178:179]
	ds_load_b128 v[4:7], v2 offset:1248
	ds_load_b128 v[128:131], v2 offset:1264
	scratch_load_b128 v[132:135], off, off offset:592
	v_fmac_f64_e32 v[174:175], v[22:23], v[136:137]
	v_fma_f64 v[136:137], v[20:21], v[136:137], -v[138:139]
	scratch_load_b128 v[20:23], off, off offset:608
	s_wait_loadcnt_dscnt 0xc01
	v_mul_f64_e32 v[178:179], v[4:5], v[142:143]
	v_mul_f64_e32 v[142:143], v[6:7], v[142:143]
	v_add_f64_e32 v[138:139], v[182:183], v[180:181]
	v_add_f64_e32 v[172:173], v[172:173], v[176:177]
	s_wait_loadcnt_dscnt 0xb00
	v_mul_f64_e32 v[176:177], v[128:129], v[146:147]
	v_mul_f64_e32 v[146:147], v[130:131], v[146:147]
	v_fmac_f64_e32 v[178:179], v[6:7], v[140:141]
	v_fma_f64 v[180:181], v[4:5], v[140:141], -v[142:143]
	v_add_f64_e32 v[182:183], v[138:139], v[136:137]
	v_add_f64_e32 v[172:173], v[172:173], v[174:175]
	ds_load_b128 v[4:7], v2 offset:1280
	ds_load_b128 v[136:139], v2 offset:1296
	scratch_load_b128 v[140:143], off, off offset:624
	v_fmac_f64_e32 v[176:177], v[130:131], v[144:145]
	v_fma_f64 v[144:145], v[128:129], v[144:145], -v[146:147]
	scratch_load_b128 v[128:131], off, off offset:640
	s_wait_loadcnt_dscnt 0xc01
	v_mul_f64_e32 v[174:175], v[4:5], v[154:155]
	v_mul_f64_e32 v[154:155], v[6:7], v[154:155]
	;; [unrolled: 18-line block ×5, first 2 shown]
	v_add_f64_e32 v[166:167], v[182:183], v[180:181]
	v_add_f64_e32 v[172:173], v[172:173], v[178:179]
	s_wait_loadcnt_dscnt 0xa00
	v_mul_f64_e32 v[178:179], v[144:145], v[14:15]
	v_mul_f64_e32 v[14:15], v[146:147], v[14:15]
	v_fmac_f64_e32 v[174:175], v[6:7], v[148:149]
	v_fma_f64 v[180:181], v[4:5], v[148:149], -v[150:151]
	ds_load_b128 v[4:7], v2 offset:1408
	ds_load_b128 v[148:151], v2 offset:1424
	v_add_f64_e32 v[182:183], v[166:167], v[164:165]
	v_add_f64_e32 v[172:173], v[172:173], v[176:177]
	scratch_load_b128 v[164:167], off, off offset:752
	v_fmac_f64_e32 v[178:179], v[146:147], v[12:13]
	v_fma_f64 v[144:145], v[144:145], v[12:13], -v[14:15]
	scratch_load_b128 v[12:15], off, off offset:768
	s_wait_loadcnt_dscnt 0xb01
	v_mul_f64_e32 v[176:177], v[4:5], v[134:135]
	v_mul_f64_e32 v[134:135], v[6:7], v[134:135]
	v_add_f64_e32 v[146:147], v[182:183], v[180:181]
	v_add_f64_e32 v[172:173], v[172:173], v[174:175]
	s_wait_loadcnt_dscnt 0xa00
	v_mul_f64_e32 v[174:175], v[148:149], v[22:23]
	v_mul_f64_e32 v[22:23], v[150:151], v[22:23]
	v_fmac_f64_e32 v[176:177], v[6:7], v[132:133]
	v_fma_f64 v[180:181], v[4:5], v[132:133], -v[134:135]
	ds_load_b128 v[4:7], v2 offset:1440
	ds_load_b128 v[132:135], v2 offset:1456
	v_add_f64_e32 v[182:183], v[146:147], v[144:145]
	v_add_f64_e32 v[172:173], v[172:173], v[178:179]
	scratch_load_b128 v[144:147], off, off offset:784
	s_wait_loadcnt_dscnt 0xa01
	v_mul_f64_e32 v[178:179], v[4:5], v[142:143]
	v_mul_f64_e32 v[142:143], v[6:7], v[142:143]
	v_fmac_f64_e32 v[174:175], v[150:151], v[20:21]
	v_fma_f64 v[148:149], v[148:149], v[20:21], -v[22:23]
	scratch_load_b128 v[20:23], off, off offset:800
	v_add_f64_e32 v[150:151], v[182:183], v[180:181]
	v_add_f64_e32 v[172:173], v[172:173], v[176:177]
	s_wait_loadcnt_dscnt 0xa00
	v_mul_f64_e32 v[176:177], v[132:133], v[130:131]
	v_mul_f64_e32 v[130:131], v[134:135], v[130:131]
	v_fmac_f64_e32 v[178:179], v[6:7], v[140:141]
	v_fma_f64 v[180:181], v[4:5], v[140:141], -v[142:143]
	ds_load_b128 v[4:7], v2 offset:1472
	ds_load_b128 v[140:143], v2 offset:1488
	v_add_f64_e32 v[148:149], v[150:151], v[148:149]
	v_add_f64_e32 v[150:151], v[172:173], v[174:175]
	v_fmac_f64_e32 v[176:177], v[134:135], v[128:129]
	s_wait_loadcnt_dscnt 0x901
	v_mul_f64_e32 v[172:173], v[4:5], v[154:155]
	v_mul_f64_e32 v[154:155], v[6:7], v[154:155]
	v_fma_f64 v[128:129], v[132:133], v[128:129], -v[130:131]
	s_wait_loadcnt_dscnt 0x800
	v_mul_f64_e32 v[134:135], v[140:141], v[138:139]
	v_mul_f64_e32 v[138:139], v[142:143], v[138:139]
	v_add_f64_e32 v[130:131], v[148:149], v[180:181]
	v_add_f64_e32 v[132:133], v[150:151], v[178:179]
	v_fmac_f64_e32 v[172:173], v[6:7], v[152:153]
	v_fma_f64 v[148:149], v[4:5], v[152:153], -v[154:155]
	v_fmac_f64_e32 v[134:135], v[142:143], v[136:137]
	v_fma_f64 v[136:137], v[140:141], v[136:137], -v[138:139]
	v_add_f64_e32 v[150:151], v[130:131], v[128:129]
	v_add_f64_e32 v[132:133], v[132:133], v[176:177]
	ds_load_b128 v[4:7], v2 offset:1504
	ds_load_b128 v[128:131], v2 offset:1520
	s_wait_loadcnt_dscnt 0x701
	v_mul_f64_e32 v[152:153], v[4:5], v[170:171]
	v_mul_f64_e32 v[154:155], v[6:7], v[170:171]
	s_wait_loadcnt_dscnt 0x600
	v_mul_f64_e32 v[140:141], v[128:129], v[10:11]
	v_mul_f64_e32 v[10:11], v[130:131], v[10:11]
	v_add_f64_e32 v[138:139], v[150:151], v[148:149]
	v_add_f64_e32 v[132:133], v[132:133], v[172:173]
	v_fmac_f64_e32 v[152:153], v[6:7], v[168:169]
	v_fma_f64 v[142:143], v[4:5], v[168:169], -v[154:155]
	v_fmac_f64_e32 v[140:141], v[130:131], v[8:9]
	v_fma_f64 v[8:9], v[128:129], v[8:9], -v[10:11]
	v_add_f64_e32 v[136:137], v[138:139], v[136:137]
	v_add_f64_e32 v[138:139], v[132:133], v[134:135]
	ds_load_b128 v[4:7], v2 offset:1536
	ds_load_b128 v[132:135], v2 offset:1552
	s_wait_loadcnt_dscnt 0x501
	v_mul_f64_e32 v[148:149], v[4:5], v[158:159]
	v_mul_f64_e32 v[150:151], v[6:7], v[158:159]
	;; [unrolled: 16-line block ×4, first 2 shown]
	v_add_f64_e32 v[10:11], v[18:19], v[136:137]
	v_add_f64_e32 v[12:13], v[128:129], v[140:141]
	s_wait_loadcnt_dscnt 0x0
	v_mul_f64_e32 v[18:19], v[14:15], v[22:23]
	v_mul_f64_e32 v[22:23], v[16:17], v[22:23]
	v_fmac_f64_e32 v[2:3], v[6:7], v[144:145]
	v_fma_f64 v[4:5], v[4:5], v[144:145], -v[130:131]
	v_add_f64_e32 v[6:7], v[10:11], v[8:9]
	v_add_f64_e32 v[8:9], v[12:13], v[132:133]
	v_fmac_f64_e32 v[18:19], v[16:17], v[20:21]
	v_fma_f64 v[10:11], v[14:15], v[20:21], -v[22:23]
	s_delay_alu instid0(VALU_DEP_4) | instskip(NEXT) | instid1(VALU_DEP_4)
	v_add_f64_e32 v[4:5], v[6:7], v[4:5]
	v_add_f64_e32 v[2:3], v[8:9], v[2:3]
	s_delay_alu instid0(VALU_DEP_2) | instskip(NEXT) | instid1(VALU_DEP_2)
	v_add_f64_e32 v[4:5], v[4:5], v[10:11]
	v_add_f64_e32 v[6:7], v[2:3], v[18:19]
	s_delay_alu instid0(VALU_DEP_2) | instskip(NEXT) | instid1(VALU_DEP_2)
	v_add_f64_e64 v[2:3], v[160:161], -v[4:5]
	v_add_f64_e64 v[4:5], v[162:163], -v[6:7]
	scratch_store_b128 off, v[2:5], off offset:288
	s_wait_xcnt 0x0
	v_cmpx_lt_u32_e32 17, v1
	s_cbranch_execz .LBB50_285
; %bb.284:
	scratch_load_b128 v[2:5], off, s48
	v_mov_b32_e32 v6, 0
	s_delay_alu instid0(VALU_DEP_1)
	v_dual_mov_b32 v7, v6 :: v_dual_mov_b32 v8, v6
	v_mov_b32_e32 v9, v6
	scratch_store_b128 off, v[6:9], off offset:272
	s_wait_loadcnt 0x0
	ds_store_b128 v126, v[2:5]
.LBB50_285:
	s_wait_xcnt 0x0
	s_or_b32 exec_lo, exec_lo, s2
	s_wait_storecnt_dscnt 0x0
	s_barrier_signal -1
	s_barrier_wait -1
	s_clause 0x9
	scratch_load_b128 v[4:7], off, off offset:288
	scratch_load_b128 v[8:11], off, off offset:304
	;; [unrolled: 1-line block ×10, first 2 shown]
	v_mov_b32_e32 v2, 0
	s_mov_b32 s2, exec_lo
	ds_load_b128 v[148:151], v2 offset:1104
	s_clause 0x2
	scratch_load_b128 v[152:155], off, off offset:448
	scratch_load_b128 v[156:159], off, off offset:272
	;; [unrolled: 1-line block ×3, first 2 shown]
	s_wait_loadcnt_dscnt 0xc00
	v_mul_f64_e32 v[168:169], v[150:151], v[6:7]
	v_mul_f64_e32 v[172:173], v[148:149], v[6:7]
	ds_load_b128 v[160:163], v2 offset:1120
	v_fma_f64 v[176:177], v[148:149], v[4:5], -v[168:169]
	v_fmac_f64_e32 v[172:173], v[150:151], v[4:5]
	ds_load_b128 v[4:7], v2 offset:1136
	s_wait_loadcnt_dscnt 0xb01
	v_mul_f64_e32 v[174:175], v[160:161], v[10:11]
	v_mul_f64_e32 v[10:11], v[162:163], v[10:11]
	scratch_load_b128 v[148:151], off, off offset:480
	ds_load_b128 v[168:171], v2 offset:1152
	s_wait_loadcnt_dscnt 0xb01
	v_mul_f64_e32 v[178:179], v[4:5], v[14:15]
	v_mul_f64_e32 v[14:15], v[6:7], v[14:15]
	v_add_f64_e32 v[172:173], 0, v[172:173]
	v_fmac_f64_e32 v[174:175], v[162:163], v[8:9]
	v_fma_f64 v[160:161], v[160:161], v[8:9], -v[10:11]
	v_add_f64_e32 v[162:163], 0, v[176:177]
	scratch_load_b128 v[8:11], off, off offset:496
	v_fmac_f64_e32 v[178:179], v[6:7], v[12:13]
	v_fma_f64 v[180:181], v[4:5], v[12:13], -v[14:15]
	ds_load_b128 v[4:7], v2 offset:1168
	s_wait_loadcnt_dscnt 0xb01
	v_mul_f64_e32 v[176:177], v[168:169], v[18:19]
	v_mul_f64_e32 v[18:19], v[170:171], v[18:19]
	scratch_load_b128 v[12:15], off, off offset:512
	v_add_f64_e32 v[172:173], v[172:173], v[174:175]
	v_add_f64_e32 v[182:183], v[162:163], v[160:161]
	ds_load_b128 v[160:163], v2 offset:1184
	s_wait_loadcnt_dscnt 0xb01
	v_mul_f64_e32 v[174:175], v[4:5], v[22:23]
	v_mul_f64_e32 v[22:23], v[6:7], v[22:23]
	v_fmac_f64_e32 v[176:177], v[170:171], v[16:17]
	v_fma_f64 v[168:169], v[168:169], v[16:17], -v[18:19]
	scratch_load_b128 v[16:19], off, off offset:528
	v_add_f64_e32 v[172:173], v[172:173], v[178:179]
	v_add_f64_e32 v[170:171], v[182:183], v[180:181]
	v_fmac_f64_e32 v[174:175], v[6:7], v[20:21]
	v_fma_f64 v[180:181], v[4:5], v[20:21], -v[22:23]
	ds_load_b128 v[4:7], v2 offset:1200
	s_wait_loadcnt_dscnt 0xb01
	v_mul_f64_e32 v[178:179], v[160:161], v[130:131]
	v_mul_f64_e32 v[130:131], v[162:163], v[130:131]
	scratch_load_b128 v[20:23], off, off offset:544
	v_add_f64_e32 v[172:173], v[172:173], v[176:177]
	s_wait_loadcnt_dscnt 0xb00
	v_mul_f64_e32 v[176:177], v[4:5], v[134:135]
	v_add_f64_e32 v[182:183], v[170:171], v[168:169]
	v_mul_f64_e32 v[134:135], v[6:7], v[134:135]
	ds_load_b128 v[168:171], v2 offset:1216
	v_fmac_f64_e32 v[178:179], v[162:163], v[128:129]
	v_fma_f64 v[160:161], v[160:161], v[128:129], -v[130:131]
	scratch_load_b128 v[128:131], off, off offset:560
	v_add_f64_e32 v[172:173], v[172:173], v[174:175]
	v_fmac_f64_e32 v[176:177], v[6:7], v[132:133]
	v_add_f64_e32 v[162:163], v[182:183], v[180:181]
	v_fma_f64 v[180:181], v[4:5], v[132:133], -v[134:135]
	ds_load_b128 v[4:7], v2 offset:1232
	s_wait_loadcnt_dscnt 0xb01
	v_mul_f64_e32 v[174:175], v[168:169], v[138:139]
	v_mul_f64_e32 v[138:139], v[170:171], v[138:139]
	scratch_load_b128 v[132:135], off, off offset:576
	v_add_f64_e32 v[172:173], v[172:173], v[178:179]
	s_wait_loadcnt_dscnt 0xb00
	v_mul_f64_e32 v[178:179], v[4:5], v[142:143]
	v_add_f64_e32 v[182:183], v[162:163], v[160:161]
	v_mul_f64_e32 v[142:143], v[6:7], v[142:143]
	ds_load_b128 v[160:163], v2 offset:1248
	v_fmac_f64_e32 v[174:175], v[170:171], v[136:137]
	v_fma_f64 v[168:169], v[168:169], v[136:137], -v[138:139]
	scratch_load_b128 v[136:139], off, off offset:592
	v_add_f64_e32 v[172:173], v[172:173], v[176:177]
	v_fmac_f64_e32 v[178:179], v[6:7], v[140:141]
	v_add_f64_e32 v[170:171], v[182:183], v[180:181]
	;; [unrolled: 18-line block ×3, first 2 shown]
	v_fma_f64 v[180:181], v[4:5], v[152:153], -v[154:155]
	ds_load_b128 v[4:7], v2 offset:1296
	s_wait_loadcnt_dscnt 0xa01
	v_mul_f64_e32 v[178:179], v[168:169], v[166:167]
	v_mul_f64_e32 v[166:167], v[170:171], v[166:167]
	scratch_load_b128 v[152:155], off, off offset:640
	v_add_f64_e32 v[172:173], v[172:173], v[176:177]
	v_add_f64_e32 v[182:183], v[162:163], v[160:161]
	s_wait_loadcnt_dscnt 0xa00
	v_mul_f64_e32 v[176:177], v[4:5], v[150:151]
	v_mul_f64_e32 v[150:151], v[6:7], v[150:151]
	v_fmac_f64_e32 v[178:179], v[170:171], v[164:165]
	v_fma_f64 v[168:169], v[168:169], v[164:165], -v[166:167]
	ds_load_b128 v[160:163], v2 offset:1312
	scratch_load_b128 v[164:167], off, off offset:656
	v_add_f64_e32 v[172:173], v[172:173], v[174:175]
	v_add_f64_e32 v[170:171], v[182:183], v[180:181]
	v_fmac_f64_e32 v[176:177], v[6:7], v[148:149]
	v_fma_f64 v[180:181], v[4:5], v[148:149], -v[150:151]
	ds_load_b128 v[4:7], v2 offset:1328
	s_wait_loadcnt_dscnt 0xa01
	v_mul_f64_e32 v[174:175], v[160:161], v[10:11]
	v_mul_f64_e32 v[10:11], v[162:163], v[10:11]
	scratch_load_b128 v[148:151], off, off offset:672
	v_add_f64_e32 v[172:173], v[172:173], v[178:179]
	s_wait_loadcnt_dscnt 0xa00
	v_mul_f64_e32 v[178:179], v[4:5], v[14:15]
	v_add_f64_e32 v[182:183], v[170:171], v[168:169]
	v_mul_f64_e32 v[14:15], v[6:7], v[14:15]
	ds_load_b128 v[168:171], v2 offset:1344
	v_fmac_f64_e32 v[174:175], v[162:163], v[8:9]
	v_fma_f64 v[160:161], v[160:161], v[8:9], -v[10:11]
	scratch_load_b128 v[8:11], off, off offset:688
	v_add_f64_e32 v[172:173], v[172:173], v[176:177]
	v_fmac_f64_e32 v[178:179], v[6:7], v[12:13]
	v_add_f64_e32 v[162:163], v[182:183], v[180:181]
	v_fma_f64 v[180:181], v[4:5], v[12:13], -v[14:15]
	ds_load_b128 v[4:7], v2 offset:1360
	s_wait_loadcnt_dscnt 0xa01
	v_mul_f64_e32 v[176:177], v[168:169], v[18:19]
	v_mul_f64_e32 v[18:19], v[170:171], v[18:19]
	scratch_load_b128 v[12:15], off, off offset:704
	v_add_f64_e32 v[172:173], v[172:173], v[174:175]
	s_wait_loadcnt_dscnt 0xa00
	v_mul_f64_e32 v[174:175], v[4:5], v[22:23]
	v_add_f64_e32 v[182:183], v[162:163], v[160:161]
	v_mul_f64_e32 v[22:23], v[6:7], v[22:23]
	ds_load_b128 v[160:163], v2 offset:1376
	v_fmac_f64_e32 v[176:177], v[170:171], v[16:17]
	v_fma_f64 v[168:169], v[168:169], v[16:17], -v[18:19]
	scratch_load_b128 v[16:19], off, off offset:720
	v_add_f64_e32 v[172:173], v[172:173], v[178:179]
	v_fmac_f64_e32 v[174:175], v[6:7], v[20:21]
	v_add_f64_e32 v[170:171], v[182:183], v[180:181]
	v_fma_f64 v[180:181], v[4:5], v[20:21], -v[22:23]
	ds_load_b128 v[4:7], v2 offset:1392
	s_wait_loadcnt_dscnt 0xa01
	v_mul_f64_e32 v[178:179], v[160:161], v[130:131]
	v_mul_f64_e32 v[130:131], v[162:163], v[130:131]
	scratch_load_b128 v[20:23], off, off offset:736
	v_add_f64_e32 v[172:173], v[172:173], v[176:177]
	s_wait_loadcnt_dscnt 0xa00
	v_mul_f64_e32 v[176:177], v[4:5], v[134:135]
	v_add_f64_e32 v[182:183], v[170:171], v[168:169]
	v_mul_f64_e32 v[134:135], v[6:7], v[134:135]
	ds_load_b128 v[168:171], v2 offset:1408
	v_fmac_f64_e32 v[178:179], v[162:163], v[128:129]
	v_fma_f64 v[160:161], v[160:161], v[128:129], -v[130:131]
	scratch_load_b128 v[128:131], off, off offset:752
	v_add_f64_e32 v[172:173], v[172:173], v[174:175]
	v_fmac_f64_e32 v[176:177], v[6:7], v[132:133]
	v_add_f64_e32 v[162:163], v[182:183], v[180:181]
	v_fma_f64 v[180:181], v[4:5], v[132:133], -v[134:135]
	ds_load_b128 v[4:7], v2 offset:1424
	s_wait_loadcnt_dscnt 0xa01
	v_mul_f64_e32 v[174:175], v[168:169], v[138:139]
	v_mul_f64_e32 v[138:139], v[170:171], v[138:139]
	scratch_load_b128 v[132:135], off, off offset:768
	v_add_f64_e32 v[172:173], v[172:173], v[178:179]
	s_wait_loadcnt_dscnt 0xa00
	v_mul_f64_e32 v[178:179], v[4:5], v[142:143]
	v_add_f64_e32 v[182:183], v[162:163], v[160:161]
	v_mul_f64_e32 v[142:143], v[6:7], v[142:143]
	ds_load_b128 v[160:163], v2 offset:1440
	v_fmac_f64_e32 v[174:175], v[170:171], v[136:137]
	v_fma_f64 v[168:169], v[168:169], v[136:137], -v[138:139]
	scratch_load_b128 v[136:139], off, off offset:784
	v_add_f64_e32 v[172:173], v[172:173], v[176:177]
	v_fmac_f64_e32 v[178:179], v[6:7], v[140:141]
	v_add_f64_e32 v[170:171], v[182:183], v[180:181]
	v_fma_f64 v[180:181], v[4:5], v[140:141], -v[142:143]
	ds_load_b128 v[4:7], v2 offset:1456
	s_wait_loadcnt_dscnt 0xa01
	v_mul_f64_e32 v[176:177], v[160:161], v[146:147]
	v_mul_f64_e32 v[146:147], v[162:163], v[146:147]
	scratch_load_b128 v[140:143], off, off offset:800
	v_add_f64_e32 v[172:173], v[172:173], v[174:175]
	s_wait_loadcnt_dscnt 0xa00
	v_mul_f64_e32 v[174:175], v[4:5], v[154:155]
	v_add_f64_e32 v[182:183], v[170:171], v[168:169]
	v_mul_f64_e32 v[154:155], v[6:7], v[154:155]
	ds_load_b128 v[168:171], v2 offset:1472
	v_fmac_f64_e32 v[176:177], v[162:163], v[144:145]
	v_fma_f64 v[144:145], v[160:161], v[144:145], -v[146:147]
	s_wait_loadcnt_dscnt 0x900
	v_mul_f64_e32 v[162:163], v[168:169], v[166:167]
	v_mul_f64_e32 v[166:167], v[170:171], v[166:167]
	v_add_f64_e32 v[160:161], v[172:173], v[178:179]
	v_fmac_f64_e32 v[174:175], v[6:7], v[152:153]
	v_add_f64_e32 v[146:147], v[182:183], v[180:181]
	v_fma_f64 v[152:153], v[4:5], v[152:153], -v[154:155]
	v_fmac_f64_e32 v[162:163], v[170:171], v[164:165]
	v_fma_f64 v[164:165], v[168:169], v[164:165], -v[166:167]
	v_add_f64_e32 v[160:161], v[160:161], v[176:177]
	v_add_f64_e32 v[154:155], v[146:147], v[144:145]
	ds_load_b128 v[4:7], v2 offset:1488
	ds_load_b128 v[144:147], v2 offset:1504
	s_wait_loadcnt_dscnt 0x801
	v_mul_f64_e32 v[172:173], v[4:5], v[150:151]
	v_mul_f64_e32 v[150:151], v[6:7], v[150:151]
	v_add_f64_e32 v[152:153], v[154:155], v[152:153]
	v_add_f64_e32 v[154:155], v[160:161], v[174:175]
	s_wait_loadcnt_dscnt 0x700
	v_mul_f64_e32 v[160:161], v[144:145], v[10:11]
	v_mul_f64_e32 v[10:11], v[146:147], v[10:11]
	v_fmac_f64_e32 v[172:173], v[6:7], v[148:149]
	v_fma_f64 v[166:167], v[4:5], v[148:149], -v[150:151]
	ds_load_b128 v[4:7], v2 offset:1520
	ds_load_b128 v[148:151], v2 offset:1536
	v_add_f64_e32 v[152:153], v[152:153], v[164:165]
	v_add_f64_e32 v[154:155], v[154:155], v[162:163]
	v_fmac_f64_e32 v[160:161], v[146:147], v[8:9]
	v_fma_f64 v[8:9], v[144:145], v[8:9], -v[10:11]
	s_wait_loadcnt_dscnt 0x601
	v_mul_f64_e32 v[162:163], v[4:5], v[14:15]
	v_mul_f64_e32 v[14:15], v[6:7], v[14:15]
	s_wait_loadcnt_dscnt 0x500
	v_mul_f64_e32 v[146:147], v[148:149], v[18:19]
	v_mul_f64_e32 v[18:19], v[150:151], v[18:19]
	v_add_f64_e32 v[10:11], v[152:153], v[166:167]
	v_add_f64_e32 v[144:145], v[154:155], v[172:173]
	v_fmac_f64_e32 v[162:163], v[6:7], v[12:13]
	v_fma_f64 v[12:13], v[4:5], v[12:13], -v[14:15]
	v_fmac_f64_e32 v[146:147], v[150:151], v[16:17]
	v_fma_f64 v[16:17], v[148:149], v[16:17], -v[18:19]
	v_add_f64_e32 v[14:15], v[10:11], v[8:9]
	v_add_f64_e32 v[144:145], v[144:145], v[160:161]
	ds_load_b128 v[4:7], v2 offset:1552
	ds_load_b128 v[8:11], v2 offset:1568
	s_wait_loadcnt_dscnt 0x401
	v_mul_f64_e32 v[152:153], v[4:5], v[22:23]
	v_mul_f64_e32 v[22:23], v[6:7], v[22:23]
	s_wait_loadcnt_dscnt 0x300
	v_mul_f64_e32 v[18:19], v[8:9], v[130:131]
	v_mul_f64_e32 v[130:131], v[10:11], v[130:131]
	v_add_f64_e32 v[12:13], v[14:15], v[12:13]
	v_add_f64_e32 v[14:15], v[144:145], v[162:163]
	v_fmac_f64_e32 v[152:153], v[6:7], v[20:21]
	v_fma_f64 v[20:21], v[4:5], v[20:21], -v[22:23]
	v_fmac_f64_e32 v[18:19], v[10:11], v[128:129]
	v_fma_f64 v[8:9], v[8:9], v[128:129], -v[130:131]
	v_add_f64_e32 v[16:17], v[12:13], v[16:17]
	v_add_f64_e32 v[22:23], v[14:15], v[146:147]
	ds_load_b128 v[4:7], v2 offset:1584
	ds_load_b128 v[12:15], v2 offset:1600
	s_wait_loadcnt_dscnt 0x201
	v_mul_f64_e32 v[144:145], v[4:5], v[134:135]
	v_mul_f64_e32 v[134:135], v[6:7], v[134:135]
	v_add_f64_e32 v[10:11], v[16:17], v[20:21]
	v_add_f64_e32 v[16:17], v[22:23], v[152:153]
	s_wait_loadcnt_dscnt 0x100
	v_mul_f64_e32 v[20:21], v[12:13], v[138:139]
	v_mul_f64_e32 v[22:23], v[14:15], v[138:139]
	v_fmac_f64_e32 v[144:145], v[6:7], v[132:133]
	v_fma_f64 v[128:129], v[4:5], v[132:133], -v[134:135]
	ds_load_b128 v[4:7], v2 offset:1616
	v_add_f64_e32 v[8:9], v[10:11], v[8:9]
	v_add_f64_e32 v[10:11], v[16:17], v[18:19]
	v_fmac_f64_e32 v[20:21], v[14:15], v[136:137]
	v_fma_f64 v[12:13], v[12:13], v[136:137], -v[22:23]
	s_wait_loadcnt_dscnt 0x0
	v_mul_f64_e32 v[16:17], v[4:5], v[142:143]
	v_mul_f64_e32 v[18:19], v[6:7], v[142:143]
	v_add_f64_e32 v[8:9], v[8:9], v[128:129]
	v_add_f64_e32 v[10:11], v[10:11], v[144:145]
	s_delay_alu instid0(VALU_DEP_4) | instskip(NEXT) | instid1(VALU_DEP_4)
	v_fmac_f64_e32 v[16:17], v[6:7], v[140:141]
	v_fma_f64 v[4:5], v[4:5], v[140:141], -v[18:19]
	s_delay_alu instid0(VALU_DEP_4) | instskip(NEXT) | instid1(VALU_DEP_4)
	v_add_f64_e32 v[6:7], v[8:9], v[12:13]
	v_add_f64_e32 v[8:9], v[10:11], v[20:21]
	s_delay_alu instid0(VALU_DEP_2) | instskip(NEXT) | instid1(VALU_DEP_2)
	v_add_f64_e32 v[4:5], v[6:7], v[4:5]
	v_add_f64_e32 v[6:7], v[8:9], v[16:17]
	s_delay_alu instid0(VALU_DEP_2) | instskip(NEXT) | instid1(VALU_DEP_2)
	v_add_f64_e64 v[4:5], v[156:157], -v[4:5]
	v_add_f64_e64 v[6:7], v[158:159], -v[6:7]
	scratch_store_b128 off, v[4:7], off offset:272
	s_wait_xcnt 0x0
	v_cmpx_lt_u32_e32 16, v1
	s_cbranch_execz .LBB50_287
; %bb.286:
	scratch_load_b128 v[6:9], off, s46
	v_dual_mov_b32 v3, v2 :: v_dual_mov_b32 v4, v2
	v_mov_b32_e32 v5, v2
	scratch_store_b128 off, v[2:5], off offset:256
	s_wait_loadcnt 0x0
	ds_store_b128 v126, v[6:9]
.LBB50_287:
	s_wait_xcnt 0x0
	s_or_b32 exec_lo, exec_lo, s2
	s_wait_storecnt_dscnt 0x0
	s_barrier_signal -1
	s_barrier_wait -1
	s_clause 0x9
	scratch_load_b128 v[4:7], off, off offset:272
	scratch_load_b128 v[8:11], off, off offset:288
	;; [unrolled: 1-line block ×10, first 2 shown]
	ds_load_b128 v[148:151], v2 offset:1088
	ds_load_b128 v[156:159], v2 offset:1104
	s_clause 0x2
	scratch_load_b128 v[152:155], off, off offset:432
	scratch_load_b128 v[160:163], off, off offset:256
	;; [unrolled: 1-line block ×3, first 2 shown]
	s_mov_b32 s2, exec_lo
	s_wait_loadcnt_dscnt 0xc01
	v_mul_f64_e32 v[168:169], v[150:151], v[6:7]
	v_mul_f64_e32 v[172:173], v[148:149], v[6:7]
	s_wait_loadcnt_dscnt 0xb00
	v_mul_f64_e32 v[174:175], v[156:157], v[10:11]
	v_mul_f64_e32 v[10:11], v[158:159], v[10:11]
	s_delay_alu instid0(VALU_DEP_4) | instskip(NEXT) | instid1(VALU_DEP_4)
	v_fma_f64 v[176:177], v[148:149], v[4:5], -v[168:169]
	v_fmac_f64_e32 v[172:173], v[150:151], v[4:5]
	ds_load_b128 v[4:7], v2 offset:1120
	ds_load_b128 v[148:151], v2 offset:1136
	scratch_load_b128 v[168:171], off, off offset:464
	v_fmac_f64_e32 v[174:175], v[158:159], v[8:9]
	v_fma_f64 v[156:157], v[156:157], v[8:9], -v[10:11]
	scratch_load_b128 v[8:11], off, off offset:480
	s_wait_loadcnt_dscnt 0xc01
	v_mul_f64_e32 v[178:179], v[4:5], v[14:15]
	v_mul_f64_e32 v[14:15], v[6:7], v[14:15]
	v_add_f64_e32 v[158:159], 0, v[176:177]
	v_add_f64_e32 v[172:173], 0, v[172:173]
	s_wait_loadcnt_dscnt 0xb00
	v_mul_f64_e32 v[176:177], v[148:149], v[18:19]
	v_mul_f64_e32 v[18:19], v[150:151], v[18:19]
	v_fmac_f64_e32 v[178:179], v[6:7], v[12:13]
	v_fma_f64 v[180:181], v[4:5], v[12:13], -v[14:15]
	ds_load_b128 v[4:7], v2 offset:1152
	ds_load_b128 v[12:15], v2 offset:1168
	v_add_f64_e32 v[182:183], v[158:159], v[156:157]
	v_add_f64_e32 v[172:173], v[172:173], v[174:175]
	scratch_load_b128 v[156:159], off, off offset:496
	v_fmac_f64_e32 v[176:177], v[150:151], v[16:17]
	v_fma_f64 v[148:149], v[148:149], v[16:17], -v[18:19]
	scratch_load_b128 v[16:19], off, off offset:512
	s_wait_loadcnt_dscnt 0xc01
	v_mul_f64_e32 v[174:175], v[4:5], v[22:23]
	v_mul_f64_e32 v[22:23], v[6:7], v[22:23]
	v_add_f64_e32 v[150:151], v[182:183], v[180:181]
	v_add_f64_e32 v[172:173], v[172:173], v[178:179]
	s_wait_loadcnt_dscnt 0xb00
	v_mul_f64_e32 v[178:179], v[12:13], v[130:131]
	v_mul_f64_e32 v[130:131], v[14:15], v[130:131]
	v_fmac_f64_e32 v[174:175], v[6:7], v[20:21]
	v_fma_f64 v[180:181], v[4:5], v[20:21], -v[22:23]
	ds_load_b128 v[4:7], v2 offset:1184
	ds_load_b128 v[20:23], v2 offset:1200
	v_add_f64_e32 v[182:183], v[150:151], v[148:149]
	v_add_f64_e32 v[172:173], v[172:173], v[176:177]
	scratch_load_b128 v[148:151], off, off offset:528
	s_wait_loadcnt_dscnt 0xb01
	v_mul_f64_e32 v[176:177], v[4:5], v[134:135]
	v_mul_f64_e32 v[134:135], v[6:7], v[134:135]
	v_fmac_f64_e32 v[178:179], v[14:15], v[128:129]
	v_fma_f64 v[128:129], v[12:13], v[128:129], -v[130:131]
	scratch_load_b128 v[12:15], off, off offset:544
	v_add_f64_e32 v[130:131], v[182:183], v[180:181]
	v_add_f64_e32 v[172:173], v[172:173], v[174:175]
	s_wait_loadcnt_dscnt 0xb00
	v_mul_f64_e32 v[174:175], v[20:21], v[138:139]
	v_mul_f64_e32 v[138:139], v[22:23], v[138:139]
	v_fmac_f64_e32 v[176:177], v[6:7], v[132:133]
	v_fma_f64 v[180:181], v[4:5], v[132:133], -v[134:135]
	v_add_f64_e32 v[182:183], v[130:131], v[128:129]
	v_add_f64_e32 v[172:173], v[172:173], v[178:179]
	ds_load_b128 v[4:7], v2 offset:1216
	ds_load_b128 v[128:131], v2 offset:1232
	scratch_load_b128 v[132:135], off, off offset:560
	v_fmac_f64_e32 v[174:175], v[22:23], v[136:137]
	v_fma_f64 v[136:137], v[20:21], v[136:137], -v[138:139]
	scratch_load_b128 v[20:23], off, off offset:576
	s_wait_loadcnt_dscnt 0xc01
	v_mul_f64_e32 v[178:179], v[4:5], v[142:143]
	v_mul_f64_e32 v[142:143], v[6:7], v[142:143]
	v_add_f64_e32 v[138:139], v[182:183], v[180:181]
	v_add_f64_e32 v[172:173], v[172:173], v[176:177]
	s_wait_loadcnt_dscnt 0xb00
	v_mul_f64_e32 v[176:177], v[128:129], v[146:147]
	v_mul_f64_e32 v[146:147], v[130:131], v[146:147]
	v_fmac_f64_e32 v[178:179], v[6:7], v[140:141]
	v_fma_f64 v[180:181], v[4:5], v[140:141], -v[142:143]
	v_add_f64_e32 v[182:183], v[138:139], v[136:137]
	v_add_f64_e32 v[172:173], v[172:173], v[174:175]
	ds_load_b128 v[4:7], v2 offset:1248
	ds_load_b128 v[136:139], v2 offset:1264
	scratch_load_b128 v[140:143], off, off offset:592
	v_fmac_f64_e32 v[176:177], v[130:131], v[144:145]
	v_fma_f64 v[144:145], v[128:129], v[144:145], -v[146:147]
	scratch_load_b128 v[128:131], off, off offset:608
	s_wait_loadcnt_dscnt 0xc01
	v_mul_f64_e32 v[174:175], v[4:5], v[154:155]
	v_mul_f64_e32 v[154:155], v[6:7], v[154:155]
	;; [unrolled: 18-line block ×5, first 2 shown]
	v_add_f64_e32 v[166:167], v[182:183], v[180:181]
	v_add_f64_e32 v[172:173], v[172:173], v[178:179]
	s_wait_loadcnt_dscnt 0xa00
	v_mul_f64_e32 v[178:179], v[144:145], v[14:15]
	v_mul_f64_e32 v[14:15], v[146:147], v[14:15]
	v_fmac_f64_e32 v[174:175], v[6:7], v[148:149]
	v_fma_f64 v[180:181], v[4:5], v[148:149], -v[150:151]
	ds_load_b128 v[4:7], v2 offset:1376
	ds_load_b128 v[148:151], v2 offset:1392
	v_add_f64_e32 v[182:183], v[166:167], v[164:165]
	v_add_f64_e32 v[172:173], v[172:173], v[176:177]
	scratch_load_b128 v[164:167], off, off offset:720
	v_fmac_f64_e32 v[178:179], v[146:147], v[12:13]
	v_fma_f64 v[144:145], v[144:145], v[12:13], -v[14:15]
	scratch_load_b128 v[12:15], off, off offset:736
	s_wait_loadcnt_dscnt 0xb01
	v_mul_f64_e32 v[176:177], v[4:5], v[134:135]
	v_mul_f64_e32 v[134:135], v[6:7], v[134:135]
	v_add_f64_e32 v[146:147], v[182:183], v[180:181]
	v_add_f64_e32 v[172:173], v[172:173], v[174:175]
	s_wait_loadcnt_dscnt 0xa00
	v_mul_f64_e32 v[174:175], v[148:149], v[22:23]
	v_mul_f64_e32 v[22:23], v[150:151], v[22:23]
	v_fmac_f64_e32 v[176:177], v[6:7], v[132:133]
	v_fma_f64 v[180:181], v[4:5], v[132:133], -v[134:135]
	ds_load_b128 v[4:7], v2 offset:1408
	ds_load_b128 v[132:135], v2 offset:1424
	v_add_f64_e32 v[182:183], v[146:147], v[144:145]
	v_add_f64_e32 v[172:173], v[172:173], v[178:179]
	scratch_load_b128 v[144:147], off, off offset:752
	s_wait_loadcnt_dscnt 0xa01
	v_mul_f64_e32 v[178:179], v[4:5], v[142:143]
	v_mul_f64_e32 v[142:143], v[6:7], v[142:143]
	v_fmac_f64_e32 v[174:175], v[150:151], v[20:21]
	v_fma_f64 v[148:149], v[148:149], v[20:21], -v[22:23]
	scratch_load_b128 v[20:23], off, off offset:768
	v_add_f64_e32 v[150:151], v[182:183], v[180:181]
	v_add_f64_e32 v[172:173], v[172:173], v[176:177]
	s_wait_loadcnt_dscnt 0xa00
	v_mul_f64_e32 v[176:177], v[132:133], v[130:131]
	v_mul_f64_e32 v[130:131], v[134:135], v[130:131]
	v_fmac_f64_e32 v[178:179], v[6:7], v[140:141]
	v_fma_f64 v[180:181], v[4:5], v[140:141], -v[142:143]
	ds_load_b128 v[4:7], v2 offset:1440
	ds_load_b128 v[140:143], v2 offset:1456
	v_add_f64_e32 v[182:183], v[150:151], v[148:149]
	v_add_f64_e32 v[172:173], v[172:173], v[174:175]
	scratch_load_b128 v[148:151], off, off offset:784
	s_wait_loadcnt_dscnt 0xa01
	v_mul_f64_e32 v[174:175], v[4:5], v[154:155]
	v_mul_f64_e32 v[154:155], v[6:7], v[154:155]
	v_fmac_f64_e32 v[176:177], v[134:135], v[128:129]
	v_fma_f64 v[132:133], v[132:133], v[128:129], -v[130:131]
	scratch_load_b128 v[128:131], off, off offset:800
	v_add_f64_e32 v[134:135], v[182:183], v[180:181]
	v_add_f64_e32 v[172:173], v[172:173], v[178:179]
	s_wait_loadcnt_dscnt 0xa00
	v_mul_f64_e32 v[178:179], v[140:141], v[138:139]
	v_mul_f64_e32 v[138:139], v[142:143], v[138:139]
	v_fmac_f64_e32 v[174:175], v[6:7], v[152:153]
	v_fma_f64 v[152:153], v[4:5], v[152:153], -v[154:155]
	v_add_f64_e32 v[154:155], v[134:135], v[132:133]
	v_add_f64_e32 v[172:173], v[172:173], v[176:177]
	ds_load_b128 v[4:7], v2 offset:1472
	ds_load_b128 v[132:135], v2 offset:1488
	v_fmac_f64_e32 v[178:179], v[142:143], v[136:137]
	v_fma_f64 v[136:137], v[140:141], v[136:137], -v[138:139]
	s_wait_loadcnt_dscnt 0x901
	v_mul_f64_e32 v[176:177], v[4:5], v[170:171]
	v_mul_f64_e32 v[170:171], v[6:7], v[170:171]
	s_wait_loadcnt_dscnt 0x800
	v_mul_f64_e32 v[142:143], v[132:133], v[10:11]
	v_mul_f64_e32 v[10:11], v[134:135], v[10:11]
	v_add_f64_e32 v[138:139], v[154:155], v[152:153]
	v_add_f64_e32 v[140:141], v[172:173], v[174:175]
	v_fmac_f64_e32 v[176:177], v[6:7], v[168:169]
	v_fma_f64 v[152:153], v[4:5], v[168:169], -v[170:171]
	v_fmac_f64_e32 v[142:143], v[134:135], v[8:9]
	v_fma_f64 v[8:9], v[132:133], v[8:9], -v[10:11]
	v_add_f64_e32 v[154:155], v[138:139], v[136:137]
	v_add_f64_e32 v[140:141], v[140:141], v[178:179]
	ds_load_b128 v[4:7], v2 offset:1504
	ds_load_b128 v[136:139], v2 offset:1520
	s_wait_loadcnt_dscnt 0x701
	v_mul_f64_e32 v[168:169], v[4:5], v[158:159]
	v_mul_f64_e32 v[158:159], v[6:7], v[158:159]
	s_wait_loadcnt_dscnt 0x600
	v_mul_f64_e32 v[134:135], v[136:137], v[18:19]
	v_mul_f64_e32 v[18:19], v[138:139], v[18:19]
	v_add_f64_e32 v[10:11], v[154:155], v[152:153]
	v_add_f64_e32 v[132:133], v[140:141], v[176:177]
	v_fmac_f64_e32 v[168:169], v[6:7], v[156:157]
	v_fma_f64 v[140:141], v[4:5], v[156:157], -v[158:159]
	v_fmac_f64_e32 v[134:135], v[138:139], v[16:17]
	v_fma_f64 v[16:17], v[136:137], v[16:17], -v[18:19]
	v_add_f64_e32 v[152:153], v[10:11], v[8:9]
	v_add_f64_e32 v[132:133], v[132:133], v[142:143]
	ds_load_b128 v[4:7], v2 offset:1536
	ds_load_b128 v[8:11], v2 offset:1552
	;; [unrolled: 16-line block ×3, first 2 shown]
	s_wait_loadcnt_dscnt 0x301
	v_mul_f64_e32 v[134:135], v[4:5], v[146:147]
	v_mul_f64_e32 v[146:147], v[6:7], v[146:147]
	v_add_f64_e32 v[10:11], v[18:19], v[140:141]
	v_add_f64_e32 v[12:13], v[132:133], v[142:143]
	s_wait_loadcnt_dscnt 0x200
	v_mul_f64_e32 v[18:19], v[14:15], v[22:23]
	v_mul_f64_e32 v[22:23], v[16:17], v[22:23]
	v_fmac_f64_e32 v[134:135], v[6:7], v[144:145]
	v_fma_f64 v[132:133], v[4:5], v[144:145], -v[146:147]
	v_add_f64_e32 v[138:139], v[10:11], v[8:9]
	v_add_f64_e32 v[12:13], v[12:13], v[136:137]
	ds_load_b128 v[4:7], v2 offset:1600
	ds_load_b128 v[8:11], v2 offset:1616
	v_fmac_f64_e32 v[18:19], v[16:17], v[20:21]
	v_fma_f64 v[14:15], v[14:15], v[20:21], -v[22:23]
	s_wait_loadcnt_dscnt 0x101
	v_mul_f64_e32 v[2:3], v[4:5], v[150:151]
	v_mul_f64_e32 v[136:137], v[6:7], v[150:151]
	s_wait_loadcnt_dscnt 0x0
	v_mul_f64_e32 v[20:21], v[8:9], v[130:131]
	v_mul_f64_e32 v[22:23], v[10:11], v[130:131]
	v_add_f64_e32 v[16:17], v[138:139], v[132:133]
	v_add_f64_e32 v[12:13], v[12:13], v[134:135]
	v_fmac_f64_e32 v[2:3], v[6:7], v[148:149]
	v_fma_f64 v[4:5], v[4:5], v[148:149], -v[136:137]
	v_fmac_f64_e32 v[20:21], v[10:11], v[128:129]
	v_fma_f64 v[8:9], v[8:9], v[128:129], -v[22:23]
	v_add_f64_e32 v[6:7], v[16:17], v[14:15]
	v_add_f64_e32 v[12:13], v[12:13], v[18:19]
	s_delay_alu instid0(VALU_DEP_2) | instskip(NEXT) | instid1(VALU_DEP_2)
	v_add_f64_e32 v[4:5], v[6:7], v[4:5]
	v_add_f64_e32 v[2:3], v[12:13], v[2:3]
	s_delay_alu instid0(VALU_DEP_2) | instskip(NEXT) | instid1(VALU_DEP_2)
	;; [unrolled: 3-line block ×3, first 2 shown]
	v_add_f64_e64 v[2:3], v[160:161], -v[4:5]
	v_add_f64_e64 v[4:5], v[162:163], -v[6:7]
	scratch_store_b128 off, v[2:5], off offset:256
	s_wait_xcnt 0x0
	v_cmpx_lt_u32_e32 15, v1
	s_cbranch_execz .LBB50_289
; %bb.288:
	scratch_load_b128 v[2:5], off, s57
	v_mov_b32_e32 v6, 0
	s_delay_alu instid0(VALU_DEP_1)
	v_dual_mov_b32 v7, v6 :: v_dual_mov_b32 v8, v6
	v_mov_b32_e32 v9, v6
	scratch_store_b128 off, v[6:9], off offset:240
	s_wait_loadcnt 0x0
	ds_store_b128 v126, v[2:5]
.LBB50_289:
	s_wait_xcnt 0x0
	s_or_b32 exec_lo, exec_lo, s2
	s_wait_storecnt_dscnt 0x0
	s_barrier_signal -1
	s_barrier_wait -1
	s_clause 0x9
	scratch_load_b128 v[4:7], off, off offset:256
	scratch_load_b128 v[8:11], off, off offset:272
	;; [unrolled: 1-line block ×10, first 2 shown]
	v_mov_b32_e32 v2, 0
	s_mov_b32 s2, exec_lo
	ds_load_b128 v[148:151], v2 offset:1072
	s_clause 0x2
	scratch_load_b128 v[152:155], off, off offset:416
	scratch_load_b128 v[156:159], off, off offset:240
	;; [unrolled: 1-line block ×3, first 2 shown]
	s_wait_loadcnt_dscnt 0xc00
	v_mul_f64_e32 v[168:169], v[150:151], v[6:7]
	v_mul_f64_e32 v[172:173], v[148:149], v[6:7]
	ds_load_b128 v[160:163], v2 offset:1088
	v_fma_f64 v[176:177], v[148:149], v[4:5], -v[168:169]
	v_fmac_f64_e32 v[172:173], v[150:151], v[4:5]
	ds_load_b128 v[4:7], v2 offset:1104
	s_wait_loadcnt_dscnt 0xb01
	v_mul_f64_e32 v[174:175], v[160:161], v[10:11]
	v_mul_f64_e32 v[10:11], v[162:163], v[10:11]
	scratch_load_b128 v[148:151], off, off offset:448
	ds_load_b128 v[168:171], v2 offset:1120
	s_wait_loadcnt_dscnt 0xb01
	v_mul_f64_e32 v[178:179], v[4:5], v[14:15]
	v_mul_f64_e32 v[14:15], v[6:7], v[14:15]
	v_add_f64_e32 v[172:173], 0, v[172:173]
	v_fmac_f64_e32 v[174:175], v[162:163], v[8:9]
	v_fma_f64 v[160:161], v[160:161], v[8:9], -v[10:11]
	v_add_f64_e32 v[162:163], 0, v[176:177]
	scratch_load_b128 v[8:11], off, off offset:464
	v_fmac_f64_e32 v[178:179], v[6:7], v[12:13]
	v_fma_f64 v[180:181], v[4:5], v[12:13], -v[14:15]
	ds_load_b128 v[4:7], v2 offset:1136
	s_wait_loadcnt_dscnt 0xb01
	v_mul_f64_e32 v[176:177], v[168:169], v[18:19]
	v_mul_f64_e32 v[18:19], v[170:171], v[18:19]
	scratch_load_b128 v[12:15], off, off offset:480
	v_add_f64_e32 v[172:173], v[172:173], v[174:175]
	v_add_f64_e32 v[182:183], v[162:163], v[160:161]
	ds_load_b128 v[160:163], v2 offset:1152
	s_wait_loadcnt_dscnt 0xb01
	v_mul_f64_e32 v[174:175], v[4:5], v[22:23]
	v_mul_f64_e32 v[22:23], v[6:7], v[22:23]
	v_fmac_f64_e32 v[176:177], v[170:171], v[16:17]
	v_fma_f64 v[168:169], v[168:169], v[16:17], -v[18:19]
	scratch_load_b128 v[16:19], off, off offset:496
	v_add_f64_e32 v[172:173], v[172:173], v[178:179]
	v_add_f64_e32 v[170:171], v[182:183], v[180:181]
	v_fmac_f64_e32 v[174:175], v[6:7], v[20:21]
	v_fma_f64 v[180:181], v[4:5], v[20:21], -v[22:23]
	ds_load_b128 v[4:7], v2 offset:1168
	s_wait_loadcnt_dscnt 0xb01
	v_mul_f64_e32 v[178:179], v[160:161], v[130:131]
	v_mul_f64_e32 v[130:131], v[162:163], v[130:131]
	scratch_load_b128 v[20:23], off, off offset:512
	v_add_f64_e32 v[172:173], v[172:173], v[176:177]
	s_wait_loadcnt_dscnt 0xb00
	v_mul_f64_e32 v[176:177], v[4:5], v[134:135]
	v_add_f64_e32 v[182:183], v[170:171], v[168:169]
	v_mul_f64_e32 v[134:135], v[6:7], v[134:135]
	ds_load_b128 v[168:171], v2 offset:1184
	v_fmac_f64_e32 v[178:179], v[162:163], v[128:129]
	v_fma_f64 v[160:161], v[160:161], v[128:129], -v[130:131]
	scratch_load_b128 v[128:131], off, off offset:528
	v_add_f64_e32 v[172:173], v[172:173], v[174:175]
	v_fmac_f64_e32 v[176:177], v[6:7], v[132:133]
	v_add_f64_e32 v[162:163], v[182:183], v[180:181]
	v_fma_f64 v[180:181], v[4:5], v[132:133], -v[134:135]
	ds_load_b128 v[4:7], v2 offset:1200
	s_wait_loadcnt_dscnt 0xb01
	v_mul_f64_e32 v[174:175], v[168:169], v[138:139]
	v_mul_f64_e32 v[138:139], v[170:171], v[138:139]
	scratch_load_b128 v[132:135], off, off offset:544
	v_add_f64_e32 v[172:173], v[172:173], v[178:179]
	s_wait_loadcnt_dscnt 0xb00
	v_mul_f64_e32 v[178:179], v[4:5], v[142:143]
	v_add_f64_e32 v[182:183], v[162:163], v[160:161]
	v_mul_f64_e32 v[142:143], v[6:7], v[142:143]
	ds_load_b128 v[160:163], v2 offset:1216
	v_fmac_f64_e32 v[174:175], v[170:171], v[136:137]
	v_fma_f64 v[168:169], v[168:169], v[136:137], -v[138:139]
	scratch_load_b128 v[136:139], off, off offset:560
	v_add_f64_e32 v[172:173], v[172:173], v[176:177]
	v_fmac_f64_e32 v[178:179], v[6:7], v[140:141]
	v_add_f64_e32 v[170:171], v[182:183], v[180:181]
	;; [unrolled: 18-line block ×3, first 2 shown]
	v_fma_f64 v[180:181], v[4:5], v[152:153], -v[154:155]
	ds_load_b128 v[4:7], v2 offset:1264
	s_wait_loadcnt_dscnt 0xa01
	v_mul_f64_e32 v[178:179], v[168:169], v[166:167]
	v_mul_f64_e32 v[166:167], v[170:171], v[166:167]
	scratch_load_b128 v[152:155], off, off offset:608
	v_add_f64_e32 v[172:173], v[172:173], v[176:177]
	v_add_f64_e32 v[182:183], v[162:163], v[160:161]
	s_wait_loadcnt_dscnt 0xa00
	v_mul_f64_e32 v[176:177], v[4:5], v[150:151]
	v_mul_f64_e32 v[150:151], v[6:7], v[150:151]
	v_fmac_f64_e32 v[178:179], v[170:171], v[164:165]
	v_fma_f64 v[168:169], v[168:169], v[164:165], -v[166:167]
	ds_load_b128 v[160:163], v2 offset:1280
	scratch_load_b128 v[164:167], off, off offset:624
	v_add_f64_e32 v[172:173], v[172:173], v[174:175]
	v_add_f64_e32 v[170:171], v[182:183], v[180:181]
	v_fmac_f64_e32 v[176:177], v[6:7], v[148:149]
	v_fma_f64 v[180:181], v[4:5], v[148:149], -v[150:151]
	ds_load_b128 v[4:7], v2 offset:1296
	s_wait_loadcnt_dscnt 0xa01
	v_mul_f64_e32 v[174:175], v[160:161], v[10:11]
	v_mul_f64_e32 v[10:11], v[162:163], v[10:11]
	scratch_load_b128 v[148:151], off, off offset:640
	v_add_f64_e32 v[172:173], v[172:173], v[178:179]
	s_wait_loadcnt_dscnt 0xa00
	v_mul_f64_e32 v[178:179], v[4:5], v[14:15]
	v_add_f64_e32 v[182:183], v[170:171], v[168:169]
	v_mul_f64_e32 v[14:15], v[6:7], v[14:15]
	ds_load_b128 v[168:171], v2 offset:1312
	v_fmac_f64_e32 v[174:175], v[162:163], v[8:9]
	v_fma_f64 v[160:161], v[160:161], v[8:9], -v[10:11]
	scratch_load_b128 v[8:11], off, off offset:656
	v_add_f64_e32 v[172:173], v[172:173], v[176:177]
	v_fmac_f64_e32 v[178:179], v[6:7], v[12:13]
	v_add_f64_e32 v[162:163], v[182:183], v[180:181]
	v_fma_f64 v[180:181], v[4:5], v[12:13], -v[14:15]
	ds_load_b128 v[4:7], v2 offset:1328
	s_wait_loadcnt_dscnt 0xa01
	v_mul_f64_e32 v[176:177], v[168:169], v[18:19]
	v_mul_f64_e32 v[18:19], v[170:171], v[18:19]
	scratch_load_b128 v[12:15], off, off offset:672
	v_add_f64_e32 v[172:173], v[172:173], v[174:175]
	s_wait_loadcnt_dscnt 0xa00
	v_mul_f64_e32 v[174:175], v[4:5], v[22:23]
	v_add_f64_e32 v[182:183], v[162:163], v[160:161]
	v_mul_f64_e32 v[22:23], v[6:7], v[22:23]
	ds_load_b128 v[160:163], v2 offset:1344
	v_fmac_f64_e32 v[176:177], v[170:171], v[16:17]
	v_fma_f64 v[168:169], v[168:169], v[16:17], -v[18:19]
	scratch_load_b128 v[16:19], off, off offset:688
	v_add_f64_e32 v[172:173], v[172:173], v[178:179]
	v_fmac_f64_e32 v[174:175], v[6:7], v[20:21]
	v_add_f64_e32 v[170:171], v[182:183], v[180:181]
	;; [unrolled: 18-line block ×5, first 2 shown]
	v_fma_f64 v[180:181], v[4:5], v[152:153], -v[154:155]
	ds_load_b128 v[4:7], v2 offset:1456
	s_wait_loadcnt_dscnt 0xa01
	v_mul_f64_e32 v[178:179], v[168:169], v[166:167]
	v_mul_f64_e32 v[166:167], v[170:171], v[166:167]
	scratch_load_b128 v[152:155], off, off offset:800
	v_add_f64_e32 v[172:173], v[172:173], v[176:177]
	s_wait_loadcnt_dscnt 0xa00
	v_mul_f64_e32 v[176:177], v[4:5], v[150:151]
	v_add_f64_e32 v[182:183], v[162:163], v[160:161]
	v_mul_f64_e32 v[150:151], v[6:7], v[150:151]
	ds_load_b128 v[160:163], v2 offset:1472
	v_fmac_f64_e32 v[178:179], v[170:171], v[164:165]
	v_fma_f64 v[164:165], v[168:169], v[164:165], -v[166:167]
	s_wait_loadcnt_dscnt 0x900
	v_mul_f64_e32 v[170:171], v[160:161], v[10:11]
	v_mul_f64_e32 v[10:11], v[162:163], v[10:11]
	v_add_f64_e32 v[168:169], v[172:173], v[174:175]
	v_fmac_f64_e32 v[176:177], v[6:7], v[148:149]
	v_add_f64_e32 v[166:167], v[182:183], v[180:181]
	v_fma_f64 v[172:173], v[4:5], v[148:149], -v[150:151]
	ds_load_b128 v[4:7], v2 offset:1488
	ds_load_b128 v[148:151], v2 offset:1504
	v_fmac_f64_e32 v[170:171], v[162:163], v[8:9]
	v_fma_f64 v[8:9], v[160:161], v[8:9], -v[10:11]
	v_add_f64_e32 v[164:165], v[166:167], v[164:165]
	v_add_f64_e32 v[166:167], v[168:169], v[178:179]
	s_wait_loadcnt_dscnt 0x801
	v_mul_f64_e32 v[168:169], v[4:5], v[14:15]
	v_mul_f64_e32 v[14:15], v[6:7], v[14:15]
	s_wait_loadcnt_dscnt 0x700
	v_mul_f64_e32 v[162:163], v[148:149], v[18:19]
	v_mul_f64_e32 v[18:19], v[150:151], v[18:19]
	v_add_f64_e32 v[10:11], v[164:165], v[172:173]
	v_add_f64_e32 v[160:161], v[166:167], v[176:177]
	v_fmac_f64_e32 v[168:169], v[6:7], v[12:13]
	v_fma_f64 v[12:13], v[4:5], v[12:13], -v[14:15]
	v_fmac_f64_e32 v[162:163], v[150:151], v[16:17]
	v_fma_f64 v[16:17], v[148:149], v[16:17], -v[18:19]
	v_add_f64_e32 v[14:15], v[10:11], v[8:9]
	v_add_f64_e32 v[160:161], v[160:161], v[170:171]
	ds_load_b128 v[4:7], v2 offset:1520
	ds_load_b128 v[8:11], v2 offset:1536
	s_wait_loadcnt_dscnt 0x601
	v_mul_f64_e32 v[164:165], v[4:5], v[22:23]
	v_mul_f64_e32 v[22:23], v[6:7], v[22:23]
	s_wait_loadcnt_dscnt 0x500
	v_mul_f64_e32 v[18:19], v[8:9], v[130:131]
	v_mul_f64_e32 v[130:131], v[10:11], v[130:131]
	v_add_f64_e32 v[12:13], v[14:15], v[12:13]
	v_add_f64_e32 v[14:15], v[160:161], v[168:169]
	v_fmac_f64_e32 v[164:165], v[6:7], v[20:21]
	v_fma_f64 v[20:21], v[4:5], v[20:21], -v[22:23]
	v_fmac_f64_e32 v[18:19], v[10:11], v[128:129]
	v_fma_f64 v[8:9], v[8:9], v[128:129], -v[130:131]
	v_add_f64_e32 v[16:17], v[12:13], v[16:17]
	v_add_f64_e32 v[22:23], v[14:15], v[162:163]
	ds_load_b128 v[4:7], v2 offset:1552
	ds_load_b128 v[12:15], v2 offset:1568
	s_wait_loadcnt_dscnt 0x401
	v_mul_f64_e32 v[148:149], v[4:5], v[134:135]
	v_mul_f64_e32 v[134:135], v[6:7], v[134:135]
	v_add_f64_e32 v[10:11], v[16:17], v[20:21]
	v_add_f64_e32 v[16:17], v[22:23], v[164:165]
	s_wait_loadcnt_dscnt 0x300
	v_mul_f64_e32 v[20:21], v[12:13], v[138:139]
	v_mul_f64_e32 v[22:23], v[14:15], v[138:139]
	v_fmac_f64_e32 v[148:149], v[6:7], v[132:133]
	v_fma_f64 v[128:129], v[4:5], v[132:133], -v[134:135]
	v_add_f64_e32 v[130:131], v[10:11], v[8:9]
	v_add_f64_e32 v[16:17], v[16:17], v[18:19]
	ds_load_b128 v[4:7], v2 offset:1584
	ds_load_b128 v[8:11], v2 offset:1600
	v_fmac_f64_e32 v[20:21], v[14:15], v[136:137]
	v_fma_f64 v[12:13], v[12:13], v[136:137], -v[22:23]
	s_wait_loadcnt_dscnt 0x201
	v_mul_f64_e32 v[18:19], v[4:5], v[142:143]
	v_mul_f64_e32 v[132:133], v[6:7], v[142:143]
	s_wait_loadcnt_dscnt 0x100
	v_mul_f64_e32 v[22:23], v[8:9], v[146:147]
	v_add_f64_e32 v[14:15], v[130:131], v[128:129]
	v_add_f64_e32 v[16:17], v[16:17], v[148:149]
	v_mul_f64_e32 v[128:129], v[10:11], v[146:147]
	v_fmac_f64_e32 v[18:19], v[6:7], v[140:141]
	v_fma_f64 v[130:131], v[4:5], v[140:141], -v[132:133]
	ds_load_b128 v[4:7], v2 offset:1616
	v_fmac_f64_e32 v[22:23], v[10:11], v[144:145]
	v_add_f64_e32 v[12:13], v[14:15], v[12:13]
	v_add_f64_e32 v[14:15], v[16:17], v[20:21]
	v_fma_f64 v[8:9], v[8:9], v[144:145], -v[128:129]
	s_wait_loadcnt_dscnt 0x0
	v_mul_f64_e32 v[16:17], v[4:5], v[154:155]
	v_mul_f64_e32 v[20:21], v[6:7], v[154:155]
	v_add_f64_e32 v[10:11], v[12:13], v[130:131]
	v_add_f64_e32 v[12:13], v[14:15], v[18:19]
	s_delay_alu instid0(VALU_DEP_4) | instskip(NEXT) | instid1(VALU_DEP_4)
	v_fmac_f64_e32 v[16:17], v[6:7], v[152:153]
	v_fma_f64 v[4:5], v[4:5], v[152:153], -v[20:21]
	s_delay_alu instid0(VALU_DEP_4) | instskip(NEXT) | instid1(VALU_DEP_4)
	v_add_f64_e32 v[6:7], v[10:11], v[8:9]
	v_add_f64_e32 v[8:9], v[12:13], v[22:23]
	s_delay_alu instid0(VALU_DEP_2) | instskip(NEXT) | instid1(VALU_DEP_2)
	v_add_f64_e32 v[4:5], v[6:7], v[4:5]
	v_add_f64_e32 v[6:7], v[8:9], v[16:17]
	s_delay_alu instid0(VALU_DEP_2) | instskip(NEXT) | instid1(VALU_DEP_2)
	v_add_f64_e64 v[4:5], v[156:157], -v[4:5]
	v_add_f64_e64 v[6:7], v[158:159], -v[6:7]
	scratch_store_b128 off, v[4:7], off offset:240
	s_wait_xcnt 0x0
	v_cmpx_lt_u32_e32 14, v1
	s_cbranch_execz .LBB50_291
; %bb.290:
	scratch_load_b128 v[6:9], off, s62
	v_dual_mov_b32 v3, v2 :: v_dual_mov_b32 v4, v2
	v_mov_b32_e32 v5, v2
	scratch_store_b128 off, v[2:5], off offset:224
	s_wait_loadcnt 0x0
	ds_store_b128 v126, v[6:9]
.LBB50_291:
	s_wait_xcnt 0x0
	s_or_b32 exec_lo, exec_lo, s2
	s_wait_storecnt_dscnt 0x0
	s_barrier_signal -1
	s_barrier_wait -1
	s_clause 0x9
	scratch_load_b128 v[4:7], off, off offset:240
	scratch_load_b128 v[8:11], off, off offset:256
	;; [unrolled: 1-line block ×10, first 2 shown]
	ds_load_b128 v[148:151], v2 offset:1056
	ds_load_b128 v[156:159], v2 offset:1072
	s_clause 0x2
	scratch_load_b128 v[152:155], off, off offset:400
	scratch_load_b128 v[160:163], off, off offset:224
	;; [unrolled: 1-line block ×3, first 2 shown]
	s_mov_b32 s2, exec_lo
	s_wait_loadcnt_dscnt 0xc01
	v_mul_f64_e32 v[168:169], v[150:151], v[6:7]
	v_mul_f64_e32 v[172:173], v[148:149], v[6:7]
	s_wait_loadcnt_dscnt 0xb00
	v_mul_f64_e32 v[174:175], v[156:157], v[10:11]
	v_mul_f64_e32 v[10:11], v[158:159], v[10:11]
	s_delay_alu instid0(VALU_DEP_4) | instskip(NEXT) | instid1(VALU_DEP_4)
	v_fma_f64 v[176:177], v[148:149], v[4:5], -v[168:169]
	v_fmac_f64_e32 v[172:173], v[150:151], v[4:5]
	ds_load_b128 v[4:7], v2 offset:1088
	ds_load_b128 v[148:151], v2 offset:1104
	scratch_load_b128 v[168:171], off, off offset:432
	v_fmac_f64_e32 v[174:175], v[158:159], v[8:9]
	v_fma_f64 v[156:157], v[156:157], v[8:9], -v[10:11]
	scratch_load_b128 v[8:11], off, off offset:448
	s_wait_loadcnt_dscnt 0xc01
	v_mul_f64_e32 v[178:179], v[4:5], v[14:15]
	v_mul_f64_e32 v[14:15], v[6:7], v[14:15]
	v_add_f64_e32 v[158:159], 0, v[176:177]
	v_add_f64_e32 v[172:173], 0, v[172:173]
	s_wait_loadcnt_dscnt 0xb00
	v_mul_f64_e32 v[176:177], v[148:149], v[18:19]
	v_mul_f64_e32 v[18:19], v[150:151], v[18:19]
	v_fmac_f64_e32 v[178:179], v[6:7], v[12:13]
	v_fma_f64 v[180:181], v[4:5], v[12:13], -v[14:15]
	ds_load_b128 v[4:7], v2 offset:1120
	ds_load_b128 v[12:15], v2 offset:1136
	v_add_f64_e32 v[182:183], v[158:159], v[156:157]
	v_add_f64_e32 v[172:173], v[172:173], v[174:175]
	scratch_load_b128 v[156:159], off, off offset:464
	v_fmac_f64_e32 v[176:177], v[150:151], v[16:17]
	v_fma_f64 v[148:149], v[148:149], v[16:17], -v[18:19]
	scratch_load_b128 v[16:19], off, off offset:480
	s_wait_loadcnt_dscnt 0xc01
	v_mul_f64_e32 v[174:175], v[4:5], v[22:23]
	v_mul_f64_e32 v[22:23], v[6:7], v[22:23]
	v_add_f64_e32 v[150:151], v[182:183], v[180:181]
	v_add_f64_e32 v[172:173], v[172:173], v[178:179]
	s_wait_loadcnt_dscnt 0xb00
	v_mul_f64_e32 v[178:179], v[12:13], v[130:131]
	v_mul_f64_e32 v[130:131], v[14:15], v[130:131]
	v_fmac_f64_e32 v[174:175], v[6:7], v[20:21]
	v_fma_f64 v[180:181], v[4:5], v[20:21], -v[22:23]
	ds_load_b128 v[4:7], v2 offset:1152
	ds_load_b128 v[20:23], v2 offset:1168
	v_add_f64_e32 v[182:183], v[150:151], v[148:149]
	v_add_f64_e32 v[172:173], v[172:173], v[176:177]
	scratch_load_b128 v[148:151], off, off offset:496
	s_wait_loadcnt_dscnt 0xb01
	v_mul_f64_e32 v[176:177], v[4:5], v[134:135]
	v_mul_f64_e32 v[134:135], v[6:7], v[134:135]
	v_fmac_f64_e32 v[178:179], v[14:15], v[128:129]
	v_fma_f64 v[128:129], v[12:13], v[128:129], -v[130:131]
	scratch_load_b128 v[12:15], off, off offset:512
	v_add_f64_e32 v[130:131], v[182:183], v[180:181]
	v_add_f64_e32 v[172:173], v[172:173], v[174:175]
	s_wait_loadcnt_dscnt 0xb00
	v_mul_f64_e32 v[174:175], v[20:21], v[138:139]
	v_mul_f64_e32 v[138:139], v[22:23], v[138:139]
	v_fmac_f64_e32 v[176:177], v[6:7], v[132:133]
	v_fma_f64 v[180:181], v[4:5], v[132:133], -v[134:135]
	v_add_f64_e32 v[182:183], v[130:131], v[128:129]
	v_add_f64_e32 v[172:173], v[172:173], v[178:179]
	ds_load_b128 v[4:7], v2 offset:1184
	ds_load_b128 v[128:131], v2 offset:1200
	scratch_load_b128 v[132:135], off, off offset:528
	v_fmac_f64_e32 v[174:175], v[22:23], v[136:137]
	v_fma_f64 v[136:137], v[20:21], v[136:137], -v[138:139]
	scratch_load_b128 v[20:23], off, off offset:544
	s_wait_loadcnt_dscnt 0xc01
	v_mul_f64_e32 v[178:179], v[4:5], v[142:143]
	v_mul_f64_e32 v[142:143], v[6:7], v[142:143]
	v_add_f64_e32 v[138:139], v[182:183], v[180:181]
	v_add_f64_e32 v[172:173], v[172:173], v[176:177]
	s_wait_loadcnt_dscnt 0xb00
	v_mul_f64_e32 v[176:177], v[128:129], v[146:147]
	v_mul_f64_e32 v[146:147], v[130:131], v[146:147]
	v_fmac_f64_e32 v[178:179], v[6:7], v[140:141]
	v_fma_f64 v[180:181], v[4:5], v[140:141], -v[142:143]
	v_add_f64_e32 v[182:183], v[138:139], v[136:137]
	v_add_f64_e32 v[172:173], v[172:173], v[174:175]
	ds_load_b128 v[4:7], v2 offset:1216
	ds_load_b128 v[136:139], v2 offset:1232
	scratch_load_b128 v[140:143], off, off offset:560
	v_fmac_f64_e32 v[176:177], v[130:131], v[144:145]
	v_fma_f64 v[144:145], v[128:129], v[144:145], -v[146:147]
	scratch_load_b128 v[128:131], off, off offset:576
	s_wait_loadcnt_dscnt 0xc01
	v_mul_f64_e32 v[174:175], v[4:5], v[154:155]
	v_mul_f64_e32 v[154:155], v[6:7], v[154:155]
	;; [unrolled: 18-line block ×5, first 2 shown]
	v_add_f64_e32 v[166:167], v[182:183], v[180:181]
	v_add_f64_e32 v[172:173], v[172:173], v[178:179]
	s_wait_loadcnt_dscnt 0xa00
	v_mul_f64_e32 v[178:179], v[144:145], v[14:15]
	v_mul_f64_e32 v[14:15], v[146:147], v[14:15]
	v_fmac_f64_e32 v[174:175], v[6:7], v[148:149]
	v_fma_f64 v[180:181], v[4:5], v[148:149], -v[150:151]
	ds_load_b128 v[4:7], v2 offset:1344
	ds_load_b128 v[148:151], v2 offset:1360
	v_add_f64_e32 v[182:183], v[166:167], v[164:165]
	v_add_f64_e32 v[172:173], v[172:173], v[176:177]
	scratch_load_b128 v[164:167], off, off offset:688
	v_fmac_f64_e32 v[178:179], v[146:147], v[12:13]
	v_fma_f64 v[144:145], v[144:145], v[12:13], -v[14:15]
	scratch_load_b128 v[12:15], off, off offset:704
	s_wait_loadcnt_dscnt 0xb01
	v_mul_f64_e32 v[176:177], v[4:5], v[134:135]
	v_mul_f64_e32 v[134:135], v[6:7], v[134:135]
	v_add_f64_e32 v[146:147], v[182:183], v[180:181]
	v_add_f64_e32 v[172:173], v[172:173], v[174:175]
	s_wait_loadcnt_dscnt 0xa00
	v_mul_f64_e32 v[174:175], v[148:149], v[22:23]
	v_mul_f64_e32 v[22:23], v[150:151], v[22:23]
	v_fmac_f64_e32 v[176:177], v[6:7], v[132:133]
	v_fma_f64 v[180:181], v[4:5], v[132:133], -v[134:135]
	ds_load_b128 v[4:7], v2 offset:1376
	ds_load_b128 v[132:135], v2 offset:1392
	v_add_f64_e32 v[182:183], v[146:147], v[144:145]
	v_add_f64_e32 v[172:173], v[172:173], v[178:179]
	scratch_load_b128 v[144:147], off, off offset:720
	s_wait_loadcnt_dscnt 0xa01
	v_mul_f64_e32 v[178:179], v[4:5], v[142:143]
	v_mul_f64_e32 v[142:143], v[6:7], v[142:143]
	v_fmac_f64_e32 v[174:175], v[150:151], v[20:21]
	v_fma_f64 v[148:149], v[148:149], v[20:21], -v[22:23]
	scratch_load_b128 v[20:23], off, off offset:736
	v_add_f64_e32 v[150:151], v[182:183], v[180:181]
	v_add_f64_e32 v[172:173], v[172:173], v[176:177]
	s_wait_loadcnt_dscnt 0xa00
	v_mul_f64_e32 v[176:177], v[132:133], v[130:131]
	v_mul_f64_e32 v[130:131], v[134:135], v[130:131]
	v_fmac_f64_e32 v[178:179], v[6:7], v[140:141]
	v_fma_f64 v[180:181], v[4:5], v[140:141], -v[142:143]
	ds_load_b128 v[4:7], v2 offset:1408
	ds_load_b128 v[140:143], v2 offset:1424
	v_add_f64_e32 v[182:183], v[150:151], v[148:149]
	v_add_f64_e32 v[172:173], v[172:173], v[174:175]
	scratch_load_b128 v[148:151], off, off offset:752
	s_wait_loadcnt_dscnt 0xa01
	v_mul_f64_e32 v[174:175], v[4:5], v[154:155]
	v_mul_f64_e32 v[154:155], v[6:7], v[154:155]
	v_fmac_f64_e32 v[176:177], v[134:135], v[128:129]
	v_fma_f64 v[132:133], v[132:133], v[128:129], -v[130:131]
	scratch_load_b128 v[128:131], off, off offset:768
	v_add_f64_e32 v[134:135], v[182:183], v[180:181]
	v_add_f64_e32 v[172:173], v[172:173], v[178:179]
	s_wait_loadcnt_dscnt 0xa00
	v_mul_f64_e32 v[178:179], v[140:141], v[138:139]
	v_mul_f64_e32 v[138:139], v[142:143], v[138:139]
	v_fmac_f64_e32 v[174:175], v[6:7], v[152:153]
	v_fma_f64 v[180:181], v[4:5], v[152:153], -v[154:155]
	v_add_f64_e32 v[182:183], v[134:135], v[132:133]
	v_add_f64_e32 v[172:173], v[172:173], v[176:177]
	ds_load_b128 v[4:7], v2 offset:1440
	ds_load_b128 v[132:135], v2 offset:1456
	scratch_load_b128 v[152:155], off, off offset:784
	v_fmac_f64_e32 v[178:179], v[142:143], v[136:137]
	v_fma_f64 v[140:141], v[140:141], v[136:137], -v[138:139]
	scratch_load_b128 v[136:139], off, off offset:800
	s_wait_loadcnt_dscnt 0xb01
	v_mul_f64_e32 v[176:177], v[4:5], v[170:171]
	v_mul_f64_e32 v[170:171], v[6:7], v[170:171]
	v_add_f64_e32 v[142:143], v[182:183], v[180:181]
	v_add_f64_e32 v[172:173], v[172:173], v[174:175]
	s_wait_loadcnt_dscnt 0xa00
	v_mul_f64_e32 v[174:175], v[132:133], v[10:11]
	v_mul_f64_e32 v[10:11], v[134:135], v[10:11]
	v_fmac_f64_e32 v[176:177], v[6:7], v[168:169]
	v_fma_f64 v[168:169], v[4:5], v[168:169], -v[170:171]
	v_add_f64_e32 v[170:171], v[142:143], v[140:141]
	v_add_f64_e32 v[172:173], v[172:173], v[178:179]
	ds_load_b128 v[4:7], v2 offset:1472
	ds_load_b128 v[140:143], v2 offset:1488
	v_fmac_f64_e32 v[174:175], v[134:135], v[8:9]
	v_fma_f64 v[8:9], v[132:133], v[8:9], -v[10:11]
	s_wait_loadcnt_dscnt 0x901
	v_mul_f64_e32 v[178:179], v[4:5], v[158:159]
	v_mul_f64_e32 v[158:159], v[6:7], v[158:159]
	s_wait_loadcnt_dscnt 0x800
	v_mul_f64_e32 v[134:135], v[140:141], v[18:19]
	v_mul_f64_e32 v[18:19], v[142:143], v[18:19]
	v_add_f64_e32 v[10:11], v[170:171], v[168:169]
	v_add_f64_e32 v[132:133], v[172:173], v[176:177]
	v_fmac_f64_e32 v[178:179], v[6:7], v[156:157]
	v_fma_f64 v[156:157], v[4:5], v[156:157], -v[158:159]
	v_fmac_f64_e32 v[134:135], v[142:143], v[16:17]
	v_fma_f64 v[16:17], v[140:141], v[16:17], -v[18:19]
	v_add_f64_e32 v[158:159], v[10:11], v[8:9]
	v_add_f64_e32 v[132:133], v[132:133], v[174:175]
	ds_load_b128 v[4:7], v2 offset:1504
	ds_load_b128 v[8:11], v2 offset:1520
	s_wait_loadcnt_dscnt 0x701
	v_mul_f64_e32 v[168:169], v[4:5], v[166:167]
	v_mul_f64_e32 v[166:167], v[6:7], v[166:167]
	s_wait_loadcnt_dscnt 0x600
	v_mul_f64_e32 v[140:141], v[8:9], v[14:15]
	v_mul_f64_e32 v[142:143], v[10:11], v[14:15]
	v_add_f64_e32 v[18:19], v[158:159], v[156:157]
	v_add_f64_e32 v[132:133], v[132:133], v[178:179]
	v_fmac_f64_e32 v[168:169], v[6:7], v[164:165]
	v_fma_f64 v[156:157], v[4:5], v[164:165], -v[166:167]
	v_fmac_f64_e32 v[140:141], v[10:11], v[12:13]
	v_fma_f64 v[8:9], v[8:9], v[12:13], -v[142:143]
	v_add_f64_e32 v[18:19], v[18:19], v[16:17]
	v_add_f64_e32 v[132:133], v[132:133], v[134:135]
	ds_load_b128 v[4:7], v2 offset:1536
	ds_load_b128 v[14:17], v2 offset:1552
	s_wait_loadcnt_dscnt 0x501
	v_mul_f64_e32 v[134:135], v[4:5], v[146:147]
	v_mul_f64_e32 v[146:147], v[6:7], v[146:147]
	v_add_f64_e32 v[10:11], v[18:19], v[156:157]
	v_add_f64_e32 v[12:13], v[132:133], v[168:169]
	s_wait_loadcnt_dscnt 0x400
	v_mul_f64_e32 v[18:19], v[14:15], v[22:23]
	v_mul_f64_e32 v[22:23], v[16:17], v[22:23]
	v_fmac_f64_e32 v[134:135], v[6:7], v[144:145]
	v_fma_f64 v[132:133], v[4:5], v[144:145], -v[146:147]
	v_add_f64_e32 v[142:143], v[10:11], v[8:9]
	v_add_f64_e32 v[12:13], v[12:13], v[140:141]
	ds_load_b128 v[4:7], v2 offset:1568
	ds_load_b128 v[8:11], v2 offset:1584
	v_fmac_f64_e32 v[18:19], v[16:17], v[20:21]
	v_fma_f64 v[14:15], v[14:15], v[20:21], -v[22:23]
	s_wait_loadcnt_dscnt 0x301
	v_mul_f64_e32 v[140:141], v[4:5], v[150:151]
	v_mul_f64_e32 v[144:145], v[6:7], v[150:151]
	s_wait_loadcnt_dscnt 0x200
	v_mul_f64_e32 v[20:21], v[8:9], v[130:131]
	v_mul_f64_e32 v[22:23], v[10:11], v[130:131]
	v_add_f64_e32 v[16:17], v[142:143], v[132:133]
	v_add_f64_e32 v[12:13], v[12:13], v[134:135]
	v_fmac_f64_e32 v[140:141], v[6:7], v[148:149]
	v_fma_f64 v[130:131], v[4:5], v[148:149], -v[144:145]
	v_fmac_f64_e32 v[20:21], v[10:11], v[128:129]
	v_fma_f64 v[8:9], v[8:9], v[128:129], -v[22:23]
	v_add_f64_e32 v[16:17], v[16:17], v[14:15]
	v_add_f64_e32 v[18:19], v[12:13], v[18:19]
	ds_load_b128 v[4:7], v2 offset:1600
	ds_load_b128 v[12:15], v2 offset:1616
	s_wait_loadcnt_dscnt 0x101
	v_mul_f64_e32 v[2:3], v[4:5], v[154:155]
	v_mul_f64_e32 v[132:133], v[6:7], v[154:155]
	s_wait_loadcnt_dscnt 0x0
	v_mul_f64_e32 v[22:23], v[14:15], v[138:139]
	v_add_f64_e32 v[10:11], v[16:17], v[130:131]
	v_add_f64_e32 v[16:17], v[18:19], v[140:141]
	v_mul_f64_e32 v[18:19], v[12:13], v[138:139]
	v_fmac_f64_e32 v[2:3], v[6:7], v[152:153]
	v_fma_f64 v[4:5], v[4:5], v[152:153], -v[132:133]
	v_add_f64_e32 v[6:7], v[10:11], v[8:9]
	v_add_f64_e32 v[8:9], v[16:17], v[20:21]
	v_fmac_f64_e32 v[18:19], v[14:15], v[136:137]
	v_fma_f64 v[10:11], v[12:13], v[136:137], -v[22:23]
	s_delay_alu instid0(VALU_DEP_4) | instskip(NEXT) | instid1(VALU_DEP_4)
	v_add_f64_e32 v[4:5], v[6:7], v[4:5]
	v_add_f64_e32 v[2:3], v[8:9], v[2:3]
	s_delay_alu instid0(VALU_DEP_2) | instskip(NEXT) | instid1(VALU_DEP_2)
	v_add_f64_e32 v[4:5], v[4:5], v[10:11]
	v_add_f64_e32 v[6:7], v[2:3], v[18:19]
	s_delay_alu instid0(VALU_DEP_2) | instskip(NEXT) | instid1(VALU_DEP_2)
	v_add_f64_e64 v[2:3], v[160:161], -v[4:5]
	v_add_f64_e64 v[4:5], v[162:163], -v[6:7]
	scratch_store_b128 off, v[2:5], off offset:224
	s_wait_xcnt 0x0
	v_cmpx_lt_u32_e32 13, v1
	s_cbranch_execz .LBB50_293
; %bb.292:
	scratch_load_b128 v[2:5], off, s61
	v_mov_b32_e32 v6, 0
	s_delay_alu instid0(VALU_DEP_1)
	v_dual_mov_b32 v7, v6 :: v_dual_mov_b32 v8, v6
	v_mov_b32_e32 v9, v6
	scratch_store_b128 off, v[6:9], off offset:208
	s_wait_loadcnt 0x0
	ds_store_b128 v126, v[2:5]
.LBB50_293:
	s_wait_xcnt 0x0
	s_or_b32 exec_lo, exec_lo, s2
	s_wait_storecnt_dscnt 0x0
	s_barrier_signal -1
	s_barrier_wait -1
	s_clause 0x9
	scratch_load_b128 v[4:7], off, off offset:224
	scratch_load_b128 v[8:11], off, off offset:240
	;; [unrolled: 1-line block ×10, first 2 shown]
	v_mov_b32_e32 v2, 0
	s_mov_b32 s2, exec_lo
	ds_load_b128 v[148:151], v2 offset:1040
	s_clause 0x2
	scratch_load_b128 v[152:155], off, off offset:384
	scratch_load_b128 v[156:159], off, off offset:208
	;; [unrolled: 1-line block ×3, first 2 shown]
	s_wait_loadcnt_dscnt 0xc00
	v_mul_f64_e32 v[168:169], v[150:151], v[6:7]
	v_mul_f64_e32 v[172:173], v[148:149], v[6:7]
	ds_load_b128 v[160:163], v2 offset:1056
	v_fma_f64 v[176:177], v[148:149], v[4:5], -v[168:169]
	v_fmac_f64_e32 v[172:173], v[150:151], v[4:5]
	ds_load_b128 v[4:7], v2 offset:1072
	s_wait_loadcnt_dscnt 0xb01
	v_mul_f64_e32 v[174:175], v[160:161], v[10:11]
	v_mul_f64_e32 v[10:11], v[162:163], v[10:11]
	scratch_load_b128 v[148:151], off, off offset:416
	ds_load_b128 v[168:171], v2 offset:1088
	s_wait_loadcnt_dscnt 0xb01
	v_mul_f64_e32 v[178:179], v[4:5], v[14:15]
	v_mul_f64_e32 v[14:15], v[6:7], v[14:15]
	v_add_f64_e32 v[172:173], 0, v[172:173]
	v_fmac_f64_e32 v[174:175], v[162:163], v[8:9]
	v_fma_f64 v[160:161], v[160:161], v[8:9], -v[10:11]
	v_add_f64_e32 v[162:163], 0, v[176:177]
	scratch_load_b128 v[8:11], off, off offset:432
	v_fmac_f64_e32 v[178:179], v[6:7], v[12:13]
	v_fma_f64 v[180:181], v[4:5], v[12:13], -v[14:15]
	ds_load_b128 v[4:7], v2 offset:1104
	s_wait_loadcnt_dscnt 0xb01
	v_mul_f64_e32 v[176:177], v[168:169], v[18:19]
	v_mul_f64_e32 v[18:19], v[170:171], v[18:19]
	scratch_load_b128 v[12:15], off, off offset:448
	v_add_f64_e32 v[172:173], v[172:173], v[174:175]
	v_add_f64_e32 v[182:183], v[162:163], v[160:161]
	ds_load_b128 v[160:163], v2 offset:1120
	s_wait_loadcnt_dscnt 0xb01
	v_mul_f64_e32 v[174:175], v[4:5], v[22:23]
	v_mul_f64_e32 v[22:23], v[6:7], v[22:23]
	v_fmac_f64_e32 v[176:177], v[170:171], v[16:17]
	v_fma_f64 v[168:169], v[168:169], v[16:17], -v[18:19]
	scratch_load_b128 v[16:19], off, off offset:464
	v_add_f64_e32 v[172:173], v[172:173], v[178:179]
	v_add_f64_e32 v[170:171], v[182:183], v[180:181]
	v_fmac_f64_e32 v[174:175], v[6:7], v[20:21]
	v_fma_f64 v[180:181], v[4:5], v[20:21], -v[22:23]
	ds_load_b128 v[4:7], v2 offset:1136
	s_wait_loadcnt_dscnt 0xb01
	v_mul_f64_e32 v[178:179], v[160:161], v[130:131]
	v_mul_f64_e32 v[130:131], v[162:163], v[130:131]
	scratch_load_b128 v[20:23], off, off offset:480
	v_add_f64_e32 v[172:173], v[172:173], v[176:177]
	s_wait_loadcnt_dscnt 0xb00
	v_mul_f64_e32 v[176:177], v[4:5], v[134:135]
	v_add_f64_e32 v[182:183], v[170:171], v[168:169]
	v_mul_f64_e32 v[134:135], v[6:7], v[134:135]
	ds_load_b128 v[168:171], v2 offset:1152
	v_fmac_f64_e32 v[178:179], v[162:163], v[128:129]
	v_fma_f64 v[160:161], v[160:161], v[128:129], -v[130:131]
	scratch_load_b128 v[128:131], off, off offset:496
	v_add_f64_e32 v[172:173], v[172:173], v[174:175]
	v_fmac_f64_e32 v[176:177], v[6:7], v[132:133]
	v_add_f64_e32 v[162:163], v[182:183], v[180:181]
	v_fma_f64 v[180:181], v[4:5], v[132:133], -v[134:135]
	ds_load_b128 v[4:7], v2 offset:1168
	s_wait_loadcnt_dscnt 0xb01
	v_mul_f64_e32 v[174:175], v[168:169], v[138:139]
	v_mul_f64_e32 v[138:139], v[170:171], v[138:139]
	scratch_load_b128 v[132:135], off, off offset:512
	v_add_f64_e32 v[172:173], v[172:173], v[178:179]
	s_wait_loadcnt_dscnt 0xb00
	v_mul_f64_e32 v[178:179], v[4:5], v[142:143]
	v_add_f64_e32 v[182:183], v[162:163], v[160:161]
	v_mul_f64_e32 v[142:143], v[6:7], v[142:143]
	ds_load_b128 v[160:163], v2 offset:1184
	v_fmac_f64_e32 v[174:175], v[170:171], v[136:137]
	v_fma_f64 v[168:169], v[168:169], v[136:137], -v[138:139]
	scratch_load_b128 v[136:139], off, off offset:528
	v_add_f64_e32 v[172:173], v[172:173], v[176:177]
	v_fmac_f64_e32 v[178:179], v[6:7], v[140:141]
	v_add_f64_e32 v[170:171], v[182:183], v[180:181]
	;; [unrolled: 18-line block ×3, first 2 shown]
	v_fma_f64 v[180:181], v[4:5], v[152:153], -v[154:155]
	ds_load_b128 v[4:7], v2 offset:1232
	s_wait_loadcnt_dscnt 0xa01
	v_mul_f64_e32 v[178:179], v[168:169], v[166:167]
	v_mul_f64_e32 v[166:167], v[170:171], v[166:167]
	scratch_load_b128 v[152:155], off, off offset:576
	v_add_f64_e32 v[172:173], v[172:173], v[176:177]
	v_add_f64_e32 v[182:183], v[162:163], v[160:161]
	s_wait_loadcnt_dscnt 0xa00
	v_mul_f64_e32 v[176:177], v[4:5], v[150:151]
	v_mul_f64_e32 v[150:151], v[6:7], v[150:151]
	v_fmac_f64_e32 v[178:179], v[170:171], v[164:165]
	v_fma_f64 v[168:169], v[168:169], v[164:165], -v[166:167]
	ds_load_b128 v[160:163], v2 offset:1248
	scratch_load_b128 v[164:167], off, off offset:592
	v_add_f64_e32 v[172:173], v[172:173], v[174:175]
	v_add_f64_e32 v[170:171], v[182:183], v[180:181]
	v_fmac_f64_e32 v[176:177], v[6:7], v[148:149]
	v_fma_f64 v[180:181], v[4:5], v[148:149], -v[150:151]
	ds_load_b128 v[4:7], v2 offset:1264
	s_wait_loadcnt_dscnt 0xa01
	v_mul_f64_e32 v[174:175], v[160:161], v[10:11]
	v_mul_f64_e32 v[10:11], v[162:163], v[10:11]
	scratch_load_b128 v[148:151], off, off offset:608
	v_add_f64_e32 v[172:173], v[172:173], v[178:179]
	s_wait_loadcnt_dscnt 0xa00
	v_mul_f64_e32 v[178:179], v[4:5], v[14:15]
	v_add_f64_e32 v[182:183], v[170:171], v[168:169]
	v_mul_f64_e32 v[14:15], v[6:7], v[14:15]
	ds_load_b128 v[168:171], v2 offset:1280
	v_fmac_f64_e32 v[174:175], v[162:163], v[8:9]
	v_fma_f64 v[160:161], v[160:161], v[8:9], -v[10:11]
	scratch_load_b128 v[8:11], off, off offset:624
	v_add_f64_e32 v[172:173], v[172:173], v[176:177]
	v_fmac_f64_e32 v[178:179], v[6:7], v[12:13]
	v_add_f64_e32 v[162:163], v[182:183], v[180:181]
	v_fma_f64 v[180:181], v[4:5], v[12:13], -v[14:15]
	ds_load_b128 v[4:7], v2 offset:1296
	s_wait_loadcnt_dscnt 0xa01
	v_mul_f64_e32 v[176:177], v[168:169], v[18:19]
	v_mul_f64_e32 v[18:19], v[170:171], v[18:19]
	scratch_load_b128 v[12:15], off, off offset:640
	v_add_f64_e32 v[172:173], v[172:173], v[174:175]
	s_wait_loadcnt_dscnt 0xa00
	v_mul_f64_e32 v[174:175], v[4:5], v[22:23]
	v_add_f64_e32 v[182:183], v[162:163], v[160:161]
	v_mul_f64_e32 v[22:23], v[6:7], v[22:23]
	ds_load_b128 v[160:163], v2 offset:1312
	v_fmac_f64_e32 v[176:177], v[170:171], v[16:17]
	v_fma_f64 v[168:169], v[168:169], v[16:17], -v[18:19]
	scratch_load_b128 v[16:19], off, off offset:656
	v_add_f64_e32 v[172:173], v[172:173], v[178:179]
	v_fmac_f64_e32 v[174:175], v[6:7], v[20:21]
	v_add_f64_e32 v[170:171], v[182:183], v[180:181]
	;; [unrolled: 18-line block ×6, first 2 shown]
	v_fma_f64 v[180:181], v[4:5], v[148:149], -v[150:151]
	ds_load_b128 v[4:7], v2 offset:1456
	s_wait_loadcnt_dscnt 0xa01
	v_mul_f64_e32 v[174:175], v[160:161], v[10:11]
	v_mul_f64_e32 v[10:11], v[162:163], v[10:11]
	scratch_load_b128 v[148:151], off, off offset:800
	v_add_f64_e32 v[172:173], v[172:173], v[178:179]
	s_wait_loadcnt_dscnt 0xa00
	v_mul_f64_e32 v[178:179], v[4:5], v[14:15]
	v_add_f64_e32 v[182:183], v[170:171], v[168:169]
	v_mul_f64_e32 v[14:15], v[6:7], v[14:15]
	ds_load_b128 v[168:171], v2 offset:1472
	v_fmac_f64_e32 v[174:175], v[162:163], v[8:9]
	v_fma_f64 v[8:9], v[160:161], v[8:9], -v[10:11]
	s_wait_loadcnt_dscnt 0x900
	v_mul_f64_e32 v[162:163], v[168:169], v[18:19]
	v_mul_f64_e32 v[18:19], v[170:171], v[18:19]
	v_add_f64_e32 v[160:161], v[172:173], v[176:177]
	v_fmac_f64_e32 v[178:179], v[6:7], v[12:13]
	v_add_f64_e32 v[10:11], v[182:183], v[180:181]
	v_fma_f64 v[12:13], v[4:5], v[12:13], -v[14:15]
	v_fmac_f64_e32 v[162:163], v[170:171], v[16:17]
	v_fma_f64 v[16:17], v[168:169], v[16:17], -v[18:19]
	v_add_f64_e32 v[160:161], v[160:161], v[174:175]
	v_add_f64_e32 v[14:15], v[10:11], v[8:9]
	ds_load_b128 v[4:7], v2 offset:1488
	ds_load_b128 v[8:11], v2 offset:1504
	s_wait_loadcnt_dscnt 0x801
	v_mul_f64_e32 v[172:173], v[4:5], v[22:23]
	v_mul_f64_e32 v[22:23], v[6:7], v[22:23]
	s_wait_loadcnt_dscnt 0x700
	v_mul_f64_e32 v[18:19], v[8:9], v[130:131]
	v_mul_f64_e32 v[130:131], v[10:11], v[130:131]
	v_add_f64_e32 v[12:13], v[14:15], v[12:13]
	v_add_f64_e32 v[14:15], v[160:161], v[178:179]
	v_fmac_f64_e32 v[172:173], v[6:7], v[20:21]
	v_fma_f64 v[20:21], v[4:5], v[20:21], -v[22:23]
	v_fmac_f64_e32 v[18:19], v[10:11], v[128:129]
	v_fma_f64 v[8:9], v[8:9], v[128:129], -v[130:131]
	v_add_f64_e32 v[16:17], v[12:13], v[16:17]
	v_add_f64_e32 v[22:23], v[14:15], v[162:163]
	ds_load_b128 v[4:7], v2 offset:1520
	ds_load_b128 v[12:15], v2 offset:1536
	s_wait_loadcnt_dscnt 0x601
	v_mul_f64_e32 v[160:161], v[4:5], v[134:135]
	v_mul_f64_e32 v[134:135], v[6:7], v[134:135]
	v_add_f64_e32 v[10:11], v[16:17], v[20:21]
	v_add_f64_e32 v[16:17], v[22:23], v[172:173]
	s_wait_loadcnt_dscnt 0x500
	v_mul_f64_e32 v[20:21], v[12:13], v[138:139]
	v_mul_f64_e32 v[22:23], v[14:15], v[138:139]
	v_fmac_f64_e32 v[160:161], v[6:7], v[132:133]
	v_fma_f64 v[128:129], v[4:5], v[132:133], -v[134:135]
	v_add_f64_e32 v[130:131], v[10:11], v[8:9]
	v_add_f64_e32 v[16:17], v[16:17], v[18:19]
	ds_load_b128 v[4:7], v2 offset:1552
	ds_load_b128 v[8:11], v2 offset:1568
	v_fmac_f64_e32 v[20:21], v[14:15], v[136:137]
	v_fma_f64 v[12:13], v[12:13], v[136:137], -v[22:23]
	s_wait_loadcnt_dscnt 0x401
	v_mul_f64_e32 v[18:19], v[4:5], v[142:143]
	v_mul_f64_e32 v[132:133], v[6:7], v[142:143]
	s_wait_loadcnt_dscnt 0x300
	v_mul_f64_e32 v[22:23], v[8:9], v[146:147]
	v_add_f64_e32 v[14:15], v[130:131], v[128:129]
	v_add_f64_e32 v[16:17], v[16:17], v[160:161]
	v_mul_f64_e32 v[128:129], v[10:11], v[146:147]
	v_fmac_f64_e32 v[18:19], v[6:7], v[140:141]
	v_fma_f64 v[130:131], v[4:5], v[140:141], -v[132:133]
	v_fmac_f64_e32 v[22:23], v[10:11], v[144:145]
	v_add_f64_e32 v[132:133], v[14:15], v[12:13]
	v_add_f64_e32 v[16:17], v[16:17], v[20:21]
	ds_load_b128 v[4:7], v2 offset:1584
	ds_load_b128 v[12:15], v2 offset:1600
	v_fma_f64 v[8:9], v[8:9], v[144:145], -v[128:129]
	s_wait_loadcnt_dscnt 0x201
	v_mul_f64_e32 v[20:21], v[4:5], v[154:155]
	v_mul_f64_e32 v[134:135], v[6:7], v[154:155]
	s_wait_loadcnt_dscnt 0x100
	v_mul_f64_e32 v[128:129], v[14:15], v[166:167]
	v_add_f64_e32 v[10:11], v[132:133], v[130:131]
	v_add_f64_e32 v[16:17], v[16:17], v[18:19]
	v_mul_f64_e32 v[18:19], v[12:13], v[166:167]
	v_fmac_f64_e32 v[20:21], v[6:7], v[152:153]
	v_fma_f64 v[130:131], v[4:5], v[152:153], -v[134:135]
	ds_load_b128 v[4:7], v2 offset:1616
	v_fma_f64 v[12:13], v[12:13], v[164:165], -v[128:129]
	v_add_f64_e32 v[8:9], v[10:11], v[8:9]
	v_add_f64_e32 v[10:11], v[16:17], v[22:23]
	v_fmac_f64_e32 v[18:19], v[14:15], v[164:165]
	s_wait_loadcnt_dscnt 0x0
	v_mul_f64_e32 v[16:17], v[4:5], v[150:151]
	v_mul_f64_e32 v[22:23], v[6:7], v[150:151]
	v_add_f64_e32 v[8:9], v[8:9], v[130:131]
	v_add_f64_e32 v[10:11], v[10:11], v[20:21]
	s_delay_alu instid0(VALU_DEP_4) | instskip(NEXT) | instid1(VALU_DEP_4)
	v_fmac_f64_e32 v[16:17], v[6:7], v[148:149]
	v_fma_f64 v[4:5], v[4:5], v[148:149], -v[22:23]
	s_delay_alu instid0(VALU_DEP_4) | instskip(NEXT) | instid1(VALU_DEP_4)
	v_add_f64_e32 v[6:7], v[8:9], v[12:13]
	v_add_f64_e32 v[8:9], v[10:11], v[18:19]
	s_delay_alu instid0(VALU_DEP_2) | instskip(NEXT) | instid1(VALU_DEP_2)
	v_add_f64_e32 v[4:5], v[6:7], v[4:5]
	v_add_f64_e32 v[6:7], v[8:9], v[16:17]
	s_delay_alu instid0(VALU_DEP_2) | instskip(NEXT) | instid1(VALU_DEP_2)
	v_add_f64_e64 v[4:5], v[156:157], -v[4:5]
	v_add_f64_e64 v[6:7], v[158:159], -v[6:7]
	scratch_store_b128 off, v[4:7], off offset:208
	s_wait_xcnt 0x0
	v_cmpx_lt_u32_e32 12, v1
	s_cbranch_execz .LBB50_295
; %bb.294:
	scratch_load_b128 v[6:9], off, s60
	v_dual_mov_b32 v3, v2 :: v_dual_mov_b32 v4, v2
	v_mov_b32_e32 v5, v2
	scratch_store_b128 off, v[2:5], off offset:192
	s_wait_loadcnt 0x0
	ds_store_b128 v126, v[6:9]
.LBB50_295:
	s_wait_xcnt 0x0
	s_or_b32 exec_lo, exec_lo, s2
	s_wait_storecnt_dscnt 0x0
	s_barrier_signal -1
	s_barrier_wait -1
	s_clause 0x9
	scratch_load_b128 v[4:7], off, off offset:208
	scratch_load_b128 v[8:11], off, off offset:224
	scratch_load_b128 v[12:15], off, off offset:240
	scratch_load_b128 v[16:19], off, off offset:256
	scratch_load_b128 v[20:23], off, off offset:272
	scratch_load_b128 v[128:131], off, off offset:288
	scratch_load_b128 v[132:135], off, off offset:304
	scratch_load_b128 v[136:139], off, off offset:320
	scratch_load_b128 v[140:143], off, off offset:336
	scratch_load_b128 v[144:147], off, off offset:352
	ds_load_b128 v[148:151], v2 offset:1024
	ds_load_b128 v[156:159], v2 offset:1040
	s_clause 0x2
	scratch_load_b128 v[152:155], off, off offset:368
	scratch_load_b128 v[160:163], off, off offset:192
	;; [unrolled: 1-line block ×3, first 2 shown]
	s_mov_b32 s2, exec_lo
	s_wait_loadcnt_dscnt 0xc01
	v_mul_f64_e32 v[168:169], v[150:151], v[6:7]
	v_mul_f64_e32 v[172:173], v[148:149], v[6:7]
	s_wait_loadcnt_dscnt 0xb00
	v_mul_f64_e32 v[174:175], v[156:157], v[10:11]
	v_mul_f64_e32 v[10:11], v[158:159], v[10:11]
	s_delay_alu instid0(VALU_DEP_4) | instskip(NEXT) | instid1(VALU_DEP_4)
	v_fma_f64 v[176:177], v[148:149], v[4:5], -v[168:169]
	v_fmac_f64_e32 v[172:173], v[150:151], v[4:5]
	ds_load_b128 v[4:7], v2 offset:1056
	ds_load_b128 v[148:151], v2 offset:1072
	scratch_load_b128 v[168:171], off, off offset:400
	v_fmac_f64_e32 v[174:175], v[158:159], v[8:9]
	v_fma_f64 v[156:157], v[156:157], v[8:9], -v[10:11]
	scratch_load_b128 v[8:11], off, off offset:416
	s_wait_loadcnt_dscnt 0xc01
	v_mul_f64_e32 v[178:179], v[4:5], v[14:15]
	v_mul_f64_e32 v[14:15], v[6:7], v[14:15]
	v_add_f64_e32 v[158:159], 0, v[176:177]
	v_add_f64_e32 v[172:173], 0, v[172:173]
	s_wait_loadcnt_dscnt 0xb00
	v_mul_f64_e32 v[176:177], v[148:149], v[18:19]
	v_mul_f64_e32 v[18:19], v[150:151], v[18:19]
	v_fmac_f64_e32 v[178:179], v[6:7], v[12:13]
	v_fma_f64 v[180:181], v[4:5], v[12:13], -v[14:15]
	ds_load_b128 v[4:7], v2 offset:1088
	ds_load_b128 v[12:15], v2 offset:1104
	v_add_f64_e32 v[182:183], v[158:159], v[156:157]
	v_add_f64_e32 v[172:173], v[172:173], v[174:175]
	scratch_load_b128 v[156:159], off, off offset:432
	v_fmac_f64_e32 v[176:177], v[150:151], v[16:17]
	v_fma_f64 v[148:149], v[148:149], v[16:17], -v[18:19]
	scratch_load_b128 v[16:19], off, off offset:448
	s_wait_loadcnt_dscnt 0xc01
	v_mul_f64_e32 v[174:175], v[4:5], v[22:23]
	v_mul_f64_e32 v[22:23], v[6:7], v[22:23]
	v_add_f64_e32 v[150:151], v[182:183], v[180:181]
	v_add_f64_e32 v[172:173], v[172:173], v[178:179]
	s_wait_loadcnt_dscnt 0xb00
	v_mul_f64_e32 v[178:179], v[12:13], v[130:131]
	v_mul_f64_e32 v[130:131], v[14:15], v[130:131]
	v_fmac_f64_e32 v[174:175], v[6:7], v[20:21]
	v_fma_f64 v[180:181], v[4:5], v[20:21], -v[22:23]
	ds_load_b128 v[4:7], v2 offset:1120
	ds_load_b128 v[20:23], v2 offset:1136
	v_add_f64_e32 v[182:183], v[150:151], v[148:149]
	v_add_f64_e32 v[172:173], v[172:173], v[176:177]
	scratch_load_b128 v[148:151], off, off offset:464
	s_wait_loadcnt_dscnt 0xb01
	v_mul_f64_e32 v[176:177], v[4:5], v[134:135]
	v_mul_f64_e32 v[134:135], v[6:7], v[134:135]
	v_fmac_f64_e32 v[178:179], v[14:15], v[128:129]
	v_fma_f64 v[128:129], v[12:13], v[128:129], -v[130:131]
	scratch_load_b128 v[12:15], off, off offset:480
	v_add_f64_e32 v[130:131], v[182:183], v[180:181]
	v_add_f64_e32 v[172:173], v[172:173], v[174:175]
	s_wait_loadcnt_dscnt 0xb00
	v_mul_f64_e32 v[174:175], v[20:21], v[138:139]
	v_mul_f64_e32 v[138:139], v[22:23], v[138:139]
	v_fmac_f64_e32 v[176:177], v[6:7], v[132:133]
	v_fma_f64 v[180:181], v[4:5], v[132:133], -v[134:135]
	v_add_f64_e32 v[182:183], v[130:131], v[128:129]
	v_add_f64_e32 v[172:173], v[172:173], v[178:179]
	ds_load_b128 v[4:7], v2 offset:1152
	ds_load_b128 v[128:131], v2 offset:1168
	scratch_load_b128 v[132:135], off, off offset:496
	v_fmac_f64_e32 v[174:175], v[22:23], v[136:137]
	v_fma_f64 v[136:137], v[20:21], v[136:137], -v[138:139]
	scratch_load_b128 v[20:23], off, off offset:512
	s_wait_loadcnt_dscnt 0xc01
	v_mul_f64_e32 v[178:179], v[4:5], v[142:143]
	v_mul_f64_e32 v[142:143], v[6:7], v[142:143]
	v_add_f64_e32 v[138:139], v[182:183], v[180:181]
	v_add_f64_e32 v[172:173], v[172:173], v[176:177]
	s_wait_loadcnt_dscnt 0xb00
	v_mul_f64_e32 v[176:177], v[128:129], v[146:147]
	v_mul_f64_e32 v[146:147], v[130:131], v[146:147]
	v_fmac_f64_e32 v[178:179], v[6:7], v[140:141]
	v_fma_f64 v[180:181], v[4:5], v[140:141], -v[142:143]
	v_add_f64_e32 v[182:183], v[138:139], v[136:137]
	v_add_f64_e32 v[172:173], v[172:173], v[174:175]
	ds_load_b128 v[4:7], v2 offset:1184
	ds_load_b128 v[136:139], v2 offset:1200
	scratch_load_b128 v[140:143], off, off offset:528
	v_fmac_f64_e32 v[176:177], v[130:131], v[144:145]
	v_fma_f64 v[144:145], v[128:129], v[144:145], -v[146:147]
	scratch_load_b128 v[128:131], off, off offset:544
	s_wait_loadcnt_dscnt 0xc01
	v_mul_f64_e32 v[174:175], v[4:5], v[154:155]
	v_mul_f64_e32 v[154:155], v[6:7], v[154:155]
	v_add_f64_e32 v[146:147], v[182:183], v[180:181]
	v_add_f64_e32 v[172:173], v[172:173], v[178:179]
	s_wait_loadcnt_dscnt 0xa00
	v_mul_f64_e32 v[178:179], v[136:137], v[166:167]
	v_mul_f64_e32 v[166:167], v[138:139], v[166:167]
	v_fmac_f64_e32 v[174:175], v[6:7], v[152:153]
	v_fma_f64 v[180:181], v[4:5], v[152:153], -v[154:155]
	v_add_f64_e32 v[182:183], v[146:147], v[144:145]
	v_add_f64_e32 v[172:173], v[172:173], v[176:177]
	ds_load_b128 v[4:7], v2 offset:1216
	ds_load_b128 v[144:147], v2 offset:1232
	scratch_load_b128 v[152:155], off, off offset:560
	v_fmac_f64_e32 v[178:179], v[138:139], v[164:165]
	v_fma_f64 v[164:165], v[136:137], v[164:165], -v[166:167]
	scratch_load_b128 v[136:139], off, off offset:576
	s_wait_loadcnt_dscnt 0xb01
	v_mul_f64_e32 v[176:177], v[4:5], v[170:171]
	v_mul_f64_e32 v[170:171], v[6:7], v[170:171]
	v_add_f64_e32 v[166:167], v[182:183], v[180:181]
	v_add_f64_e32 v[172:173], v[172:173], v[174:175]
	s_wait_loadcnt_dscnt 0xa00
	v_mul_f64_e32 v[174:175], v[144:145], v[10:11]
	v_mul_f64_e32 v[10:11], v[146:147], v[10:11]
	v_fmac_f64_e32 v[176:177], v[6:7], v[168:169]
	v_fma_f64 v[180:181], v[4:5], v[168:169], -v[170:171]
	v_add_f64_e32 v[182:183], v[166:167], v[164:165]
	v_add_f64_e32 v[172:173], v[172:173], v[178:179]
	ds_load_b128 v[4:7], v2 offset:1248
	ds_load_b128 v[164:167], v2 offset:1264
	scratch_load_b128 v[168:171], off, off offset:592
	v_fmac_f64_e32 v[174:175], v[146:147], v[8:9]
	v_fma_f64 v[144:145], v[144:145], v[8:9], -v[10:11]
	scratch_load_b128 v[8:11], off, off offset:608
	s_wait_loadcnt_dscnt 0xb01
	v_mul_f64_e32 v[178:179], v[4:5], v[158:159]
	v_mul_f64_e32 v[158:159], v[6:7], v[158:159]
	v_add_f64_e32 v[146:147], v[182:183], v[180:181]
	v_add_f64_e32 v[172:173], v[172:173], v[176:177]
	s_wait_loadcnt_dscnt 0xa00
	v_mul_f64_e32 v[176:177], v[164:165], v[18:19]
	v_mul_f64_e32 v[18:19], v[166:167], v[18:19]
	v_fmac_f64_e32 v[178:179], v[6:7], v[156:157]
	v_fma_f64 v[180:181], v[4:5], v[156:157], -v[158:159]
	v_add_f64_e32 v[182:183], v[146:147], v[144:145]
	v_add_f64_e32 v[172:173], v[172:173], v[174:175]
	ds_load_b128 v[4:7], v2 offset:1280
	ds_load_b128 v[144:147], v2 offset:1296
	scratch_load_b128 v[156:159], off, off offset:624
	v_fmac_f64_e32 v[176:177], v[166:167], v[16:17]
	v_fma_f64 v[164:165], v[164:165], v[16:17], -v[18:19]
	scratch_load_b128 v[16:19], off, off offset:640
	s_wait_loadcnt_dscnt 0xb01
	v_mul_f64_e32 v[174:175], v[4:5], v[150:151]
	v_mul_f64_e32 v[150:151], v[6:7], v[150:151]
	v_add_f64_e32 v[166:167], v[182:183], v[180:181]
	v_add_f64_e32 v[172:173], v[172:173], v[178:179]
	s_wait_loadcnt_dscnt 0xa00
	v_mul_f64_e32 v[178:179], v[144:145], v[14:15]
	v_mul_f64_e32 v[14:15], v[146:147], v[14:15]
	v_fmac_f64_e32 v[174:175], v[6:7], v[148:149]
	v_fma_f64 v[180:181], v[4:5], v[148:149], -v[150:151]
	ds_load_b128 v[4:7], v2 offset:1312
	ds_load_b128 v[148:151], v2 offset:1328
	v_add_f64_e32 v[182:183], v[166:167], v[164:165]
	v_add_f64_e32 v[172:173], v[172:173], v[176:177]
	scratch_load_b128 v[164:167], off, off offset:656
	v_fmac_f64_e32 v[178:179], v[146:147], v[12:13]
	v_fma_f64 v[144:145], v[144:145], v[12:13], -v[14:15]
	scratch_load_b128 v[12:15], off, off offset:672
	s_wait_loadcnt_dscnt 0xb01
	v_mul_f64_e32 v[176:177], v[4:5], v[134:135]
	v_mul_f64_e32 v[134:135], v[6:7], v[134:135]
	v_add_f64_e32 v[146:147], v[182:183], v[180:181]
	v_add_f64_e32 v[172:173], v[172:173], v[174:175]
	s_wait_loadcnt_dscnt 0xa00
	v_mul_f64_e32 v[174:175], v[148:149], v[22:23]
	v_mul_f64_e32 v[22:23], v[150:151], v[22:23]
	v_fmac_f64_e32 v[176:177], v[6:7], v[132:133]
	v_fma_f64 v[180:181], v[4:5], v[132:133], -v[134:135]
	ds_load_b128 v[4:7], v2 offset:1344
	ds_load_b128 v[132:135], v2 offset:1360
	v_add_f64_e32 v[182:183], v[146:147], v[144:145]
	v_add_f64_e32 v[172:173], v[172:173], v[178:179]
	scratch_load_b128 v[144:147], off, off offset:688
	s_wait_loadcnt_dscnt 0xa01
	v_mul_f64_e32 v[178:179], v[4:5], v[142:143]
	v_mul_f64_e32 v[142:143], v[6:7], v[142:143]
	v_fmac_f64_e32 v[174:175], v[150:151], v[20:21]
	v_fma_f64 v[148:149], v[148:149], v[20:21], -v[22:23]
	scratch_load_b128 v[20:23], off, off offset:704
	v_add_f64_e32 v[150:151], v[182:183], v[180:181]
	v_add_f64_e32 v[172:173], v[172:173], v[176:177]
	s_wait_loadcnt_dscnt 0xa00
	v_mul_f64_e32 v[176:177], v[132:133], v[130:131]
	v_mul_f64_e32 v[130:131], v[134:135], v[130:131]
	v_fmac_f64_e32 v[178:179], v[6:7], v[140:141]
	v_fma_f64 v[180:181], v[4:5], v[140:141], -v[142:143]
	ds_load_b128 v[4:7], v2 offset:1376
	ds_load_b128 v[140:143], v2 offset:1392
	v_add_f64_e32 v[182:183], v[150:151], v[148:149]
	v_add_f64_e32 v[172:173], v[172:173], v[174:175]
	scratch_load_b128 v[148:151], off, off offset:720
	s_wait_loadcnt_dscnt 0xa01
	v_mul_f64_e32 v[174:175], v[4:5], v[154:155]
	v_mul_f64_e32 v[154:155], v[6:7], v[154:155]
	v_fmac_f64_e32 v[176:177], v[134:135], v[128:129]
	v_fma_f64 v[132:133], v[132:133], v[128:129], -v[130:131]
	scratch_load_b128 v[128:131], off, off offset:736
	v_add_f64_e32 v[134:135], v[182:183], v[180:181]
	v_add_f64_e32 v[172:173], v[172:173], v[178:179]
	s_wait_loadcnt_dscnt 0xa00
	v_mul_f64_e32 v[178:179], v[140:141], v[138:139]
	v_mul_f64_e32 v[138:139], v[142:143], v[138:139]
	v_fmac_f64_e32 v[174:175], v[6:7], v[152:153]
	v_fma_f64 v[180:181], v[4:5], v[152:153], -v[154:155]
	v_add_f64_e32 v[182:183], v[134:135], v[132:133]
	v_add_f64_e32 v[172:173], v[172:173], v[176:177]
	ds_load_b128 v[4:7], v2 offset:1408
	ds_load_b128 v[132:135], v2 offset:1424
	scratch_load_b128 v[152:155], off, off offset:752
	v_fmac_f64_e32 v[178:179], v[142:143], v[136:137]
	v_fma_f64 v[140:141], v[140:141], v[136:137], -v[138:139]
	scratch_load_b128 v[136:139], off, off offset:768
	s_wait_loadcnt_dscnt 0xb01
	v_mul_f64_e32 v[176:177], v[4:5], v[170:171]
	v_mul_f64_e32 v[170:171], v[6:7], v[170:171]
	v_add_f64_e32 v[142:143], v[182:183], v[180:181]
	v_add_f64_e32 v[172:173], v[172:173], v[174:175]
	s_wait_loadcnt_dscnt 0xa00
	v_mul_f64_e32 v[174:175], v[132:133], v[10:11]
	v_mul_f64_e32 v[10:11], v[134:135], v[10:11]
	v_fmac_f64_e32 v[176:177], v[6:7], v[168:169]
	v_fma_f64 v[180:181], v[4:5], v[168:169], -v[170:171]
	v_add_f64_e32 v[182:183], v[142:143], v[140:141]
	v_add_f64_e32 v[172:173], v[172:173], v[178:179]
	ds_load_b128 v[4:7], v2 offset:1440
	ds_load_b128 v[140:143], v2 offset:1456
	scratch_load_b128 v[168:171], off, off offset:784
	v_fmac_f64_e32 v[174:175], v[134:135], v[8:9]
	v_fma_f64 v[132:133], v[132:133], v[8:9], -v[10:11]
	scratch_load_b128 v[8:11], off, off offset:800
	s_wait_loadcnt_dscnt 0xb01
	v_mul_f64_e32 v[178:179], v[4:5], v[158:159]
	v_mul_f64_e32 v[158:159], v[6:7], v[158:159]
	v_add_f64_e32 v[134:135], v[182:183], v[180:181]
	v_add_f64_e32 v[172:173], v[172:173], v[176:177]
	s_wait_loadcnt_dscnt 0xa00
	v_mul_f64_e32 v[176:177], v[140:141], v[18:19]
	v_mul_f64_e32 v[18:19], v[142:143], v[18:19]
	v_fmac_f64_e32 v[178:179], v[6:7], v[156:157]
	v_fma_f64 v[156:157], v[4:5], v[156:157], -v[158:159]
	v_add_f64_e32 v[158:159], v[134:135], v[132:133]
	v_add_f64_e32 v[172:173], v[172:173], v[174:175]
	ds_load_b128 v[4:7], v2 offset:1472
	ds_load_b128 v[132:135], v2 offset:1488
	v_fmac_f64_e32 v[176:177], v[142:143], v[16:17]
	v_fma_f64 v[16:17], v[140:141], v[16:17], -v[18:19]
	s_wait_loadcnt_dscnt 0x901
	v_mul_f64_e32 v[174:175], v[4:5], v[166:167]
	v_mul_f64_e32 v[166:167], v[6:7], v[166:167]
	s_wait_loadcnt_dscnt 0x800
	v_mul_f64_e32 v[142:143], v[132:133], v[14:15]
	v_add_f64_e32 v[18:19], v[158:159], v[156:157]
	v_add_f64_e32 v[140:141], v[172:173], v[178:179]
	v_mul_f64_e32 v[156:157], v[134:135], v[14:15]
	v_fmac_f64_e32 v[174:175], v[6:7], v[164:165]
	v_fma_f64 v[158:159], v[4:5], v[164:165], -v[166:167]
	v_fmac_f64_e32 v[142:143], v[134:135], v[12:13]
	v_add_f64_e32 v[18:19], v[18:19], v[16:17]
	v_add_f64_e32 v[140:141], v[140:141], v[176:177]
	ds_load_b128 v[4:7], v2 offset:1504
	ds_load_b128 v[14:17], v2 offset:1520
	v_fma_f64 v[12:13], v[132:133], v[12:13], -v[156:157]
	s_wait_loadcnt_dscnt 0x701
	v_mul_f64_e32 v[164:165], v[4:5], v[146:147]
	v_mul_f64_e32 v[146:147], v[6:7], v[146:147]
	v_add_f64_e32 v[18:19], v[18:19], v[158:159]
	v_add_f64_e32 v[132:133], v[140:141], v[174:175]
	s_wait_loadcnt_dscnt 0x600
	v_mul_f64_e32 v[140:141], v[14:15], v[22:23]
	v_mul_f64_e32 v[22:23], v[16:17], v[22:23]
	v_fmac_f64_e32 v[164:165], v[6:7], v[144:145]
	v_fma_f64 v[144:145], v[4:5], v[144:145], -v[146:147]
	v_add_f64_e32 v[12:13], v[18:19], v[12:13]
	v_add_f64_e32 v[18:19], v[132:133], v[142:143]
	ds_load_b128 v[4:7], v2 offset:1536
	ds_load_b128 v[132:135], v2 offset:1552
	v_fmac_f64_e32 v[140:141], v[16:17], v[20:21]
	v_fma_f64 v[14:15], v[14:15], v[20:21], -v[22:23]
	s_wait_loadcnt_dscnt 0x501
	v_mul_f64_e32 v[142:143], v[4:5], v[150:151]
	v_mul_f64_e32 v[146:147], v[6:7], v[150:151]
	s_wait_loadcnt_dscnt 0x400
	v_mul_f64_e32 v[20:21], v[134:135], v[130:131]
	v_add_f64_e32 v[12:13], v[12:13], v[144:145]
	v_add_f64_e32 v[16:17], v[18:19], v[164:165]
	v_mul_f64_e32 v[18:19], v[132:133], v[130:131]
	v_fmac_f64_e32 v[142:143], v[6:7], v[148:149]
	v_fma_f64 v[22:23], v[4:5], v[148:149], -v[146:147]
	v_fma_f64 v[20:21], v[132:133], v[128:129], -v[20:21]
	v_add_f64_e32 v[130:131], v[12:13], v[14:15]
	v_add_f64_e32 v[16:17], v[16:17], v[140:141]
	ds_load_b128 v[4:7], v2 offset:1568
	ds_load_b128 v[12:15], v2 offset:1584
	v_fmac_f64_e32 v[18:19], v[134:135], v[128:129]
	s_wait_loadcnt_dscnt 0x301
	v_mul_f64_e32 v[140:141], v[4:5], v[154:155]
	v_mul_f64_e32 v[144:145], v[6:7], v[154:155]
	s_wait_loadcnt_dscnt 0x200
	v_mul_f64_e32 v[128:129], v[12:13], v[138:139]
	v_add_f64_e32 v[22:23], v[130:131], v[22:23]
	v_add_f64_e32 v[16:17], v[16:17], v[142:143]
	v_mul_f64_e32 v[130:131], v[14:15], v[138:139]
	v_fmac_f64_e32 v[140:141], v[6:7], v[152:153]
	v_fma_f64 v[132:133], v[4:5], v[152:153], -v[144:145]
	v_fmac_f64_e32 v[128:129], v[14:15], v[136:137]
	v_add_f64_e32 v[20:21], v[22:23], v[20:21]
	v_add_f64_e32 v[22:23], v[16:17], v[18:19]
	ds_load_b128 v[4:7], v2 offset:1600
	ds_load_b128 v[16:19], v2 offset:1616
	v_fma_f64 v[12:13], v[12:13], v[136:137], -v[130:131]
	s_wait_loadcnt_dscnt 0x101
	v_mul_f64_e32 v[2:3], v[4:5], v[170:171]
	v_mul_f64_e32 v[134:135], v[6:7], v[170:171]
	v_add_f64_e32 v[14:15], v[20:21], v[132:133]
	v_add_f64_e32 v[20:21], v[22:23], v[140:141]
	s_wait_loadcnt_dscnt 0x0
	v_mul_f64_e32 v[22:23], v[16:17], v[10:11]
	v_mul_f64_e32 v[10:11], v[18:19], v[10:11]
	v_fmac_f64_e32 v[2:3], v[6:7], v[168:169]
	v_fma_f64 v[4:5], v[4:5], v[168:169], -v[134:135]
	v_add_f64_e32 v[6:7], v[14:15], v[12:13]
	v_add_f64_e32 v[12:13], v[20:21], v[128:129]
	v_fmac_f64_e32 v[22:23], v[18:19], v[8:9]
	v_fma_f64 v[8:9], v[16:17], v[8:9], -v[10:11]
	s_delay_alu instid0(VALU_DEP_4) | instskip(NEXT) | instid1(VALU_DEP_4)
	v_add_f64_e32 v[4:5], v[6:7], v[4:5]
	v_add_f64_e32 v[2:3], v[12:13], v[2:3]
	s_delay_alu instid0(VALU_DEP_2) | instskip(NEXT) | instid1(VALU_DEP_2)
	v_add_f64_e32 v[4:5], v[4:5], v[8:9]
	v_add_f64_e32 v[6:7], v[2:3], v[22:23]
	s_delay_alu instid0(VALU_DEP_2) | instskip(NEXT) | instid1(VALU_DEP_2)
	v_add_f64_e64 v[2:3], v[160:161], -v[4:5]
	v_add_f64_e64 v[4:5], v[162:163], -v[6:7]
	scratch_store_b128 off, v[2:5], off offset:192
	s_wait_xcnt 0x0
	v_cmpx_lt_u32_e32 11, v1
	s_cbranch_execz .LBB50_297
; %bb.296:
	scratch_load_b128 v[2:5], off, s58
	v_mov_b32_e32 v6, 0
	s_delay_alu instid0(VALU_DEP_1)
	v_dual_mov_b32 v7, v6 :: v_dual_mov_b32 v8, v6
	v_mov_b32_e32 v9, v6
	scratch_store_b128 off, v[6:9], off offset:176
	s_wait_loadcnt 0x0
	ds_store_b128 v126, v[2:5]
.LBB50_297:
	s_wait_xcnt 0x0
	s_or_b32 exec_lo, exec_lo, s2
	s_wait_storecnt_dscnt 0x0
	s_barrier_signal -1
	s_barrier_wait -1
	s_clause 0x9
	scratch_load_b128 v[4:7], off, off offset:192
	scratch_load_b128 v[8:11], off, off offset:208
	;; [unrolled: 1-line block ×10, first 2 shown]
	v_mov_b32_e32 v2, 0
	s_mov_b32 s2, exec_lo
	ds_load_b128 v[148:151], v2 offset:1008
	s_clause 0x2
	scratch_load_b128 v[152:155], off, off offset:352
	scratch_load_b128 v[156:159], off, off offset:176
	;; [unrolled: 1-line block ×3, first 2 shown]
	s_wait_loadcnt_dscnt 0xc00
	v_mul_f64_e32 v[168:169], v[150:151], v[6:7]
	v_mul_f64_e32 v[172:173], v[148:149], v[6:7]
	ds_load_b128 v[160:163], v2 offset:1024
	v_fma_f64 v[176:177], v[148:149], v[4:5], -v[168:169]
	v_fmac_f64_e32 v[172:173], v[150:151], v[4:5]
	ds_load_b128 v[4:7], v2 offset:1040
	s_wait_loadcnt_dscnt 0xb01
	v_mul_f64_e32 v[174:175], v[160:161], v[10:11]
	v_mul_f64_e32 v[10:11], v[162:163], v[10:11]
	scratch_load_b128 v[148:151], off, off offset:384
	ds_load_b128 v[168:171], v2 offset:1056
	s_wait_loadcnt_dscnt 0xb01
	v_mul_f64_e32 v[178:179], v[4:5], v[14:15]
	v_mul_f64_e32 v[14:15], v[6:7], v[14:15]
	v_add_f64_e32 v[172:173], 0, v[172:173]
	v_fmac_f64_e32 v[174:175], v[162:163], v[8:9]
	v_fma_f64 v[160:161], v[160:161], v[8:9], -v[10:11]
	v_add_f64_e32 v[162:163], 0, v[176:177]
	scratch_load_b128 v[8:11], off, off offset:400
	v_fmac_f64_e32 v[178:179], v[6:7], v[12:13]
	v_fma_f64 v[180:181], v[4:5], v[12:13], -v[14:15]
	ds_load_b128 v[4:7], v2 offset:1072
	s_wait_loadcnt_dscnt 0xb01
	v_mul_f64_e32 v[176:177], v[168:169], v[18:19]
	v_mul_f64_e32 v[18:19], v[170:171], v[18:19]
	scratch_load_b128 v[12:15], off, off offset:416
	v_add_f64_e32 v[172:173], v[172:173], v[174:175]
	v_add_f64_e32 v[182:183], v[162:163], v[160:161]
	ds_load_b128 v[160:163], v2 offset:1088
	s_wait_loadcnt_dscnt 0xb01
	v_mul_f64_e32 v[174:175], v[4:5], v[22:23]
	v_mul_f64_e32 v[22:23], v[6:7], v[22:23]
	v_fmac_f64_e32 v[176:177], v[170:171], v[16:17]
	v_fma_f64 v[168:169], v[168:169], v[16:17], -v[18:19]
	scratch_load_b128 v[16:19], off, off offset:432
	v_add_f64_e32 v[172:173], v[172:173], v[178:179]
	v_add_f64_e32 v[170:171], v[182:183], v[180:181]
	v_fmac_f64_e32 v[174:175], v[6:7], v[20:21]
	v_fma_f64 v[180:181], v[4:5], v[20:21], -v[22:23]
	ds_load_b128 v[4:7], v2 offset:1104
	s_wait_loadcnt_dscnt 0xb01
	v_mul_f64_e32 v[178:179], v[160:161], v[130:131]
	v_mul_f64_e32 v[130:131], v[162:163], v[130:131]
	scratch_load_b128 v[20:23], off, off offset:448
	v_add_f64_e32 v[172:173], v[172:173], v[176:177]
	s_wait_loadcnt_dscnt 0xb00
	v_mul_f64_e32 v[176:177], v[4:5], v[134:135]
	v_add_f64_e32 v[182:183], v[170:171], v[168:169]
	v_mul_f64_e32 v[134:135], v[6:7], v[134:135]
	ds_load_b128 v[168:171], v2 offset:1120
	v_fmac_f64_e32 v[178:179], v[162:163], v[128:129]
	v_fma_f64 v[160:161], v[160:161], v[128:129], -v[130:131]
	scratch_load_b128 v[128:131], off, off offset:464
	v_add_f64_e32 v[172:173], v[172:173], v[174:175]
	v_fmac_f64_e32 v[176:177], v[6:7], v[132:133]
	v_add_f64_e32 v[162:163], v[182:183], v[180:181]
	v_fma_f64 v[180:181], v[4:5], v[132:133], -v[134:135]
	ds_load_b128 v[4:7], v2 offset:1136
	s_wait_loadcnt_dscnt 0xb01
	v_mul_f64_e32 v[174:175], v[168:169], v[138:139]
	v_mul_f64_e32 v[138:139], v[170:171], v[138:139]
	scratch_load_b128 v[132:135], off, off offset:480
	v_add_f64_e32 v[172:173], v[172:173], v[178:179]
	s_wait_loadcnt_dscnt 0xb00
	v_mul_f64_e32 v[178:179], v[4:5], v[142:143]
	v_add_f64_e32 v[182:183], v[162:163], v[160:161]
	v_mul_f64_e32 v[142:143], v[6:7], v[142:143]
	ds_load_b128 v[160:163], v2 offset:1152
	v_fmac_f64_e32 v[174:175], v[170:171], v[136:137]
	v_fma_f64 v[168:169], v[168:169], v[136:137], -v[138:139]
	scratch_load_b128 v[136:139], off, off offset:496
	v_add_f64_e32 v[172:173], v[172:173], v[176:177]
	v_fmac_f64_e32 v[178:179], v[6:7], v[140:141]
	v_add_f64_e32 v[170:171], v[182:183], v[180:181]
	;; [unrolled: 18-line block ×3, first 2 shown]
	v_fma_f64 v[180:181], v[4:5], v[152:153], -v[154:155]
	ds_load_b128 v[4:7], v2 offset:1200
	s_wait_loadcnt_dscnt 0xa01
	v_mul_f64_e32 v[178:179], v[168:169], v[166:167]
	v_mul_f64_e32 v[166:167], v[170:171], v[166:167]
	scratch_load_b128 v[152:155], off, off offset:544
	v_add_f64_e32 v[172:173], v[172:173], v[176:177]
	v_add_f64_e32 v[182:183], v[162:163], v[160:161]
	s_wait_loadcnt_dscnt 0xa00
	v_mul_f64_e32 v[176:177], v[4:5], v[150:151]
	v_mul_f64_e32 v[150:151], v[6:7], v[150:151]
	v_fmac_f64_e32 v[178:179], v[170:171], v[164:165]
	v_fma_f64 v[168:169], v[168:169], v[164:165], -v[166:167]
	ds_load_b128 v[160:163], v2 offset:1216
	scratch_load_b128 v[164:167], off, off offset:560
	v_add_f64_e32 v[172:173], v[172:173], v[174:175]
	v_add_f64_e32 v[170:171], v[182:183], v[180:181]
	v_fmac_f64_e32 v[176:177], v[6:7], v[148:149]
	v_fma_f64 v[180:181], v[4:5], v[148:149], -v[150:151]
	ds_load_b128 v[4:7], v2 offset:1232
	s_wait_loadcnt_dscnt 0xa01
	v_mul_f64_e32 v[174:175], v[160:161], v[10:11]
	v_mul_f64_e32 v[10:11], v[162:163], v[10:11]
	scratch_load_b128 v[148:151], off, off offset:576
	v_add_f64_e32 v[172:173], v[172:173], v[178:179]
	s_wait_loadcnt_dscnt 0xa00
	v_mul_f64_e32 v[178:179], v[4:5], v[14:15]
	v_add_f64_e32 v[182:183], v[170:171], v[168:169]
	v_mul_f64_e32 v[14:15], v[6:7], v[14:15]
	ds_load_b128 v[168:171], v2 offset:1248
	v_fmac_f64_e32 v[174:175], v[162:163], v[8:9]
	v_fma_f64 v[160:161], v[160:161], v[8:9], -v[10:11]
	scratch_load_b128 v[8:11], off, off offset:592
	v_add_f64_e32 v[172:173], v[172:173], v[176:177]
	v_fmac_f64_e32 v[178:179], v[6:7], v[12:13]
	v_add_f64_e32 v[162:163], v[182:183], v[180:181]
	v_fma_f64 v[180:181], v[4:5], v[12:13], -v[14:15]
	ds_load_b128 v[4:7], v2 offset:1264
	s_wait_loadcnt_dscnt 0xa01
	v_mul_f64_e32 v[176:177], v[168:169], v[18:19]
	v_mul_f64_e32 v[18:19], v[170:171], v[18:19]
	scratch_load_b128 v[12:15], off, off offset:608
	v_add_f64_e32 v[172:173], v[172:173], v[174:175]
	s_wait_loadcnt_dscnt 0xa00
	v_mul_f64_e32 v[174:175], v[4:5], v[22:23]
	v_add_f64_e32 v[182:183], v[162:163], v[160:161]
	v_mul_f64_e32 v[22:23], v[6:7], v[22:23]
	ds_load_b128 v[160:163], v2 offset:1280
	v_fmac_f64_e32 v[176:177], v[170:171], v[16:17]
	v_fma_f64 v[168:169], v[168:169], v[16:17], -v[18:19]
	scratch_load_b128 v[16:19], off, off offset:624
	v_add_f64_e32 v[172:173], v[172:173], v[178:179]
	v_fmac_f64_e32 v[174:175], v[6:7], v[20:21]
	v_add_f64_e32 v[170:171], v[182:183], v[180:181]
	v_fma_f64 v[180:181], v[4:5], v[20:21], -v[22:23]
	ds_load_b128 v[4:7], v2 offset:1296
	s_wait_loadcnt_dscnt 0xa01
	v_mul_f64_e32 v[178:179], v[160:161], v[130:131]
	v_mul_f64_e32 v[130:131], v[162:163], v[130:131]
	scratch_load_b128 v[20:23], off, off offset:640
	v_add_f64_e32 v[172:173], v[172:173], v[176:177]
	s_wait_loadcnt_dscnt 0xa00
	v_mul_f64_e32 v[176:177], v[4:5], v[134:135]
	v_add_f64_e32 v[182:183], v[170:171], v[168:169]
	v_mul_f64_e32 v[134:135], v[6:7], v[134:135]
	ds_load_b128 v[168:171], v2 offset:1312
	v_fmac_f64_e32 v[178:179], v[162:163], v[128:129]
	v_fma_f64 v[160:161], v[160:161], v[128:129], -v[130:131]
	scratch_load_b128 v[128:131], off, off offset:656
	v_add_f64_e32 v[172:173], v[172:173], v[174:175]
	v_fmac_f64_e32 v[176:177], v[6:7], v[132:133]
	v_add_f64_e32 v[162:163], v[182:183], v[180:181]
	v_fma_f64 v[180:181], v[4:5], v[132:133], -v[134:135]
	ds_load_b128 v[4:7], v2 offset:1328
	s_wait_loadcnt_dscnt 0xa01
	v_mul_f64_e32 v[174:175], v[168:169], v[138:139]
	v_mul_f64_e32 v[138:139], v[170:171], v[138:139]
	scratch_load_b128 v[132:135], off, off offset:672
	v_add_f64_e32 v[172:173], v[172:173], v[178:179]
	s_wait_loadcnt_dscnt 0xa00
	v_mul_f64_e32 v[178:179], v[4:5], v[142:143]
	v_add_f64_e32 v[182:183], v[162:163], v[160:161]
	v_mul_f64_e32 v[142:143], v[6:7], v[142:143]
	ds_load_b128 v[160:163], v2 offset:1344
	v_fmac_f64_e32 v[174:175], v[170:171], v[136:137]
	v_fma_f64 v[168:169], v[168:169], v[136:137], -v[138:139]
	scratch_load_b128 v[136:139], off, off offset:688
	v_add_f64_e32 v[172:173], v[172:173], v[176:177]
	v_fmac_f64_e32 v[178:179], v[6:7], v[140:141]
	v_add_f64_e32 v[170:171], v[182:183], v[180:181]
	v_fma_f64 v[180:181], v[4:5], v[140:141], -v[142:143]
	ds_load_b128 v[4:7], v2 offset:1360
	s_wait_loadcnt_dscnt 0xa01
	v_mul_f64_e32 v[176:177], v[160:161], v[146:147]
	v_mul_f64_e32 v[146:147], v[162:163], v[146:147]
	scratch_load_b128 v[140:143], off, off offset:704
	v_add_f64_e32 v[172:173], v[172:173], v[174:175]
	s_wait_loadcnt_dscnt 0xa00
	v_mul_f64_e32 v[174:175], v[4:5], v[154:155]
	v_add_f64_e32 v[182:183], v[170:171], v[168:169]
	v_mul_f64_e32 v[154:155], v[6:7], v[154:155]
	ds_load_b128 v[168:171], v2 offset:1376
	v_fmac_f64_e32 v[176:177], v[162:163], v[144:145]
	v_fma_f64 v[160:161], v[160:161], v[144:145], -v[146:147]
	scratch_load_b128 v[144:147], off, off offset:720
	v_add_f64_e32 v[172:173], v[172:173], v[178:179]
	v_fmac_f64_e32 v[174:175], v[6:7], v[152:153]
	v_add_f64_e32 v[162:163], v[182:183], v[180:181]
	v_fma_f64 v[180:181], v[4:5], v[152:153], -v[154:155]
	ds_load_b128 v[4:7], v2 offset:1392
	s_wait_loadcnt_dscnt 0xa01
	v_mul_f64_e32 v[178:179], v[168:169], v[166:167]
	v_mul_f64_e32 v[166:167], v[170:171], v[166:167]
	scratch_load_b128 v[152:155], off, off offset:736
	v_add_f64_e32 v[172:173], v[172:173], v[176:177]
	s_wait_loadcnt_dscnt 0xa00
	v_mul_f64_e32 v[176:177], v[4:5], v[150:151]
	v_add_f64_e32 v[182:183], v[162:163], v[160:161]
	v_mul_f64_e32 v[150:151], v[6:7], v[150:151]
	ds_load_b128 v[160:163], v2 offset:1408
	v_fmac_f64_e32 v[178:179], v[170:171], v[164:165]
	v_fma_f64 v[168:169], v[168:169], v[164:165], -v[166:167]
	scratch_load_b128 v[164:167], off, off offset:752
	v_add_f64_e32 v[172:173], v[172:173], v[174:175]
	v_fmac_f64_e32 v[176:177], v[6:7], v[148:149]
	v_add_f64_e32 v[170:171], v[182:183], v[180:181]
	v_fma_f64 v[180:181], v[4:5], v[148:149], -v[150:151]
	ds_load_b128 v[4:7], v2 offset:1424
	s_wait_loadcnt_dscnt 0xa01
	v_mul_f64_e32 v[174:175], v[160:161], v[10:11]
	v_mul_f64_e32 v[10:11], v[162:163], v[10:11]
	scratch_load_b128 v[148:151], off, off offset:768
	v_add_f64_e32 v[172:173], v[172:173], v[178:179]
	s_wait_loadcnt_dscnt 0xa00
	v_mul_f64_e32 v[178:179], v[4:5], v[14:15]
	v_add_f64_e32 v[182:183], v[170:171], v[168:169]
	v_mul_f64_e32 v[14:15], v[6:7], v[14:15]
	ds_load_b128 v[168:171], v2 offset:1440
	v_fmac_f64_e32 v[174:175], v[162:163], v[8:9]
	v_fma_f64 v[160:161], v[160:161], v[8:9], -v[10:11]
	scratch_load_b128 v[8:11], off, off offset:784
	v_add_f64_e32 v[172:173], v[172:173], v[176:177]
	v_fmac_f64_e32 v[178:179], v[6:7], v[12:13]
	v_add_f64_e32 v[162:163], v[182:183], v[180:181]
	v_fma_f64 v[180:181], v[4:5], v[12:13], -v[14:15]
	ds_load_b128 v[4:7], v2 offset:1456
	s_wait_loadcnt_dscnt 0xa01
	v_mul_f64_e32 v[176:177], v[168:169], v[18:19]
	v_mul_f64_e32 v[18:19], v[170:171], v[18:19]
	scratch_load_b128 v[12:15], off, off offset:800
	v_add_f64_e32 v[172:173], v[172:173], v[174:175]
	s_wait_loadcnt_dscnt 0xa00
	v_mul_f64_e32 v[174:175], v[4:5], v[22:23]
	v_add_f64_e32 v[182:183], v[162:163], v[160:161]
	v_mul_f64_e32 v[22:23], v[6:7], v[22:23]
	ds_load_b128 v[160:163], v2 offset:1472
	v_fmac_f64_e32 v[176:177], v[170:171], v[16:17]
	v_fma_f64 v[16:17], v[168:169], v[16:17], -v[18:19]
	s_wait_loadcnt_dscnt 0x900
	v_mul_f64_e32 v[170:171], v[160:161], v[130:131]
	v_mul_f64_e32 v[130:131], v[162:163], v[130:131]
	v_add_f64_e32 v[168:169], v[172:173], v[178:179]
	v_fmac_f64_e32 v[174:175], v[6:7], v[20:21]
	v_add_f64_e32 v[18:19], v[182:183], v[180:181]
	v_fma_f64 v[20:21], v[4:5], v[20:21], -v[22:23]
	v_fmac_f64_e32 v[170:171], v[162:163], v[128:129]
	v_fma_f64 v[128:129], v[160:161], v[128:129], -v[130:131]
	v_add_f64_e32 v[168:169], v[168:169], v[176:177]
	v_add_f64_e32 v[22:23], v[18:19], v[16:17]
	ds_load_b128 v[4:7], v2 offset:1488
	ds_load_b128 v[16:19], v2 offset:1504
	s_wait_loadcnt_dscnt 0x801
	v_mul_f64_e32 v[172:173], v[4:5], v[134:135]
	v_mul_f64_e32 v[134:135], v[6:7], v[134:135]
	s_wait_loadcnt_dscnt 0x700
	v_mul_f64_e32 v[130:131], v[16:17], v[138:139]
	v_mul_f64_e32 v[138:139], v[18:19], v[138:139]
	v_add_f64_e32 v[20:21], v[22:23], v[20:21]
	v_add_f64_e32 v[22:23], v[168:169], v[174:175]
	v_fmac_f64_e32 v[172:173], v[6:7], v[132:133]
	v_fma_f64 v[132:133], v[4:5], v[132:133], -v[134:135]
	v_fmac_f64_e32 v[130:131], v[18:19], v[136:137]
	v_fma_f64 v[16:17], v[16:17], v[136:137], -v[138:139]
	v_add_f64_e32 v[128:129], v[20:21], v[128:129]
	v_add_f64_e32 v[134:135], v[22:23], v[170:171]
	ds_load_b128 v[4:7], v2 offset:1520
	ds_load_b128 v[20:23], v2 offset:1536
	s_wait_loadcnt_dscnt 0x601
	v_mul_f64_e32 v[160:161], v[4:5], v[142:143]
	v_mul_f64_e32 v[142:143], v[6:7], v[142:143]
	v_add_f64_e32 v[18:19], v[128:129], v[132:133]
	v_add_f64_e32 v[128:129], v[134:135], v[172:173]
	s_wait_loadcnt_dscnt 0x500
	v_mul_f64_e32 v[132:133], v[20:21], v[146:147]
	v_mul_f64_e32 v[134:135], v[22:23], v[146:147]
	v_fmac_f64_e32 v[160:161], v[6:7], v[140:141]
	v_fma_f64 v[136:137], v[4:5], v[140:141], -v[142:143]
	v_add_f64_e32 v[138:139], v[18:19], v[16:17]
	v_add_f64_e32 v[128:129], v[128:129], v[130:131]
	ds_load_b128 v[4:7], v2 offset:1552
	ds_load_b128 v[16:19], v2 offset:1568
	v_fmac_f64_e32 v[132:133], v[22:23], v[144:145]
	v_fma_f64 v[20:21], v[20:21], v[144:145], -v[134:135]
	s_wait_loadcnt_dscnt 0x401
	v_mul_f64_e32 v[130:131], v[4:5], v[154:155]
	v_mul_f64_e32 v[140:141], v[6:7], v[154:155]
	s_wait_loadcnt_dscnt 0x300
	v_mul_f64_e32 v[134:135], v[16:17], v[166:167]
	v_add_f64_e32 v[22:23], v[138:139], v[136:137]
	v_add_f64_e32 v[128:129], v[128:129], v[160:161]
	v_mul_f64_e32 v[136:137], v[18:19], v[166:167]
	v_fmac_f64_e32 v[130:131], v[6:7], v[152:153]
	v_fma_f64 v[138:139], v[4:5], v[152:153], -v[140:141]
	v_fmac_f64_e32 v[134:135], v[18:19], v[164:165]
	v_add_f64_e32 v[140:141], v[22:23], v[20:21]
	v_add_f64_e32 v[128:129], v[128:129], v[132:133]
	ds_load_b128 v[4:7], v2 offset:1584
	ds_load_b128 v[20:23], v2 offset:1600
	v_fma_f64 v[16:17], v[16:17], v[164:165], -v[136:137]
	s_wait_loadcnt_dscnt 0x201
	v_mul_f64_e32 v[132:133], v[4:5], v[150:151]
	v_mul_f64_e32 v[142:143], v[6:7], v[150:151]
	v_add_f64_e32 v[18:19], v[140:141], v[138:139]
	v_add_f64_e32 v[128:129], v[128:129], v[130:131]
	s_wait_loadcnt_dscnt 0x100
	v_mul_f64_e32 v[130:131], v[20:21], v[10:11]
	v_mul_f64_e32 v[10:11], v[22:23], v[10:11]
	v_fmac_f64_e32 v[132:133], v[6:7], v[148:149]
	v_fma_f64 v[136:137], v[4:5], v[148:149], -v[142:143]
	ds_load_b128 v[4:7], v2 offset:1616
	v_add_f64_e32 v[16:17], v[18:19], v[16:17]
	v_add_f64_e32 v[18:19], v[128:129], v[134:135]
	v_fmac_f64_e32 v[130:131], v[22:23], v[8:9]
	v_fma_f64 v[8:9], v[20:21], v[8:9], -v[10:11]
	s_wait_loadcnt_dscnt 0x0
	v_mul_f64_e32 v[128:129], v[4:5], v[14:15]
	v_mul_f64_e32 v[14:15], v[6:7], v[14:15]
	v_add_f64_e32 v[10:11], v[16:17], v[136:137]
	v_add_f64_e32 v[16:17], v[18:19], v[132:133]
	s_delay_alu instid0(VALU_DEP_4) | instskip(NEXT) | instid1(VALU_DEP_4)
	v_fmac_f64_e32 v[128:129], v[6:7], v[12:13]
	v_fma_f64 v[4:5], v[4:5], v[12:13], -v[14:15]
	s_delay_alu instid0(VALU_DEP_4) | instskip(NEXT) | instid1(VALU_DEP_4)
	v_add_f64_e32 v[6:7], v[10:11], v[8:9]
	v_add_f64_e32 v[8:9], v[16:17], v[130:131]
	s_delay_alu instid0(VALU_DEP_2) | instskip(NEXT) | instid1(VALU_DEP_2)
	v_add_f64_e32 v[4:5], v[6:7], v[4:5]
	v_add_f64_e32 v[6:7], v[8:9], v[128:129]
	s_delay_alu instid0(VALU_DEP_2) | instskip(NEXT) | instid1(VALU_DEP_2)
	v_add_f64_e64 v[4:5], v[156:157], -v[4:5]
	v_add_f64_e64 v[6:7], v[158:159], -v[6:7]
	scratch_store_b128 off, v[4:7], off offset:176
	s_wait_xcnt 0x0
	v_cmpx_lt_u32_e32 10, v1
	s_cbranch_execz .LBB50_299
; %bb.298:
	scratch_load_b128 v[6:9], off, s55
	v_dual_mov_b32 v3, v2 :: v_dual_mov_b32 v4, v2
	v_mov_b32_e32 v5, v2
	scratch_store_b128 off, v[2:5], off offset:160
	s_wait_loadcnt 0x0
	ds_store_b128 v126, v[6:9]
.LBB50_299:
	s_wait_xcnt 0x0
	s_or_b32 exec_lo, exec_lo, s2
	s_wait_storecnt_dscnt 0x0
	s_barrier_signal -1
	s_barrier_wait -1
	s_clause 0x9
	scratch_load_b128 v[4:7], off, off offset:176
	scratch_load_b128 v[8:11], off, off offset:192
	;; [unrolled: 1-line block ×10, first 2 shown]
	ds_load_b128 v[148:151], v2 offset:992
	ds_load_b128 v[156:159], v2 offset:1008
	s_clause 0x2
	scratch_load_b128 v[152:155], off, off offset:336
	scratch_load_b128 v[160:163], off, off offset:160
	;; [unrolled: 1-line block ×3, first 2 shown]
	s_mov_b32 s2, exec_lo
	s_wait_loadcnt_dscnt 0xc01
	v_mul_f64_e32 v[168:169], v[150:151], v[6:7]
	v_mul_f64_e32 v[172:173], v[148:149], v[6:7]
	s_wait_loadcnt_dscnt 0xb00
	v_mul_f64_e32 v[174:175], v[156:157], v[10:11]
	v_mul_f64_e32 v[10:11], v[158:159], v[10:11]
	s_delay_alu instid0(VALU_DEP_4) | instskip(NEXT) | instid1(VALU_DEP_4)
	v_fma_f64 v[176:177], v[148:149], v[4:5], -v[168:169]
	v_fmac_f64_e32 v[172:173], v[150:151], v[4:5]
	ds_load_b128 v[4:7], v2 offset:1024
	ds_load_b128 v[148:151], v2 offset:1040
	scratch_load_b128 v[168:171], off, off offset:368
	v_fmac_f64_e32 v[174:175], v[158:159], v[8:9]
	v_fma_f64 v[156:157], v[156:157], v[8:9], -v[10:11]
	scratch_load_b128 v[8:11], off, off offset:384
	s_wait_loadcnt_dscnt 0xc01
	v_mul_f64_e32 v[178:179], v[4:5], v[14:15]
	v_mul_f64_e32 v[14:15], v[6:7], v[14:15]
	v_add_f64_e32 v[158:159], 0, v[176:177]
	v_add_f64_e32 v[172:173], 0, v[172:173]
	s_wait_loadcnt_dscnt 0xb00
	v_mul_f64_e32 v[176:177], v[148:149], v[18:19]
	v_mul_f64_e32 v[18:19], v[150:151], v[18:19]
	v_fmac_f64_e32 v[178:179], v[6:7], v[12:13]
	v_fma_f64 v[180:181], v[4:5], v[12:13], -v[14:15]
	ds_load_b128 v[4:7], v2 offset:1056
	ds_load_b128 v[12:15], v2 offset:1072
	v_add_f64_e32 v[182:183], v[158:159], v[156:157]
	v_add_f64_e32 v[172:173], v[172:173], v[174:175]
	scratch_load_b128 v[156:159], off, off offset:400
	v_fmac_f64_e32 v[176:177], v[150:151], v[16:17]
	v_fma_f64 v[148:149], v[148:149], v[16:17], -v[18:19]
	scratch_load_b128 v[16:19], off, off offset:416
	s_wait_loadcnt_dscnt 0xc01
	v_mul_f64_e32 v[174:175], v[4:5], v[22:23]
	v_mul_f64_e32 v[22:23], v[6:7], v[22:23]
	v_add_f64_e32 v[150:151], v[182:183], v[180:181]
	v_add_f64_e32 v[172:173], v[172:173], v[178:179]
	s_wait_loadcnt_dscnt 0xb00
	v_mul_f64_e32 v[178:179], v[12:13], v[130:131]
	v_mul_f64_e32 v[130:131], v[14:15], v[130:131]
	v_fmac_f64_e32 v[174:175], v[6:7], v[20:21]
	v_fma_f64 v[180:181], v[4:5], v[20:21], -v[22:23]
	ds_load_b128 v[4:7], v2 offset:1088
	ds_load_b128 v[20:23], v2 offset:1104
	v_add_f64_e32 v[182:183], v[150:151], v[148:149]
	v_add_f64_e32 v[172:173], v[172:173], v[176:177]
	scratch_load_b128 v[148:151], off, off offset:432
	s_wait_loadcnt_dscnt 0xb01
	v_mul_f64_e32 v[176:177], v[4:5], v[134:135]
	v_mul_f64_e32 v[134:135], v[6:7], v[134:135]
	v_fmac_f64_e32 v[178:179], v[14:15], v[128:129]
	v_fma_f64 v[128:129], v[12:13], v[128:129], -v[130:131]
	scratch_load_b128 v[12:15], off, off offset:448
	v_add_f64_e32 v[130:131], v[182:183], v[180:181]
	v_add_f64_e32 v[172:173], v[172:173], v[174:175]
	s_wait_loadcnt_dscnt 0xb00
	v_mul_f64_e32 v[174:175], v[20:21], v[138:139]
	v_mul_f64_e32 v[138:139], v[22:23], v[138:139]
	v_fmac_f64_e32 v[176:177], v[6:7], v[132:133]
	v_fma_f64 v[180:181], v[4:5], v[132:133], -v[134:135]
	v_add_f64_e32 v[182:183], v[130:131], v[128:129]
	v_add_f64_e32 v[172:173], v[172:173], v[178:179]
	ds_load_b128 v[4:7], v2 offset:1120
	ds_load_b128 v[128:131], v2 offset:1136
	scratch_load_b128 v[132:135], off, off offset:464
	v_fmac_f64_e32 v[174:175], v[22:23], v[136:137]
	v_fma_f64 v[136:137], v[20:21], v[136:137], -v[138:139]
	scratch_load_b128 v[20:23], off, off offset:480
	s_wait_loadcnt_dscnt 0xc01
	v_mul_f64_e32 v[178:179], v[4:5], v[142:143]
	v_mul_f64_e32 v[142:143], v[6:7], v[142:143]
	v_add_f64_e32 v[138:139], v[182:183], v[180:181]
	v_add_f64_e32 v[172:173], v[172:173], v[176:177]
	s_wait_loadcnt_dscnt 0xb00
	v_mul_f64_e32 v[176:177], v[128:129], v[146:147]
	v_mul_f64_e32 v[146:147], v[130:131], v[146:147]
	v_fmac_f64_e32 v[178:179], v[6:7], v[140:141]
	v_fma_f64 v[180:181], v[4:5], v[140:141], -v[142:143]
	v_add_f64_e32 v[182:183], v[138:139], v[136:137]
	v_add_f64_e32 v[172:173], v[172:173], v[174:175]
	ds_load_b128 v[4:7], v2 offset:1152
	ds_load_b128 v[136:139], v2 offset:1168
	scratch_load_b128 v[140:143], off, off offset:496
	v_fmac_f64_e32 v[176:177], v[130:131], v[144:145]
	v_fma_f64 v[144:145], v[128:129], v[144:145], -v[146:147]
	scratch_load_b128 v[128:131], off, off offset:512
	s_wait_loadcnt_dscnt 0xc01
	v_mul_f64_e32 v[174:175], v[4:5], v[154:155]
	v_mul_f64_e32 v[154:155], v[6:7], v[154:155]
	;; [unrolled: 18-line block ×5, first 2 shown]
	v_add_f64_e32 v[166:167], v[182:183], v[180:181]
	v_add_f64_e32 v[172:173], v[172:173], v[178:179]
	s_wait_loadcnt_dscnt 0xa00
	v_mul_f64_e32 v[178:179], v[144:145], v[14:15]
	v_mul_f64_e32 v[14:15], v[146:147], v[14:15]
	v_fmac_f64_e32 v[174:175], v[6:7], v[148:149]
	v_fma_f64 v[180:181], v[4:5], v[148:149], -v[150:151]
	ds_load_b128 v[4:7], v2 offset:1280
	ds_load_b128 v[148:151], v2 offset:1296
	v_add_f64_e32 v[182:183], v[166:167], v[164:165]
	v_add_f64_e32 v[172:173], v[172:173], v[176:177]
	scratch_load_b128 v[164:167], off, off offset:624
	v_fmac_f64_e32 v[178:179], v[146:147], v[12:13]
	v_fma_f64 v[144:145], v[144:145], v[12:13], -v[14:15]
	scratch_load_b128 v[12:15], off, off offset:640
	s_wait_loadcnt_dscnt 0xb01
	v_mul_f64_e32 v[176:177], v[4:5], v[134:135]
	v_mul_f64_e32 v[134:135], v[6:7], v[134:135]
	v_add_f64_e32 v[146:147], v[182:183], v[180:181]
	v_add_f64_e32 v[172:173], v[172:173], v[174:175]
	s_wait_loadcnt_dscnt 0xa00
	v_mul_f64_e32 v[174:175], v[148:149], v[22:23]
	v_mul_f64_e32 v[22:23], v[150:151], v[22:23]
	v_fmac_f64_e32 v[176:177], v[6:7], v[132:133]
	v_fma_f64 v[180:181], v[4:5], v[132:133], -v[134:135]
	ds_load_b128 v[4:7], v2 offset:1312
	ds_load_b128 v[132:135], v2 offset:1328
	v_add_f64_e32 v[182:183], v[146:147], v[144:145]
	v_add_f64_e32 v[172:173], v[172:173], v[178:179]
	scratch_load_b128 v[144:147], off, off offset:656
	s_wait_loadcnt_dscnt 0xa01
	v_mul_f64_e32 v[178:179], v[4:5], v[142:143]
	v_mul_f64_e32 v[142:143], v[6:7], v[142:143]
	v_fmac_f64_e32 v[174:175], v[150:151], v[20:21]
	v_fma_f64 v[148:149], v[148:149], v[20:21], -v[22:23]
	scratch_load_b128 v[20:23], off, off offset:672
	v_add_f64_e32 v[150:151], v[182:183], v[180:181]
	v_add_f64_e32 v[172:173], v[172:173], v[176:177]
	s_wait_loadcnt_dscnt 0xa00
	v_mul_f64_e32 v[176:177], v[132:133], v[130:131]
	v_mul_f64_e32 v[130:131], v[134:135], v[130:131]
	v_fmac_f64_e32 v[178:179], v[6:7], v[140:141]
	v_fma_f64 v[180:181], v[4:5], v[140:141], -v[142:143]
	ds_load_b128 v[4:7], v2 offset:1344
	ds_load_b128 v[140:143], v2 offset:1360
	v_add_f64_e32 v[182:183], v[150:151], v[148:149]
	v_add_f64_e32 v[172:173], v[172:173], v[174:175]
	scratch_load_b128 v[148:151], off, off offset:688
	s_wait_loadcnt_dscnt 0xa01
	v_mul_f64_e32 v[174:175], v[4:5], v[154:155]
	v_mul_f64_e32 v[154:155], v[6:7], v[154:155]
	v_fmac_f64_e32 v[176:177], v[134:135], v[128:129]
	v_fma_f64 v[132:133], v[132:133], v[128:129], -v[130:131]
	scratch_load_b128 v[128:131], off, off offset:704
	v_add_f64_e32 v[134:135], v[182:183], v[180:181]
	v_add_f64_e32 v[172:173], v[172:173], v[178:179]
	s_wait_loadcnt_dscnt 0xa00
	v_mul_f64_e32 v[178:179], v[140:141], v[138:139]
	v_mul_f64_e32 v[138:139], v[142:143], v[138:139]
	v_fmac_f64_e32 v[174:175], v[6:7], v[152:153]
	v_fma_f64 v[180:181], v[4:5], v[152:153], -v[154:155]
	v_add_f64_e32 v[182:183], v[134:135], v[132:133]
	v_add_f64_e32 v[172:173], v[172:173], v[176:177]
	ds_load_b128 v[4:7], v2 offset:1376
	ds_load_b128 v[132:135], v2 offset:1392
	scratch_load_b128 v[152:155], off, off offset:720
	v_fmac_f64_e32 v[178:179], v[142:143], v[136:137]
	v_fma_f64 v[140:141], v[140:141], v[136:137], -v[138:139]
	scratch_load_b128 v[136:139], off, off offset:736
	s_wait_loadcnt_dscnt 0xb01
	v_mul_f64_e32 v[176:177], v[4:5], v[170:171]
	v_mul_f64_e32 v[170:171], v[6:7], v[170:171]
	v_add_f64_e32 v[142:143], v[182:183], v[180:181]
	v_add_f64_e32 v[172:173], v[172:173], v[174:175]
	s_wait_loadcnt_dscnt 0xa00
	v_mul_f64_e32 v[174:175], v[132:133], v[10:11]
	v_mul_f64_e32 v[10:11], v[134:135], v[10:11]
	v_fmac_f64_e32 v[176:177], v[6:7], v[168:169]
	v_fma_f64 v[180:181], v[4:5], v[168:169], -v[170:171]
	v_add_f64_e32 v[182:183], v[142:143], v[140:141]
	v_add_f64_e32 v[172:173], v[172:173], v[178:179]
	ds_load_b128 v[4:7], v2 offset:1408
	ds_load_b128 v[140:143], v2 offset:1424
	scratch_load_b128 v[168:171], off, off offset:752
	v_fmac_f64_e32 v[174:175], v[134:135], v[8:9]
	v_fma_f64 v[132:133], v[132:133], v[8:9], -v[10:11]
	scratch_load_b128 v[8:11], off, off offset:768
	s_wait_loadcnt_dscnt 0xb01
	v_mul_f64_e32 v[178:179], v[4:5], v[158:159]
	v_mul_f64_e32 v[158:159], v[6:7], v[158:159]
	;; [unrolled: 18-line block ×3, first 2 shown]
	v_add_f64_e32 v[142:143], v[182:183], v[180:181]
	v_add_f64_e32 v[172:173], v[172:173], v[178:179]
	s_wait_loadcnt_dscnt 0xa00
	v_mul_f64_e32 v[178:179], v[132:133], v[14:15]
	v_mul_f64_e32 v[14:15], v[134:135], v[14:15]
	v_fmac_f64_e32 v[174:175], v[6:7], v[164:165]
	v_fma_f64 v[164:165], v[4:5], v[164:165], -v[166:167]
	v_add_f64_e32 v[166:167], v[142:143], v[140:141]
	v_add_f64_e32 v[172:173], v[172:173], v[176:177]
	ds_load_b128 v[4:7], v2 offset:1472
	ds_load_b128 v[140:143], v2 offset:1488
	v_fmac_f64_e32 v[178:179], v[134:135], v[12:13]
	v_fma_f64 v[12:13], v[132:133], v[12:13], -v[14:15]
	s_wait_loadcnt_dscnt 0x901
	v_mul_f64_e32 v[176:177], v[4:5], v[146:147]
	v_mul_f64_e32 v[146:147], v[6:7], v[146:147]
	s_wait_loadcnt_dscnt 0x800
	v_mul_f64_e32 v[134:135], v[140:141], v[22:23]
	v_mul_f64_e32 v[22:23], v[142:143], v[22:23]
	v_add_f64_e32 v[14:15], v[166:167], v[164:165]
	v_add_f64_e32 v[132:133], v[172:173], v[174:175]
	v_fmac_f64_e32 v[176:177], v[6:7], v[144:145]
	v_fma_f64 v[144:145], v[4:5], v[144:145], -v[146:147]
	v_fmac_f64_e32 v[134:135], v[142:143], v[20:21]
	v_fma_f64 v[20:21], v[140:141], v[20:21], -v[22:23]
	v_add_f64_e32 v[146:147], v[14:15], v[12:13]
	v_add_f64_e32 v[132:133], v[132:133], v[178:179]
	ds_load_b128 v[4:7], v2 offset:1504
	ds_load_b128 v[12:15], v2 offset:1520
	s_wait_loadcnt_dscnt 0x701
	v_mul_f64_e32 v[164:165], v[4:5], v[150:151]
	v_mul_f64_e32 v[150:151], v[6:7], v[150:151]
	s_wait_loadcnt_dscnt 0x600
	v_mul_f64_e32 v[140:141], v[12:13], v[130:131]
	v_mul_f64_e32 v[130:131], v[14:15], v[130:131]
	v_add_f64_e32 v[22:23], v[146:147], v[144:145]
	v_add_f64_e32 v[132:133], v[132:133], v[176:177]
	v_fmac_f64_e32 v[164:165], v[6:7], v[148:149]
	v_fma_f64 v[142:143], v[4:5], v[148:149], -v[150:151]
	v_fmac_f64_e32 v[140:141], v[14:15], v[128:129]
	v_fma_f64 v[12:13], v[12:13], v[128:129], -v[130:131]
	v_add_f64_e32 v[144:145], v[22:23], v[20:21]
	v_add_f64_e32 v[132:133], v[132:133], v[134:135]
	ds_load_b128 v[4:7], v2 offset:1536
	ds_load_b128 v[20:23], v2 offset:1552
	s_wait_loadcnt_dscnt 0x501
	v_mul_f64_e32 v[134:135], v[4:5], v[154:155]
	v_mul_f64_e32 v[146:147], v[6:7], v[154:155]
	s_wait_loadcnt_dscnt 0x400
	v_mul_f64_e32 v[130:131], v[20:21], v[138:139]
	v_add_f64_e32 v[14:15], v[144:145], v[142:143]
	v_add_f64_e32 v[128:129], v[132:133], v[164:165]
	v_mul_f64_e32 v[132:133], v[22:23], v[138:139]
	v_fmac_f64_e32 v[134:135], v[6:7], v[152:153]
	v_fma_f64 v[138:139], v[4:5], v[152:153], -v[146:147]
	v_fmac_f64_e32 v[130:131], v[22:23], v[136:137]
	v_add_f64_e32 v[142:143], v[14:15], v[12:13]
	v_add_f64_e32 v[128:129], v[128:129], v[140:141]
	ds_load_b128 v[4:7], v2 offset:1568
	ds_load_b128 v[12:15], v2 offset:1584
	v_fma_f64 v[20:21], v[20:21], v[136:137], -v[132:133]
	s_wait_loadcnt_dscnt 0x301
	v_mul_f64_e32 v[140:141], v[4:5], v[170:171]
	v_mul_f64_e32 v[144:145], v[6:7], v[170:171]
	s_wait_loadcnt_dscnt 0x200
	v_mul_f64_e32 v[132:133], v[12:13], v[10:11]
	v_mul_f64_e32 v[10:11], v[14:15], v[10:11]
	v_add_f64_e32 v[22:23], v[142:143], v[138:139]
	v_add_f64_e32 v[128:129], v[128:129], v[134:135]
	v_fmac_f64_e32 v[140:141], v[6:7], v[168:169]
	v_fma_f64 v[134:135], v[4:5], v[168:169], -v[144:145]
	v_fmac_f64_e32 v[132:133], v[14:15], v[8:9]
	v_fma_f64 v[8:9], v[12:13], v[8:9], -v[10:11]
	v_add_f64_e32 v[136:137], v[22:23], v[20:21]
	v_add_f64_e32 v[128:129], v[128:129], v[130:131]
	ds_load_b128 v[4:7], v2 offset:1600
	ds_load_b128 v[20:23], v2 offset:1616
	s_wait_loadcnt_dscnt 0x101
	v_mul_f64_e32 v[2:3], v[4:5], v[158:159]
	v_mul_f64_e32 v[130:131], v[6:7], v[158:159]
	s_wait_loadcnt_dscnt 0x0
	v_mul_f64_e32 v[14:15], v[20:21], v[18:19]
	v_mul_f64_e32 v[18:19], v[22:23], v[18:19]
	v_add_f64_e32 v[10:11], v[136:137], v[134:135]
	v_add_f64_e32 v[12:13], v[128:129], v[140:141]
	v_fmac_f64_e32 v[2:3], v[6:7], v[156:157]
	v_fma_f64 v[4:5], v[4:5], v[156:157], -v[130:131]
	v_fmac_f64_e32 v[14:15], v[22:23], v[16:17]
	v_add_f64_e32 v[6:7], v[10:11], v[8:9]
	v_add_f64_e32 v[8:9], v[12:13], v[132:133]
	v_fma_f64 v[10:11], v[20:21], v[16:17], -v[18:19]
	s_delay_alu instid0(VALU_DEP_3) | instskip(NEXT) | instid1(VALU_DEP_3)
	v_add_f64_e32 v[4:5], v[6:7], v[4:5]
	v_add_f64_e32 v[2:3], v[8:9], v[2:3]
	s_delay_alu instid0(VALU_DEP_2) | instskip(NEXT) | instid1(VALU_DEP_2)
	v_add_f64_e32 v[4:5], v[4:5], v[10:11]
	v_add_f64_e32 v[6:7], v[2:3], v[14:15]
	s_delay_alu instid0(VALU_DEP_2) | instskip(NEXT) | instid1(VALU_DEP_2)
	v_add_f64_e64 v[2:3], v[160:161], -v[4:5]
	v_add_f64_e64 v[4:5], v[162:163], -v[6:7]
	scratch_store_b128 off, v[2:5], off offset:160
	s_wait_xcnt 0x0
	v_cmpx_lt_u32_e32 9, v1
	s_cbranch_execz .LBB50_301
; %bb.300:
	scratch_load_b128 v[2:5], off, s53
	v_mov_b32_e32 v6, 0
	s_delay_alu instid0(VALU_DEP_1)
	v_dual_mov_b32 v7, v6 :: v_dual_mov_b32 v8, v6
	v_mov_b32_e32 v9, v6
	scratch_store_b128 off, v[6:9], off offset:144
	s_wait_loadcnt 0x0
	ds_store_b128 v126, v[2:5]
.LBB50_301:
	s_wait_xcnt 0x0
	s_or_b32 exec_lo, exec_lo, s2
	s_wait_storecnt_dscnt 0x0
	s_barrier_signal -1
	s_barrier_wait -1
	s_clause 0x9
	scratch_load_b128 v[4:7], off, off offset:160
	scratch_load_b128 v[8:11], off, off offset:176
	;; [unrolled: 1-line block ×10, first 2 shown]
	v_mov_b32_e32 v2, 0
	s_mov_b32 s2, exec_lo
	ds_load_b128 v[148:151], v2 offset:976
	s_clause 0x2
	scratch_load_b128 v[152:155], off, off offset:320
	scratch_load_b128 v[156:159], off, off offset:144
	;; [unrolled: 1-line block ×3, first 2 shown]
	s_wait_loadcnt_dscnt 0xc00
	v_mul_f64_e32 v[168:169], v[150:151], v[6:7]
	v_mul_f64_e32 v[172:173], v[148:149], v[6:7]
	ds_load_b128 v[160:163], v2 offset:992
	v_fma_f64 v[176:177], v[148:149], v[4:5], -v[168:169]
	v_fmac_f64_e32 v[172:173], v[150:151], v[4:5]
	ds_load_b128 v[4:7], v2 offset:1008
	s_wait_loadcnt_dscnt 0xb01
	v_mul_f64_e32 v[174:175], v[160:161], v[10:11]
	v_mul_f64_e32 v[10:11], v[162:163], v[10:11]
	scratch_load_b128 v[148:151], off, off offset:352
	ds_load_b128 v[168:171], v2 offset:1024
	s_wait_loadcnt_dscnt 0xb01
	v_mul_f64_e32 v[178:179], v[4:5], v[14:15]
	v_mul_f64_e32 v[14:15], v[6:7], v[14:15]
	v_add_f64_e32 v[172:173], 0, v[172:173]
	v_fmac_f64_e32 v[174:175], v[162:163], v[8:9]
	v_fma_f64 v[160:161], v[160:161], v[8:9], -v[10:11]
	v_add_f64_e32 v[162:163], 0, v[176:177]
	scratch_load_b128 v[8:11], off, off offset:368
	v_fmac_f64_e32 v[178:179], v[6:7], v[12:13]
	v_fma_f64 v[180:181], v[4:5], v[12:13], -v[14:15]
	ds_load_b128 v[4:7], v2 offset:1040
	s_wait_loadcnt_dscnt 0xb01
	v_mul_f64_e32 v[176:177], v[168:169], v[18:19]
	v_mul_f64_e32 v[18:19], v[170:171], v[18:19]
	scratch_load_b128 v[12:15], off, off offset:384
	v_add_f64_e32 v[172:173], v[172:173], v[174:175]
	v_add_f64_e32 v[182:183], v[162:163], v[160:161]
	ds_load_b128 v[160:163], v2 offset:1056
	s_wait_loadcnt_dscnt 0xb01
	v_mul_f64_e32 v[174:175], v[4:5], v[22:23]
	v_mul_f64_e32 v[22:23], v[6:7], v[22:23]
	v_fmac_f64_e32 v[176:177], v[170:171], v[16:17]
	v_fma_f64 v[168:169], v[168:169], v[16:17], -v[18:19]
	scratch_load_b128 v[16:19], off, off offset:400
	v_add_f64_e32 v[172:173], v[172:173], v[178:179]
	v_add_f64_e32 v[170:171], v[182:183], v[180:181]
	v_fmac_f64_e32 v[174:175], v[6:7], v[20:21]
	v_fma_f64 v[180:181], v[4:5], v[20:21], -v[22:23]
	ds_load_b128 v[4:7], v2 offset:1072
	s_wait_loadcnt_dscnt 0xb01
	v_mul_f64_e32 v[178:179], v[160:161], v[130:131]
	v_mul_f64_e32 v[130:131], v[162:163], v[130:131]
	scratch_load_b128 v[20:23], off, off offset:416
	v_add_f64_e32 v[172:173], v[172:173], v[176:177]
	s_wait_loadcnt_dscnt 0xb00
	v_mul_f64_e32 v[176:177], v[4:5], v[134:135]
	v_add_f64_e32 v[182:183], v[170:171], v[168:169]
	v_mul_f64_e32 v[134:135], v[6:7], v[134:135]
	ds_load_b128 v[168:171], v2 offset:1088
	v_fmac_f64_e32 v[178:179], v[162:163], v[128:129]
	v_fma_f64 v[160:161], v[160:161], v[128:129], -v[130:131]
	scratch_load_b128 v[128:131], off, off offset:432
	v_add_f64_e32 v[172:173], v[172:173], v[174:175]
	v_fmac_f64_e32 v[176:177], v[6:7], v[132:133]
	v_add_f64_e32 v[162:163], v[182:183], v[180:181]
	v_fma_f64 v[180:181], v[4:5], v[132:133], -v[134:135]
	ds_load_b128 v[4:7], v2 offset:1104
	s_wait_loadcnt_dscnt 0xb01
	v_mul_f64_e32 v[174:175], v[168:169], v[138:139]
	v_mul_f64_e32 v[138:139], v[170:171], v[138:139]
	scratch_load_b128 v[132:135], off, off offset:448
	v_add_f64_e32 v[172:173], v[172:173], v[178:179]
	s_wait_loadcnt_dscnt 0xb00
	v_mul_f64_e32 v[178:179], v[4:5], v[142:143]
	v_add_f64_e32 v[182:183], v[162:163], v[160:161]
	v_mul_f64_e32 v[142:143], v[6:7], v[142:143]
	ds_load_b128 v[160:163], v2 offset:1120
	v_fmac_f64_e32 v[174:175], v[170:171], v[136:137]
	v_fma_f64 v[168:169], v[168:169], v[136:137], -v[138:139]
	scratch_load_b128 v[136:139], off, off offset:464
	v_add_f64_e32 v[172:173], v[172:173], v[176:177]
	v_fmac_f64_e32 v[178:179], v[6:7], v[140:141]
	v_add_f64_e32 v[170:171], v[182:183], v[180:181]
	;; [unrolled: 18-line block ×3, first 2 shown]
	v_fma_f64 v[180:181], v[4:5], v[152:153], -v[154:155]
	ds_load_b128 v[4:7], v2 offset:1168
	s_wait_loadcnt_dscnt 0xa01
	v_mul_f64_e32 v[178:179], v[168:169], v[166:167]
	v_mul_f64_e32 v[166:167], v[170:171], v[166:167]
	scratch_load_b128 v[152:155], off, off offset:512
	v_add_f64_e32 v[172:173], v[172:173], v[176:177]
	v_add_f64_e32 v[182:183], v[162:163], v[160:161]
	s_wait_loadcnt_dscnt 0xa00
	v_mul_f64_e32 v[176:177], v[4:5], v[150:151]
	v_mul_f64_e32 v[150:151], v[6:7], v[150:151]
	v_fmac_f64_e32 v[178:179], v[170:171], v[164:165]
	v_fma_f64 v[168:169], v[168:169], v[164:165], -v[166:167]
	ds_load_b128 v[160:163], v2 offset:1184
	scratch_load_b128 v[164:167], off, off offset:528
	v_add_f64_e32 v[172:173], v[172:173], v[174:175]
	v_add_f64_e32 v[170:171], v[182:183], v[180:181]
	v_fmac_f64_e32 v[176:177], v[6:7], v[148:149]
	v_fma_f64 v[180:181], v[4:5], v[148:149], -v[150:151]
	ds_load_b128 v[4:7], v2 offset:1200
	s_wait_loadcnt_dscnt 0xa01
	v_mul_f64_e32 v[174:175], v[160:161], v[10:11]
	v_mul_f64_e32 v[10:11], v[162:163], v[10:11]
	scratch_load_b128 v[148:151], off, off offset:544
	v_add_f64_e32 v[172:173], v[172:173], v[178:179]
	s_wait_loadcnt_dscnt 0xa00
	v_mul_f64_e32 v[178:179], v[4:5], v[14:15]
	v_add_f64_e32 v[182:183], v[170:171], v[168:169]
	v_mul_f64_e32 v[14:15], v[6:7], v[14:15]
	ds_load_b128 v[168:171], v2 offset:1216
	v_fmac_f64_e32 v[174:175], v[162:163], v[8:9]
	v_fma_f64 v[160:161], v[160:161], v[8:9], -v[10:11]
	scratch_load_b128 v[8:11], off, off offset:560
	v_add_f64_e32 v[172:173], v[172:173], v[176:177]
	v_fmac_f64_e32 v[178:179], v[6:7], v[12:13]
	v_add_f64_e32 v[162:163], v[182:183], v[180:181]
	v_fma_f64 v[180:181], v[4:5], v[12:13], -v[14:15]
	ds_load_b128 v[4:7], v2 offset:1232
	s_wait_loadcnt_dscnt 0xa01
	v_mul_f64_e32 v[176:177], v[168:169], v[18:19]
	v_mul_f64_e32 v[18:19], v[170:171], v[18:19]
	scratch_load_b128 v[12:15], off, off offset:576
	v_add_f64_e32 v[172:173], v[172:173], v[174:175]
	s_wait_loadcnt_dscnt 0xa00
	v_mul_f64_e32 v[174:175], v[4:5], v[22:23]
	v_add_f64_e32 v[182:183], v[162:163], v[160:161]
	v_mul_f64_e32 v[22:23], v[6:7], v[22:23]
	ds_load_b128 v[160:163], v2 offset:1248
	v_fmac_f64_e32 v[176:177], v[170:171], v[16:17]
	v_fma_f64 v[168:169], v[168:169], v[16:17], -v[18:19]
	scratch_load_b128 v[16:19], off, off offset:592
	v_add_f64_e32 v[172:173], v[172:173], v[178:179]
	v_fmac_f64_e32 v[174:175], v[6:7], v[20:21]
	v_add_f64_e32 v[170:171], v[182:183], v[180:181]
	v_fma_f64 v[180:181], v[4:5], v[20:21], -v[22:23]
	ds_load_b128 v[4:7], v2 offset:1264
	s_wait_loadcnt_dscnt 0xa01
	v_mul_f64_e32 v[178:179], v[160:161], v[130:131]
	v_mul_f64_e32 v[130:131], v[162:163], v[130:131]
	scratch_load_b128 v[20:23], off, off offset:608
	v_add_f64_e32 v[172:173], v[172:173], v[176:177]
	s_wait_loadcnt_dscnt 0xa00
	v_mul_f64_e32 v[176:177], v[4:5], v[134:135]
	v_add_f64_e32 v[182:183], v[170:171], v[168:169]
	v_mul_f64_e32 v[134:135], v[6:7], v[134:135]
	ds_load_b128 v[168:171], v2 offset:1280
	v_fmac_f64_e32 v[178:179], v[162:163], v[128:129]
	v_fma_f64 v[160:161], v[160:161], v[128:129], -v[130:131]
	scratch_load_b128 v[128:131], off, off offset:624
	v_add_f64_e32 v[172:173], v[172:173], v[174:175]
	v_fmac_f64_e32 v[176:177], v[6:7], v[132:133]
	v_add_f64_e32 v[162:163], v[182:183], v[180:181]
	v_fma_f64 v[180:181], v[4:5], v[132:133], -v[134:135]
	ds_load_b128 v[4:7], v2 offset:1296
	s_wait_loadcnt_dscnt 0xa01
	v_mul_f64_e32 v[174:175], v[168:169], v[138:139]
	v_mul_f64_e32 v[138:139], v[170:171], v[138:139]
	scratch_load_b128 v[132:135], off, off offset:640
	v_add_f64_e32 v[172:173], v[172:173], v[178:179]
	s_wait_loadcnt_dscnt 0xa00
	v_mul_f64_e32 v[178:179], v[4:5], v[142:143]
	v_add_f64_e32 v[182:183], v[162:163], v[160:161]
	v_mul_f64_e32 v[142:143], v[6:7], v[142:143]
	ds_load_b128 v[160:163], v2 offset:1312
	v_fmac_f64_e32 v[174:175], v[170:171], v[136:137]
	v_fma_f64 v[168:169], v[168:169], v[136:137], -v[138:139]
	scratch_load_b128 v[136:139], off, off offset:656
	v_add_f64_e32 v[172:173], v[172:173], v[176:177]
	v_fmac_f64_e32 v[178:179], v[6:7], v[140:141]
	v_add_f64_e32 v[170:171], v[182:183], v[180:181]
	v_fma_f64 v[180:181], v[4:5], v[140:141], -v[142:143]
	ds_load_b128 v[4:7], v2 offset:1328
	s_wait_loadcnt_dscnt 0xa01
	v_mul_f64_e32 v[176:177], v[160:161], v[146:147]
	v_mul_f64_e32 v[146:147], v[162:163], v[146:147]
	scratch_load_b128 v[140:143], off, off offset:672
	v_add_f64_e32 v[172:173], v[172:173], v[174:175]
	s_wait_loadcnt_dscnt 0xa00
	v_mul_f64_e32 v[174:175], v[4:5], v[154:155]
	v_add_f64_e32 v[182:183], v[170:171], v[168:169]
	v_mul_f64_e32 v[154:155], v[6:7], v[154:155]
	ds_load_b128 v[168:171], v2 offset:1344
	v_fmac_f64_e32 v[176:177], v[162:163], v[144:145]
	v_fma_f64 v[160:161], v[160:161], v[144:145], -v[146:147]
	scratch_load_b128 v[144:147], off, off offset:688
	v_add_f64_e32 v[172:173], v[172:173], v[178:179]
	v_fmac_f64_e32 v[174:175], v[6:7], v[152:153]
	v_add_f64_e32 v[162:163], v[182:183], v[180:181]
	v_fma_f64 v[180:181], v[4:5], v[152:153], -v[154:155]
	ds_load_b128 v[4:7], v2 offset:1360
	s_wait_loadcnt_dscnt 0xa01
	v_mul_f64_e32 v[178:179], v[168:169], v[166:167]
	v_mul_f64_e32 v[166:167], v[170:171], v[166:167]
	scratch_load_b128 v[152:155], off, off offset:704
	v_add_f64_e32 v[172:173], v[172:173], v[176:177]
	s_wait_loadcnt_dscnt 0xa00
	v_mul_f64_e32 v[176:177], v[4:5], v[150:151]
	v_add_f64_e32 v[182:183], v[162:163], v[160:161]
	v_mul_f64_e32 v[150:151], v[6:7], v[150:151]
	ds_load_b128 v[160:163], v2 offset:1376
	v_fmac_f64_e32 v[178:179], v[170:171], v[164:165]
	v_fma_f64 v[168:169], v[168:169], v[164:165], -v[166:167]
	scratch_load_b128 v[164:167], off, off offset:720
	v_add_f64_e32 v[172:173], v[172:173], v[174:175]
	v_fmac_f64_e32 v[176:177], v[6:7], v[148:149]
	v_add_f64_e32 v[170:171], v[182:183], v[180:181]
	v_fma_f64 v[180:181], v[4:5], v[148:149], -v[150:151]
	ds_load_b128 v[4:7], v2 offset:1392
	s_wait_loadcnt_dscnt 0xa01
	v_mul_f64_e32 v[174:175], v[160:161], v[10:11]
	v_mul_f64_e32 v[10:11], v[162:163], v[10:11]
	scratch_load_b128 v[148:151], off, off offset:736
	v_add_f64_e32 v[172:173], v[172:173], v[178:179]
	s_wait_loadcnt_dscnt 0xa00
	v_mul_f64_e32 v[178:179], v[4:5], v[14:15]
	v_add_f64_e32 v[182:183], v[170:171], v[168:169]
	v_mul_f64_e32 v[14:15], v[6:7], v[14:15]
	ds_load_b128 v[168:171], v2 offset:1408
	v_fmac_f64_e32 v[174:175], v[162:163], v[8:9]
	v_fma_f64 v[160:161], v[160:161], v[8:9], -v[10:11]
	scratch_load_b128 v[8:11], off, off offset:752
	v_add_f64_e32 v[172:173], v[172:173], v[176:177]
	v_fmac_f64_e32 v[178:179], v[6:7], v[12:13]
	v_add_f64_e32 v[162:163], v[182:183], v[180:181]
	v_fma_f64 v[180:181], v[4:5], v[12:13], -v[14:15]
	ds_load_b128 v[4:7], v2 offset:1424
	s_wait_loadcnt_dscnt 0xa01
	v_mul_f64_e32 v[176:177], v[168:169], v[18:19]
	v_mul_f64_e32 v[18:19], v[170:171], v[18:19]
	scratch_load_b128 v[12:15], off, off offset:768
	v_add_f64_e32 v[172:173], v[172:173], v[174:175]
	s_wait_loadcnt_dscnt 0xa00
	v_mul_f64_e32 v[174:175], v[4:5], v[22:23]
	v_add_f64_e32 v[182:183], v[162:163], v[160:161]
	v_mul_f64_e32 v[22:23], v[6:7], v[22:23]
	ds_load_b128 v[160:163], v2 offset:1440
	v_fmac_f64_e32 v[176:177], v[170:171], v[16:17]
	v_fma_f64 v[168:169], v[168:169], v[16:17], -v[18:19]
	scratch_load_b128 v[16:19], off, off offset:784
	v_add_f64_e32 v[172:173], v[172:173], v[178:179]
	v_fmac_f64_e32 v[174:175], v[6:7], v[20:21]
	v_add_f64_e32 v[170:171], v[182:183], v[180:181]
	v_fma_f64 v[180:181], v[4:5], v[20:21], -v[22:23]
	ds_load_b128 v[4:7], v2 offset:1456
	s_wait_loadcnt_dscnt 0xa01
	v_mul_f64_e32 v[178:179], v[160:161], v[130:131]
	v_mul_f64_e32 v[130:131], v[162:163], v[130:131]
	scratch_load_b128 v[20:23], off, off offset:800
	v_add_f64_e32 v[172:173], v[172:173], v[176:177]
	s_wait_loadcnt_dscnt 0xa00
	v_mul_f64_e32 v[176:177], v[4:5], v[134:135]
	v_add_f64_e32 v[182:183], v[170:171], v[168:169]
	v_mul_f64_e32 v[134:135], v[6:7], v[134:135]
	ds_load_b128 v[168:171], v2 offset:1472
	v_fmac_f64_e32 v[178:179], v[162:163], v[128:129]
	v_fma_f64 v[128:129], v[160:161], v[128:129], -v[130:131]
	s_wait_loadcnt_dscnt 0x900
	v_mul_f64_e32 v[162:163], v[168:169], v[138:139]
	v_mul_f64_e32 v[138:139], v[170:171], v[138:139]
	v_add_f64_e32 v[160:161], v[172:173], v[174:175]
	v_fmac_f64_e32 v[176:177], v[6:7], v[132:133]
	v_add_f64_e32 v[130:131], v[182:183], v[180:181]
	v_fma_f64 v[132:133], v[4:5], v[132:133], -v[134:135]
	v_fmac_f64_e32 v[162:163], v[170:171], v[136:137]
	v_fma_f64 v[136:137], v[168:169], v[136:137], -v[138:139]
	v_add_f64_e32 v[160:161], v[160:161], v[178:179]
	v_add_f64_e32 v[134:135], v[130:131], v[128:129]
	ds_load_b128 v[4:7], v2 offset:1488
	ds_load_b128 v[128:131], v2 offset:1504
	s_wait_loadcnt_dscnt 0x801
	v_mul_f64_e32 v[172:173], v[4:5], v[142:143]
	v_mul_f64_e32 v[142:143], v[6:7], v[142:143]
	s_wait_loadcnt_dscnt 0x700
	v_mul_f64_e32 v[138:139], v[128:129], v[146:147]
	v_mul_f64_e32 v[146:147], v[130:131], v[146:147]
	v_add_f64_e32 v[132:133], v[134:135], v[132:133]
	v_add_f64_e32 v[134:135], v[160:161], v[176:177]
	v_fmac_f64_e32 v[172:173], v[6:7], v[140:141]
	v_fma_f64 v[140:141], v[4:5], v[140:141], -v[142:143]
	v_fmac_f64_e32 v[138:139], v[130:131], v[144:145]
	v_fma_f64 v[128:129], v[128:129], v[144:145], -v[146:147]
	v_add_f64_e32 v[136:137], v[132:133], v[136:137]
	v_add_f64_e32 v[142:143], v[134:135], v[162:163]
	ds_load_b128 v[4:7], v2 offset:1520
	ds_load_b128 v[132:135], v2 offset:1536
	s_wait_loadcnt_dscnt 0x601
	v_mul_f64_e32 v[160:161], v[4:5], v[154:155]
	v_mul_f64_e32 v[154:155], v[6:7], v[154:155]
	v_add_f64_e32 v[130:131], v[136:137], v[140:141]
	v_add_f64_e32 v[136:137], v[142:143], v[172:173]
	s_wait_loadcnt_dscnt 0x500
	v_mul_f64_e32 v[140:141], v[132:133], v[166:167]
	v_mul_f64_e32 v[142:143], v[134:135], v[166:167]
	v_fmac_f64_e32 v[160:161], v[6:7], v[152:153]
	v_fma_f64 v[144:145], v[4:5], v[152:153], -v[154:155]
	v_add_f64_e32 v[146:147], v[130:131], v[128:129]
	v_add_f64_e32 v[136:137], v[136:137], v[138:139]
	ds_load_b128 v[4:7], v2 offset:1552
	ds_load_b128 v[128:131], v2 offset:1568
	v_fmac_f64_e32 v[140:141], v[134:135], v[164:165]
	v_fma_f64 v[132:133], v[132:133], v[164:165], -v[142:143]
	s_wait_loadcnt_dscnt 0x401
	v_mul_f64_e32 v[138:139], v[4:5], v[150:151]
	v_mul_f64_e32 v[150:151], v[6:7], v[150:151]
	s_wait_loadcnt_dscnt 0x300
	v_mul_f64_e32 v[142:143], v[128:129], v[10:11]
	v_mul_f64_e32 v[10:11], v[130:131], v[10:11]
	v_add_f64_e32 v[134:135], v[146:147], v[144:145]
	v_add_f64_e32 v[136:137], v[136:137], v[160:161]
	v_fmac_f64_e32 v[138:139], v[6:7], v[148:149]
	v_fma_f64 v[144:145], v[4:5], v[148:149], -v[150:151]
	v_fmac_f64_e32 v[142:143], v[130:131], v[8:9]
	v_fma_f64 v[8:9], v[128:129], v[8:9], -v[10:11]
	v_add_f64_e32 v[146:147], v[134:135], v[132:133]
	v_add_f64_e32 v[136:137], v[136:137], v[140:141]
	ds_load_b128 v[4:7], v2 offset:1584
	ds_load_b128 v[132:135], v2 offset:1600
	s_wait_loadcnt_dscnt 0x201
	v_mul_f64_e32 v[140:141], v[4:5], v[14:15]
	v_mul_f64_e32 v[14:15], v[6:7], v[14:15]
	s_wait_loadcnt_dscnt 0x100
	v_mul_f64_e32 v[130:131], v[132:133], v[18:19]
	v_mul_f64_e32 v[18:19], v[134:135], v[18:19]
	v_add_f64_e32 v[10:11], v[146:147], v[144:145]
	v_add_f64_e32 v[128:129], v[136:137], v[138:139]
	v_fmac_f64_e32 v[140:141], v[6:7], v[12:13]
	v_fma_f64 v[12:13], v[4:5], v[12:13], -v[14:15]
	ds_load_b128 v[4:7], v2 offset:1616
	v_fmac_f64_e32 v[130:131], v[134:135], v[16:17]
	v_fma_f64 v[16:17], v[132:133], v[16:17], -v[18:19]
	v_add_f64_e32 v[8:9], v[10:11], v[8:9]
	v_add_f64_e32 v[10:11], v[128:129], v[142:143]
	s_wait_loadcnt_dscnt 0x0
	v_mul_f64_e32 v[14:15], v[4:5], v[22:23]
	v_mul_f64_e32 v[22:23], v[6:7], v[22:23]
	s_delay_alu instid0(VALU_DEP_4) | instskip(NEXT) | instid1(VALU_DEP_4)
	v_add_f64_e32 v[8:9], v[8:9], v[12:13]
	v_add_f64_e32 v[10:11], v[10:11], v[140:141]
	s_delay_alu instid0(VALU_DEP_4) | instskip(NEXT) | instid1(VALU_DEP_4)
	v_fmac_f64_e32 v[14:15], v[6:7], v[20:21]
	v_fma_f64 v[4:5], v[4:5], v[20:21], -v[22:23]
	s_delay_alu instid0(VALU_DEP_4) | instskip(NEXT) | instid1(VALU_DEP_4)
	v_add_f64_e32 v[6:7], v[8:9], v[16:17]
	v_add_f64_e32 v[8:9], v[10:11], v[130:131]
	s_delay_alu instid0(VALU_DEP_2) | instskip(NEXT) | instid1(VALU_DEP_2)
	v_add_f64_e32 v[4:5], v[6:7], v[4:5]
	v_add_f64_e32 v[6:7], v[8:9], v[14:15]
	s_delay_alu instid0(VALU_DEP_2) | instskip(NEXT) | instid1(VALU_DEP_2)
	v_add_f64_e64 v[4:5], v[156:157], -v[4:5]
	v_add_f64_e64 v[6:7], v[158:159], -v[6:7]
	scratch_store_b128 off, v[4:7], off offset:144
	s_wait_xcnt 0x0
	v_cmpx_lt_u32_e32 8, v1
	s_cbranch_execz .LBB50_303
; %bb.302:
	scratch_load_b128 v[6:9], off, s52
	v_dual_mov_b32 v3, v2 :: v_dual_mov_b32 v4, v2
	v_mov_b32_e32 v5, v2
	scratch_store_b128 off, v[2:5], off offset:128
	s_wait_loadcnt 0x0
	ds_store_b128 v126, v[6:9]
.LBB50_303:
	s_wait_xcnt 0x0
	s_or_b32 exec_lo, exec_lo, s2
	s_wait_storecnt_dscnt 0x0
	s_barrier_signal -1
	s_barrier_wait -1
	s_clause 0x9
	scratch_load_b128 v[4:7], off, off offset:144
	scratch_load_b128 v[8:11], off, off offset:160
	;; [unrolled: 1-line block ×10, first 2 shown]
	ds_load_b128 v[148:151], v2 offset:960
	ds_load_b128 v[156:159], v2 offset:976
	s_clause 0x2
	scratch_load_b128 v[152:155], off, off offset:304
	scratch_load_b128 v[160:163], off, off offset:128
	;; [unrolled: 1-line block ×3, first 2 shown]
	s_mov_b32 s2, exec_lo
	s_wait_loadcnt_dscnt 0xc01
	v_mul_f64_e32 v[168:169], v[150:151], v[6:7]
	v_mul_f64_e32 v[172:173], v[148:149], v[6:7]
	s_wait_loadcnt_dscnt 0xb00
	v_mul_f64_e32 v[174:175], v[156:157], v[10:11]
	v_mul_f64_e32 v[10:11], v[158:159], v[10:11]
	s_delay_alu instid0(VALU_DEP_4) | instskip(NEXT) | instid1(VALU_DEP_4)
	v_fma_f64 v[176:177], v[148:149], v[4:5], -v[168:169]
	v_fmac_f64_e32 v[172:173], v[150:151], v[4:5]
	ds_load_b128 v[4:7], v2 offset:992
	ds_load_b128 v[148:151], v2 offset:1008
	scratch_load_b128 v[168:171], off, off offset:336
	v_fmac_f64_e32 v[174:175], v[158:159], v[8:9]
	v_fma_f64 v[156:157], v[156:157], v[8:9], -v[10:11]
	scratch_load_b128 v[8:11], off, off offset:352
	s_wait_loadcnt_dscnt 0xc01
	v_mul_f64_e32 v[178:179], v[4:5], v[14:15]
	v_mul_f64_e32 v[14:15], v[6:7], v[14:15]
	v_add_f64_e32 v[158:159], 0, v[176:177]
	v_add_f64_e32 v[172:173], 0, v[172:173]
	s_wait_loadcnt_dscnt 0xb00
	v_mul_f64_e32 v[176:177], v[148:149], v[18:19]
	v_mul_f64_e32 v[18:19], v[150:151], v[18:19]
	v_fmac_f64_e32 v[178:179], v[6:7], v[12:13]
	v_fma_f64 v[180:181], v[4:5], v[12:13], -v[14:15]
	ds_load_b128 v[4:7], v2 offset:1024
	ds_load_b128 v[12:15], v2 offset:1040
	v_add_f64_e32 v[182:183], v[158:159], v[156:157]
	v_add_f64_e32 v[172:173], v[172:173], v[174:175]
	scratch_load_b128 v[156:159], off, off offset:368
	v_fmac_f64_e32 v[176:177], v[150:151], v[16:17]
	v_fma_f64 v[148:149], v[148:149], v[16:17], -v[18:19]
	scratch_load_b128 v[16:19], off, off offset:384
	s_wait_loadcnt_dscnt 0xc01
	v_mul_f64_e32 v[174:175], v[4:5], v[22:23]
	v_mul_f64_e32 v[22:23], v[6:7], v[22:23]
	v_add_f64_e32 v[150:151], v[182:183], v[180:181]
	v_add_f64_e32 v[172:173], v[172:173], v[178:179]
	s_wait_loadcnt_dscnt 0xb00
	v_mul_f64_e32 v[178:179], v[12:13], v[130:131]
	v_mul_f64_e32 v[130:131], v[14:15], v[130:131]
	v_fmac_f64_e32 v[174:175], v[6:7], v[20:21]
	v_fma_f64 v[180:181], v[4:5], v[20:21], -v[22:23]
	ds_load_b128 v[4:7], v2 offset:1056
	ds_load_b128 v[20:23], v2 offset:1072
	v_add_f64_e32 v[182:183], v[150:151], v[148:149]
	v_add_f64_e32 v[172:173], v[172:173], v[176:177]
	scratch_load_b128 v[148:151], off, off offset:400
	s_wait_loadcnt_dscnt 0xb01
	v_mul_f64_e32 v[176:177], v[4:5], v[134:135]
	v_mul_f64_e32 v[134:135], v[6:7], v[134:135]
	v_fmac_f64_e32 v[178:179], v[14:15], v[128:129]
	v_fma_f64 v[128:129], v[12:13], v[128:129], -v[130:131]
	scratch_load_b128 v[12:15], off, off offset:416
	v_add_f64_e32 v[130:131], v[182:183], v[180:181]
	v_add_f64_e32 v[172:173], v[172:173], v[174:175]
	s_wait_loadcnt_dscnt 0xb00
	v_mul_f64_e32 v[174:175], v[20:21], v[138:139]
	v_mul_f64_e32 v[138:139], v[22:23], v[138:139]
	v_fmac_f64_e32 v[176:177], v[6:7], v[132:133]
	v_fma_f64 v[180:181], v[4:5], v[132:133], -v[134:135]
	v_add_f64_e32 v[182:183], v[130:131], v[128:129]
	v_add_f64_e32 v[172:173], v[172:173], v[178:179]
	ds_load_b128 v[4:7], v2 offset:1088
	ds_load_b128 v[128:131], v2 offset:1104
	scratch_load_b128 v[132:135], off, off offset:432
	v_fmac_f64_e32 v[174:175], v[22:23], v[136:137]
	v_fma_f64 v[136:137], v[20:21], v[136:137], -v[138:139]
	scratch_load_b128 v[20:23], off, off offset:448
	s_wait_loadcnt_dscnt 0xc01
	v_mul_f64_e32 v[178:179], v[4:5], v[142:143]
	v_mul_f64_e32 v[142:143], v[6:7], v[142:143]
	v_add_f64_e32 v[138:139], v[182:183], v[180:181]
	v_add_f64_e32 v[172:173], v[172:173], v[176:177]
	s_wait_loadcnt_dscnt 0xb00
	v_mul_f64_e32 v[176:177], v[128:129], v[146:147]
	v_mul_f64_e32 v[146:147], v[130:131], v[146:147]
	v_fmac_f64_e32 v[178:179], v[6:7], v[140:141]
	v_fma_f64 v[180:181], v[4:5], v[140:141], -v[142:143]
	v_add_f64_e32 v[182:183], v[138:139], v[136:137]
	v_add_f64_e32 v[172:173], v[172:173], v[174:175]
	ds_load_b128 v[4:7], v2 offset:1120
	ds_load_b128 v[136:139], v2 offset:1136
	scratch_load_b128 v[140:143], off, off offset:464
	v_fmac_f64_e32 v[176:177], v[130:131], v[144:145]
	v_fma_f64 v[144:145], v[128:129], v[144:145], -v[146:147]
	scratch_load_b128 v[128:131], off, off offset:480
	s_wait_loadcnt_dscnt 0xc01
	v_mul_f64_e32 v[174:175], v[4:5], v[154:155]
	v_mul_f64_e32 v[154:155], v[6:7], v[154:155]
	;; [unrolled: 18-line block ×5, first 2 shown]
	v_add_f64_e32 v[166:167], v[182:183], v[180:181]
	v_add_f64_e32 v[172:173], v[172:173], v[178:179]
	s_wait_loadcnt_dscnt 0xa00
	v_mul_f64_e32 v[178:179], v[144:145], v[14:15]
	v_mul_f64_e32 v[14:15], v[146:147], v[14:15]
	v_fmac_f64_e32 v[174:175], v[6:7], v[148:149]
	v_fma_f64 v[180:181], v[4:5], v[148:149], -v[150:151]
	ds_load_b128 v[4:7], v2 offset:1248
	ds_load_b128 v[148:151], v2 offset:1264
	v_add_f64_e32 v[182:183], v[166:167], v[164:165]
	v_add_f64_e32 v[172:173], v[172:173], v[176:177]
	scratch_load_b128 v[164:167], off, off offset:592
	v_fmac_f64_e32 v[178:179], v[146:147], v[12:13]
	v_fma_f64 v[144:145], v[144:145], v[12:13], -v[14:15]
	scratch_load_b128 v[12:15], off, off offset:608
	s_wait_loadcnt_dscnt 0xb01
	v_mul_f64_e32 v[176:177], v[4:5], v[134:135]
	v_mul_f64_e32 v[134:135], v[6:7], v[134:135]
	v_add_f64_e32 v[146:147], v[182:183], v[180:181]
	v_add_f64_e32 v[172:173], v[172:173], v[174:175]
	s_wait_loadcnt_dscnt 0xa00
	v_mul_f64_e32 v[174:175], v[148:149], v[22:23]
	v_mul_f64_e32 v[22:23], v[150:151], v[22:23]
	v_fmac_f64_e32 v[176:177], v[6:7], v[132:133]
	v_fma_f64 v[180:181], v[4:5], v[132:133], -v[134:135]
	ds_load_b128 v[4:7], v2 offset:1280
	ds_load_b128 v[132:135], v2 offset:1296
	v_add_f64_e32 v[182:183], v[146:147], v[144:145]
	v_add_f64_e32 v[172:173], v[172:173], v[178:179]
	scratch_load_b128 v[144:147], off, off offset:624
	s_wait_loadcnt_dscnt 0xa01
	v_mul_f64_e32 v[178:179], v[4:5], v[142:143]
	v_mul_f64_e32 v[142:143], v[6:7], v[142:143]
	v_fmac_f64_e32 v[174:175], v[150:151], v[20:21]
	v_fma_f64 v[148:149], v[148:149], v[20:21], -v[22:23]
	scratch_load_b128 v[20:23], off, off offset:640
	v_add_f64_e32 v[150:151], v[182:183], v[180:181]
	v_add_f64_e32 v[172:173], v[172:173], v[176:177]
	s_wait_loadcnt_dscnt 0xa00
	v_mul_f64_e32 v[176:177], v[132:133], v[130:131]
	v_mul_f64_e32 v[130:131], v[134:135], v[130:131]
	v_fmac_f64_e32 v[178:179], v[6:7], v[140:141]
	v_fma_f64 v[180:181], v[4:5], v[140:141], -v[142:143]
	ds_load_b128 v[4:7], v2 offset:1312
	ds_load_b128 v[140:143], v2 offset:1328
	v_add_f64_e32 v[182:183], v[150:151], v[148:149]
	v_add_f64_e32 v[172:173], v[172:173], v[174:175]
	scratch_load_b128 v[148:151], off, off offset:656
	s_wait_loadcnt_dscnt 0xa01
	v_mul_f64_e32 v[174:175], v[4:5], v[154:155]
	v_mul_f64_e32 v[154:155], v[6:7], v[154:155]
	v_fmac_f64_e32 v[176:177], v[134:135], v[128:129]
	v_fma_f64 v[132:133], v[132:133], v[128:129], -v[130:131]
	scratch_load_b128 v[128:131], off, off offset:672
	v_add_f64_e32 v[134:135], v[182:183], v[180:181]
	v_add_f64_e32 v[172:173], v[172:173], v[178:179]
	s_wait_loadcnt_dscnt 0xa00
	v_mul_f64_e32 v[178:179], v[140:141], v[138:139]
	v_mul_f64_e32 v[138:139], v[142:143], v[138:139]
	v_fmac_f64_e32 v[174:175], v[6:7], v[152:153]
	v_fma_f64 v[180:181], v[4:5], v[152:153], -v[154:155]
	v_add_f64_e32 v[182:183], v[134:135], v[132:133]
	v_add_f64_e32 v[172:173], v[172:173], v[176:177]
	ds_load_b128 v[4:7], v2 offset:1344
	ds_load_b128 v[132:135], v2 offset:1360
	scratch_load_b128 v[152:155], off, off offset:688
	v_fmac_f64_e32 v[178:179], v[142:143], v[136:137]
	v_fma_f64 v[140:141], v[140:141], v[136:137], -v[138:139]
	scratch_load_b128 v[136:139], off, off offset:704
	s_wait_loadcnt_dscnt 0xb01
	v_mul_f64_e32 v[176:177], v[4:5], v[170:171]
	v_mul_f64_e32 v[170:171], v[6:7], v[170:171]
	v_add_f64_e32 v[142:143], v[182:183], v[180:181]
	v_add_f64_e32 v[172:173], v[172:173], v[174:175]
	s_wait_loadcnt_dscnt 0xa00
	v_mul_f64_e32 v[174:175], v[132:133], v[10:11]
	v_mul_f64_e32 v[10:11], v[134:135], v[10:11]
	v_fmac_f64_e32 v[176:177], v[6:7], v[168:169]
	v_fma_f64 v[180:181], v[4:5], v[168:169], -v[170:171]
	v_add_f64_e32 v[182:183], v[142:143], v[140:141]
	v_add_f64_e32 v[172:173], v[172:173], v[178:179]
	ds_load_b128 v[4:7], v2 offset:1376
	ds_load_b128 v[140:143], v2 offset:1392
	scratch_load_b128 v[168:171], off, off offset:720
	v_fmac_f64_e32 v[174:175], v[134:135], v[8:9]
	v_fma_f64 v[132:133], v[132:133], v[8:9], -v[10:11]
	scratch_load_b128 v[8:11], off, off offset:736
	s_wait_loadcnt_dscnt 0xb01
	v_mul_f64_e32 v[178:179], v[4:5], v[158:159]
	v_mul_f64_e32 v[158:159], v[6:7], v[158:159]
	;; [unrolled: 18-line block ×4, first 2 shown]
	v_add_f64_e32 v[134:135], v[182:183], v[180:181]
	v_add_f64_e32 v[172:173], v[172:173], v[174:175]
	s_wait_loadcnt_dscnt 0xa00
	v_mul_f64_e32 v[174:175], v[140:141], v[22:23]
	v_mul_f64_e32 v[22:23], v[142:143], v[22:23]
	v_fmac_f64_e32 v[176:177], v[6:7], v[144:145]
	v_fma_f64 v[144:145], v[4:5], v[144:145], -v[146:147]
	v_add_f64_e32 v[146:147], v[134:135], v[132:133]
	v_add_f64_e32 v[172:173], v[172:173], v[178:179]
	ds_load_b128 v[4:7], v2 offset:1472
	ds_load_b128 v[132:135], v2 offset:1488
	v_fmac_f64_e32 v[174:175], v[142:143], v[20:21]
	v_fma_f64 v[20:21], v[140:141], v[20:21], -v[22:23]
	s_wait_loadcnt_dscnt 0x901
	v_mul_f64_e32 v[178:179], v[4:5], v[150:151]
	v_mul_f64_e32 v[150:151], v[6:7], v[150:151]
	s_wait_loadcnt_dscnt 0x800
	v_mul_f64_e32 v[142:143], v[132:133], v[130:131]
	v_mul_f64_e32 v[130:131], v[134:135], v[130:131]
	v_add_f64_e32 v[22:23], v[146:147], v[144:145]
	v_add_f64_e32 v[140:141], v[172:173], v[176:177]
	v_fmac_f64_e32 v[178:179], v[6:7], v[148:149]
	v_fma_f64 v[144:145], v[4:5], v[148:149], -v[150:151]
	v_fmac_f64_e32 v[142:143], v[134:135], v[128:129]
	v_fma_f64 v[128:129], v[132:133], v[128:129], -v[130:131]
	v_add_f64_e32 v[146:147], v[22:23], v[20:21]
	v_add_f64_e32 v[140:141], v[140:141], v[174:175]
	ds_load_b128 v[4:7], v2 offset:1504
	ds_load_b128 v[20:23], v2 offset:1520
	s_wait_loadcnt_dscnt 0x701
	v_mul_f64_e32 v[148:149], v[4:5], v[154:155]
	v_mul_f64_e32 v[150:151], v[6:7], v[154:155]
	s_wait_loadcnt_dscnt 0x600
	v_mul_f64_e32 v[134:135], v[20:21], v[138:139]
	v_mul_f64_e32 v[138:139], v[22:23], v[138:139]
	v_add_f64_e32 v[130:131], v[146:147], v[144:145]
	v_add_f64_e32 v[132:133], v[140:141], v[178:179]
	v_fmac_f64_e32 v[148:149], v[6:7], v[152:153]
	v_fma_f64 v[140:141], v[4:5], v[152:153], -v[150:151]
	v_fmac_f64_e32 v[134:135], v[22:23], v[136:137]
	v_fma_f64 v[20:21], v[20:21], v[136:137], -v[138:139]
	v_add_f64_e32 v[144:145], v[130:131], v[128:129]
	v_add_f64_e32 v[132:133], v[132:133], v[142:143]
	ds_load_b128 v[4:7], v2 offset:1536
	ds_load_b128 v[128:131], v2 offset:1552
	;; [unrolled: 16-line block ×4, first 2 shown]
	s_wait_loadcnt_dscnt 0x101
	v_mul_f64_e32 v[2:3], v[4:5], v[166:167]
	v_mul_f64_e32 v[136:137], v[6:7], v[166:167]
	s_wait_loadcnt_dscnt 0x0
	v_mul_f64_e32 v[22:23], v[8:9], v[14:15]
	v_mul_f64_e32 v[14:15], v[10:11], v[14:15]
	v_add_f64_e32 v[18:19], v[138:139], v[132:133]
	v_add_f64_e32 v[20:21], v[128:129], v[134:135]
	v_fmac_f64_e32 v[2:3], v[6:7], v[164:165]
	v_fma_f64 v[4:5], v[4:5], v[164:165], -v[136:137]
	v_fmac_f64_e32 v[22:23], v[10:11], v[12:13]
	v_fma_f64 v[8:9], v[8:9], v[12:13], -v[14:15]
	v_add_f64_e32 v[6:7], v[18:19], v[16:17]
	v_add_f64_e32 v[16:17], v[20:21], v[130:131]
	s_delay_alu instid0(VALU_DEP_2) | instskip(NEXT) | instid1(VALU_DEP_2)
	v_add_f64_e32 v[4:5], v[6:7], v[4:5]
	v_add_f64_e32 v[2:3], v[16:17], v[2:3]
	s_delay_alu instid0(VALU_DEP_2) | instskip(NEXT) | instid1(VALU_DEP_2)
	;; [unrolled: 3-line block ×3, first 2 shown]
	v_add_f64_e64 v[2:3], v[160:161], -v[4:5]
	v_add_f64_e64 v[4:5], v[162:163], -v[6:7]
	scratch_store_b128 off, v[2:5], off offset:128
	s_wait_xcnt 0x0
	v_cmpx_lt_u32_e32 7, v1
	s_cbranch_execz .LBB50_305
; %bb.304:
	scratch_load_b128 v[2:5], off, s59
	v_mov_b32_e32 v6, 0
	s_delay_alu instid0(VALU_DEP_1)
	v_dual_mov_b32 v7, v6 :: v_dual_mov_b32 v8, v6
	v_mov_b32_e32 v9, v6
	scratch_store_b128 off, v[6:9], off offset:112
	s_wait_loadcnt 0x0
	ds_store_b128 v126, v[2:5]
.LBB50_305:
	s_wait_xcnt 0x0
	s_or_b32 exec_lo, exec_lo, s2
	s_wait_storecnt_dscnt 0x0
	s_barrier_signal -1
	s_barrier_wait -1
	s_clause 0x9
	scratch_load_b128 v[4:7], off, off offset:128
	scratch_load_b128 v[8:11], off, off offset:144
	;; [unrolled: 1-line block ×10, first 2 shown]
	v_mov_b32_e32 v2, 0
	s_mov_b32 s2, exec_lo
	ds_load_b128 v[148:151], v2 offset:944
	s_clause 0x2
	scratch_load_b128 v[152:155], off, off offset:288
	scratch_load_b128 v[156:159], off, off offset:112
	;; [unrolled: 1-line block ×3, first 2 shown]
	s_wait_loadcnt_dscnt 0xc00
	v_mul_f64_e32 v[168:169], v[150:151], v[6:7]
	v_mul_f64_e32 v[172:173], v[148:149], v[6:7]
	ds_load_b128 v[160:163], v2 offset:960
	v_fma_f64 v[176:177], v[148:149], v[4:5], -v[168:169]
	v_fmac_f64_e32 v[172:173], v[150:151], v[4:5]
	ds_load_b128 v[4:7], v2 offset:976
	s_wait_loadcnt_dscnt 0xb01
	v_mul_f64_e32 v[174:175], v[160:161], v[10:11]
	v_mul_f64_e32 v[10:11], v[162:163], v[10:11]
	scratch_load_b128 v[148:151], off, off offset:320
	ds_load_b128 v[168:171], v2 offset:992
	s_wait_loadcnt_dscnt 0xb01
	v_mul_f64_e32 v[178:179], v[4:5], v[14:15]
	v_mul_f64_e32 v[14:15], v[6:7], v[14:15]
	v_add_f64_e32 v[172:173], 0, v[172:173]
	v_fmac_f64_e32 v[174:175], v[162:163], v[8:9]
	v_fma_f64 v[160:161], v[160:161], v[8:9], -v[10:11]
	v_add_f64_e32 v[162:163], 0, v[176:177]
	scratch_load_b128 v[8:11], off, off offset:336
	v_fmac_f64_e32 v[178:179], v[6:7], v[12:13]
	v_fma_f64 v[180:181], v[4:5], v[12:13], -v[14:15]
	ds_load_b128 v[4:7], v2 offset:1008
	s_wait_loadcnt_dscnt 0xb01
	v_mul_f64_e32 v[176:177], v[168:169], v[18:19]
	v_mul_f64_e32 v[18:19], v[170:171], v[18:19]
	scratch_load_b128 v[12:15], off, off offset:352
	v_add_f64_e32 v[172:173], v[172:173], v[174:175]
	v_add_f64_e32 v[182:183], v[162:163], v[160:161]
	ds_load_b128 v[160:163], v2 offset:1024
	s_wait_loadcnt_dscnt 0xb01
	v_mul_f64_e32 v[174:175], v[4:5], v[22:23]
	v_mul_f64_e32 v[22:23], v[6:7], v[22:23]
	v_fmac_f64_e32 v[176:177], v[170:171], v[16:17]
	v_fma_f64 v[168:169], v[168:169], v[16:17], -v[18:19]
	scratch_load_b128 v[16:19], off, off offset:368
	v_add_f64_e32 v[172:173], v[172:173], v[178:179]
	v_add_f64_e32 v[170:171], v[182:183], v[180:181]
	v_fmac_f64_e32 v[174:175], v[6:7], v[20:21]
	v_fma_f64 v[180:181], v[4:5], v[20:21], -v[22:23]
	ds_load_b128 v[4:7], v2 offset:1040
	s_wait_loadcnt_dscnt 0xb01
	v_mul_f64_e32 v[178:179], v[160:161], v[130:131]
	v_mul_f64_e32 v[130:131], v[162:163], v[130:131]
	scratch_load_b128 v[20:23], off, off offset:384
	v_add_f64_e32 v[172:173], v[172:173], v[176:177]
	s_wait_loadcnt_dscnt 0xb00
	v_mul_f64_e32 v[176:177], v[4:5], v[134:135]
	v_add_f64_e32 v[182:183], v[170:171], v[168:169]
	v_mul_f64_e32 v[134:135], v[6:7], v[134:135]
	ds_load_b128 v[168:171], v2 offset:1056
	v_fmac_f64_e32 v[178:179], v[162:163], v[128:129]
	v_fma_f64 v[160:161], v[160:161], v[128:129], -v[130:131]
	scratch_load_b128 v[128:131], off, off offset:400
	v_add_f64_e32 v[172:173], v[172:173], v[174:175]
	v_fmac_f64_e32 v[176:177], v[6:7], v[132:133]
	v_add_f64_e32 v[162:163], v[182:183], v[180:181]
	v_fma_f64 v[180:181], v[4:5], v[132:133], -v[134:135]
	ds_load_b128 v[4:7], v2 offset:1072
	s_wait_loadcnt_dscnt 0xb01
	v_mul_f64_e32 v[174:175], v[168:169], v[138:139]
	v_mul_f64_e32 v[138:139], v[170:171], v[138:139]
	scratch_load_b128 v[132:135], off, off offset:416
	v_add_f64_e32 v[172:173], v[172:173], v[178:179]
	s_wait_loadcnt_dscnt 0xb00
	v_mul_f64_e32 v[178:179], v[4:5], v[142:143]
	v_add_f64_e32 v[182:183], v[162:163], v[160:161]
	v_mul_f64_e32 v[142:143], v[6:7], v[142:143]
	ds_load_b128 v[160:163], v2 offset:1088
	v_fmac_f64_e32 v[174:175], v[170:171], v[136:137]
	v_fma_f64 v[168:169], v[168:169], v[136:137], -v[138:139]
	scratch_load_b128 v[136:139], off, off offset:432
	v_add_f64_e32 v[172:173], v[172:173], v[176:177]
	v_fmac_f64_e32 v[178:179], v[6:7], v[140:141]
	v_add_f64_e32 v[170:171], v[182:183], v[180:181]
	;; [unrolled: 18-line block ×3, first 2 shown]
	v_fma_f64 v[180:181], v[4:5], v[152:153], -v[154:155]
	ds_load_b128 v[4:7], v2 offset:1136
	s_wait_loadcnt_dscnt 0xa01
	v_mul_f64_e32 v[178:179], v[168:169], v[166:167]
	v_mul_f64_e32 v[166:167], v[170:171], v[166:167]
	scratch_load_b128 v[152:155], off, off offset:480
	v_add_f64_e32 v[172:173], v[172:173], v[176:177]
	v_add_f64_e32 v[182:183], v[162:163], v[160:161]
	s_wait_loadcnt_dscnt 0xa00
	v_mul_f64_e32 v[176:177], v[4:5], v[150:151]
	v_mul_f64_e32 v[150:151], v[6:7], v[150:151]
	v_fmac_f64_e32 v[178:179], v[170:171], v[164:165]
	v_fma_f64 v[168:169], v[168:169], v[164:165], -v[166:167]
	ds_load_b128 v[160:163], v2 offset:1152
	scratch_load_b128 v[164:167], off, off offset:496
	v_add_f64_e32 v[172:173], v[172:173], v[174:175]
	v_add_f64_e32 v[170:171], v[182:183], v[180:181]
	v_fmac_f64_e32 v[176:177], v[6:7], v[148:149]
	v_fma_f64 v[180:181], v[4:5], v[148:149], -v[150:151]
	ds_load_b128 v[4:7], v2 offset:1168
	s_wait_loadcnt_dscnt 0xa01
	v_mul_f64_e32 v[174:175], v[160:161], v[10:11]
	v_mul_f64_e32 v[10:11], v[162:163], v[10:11]
	scratch_load_b128 v[148:151], off, off offset:512
	v_add_f64_e32 v[172:173], v[172:173], v[178:179]
	s_wait_loadcnt_dscnt 0xa00
	v_mul_f64_e32 v[178:179], v[4:5], v[14:15]
	v_add_f64_e32 v[182:183], v[170:171], v[168:169]
	v_mul_f64_e32 v[14:15], v[6:7], v[14:15]
	ds_load_b128 v[168:171], v2 offset:1184
	v_fmac_f64_e32 v[174:175], v[162:163], v[8:9]
	v_fma_f64 v[160:161], v[160:161], v[8:9], -v[10:11]
	scratch_load_b128 v[8:11], off, off offset:528
	v_add_f64_e32 v[172:173], v[172:173], v[176:177]
	v_fmac_f64_e32 v[178:179], v[6:7], v[12:13]
	v_add_f64_e32 v[162:163], v[182:183], v[180:181]
	v_fma_f64 v[180:181], v[4:5], v[12:13], -v[14:15]
	ds_load_b128 v[4:7], v2 offset:1200
	s_wait_loadcnt_dscnt 0xa01
	v_mul_f64_e32 v[176:177], v[168:169], v[18:19]
	v_mul_f64_e32 v[18:19], v[170:171], v[18:19]
	scratch_load_b128 v[12:15], off, off offset:544
	v_add_f64_e32 v[172:173], v[172:173], v[174:175]
	s_wait_loadcnt_dscnt 0xa00
	v_mul_f64_e32 v[174:175], v[4:5], v[22:23]
	v_add_f64_e32 v[182:183], v[162:163], v[160:161]
	v_mul_f64_e32 v[22:23], v[6:7], v[22:23]
	ds_load_b128 v[160:163], v2 offset:1216
	v_fmac_f64_e32 v[176:177], v[170:171], v[16:17]
	v_fma_f64 v[168:169], v[168:169], v[16:17], -v[18:19]
	scratch_load_b128 v[16:19], off, off offset:560
	v_add_f64_e32 v[172:173], v[172:173], v[178:179]
	v_fmac_f64_e32 v[174:175], v[6:7], v[20:21]
	v_add_f64_e32 v[170:171], v[182:183], v[180:181]
	;; [unrolled: 18-line block ×9, first 2 shown]
	v_fma_f64 v[180:181], v[4:5], v[132:133], -v[134:135]
	ds_load_b128 v[4:7], v2 offset:1456
	s_wait_loadcnt_dscnt 0xa01
	v_mul_f64_e32 v[174:175], v[168:169], v[138:139]
	v_mul_f64_e32 v[138:139], v[170:171], v[138:139]
	scratch_load_b128 v[132:135], off, off offset:800
	v_add_f64_e32 v[172:173], v[172:173], v[178:179]
	s_wait_loadcnt_dscnt 0xa00
	v_mul_f64_e32 v[178:179], v[4:5], v[142:143]
	v_add_f64_e32 v[182:183], v[162:163], v[160:161]
	v_mul_f64_e32 v[142:143], v[6:7], v[142:143]
	ds_load_b128 v[160:163], v2 offset:1472
	v_fmac_f64_e32 v[174:175], v[170:171], v[136:137]
	v_fma_f64 v[136:137], v[168:169], v[136:137], -v[138:139]
	s_wait_loadcnt_dscnt 0x900
	v_mul_f64_e32 v[170:171], v[160:161], v[146:147]
	v_mul_f64_e32 v[146:147], v[162:163], v[146:147]
	v_add_f64_e32 v[168:169], v[172:173], v[176:177]
	v_fmac_f64_e32 v[178:179], v[6:7], v[140:141]
	v_add_f64_e32 v[138:139], v[182:183], v[180:181]
	v_fma_f64 v[140:141], v[4:5], v[140:141], -v[142:143]
	v_fmac_f64_e32 v[170:171], v[162:163], v[144:145]
	v_fma_f64 v[144:145], v[160:161], v[144:145], -v[146:147]
	v_add_f64_e32 v[168:169], v[168:169], v[174:175]
	v_add_f64_e32 v[142:143], v[138:139], v[136:137]
	ds_load_b128 v[4:7], v2 offset:1488
	ds_load_b128 v[136:139], v2 offset:1504
	s_wait_loadcnt_dscnt 0x801
	v_mul_f64_e32 v[172:173], v[4:5], v[154:155]
	v_mul_f64_e32 v[154:155], v[6:7], v[154:155]
	s_wait_loadcnt_dscnt 0x700
	v_mul_f64_e32 v[146:147], v[136:137], v[166:167]
	v_mul_f64_e32 v[160:161], v[138:139], v[166:167]
	v_add_f64_e32 v[140:141], v[142:143], v[140:141]
	v_add_f64_e32 v[142:143], v[168:169], v[178:179]
	v_fmac_f64_e32 v[172:173], v[6:7], v[152:153]
	v_fma_f64 v[152:153], v[4:5], v[152:153], -v[154:155]
	v_fmac_f64_e32 v[146:147], v[138:139], v[164:165]
	v_fma_f64 v[136:137], v[136:137], v[164:165], -v[160:161]
	v_add_f64_e32 v[144:145], v[140:141], v[144:145]
	v_add_f64_e32 v[154:155], v[142:143], v[170:171]
	ds_load_b128 v[4:7], v2 offset:1520
	ds_load_b128 v[140:143], v2 offset:1536
	s_wait_loadcnt_dscnt 0x601
	v_mul_f64_e32 v[162:163], v[4:5], v[150:151]
	v_mul_f64_e32 v[150:151], v[6:7], v[150:151]
	v_add_f64_e32 v[138:139], v[144:145], v[152:153]
	v_add_f64_e32 v[144:145], v[154:155], v[172:173]
	s_wait_loadcnt_dscnt 0x500
	v_mul_f64_e32 v[152:153], v[140:141], v[10:11]
	v_mul_f64_e32 v[10:11], v[142:143], v[10:11]
	v_fmac_f64_e32 v[162:163], v[6:7], v[148:149]
	v_fma_f64 v[148:149], v[4:5], v[148:149], -v[150:151]
	v_add_f64_e32 v[150:151], v[138:139], v[136:137]
	v_add_f64_e32 v[144:145], v[144:145], v[146:147]
	ds_load_b128 v[4:7], v2 offset:1552
	ds_load_b128 v[136:139], v2 offset:1568
	v_fmac_f64_e32 v[152:153], v[142:143], v[8:9]
	v_fma_f64 v[8:9], v[140:141], v[8:9], -v[10:11]
	s_wait_loadcnt_dscnt 0x401
	v_mul_f64_e32 v[146:147], v[4:5], v[14:15]
	v_mul_f64_e32 v[14:15], v[6:7], v[14:15]
	s_wait_loadcnt_dscnt 0x300
	v_mul_f64_e32 v[142:143], v[136:137], v[18:19]
	v_mul_f64_e32 v[18:19], v[138:139], v[18:19]
	v_add_f64_e32 v[10:11], v[150:151], v[148:149]
	v_add_f64_e32 v[140:141], v[144:145], v[162:163]
	v_fmac_f64_e32 v[146:147], v[6:7], v[12:13]
	v_fma_f64 v[12:13], v[4:5], v[12:13], -v[14:15]
	v_fmac_f64_e32 v[142:143], v[138:139], v[16:17]
	v_fma_f64 v[16:17], v[136:137], v[16:17], -v[18:19]
	v_add_f64_e32 v[14:15], v[10:11], v[8:9]
	v_add_f64_e32 v[140:141], v[140:141], v[152:153]
	ds_load_b128 v[4:7], v2 offset:1584
	ds_load_b128 v[8:11], v2 offset:1600
	s_wait_loadcnt_dscnt 0x201
	v_mul_f64_e32 v[144:145], v[4:5], v[22:23]
	v_mul_f64_e32 v[22:23], v[6:7], v[22:23]
	s_wait_loadcnt_dscnt 0x100
	v_mul_f64_e32 v[18:19], v[8:9], v[130:131]
	v_mul_f64_e32 v[130:131], v[10:11], v[130:131]
	v_add_f64_e32 v[12:13], v[14:15], v[12:13]
	v_add_f64_e32 v[14:15], v[140:141], v[146:147]
	v_fmac_f64_e32 v[144:145], v[6:7], v[20:21]
	v_fma_f64 v[20:21], v[4:5], v[20:21], -v[22:23]
	ds_load_b128 v[4:7], v2 offset:1616
	v_fmac_f64_e32 v[18:19], v[10:11], v[128:129]
	v_fma_f64 v[8:9], v[8:9], v[128:129], -v[130:131]
	v_add_f64_e32 v[12:13], v[12:13], v[16:17]
	v_add_f64_e32 v[14:15], v[14:15], v[142:143]
	s_wait_loadcnt_dscnt 0x0
	v_mul_f64_e32 v[16:17], v[4:5], v[134:135]
	v_mul_f64_e32 v[22:23], v[6:7], v[134:135]
	s_delay_alu instid0(VALU_DEP_4) | instskip(NEXT) | instid1(VALU_DEP_4)
	v_add_f64_e32 v[10:11], v[12:13], v[20:21]
	v_add_f64_e32 v[12:13], v[14:15], v[144:145]
	s_delay_alu instid0(VALU_DEP_4) | instskip(NEXT) | instid1(VALU_DEP_4)
	v_fmac_f64_e32 v[16:17], v[6:7], v[132:133]
	v_fma_f64 v[4:5], v[4:5], v[132:133], -v[22:23]
	s_delay_alu instid0(VALU_DEP_4) | instskip(NEXT) | instid1(VALU_DEP_4)
	v_add_f64_e32 v[6:7], v[10:11], v[8:9]
	v_add_f64_e32 v[8:9], v[12:13], v[18:19]
	s_delay_alu instid0(VALU_DEP_2) | instskip(NEXT) | instid1(VALU_DEP_2)
	v_add_f64_e32 v[4:5], v[6:7], v[4:5]
	v_add_f64_e32 v[6:7], v[8:9], v[16:17]
	s_delay_alu instid0(VALU_DEP_2) | instskip(NEXT) | instid1(VALU_DEP_2)
	v_add_f64_e64 v[4:5], v[156:157], -v[4:5]
	v_add_f64_e64 v[6:7], v[158:159], -v[6:7]
	scratch_store_b128 off, v[4:7], off offset:112
	s_wait_xcnt 0x0
	v_cmpx_lt_u32_e32 6, v1
	s_cbranch_execz .LBB50_307
; %bb.306:
	scratch_load_b128 v[6:9], off, s56
	v_dual_mov_b32 v3, v2 :: v_dual_mov_b32 v4, v2
	v_mov_b32_e32 v5, v2
	scratch_store_b128 off, v[2:5], off offset:96
	s_wait_loadcnt 0x0
	ds_store_b128 v126, v[6:9]
.LBB50_307:
	s_wait_xcnt 0x0
	s_or_b32 exec_lo, exec_lo, s2
	s_wait_storecnt_dscnt 0x0
	s_barrier_signal -1
	s_barrier_wait -1
	s_clause 0x9
	scratch_load_b128 v[4:7], off, off offset:112
	scratch_load_b128 v[8:11], off, off offset:128
	;; [unrolled: 1-line block ×10, first 2 shown]
	ds_load_b128 v[148:151], v2 offset:928
	ds_load_b128 v[156:159], v2 offset:944
	s_clause 0x2
	scratch_load_b128 v[152:155], off, off offset:272
	scratch_load_b128 v[160:163], off, off offset:96
	;; [unrolled: 1-line block ×3, first 2 shown]
	s_mov_b32 s2, exec_lo
	s_wait_loadcnt_dscnt 0xc01
	v_mul_f64_e32 v[168:169], v[150:151], v[6:7]
	v_mul_f64_e32 v[172:173], v[148:149], v[6:7]
	s_wait_loadcnt_dscnt 0xb00
	v_mul_f64_e32 v[174:175], v[156:157], v[10:11]
	v_mul_f64_e32 v[10:11], v[158:159], v[10:11]
	s_delay_alu instid0(VALU_DEP_4) | instskip(NEXT) | instid1(VALU_DEP_4)
	v_fma_f64 v[176:177], v[148:149], v[4:5], -v[168:169]
	v_fmac_f64_e32 v[172:173], v[150:151], v[4:5]
	ds_load_b128 v[4:7], v2 offset:960
	ds_load_b128 v[148:151], v2 offset:976
	scratch_load_b128 v[168:171], off, off offset:304
	v_fmac_f64_e32 v[174:175], v[158:159], v[8:9]
	v_fma_f64 v[156:157], v[156:157], v[8:9], -v[10:11]
	scratch_load_b128 v[8:11], off, off offset:320
	s_wait_loadcnt_dscnt 0xc01
	v_mul_f64_e32 v[178:179], v[4:5], v[14:15]
	v_mul_f64_e32 v[14:15], v[6:7], v[14:15]
	v_add_f64_e32 v[158:159], 0, v[176:177]
	v_add_f64_e32 v[172:173], 0, v[172:173]
	s_wait_loadcnt_dscnt 0xb00
	v_mul_f64_e32 v[176:177], v[148:149], v[18:19]
	v_mul_f64_e32 v[18:19], v[150:151], v[18:19]
	v_fmac_f64_e32 v[178:179], v[6:7], v[12:13]
	v_fma_f64 v[180:181], v[4:5], v[12:13], -v[14:15]
	ds_load_b128 v[4:7], v2 offset:992
	ds_load_b128 v[12:15], v2 offset:1008
	v_add_f64_e32 v[182:183], v[158:159], v[156:157]
	v_add_f64_e32 v[172:173], v[172:173], v[174:175]
	scratch_load_b128 v[156:159], off, off offset:336
	v_fmac_f64_e32 v[176:177], v[150:151], v[16:17]
	v_fma_f64 v[148:149], v[148:149], v[16:17], -v[18:19]
	scratch_load_b128 v[16:19], off, off offset:352
	s_wait_loadcnt_dscnt 0xc01
	v_mul_f64_e32 v[174:175], v[4:5], v[22:23]
	v_mul_f64_e32 v[22:23], v[6:7], v[22:23]
	v_add_f64_e32 v[150:151], v[182:183], v[180:181]
	v_add_f64_e32 v[172:173], v[172:173], v[178:179]
	s_wait_loadcnt_dscnt 0xb00
	v_mul_f64_e32 v[178:179], v[12:13], v[130:131]
	v_mul_f64_e32 v[130:131], v[14:15], v[130:131]
	v_fmac_f64_e32 v[174:175], v[6:7], v[20:21]
	v_fma_f64 v[180:181], v[4:5], v[20:21], -v[22:23]
	ds_load_b128 v[4:7], v2 offset:1024
	ds_load_b128 v[20:23], v2 offset:1040
	v_add_f64_e32 v[182:183], v[150:151], v[148:149]
	v_add_f64_e32 v[172:173], v[172:173], v[176:177]
	scratch_load_b128 v[148:151], off, off offset:368
	s_wait_loadcnt_dscnt 0xb01
	v_mul_f64_e32 v[176:177], v[4:5], v[134:135]
	v_mul_f64_e32 v[134:135], v[6:7], v[134:135]
	v_fmac_f64_e32 v[178:179], v[14:15], v[128:129]
	v_fma_f64 v[128:129], v[12:13], v[128:129], -v[130:131]
	scratch_load_b128 v[12:15], off, off offset:384
	v_add_f64_e32 v[130:131], v[182:183], v[180:181]
	v_add_f64_e32 v[172:173], v[172:173], v[174:175]
	s_wait_loadcnt_dscnt 0xb00
	v_mul_f64_e32 v[174:175], v[20:21], v[138:139]
	v_mul_f64_e32 v[138:139], v[22:23], v[138:139]
	v_fmac_f64_e32 v[176:177], v[6:7], v[132:133]
	v_fma_f64 v[180:181], v[4:5], v[132:133], -v[134:135]
	v_add_f64_e32 v[182:183], v[130:131], v[128:129]
	v_add_f64_e32 v[172:173], v[172:173], v[178:179]
	ds_load_b128 v[4:7], v2 offset:1056
	ds_load_b128 v[128:131], v2 offset:1072
	scratch_load_b128 v[132:135], off, off offset:400
	v_fmac_f64_e32 v[174:175], v[22:23], v[136:137]
	v_fma_f64 v[136:137], v[20:21], v[136:137], -v[138:139]
	scratch_load_b128 v[20:23], off, off offset:416
	s_wait_loadcnt_dscnt 0xc01
	v_mul_f64_e32 v[178:179], v[4:5], v[142:143]
	v_mul_f64_e32 v[142:143], v[6:7], v[142:143]
	v_add_f64_e32 v[138:139], v[182:183], v[180:181]
	v_add_f64_e32 v[172:173], v[172:173], v[176:177]
	s_wait_loadcnt_dscnt 0xb00
	v_mul_f64_e32 v[176:177], v[128:129], v[146:147]
	v_mul_f64_e32 v[146:147], v[130:131], v[146:147]
	v_fmac_f64_e32 v[178:179], v[6:7], v[140:141]
	v_fma_f64 v[180:181], v[4:5], v[140:141], -v[142:143]
	v_add_f64_e32 v[182:183], v[138:139], v[136:137]
	v_add_f64_e32 v[172:173], v[172:173], v[174:175]
	ds_load_b128 v[4:7], v2 offset:1088
	ds_load_b128 v[136:139], v2 offset:1104
	scratch_load_b128 v[140:143], off, off offset:432
	v_fmac_f64_e32 v[176:177], v[130:131], v[144:145]
	v_fma_f64 v[144:145], v[128:129], v[144:145], -v[146:147]
	scratch_load_b128 v[128:131], off, off offset:448
	s_wait_loadcnt_dscnt 0xc01
	v_mul_f64_e32 v[174:175], v[4:5], v[154:155]
	v_mul_f64_e32 v[154:155], v[6:7], v[154:155]
	;; [unrolled: 18-line block ×5, first 2 shown]
	v_add_f64_e32 v[166:167], v[182:183], v[180:181]
	v_add_f64_e32 v[172:173], v[172:173], v[178:179]
	s_wait_loadcnt_dscnt 0xa00
	v_mul_f64_e32 v[178:179], v[144:145], v[14:15]
	v_mul_f64_e32 v[14:15], v[146:147], v[14:15]
	v_fmac_f64_e32 v[174:175], v[6:7], v[148:149]
	v_fma_f64 v[180:181], v[4:5], v[148:149], -v[150:151]
	ds_load_b128 v[4:7], v2 offset:1216
	ds_load_b128 v[148:151], v2 offset:1232
	v_add_f64_e32 v[182:183], v[166:167], v[164:165]
	v_add_f64_e32 v[172:173], v[172:173], v[176:177]
	scratch_load_b128 v[164:167], off, off offset:560
	v_fmac_f64_e32 v[178:179], v[146:147], v[12:13]
	v_fma_f64 v[144:145], v[144:145], v[12:13], -v[14:15]
	scratch_load_b128 v[12:15], off, off offset:576
	s_wait_loadcnt_dscnt 0xb01
	v_mul_f64_e32 v[176:177], v[4:5], v[134:135]
	v_mul_f64_e32 v[134:135], v[6:7], v[134:135]
	v_add_f64_e32 v[146:147], v[182:183], v[180:181]
	v_add_f64_e32 v[172:173], v[172:173], v[174:175]
	s_wait_loadcnt_dscnt 0xa00
	v_mul_f64_e32 v[174:175], v[148:149], v[22:23]
	v_mul_f64_e32 v[22:23], v[150:151], v[22:23]
	v_fmac_f64_e32 v[176:177], v[6:7], v[132:133]
	v_fma_f64 v[180:181], v[4:5], v[132:133], -v[134:135]
	ds_load_b128 v[4:7], v2 offset:1248
	ds_load_b128 v[132:135], v2 offset:1264
	v_add_f64_e32 v[182:183], v[146:147], v[144:145]
	v_add_f64_e32 v[172:173], v[172:173], v[178:179]
	scratch_load_b128 v[144:147], off, off offset:592
	s_wait_loadcnt_dscnt 0xa01
	v_mul_f64_e32 v[178:179], v[4:5], v[142:143]
	v_mul_f64_e32 v[142:143], v[6:7], v[142:143]
	v_fmac_f64_e32 v[174:175], v[150:151], v[20:21]
	v_fma_f64 v[148:149], v[148:149], v[20:21], -v[22:23]
	scratch_load_b128 v[20:23], off, off offset:608
	v_add_f64_e32 v[150:151], v[182:183], v[180:181]
	v_add_f64_e32 v[172:173], v[172:173], v[176:177]
	s_wait_loadcnt_dscnt 0xa00
	v_mul_f64_e32 v[176:177], v[132:133], v[130:131]
	v_mul_f64_e32 v[130:131], v[134:135], v[130:131]
	v_fmac_f64_e32 v[178:179], v[6:7], v[140:141]
	v_fma_f64 v[180:181], v[4:5], v[140:141], -v[142:143]
	ds_load_b128 v[4:7], v2 offset:1280
	ds_load_b128 v[140:143], v2 offset:1296
	v_add_f64_e32 v[182:183], v[150:151], v[148:149]
	v_add_f64_e32 v[172:173], v[172:173], v[174:175]
	scratch_load_b128 v[148:151], off, off offset:624
	s_wait_loadcnt_dscnt 0xa01
	v_mul_f64_e32 v[174:175], v[4:5], v[154:155]
	v_mul_f64_e32 v[154:155], v[6:7], v[154:155]
	v_fmac_f64_e32 v[176:177], v[134:135], v[128:129]
	v_fma_f64 v[132:133], v[132:133], v[128:129], -v[130:131]
	scratch_load_b128 v[128:131], off, off offset:640
	v_add_f64_e32 v[134:135], v[182:183], v[180:181]
	v_add_f64_e32 v[172:173], v[172:173], v[178:179]
	s_wait_loadcnt_dscnt 0xa00
	v_mul_f64_e32 v[178:179], v[140:141], v[138:139]
	v_mul_f64_e32 v[138:139], v[142:143], v[138:139]
	v_fmac_f64_e32 v[174:175], v[6:7], v[152:153]
	v_fma_f64 v[180:181], v[4:5], v[152:153], -v[154:155]
	v_add_f64_e32 v[182:183], v[134:135], v[132:133]
	v_add_f64_e32 v[172:173], v[172:173], v[176:177]
	ds_load_b128 v[4:7], v2 offset:1312
	ds_load_b128 v[132:135], v2 offset:1328
	scratch_load_b128 v[152:155], off, off offset:656
	v_fmac_f64_e32 v[178:179], v[142:143], v[136:137]
	v_fma_f64 v[140:141], v[140:141], v[136:137], -v[138:139]
	scratch_load_b128 v[136:139], off, off offset:672
	s_wait_loadcnt_dscnt 0xb01
	v_mul_f64_e32 v[176:177], v[4:5], v[170:171]
	v_mul_f64_e32 v[170:171], v[6:7], v[170:171]
	v_add_f64_e32 v[142:143], v[182:183], v[180:181]
	v_add_f64_e32 v[172:173], v[172:173], v[174:175]
	s_wait_loadcnt_dscnt 0xa00
	v_mul_f64_e32 v[174:175], v[132:133], v[10:11]
	v_mul_f64_e32 v[10:11], v[134:135], v[10:11]
	v_fmac_f64_e32 v[176:177], v[6:7], v[168:169]
	v_fma_f64 v[180:181], v[4:5], v[168:169], -v[170:171]
	v_add_f64_e32 v[182:183], v[142:143], v[140:141]
	v_add_f64_e32 v[172:173], v[172:173], v[178:179]
	ds_load_b128 v[4:7], v2 offset:1344
	ds_load_b128 v[140:143], v2 offset:1360
	scratch_load_b128 v[168:171], off, off offset:688
	v_fmac_f64_e32 v[174:175], v[134:135], v[8:9]
	v_fma_f64 v[132:133], v[132:133], v[8:9], -v[10:11]
	scratch_load_b128 v[8:11], off, off offset:704
	s_wait_loadcnt_dscnt 0xb01
	v_mul_f64_e32 v[178:179], v[4:5], v[158:159]
	v_mul_f64_e32 v[158:159], v[6:7], v[158:159]
	;; [unrolled: 18-line block ×5, first 2 shown]
	v_add_f64_e32 v[142:143], v[182:183], v[180:181]
	v_add_f64_e32 v[172:173], v[172:173], v[176:177]
	s_wait_loadcnt_dscnt 0xa00
	v_mul_f64_e32 v[176:177], v[132:133], v[130:131]
	v_mul_f64_e32 v[130:131], v[134:135], v[130:131]
	v_fmac_f64_e32 v[178:179], v[6:7], v[148:149]
	v_fma_f64 v[148:149], v[4:5], v[148:149], -v[150:151]
	v_add_f64_e32 v[150:151], v[142:143], v[140:141]
	v_add_f64_e32 v[172:173], v[172:173], v[174:175]
	ds_load_b128 v[4:7], v2 offset:1472
	ds_load_b128 v[140:143], v2 offset:1488
	v_fmac_f64_e32 v[176:177], v[134:135], v[128:129]
	v_fma_f64 v[128:129], v[132:133], v[128:129], -v[130:131]
	s_wait_loadcnt_dscnt 0x901
	v_mul_f64_e32 v[174:175], v[4:5], v[154:155]
	v_mul_f64_e32 v[154:155], v[6:7], v[154:155]
	s_wait_loadcnt_dscnt 0x800
	v_mul_f64_e32 v[134:135], v[140:141], v[138:139]
	v_mul_f64_e32 v[138:139], v[142:143], v[138:139]
	v_add_f64_e32 v[130:131], v[150:151], v[148:149]
	v_add_f64_e32 v[132:133], v[172:173], v[178:179]
	v_fmac_f64_e32 v[174:175], v[6:7], v[152:153]
	v_fma_f64 v[148:149], v[4:5], v[152:153], -v[154:155]
	v_fmac_f64_e32 v[134:135], v[142:143], v[136:137]
	v_fma_f64 v[136:137], v[140:141], v[136:137], -v[138:139]
	v_add_f64_e32 v[150:151], v[130:131], v[128:129]
	v_add_f64_e32 v[132:133], v[132:133], v[176:177]
	ds_load_b128 v[4:7], v2 offset:1504
	ds_load_b128 v[128:131], v2 offset:1520
	s_wait_loadcnt_dscnt 0x701
	v_mul_f64_e32 v[152:153], v[4:5], v[170:171]
	v_mul_f64_e32 v[154:155], v[6:7], v[170:171]
	s_wait_loadcnt_dscnt 0x600
	v_mul_f64_e32 v[140:141], v[128:129], v[10:11]
	v_mul_f64_e32 v[10:11], v[130:131], v[10:11]
	v_add_f64_e32 v[138:139], v[150:151], v[148:149]
	v_add_f64_e32 v[132:133], v[132:133], v[174:175]
	v_fmac_f64_e32 v[152:153], v[6:7], v[168:169]
	v_fma_f64 v[142:143], v[4:5], v[168:169], -v[154:155]
	v_fmac_f64_e32 v[140:141], v[130:131], v[8:9]
	v_fma_f64 v[8:9], v[128:129], v[8:9], -v[10:11]
	v_add_f64_e32 v[136:137], v[138:139], v[136:137]
	v_add_f64_e32 v[138:139], v[132:133], v[134:135]
	ds_load_b128 v[4:7], v2 offset:1536
	ds_load_b128 v[132:135], v2 offset:1552
	;; [unrolled: 16-line block ×4, first 2 shown]
	s_wait_loadcnt_dscnt 0x101
	v_mul_f64_e32 v[2:3], v[4:5], v[146:147]
	v_mul_f64_e32 v[130:131], v[6:7], v[146:147]
	v_add_f64_e32 v[10:11], v[18:19], v[136:137]
	v_add_f64_e32 v[12:13], v[128:129], v[140:141]
	s_wait_loadcnt_dscnt 0x0
	v_mul_f64_e32 v[18:19], v[14:15], v[22:23]
	v_mul_f64_e32 v[22:23], v[16:17], v[22:23]
	v_fmac_f64_e32 v[2:3], v[6:7], v[144:145]
	v_fma_f64 v[4:5], v[4:5], v[144:145], -v[130:131]
	v_add_f64_e32 v[6:7], v[10:11], v[8:9]
	v_add_f64_e32 v[8:9], v[12:13], v[132:133]
	v_fmac_f64_e32 v[18:19], v[16:17], v[20:21]
	v_fma_f64 v[10:11], v[14:15], v[20:21], -v[22:23]
	s_delay_alu instid0(VALU_DEP_4) | instskip(NEXT) | instid1(VALU_DEP_4)
	v_add_f64_e32 v[4:5], v[6:7], v[4:5]
	v_add_f64_e32 v[2:3], v[8:9], v[2:3]
	s_delay_alu instid0(VALU_DEP_2) | instskip(NEXT) | instid1(VALU_DEP_2)
	v_add_f64_e32 v[4:5], v[4:5], v[10:11]
	v_add_f64_e32 v[6:7], v[2:3], v[18:19]
	s_delay_alu instid0(VALU_DEP_2) | instskip(NEXT) | instid1(VALU_DEP_2)
	v_add_f64_e64 v[2:3], v[160:161], -v[4:5]
	v_add_f64_e64 v[4:5], v[162:163], -v[6:7]
	scratch_store_b128 off, v[2:5], off offset:96
	s_wait_xcnt 0x0
	v_cmpx_lt_u32_e32 5, v1
	s_cbranch_execz .LBB50_309
; %bb.308:
	scratch_load_b128 v[2:5], off, s54
	v_mov_b32_e32 v6, 0
	s_delay_alu instid0(VALU_DEP_1)
	v_dual_mov_b32 v7, v6 :: v_dual_mov_b32 v8, v6
	v_mov_b32_e32 v9, v6
	scratch_store_b128 off, v[6:9], off offset:80
	s_wait_loadcnt 0x0
	ds_store_b128 v126, v[2:5]
.LBB50_309:
	s_wait_xcnt 0x0
	s_or_b32 exec_lo, exec_lo, s2
	s_wait_storecnt_dscnt 0x0
	s_barrier_signal -1
	s_barrier_wait -1
	s_clause 0x9
	scratch_load_b128 v[4:7], off, off offset:96
	scratch_load_b128 v[8:11], off, off offset:112
	;; [unrolled: 1-line block ×10, first 2 shown]
	v_mov_b32_e32 v2, 0
	s_mov_b32 s2, exec_lo
	ds_load_b128 v[148:151], v2 offset:912
	s_clause 0x2
	scratch_load_b128 v[152:155], off, off offset:256
	scratch_load_b128 v[156:159], off, off offset:80
	;; [unrolled: 1-line block ×3, first 2 shown]
	s_wait_loadcnt_dscnt 0xc00
	v_mul_f64_e32 v[168:169], v[150:151], v[6:7]
	v_mul_f64_e32 v[172:173], v[148:149], v[6:7]
	ds_load_b128 v[160:163], v2 offset:928
	v_fma_f64 v[176:177], v[148:149], v[4:5], -v[168:169]
	v_fmac_f64_e32 v[172:173], v[150:151], v[4:5]
	ds_load_b128 v[4:7], v2 offset:944
	s_wait_loadcnt_dscnt 0xb01
	v_mul_f64_e32 v[174:175], v[160:161], v[10:11]
	v_mul_f64_e32 v[10:11], v[162:163], v[10:11]
	scratch_load_b128 v[148:151], off, off offset:288
	ds_load_b128 v[168:171], v2 offset:960
	s_wait_loadcnt_dscnt 0xb01
	v_mul_f64_e32 v[178:179], v[4:5], v[14:15]
	v_mul_f64_e32 v[14:15], v[6:7], v[14:15]
	v_add_f64_e32 v[172:173], 0, v[172:173]
	v_fmac_f64_e32 v[174:175], v[162:163], v[8:9]
	v_fma_f64 v[160:161], v[160:161], v[8:9], -v[10:11]
	v_add_f64_e32 v[162:163], 0, v[176:177]
	scratch_load_b128 v[8:11], off, off offset:304
	v_fmac_f64_e32 v[178:179], v[6:7], v[12:13]
	v_fma_f64 v[180:181], v[4:5], v[12:13], -v[14:15]
	ds_load_b128 v[4:7], v2 offset:976
	s_wait_loadcnt_dscnt 0xb01
	v_mul_f64_e32 v[176:177], v[168:169], v[18:19]
	v_mul_f64_e32 v[18:19], v[170:171], v[18:19]
	scratch_load_b128 v[12:15], off, off offset:320
	v_add_f64_e32 v[172:173], v[172:173], v[174:175]
	v_add_f64_e32 v[182:183], v[162:163], v[160:161]
	ds_load_b128 v[160:163], v2 offset:992
	s_wait_loadcnt_dscnt 0xb01
	v_mul_f64_e32 v[174:175], v[4:5], v[22:23]
	v_mul_f64_e32 v[22:23], v[6:7], v[22:23]
	v_fmac_f64_e32 v[176:177], v[170:171], v[16:17]
	v_fma_f64 v[168:169], v[168:169], v[16:17], -v[18:19]
	scratch_load_b128 v[16:19], off, off offset:336
	v_add_f64_e32 v[172:173], v[172:173], v[178:179]
	v_add_f64_e32 v[170:171], v[182:183], v[180:181]
	v_fmac_f64_e32 v[174:175], v[6:7], v[20:21]
	v_fma_f64 v[180:181], v[4:5], v[20:21], -v[22:23]
	ds_load_b128 v[4:7], v2 offset:1008
	s_wait_loadcnt_dscnt 0xb01
	v_mul_f64_e32 v[178:179], v[160:161], v[130:131]
	v_mul_f64_e32 v[130:131], v[162:163], v[130:131]
	scratch_load_b128 v[20:23], off, off offset:352
	v_add_f64_e32 v[172:173], v[172:173], v[176:177]
	s_wait_loadcnt_dscnt 0xb00
	v_mul_f64_e32 v[176:177], v[4:5], v[134:135]
	v_add_f64_e32 v[182:183], v[170:171], v[168:169]
	v_mul_f64_e32 v[134:135], v[6:7], v[134:135]
	ds_load_b128 v[168:171], v2 offset:1024
	v_fmac_f64_e32 v[178:179], v[162:163], v[128:129]
	v_fma_f64 v[160:161], v[160:161], v[128:129], -v[130:131]
	scratch_load_b128 v[128:131], off, off offset:368
	v_add_f64_e32 v[172:173], v[172:173], v[174:175]
	v_fmac_f64_e32 v[176:177], v[6:7], v[132:133]
	v_add_f64_e32 v[162:163], v[182:183], v[180:181]
	v_fma_f64 v[180:181], v[4:5], v[132:133], -v[134:135]
	ds_load_b128 v[4:7], v2 offset:1040
	s_wait_loadcnt_dscnt 0xb01
	v_mul_f64_e32 v[174:175], v[168:169], v[138:139]
	v_mul_f64_e32 v[138:139], v[170:171], v[138:139]
	scratch_load_b128 v[132:135], off, off offset:384
	v_add_f64_e32 v[172:173], v[172:173], v[178:179]
	s_wait_loadcnt_dscnt 0xb00
	v_mul_f64_e32 v[178:179], v[4:5], v[142:143]
	v_add_f64_e32 v[182:183], v[162:163], v[160:161]
	v_mul_f64_e32 v[142:143], v[6:7], v[142:143]
	ds_load_b128 v[160:163], v2 offset:1056
	v_fmac_f64_e32 v[174:175], v[170:171], v[136:137]
	v_fma_f64 v[168:169], v[168:169], v[136:137], -v[138:139]
	scratch_load_b128 v[136:139], off, off offset:400
	v_add_f64_e32 v[172:173], v[172:173], v[176:177]
	v_fmac_f64_e32 v[178:179], v[6:7], v[140:141]
	v_add_f64_e32 v[170:171], v[182:183], v[180:181]
	;; [unrolled: 18-line block ×3, first 2 shown]
	v_fma_f64 v[180:181], v[4:5], v[152:153], -v[154:155]
	ds_load_b128 v[4:7], v2 offset:1104
	s_wait_loadcnt_dscnt 0xa01
	v_mul_f64_e32 v[178:179], v[168:169], v[166:167]
	v_mul_f64_e32 v[166:167], v[170:171], v[166:167]
	scratch_load_b128 v[152:155], off, off offset:448
	v_add_f64_e32 v[172:173], v[172:173], v[176:177]
	v_add_f64_e32 v[182:183], v[162:163], v[160:161]
	s_wait_loadcnt_dscnt 0xa00
	v_mul_f64_e32 v[176:177], v[4:5], v[150:151]
	v_mul_f64_e32 v[150:151], v[6:7], v[150:151]
	v_fmac_f64_e32 v[178:179], v[170:171], v[164:165]
	v_fma_f64 v[168:169], v[168:169], v[164:165], -v[166:167]
	ds_load_b128 v[160:163], v2 offset:1120
	scratch_load_b128 v[164:167], off, off offset:464
	v_add_f64_e32 v[172:173], v[172:173], v[174:175]
	v_add_f64_e32 v[170:171], v[182:183], v[180:181]
	v_fmac_f64_e32 v[176:177], v[6:7], v[148:149]
	v_fma_f64 v[180:181], v[4:5], v[148:149], -v[150:151]
	ds_load_b128 v[4:7], v2 offset:1136
	s_wait_loadcnt_dscnt 0xa01
	v_mul_f64_e32 v[174:175], v[160:161], v[10:11]
	v_mul_f64_e32 v[10:11], v[162:163], v[10:11]
	scratch_load_b128 v[148:151], off, off offset:480
	v_add_f64_e32 v[172:173], v[172:173], v[178:179]
	s_wait_loadcnt_dscnt 0xa00
	v_mul_f64_e32 v[178:179], v[4:5], v[14:15]
	v_add_f64_e32 v[182:183], v[170:171], v[168:169]
	v_mul_f64_e32 v[14:15], v[6:7], v[14:15]
	ds_load_b128 v[168:171], v2 offset:1152
	v_fmac_f64_e32 v[174:175], v[162:163], v[8:9]
	v_fma_f64 v[160:161], v[160:161], v[8:9], -v[10:11]
	scratch_load_b128 v[8:11], off, off offset:496
	v_add_f64_e32 v[172:173], v[172:173], v[176:177]
	v_fmac_f64_e32 v[178:179], v[6:7], v[12:13]
	v_add_f64_e32 v[162:163], v[182:183], v[180:181]
	v_fma_f64 v[180:181], v[4:5], v[12:13], -v[14:15]
	ds_load_b128 v[4:7], v2 offset:1168
	s_wait_loadcnt_dscnt 0xa01
	v_mul_f64_e32 v[176:177], v[168:169], v[18:19]
	v_mul_f64_e32 v[18:19], v[170:171], v[18:19]
	scratch_load_b128 v[12:15], off, off offset:512
	v_add_f64_e32 v[172:173], v[172:173], v[174:175]
	s_wait_loadcnt_dscnt 0xa00
	v_mul_f64_e32 v[174:175], v[4:5], v[22:23]
	v_add_f64_e32 v[182:183], v[162:163], v[160:161]
	v_mul_f64_e32 v[22:23], v[6:7], v[22:23]
	ds_load_b128 v[160:163], v2 offset:1184
	v_fmac_f64_e32 v[176:177], v[170:171], v[16:17]
	v_fma_f64 v[168:169], v[168:169], v[16:17], -v[18:19]
	scratch_load_b128 v[16:19], off, off offset:528
	v_add_f64_e32 v[172:173], v[172:173], v[178:179]
	v_fmac_f64_e32 v[174:175], v[6:7], v[20:21]
	v_add_f64_e32 v[170:171], v[182:183], v[180:181]
	;; [unrolled: 18-line block ×10, first 2 shown]
	v_fma_f64 v[180:181], v[4:5], v[140:141], -v[142:143]
	ds_load_b128 v[4:7], v2 offset:1456
	s_wait_loadcnt_dscnt 0xa01
	v_mul_f64_e32 v[176:177], v[160:161], v[146:147]
	v_mul_f64_e32 v[146:147], v[162:163], v[146:147]
	scratch_load_b128 v[140:143], off, off offset:800
	v_add_f64_e32 v[172:173], v[172:173], v[174:175]
	s_wait_loadcnt_dscnt 0xa00
	v_mul_f64_e32 v[174:175], v[4:5], v[154:155]
	v_add_f64_e32 v[182:183], v[170:171], v[168:169]
	v_mul_f64_e32 v[154:155], v[6:7], v[154:155]
	ds_load_b128 v[168:171], v2 offset:1472
	v_fmac_f64_e32 v[176:177], v[162:163], v[144:145]
	v_fma_f64 v[144:145], v[160:161], v[144:145], -v[146:147]
	s_wait_loadcnt_dscnt 0x900
	v_mul_f64_e32 v[162:163], v[168:169], v[166:167]
	v_mul_f64_e32 v[166:167], v[170:171], v[166:167]
	v_add_f64_e32 v[160:161], v[172:173], v[178:179]
	v_fmac_f64_e32 v[174:175], v[6:7], v[152:153]
	v_add_f64_e32 v[146:147], v[182:183], v[180:181]
	v_fma_f64 v[152:153], v[4:5], v[152:153], -v[154:155]
	v_fmac_f64_e32 v[162:163], v[170:171], v[164:165]
	v_fma_f64 v[164:165], v[168:169], v[164:165], -v[166:167]
	v_add_f64_e32 v[160:161], v[160:161], v[176:177]
	v_add_f64_e32 v[154:155], v[146:147], v[144:145]
	ds_load_b128 v[4:7], v2 offset:1488
	ds_load_b128 v[144:147], v2 offset:1504
	s_wait_loadcnt_dscnt 0x801
	v_mul_f64_e32 v[172:173], v[4:5], v[150:151]
	v_mul_f64_e32 v[150:151], v[6:7], v[150:151]
	v_add_f64_e32 v[152:153], v[154:155], v[152:153]
	v_add_f64_e32 v[154:155], v[160:161], v[174:175]
	s_wait_loadcnt_dscnt 0x700
	v_mul_f64_e32 v[160:161], v[144:145], v[10:11]
	v_mul_f64_e32 v[10:11], v[146:147], v[10:11]
	v_fmac_f64_e32 v[172:173], v[6:7], v[148:149]
	v_fma_f64 v[166:167], v[4:5], v[148:149], -v[150:151]
	ds_load_b128 v[4:7], v2 offset:1520
	ds_load_b128 v[148:151], v2 offset:1536
	v_add_f64_e32 v[152:153], v[152:153], v[164:165]
	v_add_f64_e32 v[154:155], v[154:155], v[162:163]
	v_fmac_f64_e32 v[160:161], v[146:147], v[8:9]
	v_fma_f64 v[8:9], v[144:145], v[8:9], -v[10:11]
	s_wait_loadcnt_dscnt 0x601
	v_mul_f64_e32 v[162:163], v[4:5], v[14:15]
	v_mul_f64_e32 v[14:15], v[6:7], v[14:15]
	s_wait_loadcnt_dscnt 0x500
	v_mul_f64_e32 v[146:147], v[148:149], v[18:19]
	v_mul_f64_e32 v[18:19], v[150:151], v[18:19]
	v_add_f64_e32 v[10:11], v[152:153], v[166:167]
	v_add_f64_e32 v[144:145], v[154:155], v[172:173]
	v_fmac_f64_e32 v[162:163], v[6:7], v[12:13]
	v_fma_f64 v[12:13], v[4:5], v[12:13], -v[14:15]
	v_fmac_f64_e32 v[146:147], v[150:151], v[16:17]
	v_fma_f64 v[16:17], v[148:149], v[16:17], -v[18:19]
	v_add_f64_e32 v[14:15], v[10:11], v[8:9]
	v_add_f64_e32 v[144:145], v[144:145], v[160:161]
	ds_load_b128 v[4:7], v2 offset:1552
	ds_load_b128 v[8:11], v2 offset:1568
	s_wait_loadcnt_dscnt 0x401
	v_mul_f64_e32 v[152:153], v[4:5], v[22:23]
	v_mul_f64_e32 v[22:23], v[6:7], v[22:23]
	s_wait_loadcnt_dscnt 0x300
	v_mul_f64_e32 v[18:19], v[8:9], v[130:131]
	v_mul_f64_e32 v[130:131], v[10:11], v[130:131]
	v_add_f64_e32 v[12:13], v[14:15], v[12:13]
	v_add_f64_e32 v[14:15], v[144:145], v[162:163]
	v_fmac_f64_e32 v[152:153], v[6:7], v[20:21]
	v_fma_f64 v[20:21], v[4:5], v[20:21], -v[22:23]
	v_fmac_f64_e32 v[18:19], v[10:11], v[128:129]
	v_fma_f64 v[8:9], v[8:9], v[128:129], -v[130:131]
	v_add_f64_e32 v[16:17], v[12:13], v[16:17]
	v_add_f64_e32 v[22:23], v[14:15], v[146:147]
	ds_load_b128 v[4:7], v2 offset:1584
	ds_load_b128 v[12:15], v2 offset:1600
	s_wait_loadcnt_dscnt 0x201
	v_mul_f64_e32 v[144:145], v[4:5], v[134:135]
	v_mul_f64_e32 v[134:135], v[6:7], v[134:135]
	v_add_f64_e32 v[10:11], v[16:17], v[20:21]
	v_add_f64_e32 v[16:17], v[22:23], v[152:153]
	s_wait_loadcnt_dscnt 0x100
	v_mul_f64_e32 v[20:21], v[12:13], v[138:139]
	v_mul_f64_e32 v[22:23], v[14:15], v[138:139]
	v_fmac_f64_e32 v[144:145], v[6:7], v[132:133]
	v_fma_f64 v[128:129], v[4:5], v[132:133], -v[134:135]
	ds_load_b128 v[4:7], v2 offset:1616
	v_add_f64_e32 v[8:9], v[10:11], v[8:9]
	v_add_f64_e32 v[10:11], v[16:17], v[18:19]
	v_fmac_f64_e32 v[20:21], v[14:15], v[136:137]
	v_fma_f64 v[12:13], v[12:13], v[136:137], -v[22:23]
	s_wait_loadcnt_dscnt 0x0
	v_mul_f64_e32 v[16:17], v[4:5], v[142:143]
	v_mul_f64_e32 v[18:19], v[6:7], v[142:143]
	v_add_f64_e32 v[8:9], v[8:9], v[128:129]
	v_add_f64_e32 v[10:11], v[10:11], v[144:145]
	s_delay_alu instid0(VALU_DEP_4) | instskip(NEXT) | instid1(VALU_DEP_4)
	v_fmac_f64_e32 v[16:17], v[6:7], v[140:141]
	v_fma_f64 v[4:5], v[4:5], v[140:141], -v[18:19]
	s_delay_alu instid0(VALU_DEP_4) | instskip(NEXT) | instid1(VALU_DEP_4)
	v_add_f64_e32 v[6:7], v[8:9], v[12:13]
	v_add_f64_e32 v[8:9], v[10:11], v[20:21]
	s_delay_alu instid0(VALU_DEP_2) | instskip(NEXT) | instid1(VALU_DEP_2)
	v_add_f64_e32 v[4:5], v[6:7], v[4:5]
	v_add_f64_e32 v[6:7], v[8:9], v[16:17]
	s_delay_alu instid0(VALU_DEP_2) | instskip(NEXT) | instid1(VALU_DEP_2)
	v_add_f64_e64 v[4:5], v[156:157], -v[4:5]
	v_add_f64_e64 v[6:7], v[158:159], -v[6:7]
	scratch_store_b128 off, v[4:7], off offset:80
	s_wait_xcnt 0x0
	v_cmpx_lt_u32_e32 4, v1
	s_cbranch_execz .LBB50_311
; %bb.310:
	scratch_load_b128 v[6:9], off, s45
	v_dual_mov_b32 v3, v2 :: v_dual_mov_b32 v4, v2
	v_mov_b32_e32 v5, v2
	scratch_store_b128 off, v[2:5], off offset:64
	s_wait_loadcnt 0x0
	ds_store_b128 v126, v[6:9]
.LBB50_311:
	s_wait_xcnt 0x0
	s_or_b32 exec_lo, exec_lo, s2
	s_wait_storecnt_dscnt 0x0
	s_barrier_signal -1
	s_barrier_wait -1
	s_clause 0x9
	scratch_load_b128 v[4:7], off, off offset:80
	scratch_load_b128 v[8:11], off, off offset:96
	;; [unrolled: 1-line block ×10, first 2 shown]
	ds_load_b128 v[148:151], v2 offset:896
	ds_load_b128 v[156:159], v2 offset:912
	s_clause 0x2
	scratch_load_b128 v[152:155], off, off offset:240
	scratch_load_b128 v[160:163], off, off offset:64
	;; [unrolled: 1-line block ×3, first 2 shown]
	s_mov_b32 s2, exec_lo
	s_wait_loadcnt_dscnt 0xc01
	v_mul_f64_e32 v[168:169], v[150:151], v[6:7]
	v_mul_f64_e32 v[172:173], v[148:149], v[6:7]
	s_wait_loadcnt_dscnt 0xb00
	v_mul_f64_e32 v[174:175], v[156:157], v[10:11]
	v_mul_f64_e32 v[10:11], v[158:159], v[10:11]
	s_delay_alu instid0(VALU_DEP_4) | instskip(NEXT) | instid1(VALU_DEP_4)
	v_fma_f64 v[176:177], v[148:149], v[4:5], -v[168:169]
	v_fmac_f64_e32 v[172:173], v[150:151], v[4:5]
	ds_load_b128 v[4:7], v2 offset:928
	ds_load_b128 v[148:151], v2 offset:944
	scratch_load_b128 v[168:171], off, off offset:272
	v_fmac_f64_e32 v[174:175], v[158:159], v[8:9]
	v_fma_f64 v[156:157], v[156:157], v[8:9], -v[10:11]
	scratch_load_b128 v[8:11], off, off offset:288
	s_wait_loadcnt_dscnt 0xc01
	v_mul_f64_e32 v[178:179], v[4:5], v[14:15]
	v_mul_f64_e32 v[14:15], v[6:7], v[14:15]
	v_add_f64_e32 v[158:159], 0, v[176:177]
	v_add_f64_e32 v[172:173], 0, v[172:173]
	s_wait_loadcnt_dscnt 0xb00
	v_mul_f64_e32 v[176:177], v[148:149], v[18:19]
	v_mul_f64_e32 v[18:19], v[150:151], v[18:19]
	v_fmac_f64_e32 v[178:179], v[6:7], v[12:13]
	v_fma_f64 v[180:181], v[4:5], v[12:13], -v[14:15]
	ds_load_b128 v[4:7], v2 offset:960
	ds_load_b128 v[12:15], v2 offset:976
	v_add_f64_e32 v[182:183], v[158:159], v[156:157]
	v_add_f64_e32 v[172:173], v[172:173], v[174:175]
	scratch_load_b128 v[156:159], off, off offset:304
	v_fmac_f64_e32 v[176:177], v[150:151], v[16:17]
	v_fma_f64 v[148:149], v[148:149], v[16:17], -v[18:19]
	scratch_load_b128 v[16:19], off, off offset:320
	s_wait_loadcnt_dscnt 0xc01
	v_mul_f64_e32 v[174:175], v[4:5], v[22:23]
	v_mul_f64_e32 v[22:23], v[6:7], v[22:23]
	v_add_f64_e32 v[150:151], v[182:183], v[180:181]
	v_add_f64_e32 v[172:173], v[172:173], v[178:179]
	s_wait_loadcnt_dscnt 0xb00
	v_mul_f64_e32 v[178:179], v[12:13], v[130:131]
	v_mul_f64_e32 v[130:131], v[14:15], v[130:131]
	v_fmac_f64_e32 v[174:175], v[6:7], v[20:21]
	v_fma_f64 v[180:181], v[4:5], v[20:21], -v[22:23]
	ds_load_b128 v[4:7], v2 offset:992
	ds_load_b128 v[20:23], v2 offset:1008
	v_add_f64_e32 v[182:183], v[150:151], v[148:149]
	v_add_f64_e32 v[172:173], v[172:173], v[176:177]
	scratch_load_b128 v[148:151], off, off offset:336
	s_wait_loadcnt_dscnt 0xb01
	v_mul_f64_e32 v[176:177], v[4:5], v[134:135]
	v_mul_f64_e32 v[134:135], v[6:7], v[134:135]
	v_fmac_f64_e32 v[178:179], v[14:15], v[128:129]
	v_fma_f64 v[128:129], v[12:13], v[128:129], -v[130:131]
	scratch_load_b128 v[12:15], off, off offset:352
	v_add_f64_e32 v[130:131], v[182:183], v[180:181]
	v_add_f64_e32 v[172:173], v[172:173], v[174:175]
	s_wait_loadcnt_dscnt 0xb00
	v_mul_f64_e32 v[174:175], v[20:21], v[138:139]
	v_mul_f64_e32 v[138:139], v[22:23], v[138:139]
	v_fmac_f64_e32 v[176:177], v[6:7], v[132:133]
	v_fma_f64 v[180:181], v[4:5], v[132:133], -v[134:135]
	v_add_f64_e32 v[182:183], v[130:131], v[128:129]
	v_add_f64_e32 v[172:173], v[172:173], v[178:179]
	ds_load_b128 v[4:7], v2 offset:1024
	ds_load_b128 v[128:131], v2 offset:1040
	scratch_load_b128 v[132:135], off, off offset:368
	v_fmac_f64_e32 v[174:175], v[22:23], v[136:137]
	v_fma_f64 v[136:137], v[20:21], v[136:137], -v[138:139]
	scratch_load_b128 v[20:23], off, off offset:384
	s_wait_loadcnt_dscnt 0xc01
	v_mul_f64_e32 v[178:179], v[4:5], v[142:143]
	v_mul_f64_e32 v[142:143], v[6:7], v[142:143]
	v_add_f64_e32 v[138:139], v[182:183], v[180:181]
	v_add_f64_e32 v[172:173], v[172:173], v[176:177]
	s_wait_loadcnt_dscnt 0xb00
	v_mul_f64_e32 v[176:177], v[128:129], v[146:147]
	v_mul_f64_e32 v[146:147], v[130:131], v[146:147]
	v_fmac_f64_e32 v[178:179], v[6:7], v[140:141]
	v_fma_f64 v[180:181], v[4:5], v[140:141], -v[142:143]
	v_add_f64_e32 v[182:183], v[138:139], v[136:137]
	v_add_f64_e32 v[172:173], v[172:173], v[174:175]
	ds_load_b128 v[4:7], v2 offset:1056
	ds_load_b128 v[136:139], v2 offset:1072
	scratch_load_b128 v[140:143], off, off offset:400
	v_fmac_f64_e32 v[176:177], v[130:131], v[144:145]
	v_fma_f64 v[144:145], v[128:129], v[144:145], -v[146:147]
	scratch_load_b128 v[128:131], off, off offset:416
	s_wait_loadcnt_dscnt 0xc01
	v_mul_f64_e32 v[174:175], v[4:5], v[154:155]
	v_mul_f64_e32 v[154:155], v[6:7], v[154:155]
	;; [unrolled: 18-line block ×5, first 2 shown]
	v_add_f64_e32 v[166:167], v[182:183], v[180:181]
	v_add_f64_e32 v[172:173], v[172:173], v[178:179]
	s_wait_loadcnt_dscnt 0xa00
	v_mul_f64_e32 v[178:179], v[144:145], v[14:15]
	v_mul_f64_e32 v[14:15], v[146:147], v[14:15]
	v_fmac_f64_e32 v[174:175], v[6:7], v[148:149]
	v_fma_f64 v[180:181], v[4:5], v[148:149], -v[150:151]
	ds_load_b128 v[4:7], v2 offset:1184
	ds_load_b128 v[148:151], v2 offset:1200
	v_add_f64_e32 v[182:183], v[166:167], v[164:165]
	v_add_f64_e32 v[172:173], v[172:173], v[176:177]
	scratch_load_b128 v[164:167], off, off offset:528
	v_fmac_f64_e32 v[178:179], v[146:147], v[12:13]
	v_fma_f64 v[144:145], v[144:145], v[12:13], -v[14:15]
	scratch_load_b128 v[12:15], off, off offset:544
	s_wait_loadcnt_dscnt 0xb01
	v_mul_f64_e32 v[176:177], v[4:5], v[134:135]
	v_mul_f64_e32 v[134:135], v[6:7], v[134:135]
	v_add_f64_e32 v[146:147], v[182:183], v[180:181]
	v_add_f64_e32 v[172:173], v[172:173], v[174:175]
	s_wait_loadcnt_dscnt 0xa00
	v_mul_f64_e32 v[174:175], v[148:149], v[22:23]
	v_mul_f64_e32 v[22:23], v[150:151], v[22:23]
	v_fmac_f64_e32 v[176:177], v[6:7], v[132:133]
	v_fma_f64 v[180:181], v[4:5], v[132:133], -v[134:135]
	ds_load_b128 v[4:7], v2 offset:1216
	ds_load_b128 v[132:135], v2 offset:1232
	v_add_f64_e32 v[182:183], v[146:147], v[144:145]
	v_add_f64_e32 v[172:173], v[172:173], v[178:179]
	scratch_load_b128 v[144:147], off, off offset:560
	s_wait_loadcnt_dscnt 0xa01
	v_mul_f64_e32 v[178:179], v[4:5], v[142:143]
	v_mul_f64_e32 v[142:143], v[6:7], v[142:143]
	v_fmac_f64_e32 v[174:175], v[150:151], v[20:21]
	v_fma_f64 v[148:149], v[148:149], v[20:21], -v[22:23]
	scratch_load_b128 v[20:23], off, off offset:576
	v_add_f64_e32 v[150:151], v[182:183], v[180:181]
	v_add_f64_e32 v[172:173], v[172:173], v[176:177]
	s_wait_loadcnt_dscnt 0xa00
	v_mul_f64_e32 v[176:177], v[132:133], v[130:131]
	v_mul_f64_e32 v[130:131], v[134:135], v[130:131]
	v_fmac_f64_e32 v[178:179], v[6:7], v[140:141]
	v_fma_f64 v[180:181], v[4:5], v[140:141], -v[142:143]
	ds_load_b128 v[4:7], v2 offset:1248
	ds_load_b128 v[140:143], v2 offset:1264
	v_add_f64_e32 v[182:183], v[150:151], v[148:149]
	v_add_f64_e32 v[172:173], v[172:173], v[174:175]
	scratch_load_b128 v[148:151], off, off offset:592
	s_wait_loadcnt_dscnt 0xa01
	v_mul_f64_e32 v[174:175], v[4:5], v[154:155]
	v_mul_f64_e32 v[154:155], v[6:7], v[154:155]
	v_fmac_f64_e32 v[176:177], v[134:135], v[128:129]
	v_fma_f64 v[132:133], v[132:133], v[128:129], -v[130:131]
	scratch_load_b128 v[128:131], off, off offset:608
	v_add_f64_e32 v[134:135], v[182:183], v[180:181]
	v_add_f64_e32 v[172:173], v[172:173], v[178:179]
	s_wait_loadcnt_dscnt 0xa00
	v_mul_f64_e32 v[178:179], v[140:141], v[138:139]
	v_mul_f64_e32 v[138:139], v[142:143], v[138:139]
	v_fmac_f64_e32 v[174:175], v[6:7], v[152:153]
	v_fma_f64 v[180:181], v[4:5], v[152:153], -v[154:155]
	v_add_f64_e32 v[182:183], v[134:135], v[132:133]
	v_add_f64_e32 v[172:173], v[172:173], v[176:177]
	ds_load_b128 v[4:7], v2 offset:1280
	ds_load_b128 v[132:135], v2 offset:1296
	scratch_load_b128 v[152:155], off, off offset:624
	v_fmac_f64_e32 v[178:179], v[142:143], v[136:137]
	v_fma_f64 v[140:141], v[140:141], v[136:137], -v[138:139]
	scratch_load_b128 v[136:139], off, off offset:640
	s_wait_loadcnt_dscnt 0xb01
	v_mul_f64_e32 v[176:177], v[4:5], v[170:171]
	v_mul_f64_e32 v[170:171], v[6:7], v[170:171]
	v_add_f64_e32 v[142:143], v[182:183], v[180:181]
	v_add_f64_e32 v[172:173], v[172:173], v[174:175]
	s_wait_loadcnt_dscnt 0xa00
	v_mul_f64_e32 v[174:175], v[132:133], v[10:11]
	v_mul_f64_e32 v[10:11], v[134:135], v[10:11]
	v_fmac_f64_e32 v[176:177], v[6:7], v[168:169]
	v_fma_f64 v[180:181], v[4:5], v[168:169], -v[170:171]
	v_add_f64_e32 v[182:183], v[142:143], v[140:141]
	v_add_f64_e32 v[172:173], v[172:173], v[178:179]
	ds_load_b128 v[4:7], v2 offset:1312
	ds_load_b128 v[140:143], v2 offset:1328
	scratch_load_b128 v[168:171], off, off offset:656
	v_fmac_f64_e32 v[174:175], v[134:135], v[8:9]
	v_fma_f64 v[132:133], v[132:133], v[8:9], -v[10:11]
	scratch_load_b128 v[8:11], off, off offset:672
	s_wait_loadcnt_dscnt 0xb01
	v_mul_f64_e32 v[178:179], v[4:5], v[158:159]
	v_mul_f64_e32 v[158:159], v[6:7], v[158:159]
	;; [unrolled: 18-line block ×6, first 2 shown]
	v_add_f64_e32 v[134:135], v[182:183], v[180:181]
	v_add_f64_e32 v[172:173], v[172:173], v[178:179]
	s_wait_loadcnt_dscnt 0xa00
	v_mul_f64_e32 v[178:179], v[140:141], v[138:139]
	v_mul_f64_e32 v[138:139], v[142:143], v[138:139]
	v_fmac_f64_e32 v[174:175], v[6:7], v[152:153]
	v_fma_f64 v[152:153], v[4:5], v[152:153], -v[154:155]
	v_add_f64_e32 v[154:155], v[134:135], v[132:133]
	v_add_f64_e32 v[172:173], v[172:173], v[176:177]
	ds_load_b128 v[4:7], v2 offset:1472
	ds_load_b128 v[132:135], v2 offset:1488
	v_fmac_f64_e32 v[178:179], v[142:143], v[136:137]
	v_fma_f64 v[136:137], v[140:141], v[136:137], -v[138:139]
	s_wait_loadcnt_dscnt 0x901
	v_mul_f64_e32 v[176:177], v[4:5], v[170:171]
	v_mul_f64_e32 v[170:171], v[6:7], v[170:171]
	s_wait_loadcnt_dscnt 0x800
	v_mul_f64_e32 v[142:143], v[132:133], v[10:11]
	v_mul_f64_e32 v[10:11], v[134:135], v[10:11]
	v_add_f64_e32 v[138:139], v[154:155], v[152:153]
	v_add_f64_e32 v[140:141], v[172:173], v[174:175]
	v_fmac_f64_e32 v[176:177], v[6:7], v[168:169]
	v_fma_f64 v[152:153], v[4:5], v[168:169], -v[170:171]
	v_fmac_f64_e32 v[142:143], v[134:135], v[8:9]
	v_fma_f64 v[8:9], v[132:133], v[8:9], -v[10:11]
	v_add_f64_e32 v[154:155], v[138:139], v[136:137]
	v_add_f64_e32 v[140:141], v[140:141], v[178:179]
	ds_load_b128 v[4:7], v2 offset:1504
	ds_load_b128 v[136:139], v2 offset:1520
	s_wait_loadcnt_dscnt 0x701
	v_mul_f64_e32 v[168:169], v[4:5], v[158:159]
	v_mul_f64_e32 v[158:159], v[6:7], v[158:159]
	s_wait_loadcnt_dscnt 0x600
	v_mul_f64_e32 v[134:135], v[136:137], v[18:19]
	v_mul_f64_e32 v[18:19], v[138:139], v[18:19]
	v_add_f64_e32 v[10:11], v[154:155], v[152:153]
	v_add_f64_e32 v[132:133], v[140:141], v[176:177]
	v_fmac_f64_e32 v[168:169], v[6:7], v[156:157]
	v_fma_f64 v[140:141], v[4:5], v[156:157], -v[158:159]
	v_fmac_f64_e32 v[134:135], v[138:139], v[16:17]
	v_fma_f64 v[16:17], v[136:137], v[16:17], -v[18:19]
	v_add_f64_e32 v[152:153], v[10:11], v[8:9]
	v_add_f64_e32 v[132:133], v[132:133], v[142:143]
	ds_load_b128 v[4:7], v2 offset:1536
	ds_load_b128 v[8:11], v2 offset:1552
	;; [unrolled: 16-line block ×3, first 2 shown]
	s_wait_loadcnt_dscnt 0x301
	v_mul_f64_e32 v[134:135], v[4:5], v[146:147]
	v_mul_f64_e32 v[146:147], v[6:7], v[146:147]
	v_add_f64_e32 v[10:11], v[18:19], v[140:141]
	v_add_f64_e32 v[12:13], v[132:133], v[142:143]
	s_wait_loadcnt_dscnt 0x200
	v_mul_f64_e32 v[18:19], v[14:15], v[22:23]
	v_mul_f64_e32 v[22:23], v[16:17], v[22:23]
	v_fmac_f64_e32 v[134:135], v[6:7], v[144:145]
	v_fma_f64 v[132:133], v[4:5], v[144:145], -v[146:147]
	v_add_f64_e32 v[138:139], v[10:11], v[8:9]
	v_add_f64_e32 v[12:13], v[12:13], v[136:137]
	ds_load_b128 v[4:7], v2 offset:1600
	ds_load_b128 v[8:11], v2 offset:1616
	v_fmac_f64_e32 v[18:19], v[16:17], v[20:21]
	v_fma_f64 v[14:15], v[14:15], v[20:21], -v[22:23]
	s_wait_loadcnt_dscnt 0x101
	v_mul_f64_e32 v[2:3], v[4:5], v[150:151]
	v_mul_f64_e32 v[136:137], v[6:7], v[150:151]
	s_wait_loadcnt_dscnt 0x0
	v_mul_f64_e32 v[20:21], v[8:9], v[130:131]
	v_mul_f64_e32 v[22:23], v[10:11], v[130:131]
	v_add_f64_e32 v[16:17], v[138:139], v[132:133]
	v_add_f64_e32 v[12:13], v[12:13], v[134:135]
	v_fmac_f64_e32 v[2:3], v[6:7], v[148:149]
	v_fma_f64 v[4:5], v[4:5], v[148:149], -v[136:137]
	v_fmac_f64_e32 v[20:21], v[10:11], v[128:129]
	v_fma_f64 v[8:9], v[8:9], v[128:129], -v[22:23]
	v_add_f64_e32 v[6:7], v[16:17], v[14:15]
	v_add_f64_e32 v[12:13], v[12:13], v[18:19]
	s_delay_alu instid0(VALU_DEP_2) | instskip(NEXT) | instid1(VALU_DEP_2)
	v_add_f64_e32 v[4:5], v[6:7], v[4:5]
	v_add_f64_e32 v[2:3], v[12:13], v[2:3]
	s_delay_alu instid0(VALU_DEP_2) | instskip(NEXT) | instid1(VALU_DEP_2)
	;; [unrolled: 3-line block ×3, first 2 shown]
	v_add_f64_e64 v[2:3], v[160:161], -v[4:5]
	v_add_f64_e64 v[4:5], v[162:163], -v[6:7]
	scratch_store_b128 off, v[2:5], off offset:64
	s_wait_xcnt 0x0
	v_cmpx_lt_u32_e32 3, v1
	s_cbranch_execz .LBB50_313
; %bb.312:
	scratch_load_b128 v[2:5], off, s43
	v_mov_b32_e32 v6, 0
	s_delay_alu instid0(VALU_DEP_1)
	v_dual_mov_b32 v7, v6 :: v_dual_mov_b32 v8, v6
	v_mov_b32_e32 v9, v6
	scratch_store_b128 off, v[6:9], off offset:48
	s_wait_loadcnt 0x0
	ds_store_b128 v126, v[2:5]
.LBB50_313:
	s_wait_xcnt 0x0
	s_or_b32 exec_lo, exec_lo, s2
	s_wait_storecnt_dscnt 0x0
	s_barrier_signal -1
	s_barrier_wait -1
	s_clause 0x9
	scratch_load_b128 v[4:7], off, off offset:64
	scratch_load_b128 v[8:11], off, off offset:80
	;; [unrolled: 1-line block ×10, first 2 shown]
	v_mov_b32_e32 v2, 0
	s_mov_b32 s2, exec_lo
	ds_load_b128 v[148:151], v2 offset:880
	s_clause 0x2
	scratch_load_b128 v[152:155], off, off offset:224
	scratch_load_b128 v[156:159], off, off offset:48
	;; [unrolled: 1-line block ×3, first 2 shown]
	s_wait_loadcnt_dscnt 0xc00
	v_mul_f64_e32 v[168:169], v[150:151], v[6:7]
	v_mul_f64_e32 v[172:173], v[148:149], v[6:7]
	ds_load_b128 v[160:163], v2 offset:896
	v_fma_f64 v[176:177], v[148:149], v[4:5], -v[168:169]
	v_fmac_f64_e32 v[172:173], v[150:151], v[4:5]
	ds_load_b128 v[4:7], v2 offset:912
	s_wait_loadcnt_dscnt 0xb01
	v_mul_f64_e32 v[174:175], v[160:161], v[10:11]
	v_mul_f64_e32 v[10:11], v[162:163], v[10:11]
	scratch_load_b128 v[148:151], off, off offset:256
	ds_load_b128 v[168:171], v2 offset:928
	s_wait_loadcnt_dscnt 0xb01
	v_mul_f64_e32 v[178:179], v[4:5], v[14:15]
	v_mul_f64_e32 v[14:15], v[6:7], v[14:15]
	v_add_f64_e32 v[172:173], 0, v[172:173]
	v_fmac_f64_e32 v[174:175], v[162:163], v[8:9]
	v_fma_f64 v[160:161], v[160:161], v[8:9], -v[10:11]
	v_add_f64_e32 v[162:163], 0, v[176:177]
	scratch_load_b128 v[8:11], off, off offset:272
	v_fmac_f64_e32 v[178:179], v[6:7], v[12:13]
	v_fma_f64 v[180:181], v[4:5], v[12:13], -v[14:15]
	ds_load_b128 v[4:7], v2 offset:944
	s_wait_loadcnt_dscnt 0xb01
	v_mul_f64_e32 v[176:177], v[168:169], v[18:19]
	v_mul_f64_e32 v[18:19], v[170:171], v[18:19]
	scratch_load_b128 v[12:15], off, off offset:288
	v_add_f64_e32 v[172:173], v[172:173], v[174:175]
	v_add_f64_e32 v[182:183], v[162:163], v[160:161]
	ds_load_b128 v[160:163], v2 offset:960
	s_wait_loadcnt_dscnt 0xb01
	v_mul_f64_e32 v[174:175], v[4:5], v[22:23]
	v_mul_f64_e32 v[22:23], v[6:7], v[22:23]
	v_fmac_f64_e32 v[176:177], v[170:171], v[16:17]
	v_fma_f64 v[168:169], v[168:169], v[16:17], -v[18:19]
	scratch_load_b128 v[16:19], off, off offset:304
	v_add_f64_e32 v[172:173], v[172:173], v[178:179]
	v_add_f64_e32 v[170:171], v[182:183], v[180:181]
	v_fmac_f64_e32 v[174:175], v[6:7], v[20:21]
	v_fma_f64 v[180:181], v[4:5], v[20:21], -v[22:23]
	ds_load_b128 v[4:7], v2 offset:976
	s_wait_loadcnt_dscnt 0xb01
	v_mul_f64_e32 v[178:179], v[160:161], v[130:131]
	v_mul_f64_e32 v[130:131], v[162:163], v[130:131]
	scratch_load_b128 v[20:23], off, off offset:320
	v_add_f64_e32 v[172:173], v[172:173], v[176:177]
	s_wait_loadcnt_dscnt 0xb00
	v_mul_f64_e32 v[176:177], v[4:5], v[134:135]
	v_add_f64_e32 v[182:183], v[170:171], v[168:169]
	v_mul_f64_e32 v[134:135], v[6:7], v[134:135]
	ds_load_b128 v[168:171], v2 offset:992
	v_fmac_f64_e32 v[178:179], v[162:163], v[128:129]
	v_fma_f64 v[160:161], v[160:161], v[128:129], -v[130:131]
	scratch_load_b128 v[128:131], off, off offset:336
	v_add_f64_e32 v[172:173], v[172:173], v[174:175]
	v_fmac_f64_e32 v[176:177], v[6:7], v[132:133]
	v_add_f64_e32 v[162:163], v[182:183], v[180:181]
	v_fma_f64 v[180:181], v[4:5], v[132:133], -v[134:135]
	ds_load_b128 v[4:7], v2 offset:1008
	s_wait_loadcnt_dscnt 0xb01
	v_mul_f64_e32 v[174:175], v[168:169], v[138:139]
	v_mul_f64_e32 v[138:139], v[170:171], v[138:139]
	scratch_load_b128 v[132:135], off, off offset:352
	v_add_f64_e32 v[172:173], v[172:173], v[178:179]
	s_wait_loadcnt_dscnt 0xb00
	v_mul_f64_e32 v[178:179], v[4:5], v[142:143]
	v_add_f64_e32 v[182:183], v[162:163], v[160:161]
	v_mul_f64_e32 v[142:143], v[6:7], v[142:143]
	ds_load_b128 v[160:163], v2 offset:1024
	v_fmac_f64_e32 v[174:175], v[170:171], v[136:137]
	v_fma_f64 v[168:169], v[168:169], v[136:137], -v[138:139]
	scratch_load_b128 v[136:139], off, off offset:368
	v_add_f64_e32 v[172:173], v[172:173], v[176:177]
	v_fmac_f64_e32 v[178:179], v[6:7], v[140:141]
	v_add_f64_e32 v[170:171], v[182:183], v[180:181]
	;; [unrolled: 18-line block ×3, first 2 shown]
	v_fma_f64 v[180:181], v[4:5], v[152:153], -v[154:155]
	ds_load_b128 v[4:7], v2 offset:1072
	s_wait_loadcnt_dscnt 0xa01
	v_mul_f64_e32 v[178:179], v[168:169], v[166:167]
	v_mul_f64_e32 v[166:167], v[170:171], v[166:167]
	scratch_load_b128 v[152:155], off, off offset:416
	v_add_f64_e32 v[172:173], v[172:173], v[176:177]
	v_add_f64_e32 v[182:183], v[162:163], v[160:161]
	s_wait_loadcnt_dscnt 0xa00
	v_mul_f64_e32 v[176:177], v[4:5], v[150:151]
	v_mul_f64_e32 v[150:151], v[6:7], v[150:151]
	v_fmac_f64_e32 v[178:179], v[170:171], v[164:165]
	v_fma_f64 v[168:169], v[168:169], v[164:165], -v[166:167]
	ds_load_b128 v[160:163], v2 offset:1088
	scratch_load_b128 v[164:167], off, off offset:432
	v_add_f64_e32 v[172:173], v[172:173], v[174:175]
	v_add_f64_e32 v[170:171], v[182:183], v[180:181]
	v_fmac_f64_e32 v[176:177], v[6:7], v[148:149]
	v_fma_f64 v[180:181], v[4:5], v[148:149], -v[150:151]
	ds_load_b128 v[4:7], v2 offset:1104
	s_wait_loadcnt_dscnt 0xa01
	v_mul_f64_e32 v[174:175], v[160:161], v[10:11]
	v_mul_f64_e32 v[10:11], v[162:163], v[10:11]
	scratch_load_b128 v[148:151], off, off offset:448
	v_add_f64_e32 v[172:173], v[172:173], v[178:179]
	s_wait_loadcnt_dscnt 0xa00
	v_mul_f64_e32 v[178:179], v[4:5], v[14:15]
	v_add_f64_e32 v[182:183], v[170:171], v[168:169]
	v_mul_f64_e32 v[14:15], v[6:7], v[14:15]
	ds_load_b128 v[168:171], v2 offset:1120
	v_fmac_f64_e32 v[174:175], v[162:163], v[8:9]
	v_fma_f64 v[160:161], v[160:161], v[8:9], -v[10:11]
	scratch_load_b128 v[8:11], off, off offset:464
	v_add_f64_e32 v[172:173], v[172:173], v[176:177]
	v_fmac_f64_e32 v[178:179], v[6:7], v[12:13]
	v_add_f64_e32 v[162:163], v[182:183], v[180:181]
	v_fma_f64 v[180:181], v[4:5], v[12:13], -v[14:15]
	ds_load_b128 v[4:7], v2 offset:1136
	s_wait_loadcnt_dscnt 0xa01
	v_mul_f64_e32 v[176:177], v[168:169], v[18:19]
	v_mul_f64_e32 v[18:19], v[170:171], v[18:19]
	scratch_load_b128 v[12:15], off, off offset:480
	v_add_f64_e32 v[172:173], v[172:173], v[174:175]
	s_wait_loadcnt_dscnt 0xa00
	v_mul_f64_e32 v[174:175], v[4:5], v[22:23]
	v_add_f64_e32 v[182:183], v[162:163], v[160:161]
	v_mul_f64_e32 v[22:23], v[6:7], v[22:23]
	ds_load_b128 v[160:163], v2 offset:1152
	v_fmac_f64_e32 v[176:177], v[170:171], v[16:17]
	v_fma_f64 v[168:169], v[168:169], v[16:17], -v[18:19]
	scratch_load_b128 v[16:19], off, off offset:496
	v_add_f64_e32 v[172:173], v[172:173], v[178:179]
	v_fmac_f64_e32 v[174:175], v[6:7], v[20:21]
	v_add_f64_e32 v[170:171], v[182:183], v[180:181]
	;; [unrolled: 18-line block ×11, first 2 shown]
	v_fma_f64 v[180:181], v[4:5], v[152:153], -v[154:155]
	ds_load_b128 v[4:7], v2 offset:1456
	s_wait_loadcnt_dscnt 0xa01
	v_mul_f64_e32 v[178:179], v[168:169], v[166:167]
	v_mul_f64_e32 v[166:167], v[170:171], v[166:167]
	scratch_load_b128 v[152:155], off, off offset:800
	v_add_f64_e32 v[172:173], v[172:173], v[176:177]
	s_wait_loadcnt_dscnt 0xa00
	v_mul_f64_e32 v[176:177], v[4:5], v[150:151]
	v_add_f64_e32 v[182:183], v[162:163], v[160:161]
	v_mul_f64_e32 v[150:151], v[6:7], v[150:151]
	ds_load_b128 v[160:163], v2 offset:1472
	v_fmac_f64_e32 v[178:179], v[170:171], v[164:165]
	v_fma_f64 v[164:165], v[168:169], v[164:165], -v[166:167]
	s_wait_loadcnt_dscnt 0x900
	v_mul_f64_e32 v[170:171], v[160:161], v[10:11]
	v_mul_f64_e32 v[10:11], v[162:163], v[10:11]
	v_add_f64_e32 v[168:169], v[172:173], v[174:175]
	v_fmac_f64_e32 v[176:177], v[6:7], v[148:149]
	v_add_f64_e32 v[166:167], v[182:183], v[180:181]
	v_fma_f64 v[172:173], v[4:5], v[148:149], -v[150:151]
	ds_load_b128 v[4:7], v2 offset:1488
	ds_load_b128 v[148:151], v2 offset:1504
	v_fmac_f64_e32 v[170:171], v[162:163], v[8:9]
	v_fma_f64 v[8:9], v[160:161], v[8:9], -v[10:11]
	v_add_f64_e32 v[164:165], v[166:167], v[164:165]
	v_add_f64_e32 v[166:167], v[168:169], v[178:179]
	s_wait_loadcnt_dscnt 0x801
	v_mul_f64_e32 v[168:169], v[4:5], v[14:15]
	v_mul_f64_e32 v[14:15], v[6:7], v[14:15]
	s_wait_loadcnt_dscnt 0x700
	v_mul_f64_e32 v[162:163], v[148:149], v[18:19]
	v_mul_f64_e32 v[18:19], v[150:151], v[18:19]
	v_add_f64_e32 v[10:11], v[164:165], v[172:173]
	v_add_f64_e32 v[160:161], v[166:167], v[176:177]
	v_fmac_f64_e32 v[168:169], v[6:7], v[12:13]
	v_fma_f64 v[12:13], v[4:5], v[12:13], -v[14:15]
	v_fmac_f64_e32 v[162:163], v[150:151], v[16:17]
	v_fma_f64 v[16:17], v[148:149], v[16:17], -v[18:19]
	v_add_f64_e32 v[14:15], v[10:11], v[8:9]
	v_add_f64_e32 v[160:161], v[160:161], v[170:171]
	ds_load_b128 v[4:7], v2 offset:1520
	ds_load_b128 v[8:11], v2 offset:1536
	s_wait_loadcnt_dscnt 0x601
	v_mul_f64_e32 v[164:165], v[4:5], v[22:23]
	v_mul_f64_e32 v[22:23], v[6:7], v[22:23]
	s_wait_loadcnt_dscnt 0x500
	v_mul_f64_e32 v[18:19], v[8:9], v[130:131]
	v_mul_f64_e32 v[130:131], v[10:11], v[130:131]
	v_add_f64_e32 v[12:13], v[14:15], v[12:13]
	v_add_f64_e32 v[14:15], v[160:161], v[168:169]
	v_fmac_f64_e32 v[164:165], v[6:7], v[20:21]
	v_fma_f64 v[20:21], v[4:5], v[20:21], -v[22:23]
	v_fmac_f64_e32 v[18:19], v[10:11], v[128:129]
	v_fma_f64 v[8:9], v[8:9], v[128:129], -v[130:131]
	v_add_f64_e32 v[16:17], v[12:13], v[16:17]
	v_add_f64_e32 v[22:23], v[14:15], v[162:163]
	ds_load_b128 v[4:7], v2 offset:1552
	ds_load_b128 v[12:15], v2 offset:1568
	s_wait_loadcnt_dscnt 0x401
	v_mul_f64_e32 v[148:149], v[4:5], v[134:135]
	v_mul_f64_e32 v[134:135], v[6:7], v[134:135]
	v_add_f64_e32 v[10:11], v[16:17], v[20:21]
	v_add_f64_e32 v[16:17], v[22:23], v[164:165]
	s_wait_loadcnt_dscnt 0x300
	v_mul_f64_e32 v[20:21], v[12:13], v[138:139]
	v_mul_f64_e32 v[22:23], v[14:15], v[138:139]
	v_fmac_f64_e32 v[148:149], v[6:7], v[132:133]
	v_fma_f64 v[128:129], v[4:5], v[132:133], -v[134:135]
	v_add_f64_e32 v[130:131], v[10:11], v[8:9]
	v_add_f64_e32 v[16:17], v[16:17], v[18:19]
	ds_load_b128 v[4:7], v2 offset:1584
	ds_load_b128 v[8:11], v2 offset:1600
	v_fmac_f64_e32 v[20:21], v[14:15], v[136:137]
	v_fma_f64 v[12:13], v[12:13], v[136:137], -v[22:23]
	s_wait_loadcnt_dscnt 0x201
	v_mul_f64_e32 v[18:19], v[4:5], v[142:143]
	v_mul_f64_e32 v[132:133], v[6:7], v[142:143]
	s_wait_loadcnt_dscnt 0x100
	v_mul_f64_e32 v[22:23], v[8:9], v[146:147]
	v_add_f64_e32 v[14:15], v[130:131], v[128:129]
	v_add_f64_e32 v[16:17], v[16:17], v[148:149]
	v_mul_f64_e32 v[128:129], v[10:11], v[146:147]
	v_fmac_f64_e32 v[18:19], v[6:7], v[140:141]
	v_fma_f64 v[130:131], v[4:5], v[140:141], -v[132:133]
	ds_load_b128 v[4:7], v2 offset:1616
	v_fmac_f64_e32 v[22:23], v[10:11], v[144:145]
	v_add_f64_e32 v[12:13], v[14:15], v[12:13]
	v_add_f64_e32 v[14:15], v[16:17], v[20:21]
	v_fma_f64 v[8:9], v[8:9], v[144:145], -v[128:129]
	s_wait_loadcnt_dscnt 0x0
	v_mul_f64_e32 v[16:17], v[4:5], v[154:155]
	v_mul_f64_e32 v[20:21], v[6:7], v[154:155]
	v_add_f64_e32 v[10:11], v[12:13], v[130:131]
	v_add_f64_e32 v[12:13], v[14:15], v[18:19]
	s_delay_alu instid0(VALU_DEP_4) | instskip(NEXT) | instid1(VALU_DEP_4)
	v_fmac_f64_e32 v[16:17], v[6:7], v[152:153]
	v_fma_f64 v[4:5], v[4:5], v[152:153], -v[20:21]
	s_delay_alu instid0(VALU_DEP_4) | instskip(NEXT) | instid1(VALU_DEP_4)
	v_add_f64_e32 v[6:7], v[10:11], v[8:9]
	v_add_f64_e32 v[8:9], v[12:13], v[22:23]
	s_delay_alu instid0(VALU_DEP_2) | instskip(NEXT) | instid1(VALU_DEP_2)
	v_add_f64_e32 v[4:5], v[6:7], v[4:5]
	v_add_f64_e32 v[6:7], v[8:9], v[16:17]
	s_delay_alu instid0(VALU_DEP_2) | instskip(NEXT) | instid1(VALU_DEP_2)
	v_add_f64_e64 v[4:5], v[156:157], -v[4:5]
	v_add_f64_e64 v[6:7], v[158:159], -v[6:7]
	scratch_store_b128 off, v[4:7], off offset:48
	s_wait_xcnt 0x0
	v_cmpx_lt_u32_e32 2, v1
	s_cbranch_execz .LBB50_315
; %bb.314:
	scratch_load_b128 v[6:9], off, s41
	v_dual_mov_b32 v3, v2 :: v_dual_mov_b32 v4, v2
	v_mov_b32_e32 v5, v2
	scratch_store_b128 off, v[2:5], off offset:32
	s_wait_loadcnt 0x0
	ds_store_b128 v126, v[6:9]
.LBB50_315:
	s_wait_xcnt 0x0
	s_or_b32 exec_lo, exec_lo, s2
	s_wait_storecnt_dscnt 0x0
	s_barrier_signal -1
	s_barrier_wait -1
	s_clause 0x9
	scratch_load_b128 v[4:7], off, off offset:48
	scratch_load_b128 v[8:11], off, off offset:64
	;; [unrolled: 1-line block ×10, first 2 shown]
	ds_load_b128 v[148:151], v2 offset:864
	ds_load_b128 v[156:159], v2 offset:880
	s_clause 0x2
	scratch_load_b128 v[152:155], off, off offset:208
	scratch_load_b128 v[160:163], off, off offset:32
	;; [unrolled: 1-line block ×3, first 2 shown]
	s_mov_b32 s2, exec_lo
	v_ashrrev_i32_e32 v29, 31, v28
	v_ashrrev_i32_e32 v33, 31, v32
	;; [unrolled: 1-line block ×3, first 2 shown]
	v_dual_ashrrev_i32 v41, 31, v40 :: v_dual_ashrrev_i32 v31, 31, v30
	v_dual_ashrrev_i32 v35, 31, v34 :: v_dual_ashrrev_i32 v45, 31, v44
	;; [unrolled: 1-line block ×8, first 2 shown]
	v_ashrrev_i32_e32 v73, 31, v72
	v_ashrrev_i32_e32 v77, 31, v76
	v_dual_ashrrev_i32 v81, 31, v80 :: v_dual_ashrrev_i32 v63, 31, v62
	v_ashrrev_i32_e32 v67, 31, v66
	v_ashrrev_i32_e32 v71, 31, v70
	v_dual_ashrrev_i32 v75, 31, v74 :: v_dual_ashrrev_i32 v85, 31, v84
	v_dual_ashrrev_i32 v89, 31, v88 :: v_dual_ashrrev_i32 v79, 31, v78
	;; [unrolled: 1-line block ×3, first 2 shown]
	v_ashrrev_i32_e32 v97, 31, v96
	v_dual_ashrrev_i32 v101, 31, v100 :: v_dual_ashrrev_i32 v87, 31, v86
	v_dual_ashrrev_i32 v105, 31, v104 :: v_dual_ashrrev_i32 v91, 31, v90
	v_ashrrev_i32_e32 v109, 31, v108
	v_dual_ashrrev_i32 v113, 31, v112 :: v_dual_ashrrev_i32 v95, 31, v94
	v_ashrrev_i32_e32 v99, 31, v98
	v_dual_ashrrev_i32 v103, 31, v102 :: v_dual_ashrrev_i32 v117, 31, v116
	v_dual_ashrrev_i32 v121, 31, v120 :: v_dual_ashrrev_i32 v107, 31, v106
	;; [unrolled: 1-line block ×3, first 2 shown]
	v_ashrrev_i32_e32 v115, 31, v114
	v_ashrrev_i32_e32 v119, 31, v118
	;; [unrolled: 1-line block ×3, first 2 shown]
	s_wait_loadcnt_dscnt 0xc01
	v_mul_f64_e32 v[168:169], v[150:151], v[6:7]
	v_mul_f64_e32 v[172:173], v[148:149], v[6:7]
	s_wait_loadcnt_dscnt 0xb00
	v_mul_f64_e32 v[174:175], v[156:157], v[10:11]
	v_mul_f64_e32 v[10:11], v[158:159], v[10:11]
	s_delay_alu instid0(VALU_DEP_4) | instskip(NEXT) | instid1(VALU_DEP_4)
	v_fma_f64 v[176:177], v[148:149], v[4:5], -v[168:169]
	v_fmac_f64_e32 v[172:173], v[150:151], v[4:5]
	ds_load_b128 v[4:7], v2 offset:896
	ds_load_b128 v[168:171], v2 offset:912
	scratch_load_b128 v[148:151], off, off offset:240
	v_fmac_f64_e32 v[174:175], v[158:159], v[8:9]
	v_fma_f64 v[156:157], v[156:157], v[8:9], -v[10:11]
	scratch_load_b128 v[8:11], off, off offset:256
	s_wait_loadcnt_dscnt 0xc01
	v_mul_f64_e32 v[178:179], v[4:5], v[14:15]
	v_mul_f64_e32 v[14:15], v[6:7], v[14:15]
	v_add_f64_e32 v[158:159], 0, v[176:177]
	v_add_f64_e32 v[172:173], 0, v[172:173]
	s_wait_loadcnt_dscnt 0xb00
	v_mul_f64_e32 v[176:177], v[168:169], v[18:19]
	v_mul_f64_e32 v[18:19], v[170:171], v[18:19]
	v_fmac_f64_e32 v[178:179], v[6:7], v[12:13]
	v_fma_f64 v[180:181], v[4:5], v[12:13], -v[14:15]
	ds_load_b128 v[4:7], v2 offset:928
	scratch_load_b128 v[12:15], off, off offset:272
	v_add_f64_e32 v[182:183], v[158:159], v[156:157]
	v_add_f64_e32 v[172:173], v[172:173], v[174:175]
	ds_load_b128 v[156:159], v2 offset:944
	v_fmac_f64_e32 v[176:177], v[170:171], v[16:17]
	v_fma_f64 v[168:169], v[168:169], v[16:17], -v[18:19]
	scratch_load_b128 v[16:19], off, off offset:288
	s_wait_loadcnt_dscnt 0xc01
	v_mul_f64_e32 v[174:175], v[4:5], v[22:23]
	v_mul_f64_e32 v[22:23], v[6:7], v[22:23]
	v_add_f64_e32 v[170:171], v[182:183], v[180:181]
	v_add_f64_e32 v[172:173], v[172:173], v[178:179]
	s_wait_loadcnt_dscnt 0xb00
	v_mul_f64_e32 v[178:179], v[156:157], v[130:131]
	v_mul_f64_e32 v[130:131], v[158:159], v[130:131]
	v_fmac_f64_e32 v[174:175], v[6:7], v[20:21]
	v_fma_f64 v[180:181], v[4:5], v[20:21], -v[22:23]
	ds_load_b128 v[4:7], v2 offset:960
	scratch_load_b128 v[20:23], off, off offset:304
	v_add_f64_e32 v[182:183], v[170:171], v[168:169]
	v_add_f64_e32 v[172:173], v[172:173], v[176:177]
	ds_load_b128 v[168:171], v2 offset:976
	s_wait_loadcnt_dscnt 0xb01
	v_mul_f64_e32 v[176:177], v[4:5], v[134:135]
	v_mul_f64_e32 v[134:135], v[6:7], v[134:135]
	v_fmac_f64_e32 v[178:179], v[158:159], v[128:129]
	v_fma_f64 v[156:157], v[156:157], v[128:129], -v[130:131]
	scratch_load_b128 v[128:131], off, off offset:320
	v_add_f64_e32 v[158:159], v[182:183], v[180:181]
	v_add_f64_e32 v[172:173], v[172:173], v[174:175]
	s_wait_loadcnt_dscnt 0xb00
	v_mul_f64_e32 v[174:175], v[168:169], v[138:139]
	v_mul_f64_e32 v[138:139], v[170:171], v[138:139]
	v_fmac_f64_e32 v[176:177], v[6:7], v[132:133]
	v_fma_f64 v[180:181], v[4:5], v[132:133], -v[134:135]
	ds_load_b128 v[4:7], v2 offset:992
	scratch_load_b128 v[132:135], off, off offset:336
	v_add_f64_e32 v[182:183], v[158:159], v[156:157]
	v_add_f64_e32 v[172:173], v[172:173], v[178:179]
	ds_load_b128 v[156:159], v2 offset:1008
	s_wait_loadcnt_dscnt 0xb01
	v_mul_f64_e32 v[178:179], v[4:5], v[142:143]
	v_mul_f64_e32 v[142:143], v[6:7], v[142:143]
	v_fmac_f64_e32 v[174:175], v[170:171], v[136:137]
	v_fma_f64 v[168:169], v[168:169], v[136:137], -v[138:139]
	scratch_load_b128 v[136:139], off, off offset:352
	;; [unrolled: 18-line block ×3, first 2 shown]
	v_add_f64_e32 v[158:159], v[182:183], v[180:181]
	v_add_f64_e32 v[172:173], v[172:173], v[178:179]
	s_wait_loadcnt_dscnt 0xa00
	v_mul_f64_e32 v[178:179], v[168:169], v[166:167]
	v_mul_f64_e32 v[166:167], v[170:171], v[166:167]
	v_fmac_f64_e32 v[174:175], v[6:7], v[152:153]
	v_fma_f64 v[180:181], v[4:5], v[152:153], -v[154:155]
	ds_load_b128 v[4:7], v2 offset:1056
	scratch_load_b128 v[152:155], off, off offset:400
	v_add_f64_e32 v[182:183], v[158:159], v[156:157]
	v_add_f64_e32 v[172:173], v[172:173], v[176:177]
	ds_load_b128 v[156:159], v2 offset:1072
	v_fmac_f64_e32 v[178:179], v[170:171], v[164:165]
	s_wait_loadcnt_dscnt 0xa01
	v_mul_f64_e32 v[176:177], v[4:5], v[150:151]
	v_mul_f64_e32 v[150:151], v[6:7], v[150:151]
	v_fma_f64 v[168:169], v[168:169], v[164:165], -v[166:167]
	scratch_load_b128 v[164:167], off, off offset:416
	v_add_f64_e32 v[170:171], v[182:183], v[180:181]
	v_add_f64_e32 v[172:173], v[172:173], v[174:175]
	s_wait_loadcnt_dscnt 0xa00
	v_mul_f64_e32 v[174:175], v[156:157], v[10:11]
	v_mul_f64_e32 v[10:11], v[158:159], v[10:11]
	v_fmac_f64_e32 v[176:177], v[6:7], v[148:149]
	v_fma_f64 v[180:181], v[4:5], v[148:149], -v[150:151]
	ds_load_b128 v[4:7], v2 offset:1088
	scratch_load_b128 v[148:151], off, off offset:432
	v_add_f64_e32 v[182:183], v[170:171], v[168:169]
	v_add_f64_e32 v[172:173], v[172:173], v[178:179]
	ds_load_b128 v[168:171], v2 offset:1104
	s_wait_loadcnt_dscnt 0xa01
	v_mul_f64_e32 v[178:179], v[4:5], v[14:15]
	v_mul_f64_e32 v[14:15], v[6:7], v[14:15]
	v_fmac_f64_e32 v[174:175], v[158:159], v[8:9]
	v_fma_f64 v[156:157], v[156:157], v[8:9], -v[10:11]
	scratch_load_b128 v[8:11], off, off offset:448
	v_add_f64_e32 v[158:159], v[182:183], v[180:181]
	v_add_f64_e32 v[172:173], v[172:173], v[176:177]
	s_wait_loadcnt_dscnt 0xa00
	v_mul_f64_e32 v[176:177], v[168:169], v[18:19]
	v_mul_f64_e32 v[18:19], v[170:171], v[18:19]
	v_fmac_f64_e32 v[178:179], v[6:7], v[12:13]
	v_fma_f64 v[180:181], v[4:5], v[12:13], -v[14:15]
	ds_load_b128 v[4:7], v2 offset:1120
	scratch_load_b128 v[12:15], off, off offset:464
	v_add_f64_e32 v[182:183], v[158:159], v[156:157]
	v_add_f64_e32 v[172:173], v[172:173], v[174:175]
	ds_load_b128 v[156:159], v2 offset:1136
	s_wait_loadcnt_dscnt 0xa01
	v_mul_f64_e32 v[174:175], v[4:5], v[22:23]
	v_mul_f64_e32 v[22:23], v[6:7], v[22:23]
	v_fmac_f64_e32 v[176:177], v[170:171], v[16:17]
	;; [unrolled: 18-line block ×12, first 2 shown]
	v_fma_f64 v[168:169], v[168:169], v[164:165], -v[166:167]
	scratch_load_b128 v[164:167], off, off offset:800
	v_add_f64_e32 v[170:171], v[182:183], v[180:181]
	v_add_f64_e32 v[172:173], v[172:173], v[174:175]
	s_wait_loadcnt_dscnt 0xa00
	v_mul_f64_e32 v[174:175], v[156:157], v[10:11]
	v_mul_f64_e32 v[10:11], v[158:159], v[10:11]
	v_fmac_f64_e32 v[176:177], v[6:7], v[148:149]
	v_fma_f64 v[180:181], v[4:5], v[148:149], -v[150:151]
	ds_load_b128 v[4:7], v2 offset:1472
	ds_load_b128 v[148:151], v2 offset:1488
	v_add_f64_e32 v[168:169], v[170:171], v[168:169]
	v_add_f64_e32 v[170:171], v[172:173], v[178:179]
	s_wait_loadcnt_dscnt 0x901
	v_mul_f64_e32 v[172:173], v[4:5], v[14:15]
	v_mul_f64_e32 v[14:15], v[6:7], v[14:15]
	v_fmac_f64_e32 v[174:175], v[158:159], v[8:9]
	v_fma_f64 v[8:9], v[156:157], v[8:9], -v[10:11]
	s_wait_loadcnt_dscnt 0x800
	v_mul_f64_e32 v[158:159], v[148:149], v[18:19]
	v_mul_f64_e32 v[18:19], v[150:151], v[18:19]
	v_add_f64_e32 v[10:11], v[168:169], v[180:181]
	v_add_f64_e32 v[156:157], v[170:171], v[176:177]
	v_fmac_f64_e32 v[172:173], v[6:7], v[12:13]
	v_fma_f64 v[12:13], v[4:5], v[12:13], -v[14:15]
	v_fmac_f64_e32 v[158:159], v[150:151], v[16:17]
	v_fma_f64 v[16:17], v[148:149], v[16:17], -v[18:19]
	v_add_f64_e32 v[14:15], v[10:11], v[8:9]
	v_add_f64_e32 v[156:157], v[156:157], v[174:175]
	ds_load_b128 v[4:7], v2 offset:1504
	ds_load_b128 v[8:11], v2 offset:1520
	s_wait_loadcnt_dscnt 0x701
	v_mul_f64_e32 v[168:169], v[4:5], v[22:23]
	v_mul_f64_e32 v[22:23], v[6:7], v[22:23]
	s_wait_loadcnt_dscnt 0x600
	v_mul_f64_e32 v[18:19], v[8:9], v[130:131]
	v_mul_f64_e32 v[130:131], v[10:11], v[130:131]
	v_add_f64_e32 v[12:13], v[14:15], v[12:13]
	v_add_f64_e32 v[14:15], v[156:157], v[172:173]
	v_fmac_f64_e32 v[168:169], v[6:7], v[20:21]
	v_fma_f64 v[20:21], v[4:5], v[20:21], -v[22:23]
	v_fmac_f64_e32 v[18:19], v[10:11], v[128:129]
	v_fma_f64 v[8:9], v[8:9], v[128:129], -v[130:131]
	v_add_f64_e32 v[16:17], v[12:13], v[16:17]
	v_add_f64_e32 v[22:23], v[14:15], v[158:159]
	ds_load_b128 v[4:7], v2 offset:1536
	ds_load_b128 v[12:15], v2 offset:1552
	s_wait_loadcnt_dscnt 0x501
	v_mul_f64_e32 v[148:149], v[4:5], v[134:135]
	v_mul_f64_e32 v[134:135], v[6:7], v[134:135]
	v_add_f64_e32 v[10:11], v[16:17], v[20:21]
	v_add_f64_e32 v[16:17], v[22:23], v[168:169]
	s_wait_loadcnt_dscnt 0x400
	v_mul_f64_e32 v[20:21], v[12:13], v[138:139]
	v_mul_f64_e32 v[22:23], v[14:15], v[138:139]
	v_fmac_f64_e32 v[148:149], v[6:7], v[132:133]
	v_fma_f64 v[128:129], v[4:5], v[132:133], -v[134:135]
	v_add_f64_e32 v[130:131], v[10:11], v[8:9]
	v_add_f64_e32 v[16:17], v[16:17], v[18:19]
	ds_load_b128 v[4:7], v2 offset:1568
	ds_load_b128 v[8:11], v2 offset:1584
	v_fmac_f64_e32 v[20:21], v[14:15], v[136:137]
	v_fma_f64 v[12:13], v[12:13], v[136:137], -v[22:23]
	s_wait_loadcnt_dscnt 0x301
	v_mul_f64_e32 v[18:19], v[4:5], v[142:143]
	v_mul_f64_e32 v[132:133], v[6:7], v[142:143]
	s_wait_loadcnt_dscnt 0x200
	v_mul_f64_e32 v[22:23], v[8:9], v[146:147]
	v_add_f64_e32 v[14:15], v[130:131], v[128:129]
	v_add_f64_e32 v[16:17], v[16:17], v[148:149]
	v_mul_f64_e32 v[128:129], v[10:11], v[146:147]
	v_fmac_f64_e32 v[18:19], v[6:7], v[140:141]
	v_fma_f64 v[130:131], v[4:5], v[140:141], -v[132:133]
	v_fmac_f64_e32 v[22:23], v[10:11], v[144:145]
	v_add_f64_e32 v[132:133], v[14:15], v[12:13]
	v_add_f64_e32 v[16:17], v[16:17], v[20:21]
	ds_load_b128 v[4:7], v2 offset:1600
	ds_load_b128 v[12:15], v2 offset:1616
	v_fma_f64 v[8:9], v[8:9], v[144:145], -v[128:129]
	s_wait_loadcnt_dscnt 0x101
	v_mul_f64_e32 v[2:3], v[4:5], v[154:155]
	v_mul_f64_e32 v[20:21], v[6:7], v[154:155]
	s_wait_loadcnt_dscnt 0x0
	v_mul_f64_e32 v[128:129], v[14:15], v[166:167]
	v_add_f64_e32 v[10:11], v[132:133], v[130:131]
	v_add_f64_e32 v[16:17], v[16:17], v[18:19]
	v_mul_f64_e32 v[18:19], v[12:13], v[166:167]
	v_fmac_f64_e32 v[2:3], v[6:7], v[152:153]
	v_fma_f64 v[4:5], v[4:5], v[152:153], -v[20:21]
	v_add_f64_e32 v[6:7], v[10:11], v[8:9]
	v_add_f64_e32 v[8:9], v[16:17], v[22:23]
	v_fmac_f64_e32 v[18:19], v[14:15], v[164:165]
	v_fma_f64 v[10:11], v[12:13], v[164:165], -v[128:129]
	s_delay_alu instid0(VALU_DEP_4) | instskip(NEXT) | instid1(VALU_DEP_4)
	v_add_f64_e32 v[4:5], v[6:7], v[4:5]
	v_add_f64_e32 v[2:3], v[8:9], v[2:3]
	s_delay_alu instid0(VALU_DEP_2) | instskip(NEXT) | instid1(VALU_DEP_2)
	v_add_f64_e32 v[4:5], v[4:5], v[10:11]
	v_add_f64_e32 v[6:7], v[2:3], v[18:19]
	s_delay_alu instid0(VALU_DEP_2) | instskip(NEXT) | instid1(VALU_DEP_2)
	v_add_f64_e64 v[2:3], v[160:161], -v[4:5]
	v_add_f64_e64 v[4:5], v[162:163], -v[6:7]
	scratch_store_b128 off, v[2:5], off offset:32
	s_wait_xcnt 0x0
	v_cmpx_lt_u32_e32 1, v1
	s_cbranch_execz .LBB50_317
; %bb.316:
	scratch_load_b128 v[2:5], off, s47
	v_mov_b32_e32 v6, 0
	s_delay_alu instid0(VALU_DEP_1)
	v_dual_mov_b32 v7, v6 :: v_dual_mov_b32 v8, v6
	v_mov_b32_e32 v9, v6
	scratch_store_b128 off, v[6:9], off offset:16
	s_wait_loadcnt 0x0
	ds_store_b128 v126, v[2:5]
.LBB50_317:
	s_wait_xcnt 0x0
	s_or_b32 exec_lo, exec_lo, s2
	s_wait_storecnt_dscnt 0x0
	s_barrier_signal -1
	s_barrier_wait -1
	s_clause 0x9
	scratch_load_b128 v[4:7], off, off offset:32
	scratch_load_b128 v[8:11], off, off offset:48
	;; [unrolled: 1-line block ×10, first 2 shown]
	v_mov_b32_e32 v2, 0
	s_mov_b32 s2, exec_lo
	ds_load_b128 v[148:151], v2 offset:848
	s_clause 0x2
	scratch_load_b128 v[152:155], off, off offset:192
	scratch_load_b128 v[156:159], off, off offset:16
	;; [unrolled: 1-line block ×3, first 2 shown]
	s_wait_loadcnt_dscnt 0xc00
	v_mul_f64_e32 v[168:169], v[150:151], v[6:7]
	v_mul_f64_e32 v[172:173], v[148:149], v[6:7]
	ds_load_b128 v[160:163], v2 offset:864
	v_fma_f64 v[176:177], v[148:149], v[4:5], -v[168:169]
	v_fmac_f64_e32 v[172:173], v[150:151], v[4:5]
	ds_load_b128 v[4:7], v2 offset:880
	s_wait_loadcnt_dscnt 0xb01
	v_mul_f64_e32 v[174:175], v[160:161], v[10:11]
	v_mul_f64_e32 v[10:11], v[162:163], v[10:11]
	scratch_load_b128 v[148:151], off, off offset:224
	ds_load_b128 v[168:171], v2 offset:896
	s_wait_loadcnt_dscnt 0xb01
	v_mul_f64_e32 v[178:179], v[4:5], v[14:15]
	v_mul_f64_e32 v[14:15], v[6:7], v[14:15]
	v_add_f64_e32 v[172:173], 0, v[172:173]
	v_fmac_f64_e32 v[174:175], v[162:163], v[8:9]
	v_fma_f64 v[160:161], v[160:161], v[8:9], -v[10:11]
	v_add_f64_e32 v[162:163], 0, v[176:177]
	scratch_load_b128 v[8:11], off, off offset:240
	v_fmac_f64_e32 v[178:179], v[6:7], v[12:13]
	v_fma_f64 v[180:181], v[4:5], v[12:13], -v[14:15]
	ds_load_b128 v[4:7], v2 offset:912
	s_wait_loadcnt_dscnt 0xb01
	v_mul_f64_e32 v[176:177], v[168:169], v[18:19]
	v_mul_f64_e32 v[18:19], v[170:171], v[18:19]
	scratch_load_b128 v[12:15], off, off offset:256
	v_add_f64_e32 v[172:173], v[172:173], v[174:175]
	v_add_f64_e32 v[182:183], v[162:163], v[160:161]
	ds_load_b128 v[160:163], v2 offset:928
	s_wait_loadcnt_dscnt 0xb01
	v_mul_f64_e32 v[174:175], v[4:5], v[22:23]
	v_mul_f64_e32 v[22:23], v[6:7], v[22:23]
	v_fmac_f64_e32 v[176:177], v[170:171], v[16:17]
	v_fma_f64 v[168:169], v[168:169], v[16:17], -v[18:19]
	scratch_load_b128 v[16:19], off, off offset:272
	v_add_f64_e32 v[172:173], v[172:173], v[178:179]
	v_add_f64_e32 v[170:171], v[182:183], v[180:181]
	v_fmac_f64_e32 v[174:175], v[6:7], v[20:21]
	v_fma_f64 v[180:181], v[4:5], v[20:21], -v[22:23]
	ds_load_b128 v[4:7], v2 offset:944
	s_wait_loadcnt_dscnt 0xb01
	v_mul_f64_e32 v[178:179], v[160:161], v[130:131]
	v_mul_f64_e32 v[130:131], v[162:163], v[130:131]
	scratch_load_b128 v[20:23], off, off offset:288
	v_add_f64_e32 v[172:173], v[172:173], v[176:177]
	s_wait_loadcnt_dscnt 0xb00
	v_mul_f64_e32 v[176:177], v[4:5], v[134:135]
	v_add_f64_e32 v[182:183], v[170:171], v[168:169]
	v_mul_f64_e32 v[134:135], v[6:7], v[134:135]
	ds_load_b128 v[168:171], v2 offset:960
	v_fmac_f64_e32 v[178:179], v[162:163], v[128:129]
	v_fma_f64 v[160:161], v[160:161], v[128:129], -v[130:131]
	scratch_load_b128 v[128:131], off, off offset:304
	v_add_f64_e32 v[172:173], v[172:173], v[174:175]
	v_fmac_f64_e32 v[176:177], v[6:7], v[132:133]
	v_add_f64_e32 v[162:163], v[182:183], v[180:181]
	v_fma_f64 v[180:181], v[4:5], v[132:133], -v[134:135]
	ds_load_b128 v[4:7], v2 offset:976
	s_wait_loadcnt_dscnt 0xb01
	v_mul_f64_e32 v[174:175], v[168:169], v[138:139]
	v_mul_f64_e32 v[138:139], v[170:171], v[138:139]
	scratch_load_b128 v[132:135], off, off offset:320
	v_add_f64_e32 v[172:173], v[172:173], v[178:179]
	s_wait_loadcnt_dscnt 0xb00
	v_mul_f64_e32 v[178:179], v[4:5], v[142:143]
	v_add_f64_e32 v[182:183], v[162:163], v[160:161]
	v_mul_f64_e32 v[142:143], v[6:7], v[142:143]
	ds_load_b128 v[160:163], v2 offset:992
	v_fmac_f64_e32 v[174:175], v[170:171], v[136:137]
	v_fma_f64 v[168:169], v[168:169], v[136:137], -v[138:139]
	scratch_load_b128 v[136:139], off, off offset:336
	v_add_f64_e32 v[172:173], v[172:173], v[176:177]
	v_fmac_f64_e32 v[178:179], v[6:7], v[140:141]
	v_add_f64_e32 v[170:171], v[182:183], v[180:181]
	;; [unrolled: 18-line block ×3, first 2 shown]
	v_fma_f64 v[180:181], v[4:5], v[152:153], -v[154:155]
	ds_load_b128 v[4:7], v2 offset:1040
	s_wait_loadcnt_dscnt 0xa01
	v_mul_f64_e32 v[178:179], v[168:169], v[166:167]
	v_mul_f64_e32 v[166:167], v[170:171], v[166:167]
	scratch_load_b128 v[152:155], off, off offset:384
	v_add_f64_e32 v[172:173], v[172:173], v[176:177]
	v_add_f64_e32 v[182:183], v[162:163], v[160:161]
	s_wait_loadcnt_dscnt 0xa00
	v_mul_f64_e32 v[176:177], v[4:5], v[150:151]
	v_mul_f64_e32 v[150:151], v[6:7], v[150:151]
	v_fmac_f64_e32 v[178:179], v[170:171], v[164:165]
	v_fma_f64 v[168:169], v[168:169], v[164:165], -v[166:167]
	ds_load_b128 v[160:163], v2 offset:1056
	scratch_load_b128 v[164:167], off, off offset:400
	v_add_f64_e32 v[172:173], v[172:173], v[174:175]
	v_add_f64_e32 v[170:171], v[182:183], v[180:181]
	v_fmac_f64_e32 v[176:177], v[6:7], v[148:149]
	v_fma_f64 v[180:181], v[4:5], v[148:149], -v[150:151]
	ds_load_b128 v[4:7], v2 offset:1072
	s_wait_loadcnt_dscnt 0xa01
	v_mul_f64_e32 v[174:175], v[160:161], v[10:11]
	v_mul_f64_e32 v[10:11], v[162:163], v[10:11]
	scratch_load_b128 v[148:151], off, off offset:416
	v_add_f64_e32 v[172:173], v[172:173], v[178:179]
	s_wait_loadcnt_dscnt 0xa00
	v_mul_f64_e32 v[178:179], v[4:5], v[14:15]
	v_add_f64_e32 v[182:183], v[170:171], v[168:169]
	v_mul_f64_e32 v[14:15], v[6:7], v[14:15]
	ds_load_b128 v[168:171], v2 offset:1088
	v_fmac_f64_e32 v[174:175], v[162:163], v[8:9]
	v_fma_f64 v[160:161], v[160:161], v[8:9], -v[10:11]
	scratch_load_b128 v[8:11], off, off offset:432
	v_add_f64_e32 v[172:173], v[172:173], v[176:177]
	v_fmac_f64_e32 v[178:179], v[6:7], v[12:13]
	v_add_f64_e32 v[162:163], v[182:183], v[180:181]
	v_fma_f64 v[180:181], v[4:5], v[12:13], -v[14:15]
	ds_load_b128 v[4:7], v2 offset:1104
	s_wait_loadcnt_dscnt 0xa01
	v_mul_f64_e32 v[176:177], v[168:169], v[18:19]
	v_mul_f64_e32 v[18:19], v[170:171], v[18:19]
	scratch_load_b128 v[12:15], off, off offset:448
	v_add_f64_e32 v[172:173], v[172:173], v[174:175]
	s_wait_loadcnt_dscnt 0xa00
	v_mul_f64_e32 v[174:175], v[4:5], v[22:23]
	v_add_f64_e32 v[182:183], v[162:163], v[160:161]
	v_mul_f64_e32 v[22:23], v[6:7], v[22:23]
	ds_load_b128 v[160:163], v2 offset:1120
	v_fmac_f64_e32 v[176:177], v[170:171], v[16:17]
	v_fma_f64 v[168:169], v[168:169], v[16:17], -v[18:19]
	scratch_load_b128 v[16:19], off, off offset:464
	v_add_f64_e32 v[172:173], v[172:173], v[178:179]
	v_fmac_f64_e32 v[174:175], v[6:7], v[20:21]
	v_add_f64_e32 v[170:171], v[182:183], v[180:181]
	;; [unrolled: 18-line block ×12, first 2 shown]
	v_fma_f64 v[180:181], v[4:5], v[148:149], -v[150:151]
	ds_load_b128 v[4:7], v2 offset:1456
	s_wait_loadcnt_dscnt 0xa01
	v_mul_f64_e32 v[174:175], v[160:161], v[10:11]
	v_mul_f64_e32 v[10:11], v[162:163], v[10:11]
	scratch_load_b128 v[148:151], off, off offset:800
	v_add_f64_e32 v[172:173], v[172:173], v[178:179]
	s_wait_loadcnt_dscnt 0xa00
	v_mul_f64_e32 v[178:179], v[4:5], v[14:15]
	v_add_f64_e32 v[182:183], v[170:171], v[168:169]
	v_mul_f64_e32 v[14:15], v[6:7], v[14:15]
	ds_load_b128 v[168:171], v2 offset:1472
	v_fmac_f64_e32 v[174:175], v[162:163], v[8:9]
	v_fma_f64 v[8:9], v[160:161], v[8:9], -v[10:11]
	s_wait_loadcnt_dscnt 0x900
	v_mul_f64_e32 v[162:163], v[168:169], v[18:19]
	v_mul_f64_e32 v[18:19], v[170:171], v[18:19]
	v_add_f64_e32 v[160:161], v[172:173], v[176:177]
	v_fmac_f64_e32 v[178:179], v[6:7], v[12:13]
	v_add_f64_e32 v[10:11], v[182:183], v[180:181]
	v_fma_f64 v[12:13], v[4:5], v[12:13], -v[14:15]
	v_fmac_f64_e32 v[162:163], v[170:171], v[16:17]
	v_fma_f64 v[16:17], v[168:169], v[16:17], -v[18:19]
	v_add_f64_e32 v[160:161], v[160:161], v[174:175]
	v_add_f64_e32 v[14:15], v[10:11], v[8:9]
	ds_load_b128 v[4:7], v2 offset:1488
	ds_load_b128 v[8:11], v2 offset:1504
	s_wait_loadcnt_dscnt 0x801
	v_mul_f64_e32 v[172:173], v[4:5], v[22:23]
	v_mul_f64_e32 v[22:23], v[6:7], v[22:23]
	s_wait_loadcnt_dscnt 0x700
	v_mul_f64_e32 v[18:19], v[8:9], v[130:131]
	v_mul_f64_e32 v[130:131], v[10:11], v[130:131]
	v_add_f64_e32 v[12:13], v[14:15], v[12:13]
	v_add_f64_e32 v[14:15], v[160:161], v[178:179]
	v_fmac_f64_e32 v[172:173], v[6:7], v[20:21]
	v_fma_f64 v[20:21], v[4:5], v[20:21], -v[22:23]
	v_fmac_f64_e32 v[18:19], v[10:11], v[128:129]
	v_fma_f64 v[8:9], v[8:9], v[128:129], -v[130:131]
	v_add_f64_e32 v[16:17], v[12:13], v[16:17]
	v_add_f64_e32 v[22:23], v[14:15], v[162:163]
	ds_load_b128 v[4:7], v2 offset:1520
	ds_load_b128 v[12:15], v2 offset:1536
	s_wait_loadcnt_dscnt 0x601
	v_mul_f64_e32 v[160:161], v[4:5], v[134:135]
	v_mul_f64_e32 v[134:135], v[6:7], v[134:135]
	v_add_f64_e32 v[10:11], v[16:17], v[20:21]
	v_add_f64_e32 v[16:17], v[22:23], v[172:173]
	s_wait_loadcnt_dscnt 0x500
	v_mul_f64_e32 v[20:21], v[12:13], v[138:139]
	v_mul_f64_e32 v[22:23], v[14:15], v[138:139]
	v_fmac_f64_e32 v[160:161], v[6:7], v[132:133]
	v_fma_f64 v[128:129], v[4:5], v[132:133], -v[134:135]
	v_add_f64_e32 v[130:131], v[10:11], v[8:9]
	v_add_f64_e32 v[16:17], v[16:17], v[18:19]
	ds_load_b128 v[4:7], v2 offset:1552
	ds_load_b128 v[8:11], v2 offset:1568
	v_fmac_f64_e32 v[20:21], v[14:15], v[136:137]
	v_fma_f64 v[12:13], v[12:13], v[136:137], -v[22:23]
	s_wait_loadcnt_dscnt 0x401
	v_mul_f64_e32 v[18:19], v[4:5], v[142:143]
	v_mul_f64_e32 v[132:133], v[6:7], v[142:143]
	s_wait_loadcnt_dscnt 0x300
	v_mul_f64_e32 v[22:23], v[8:9], v[146:147]
	v_add_f64_e32 v[14:15], v[130:131], v[128:129]
	v_add_f64_e32 v[16:17], v[16:17], v[160:161]
	v_mul_f64_e32 v[128:129], v[10:11], v[146:147]
	v_fmac_f64_e32 v[18:19], v[6:7], v[140:141]
	v_fma_f64 v[130:131], v[4:5], v[140:141], -v[132:133]
	v_fmac_f64_e32 v[22:23], v[10:11], v[144:145]
	v_add_f64_e32 v[132:133], v[14:15], v[12:13]
	v_add_f64_e32 v[16:17], v[16:17], v[20:21]
	ds_load_b128 v[4:7], v2 offset:1584
	ds_load_b128 v[12:15], v2 offset:1600
	v_fma_f64 v[8:9], v[8:9], v[144:145], -v[128:129]
	s_wait_loadcnt_dscnt 0x201
	v_mul_f64_e32 v[20:21], v[4:5], v[154:155]
	v_mul_f64_e32 v[134:135], v[6:7], v[154:155]
	s_wait_loadcnt_dscnt 0x100
	v_mul_f64_e32 v[128:129], v[14:15], v[166:167]
	v_add_f64_e32 v[10:11], v[132:133], v[130:131]
	v_add_f64_e32 v[16:17], v[16:17], v[18:19]
	v_mul_f64_e32 v[18:19], v[12:13], v[166:167]
	v_fmac_f64_e32 v[20:21], v[6:7], v[152:153]
	v_fma_f64 v[130:131], v[4:5], v[152:153], -v[134:135]
	ds_load_b128 v[4:7], v2 offset:1616
	v_fma_f64 v[12:13], v[12:13], v[164:165], -v[128:129]
	v_add_f64_e32 v[8:9], v[10:11], v[8:9]
	v_add_f64_e32 v[10:11], v[16:17], v[22:23]
	v_fmac_f64_e32 v[18:19], v[14:15], v[164:165]
	s_wait_loadcnt_dscnt 0x0
	v_mul_f64_e32 v[16:17], v[4:5], v[150:151]
	v_mul_f64_e32 v[22:23], v[6:7], v[150:151]
	v_add_f64_e32 v[8:9], v[8:9], v[130:131]
	v_add_f64_e32 v[10:11], v[10:11], v[20:21]
	s_delay_alu instid0(VALU_DEP_4) | instskip(NEXT) | instid1(VALU_DEP_4)
	v_fmac_f64_e32 v[16:17], v[6:7], v[148:149]
	v_fma_f64 v[4:5], v[4:5], v[148:149], -v[22:23]
	s_delay_alu instid0(VALU_DEP_4) | instskip(NEXT) | instid1(VALU_DEP_4)
	v_add_f64_e32 v[6:7], v[8:9], v[12:13]
	v_add_f64_e32 v[8:9], v[10:11], v[18:19]
	s_delay_alu instid0(VALU_DEP_2) | instskip(NEXT) | instid1(VALU_DEP_2)
	v_add_f64_e32 v[4:5], v[6:7], v[4:5]
	v_add_f64_e32 v[6:7], v[8:9], v[16:17]
	s_delay_alu instid0(VALU_DEP_2) | instskip(NEXT) | instid1(VALU_DEP_2)
	v_add_f64_e64 v[4:5], v[156:157], -v[4:5]
	v_add_f64_e64 v[6:7], v[158:159], -v[6:7]
	scratch_store_b128 off, v[4:7], off offset:16
	s_wait_xcnt 0x0
	v_cmpx_ne_u32_e32 0, v1
	s_cbranch_execz .LBB50_319
; %bb.318:
	scratch_load_b128 v[6:9], off, off
	v_dual_mov_b32 v3, v2 :: v_dual_mov_b32 v4, v2
	v_mov_b32_e32 v5, v2
	scratch_store_b128 off, v[2:5], off
	s_wait_loadcnt 0x0
	ds_store_b128 v126, v[6:9]
.LBB50_319:
	s_wait_xcnt 0x0
	s_or_b32 exec_lo, exec_lo, s2
	s_wait_storecnt_dscnt 0x0
	s_barrier_signal -1
	s_barrier_wait -1
	s_clause 0x9
	scratch_load_b128 v[4:7], off, off offset:16
	scratch_load_b128 v[8:11], off, off offset:32
	;; [unrolled: 1-line block ×10, first 2 shown]
	ds_load_b128 v[146:149], v2 offset:832
	ds_load_b128 v[154:157], v2 offset:848
	s_clause 0x2
	scratch_load_b128 v[150:153], off, off offset:176
	scratch_load_b128 v[160:163], off, off
	scratch_load_b128 v[164:167], off, off offset:192
	s_and_b32 vcc_lo, exec_lo, s63
	s_wait_loadcnt_dscnt 0xc01
	v_mul_f64_e32 v[158:159], v[148:149], v[6:7]
	v_mul_f64_e32 v[172:173], v[146:147], v[6:7]
	s_wait_loadcnt_dscnt 0xb00
	v_mul_f64_e32 v[174:175], v[154:155], v[10:11]
	v_mul_f64_e32 v[10:11], v[156:157], v[10:11]
	s_delay_alu instid0(VALU_DEP_4) | instskip(NEXT) | instid1(VALU_DEP_4)
	v_fma_f64 v[158:159], v[146:147], v[4:5], -v[158:159]
	v_fmac_f64_e32 v[172:173], v[148:149], v[4:5]
	ds_load_b128 v[4:7], v2 offset:864
	ds_load_b128 v[146:149], v2 offset:880
	scratch_load_b128 v[168:171], off, off offset:208
	v_fmac_f64_e32 v[174:175], v[156:157], v[8:9]
	v_fma_f64 v[154:155], v[154:155], v[8:9], -v[10:11]
	scratch_load_b128 v[8:11], off, off offset:224
	s_wait_loadcnt_dscnt 0xc01
	v_mul_f64_e32 v[176:177], v[4:5], v[14:15]
	v_mul_f64_e32 v[14:15], v[6:7], v[14:15]
	v_add_f64_e32 v[156:157], 0, v[158:159]
	v_add_f64_e32 v[158:159], 0, v[172:173]
	s_wait_loadcnt_dscnt 0xb00
	v_mul_f64_e32 v[172:173], v[146:147], v[18:19]
	v_mul_f64_e32 v[18:19], v[148:149], v[18:19]
	v_fmac_f64_e32 v[176:177], v[6:7], v[12:13]
	v_fma_f64 v[178:179], v[4:5], v[12:13], -v[14:15]
	ds_load_b128 v[4:7], v2 offset:896
	ds_load_b128 v[12:15], v2 offset:912
	v_add_f64_e32 v[180:181], v[156:157], v[154:155]
	v_add_f64_e32 v[158:159], v[158:159], v[174:175]
	scratch_load_b128 v[154:157], off, off offset:240
	v_fmac_f64_e32 v[172:173], v[148:149], v[16:17]
	v_fma_f64 v[146:147], v[146:147], v[16:17], -v[18:19]
	scratch_load_b128 v[16:19], off, off offset:256
	s_wait_loadcnt_dscnt 0xc01
	v_mul_f64_e32 v[174:175], v[4:5], v[22:23]
	v_mul_f64_e32 v[22:23], v[6:7], v[22:23]
	v_add_f64_e32 v[148:149], v[180:181], v[178:179]
	v_add_f64_e32 v[158:159], v[158:159], v[176:177]
	s_wait_loadcnt_dscnt 0xb00
	v_mul_f64_e32 v[176:177], v[12:13], v[128:129]
	v_mul_f64_e32 v[128:129], v[14:15], v[128:129]
	v_fmac_f64_e32 v[174:175], v[6:7], v[20:21]
	v_fma_f64 v[178:179], v[4:5], v[20:21], -v[22:23]
	ds_load_b128 v[4:7], v2 offset:928
	ds_load_b128 v[20:23], v2 offset:944
	v_add_f64_e32 v[180:181], v[148:149], v[146:147]
	v_add_f64_e32 v[158:159], v[158:159], v[172:173]
	scratch_load_b128 v[146:149], off, off offset:272
	s_wait_loadcnt_dscnt 0xb01
	v_mul_f64_e32 v[172:173], v[4:5], v[132:133]
	v_mul_f64_e32 v[132:133], v[6:7], v[132:133]
	v_fmac_f64_e32 v[176:177], v[14:15], v[126:127]
	v_fma_f64 v[126:127], v[12:13], v[126:127], -v[128:129]
	scratch_load_b128 v[12:15], off, off offset:288
	v_add_f64_e32 v[128:129], v[180:181], v[178:179]
	v_add_f64_e32 v[158:159], v[158:159], v[174:175]
	s_wait_loadcnt_dscnt 0xb00
	v_mul_f64_e32 v[174:175], v[20:21], v[136:137]
	v_mul_f64_e32 v[136:137], v[22:23], v[136:137]
	v_fmac_f64_e32 v[172:173], v[6:7], v[130:131]
	v_fma_f64 v[178:179], v[4:5], v[130:131], -v[132:133]
	v_add_f64_e32 v[180:181], v[128:129], v[126:127]
	v_add_f64_e32 v[158:159], v[158:159], v[176:177]
	ds_load_b128 v[4:7], v2 offset:960
	ds_load_b128 v[126:129], v2 offset:976
	scratch_load_b128 v[130:133], off, off offset:304
	v_fmac_f64_e32 v[174:175], v[22:23], v[134:135]
	v_fma_f64 v[134:135], v[20:21], v[134:135], -v[136:137]
	scratch_load_b128 v[20:23], off, off offset:320
	s_wait_loadcnt_dscnt 0xc01
	v_mul_f64_e32 v[176:177], v[4:5], v[140:141]
	v_mul_f64_e32 v[140:141], v[6:7], v[140:141]
	v_add_f64_e32 v[136:137], v[180:181], v[178:179]
	v_add_f64_e32 v[158:159], v[158:159], v[172:173]
	s_wait_loadcnt_dscnt 0xb00
	v_mul_f64_e32 v[172:173], v[126:127], v[144:145]
	v_mul_f64_e32 v[144:145], v[128:129], v[144:145]
	v_fmac_f64_e32 v[176:177], v[6:7], v[138:139]
	v_fma_f64 v[178:179], v[4:5], v[138:139], -v[140:141]
	v_add_f64_e32 v[180:181], v[136:137], v[134:135]
	v_add_f64_e32 v[158:159], v[158:159], v[174:175]
	ds_load_b128 v[4:7], v2 offset:992
	ds_load_b128 v[134:137], v2 offset:1008
	scratch_load_b128 v[138:141], off, off offset:336
	v_fmac_f64_e32 v[172:173], v[128:129], v[142:143]
	v_fma_f64 v[142:143], v[126:127], v[142:143], -v[144:145]
	scratch_load_b128 v[126:129], off, off offset:352
	s_wait_loadcnt_dscnt 0xc01
	v_mul_f64_e32 v[174:175], v[4:5], v[152:153]
	v_mul_f64_e32 v[152:153], v[6:7], v[152:153]
	;; [unrolled: 18-line block ×5, first 2 shown]
	v_add_f64_e32 v[166:167], v[180:181], v[178:179]
	v_add_f64_e32 v[158:159], v[158:159], v[176:177]
	s_wait_loadcnt_dscnt 0xa00
	v_mul_f64_e32 v[176:177], v[142:143], v[14:15]
	v_mul_f64_e32 v[14:15], v[144:145], v[14:15]
	v_fmac_f64_e32 v[174:175], v[6:7], v[146:147]
	v_fma_f64 v[178:179], v[4:5], v[146:147], -v[148:149]
	ds_load_b128 v[4:7], v2 offset:1120
	ds_load_b128 v[146:149], v2 offset:1136
	v_add_f64_e32 v[180:181], v[166:167], v[164:165]
	v_add_f64_e32 v[158:159], v[158:159], v[172:173]
	scratch_load_b128 v[164:167], off, off offset:464
	v_fmac_f64_e32 v[176:177], v[144:145], v[12:13]
	v_fma_f64 v[142:143], v[142:143], v[12:13], -v[14:15]
	scratch_load_b128 v[12:15], off, off offset:480
	s_wait_loadcnt_dscnt 0xb01
	v_mul_f64_e32 v[172:173], v[4:5], v[132:133]
	v_mul_f64_e32 v[132:133], v[6:7], v[132:133]
	v_add_f64_e32 v[144:145], v[180:181], v[178:179]
	v_add_f64_e32 v[158:159], v[158:159], v[174:175]
	s_wait_loadcnt_dscnt 0xa00
	v_mul_f64_e32 v[174:175], v[146:147], v[22:23]
	v_mul_f64_e32 v[22:23], v[148:149], v[22:23]
	v_fmac_f64_e32 v[172:173], v[6:7], v[130:131]
	v_fma_f64 v[178:179], v[4:5], v[130:131], -v[132:133]
	ds_load_b128 v[4:7], v2 offset:1152
	ds_load_b128 v[130:133], v2 offset:1168
	v_add_f64_e32 v[180:181], v[144:145], v[142:143]
	v_add_f64_e32 v[158:159], v[158:159], v[176:177]
	scratch_load_b128 v[142:145], off, off offset:496
	s_wait_loadcnt_dscnt 0xa01
	v_mul_f64_e32 v[176:177], v[4:5], v[140:141]
	v_mul_f64_e32 v[140:141], v[6:7], v[140:141]
	v_fmac_f64_e32 v[174:175], v[148:149], v[20:21]
	v_fma_f64 v[146:147], v[146:147], v[20:21], -v[22:23]
	scratch_load_b128 v[20:23], off, off offset:512
	v_add_f64_e32 v[148:149], v[180:181], v[178:179]
	v_add_f64_e32 v[158:159], v[158:159], v[172:173]
	s_wait_loadcnt_dscnt 0xa00
	v_mul_f64_e32 v[172:173], v[130:131], v[128:129]
	v_mul_f64_e32 v[128:129], v[132:133], v[128:129]
	v_fmac_f64_e32 v[176:177], v[6:7], v[138:139]
	v_fma_f64 v[178:179], v[4:5], v[138:139], -v[140:141]
	ds_load_b128 v[4:7], v2 offset:1184
	ds_load_b128 v[138:141], v2 offset:1200
	v_add_f64_e32 v[180:181], v[148:149], v[146:147]
	v_add_f64_e32 v[158:159], v[158:159], v[174:175]
	scratch_load_b128 v[146:149], off, off offset:528
	s_wait_loadcnt_dscnt 0xa01
	v_mul_f64_e32 v[174:175], v[4:5], v[152:153]
	v_mul_f64_e32 v[152:153], v[6:7], v[152:153]
	v_fmac_f64_e32 v[172:173], v[132:133], v[126:127]
	v_fma_f64 v[130:131], v[130:131], v[126:127], -v[128:129]
	scratch_load_b128 v[126:129], off, off offset:544
	v_add_f64_e32 v[132:133], v[180:181], v[178:179]
	v_add_f64_e32 v[158:159], v[158:159], v[176:177]
	s_wait_loadcnt_dscnt 0xa00
	v_mul_f64_e32 v[176:177], v[138:139], v[136:137]
	v_mul_f64_e32 v[136:137], v[140:141], v[136:137]
	v_fmac_f64_e32 v[174:175], v[6:7], v[150:151]
	v_fma_f64 v[178:179], v[4:5], v[150:151], -v[152:153]
	v_add_f64_e32 v[180:181], v[132:133], v[130:131]
	v_add_f64_e32 v[158:159], v[158:159], v[172:173]
	ds_load_b128 v[4:7], v2 offset:1216
	ds_load_b128 v[130:133], v2 offset:1232
	scratch_load_b128 v[150:153], off, off offset:560
	v_fmac_f64_e32 v[176:177], v[140:141], v[134:135]
	v_fma_f64 v[138:139], v[138:139], v[134:135], -v[136:137]
	scratch_load_b128 v[134:137], off, off offset:576
	s_wait_loadcnt_dscnt 0xb01
	v_mul_f64_e32 v[172:173], v[4:5], v[170:171]
	v_mul_f64_e32 v[170:171], v[6:7], v[170:171]
	v_add_f64_e32 v[140:141], v[180:181], v[178:179]
	v_add_f64_e32 v[158:159], v[158:159], v[174:175]
	s_wait_loadcnt_dscnt 0xa00
	v_mul_f64_e32 v[174:175], v[130:131], v[10:11]
	v_mul_f64_e32 v[10:11], v[132:133], v[10:11]
	v_fmac_f64_e32 v[172:173], v[6:7], v[168:169]
	v_fma_f64 v[178:179], v[4:5], v[168:169], -v[170:171]
	v_add_f64_e32 v[180:181], v[140:141], v[138:139]
	v_add_f64_e32 v[158:159], v[158:159], v[176:177]
	ds_load_b128 v[4:7], v2 offset:1248
	ds_load_b128 v[138:141], v2 offset:1264
	scratch_load_b128 v[168:171], off, off offset:592
	v_fmac_f64_e32 v[174:175], v[132:133], v[8:9]
	v_fma_f64 v[130:131], v[130:131], v[8:9], -v[10:11]
	scratch_load_b128 v[8:11], off, off offset:608
	s_wait_loadcnt_dscnt 0xb01
	v_mul_f64_e32 v[176:177], v[4:5], v[156:157]
	v_mul_f64_e32 v[156:157], v[6:7], v[156:157]
	;; [unrolled: 18-line block ×8, first 2 shown]
	v_add_f64_e32 v[132:133], v[180:181], v[178:179]
	v_add_f64_e32 v[158:159], v[158:159], v[172:173]
	s_wait_loadcnt_dscnt 0xa00
	v_mul_f64_e32 v[172:173], v[138:139], v[18:19]
	v_mul_f64_e32 v[18:19], v[140:141], v[18:19]
	v_fmac_f64_e32 v[176:177], v[6:7], v[154:155]
	v_fma_f64 v[154:155], v[4:5], v[154:155], -v[156:157]
	v_add_f64_e32 v[156:157], v[132:133], v[130:131]
	v_add_f64_e32 v[158:159], v[158:159], v[174:175]
	ds_load_b128 v[4:7], v2 offset:1472
	ds_load_b128 v[130:133], v2 offset:1488
	v_fmac_f64_e32 v[172:173], v[140:141], v[16:17]
	v_fma_f64 v[16:17], v[138:139], v[16:17], -v[18:19]
	s_wait_loadcnt_dscnt 0x901
	v_mul_f64_e32 v[174:175], v[4:5], v[166:167]
	v_mul_f64_e32 v[166:167], v[6:7], v[166:167]
	s_wait_loadcnt_dscnt 0x800
	v_mul_f64_e32 v[140:141], v[130:131], v[14:15]
	v_add_f64_e32 v[18:19], v[156:157], v[154:155]
	v_add_f64_e32 v[138:139], v[158:159], v[176:177]
	v_mul_f64_e32 v[154:155], v[132:133], v[14:15]
	v_fmac_f64_e32 v[174:175], v[6:7], v[164:165]
	v_fma_f64 v[156:157], v[4:5], v[164:165], -v[166:167]
	v_fmac_f64_e32 v[140:141], v[132:133], v[12:13]
	v_add_f64_e32 v[18:19], v[18:19], v[16:17]
	v_add_f64_e32 v[138:139], v[138:139], v[172:173]
	ds_load_b128 v[4:7], v2 offset:1504
	ds_load_b128 v[14:17], v2 offset:1520
	v_fma_f64 v[12:13], v[130:131], v[12:13], -v[154:155]
	v_lshl_add_u64 v[154:155], v[32:33], 4, s[4:5]
	v_lshl_add_u64 v[32:33], v[88:89], 4, s[4:5]
	s_wait_loadcnt_dscnt 0x701
	v_mul_f64_e32 v[158:159], v[4:5], v[144:145]
	v_mul_f64_e32 v[144:145], v[6:7], v[144:145]
	v_add_f64_e32 v[18:19], v[18:19], v[156:157]
	v_add_f64_e32 v[130:131], v[138:139], v[174:175]
	s_wait_loadcnt_dscnt 0x600
	v_mul_f64_e32 v[138:139], v[14:15], v[22:23]
	v_mul_f64_e32 v[22:23], v[16:17], v[22:23]
	v_lshl_add_u64 v[156:157], v[30:31], 4, s[4:5]
	v_lshl_add_u64 v[30:31], v[86:87], 4, s[4:5]
	v_fmac_f64_e32 v[158:159], v[6:7], v[142:143]
	v_fma_f64 v[142:143], v[4:5], v[142:143], -v[144:145]
	v_add_f64_e32 v[12:13], v[18:19], v[12:13]
	v_add_f64_e32 v[18:19], v[130:131], v[140:141]
	ds_load_b128 v[4:7], v2 offset:1536
	ds_load_b128 v[130:133], v2 offset:1552
	v_fmac_f64_e32 v[138:139], v[16:17], v[20:21]
	v_fma_f64 v[14:15], v[14:15], v[20:21], -v[22:23]
	s_wait_loadcnt_dscnt 0x501
	v_mul_f64_e32 v[140:141], v[4:5], v[148:149]
	v_mul_f64_e32 v[144:145], v[6:7], v[148:149]
	s_wait_loadcnt_dscnt 0x400
	v_mul_f64_e32 v[20:21], v[132:133], v[128:129]
	v_lshl_add_u64 v[148:149], v[38:39], 4, s[4:5]
	v_lshl_add_u64 v[38:39], v[94:95], 4, s[4:5]
	v_add_f64_e32 v[12:13], v[12:13], v[142:143]
	v_add_f64_e32 v[16:17], v[18:19], v[158:159]
	v_mul_f64_e32 v[18:19], v[130:131], v[128:129]
	v_lshl_add_u64 v[158:159], v[28:29], 4, s[4:5]
	v_lshl_add_u64 v[28:29], v[84:85], 4, s[4:5]
	v_fmac_f64_e32 v[140:141], v[6:7], v[146:147]
	v_fma_f64 v[22:23], v[4:5], v[146:147], -v[144:145]
	v_fma_f64 v[20:21], v[130:131], v[126:127], -v[20:21]
	v_lshl_add_u64 v[146:147], v[40:41], 4, s[4:5]
	v_lshl_add_u64 v[144:145], v[44:45], 4, s[4:5]
	;; [unrolled: 1-line block ×4, first 2 shown]
	v_add_f64_e32 v[128:129], v[12:13], v[14:15]
	v_add_f64_e32 v[16:17], v[16:17], v[138:139]
	ds_load_b128 v[4:7], v2 offset:1568
	ds_load_b128 v[12:15], v2 offset:1584
	v_fmac_f64_e32 v[18:19], v[132:133], v[126:127]
	s_wait_loadcnt_dscnt 0x301
	v_mul_f64_e32 v[138:139], v[4:5], v[152:153]
	v_mul_f64_e32 v[142:143], v[6:7], v[152:153]
	s_wait_loadcnt_dscnt 0x200
	v_mul_f64_e32 v[126:127], v[12:13], v[136:137]
	v_lshl_add_u64 v[152:153], v[36:37], 4, s[4:5]
	v_lshl_add_u64 v[36:37], v[92:93], 4, s[4:5]
	v_add_f64_e32 v[22:23], v[128:129], v[22:23]
	v_add_f64_e32 v[16:17], v[16:17], v[140:141]
	v_mul_f64_e32 v[128:129], v[14:15], v[136:137]
	v_lshl_add_u64 v[140:141], v[46:47], 4, s[4:5]
	v_lshl_add_u64 v[136:137], v[52:53], 4, s[4:5]
	;; [unrolled: 1-line block ×4, first 2 shown]
	v_fmac_f64_e32 v[138:139], v[6:7], v[150:151]
	v_fma_f64 v[130:131], v[4:5], v[150:151], -v[142:143]
	v_fmac_f64_e32 v[126:127], v[14:15], v[134:135]
	v_lshl_add_u64 v[150:151], v[34:35], 4, s[4:5]
	v_lshl_add_u64 v[142:143], v[42:43], 4, s[4:5]
	;; [unrolled: 1-line block ×4, first 2 shown]
	v_add_f64_e32 v[20:21], v[22:23], v[20:21]
	v_add_f64_e32 v[22:23], v[16:17], v[18:19]
	ds_load_b128 v[4:7], v2 offset:1600
	ds_load_b128 v[16:19], v2 offset:1616
	v_fma_f64 v[12:13], v[12:13], v[134:135], -v[128:129]
	v_lshl_add_u64 v[134:135], v[50:51], 4, s[4:5]
	v_lshl_add_u64 v[128:129], v[60:61], 4, s[4:5]
	;; [unrolled: 1-line block ×4, first 2 shown]
	s_wait_loadcnt_dscnt 0x101
	v_mul_f64_e32 v[2:3], v[4:5], v[170:171]
	v_mul_f64_e32 v[132:133], v[6:7], v[170:171]
	v_add_f64_e32 v[14:15], v[20:21], v[130:131]
	v_add_f64_e32 v[20:21], v[22:23], v[138:139]
	s_wait_loadcnt_dscnt 0x0
	v_mul_f64_e32 v[22:23], v[16:17], v[10:11]
	v_mul_f64_e32 v[10:11], v[18:19], v[10:11]
	v_lshl_add_u64 v[138:139], v[48:49], 4, s[4:5]
	v_lshl_add_u64 v[130:131], v[56:57], 4, s[4:5]
	;; [unrolled: 1-line block ×4, first 2 shown]
	v_fmac_f64_e32 v[2:3], v[6:7], v[168:169]
	v_fma_f64 v[4:5], v[4:5], v[168:169], -v[132:133]
	v_lshl_add_u64 v[132:133], v[54:55], 4, s[4:5]
	v_lshl_add_u64 v[54:55], v[110:111], 4, s[4:5]
	v_add_f64_e32 v[6:7], v[14:15], v[12:13]
	v_add_f64_e32 v[12:13], v[20:21], v[126:127]
	v_fmac_f64_e32 v[22:23], v[18:19], v[8:9]
	v_fma_f64 v[8:9], v[16:17], v[8:9], -v[10:11]
	v_lshl_add_u64 v[126:127], v[58:59], 4, s[4:5]
	v_lshl_add_u64 v[10:11], v[70:71], 4, s[4:5]
	;; [unrolled: 1-line block ×7, first 2 shown]
	v_add_f64_e32 v[4:5], v[6:7], v[4:5]
	v_add_f64_e32 v[2:3], v[12:13], v[2:3]
	v_lshl_add_u64 v[12:13], v[72:73], 4, s[4:5]
	s_delay_alu instid0(VALU_DEP_3) | instskip(NEXT) | instid1(VALU_DEP_3)
	v_add_f64_e32 v[6:7], v[4:5], v[8:9]
	v_add_f64_e32 v[8:9], v[2:3], v[22:23]
	v_lshl_add_u64 v[4:5], v[62:63], 4, s[4:5]
	v_lshl_add_u64 v[2:3], v[64:65], 4, s[4:5]
	;; [unrolled: 1-line block ×5, first 2 shown]
	v_add_f64_e64 v[160:161], v[160:161], -v[6:7]
	v_add_f64_e64 v[162:163], v[162:163], -v[8:9]
	v_lshl_add_u64 v[6:7], v[66:67], 4, s[4:5]
	v_lshl_add_u64 v[8:9], v[68:69], 4, s[4:5]
	v_lshl_add_u64 v[66:67], v[122:123], 4, s[4:5]
	v_lshl_add_u64 v[68:69], v[124:125], 4, s[4:5]
	scratch_store_b128 off, v[160:163], off
	s_cbranch_vccz .LBB50_420
; %bb.320:
	v_mov_b32_e32 v70, 0
	s_load_b64 s[2:3], s[0:1], 0x4
	v_bfe_u32 v72, v0, 10, 10
	v_bfe_u32 v0, v0, 20, 10
	global_load_b32 v71, v70, s[16:17] offset:196
	s_wait_kmcnt 0x0
	s_lshr_b32 s0, s2, 16
	v_mul_u32_u24_e32 v72, s3, v72
	s_mul_i32 s0, s0, s3
	s_delay_alu instid0(SALU_CYCLE_1) | instskip(NEXT) | instid1(VALU_DEP_1)
	v_mul_u32_u24_e32 v1, s0, v1
	v_add3_u32 v0, v1, v72, v0
	s_delay_alu instid0(VALU_DEP_1)
	v_lshl_add_u32 v0, v0, 4, 0x668
	s_wait_loadcnt 0x0
	v_cmp_ne_u32_e32 vcc_lo, 50, v71
	s_cbranch_vccz .LBB50_322
; %bb.321:
	v_lshlrev_b32_e32 v1, 4, v71
	s_clause 0x1
	scratch_load_b128 v[72:75], off, s14
	scratch_load_b128 v[76:79], v1, off offset:-16
	s_wait_loadcnt 0x1
	ds_store_2addr_b64 v0, v[72:73], v[74:75] offset1:1
	s_wait_loadcnt 0x0
	s_clause 0x1
	scratch_store_b128 off, v[76:79], s14
	scratch_store_b128 v1, v[72:75], off offset:-16
.LBB50_322:
	global_load_b32 v1, v70, s[16:17] offset:192
	s_wait_loadcnt 0x0
	v_cmp_eq_u32_e32 vcc_lo, 49, v1
	s_cbranch_vccnz .LBB50_324
; %bb.323:
	v_lshlrev_b32_e32 v1, 4, v1
	s_clause 0x1
	scratch_load_b128 v[70:73], off, s23
	scratch_load_b128 v[74:77], v1, off offset:-16
	s_wait_loadcnt 0x1
	ds_store_2addr_b64 v0, v[70:71], v[72:73] offset1:1
	s_wait_loadcnt 0x0
	s_clause 0x1
	scratch_store_b128 off, v[74:77], s23
	scratch_store_b128 v1, v[70:73], off offset:-16
.LBB50_324:
	s_wait_xcnt 0x0
	v_mov_b32_e32 v1, 0
	global_load_b32 v70, v1, s[16:17] offset:188
	s_wait_loadcnt 0x0
	v_cmp_eq_u32_e32 vcc_lo, 48, v70
	s_cbranch_vccnz .LBB50_326
; %bb.325:
	v_lshlrev_b32_e32 v70, 4, v70
	s_delay_alu instid0(VALU_DEP_1)
	v_mov_b32_e32 v78, v70
	s_clause 0x1
	scratch_load_b128 v[70:73], off, s8
	scratch_load_b128 v[74:77], v78, off offset:-16
	s_wait_loadcnt 0x1
	ds_store_2addr_b64 v0, v[70:71], v[72:73] offset1:1
	s_wait_loadcnt 0x0
	s_clause 0x1
	scratch_store_b128 off, v[74:77], s8
	scratch_store_b128 v78, v[70:73], off offset:-16
.LBB50_326:
	global_load_b32 v1, v1, s[16:17] offset:184
	s_wait_loadcnt 0x0
	v_cmp_eq_u32_e32 vcc_lo, 47, v1
	s_cbranch_vccnz .LBB50_328
; %bb.327:
	s_wait_xcnt 0x0
	v_lshlrev_b32_e32 v1, 4, v1
	s_clause 0x1
	scratch_load_b128 v[70:73], off, s10
	scratch_load_b128 v[74:77], v1, off offset:-16
	s_wait_loadcnt 0x1
	ds_store_2addr_b64 v0, v[70:71], v[72:73] offset1:1
	s_wait_loadcnt 0x0
	s_clause 0x1
	scratch_store_b128 off, v[74:77], s10
	scratch_store_b128 v1, v[70:73], off offset:-16
.LBB50_328:
	s_wait_xcnt 0x0
	v_mov_b32_e32 v1, 0
	global_load_b32 v70, v1, s[16:17] offset:180
	s_wait_loadcnt 0x0
	v_cmp_eq_u32_e32 vcc_lo, 46, v70
	s_cbranch_vccnz .LBB50_330
; %bb.329:
	v_lshlrev_b32_e32 v70, 4, v70
	s_delay_alu instid0(VALU_DEP_1)
	v_mov_b32_e32 v78, v70
	s_clause 0x1
	scratch_load_b128 v[70:73], off, s9
	scratch_load_b128 v[74:77], v78, off offset:-16
	s_wait_loadcnt 0x1
	ds_store_2addr_b64 v0, v[70:71], v[72:73] offset1:1
	s_wait_loadcnt 0x0
	s_clause 0x1
	scratch_store_b128 off, v[74:77], s9
	scratch_store_b128 v78, v[70:73], off offset:-16
.LBB50_330:
	global_load_b32 v1, v1, s[16:17] offset:176
	s_wait_loadcnt 0x0
	v_cmp_eq_u32_e32 vcc_lo, 45, v1
	s_cbranch_vccnz .LBB50_332
; %bb.331:
	s_wait_xcnt 0x0
	v_lshlrev_b32_e32 v1, 4, v1
	s_clause 0x1
	scratch_load_b128 v[70:73], off, s12
	scratch_load_b128 v[74:77], v1, off offset:-16
	s_wait_loadcnt 0x1
	ds_store_2addr_b64 v0, v[70:71], v[72:73] offset1:1
	s_wait_loadcnt 0x0
	s_clause 0x1
	scratch_store_b128 off, v[74:77], s12
	scratch_store_b128 v1, v[70:73], off offset:-16
.LBB50_332:
	;; [unrolled: 37-line block ×23, first 2 shown]
	s_wait_xcnt 0x0
	v_mov_b32_e32 v1, 0
	global_load_b32 v70, v1, s[16:17] offset:4
	s_wait_loadcnt 0x0
	v_cmp_eq_u32_e32 vcc_lo, 2, v70
	s_cbranch_vccnz .LBB50_418
; %bb.417:
	v_lshlrev_b32_e32 v70, 4, v70
	s_delay_alu instid0(VALU_DEP_1)
	v_mov_b32_e32 v78, v70
	s_clause 0x1
	scratch_load_b128 v[70:73], off, s47
	scratch_load_b128 v[74:77], v78, off offset:-16
	s_wait_loadcnt 0x1
	ds_store_2addr_b64 v0, v[70:71], v[72:73] offset1:1
	s_wait_loadcnt 0x0
	s_clause 0x1
	scratch_store_b128 off, v[74:77], s47
	scratch_store_b128 v78, v[70:73], off offset:-16
.LBB50_418:
	global_load_b32 v1, v1, s[16:17]
	s_wait_loadcnt 0x0
	v_cmp_eq_u32_e32 vcc_lo, 1, v1
	s_cbranch_vccnz .LBB50_420
; %bb.419:
	s_wait_xcnt 0x0
	v_lshlrev_b32_e32 v1, 4, v1
	scratch_load_b128 v[70:73], off, off
	scratch_load_b128 v[74:77], v1, off offset:-16
	s_wait_loadcnt 0x1
	ds_store_2addr_b64 v0, v[70:71], v[72:73] offset1:1
	s_wait_loadcnt 0x0
	scratch_store_b128 off, v[74:77], off
	scratch_store_b128 v1, v[70:73], off offset:-16
.LBB50_420:
	scratch_load_b128 v[70:73], off, off
	s_clause 0x13
	scratch_load_b128 v[74:77], off, s47
	scratch_load_b128 v[78:81], off, s41
	;; [unrolled: 1-line block ×15, first 2 shown]
	; meta instruction
	; meta instruction
	;; [unrolled: 1-line block ×15, first 2 shown]
	scratch_load_b128 v[168:171], off, s46
	scratch_load_b128 v[172:175], off, s48
	;; [unrolled: 1-line block ×5, first 2 shown]
	s_wait_loadcnt 0x14
	global_store_b128 v[26:27], v[70:73], off
	s_clause 0x1
	scratch_load_b128 v[70:73], off, s42
	scratch_load_b128 v[188:191], off, s44
	s_wait_loadcnt 0x15
	global_store_b128 v[24:25], v[74:77], off
	s_wait_loadcnt 0x14
	global_store_b128 v[158:159], v[78:81], off
	s_clause 0x1
	scratch_load_b128 v[24:27], off, s39
	scratch_load_b128 v[74:77], off, s40
	s_wait_loadcnt 0x15
	global_store_b128 v[156:157], v[82:85], off
	s_clause 0x1
	scratch_load_b128 v[78:81], off, s37
	scratch_load_b128 v[82:85], off, s38
	s_wait_loadcnt 0x16
	global_store_b128 v[154:155], v[86:89], off
	s_clause 0x1
	scratch_load_b128 v[86:89], off, s35
	scratch_load_b128 v[154:157], off, s36
	s_wait_loadcnt 0x17
	global_store_b128 v[150:151], v[90:93], off
	s_wait_loadcnt 0x16
	global_store_b128 v[152:153], v[94:97], off
	s_clause 0x1
	scratch_load_b128 v[90:93], off, s33
	scratch_load_b128 v[94:97], off, s34
	s_wait_loadcnt 0x17
	global_store_b128 v[148:149], v[98:101], off
	s_clause 0x1
	scratch_load_b128 v[98:101], off, s30
	scratch_load_b128 v[148:151], off, s31
	;; [unrolled: 17-line block ×5, first 2 shown]
	s_wait_loadcnt 0x1e
	global_store_b128 v[2:3], v[184:187], off
	s_wait_loadcnt 0x1d
	global_store_b128 v[6:7], v[70:73], off
	;; [unrolled: 2-line block ×31, first 2 shown]
	s_sendmsg sendmsg(MSG_DEALLOC_VGPRS)
	s_endpgm
	.section	.rodata,"a",@progbits
	.p2align	6, 0x0
	.amdhsa_kernel _ZN9rocsolver6v33100L18getri_kernel_smallILi51E19rocblas_complex_numIdEPS3_EEvT1_iilPiilS6_bb
		.amdhsa_group_segment_fixed_size 2664
		.amdhsa_private_segment_fixed_size 832
		.amdhsa_kernarg_size 60
		.amdhsa_user_sgpr_count 4
		.amdhsa_user_sgpr_dispatch_ptr 1
		.amdhsa_user_sgpr_queue_ptr 0
		.amdhsa_user_sgpr_kernarg_segment_ptr 1
		.amdhsa_user_sgpr_dispatch_id 0
		.amdhsa_user_sgpr_kernarg_preload_length 0
		.amdhsa_user_sgpr_kernarg_preload_offset 0
		.amdhsa_user_sgpr_private_segment_size 0
		.amdhsa_wavefront_size32 1
		.amdhsa_uses_dynamic_stack 0
		.amdhsa_enable_private_segment 1
		.amdhsa_system_sgpr_workgroup_id_x 1
		.amdhsa_system_sgpr_workgroup_id_y 0
		.amdhsa_system_sgpr_workgroup_id_z 0
		.amdhsa_system_sgpr_workgroup_info 0
		.amdhsa_system_vgpr_workitem_id 2
		.amdhsa_next_free_vgpr 204
		.amdhsa_next_free_sgpr 86
		.amdhsa_named_barrier_count 0
		.amdhsa_reserve_vcc 1
		.amdhsa_float_round_mode_32 0
		.amdhsa_float_round_mode_16_64 0
		.amdhsa_float_denorm_mode_32 3
		.amdhsa_float_denorm_mode_16_64 3
		.amdhsa_fp16_overflow 0
		.amdhsa_memory_ordered 1
		.amdhsa_forward_progress 1
		.amdhsa_inst_pref_size 255
		.amdhsa_round_robin_scheduling 0
		.amdhsa_exception_fp_ieee_invalid_op 0
		.amdhsa_exception_fp_denorm_src 0
		.amdhsa_exception_fp_ieee_div_zero 0
		.amdhsa_exception_fp_ieee_overflow 0
		.amdhsa_exception_fp_ieee_underflow 0
		.amdhsa_exception_fp_ieee_inexact 0
		.amdhsa_exception_int_div_zero 0
	.end_amdhsa_kernel
	.section	.text._ZN9rocsolver6v33100L18getri_kernel_smallILi51E19rocblas_complex_numIdEPS3_EEvT1_iilPiilS6_bb,"axG",@progbits,_ZN9rocsolver6v33100L18getri_kernel_smallILi51E19rocblas_complex_numIdEPS3_EEvT1_iilPiilS6_bb,comdat
.Lfunc_end50:
	.size	_ZN9rocsolver6v33100L18getri_kernel_smallILi51E19rocblas_complex_numIdEPS3_EEvT1_iilPiilS6_bb, .Lfunc_end50-_ZN9rocsolver6v33100L18getri_kernel_smallILi51E19rocblas_complex_numIdEPS3_EEvT1_iilPiilS6_bb
                                        ; -- End function
	.set _ZN9rocsolver6v33100L18getri_kernel_smallILi51E19rocblas_complex_numIdEPS3_EEvT1_iilPiilS6_bb.num_vgpr, 204
	.set _ZN9rocsolver6v33100L18getri_kernel_smallILi51E19rocblas_complex_numIdEPS3_EEvT1_iilPiilS6_bb.num_agpr, 0
	.set _ZN9rocsolver6v33100L18getri_kernel_smallILi51E19rocblas_complex_numIdEPS3_EEvT1_iilPiilS6_bb.numbered_sgpr, 86
	.set _ZN9rocsolver6v33100L18getri_kernel_smallILi51E19rocblas_complex_numIdEPS3_EEvT1_iilPiilS6_bb.num_named_barrier, 0
	.set _ZN9rocsolver6v33100L18getri_kernel_smallILi51E19rocblas_complex_numIdEPS3_EEvT1_iilPiilS6_bb.private_seg_size, 832
	.set _ZN9rocsolver6v33100L18getri_kernel_smallILi51E19rocblas_complex_numIdEPS3_EEvT1_iilPiilS6_bb.uses_vcc, 1
	.set _ZN9rocsolver6v33100L18getri_kernel_smallILi51E19rocblas_complex_numIdEPS3_EEvT1_iilPiilS6_bb.uses_flat_scratch, 1
	.set _ZN9rocsolver6v33100L18getri_kernel_smallILi51E19rocblas_complex_numIdEPS3_EEvT1_iilPiilS6_bb.has_dyn_sized_stack, 0
	.set _ZN9rocsolver6v33100L18getri_kernel_smallILi51E19rocblas_complex_numIdEPS3_EEvT1_iilPiilS6_bb.has_recursion, 0
	.set _ZN9rocsolver6v33100L18getri_kernel_smallILi51E19rocblas_complex_numIdEPS3_EEvT1_iilPiilS6_bb.has_indirect_call, 0
	.section	.AMDGPU.csdata,"",@progbits
; Kernel info:
; codeLenInByte = 98072
; TotalNumSgprs: 88
; NumVgprs: 204
; ScratchSize: 832
; MemoryBound: 0
; FloatMode: 240
; IeeeMode: 1
; LDSByteSize: 2664 bytes/workgroup (compile time only)
; SGPRBlocks: 0
; VGPRBlocks: 12
; NumSGPRsForWavesPerEU: 88
; NumVGPRsForWavesPerEU: 204
; NamedBarCnt: 0
; Occupancy: 4
; WaveLimiterHint : 1
; COMPUTE_PGM_RSRC2:SCRATCH_EN: 1
; COMPUTE_PGM_RSRC2:USER_SGPR: 4
; COMPUTE_PGM_RSRC2:TRAP_HANDLER: 0
; COMPUTE_PGM_RSRC2:TGID_X_EN: 1
; COMPUTE_PGM_RSRC2:TGID_Y_EN: 0
; COMPUTE_PGM_RSRC2:TGID_Z_EN: 0
; COMPUTE_PGM_RSRC2:TIDIG_COMP_CNT: 2
	.section	.text._ZN9rocsolver6v33100L18getri_kernel_smallILi52E19rocblas_complex_numIdEPS3_EEvT1_iilPiilS6_bb,"axG",@progbits,_ZN9rocsolver6v33100L18getri_kernel_smallILi52E19rocblas_complex_numIdEPS3_EEvT1_iilPiilS6_bb,comdat
	.globl	_ZN9rocsolver6v33100L18getri_kernel_smallILi52E19rocblas_complex_numIdEPS3_EEvT1_iilPiilS6_bb ; -- Begin function _ZN9rocsolver6v33100L18getri_kernel_smallILi52E19rocblas_complex_numIdEPS3_EEvT1_iilPiilS6_bb
	.p2align	8
	.type	_ZN9rocsolver6v33100L18getri_kernel_smallILi52E19rocblas_complex_numIdEPS3_EEvT1_iilPiilS6_bb,@function
_ZN9rocsolver6v33100L18getri_kernel_smallILi52E19rocblas_complex_numIdEPS3_EEvT1_iilPiilS6_bb: ; @_ZN9rocsolver6v33100L18getri_kernel_smallILi52E19rocblas_complex_numIdEPS3_EEvT1_iilPiilS6_bb
; %bb.0:
	v_and_b32_e32 v1, 0x3ff, v0
	s_mov_b32 s4, exec_lo
	s_delay_alu instid0(VALU_DEP_1)
	v_cmpx_gt_u32_e32 52, v1
	s_cbranch_execz .LBB51_222
; %bb.1:
	s_clause 0x2
	s_load_b32 s8, s[2:3], 0x38
	s_load_b128 s[12:15], s[2:3], 0x10
	s_load_b128 s[4:7], s[2:3], 0x28
	s_getreg_b32 s11, hwreg(HW_REG_IB_STS2, 6, 4)
                                        ; implicit-def: $sgpr16_sgpr17
	s_wait_kmcnt 0x0
	s_bitcmp1_b32 s8, 8
	s_cselect_b32 s64, -1, 0
	s_bfe_u32 s9, ttmp6, 0x4000c
	s_and_b32 s10, ttmp6, 15
	s_add_co_i32 s9, s9, 1
	s_delay_alu instid0(SALU_CYCLE_1) | instskip(NEXT) | instid1(SALU_CYCLE_1)
	s_mul_i32 s9, ttmp9, s9
	s_add_co_i32 s10, s10, s9
	s_cmp_eq_u32 s11, 0
	s_cselect_b32 s18, ttmp9, s10
	s_bfe_u32 s8, s8, 0x10008
	s_ashr_i32 s19, s18, 31
	s_cmp_eq_u32 s8, 0
	s_cbranch_scc1 .LBB51_3
; %bb.2:
	s_load_b32 s8, s[2:3], 0x20
	s_mul_u64 s[4:5], s[4:5], s[18:19]
	s_delay_alu instid0(SALU_CYCLE_1) | instskip(NEXT) | instid1(SALU_CYCLE_1)
	s_lshl_b64 s[4:5], s[4:5], 2
	s_add_nc_u64 s[4:5], s[14:15], s[4:5]
	s_wait_kmcnt 0x0
	s_ashr_i32 s9, s8, 31
	s_delay_alu instid0(SALU_CYCLE_1) | instskip(NEXT) | instid1(SALU_CYCLE_1)
	s_lshl_b64 s[8:9], s[8:9], 2
	s_add_nc_u64 s[16:17], s[4:5], s[8:9]
.LBB51_3:
	s_clause 0x1
	s_load_b128 s[8:11], s[2:3], 0x0
	s_load_b32 s65, s[2:3], 0x38
	s_wait_xcnt 0x0
	s_mul_u64 s[2:3], s[12:13], s[18:19]
	s_movk_i32 s66, 0x1f0
	s_lshl_b64 s[2:3], s[2:3], 4
	s_movk_i32 s67, 0x200
	s_movk_i32 s68, 0x210
	;; [unrolled: 1-line block ×15, first 2 shown]
	s_wait_kmcnt 0x0
	v_add3_u32 v20, s11, s11, v1
	s_ashr_i32 s5, s10, 31
	s_mov_b32 s4, s10
	s_add_nc_u64 s[2:3], s[8:9], s[2:3]
	s_lshl_b64 s[4:5], s[4:5], 4
	v_dual_add_nc_u32 v22, s11, v20 :: v_dual_lshlrev_b32 v14, 4, v1
	s_add_nc_u64 s[4:5], s[2:3], s[4:5]
	s_ashr_i32 s3, s11, 31
	s_mov_b32 s2, s11
	s_delay_alu instid0(VALU_DEP_1)
	v_dual_mov_b32 v15, 0 :: v_dual_add_nc_u32 v24, s11, v22
	s_clause 0x1
	global_load_b128 v[2:5], v20, s[4:5] scale_offset
	global_load_b128 v[6:9], v22, s[4:5] scale_offset
	s_movk_i32 s82, 0x2f0
	v_add_nc_u32_e32 v26, s11, v24
	v_add_nc_u64_e32 v[16:17], s[4:5], v[14:15]
	s_movk_i32 s83, 0x300
	s_movk_i32 s84, 0x310
	;; [unrolled: 1-line block ×3, first 2 shown]
	v_add_nc_u32_e32 v28, s11, v26
	s_movk_i32 s86, 0x330
	s_mov_b32 s37, 16
	v_lshl_add_u64 v[18:19], s[2:3], 4, v[16:17]
	s_mov_b32 s33, 32
	v_add_nc_u32_e32 v30, s11, v28
	s_clause 0x1
	global_load_b128 v[10:13], v1, s[4:5] scale_offset
	global_load_b128 v[110:113], v[18:19], off
	s_mov_b32 s34, 48
	s_mov_b32 s35, 64
	v_add_nc_u32_e32 v32, s11, v30
	s_clause 0x1
	global_load_b128 v[114:117], v24, s[4:5] scale_offset
	global_load_b128 v[118:121], v26, s[4:5] scale_offset
	s_movk_i32 s55, 0x50
	s_movk_i32 s57, 0x60
	;; [unrolled: 1-line block ×3, first 2 shown]
	v_add_nc_u32_e32 v34, s11, v32
	s_movk_i32 s53, 0x80
	s_movk_i32 s54, 0x90
	;; [unrolled: 1-line block ×4, first 2 shown]
	v_add_nc_u32_e32 v36, s11, v34
	s_clause 0x2
	global_load_b128 v[122:125], v28, s[4:5] scale_offset
	global_load_b128 v[126:129], v30, s[4:5] scale_offset
	global_load_b128 v[130:133], v32, s[4:5] scale_offset
	s_movk_i32 s61, 0xc0
	s_movk_i32 s62, 0xd0
	s_clause 0x1
	global_load_b128 v[134:137], v34, s[4:5] scale_offset
	global_load_b128 v[138:141], v36, s[4:5] scale_offset
	v_add_nc_u32_e32 v38, s11, v36
	s_movk_i32 s63, 0xe0
	s_movk_i32 s58, 0xf0
	s_movk_i32 s38, 0x100
	s_movk_i32 s40, 0x110
	v_add_nc_u32_e32 v40, s11, v38
	s_movk_i32 s43, 0x120
	s_movk_i32 s46, 0x130
	s_movk_i32 s48, 0x140
	s_movk_i32 s39, 0x150
	;; [unrolled: 5-line block ×4, first 2 shown]
	v_add_nc_u32_e32 v46, s11, v44
	s_clause 0x1
	global_load_b128 v[142:145], v38, s[4:5] scale_offset
	global_load_b128 v[146:149], v40, s[4:5] scale_offset
	s_movk_i32 s51, 0x1e0
	s_mov_b32 s21, s66
	s_mov_b32 s24, s67
	v_add_nc_u32_e32 v48, s11, v46
	s_clause 0x2
	global_load_b128 v[150:153], v42, s[4:5] scale_offset
	global_load_b128 v[154:157], v44, s[4:5] scale_offset
	;; [unrolled: 1-line block ×3, first 2 shown]
	s_mov_b32 s25, s68
	s_mov_b32 s23, s69
	v_add_nc_u32_e32 v50, s11, v48
	s_mov_b32 s20, s70
	s_mov_b32 s22, s71
	s_mov_b32 s14, s72
	s_mov_b32 s15, s73
	v_add_nc_u32_e32 v52, s11, v50
	s_mov_b32 s12, s74
	s_mov_b32 s13, s75
	;; [unrolled: 5-line block ×3, first 2 shown]
	s_mov_b32 s31, s81
	s_mov_b32 s28, s82
	v_add_nc_u32_e32 v56, s11, v54
	s_clause 0x1
	global_load_b128 v[162:165], v48, s[4:5] scale_offset
	global_load_b128 v[166:169], v50, s[4:5] scale_offset
	s_mov_b32 s29, s83
	s_mov_b32 s26, s84
	;; [unrolled: 1-line block ×3, first 2 shown]
	v_add_nc_u32_e32 v58, s11, v56
	s_mov_b32 s36, s86
	s_bitcmp0_b32 s65, 0
	s_mov_b32 s3, -1
	s_delay_alu instid0(VALU_DEP_1)
	v_add_nc_u32_e32 v60, s11, v58
	s_clause 0x3
	global_load_b128 v[170:173], v52, s[4:5] scale_offset
	global_load_b128 v[174:177], v54, s[4:5] scale_offset
	;; [unrolled: 1-line block ×4, first 2 shown]
	v_add_nc_u32_e32 v62, s11, v60
	s_delay_alu instid0(VALU_DEP_1) | instskip(NEXT) | instid1(VALU_DEP_1)
	v_add_nc_u32_e32 v64, s11, v62
	v_add_nc_u32_e32 v66, s11, v64
	s_delay_alu instid0(VALU_DEP_1) | instskip(NEXT) | instid1(VALU_DEP_1)
	v_add_nc_u32_e32 v68, s11, v66
	v_add_nc_u32_e32 v70, s11, v68
	s_delay_alu instid0(VALU_DEP_1)
	v_add_nc_u32_e32 v72, s11, v70
	s_clause 0x3
	global_load_b128 v[186:189], v60, s[4:5] scale_offset
	global_load_b128 v[190:193], v62, s[4:5] scale_offset
	;; [unrolled: 1-line block ×4, first 2 shown]
	v_add_nc_u32_e32 v74, s11, v72
	s_delay_alu instid0(VALU_DEP_1) | instskip(NEXT) | instid1(VALU_DEP_1)
	v_add_nc_u32_e32 v76, s11, v74
	v_add_nc_u32_e32 v78, s11, v76
	s_delay_alu instid0(VALU_DEP_1)
	v_add_nc_u32_e32 v80, s11, v78
	s_clause 0x3
	global_load_b128 v[202:205], v68, s[4:5] scale_offset
	global_load_b128 v[206:209], v70, s[4:5] scale_offset
	;; [unrolled: 1-line block ×4, first 2 shown]
	v_add_nc_u32_e32 v82, s11, v80
	s_delay_alu instid0(VALU_DEP_1)
	v_add_nc_u32_e32 v84, s11, v82
	s_clause 0x3
	global_load_b128 v[218:221], v76, s[4:5] scale_offset
	global_load_b128 v[222:225], v78, s[4:5] scale_offset
	global_load_b128 v[226:229], v80, s[4:5] scale_offset
	global_load_b128 v[230:233], v82, s[4:5] scale_offset
	v_add_nc_u32_e32 v86, s11, v84
	s_delay_alu instid0(VALU_DEP_1) | instskip(NEXT) | instid1(VALU_DEP_1)
	v_add_nc_u32_e32 v88, s11, v86
	v_add_nc_u32_e32 v90, s11, v88
	s_delay_alu instid0(VALU_DEP_1) | instskip(NEXT) | instid1(VALU_DEP_1)
	v_add_nc_u32_e32 v92, s11, v90
	v_add_nc_u32_e32 v94, s11, v92
	s_delay_alu instid0(VALU_DEP_1)
	v_add_nc_u32_e32 v96, s11, v94
	s_clause 0x3
	global_load_b128 v[234:237], v84, s[4:5] scale_offset
	global_load_b128 v[238:241], v86, s[4:5] scale_offset
	;; [unrolled: 1-line block ×4, first 2 shown]
	v_add_nc_u32_e32 v98, s11, v96
	s_delay_alu instid0(VALU_DEP_1) | instskip(NEXT) | instid1(VALU_DEP_1)
	v_add_nc_u32_e32 v100, s11, v98
	v_add_nc_u32_e32 v102, s11, v100
	s_delay_alu instid0(VALU_DEP_1) | instskip(NEXT) | instid1(VALU_DEP_1)
	v_add_nc_u32_e32 v104, s11, v102
	v_add_nc_u32_e32 v106, s11, v104
	s_delay_alu instid0(VALU_DEP_1)
	v_add_nc_u32_e32 v108, s11, v106
	s_wait_loadcnt 0x25
	scratch_store_b128 off, v[2:5], off offset:32
	s_clause 0x1
	global_load_b128 v[2:5], v92, s[4:5] scale_offset
	global_load_b128 v[250:253], v94, s[4:5] scale_offset
	s_wait_loadcnt 0x26
	scratch_store_b128 off, v[6:9], off offset:48
	s_wait_loadcnt 0x25
	scratch_store_b128 off, v[10:13], off
	s_wait_loadcnt 0x24
	scratch_store_b128 off, v[110:113], off offset:16
	s_wait_xcnt 0x0
	v_add_nc_u32_e32 v110, s11, v108
	s_clause 0x1
	global_load_b128 v[6:9], v96, s[4:5] scale_offset
	global_load_b128 v[10:13], v98, s[4:5] scale_offset
	s_wait_loadcnt 0x25
	scratch_store_b128 off, v[114:117], off offset:64
	s_wait_loadcnt 0x24
	scratch_store_b128 off, v[118:121], off offset:80
	s_clause 0x2
	global_load_b128 v[254:257], v100, s[4:5] scale_offset
	s_set_vgpr_msb 64                       ;  msbs: dst=1 src0=0 src1=0 src2=0
	global_load_b128 v[2:5] /*v[258:261]*/, v102, s[4:5] scale_offset
	s_set_vgpr_msb 0                        ;  msbs: dst=0 src0=0 src1=0 src2=0
	v_add_nc_u32_e32 v112, s11, v110
	s_wait_xcnt 0x3
	s_delay_alu instid0(VALU_DEP_1)
	v_add_nc_u32_e32 v114, s11, v112
	s_wait_loadcnt 0x25
	scratch_store_b128 off, v[122:125], off offset:96
	s_wait_loadcnt 0x24
	scratch_store_b128 off, v[126:129], off offset:112
	;; [unrolled: 2-line block ×3, first 2 shown]
	s_clause 0x1
	global_load_b128 v[120:123], v104, s[4:5] scale_offset
	global_load_b128 v[124:127], v106, s[4:5] scale_offset
	v_add_nc_u32_e32 v116, s11, v114
	s_wait_loadcnt 0x24
	scratch_store_b128 off, v[134:137], off offset:144
	s_wait_loadcnt 0x23
	scratch_store_b128 off, v[138:141], off offset:160
	s_clause 0x1
	global_load_b128 v[128:131], v108, s[4:5] scale_offset
	global_load_b128 v[132:135], v110, s[4:5] scale_offset
	s_wait_loadcnt 0x24
	scratch_store_b128 off, v[142:145], off offset:176
	s_wait_loadcnt 0x23
	scratch_store_b128 off, v[146:149], off offset:192
	v_add_nc_u32_e32 v118, s11, v116
	s_clause 0x1
	global_load_b128 v[136:139], v112, s[4:5] scale_offset
	global_load_b128 v[140:143], v114, s[4:5] scale_offset
	s_mov_b32 s11, s77
	s_wait_loadcnt 0x24
	scratch_store_b128 off, v[150:153], off offset:208
	s_wait_loadcnt 0x23
	scratch_store_b128 off, v[154:157], off offset:224
	;; [unrolled: 2-line block ×3, first 2 shown]
	s_clause 0x1
	global_load_b128 v[144:147], v116, s[4:5] scale_offset
	global_load_b128 v[148:151], v118, s[4:5] scale_offset
	s_wait_loadcnt 0x23
	scratch_store_b128 off, v[162:165], off offset:256
	s_wait_loadcnt 0x22
	scratch_store_b128 off, v[166:169], off offset:272
	;; [unrolled: 2-line block ×27, first 2 shown]
	s_wait_loadcnt 0x8
	s_set_vgpr_msb 4                        ;  msbs: dst=0 src0=0 src1=1 src2=0
	scratch_store_b128 off, v[2:5] /*v[258:261]*/, off offset:688
	s_wait_loadcnt 0x7
	s_set_vgpr_msb 0                        ;  msbs: dst=0 src0=0 src1=0 src2=0
	scratch_store_b128 off, v[120:123], off offset:704
	s_wait_loadcnt 0x6
	scratch_store_b128 off, v[124:127], off offset:720
	s_wait_loadcnt 0x5
	;; [unrolled: 2-line block ×7, first 2 shown]
	scratch_store_b128 off, v[148:151], off offset:816
	s_cbranch_scc1 .LBB51_220
; %bb.4:
	v_cmp_eq_u32_e64 s2, 0, v1
	s_wait_xcnt 0x0
	s_and_saveexec_b32 s3, s2
; %bb.5:
	v_mov_b32_e32 v2, 0
	ds_store_b32 v2, v2 offset:1664
; %bb.6:
	s_or_b32 exec_lo, exec_lo, s3
	s_wait_storecnt_dscnt 0x0
	s_barrier_signal -1
	s_barrier_wait -1
	scratch_load_b128 v[2:5], v1, off scale_offset
	s_wait_loadcnt 0x0
	v_cmp_eq_f64_e32 vcc_lo, 0, v[2:3]
	v_cmp_eq_f64_e64 s3, 0, v[4:5]
	s_and_b32 s3, vcc_lo, s3
	s_delay_alu instid0(SALU_CYCLE_1)
	s_and_saveexec_b32 s65, s3
	s_cbranch_execz .LBB51_10
; %bb.7:
	v_mov_b32_e32 v2, 0
	s_mov_b32 s66, 0
	ds_load_b32 v3, v2 offset:1664
	s_wait_dscnt 0x0
	v_readfirstlane_b32 s3, v3
	v_add_nc_u32_e32 v3, 1, v1
	s_cmp_eq_u32 s3, 0
	s_delay_alu instid0(VALU_DEP_1) | instskip(SKIP_1) | instid1(SALU_CYCLE_1)
	v_cmp_gt_i32_e32 vcc_lo, s3, v3
	s_cselect_b32 s67, -1, 0
	s_or_b32 s67, s67, vcc_lo
	s_delay_alu instid0(SALU_CYCLE_1)
	s_and_b32 exec_lo, exec_lo, s67
	s_cbranch_execz .LBB51_10
; %bb.8:
	v_mov_b32_e32 v4, s3
.LBB51_9:                               ; =>This Inner Loop Header: Depth=1
	ds_cmpstore_rtn_b32 v4, v2, v3, v4 offset:1664
	s_wait_dscnt 0x0
	v_cmp_ne_u32_e32 vcc_lo, 0, v4
	v_cmp_le_i32_e64 s3, v4, v3
	s_and_b32 s3, vcc_lo, s3
	s_delay_alu instid0(SALU_CYCLE_1) | instskip(NEXT) | instid1(SALU_CYCLE_1)
	s_and_b32 s3, exec_lo, s3
	s_or_b32 s66, s3, s66
	s_delay_alu instid0(SALU_CYCLE_1)
	s_and_not1_b32 exec_lo, exec_lo, s66
	s_cbranch_execnz .LBB51_9
.LBB51_10:
	s_or_b32 exec_lo, exec_lo, s65
	v_mov_b32_e32 v2, 0
	s_barrier_signal -1
	s_barrier_wait -1
	ds_load_b32 v3, v2 offset:1664
	s_and_saveexec_b32 s3, s2
	s_cbranch_execz .LBB51_12
; %bb.11:
	s_lshl_b64 s[66:67], s[18:19], 2
	s_delay_alu instid0(SALU_CYCLE_1)
	s_add_nc_u64 s[66:67], s[6:7], s[66:67]
	s_wait_dscnt 0x0
	global_store_b32 v2, v3, s[66:67]
.LBB51_12:
	s_wait_xcnt 0x0
	s_or_b32 exec_lo, exec_lo, s3
	s_wait_dscnt 0x0
	v_cmp_ne_u32_e32 vcc_lo, 0, v3
	s_mov_b32 s3, 0
	s_cbranch_vccnz .LBB51_220
; %bb.13:
	v_lshl_add_u32 v15, v1, 4, 0
                                        ; implicit-def: $vgpr6_vgpr7
                                        ; implicit-def: $vgpr10_vgpr11
	scratch_load_b128 v[2:5], v15, off
	s_wait_loadcnt 0x0
	v_cmp_ngt_f64_e64 s3, |v[2:3]|, |v[4:5]|
	s_wait_xcnt 0x0
	s_and_saveexec_b32 s65, s3
	s_delay_alu instid0(SALU_CYCLE_1)
	s_xor_b32 s3, exec_lo, s65
	s_cbranch_execz .LBB51_15
; %bb.14:
	v_div_scale_f64 v[6:7], null, v[4:5], v[4:5], v[2:3]
	v_div_scale_f64 v[12:13], vcc_lo, v[2:3], v[4:5], v[2:3]
	s_delay_alu instid0(VALU_DEP_2) | instskip(SKIP_1) | instid1(TRANS32_DEP_1)
	v_rcp_f64_e32 v[8:9], v[6:7]
	v_nop
	v_fma_f64 v[10:11], -v[6:7], v[8:9], 1.0
	s_delay_alu instid0(VALU_DEP_1) | instskip(NEXT) | instid1(VALU_DEP_1)
	v_fmac_f64_e32 v[8:9], v[8:9], v[10:11]
	v_fma_f64 v[10:11], -v[6:7], v[8:9], 1.0
	s_delay_alu instid0(VALU_DEP_1) | instskip(NEXT) | instid1(VALU_DEP_1)
	v_fmac_f64_e32 v[8:9], v[8:9], v[10:11]
	v_mul_f64_e32 v[10:11], v[12:13], v[8:9]
	s_delay_alu instid0(VALU_DEP_1) | instskip(NEXT) | instid1(VALU_DEP_1)
	v_fma_f64 v[6:7], -v[6:7], v[10:11], v[12:13]
	v_div_fmas_f64 v[6:7], v[6:7], v[8:9], v[10:11]
	s_delay_alu instid0(VALU_DEP_1) | instskip(NEXT) | instid1(VALU_DEP_1)
	v_div_fixup_f64 v[6:7], v[6:7], v[4:5], v[2:3]
	v_fmac_f64_e32 v[4:5], v[2:3], v[6:7]
	s_delay_alu instid0(VALU_DEP_1) | instskip(SKIP_1) | instid1(VALU_DEP_2)
	v_div_scale_f64 v[2:3], null, v[4:5], v[4:5], 1.0
	v_div_scale_f64 v[12:13], vcc_lo, 1.0, v[4:5], 1.0
	v_rcp_f64_e32 v[8:9], v[2:3]
	v_nop
	s_delay_alu instid0(TRANS32_DEP_1) | instskip(NEXT) | instid1(VALU_DEP_1)
	v_fma_f64 v[10:11], -v[2:3], v[8:9], 1.0
	v_fmac_f64_e32 v[8:9], v[8:9], v[10:11]
	s_delay_alu instid0(VALU_DEP_1) | instskip(NEXT) | instid1(VALU_DEP_1)
	v_fma_f64 v[10:11], -v[2:3], v[8:9], 1.0
	v_fmac_f64_e32 v[8:9], v[8:9], v[10:11]
	s_delay_alu instid0(VALU_DEP_1) | instskip(NEXT) | instid1(VALU_DEP_1)
	v_mul_f64_e32 v[10:11], v[12:13], v[8:9]
	v_fma_f64 v[2:3], -v[2:3], v[10:11], v[12:13]
	s_delay_alu instid0(VALU_DEP_1) | instskip(NEXT) | instid1(VALU_DEP_1)
	v_div_fmas_f64 v[2:3], v[2:3], v[8:9], v[10:11]
	v_div_fixup_f64 v[8:9], v[2:3], v[4:5], 1.0
                                        ; implicit-def: $vgpr2_vgpr3
	s_delay_alu instid0(VALU_DEP_1) | instskip(SKIP_1) | instid1(VALU_DEP_2)
	v_mul_f64_e32 v[6:7], v[6:7], v[8:9]
	v_xor_b32_e32 v9, 0x80000000, v9
	v_xor_b32_e32 v11, 0x80000000, v7
	s_delay_alu instid0(VALU_DEP_3)
	v_mov_b32_e32 v10, v6
.LBB51_15:
	s_and_not1_saveexec_b32 s3, s3
	s_cbranch_execz .LBB51_17
; %bb.16:
	v_div_scale_f64 v[6:7], null, v[2:3], v[2:3], v[4:5]
	v_div_scale_f64 v[12:13], vcc_lo, v[4:5], v[2:3], v[4:5]
	s_delay_alu instid0(VALU_DEP_2) | instskip(SKIP_1) | instid1(TRANS32_DEP_1)
	v_rcp_f64_e32 v[8:9], v[6:7]
	v_nop
	v_fma_f64 v[10:11], -v[6:7], v[8:9], 1.0
	s_delay_alu instid0(VALU_DEP_1) | instskip(NEXT) | instid1(VALU_DEP_1)
	v_fmac_f64_e32 v[8:9], v[8:9], v[10:11]
	v_fma_f64 v[10:11], -v[6:7], v[8:9], 1.0
	s_delay_alu instid0(VALU_DEP_1) | instskip(NEXT) | instid1(VALU_DEP_1)
	v_fmac_f64_e32 v[8:9], v[8:9], v[10:11]
	v_mul_f64_e32 v[10:11], v[12:13], v[8:9]
	s_delay_alu instid0(VALU_DEP_1) | instskip(NEXT) | instid1(VALU_DEP_1)
	v_fma_f64 v[6:7], -v[6:7], v[10:11], v[12:13]
	v_div_fmas_f64 v[6:7], v[6:7], v[8:9], v[10:11]
	s_delay_alu instid0(VALU_DEP_1) | instskip(NEXT) | instid1(VALU_DEP_1)
	v_div_fixup_f64 v[8:9], v[6:7], v[2:3], v[4:5]
	v_fmac_f64_e32 v[2:3], v[4:5], v[8:9]
	s_delay_alu instid0(VALU_DEP_1) | instskip(NEXT) | instid1(VALU_DEP_1)
	v_div_scale_f64 v[4:5], null, v[2:3], v[2:3], 1.0
	v_rcp_f64_e32 v[6:7], v[4:5]
	v_nop
	s_delay_alu instid0(TRANS32_DEP_1) | instskip(NEXT) | instid1(VALU_DEP_1)
	v_fma_f64 v[10:11], -v[4:5], v[6:7], 1.0
	v_fmac_f64_e32 v[6:7], v[6:7], v[10:11]
	s_delay_alu instid0(VALU_DEP_1) | instskip(NEXT) | instid1(VALU_DEP_1)
	v_fma_f64 v[10:11], -v[4:5], v[6:7], 1.0
	v_fmac_f64_e32 v[6:7], v[6:7], v[10:11]
	v_div_scale_f64 v[10:11], vcc_lo, 1.0, v[2:3], 1.0
	s_delay_alu instid0(VALU_DEP_1) | instskip(NEXT) | instid1(VALU_DEP_1)
	v_mul_f64_e32 v[12:13], v[10:11], v[6:7]
	v_fma_f64 v[4:5], -v[4:5], v[12:13], v[10:11]
	s_delay_alu instid0(VALU_DEP_1) | instskip(NEXT) | instid1(VALU_DEP_1)
	v_div_fmas_f64 v[4:5], v[4:5], v[6:7], v[12:13]
	v_div_fixup_f64 v[6:7], v[4:5], v[2:3], 1.0
	s_delay_alu instid0(VALU_DEP_1)
	v_mul_f64_e64 v[8:9], v[8:9], -v[6:7]
	v_xor_b32_e32 v11, 0x80000000, v7
	v_mov_b32_e32 v10, v6
.LBB51_17:
	s_or_b32 exec_lo, exec_lo, s3
	s_clause 0x1
	scratch_store_b128 v15, v[6:9], off
	scratch_load_b128 v[2:5], off, s37
	v_xor_b32_e32 v13, 0x80000000, v9
	v_mov_b32_e32 v12, v8
	s_wait_xcnt 0x1
	v_add_nc_u32_e32 v6, 0x340, v14
	ds_store_b128 v14, v[10:13]
	s_wait_loadcnt 0x0
	ds_store_b128 v14, v[2:5] offset:832
	s_wait_storecnt_dscnt 0x0
	s_barrier_signal -1
	s_barrier_wait -1
	s_wait_xcnt 0x0
	s_and_saveexec_b32 s3, s2
	s_cbranch_execz .LBB51_19
; %bb.18:
	scratch_load_b128 v[2:5], v15, off
	ds_load_b128 v[8:11], v6
	v_mov_b32_e32 v7, 0
	ds_load_b128 v[120:123], v7 offset:16
	s_wait_loadcnt_dscnt 0x1
	v_mul_f64_e32 v[12:13], v[8:9], v[4:5]
	v_mul_f64_e32 v[4:5], v[10:11], v[4:5]
	s_delay_alu instid0(VALU_DEP_2) | instskip(NEXT) | instid1(VALU_DEP_2)
	v_fmac_f64_e32 v[12:13], v[10:11], v[2:3]
	v_fma_f64 v[2:3], v[8:9], v[2:3], -v[4:5]
	s_delay_alu instid0(VALU_DEP_2) | instskip(NEXT) | instid1(VALU_DEP_2)
	v_add_f64_e32 v[8:9], 0, v[12:13]
	v_add_f64_e32 v[2:3], 0, v[2:3]
	s_wait_dscnt 0x0
	s_delay_alu instid0(VALU_DEP_2) | instskip(NEXT) | instid1(VALU_DEP_2)
	v_mul_f64_e32 v[10:11], v[8:9], v[122:123]
	v_mul_f64_e32 v[4:5], v[2:3], v[122:123]
	s_delay_alu instid0(VALU_DEP_2) | instskip(NEXT) | instid1(VALU_DEP_2)
	v_fma_f64 v[2:3], v[2:3], v[120:121], -v[10:11]
	v_fmac_f64_e32 v[4:5], v[8:9], v[120:121]
	scratch_store_b128 off, v[2:5], off offset:16
.LBB51_19:
	s_wait_xcnt 0x0
	s_or_b32 exec_lo, exec_lo, s3
	s_wait_storecnt 0x0
	s_barrier_signal -1
	s_barrier_wait -1
	scratch_load_b128 v[2:5], off, s33
	s_mov_b32 s3, exec_lo
	s_wait_loadcnt 0x0
	ds_store_b128 v6, v[2:5]
	s_wait_dscnt 0x0
	s_barrier_signal -1
	s_barrier_wait -1
	v_cmpx_gt_u32_e32 2, v1
	s_cbranch_execz .LBB51_23
; %bb.20:
	scratch_load_b128 v[2:5], v15, off
	ds_load_b128 v[8:11], v6
	s_wait_loadcnt_dscnt 0x0
	v_mul_f64_e32 v[12:13], v[10:11], v[4:5]
	v_mul_f64_e32 v[120:121], v[8:9], v[4:5]
	s_delay_alu instid0(VALU_DEP_2) | instskip(NEXT) | instid1(VALU_DEP_2)
	v_fma_f64 v[4:5], v[8:9], v[2:3], -v[12:13]
	v_fmac_f64_e32 v[120:121], v[10:11], v[2:3]
	s_delay_alu instid0(VALU_DEP_2) | instskip(NEXT) | instid1(VALU_DEP_2)
	v_add_f64_e32 v[4:5], 0, v[4:5]
	v_add_f64_e32 v[2:3], 0, v[120:121]
	s_and_saveexec_b32 s65, s2
	s_cbranch_execz .LBB51_22
; %bb.21:
	scratch_load_b128 v[8:11], off, off offset:16
	v_mov_b32_e32 v7, 0
	ds_load_b128 v[120:123], v7 offset:848
	s_wait_loadcnt_dscnt 0x0
	v_mul_f64_e32 v[12:13], v[120:121], v[10:11]
	v_mul_f64_e32 v[10:11], v[122:123], v[10:11]
	s_delay_alu instid0(VALU_DEP_2) | instskip(NEXT) | instid1(VALU_DEP_2)
	v_fmac_f64_e32 v[12:13], v[122:123], v[8:9]
	v_fma_f64 v[8:9], v[120:121], v[8:9], -v[10:11]
	s_delay_alu instid0(VALU_DEP_2) | instskip(NEXT) | instid1(VALU_DEP_2)
	v_add_f64_e32 v[2:3], v[2:3], v[12:13]
	v_add_f64_e32 v[4:5], v[4:5], v[8:9]
.LBB51_22:
	s_or_b32 exec_lo, exec_lo, s65
	v_mov_b32_e32 v7, 0
	ds_load_b128 v[8:11], v7 offset:32
	s_wait_dscnt 0x0
	v_mul_f64_e32 v[120:121], v[2:3], v[10:11]
	v_mul_f64_e32 v[12:13], v[4:5], v[10:11]
	s_delay_alu instid0(VALU_DEP_2) | instskip(NEXT) | instid1(VALU_DEP_2)
	v_fma_f64 v[10:11], v[4:5], v[8:9], -v[120:121]
	v_fmac_f64_e32 v[12:13], v[2:3], v[8:9]
	scratch_store_b128 off, v[10:13], off offset:32
.LBB51_23:
	s_wait_xcnt 0x0
	s_or_b32 exec_lo, exec_lo, s3
	s_wait_storecnt 0x0
	s_barrier_signal -1
	s_barrier_wait -1
	scratch_load_b128 v[2:5], off, s34
	v_add_nc_u32_e32 v7, -1, v1
	s_mov_b32 s2, exec_lo
	s_wait_loadcnt 0x0
	ds_store_b128 v6, v[2:5]
	s_wait_dscnt 0x0
	s_barrier_signal -1
	s_barrier_wait -1
	v_cmpx_gt_u32_e32 3, v1
	s_cbranch_execz .LBB51_27
; %bb.24:
	v_dual_mov_b32 v10, v14 :: v_dual_add_nc_u32 v8, -1, v1
	v_mov_b64_e32 v[2:3], 0
	v_mov_b64_e32 v[4:5], 0
	v_add_nc_u32_e32 v9, 0x340, v14
	s_delay_alu instid0(VALU_DEP_4)
	v_or_b32_e32 v10, 8, v10
	s_mov_b32 s3, 0
.LBB51_25:                              ; =>This Inner Loop Header: Depth=1
	scratch_load_b128 v[120:123], v10, off offset:-8
	ds_load_b128 v[124:127], v9
	v_dual_add_nc_u32 v8, 1, v8 :: v_dual_add_nc_u32 v9, 16, v9
	s_wait_xcnt 0x0
	v_add_nc_u32_e32 v10, 16, v10
	s_delay_alu instid0(VALU_DEP_2) | instskip(SKIP_4) | instid1(VALU_DEP_2)
	v_cmp_lt_u32_e32 vcc_lo, 1, v8
	s_or_b32 s3, vcc_lo, s3
	s_wait_loadcnt_dscnt 0x0
	v_mul_f64_e32 v[12:13], v[126:127], v[122:123]
	v_mul_f64_e32 v[122:123], v[124:125], v[122:123]
	v_fma_f64 v[12:13], v[124:125], v[120:121], -v[12:13]
	s_delay_alu instid0(VALU_DEP_2) | instskip(NEXT) | instid1(VALU_DEP_2)
	v_fmac_f64_e32 v[122:123], v[126:127], v[120:121]
	v_add_f64_e32 v[4:5], v[4:5], v[12:13]
	s_delay_alu instid0(VALU_DEP_2)
	v_add_f64_e32 v[2:3], v[2:3], v[122:123]
	s_and_not1_b32 exec_lo, exec_lo, s3
	s_cbranch_execnz .LBB51_25
; %bb.26:
	s_or_b32 exec_lo, exec_lo, s3
	v_mov_b32_e32 v8, 0
	ds_load_b128 v[8:11], v8 offset:48
	s_wait_dscnt 0x0
	v_mul_f64_e32 v[120:121], v[2:3], v[10:11]
	v_mul_f64_e32 v[12:13], v[4:5], v[10:11]
	s_delay_alu instid0(VALU_DEP_2) | instskip(NEXT) | instid1(VALU_DEP_2)
	v_fma_f64 v[10:11], v[4:5], v[8:9], -v[120:121]
	v_fmac_f64_e32 v[12:13], v[2:3], v[8:9]
	scratch_store_b128 off, v[10:13], off offset:48
.LBB51_27:
	s_wait_xcnt 0x0
	s_or_b32 exec_lo, exec_lo, s2
	s_wait_storecnt 0x0
	s_barrier_signal -1
	s_barrier_wait -1
	scratch_load_b128 v[2:5], off, s35
	s_mov_b32 s2, exec_lo
	s_wait_loadcnt 0x0
	ds_store_b128 v6, v[2:5]
	s_wait_dscnt 0x0
	s_barrier_signal -1
	s_barrier_wait -1
	v_cmpx_gt_u32_e32 4, v1
	s_cbranch_execz .LBB51_31
; %bb.28:
	v_dual_mov_b32 v10, v14 :: v_dual_add_nc_u32 v8, -1, v1
	v_mov_b64_e32 v[2:3], 0
	v_mov_b64_e32 v[4:5], 0
	v_add_nc_u32_e32 v9, 0x340, v14
	s_delay_alu instid0(VALU_DEP_4)
	v_or_b32_e32 v10, 8, v10
	s_mov_b32 s3, 0
.LBB51_29:                              ; =>This Inner Loop Header: Depth=1
	scratch_load_b128 v[120:123], v10, off offset:-8
	ds_load_b128 v[124:127], v9
	v_dual_add_nc_u32 v8, 1, v8 :: v_dual_add_nc_u32 v9, 16, v9
	s_wait_xcnt 0x0
	v_add_nc_u32_e32 v10, 16, v10
	s_delay_alu instid0(VALU_DEP_2) | instskip(SKIP_4) | instid1(VALU_DEP_2)
	v_cmp_lt_u32_e32 vcc_lo, 2, v8
	s_or_b32 s3, vcc_lo, s3
	s_wait_loadcnt_dscnt 0x0
	v_mul_f64_e32 v[12:13], v[126:127], v[122:123]
	v_mul_f64_e32 v[122:123], v[124:125], v[122:123]
	v_fma_f64 v[12:13], v[124:125], v[120:121], -v[12:13]
	s_delay_alu instid0(VALU_DEP_2) | instskip(NEXT) | instid1(VALU_DEP_2)
	v_fmac_f64_e32 v[122:123], v[126:127], v[120:121]
	v_add_f64_e32 v[4:5], v[4:5], v[12:13]
	s_delay_alu instid0(VALU_DEP_2)
	v_add_f64_e32 v[2:3], v[2:3], v[122:123]
	s_and_not1_b32 exec_lo, exec_lo, s3
	s_cbranch_execnz .LBB51_29
; %bb.30:
	s_or_b32 exec_lo, exec_lo, s3
	v_mov_b32_e32 v8, 0
	ds_load_b128 v[8:11], v8 offset:64
	s_wait_dscnt 0x0
	v_mul_f64_e32 v[120:121], v[2:3], v[10:11]
	v_mul_f64_e32 v[12:13], v[4:5], v[10:11]
	s_delay_alu instid0(VALU_DEP_2) | instskip(NEXT) | instid1(VALU_DEP_2)
	v_fma_f64 v[10:11], v[4:5], v[8:9], -v[120:121]
	v_fmac_f64_e32 v[12:13], v[2:3], v[8:9]
	scratch_store_b128 off, v[10:13], off offset:64
.LBB51_31:
	s_wait_xcnt 0x0
	s_or_b32 exec_lo, exec_lo, s2
	s_wait_storecnt 0x0
	s_barrier_signal -1
	s_barrier_wait -1
	scratch_load_b128 v[2:5], off, s55
	;; [unrolled: 54-line block ×19, first 2 shown]
	s_mov_b32 s2, exec_lo
	s_wait_loadcnt 0x0
	ds_store_b128 v6, v[2:5]
	s_wait_dscnt 0x0
	s_barrier_signal -1
	s_barrier_wait -1
	v_cmpx_gt_u32_e32 22, v1
	s_cbranch_execz .LBB51_103
; %bb.100:
	v_dual_mov_b32 v10, v14 :: v_dual_add_nc_u32 v8, -1, v1
	v_mov_b64_e32 v[2:3], 0
	v_mov_b64_e32 v[4:5], 0
	v_add_nc_u32_e32 v9, 0x340, v14
	s_delay_alu instid0(VALU_DEP_4)
	v_or_b32_e32 v10, 8, v10
	s_mov_b32 s3, 0
.LBB51_101:                             ; =>This Inner Loop Header: Depth=1
	scratch_load_b128 v[120:123], v10, off offset:-8
	ds_load_b128 v[124:127], v9
	v_dual_add_nc_u32 v8, 1, v8 :: v_dual_add_nc_u32 v9, 16, v9
	s_wait_xcnt 0x0
	v_add_nc_u32_e32 v10, 16, v10
	s_delay_alu instid0(VALU_DEP_2) | instskip(SKIP_4) | instid1(VALU_DEP_2)
	v_cmp_lt_u32_e32 vcc_lo, 20, v8
	s_or_b32 s3, vcc_lo, s3
	s_wait_loadcnt_dscnt 0x0
	v_mul_f64_e32 v[12:13], v[126:127], v[122:123]
	v_mul_f64_e32 v[122:123], v[124:125], v[122:123]
	v_fma_f64 v[12:13], v[124:125], v[120:121], -v[12:13]
	s_delay_alu instid0(VALU_DEP_2) | instskip(NEXT) | instid1(VALU_DEP_2)
	v_fmac_f64_e32 v[122:123], v[126:127], v[120:121]
	v_add_f64_e32 v[4:5], v[4:5], v[12:13]
	s_delay_alu instid0(VALU_DEP_2)
	v_add_f64_e32 v[2:3], v[2:3], v[122:123]
	s_and_not1_b32 exec_lo, exec_lo, s3
	s_cbranch_execnz .LBB51_101
; %bb.102:
	s_or_b32 exec_lo, exec_lo, s3
	v_mov_b32_e32 v8, 0
	ds_load_b128 v[8:11], v8 offset:352
	s_wait_dscnt 0x0
	v_mul_f64_e32 v[120:121], v[2:3], v[10:11]
	v_mul_f64_e32 v[12:13], v[4:5], v[10:11]
	s_delay_alu instid0(VALU_DEP_2) | instskip(NEXT) | instid1(VALU_DEP_2)
	v_fma_f64 v[10:11], v[4:5], v[8:9], -v[120:121]
	v_fmac_f64_e32 v[12:13], v[2:3], v[8:9]
	scratch_store_b128 off, v[10:13], off offset:352
.LBB51_103:
	s_wait_xcnt 0x0
	s_or_b32 exec_lo, exec_lo, s2
	s_wait_storecnt 0x0
	s_barrier_signal -1
	s_barrier_wait -1
	scratch_load_b128 v[2:5], off, s44
	s_mov_b32 s2, exec_lo
	s_wait_loadcnt 0x0
	ds_store_b128 v6, v[2:5]
	s_wait_dscnt 0x0
	s_barrier_signal -1
	s_barrier_wait -1
	v_cmpx_gt_u32_e32 23, v1
	s_cbranch_execz .LBB51_107
; %bb.104:
	v_dual_mov_b32 v10, v14 :: v_dual_add_nc_u32 v8, -1, v1
	v_mov_b64_e32 v[2:3], 0
	v_mov_b64_e32 v[4:5], 0
	v_add_nc_u32_e32 v9, 0x340, v14
	s_delay_alu instid0(VALU_DEP_4)
	v_or_b32_e32 v10, 8, v10
	s_mov_b32 s3, 0
.LBB51_105:                             ; =>This Inner Loop Header: Depth=1
	scratch_load_b128 v[120:123], v10, off offset:-8
	ds_load_b128 v[124:127], v9
	v_dual_add_nc_u32 v8, 1, v8 :: v_dual_add_nc_u32 v9, 16, v9
	s_wait_xcnt 0x0
	v_add_nc_u32_e32 v10, 16, v10
	s_delay_alu instid0(VALU_DEP_2) | instskip(SKIP_4) | instid1(VALU_DEP_2)
	v_cmp_lt_u32_e32 vcc_lo, 21, v8
	s_or_b32 s3, vcc_lo, s3
	s_wait_loadcnt_dscnt 0x0
	v_mul_f64_e32 v[12:13], v[126:127], v[122:123]
	v_mul_f64_e32 v[122:123], v[124:125], v[122:123]
	v_fma_f64 v[12:13], v[124:125], v[120:121], -v[12:13]
	s_delay_alu instid0(VALU_DEP_2) | instskip(NEXT) | instid1(VALU_DEP_2)
	v_fmac_f64_e32 v[122:123], v[126:127], v[120:121]
	v_add_f64_e32 v[4:5], v[4:5], v[12:13]
	s_delay_alu instid0(VALU_DEP_2)
	v_add_f64_e32 v[2:3], v[2:3], v[122:123]
	s_and_not1_b32 exec_lo, exec_lo, s3
	s_cbranch_execnz .LBB51_105
; %bb.106:
	s_or_b32 exec_lo, exec_lo, s3
	v_mov_b32_e32 v8, 0
	ds_load_b128 v[8:11], v8 offset:368
	s_wait_dscnt 0x0
	v_mul_f64_e32 v[120:121], v[2:3], v[10:11]
	v_mul_f64_e32 v[12:13], v[4:5], v[10:11]
	s_delay_alu instid0(VALU_DEP_2) | instskip(NEXT) | instid1(VALU_DEP_2)
	v_fma_f64 v[10:11], v[4:5], v[8:9], -v[120:121]
	v_fmac_f64_e32 v[12:13], v[2:3], v[8:9]
	scratch_store_b128 off, v[10:13], off offset:368
.LBB51_107:
	s_wait_xcnt 0x0
	s_or_b32 exec_lo, exec_lo, s2
	s_wait_storecnt 0x0
	s_barrier_signal -1
	s_barrier_wait -1
	scratch_load_b128 v[2:5], off, s47
	;; [unrolled: 54-line block ×29, first 2 shown]
	s_mov_b32 s2, exec_lo
	s_wait_loadcnt 0x0
	ds_store_b128 v6, v[2:5]
	s_wait_dscnt 0x0
	s_barrier_signal -1
	s_barrier_wait -1
	v_cmpx_ne_u32_e32 51, v1
	s_cbranch_execz .LBB51_219
; %bb.216:
	v_mov_b32_e32 v8, v14
	v_mov_b64_e32 v[2:3], 0
	v_mov_b64_e32 v[4:5], 0
	s_mov_b32 s3, 0
	s_delay_alu instid0(VALU_DEP_3)
	v_or_b32_e32 v8, 8, v8
.LBB51_217:                             ; =>This Inner Loop Header: Depth=1
	scratch_load_b128 v[10:13], v8, off offset:-8
	ds_load_b128 v[120:123], v6
	v_dual_add_nc_u32 v7, 1, v7 :: v_dual_add_nc_u32 v6, 16, v6
	s_wait_xcnt 0x0
	v_add_nc_u32_e32 v8, 16, v8
	s_delay_alu instid0(VALU_DEP_2) | instskip(SKIP_4) | instid1(VALU_DEP_2)
	v_cmp_lt_u32_e32 vcc_lo, 49, v7
	s_or_b32 s3, vcc_lo, s3
	s_wait_loadcnt_dscnt 0x0
	v_mul_f64_e32 v[14:15], v[122:123], v[12:13]
	v_mul_f64_e32 v[12:13], v[120:121], v[12:13]
	v_fma_f64 v[14:15], v[120:121], v[10:11], -v[14:15]
	s_delay_alu instid0(VALU_DEP_2) | instskip(NEXT) | instid1(VALU_DEP_2)
	v_fmac_f64_e32 v[12:13], v[122:123], v[10:11]
	v_add_f64_e32 v[4:5], v[4:5], v[14:15]
	s_delay_alu instid0(VALU_DEP_2)
	v_add_f64_e32 v[2:3], v[2:3], v[12:13]
	s_and_not1_b32 exec_lo, exec_lo, s3
	s_cbranch_execnz .LBB51_217
; %bb.218:
	s_or_b32 exec_lo, exec_lo, s3
	v_mov_b32_e32 v6, 0
	ds_load_b128 v[6:9], v6 offset:816
	s_wait_dscnt 0x0
	v_mul_f64_e32 v[12:13], v[2:3], v[8:9]
	v_mul_f64_e32 v[10:11], v[4:5], v[8:9]
	s_delay_alu instid0(VALU_DEP_2) | instskip(NEXT) | instid1(VALU_DEP_2)
	v_fma_f64 v[8:9], v[4:5], v[6:7], -v[12:13]
	v_fmac_f64_e32 v[10:11], v[2:3], v[6:7]
	scratch_store_b128 off, v[8:11], off offset:816
.LBB51_219:
	s_wait_xcnt 0x0
	s_or_b32 exec_lo, exec_lo, s2
	s_mov_b32 s3, -1
	s_wait_storecnt 0x0
	s_barrier_signal -1
	s_barrier_wait -1
.LBB51_220:
	s_and_b32 vcc_lo, exec_lo, s3
	s_cbranch_vccz .LBB51_222
; %bb.221:
	s_wait_xcnt 0xd
	v_mov_b32_e32 v2, 0
	s_lshl_b64 s[2:3], s[18:19], 2
	s_delay_alu instid0(SALU_CYCLE_1)
	s_add_nc_u64 s[2:3], s[6:7], s[2:3]
	global_load_b32 v2, v2, s[2:3]
	s_wait_loadcnt 0x0
	v_cmp_ne_u32_e32 vcc_lo, 0, v2
	s_cbranch_vccz .LBB51_223
.LBB51_222:
	s_sendmsg sendmsg(MSG_DEALLOC_VGPRS)
	s_endpgm
.LBB51_223:
	s_wait_xcnt 0x8
	v_lshl_add_u32 v120, v1, 4, 0x340
	s_wait_xcnt 0x0
	s_mov_b32 s2, exec_lo
	v_cmpx_eq_u32_e32 51, v1
	s_cbranch_execz .LBB51_225
; %bb.224:
	scratch_load_b128 v[2:5], off, s27
	v_mov_b32_e32 v6, 0
	s_delay_alu instid0(VALU_DEP_1)
	v_dual_mov_b32 v7, v6 :: v_dual_mov_b32 v8, v6
	v_mov_b32_e32 v9, v6
	scratch_store_b128 off, v[6:9], off offset:800
	s_wait_loadcnt 0x0
	ds_store_b128 v120, v[2:5]
.LBB51_225:
	s_wait_xcnt 0x0
	s_or_b32 exec_lo, exec_lo, s2
	s_wait_storecnt_dscnt 0x0
	s_barrier_signal -1
	s_barrier_wait -1
	s_clause 0x1
	scratch_load_b128 v[4:7], off, off offset:816
	scratch_load_b128 v[8:11], off, off offset:800
	v_mov_b32_e32 v2, 0
	s_mov_b32 s2, exec_lo
	ds_load_b128 v[12:15], v2 offset:1648
	s_wait_loadcnt_dscnt 0x100
	v_mul_f64_e32 v[122:123], v[14:15], v[6:7]
	v_mul_f64_e32 v[6:7], v[12:13], v[6:7]
	s_delay_alu instid0(VALU_DEP_2) | instskip(NEXT) | instid1(VALU_DEP_2)
	v_fma_f64 v[12:13], v[12:13], v[4:5], -v[122:123]
	v_fmac_f64_e32 v[6:7], v[14:15], v[4:5]
	s_delay_alu instid0(VALU_DEP_2) | instskip(NEXT) | instid1(VALU_DEP_2)
	v_add_f64_e32 v[4:5], 0, v[12:13]
	v_add_f64_e32 v[6:7], 0, v[6:7]
	s_wait_loadcnt 0x0
	s_delay_alu instid0(VALU_DEP_2) | instskip(NEXT) | instid1(VALU_DEP_2)
	v_add_f64_e64 v[4:5], v[8:9], -v[4:5]
	v_add_f64_e64 v[6:7], v[10:11], -v[6:7]
	scratch_store_b128 off, v[4:7], off offset:800
	s_wait_xcnt 0x0
	v_cmpx_lt_u32_e32 49, v1
	s_cbranch_execz .LBB51_227
; %bb.226:
	scratch_load_b128 v[6:9], off, s26
	v_dual_mov_b32 v3, v2 :: v_dual_mov_b32 v4, v2
	v_mov_b32_e32 v5, v2
	scratch_store_b128 off, v[2:5], off offset:784
	s_wait_loadcnt 0x0
	ds_store_b128 v120, v[6:9]
.LBB51_227:
	s_wait_xcnt 0x0
	s_or_b32 exec_lo, exec_lo, s2
	s_wait_storecnt_dscnt 0x0
	s_barrier_signal -1
	s_barrier_wait -1
	s_clause 0x2
	scratch_load_b128 v[4:7], off, off offset:800
	scratch_load_b128 v[8:11], off, off offset:816
	;; [unrolled: 1-line block ×3, first 2 shown]
	ds_load_b128 v[122:125], v2 offset:1632
	ds_load_b128 v[126:129], v2 offset:1648
	s_mov_b32 s2, exec_lo
	s_wait_loadcnt_dscnt 0x201
	v_mul_f64_e32 v[2:3], v[124:125], v[6:7]
	v_mul_f64_e32 v[6:7], v[122:123], v[6:7]
	s_wait_loadcnt_dscnt 0x100
	v_mul_f64_e32 v[130:131], v[126:127], v[10:11]
	v_mul_f64_e32 v[10:11], v[128:129], v[10:11]
	s_delay_alu instid0(VALU_DEP_4) | instskip(NEXT) | instid1(VALU_DEP_4)
	v_fma_f64 v[2:3], v[122:123], v[4:5], -v[2:3]
	v_fmac_f64_e32 v[6:7], v[124:125], v[4:5]
	s_delay_alu instid0(VALU_DEP_4) | instskip(NEXT) | instid1(VALU_DEP_4)
	v_fmac_f64_e32 v[130:131], v[128:129], v[8:9]
	v_fma_f64 v[4:5], v[126:127], v[8:9], -v[10:11]
	s_delay_alu instid0(VALU_DEP_4) | instskip(NEXT) | instid1(VALU_DEP_4)
	v_add_f64_e32 v[2:3], 0, v[2:3]
	v_add_f64_e32 v[6:7], 0, v[6:7]
	s_delay_alu instid0(VALU_DEP_2) | instskip(NEXT) | instid1(VALU_DEP_2)
	v_add_f64_e32 v[2:3], v[2:3], v[4:5]
	v_add_f64_e32 v[4:5], v[6:7], v[130:131]
	s_wait_loadcnt 0x0
	s_delay_alu instid0(VALU_DEP_2) | instskip(NEXT) | instid1(VALU_DEP_2)
	v_add_f64_e64 v[2:3], v[12:13], -v[2:3]
	v_add_f64_e64 v[4:5], v[14:15], -v[4:5]
	scratch_store_b128 off, v[2:5], off offset:784
	s_wait_xcnt 0x0
	v_cmpx_lt_u32_e32 48, v1
	s_cbranch_execz .LBB51_229
; %bb.228:
	scratch_load_b128 v[2:5], off, s29
	v_mov_b32_e32 v6, 0
	s_delay_alu instid0(VALU_DEP_1)
	v_dual_mov_b32 v7, v6 :: v_dual_mov_b32 v8, v6
	v_mov_b32_e32 v9, v6
	scratch_store_b128 off, v[6:9], off offset:768
	s_wait_loadcnt 0x0
	ds_store_b128 v120, v[2:5]
.LBB51_229:
	s_wait_xcnt 0x0
	s_or_b32 exec_lo, exec_lo, s2
	s_wait_storecnt_dscnt 0x0
	s_barrier_signal -1
	s_barrier_wait -1
	s_clause 0x3
	scratch_load_b128 v[4:7], off, off offset:784
	scratch_load_b128 v[8:11], off, off offset:800
	;; [unrolled: 1-line block ×4, first 2 shown]
	v_mov_b32_e32 v2, 0
	ds_load_b128 v[126:129], v2 offset:1616
	ds_load_b128 v[130:133], v2 offset:1632
	s_mov_b32 s2, exec_lo
	s_wait_loadcnt_dscnt 0x301
	v_mul_f64_e32 v[134:135], v[128:129], v[6:7]
	v_mul_f64_e32 v[136:137], v[126:127], v[6:7]
	s_wait_loadcnt_dscnt 0x200
	v_mul_f64_e32 v[138:139], v[130:131], v[10:11]
	v_mul_f64_e32 v[10:11], v[132:133], v[10:11]
	s_delay_alu instid0(VALU_DEP_4) | instskip(NEXT) | instid1(VALU_DEP_4)
	v_fma_f64 v[126:127], v[126:127], v[4:5], -v[134:135]
	v_fmac_f64_e32 v[136:137], v[128:129], v[4:5]
	ds_load_b128 v[4:7], v2 offset:1648
	v_fmac_f64_e32 v[138:139], v[132:133], v[8:9]
	v_fma_f64 v[8:9], v[130:131], v[8:9], -v[10:11]
	s_wait_loadcnt_dscnt 0x100
	v_mul_f64_e32 v[128:129], v[4:5], v[14:15]
	v_mul_f64_e32 v[14:15], v[6:7], v[14:15]
	v_add_f64_e32 v[10:11], 0, v[126:127]
	v_add_f64_e32 v[126:127], 0, v[136:137]
	s_delay_alu instid0(VALU_DEP_4) | instskip(NEXT) | instid1(VALU_DEP_4)
	v_fmac_f64_e32 v[128:129], v[6:7], v[12:13]
	v_fma_f64 v[4:5], v[4:5], v[12:13], -v[14:15]
	s_delay_alu instid0(VALU_DEP_4) | instskip(NEXT) | instid1(VALU_DEP_4)
	v_add_f64_e32 v[6:7], v[10:11], v[8:9]
	v_add_f64_e32 v[8:9], v[126:127], v[138:139]
	s_delay_alu instid0(VALU_DEP_2) | instskip(NEXT) | instid1(VALU_DEP_2)
	v_add_f64_e32 v[4:5], v[6:7], v[4:5]
	v_add_f64_e32 v[6:7], v[8:9], v[128:129]
	s_wait_loadcnt 0x0
	s_delay_alu instid0(VALU_DEP_2) | instskip(NEXT) | instid1(VALU_DEP_2)
	v_add_f64_e64 v[4:5], v[122:123], -v[4:5]
	v_add_f64_e64 v[6:7], v[124:125], -v[6:7]
	scratch_store_b128 off, v[4:7], off offset:768
	s_wait_xcnt 0x0
	v_cmpx_lt_u32_e32 47, v1
	s_cbranch_execz .LBB51_231
; %bb.230:
	scratch_load_b128 v[6:9], off, s28
	v_dual_mov_b32 v3, v2 :: v_dual_mov_b32 v4, v2
	v_mov_b32_e32 v5, v2
	scratch_store_b128 off, v[2:5], off offset:752
	s_wait_loadcnt 0x0
	ds_store_b128 v120, v[6:9]
.LBB51_231:
	s_wait_xcnt 0x0
	s_or_b32 exec_lo, exec_lo, s2
	s_wait_storecnt_dscnt 0x0
	s_barrier_signal -1
	s_barrier_wait -1
	s_clause 0x4
	scratch_load_b128 v[4:7], off, off offset:768
	scratch_load_b128 v[8:11], off, off offset:784
	;; [unrolled: 1-line block ×5, first 2 shown]
	ds_load_b128 v[130:133], v2 offset:1600
	ds_load_b128 v[134:137], v2 offset:1616
	s_mov_b32 s2, exec_lo
	s_wait_loadcnt_dscnt 0x401
	v_mul_f64_e32 v[138:139], v[132:133], v[6:7]
	v_mul_f64_e32 v[140:141], v[130:131], v[6:7]
	s_wait_loadcnt_dscnt 0x300
	v_mul_f64_e32 v[142:143], v[134:135], v[10:11]
	v_mul_f64_e32 v[10:11], v[136:137], v[10:11]
	s_delay_alu instid0(VALU_DEP_4) | instskip(NEXT) | instid1(VALU_DEP_4)
	v_fma_f64 v[138:139], v[130:131], v[4:5], -v[138:139]
	v_fmac_f64_e32 v[140:141], v[132:133], v[4:5]
	ds_load_b128 v[4:7], v2 offset:1632
	ds_load_b128 v[130:133], v2 offset:1648
	v_fmac_f64_e32 v[142:143], v[136:137], v[8:9]
	v_fma_f64 v[8:9], v[134:135], v[8:9], -v[10:11]
	s_wait_loadcnt_dscnt 0x201
	v_mul_f64_e32 v[2:3], v[4:5], v[14:15]
	v_mul_f64_e32 v[14:15], v[6:7], v[14:15]
	s_wait_loadcnt_dscnt 0x100
	v_mul_f64_e32 v[136:137], v[130:131], v[124:125]
	v_mul_f64_e32 v[124:125], v[132:133], v[124:125]
	v_add_f64_e32 v[10:11], 0, v[138:139]
	v_add_f64_e32 v[134:135], 0, v[140:141]
	v_fmac_f64_e32 v[2:3], v[6:7], v[12:13]
	v_fma_f64 v[4:5], v[4:5], v[12:13], -v[14:15]
	v_fmac_f64_e32 v[136:137], v[132:133], v[122:123]
	v_add_f64_e32 v[6:7], v[10:11], v[8:9]
	v_add_f64_e32 v[8:9], v[134:135], v[142:143]
	v_fma_f64 v[10:11], v[130:131], v[122:123], -v[124:125]
	s_delay_alu instid0(VALU_DEP_3) | instskip(NEXT) | instid1(VALU_DEP_3)
	v_add_f64_e32 v[4:5], v[6:7], v[4:5]
	v_add_f64_e32 v[2:3], v[8:9], v[2:3]
	s_delay_alu instid0(VALU_DEP_2) | instskip(NEXT) | instid1(VALU_DEP_2)
	v_add_f64_e32 v[4:5], v[4:5], v[10:11]
	v_add_f64_e32 v[6:7], v[2:3], v[136:137]
	s_wait_loadcnt 0x0
	s_delay_alu instid0(VALU_DEP_2) | instskip(NEXT) | instid1(VALU_DEP_2)
	v_add_f64_e64 v[2:3], v[126:127], -v[4:5]
	v_add_f64_e64 v[4:5], v[128:129], -v[6:7]
	scratch_store_b128 off, v[2:5], off offset:752
	s_wait_xcnt 0x0
	v_cmpx_lt_u32_e32 46, v1
	s_cbranch_execz .LBB51_233
; %bb.232:
	scratch_load_b128 v[2:5], off, s31
	v_mov_b32_e32 v6, 0
	s_delay_alu instid0(VALU_DEP_1)
	v_dual_mov_b32 v7, v6 :: v_dual_mov_b32 v8, v6
	v_mov_b32_e32 v9, v6
	scratch_store_b128 off, v[6:9], off offset:736
	s_wait_loadcnt 0x0
	ds_store_b128 v120, v[2:5]
.LBB51_233:
	s_wait_xcnt 0x0
	s_or_b32 exec_lo, exec_lo, s2
	s_wait_storecnt_dscnt 0x0
	s_barrier_signal -1
	s_barrier_wait -1
	s_clause 0x5
	scratch_load_b128 v[4:7], off, off offset:752
	scratch_load_b128 v[8:11], off, off offset:768
	;; [unrolled: 1-line block ×6, first 2 shown]
	v_mov_b32_e32 v2, 0
	ds_load_b128 v[134:137], v2 offset:1584
	ds_load_b128 v[138:141], v2 offset:1600
	s_mov_b32 s2, exec_lo
	s_wait_loadcnt_dscnt 0x501
	v_mul_f64_e32 v[142:143], v[136:137], v[6:7]
	v_mul_f64_e32 v[144:145], v[134:135], v[6:7]
	s_wait_loadcnt_dscnt 0x400
	v_mul_f64_e32 v[146:147], v[138:139], v[10:11]
	v_mul_f64_e32 v[10:11], v[140:141], v[10:11]
	s_delay_alu instid0(VALU_DEP_4) | instskip(NEXT) | instid1(VALU_DEP_4)
	v_fma_f64 v[142:143], v[134:135], v[4:5], -v[142:143]
	v_fmac_f64_e32 v[144:145], v[136:137], v[4:5]
	ds_load_b128 v[4:7], v2 offset:1616
	ds_load_b128 v[134:137], v2 offset:1632
	v_fmac_f64_e32 v[146:147], v[140:141], v[8:9]
	v_fma_f64 v[8:9], v[138:139], v[8:9], -v[10:11]
	s_wait_loadcnt_dscnt 0x301
	v_mul_f64_e32 v[148:149], v[4:5], v[14:15]
	v_mul_f64_e32 v[14:15], v[6:7], v[14:15]
	s_wait_loadcnt_dscnt 0x200
	v_mul_f64_e32 v[140:141], v[134:135], v[124:125]
	v_mul_f64_e32 v[124:125], v[136:137], v[124:125]
	v_add_f64_e32 v[10:11], 0, v[142:143]
	v_add_f64_e32 v[138:139], 0, v[144:145]
	v_fmac_f64_e32 v[148:149], v[6:7], v[12:13]
	v_fma_f64 v[12:13], v[4:5], v[12:13], -v[14:15]
	ds_load_b128 v[4:7], v2 offset:1648
	v_fmac_f64_e32 v[140:141], v[136:137], v[122:123]
	v_fma_f64 v[122:123], v[134:135], v[122:123], -v[124:125]
	v_add_f64_e32 v[8:9], v[10:11], v[8:9]
	v_add_f64_e32 v[10:11], v[138:139], v[146:147]
	s_wait_loadcnt_dscnt 0x100
	v_mul_f64_e32 v[14:15], v[4:5], v[128:129]
	v_mul_f64_e32 v[128:129], v[6:7], v[128:129]
	s_delay_alu instid0(VALU_DEP_4) | instskip(NEXT) | instid1(VALU_DEP_4)
	v_add_f64_e32 v[8:9], v[8:9], v[12:13]
	v_add_f64_e32 v[10:11], v[10:11], v[148:149]
	s_delay_alu instid0(VALU_DEP_4) | instskip(NEXT) | instid1(VALU_DEP_4)
	v_fmac_f64_e32 v[14:15], v[6:7], v[126:127]
	v_fma_f64 v[4:5], v[4:5], v[126:127], -v[128:129]
	s_delay_alu instid0(VALU_DEP_4) | instskip(NEXT) | instid1(VALU_DEP_4)
	v_add_f64_e32 v[6:7], v[8:9], v[122:123]
	v_add_f64_e32 v[8:9], v[10:11], v[140:141]
	s_delay_alu instid0(VALU_DEP_2) | instskip(NEXT) | instid1(VALU_DEP_2)
	v_add_f64_e32 v[4:5], v[6:7], v[4:5]
	v_add_f64_e32 v[6:7], v[8:9], v[14:15]
	s_wait_loadcnt 0x0
	s_delay_alu instid0(VALU_DEP_2) | instskip(NEXT) | instid1(VALU_DEP_2)
	v_add_f64_e64 v[4:5], v[130:131], -v[4:5]
	v_add_f64_e64 v[6:7], v[132:133], -v[6:7]
	scratch_store_b128 off, v[4:7], off offset:736
	s_wait_xcnt 0x0
	v_cmpx_lt_u32_e32 45, v1
	s_cbranch_execz .LBB51_235
; %bb.234:
	scratch_load_b128 v[6:9], off, s30
	v_dual_mov_b32 v3, v2 :: v_dual_mov_b32 v4, v2
	v_mov_b32_e32 v5, v2
	scratch_store_b128 off, v[2:5], off offset:720
	s_wait_loadcnt 0x0
	ds_store_b128 v120, v[6:9]
.LBB51_235:
	s_wait_xcnt 0x0
	s_or_b32 exec_lo, exec_lo, s2
	s_wait_storecnt_dscnt 0x0
	s_barrier_signal -1
	s_barrier_wait -1
	s_clause 0x6
	scratch_load_b128 v[4:7], off, off offset:736
	scratch_load_b128 v[8:11], off, off offset:752
	;; [unrolled: 1-line block ×7, first 2 shown]
	ds_load_b128 v[138:141], v2 offset:1568
	ds_load_b128 v[142:145], v2 offset:1584
	s_mov_b32 s2, exec_lo
	s_wait_loadcnt_dscnt 0x601
	v_mul_f64_e32 v[146:147], v[140:141], v[6:7]
	v_mul_f64_e32 v[148:149], v[138:139], v[6:7]
	s_wait_loadcnt_dscnt 0x500
	v_mul_f64_e32 v[150:151], v[142:143], v[10:11]
	v_mul_f64_e32 v[10:11], v[144:145], v[10:11]
	s_delay_alu instid0(VALU_DEP_4) | instskip(NEXT) | instid1(VALU_DEP_4)
	v_fma_f64 v[146:147], v[138:139], v[4:5], -v[146:147]
	v_fmac_f64_e32 v[148:149], v[140:141], v[4:5]
	ds_load_b128 v[4:7], v2 offset:1600
	ds_load_b128 v[138:141], v2 offset:1616
	v_fmac_f64_e32 v[150:151], v[144:145], v[8:9]
	v_fma_f64 v[8:9], v[142:143], v[8:9], -v[10:11]
	s_wait_loadcnt_dscnt 0x401
	v_mul_f64_e32 v[152:153], v[4:5], v[14:15]
	v_mul_f64_e32 v[14:15], v[6:7], v[14:15]
	s_wait_loadcnt_dscnt 0x300
	v_mul_f64_e32 v[144:145], v[138:139], v[124:125]
	v_mul_f64_e32 v[124:125], v[140:141], v[124:125]
	v_add_f64_e32 v[10:11], 0, v[146:147]
	v_add_f64_e32 v[142:143], 0, v[148:149]
	v_fmac_f64_e32 v[152:153], v[6:7], v[12:13]
	v_fma_f64 v[12:13], v[4:5], v[12:13], -v[14:15]
	v_fmac_f64_e32 v[144:145], v[140:141], v[122:123]
	v_fma_f64 v[122:123], v[138:139], v[122:123], -v[124:125]
	v_add_f64_e32 v[14:15], v[10:11], v[8:9]
	v_add_f64_e32 v[142:143], v[142:143], v[150:151]
	ds_load_b128 v[4:7], v2 offset:1632
	ds_load_b128 v[8:11], v2 offset:1648
	s_wait_loadcnt_dscnt 0x201
	v_mul_f64_e32 v[2:3], v[4:5], v[128:129]
	v_mul_f64_e32 v[128:129], v[6:7], v[128:129]
	s_wait_loadcnt_dscnt 0x100
	v_mul_f64_e32 v[124:125], v[8:9], v[132:133]
	v_mul_f64_e32 v[132:133], v[10:11], v[132:133]
	v_add_f64_e32 v[12:13], v[14:15], v[12:13]
	v_add_f64_e32 v[14:15], v[142:143], v[152:153]
	v_fmac_f64_e32 v[2:3], v[6:7], v[126:127]
	v_fma_f64 v[4:5], v[4:5], v[126:127], -v[128:129]
	v_fmac_f64_e32 v[124:125], v[10:11], v[130:131]
	v_fma_f64 v[8:9], v[8:9], v[130:131], -v[132:133]
	v_add_f64_e32 v[6:7], v[12:13], v[122:123]
	v_add_f64_e32 v[12:13], v[14:15], v[144:145]
	s_delay_alu instid0(VALU_DEP_2) | instskip(NEXT) | instid1(VALU_DEP_2)
	v_add_f64_e32 v[4:5], v[6:7], v[4:5]
	v_add_f64_e32 v[2:3], v[12:13], v[2:3]
	s_delay_alu instid0(VALU_DEP_2) | instskip(NEXT) | instid1(VALU_DEP_2)
	v_add_f64_e32 v[4:5], v[4:5], v[8:9]
	v_add_f64_e32 v[6:7], v[2:3], v[124:125]
	s_wait_loadcnt 0x0
	s_delay_alu instid0(VALU_DEP_2) | instskip(NEXT) | instid1(VALU_DEP_2)
	v_add_f64_e64 v[2:3], v[134:135], -v[4:5]
	v_add_f64_e64 v[4:5], v[136:137], -v[6:7]
	scratch_store_b128 off, v[2:5], off offset:720
	s_wait_xcnt 0x0
	v_cmpx_lt_u32_e32 44, v1
	s_cbranch_execz .LBB51_237
; %bb.236:
	scratch_load_b128 v[2:5], off, s9
	v_mov_b32_e32 v6, 0
	s_delay_alu instid0(VALU_DEP_1)
	v_dual_mov_b32 v7, v6 :: v_dual_mov_b32 v8, v6
	v_mov_b32_e32 v9, v6
	scratch_store_b128 off, v[6:9], off offset:704
	s_wait_loadcnt 0x0
	ds_store_b128 v120, v[2:5]
.LBB51_237:
	s_wait_xcnt 0x0
	s_or_b32 exec_lo, exec_lo, s2
	s_wait_storecnt_dscnt 0x0
	s_barrier_signal -1
	s_barrier_wait -1
	s_clause 0x7
	scratch_load_b128 v[4:7], off, off offset:720
	scratch_load_b128 v[8:11], off, off offset:736
	;; [unrolled: 1-line block ×8, first 2 shown]
	v_mov_b32_e32 v2, 0
	ds_load_b128 v[142:145], v2 offset:1552
	ds_load_b128 v[146:149], v2 offset:1568
	s_mov_b32 s2, exec_lo
	s_wait_loadcnt_dscnt 0x701
	v_mul_f64_e32 v[150:151], v[144:145], v[6:7]
	v_mul_f64_e32 v[152:153], v[142:143], v[6:7]
	s_wait_loadcnt_dscnt 0x600
	v_mul_f64_e32 v[154:155], v[146:147], v[10:11]
	v_mul_f64_e32 v[10:11], v[148:149], v[10:11]
	s_delay_alu instid0(VALU_DEP_4) | instskip(NEXT) | instid1(VALU_DEP_4)
	v_fma_f64 v[150:151], v[142:143], v[4:5], -v[150:151]
	v_fmac_f64_e32 v[152:153], v[144:145], v[4:5]
	ds_load_b128 v[4:7], v2 offset:1584
	ds_load_b128 v[142:145], v2 offset:1600
	v_fmac_f64_e32 v[154:155], v[148:149], v[8:9]
	v_fma_f64 v[8:9], v[146:147], v[8:9], -v[10:11]
	s_wait_loadcnt_dscnt 0x501
	v_mul_f64_e32 v[156:157], v[4:5], v[14:15]
	v_mul_f64_e32 v[14:15], v[6:7], v[14:15]
	s_wait_loadcnt_dscnt 0x400
	v_mul_f64_e32 v[148:149], v[142:143], v[124:125]
	v_mul_f64_e32 v[124:125], v[144:145], v[124:125]
	v_add_f64_e32 v[10:11], 0, v[150:151]
	v_add_f64_e32 v[146:147], 0, v[152:153]
	v_fmac_f64_e32 v[156:157], v[6:7], v[12:13]
	v_fma_f64 v[12:13], v[4:5], v[12:13], -v[14:15]
	v_fmac_f64_e32 v[148:149], v[144:145], v[122:123]
	v_fma_f64 v[122:123], v[142:143], v[122:123], -v[124:125]
	v_add_f64_e32 v[14:15], v[10:11], v[8:9]
	v_add_f64_e32 v[146:147], v[146:147], v[154:155]
	ds_load_b128 v[4:7], v2 offset:1616
	ds_load_b128 v[8:11], v2 offset:1632
	s_wait_loadcnt_dscnt 0x301
	v_mul_f64_e32 v[150:151], v[4:5], v[128:129]
	v_mul_f64_e32 v[128:129], v[6:7], v[128:129]
	s_wait_loadcnt_dscnt 0x200
	v_mul_f64_e32 v[124:125], v[8:9], v[132:133]
	v_mul_f64_e32 v[132:133], v[10:11], v[132:133]
	v_add_f64_e32 v[12:13], v[14:15], v[12:13]
	v_add_f64_e32 v[14:15], v[146:147], v[156:157]
	v_fmac_f64_e32 v[150:151], v[6:7], v[126:127]
	v_fma_f64 v[126:127], v[4:5], v[126:127], -v[128:129]
	ds_load_b128 v[4:7], v2 offset:1648
	v_fmac_f64_e32 v[124:125], v[10:11], v[130:131]
	v_fma_f64 v[8:9], v[8:9], v[130:131], -v[132:133]
	v_add_f64_e32 v[12:13], v[12:13], v[122:123]
	v_add_f64_e32 v[14:15], v[14:15], v[148:149]
	s_wait_loadcnt_dscnt 0x100
	v_mul_f64_e32 v[122:123], v[4:5], v[136:137]
	v_mul_f64_e32 v[128:129], v[6:7], v[136:137]
	s_delay_alu instid0(VALU_DEP_4) | instskip(NEXT) | instid1(VALU_DEP_4)
	v_add_f64_e32 v[10:11], v[12:13], v[126:127]
	v_add_f64_e32 v[12:13], v[14:15], v[150:151]
	s_delay_alu instid0(VALU_DEP_4) | instskip(NEXT) | instid1(VALU_DEP_4)
	v_fmac_f64_e32 v[122:123], v[6:7], v[134:135]
	v_fma_f64 v[4:5], v[4:5], v[134:135], -v[128:129]
	s_delay_alu instid0(VALU_DEP_4) | instskip(NEXT) | instid1(VALU_DEP_4)
	v_add_f64_e32 v[6:7], v[10:11], v[8:9]
	v_add_f64_e32 v[8:9], v[12:13], v[124:125]
	s_delay_alu instid0(VALU_DEP_2) | instskip(NEXT) | instid1(VALU_DEP_2)
	v_add_f64_e32 v[4:5], v[6:7], v[4:5]
	v_add_f64_e32 v[6:7], v[8:9], v[122:123]
	s_wait_loadcnt 0x0
	s_delay_alu instid0(VALU_DEP_2) | instskip(NEXT) | instid1(VALU_DEP_2)
	v_add_f64_e64 v[4:5], v[138:139], -v[4:5]
	v_add_f64_e64 v[6:7], v[140:141], -v[6:7]
	scratch_store_b128 off, v[4:7], off offset:704
	s_wait_xcnt 0x0
	v_cmpx_lt_u32_e32 43, v1
	s_cbranch_execz .LBB51_239
; %bb.238:
	scratch_load_b128 v[6:9], off, s8
	v_dual_mov_b32 v3, v2 :: v_dual_mov_b32 v4, v2
	v_mov_b32_e32 v5, v2
	scratch_store_b128 off, v[2:5], off offset:688
	s_wait_loadcnt 0x0
	ds_store_b128 v120, v[6:9]
.LBB51_239:
	s_wait_xcnt 0x0
	s_or_b32 exec_lo, exec_lo, s2
	s_wait_storecnt_dscnt 0x0
	s_barrier_signal -1
	s_barrier_wait -1
	s_clause 0x7
	scratch_load_b128 v[4:7], off, off offset:704
	scratch_load_b128 v[8:11], off, off offset:720
	scratch_load_b128 v[12:15], off, off offset:736
	scratch_load_b128 v[122:125], off, off offset:752
	scratch_load_b128 v[126:129], off, off offset:768
	scratch_load_b128 v[130:133], off, off offset:784
	scratch_load_b128 v[134:137], off, off offset:800
	scratch_load_b128 v[138:141], off, off offset:816
	ds_load_b128 v[142:145], v2 offset:1536
	ds_load_b128 v[146:149], v2 offset:1552
	scratch_load_b128 v[150:153], off, off offset:688
	s_mov_b32 s2, exec_lo
	s_wait_loadcnt_dscnt 0x801
	v_mul_f64_e32 v[154:155], v[144:145], v[6:7]
	v_mul_f64_e32 v[156:157], v[142:143], v[6:7]
	s_wait_loadcnt_dscnt 0x700
	v_mul_f64_e32 v[158:159], v[146:147], v[10:11]
	v_mul_f64_e32 v[10:11], v[148:149], v[10:11]
	s_delay_alu instid0(VALU_DEP_4) | instskip(NEXT) | instid1(VALU_DEP_4)
	v_fma_f64 v[154:155], v[142:143], v[4:5], -v[154:155]
	v_fmac_f64_e32 v[156:157], v[144:145], v[4:5]
	ds_load_b128 v[4:7], v2 offset:1568
	ds_load_b128 v[142:145], v2 offset:1584
	v_fmac_f64_e32 v[158:159], v[148:149], v[8:9]
	v_fma_f64 v[8:9], v[146:147], v[8:9], -v[10:11]
	s_wait_loadcnt_dscnt 0x601
	v_mul_f64_e32 v[160:161], v[4:5], v[14:15]
	v_mul_f64_e32 v[14:15], v[6:7], v[14:15]
	s_wait_loadcnt_dscnt 0x500
	v_mul_f64_e32 v[148:149], v[142:143], v[124:125]
	v_mul_f64_e32 v[124:125], v[144:145], v[124:125]
	v_add_f64_e32 v[10:11], 0, v[154:155]
	v_add_f64_e32 v[146:147], 0, v[156:157]
	v_fmac_f64_e32 v[160:161], v[6:7], v[12:13]
	v_fma_f64 v[12:13], v[4:5], v[12:13], -v[14:15]
	v_fmac_f64_e32 v[148:149], v[144:145], v[122:123]
	v_fma_f64 v[122:123], v[142:143], v[122:123], -v[124:125]
	v_add_f64_e32 v[14:15], v[10:11], v[8:9]
	v_add_f64_e32 v[146:147], v[146:147], v[158:159]
	ds_load_b128 v[4:7], v2 offset:1600
	ds_load_b128 v[8:11], v2 offset:1616
	s_wait_loadcnt_dscnt 0x401
	v_mul_f64_e32 v[154:155], v[4:5], v[128:129]
	v_mul_f64_e32 v[128:129], v[6:7], v[128:129]
	s_wait_loadcnt_dscnt 0x300
	v_mul_f64_e32 v[124:125], v[8:9], v[132:133]
	v_mul_f64_e32 v[132:133], v[10:11], v[132:133]
	v_add_f64_e32 v[12:13], v[14:15], v[12:13]
	v_add_f64_e32 v[14:15], v[146:147], v[160:161]
	v_fmac_f64_e32 v[154:155], v[6:7], v[126:127]
	v_fma_f64 v[126:127], v[4:5], v[126:127], -v[128:129]
	v_fmac_f64_e32 v[124:125], v[10:11], v[130:131]
	v_fma_f64 v[8:9], v[8:9], v[130:131], -v[132:133]
	v_add_f64_e32 v[122:123], v[12:13], v[122:123]
	v_add_f64_e32 v[128:129], v[14:15], v[148:149]
	ds_load_b128 v[4:7], v2 offset:1632
	ds_load_b128 v[12:15], v2 offset:1648
	s_wait_loadcnt_dscnt 0x201
	v_mul_f64_e32 v[2:3], v[4:5], v[136:137]
	v_mul_f64_e32 v[136:137], v[6:7], v[136:137]
	v_add_f64_e32 v[10:11], v[122:123], v[126:127]
	v_add_f64_e32 v[122:123], v[128:129], v[154:155]
	s_wait_loadcnt_dscnt 0x100
	v_mul_f64_e32 v[126:127], v[12:13], v[140:141]
	v_mul_f64_e32 v[128:129], v[14:15], v[140:141]
	v_fmac_f64_e32 v[2:3], v[6:7], v[134:135]
	v_fma_f64 v[4:5], v[4:5], v[134:135], -v[136:137]
	v_add_f64_e32 v[6:7], v[10:11], v[8:9]
	v_add_f64_e32 v[8:9], v[122:123], v[124:125]
	v_fmac_f64_e32 v[126:127], v[14:15], v[138:139]
	v_fma_f64 v[10:11], v[12:13], v[138:139], -v[128:129]
	s_delay_alu instid0(VALU_DEP_4) | instskip(NEXT) | instid1(VALU_DEP_4)
	v_add_f64_e32 v[4:5], v[6:7], v[4:5]
	v_add_f64_e32 v[2:3], v[8:9], v[2:3]
	s_delay_alu instid0(VALU_DEP_2) | instskip(NEXT) | instid1(VALU_DEP_2)
	v_add_f64_e32 v[4:5], v[4:5], v[10:11]
	v_add_f64_e32 v[6:7], v[2:3], v[126:127]
	s_wait_loadcnt 0x0
	s_delay_alu instid0(VALU_DEP_2) | instskip(NEXT) | instid1(VALU_DEP_2)
	v_add_f64_e64 v[2:3], v[150:151], -v[4:5]
	v_add_f64_e64 v[4:5], v[152:153], -v[6:7]
	scratch_store_b128 off, v[2:5], off offset:688
	s_wait_xcnt 0x0
	v_cmpx_lt_u32_e32 42, v1
	s_cbranch_execz .LBB51_241
; %bb.240:
	scratch_load_b128 v[2:5], off, s11
	v_mov_b32_e32 v6, 0
	s_delay_alu instid0(VALU_DEP_1)
	v_dual_mov_b32 v7, v6 :: v_dual_mov_b32 v8, v6
	v_mov_b32_e32 v9, v6
	scratch_store_b128 off, v[6:9], off offset:672
	s_wait_loadcnt 0x0
	ds_store_b128 v120, v[2:5]
.LBB51_241:
	s_wait_xcnt 0x0
	s_or_b32 exec_lo, exec_lo, s2
	s_wait_storecnt_dscnt 0x0
	s_barrier_signal -1
	s_barrier_wait -1
	s_clause 0x8
	scratch_load_b128 v[4:7], off, off offset:688
	scratch_load_b128 v[8:11], off, off offset:704
	;; [unrolled: 1-line block ×9, first 2 shown]
	v_mov_b32_e32 v2, 0
	scratch_load_b128 v[150:153], off, off offset:672
	s_mov_b32 s2, exec_lo
	ds_load_b128 v[146:149], v2 offset:1520
	ds_load_b128 v[154:157], v2 offset:1536
	s_wait_loadcnt_dscnt 0x901
	v_mul_f64_e32 v[158:159], v[148:149], v[6:7]
	v_mul_f64_e32 v[160:161], v[146:147], v[6:7]
	s_wait_loadcnt_dscnt 0x800
	v_mul_f64_e32 v[162:163], v[154:155], v[10:11]
	v_mul_f64_e32 v[10:11], v[156:157], v[10:11]
	s_delay_alu instid0(VALU_DEP_4) | instskip(NEXT) | instid1(VALU_DEP_4)
	v_fma_f64 v[158:159], v[146:147], v[4:5], -v[158:159]
	v_fmac_f64_e32 v[160:161], v[148:149], v[4:5]
	ds_load_b128 v[4:7], v2 offset:1552
	ds_load_b128 v[146:149], v2 offset:1568
	v_fmac_f64_e32 v[162:163], v[156:157], v[8:9]
	v_fma_f64 v[8:9], v[154:155], v[8:9], -v[10:11]
	s_wait_loadcnt_dscnt 0x701
	v_mul_f64_e32 v[164:165], v[4:5], v[14:15]
	v_mul_f64_e32 v[14:15], v[6:7], v[14:15]
	s_wait_loadcnt_dscnt 0x600
	v_mul_f64_e32 v[156:157], v[146:147], v[124:125]
	v_mul_f64_e32 v[124:125], v[148:149], v[124:125]
	v_add_f64_e32 v[10:11], 0, v[158:159]
	v_add_f64_e32 v[154:155], 0, v[160:161]
	v_fmac_f64_e32 v[164:165], v[6:7], v[12:13]
	v_fma_f64 v[12:13], v[4:5], v[12:13], -v[14:15]
	v_fmac_f64_e32 v[156:157], v[148:149], v[122:123]
	v_fma_f64 v[122:123], v[146:147], v[122:123], -v[124:125]
	v_add_f64_e32 v[14:15], v[10:11], v[8:9]
	v_add_f64_e32 v[154:155], v[154:155], v[162:163]
	ds_load_b128 v[4:7], v2 offset:1584
	ds_load_b128 v[8:11], v2 offset:1600
	s_wait_loadcnt_dscnt 0x501
	v_mul_f64_e32 v[158:159], v[4:5], v[128:129]
	v_mul_f64_e32 v[128:129], v[6:7], v[128:129]
	s_wait_loadcnt_dscnt 0x400
	v_mul_f64_e32 v[124:125], v[8:9], v[132:133]
	v_mul_f64_e32 v[132:133], v[10:11], v[132:133]
	v_add_f64_e32 v[12:13], v[14:15], v[12:13]
	v_add_f64_e32 v[14:15], v[154:155], v[164:165]
	v_fmac_f64_e32 v[158:159], v[6:7], v[126:127]
	v_fma_f64 v[126:127], v[4:5], v[126:127], -v[128:129]
	v_fmac_f64_e32 v[124:125], v[10:11], v[130:131]
	v_fma_f64 v[8:9], v[8:9], v[130:131], -v[132:133]
	v_add_f64_e32 v[122:123], v[12:13], v[122:123]
	v_add_f64_e32 v[128:129], v[14:15], v[156:157]
	ds_load_b128 v[4:7], v2 offset:1616
	ds_load_b128 v[12:15], v2 offset:1632
	s_wait_loadcnt_dscnt 0x301
	v_mul_f64_e32 v[146:147], v[4:5], v[136:137]
	v_mul_f64_e32 v[136:137], v[6:7], v[136:137]
	v_add_f64_e32 v[10:11], v[122:123], v[126:127]
	v_add_f64_e32 v[122:123], v[128:129], v[158:159]
	s_wait_loadcnt_dscnt 0x200
	v_mul_f64_e32 v[126:127], v[12:13], v[140:141]
	v_mul_f64_e32 v[128:129], v[14:15], v[140:141]
	v_fmac_f64_e32 v[146:147], v[6:7], v[134:135]
	v_fma_f64 v[130:131], v[4:5], v[134:135], -v[136:137]
	ds_load_b128 v[4:7], v2 offset:1648
	v_add_f64_e32 v[8:9], v[10:11], v[8:9]
	v_add_f64_e32 v[10:11], v[122:123], v[124:125]
	v_fmac_f64_e32 v[126:127], v[14:15], v[138:139]
	v_fma_f64 v[12:13], v[12:13], v[138:139], -v[128:129]
	s_wait_loadcnt_dscnt 0x100
	v_mul_f64_e32 v[122:123], v[4:5], v[144:145]
	v_mul_f64_e32 v[124:125], v[6:7], v[144:145]
	v_add_f64_e32 v[8:9], v[8:9], v[130:131]
	v_add_f64_e32 v[10:11], v[10:11], v[146:147]
	s_delay_alu instid0(VALU_DEP_4) | instskip(NEXT) | instid1(VALU_DEP_4)
	v_fmac_f64_e32 v[122:123], v[6:7], v[142:143]
	v_fma_f64 v[4:5], v[4:5], v[142:143], -v[124:125]
	s_delay_alu instid0(VALU_DEP_4) | instskip(NEXT) | instid1(VALU_DEP_4)
	v_add_f64_e32 v[6:7], v[8:9], v[12:13]
	v_add_f64_e32 v[8:9], v[10:11], v[126:127]
	s_delay_alu instid0(VALU_DEP_2) | instskip(NEXT) | instid1(VALU_DEP_2)
	v_add_f64_e32 v[4:5], v[6:7], v[4:5]
	v_add_f64_e32 v[6:7], v[8:9], v[122:123]
	s_wait_loadcnt 0x0
	s_delay_alu instid0(VALU_DEP_2) | instskip(NEXT) | instid1(VALU_DEP_2)
	v_add_f64_e64 v[4:5], v[150:151], -v[4:5]
	v_add_f64_e64 v[6:7], v[152:153], -v[6:7]
	scratch_store_b128 off, v[4:7], off offset:672
	s_wait_xcnt 0x0
	v_cmpx_lt_u32_e32 41, v1
	s_cbranch_execz .LBB51_243
; %bb.242:
	scratch_load_b128 v[6:9], off, s10
	v_dual_mov_b32 v3, v2 :: v_dual_mov_b32 v4, v2
	v_mov_b32_e32 v5, v2
	scratch_store_b128 off, v[2:5], off offset:656
	s_wait_loadcnt 0x0
	ds_store_b128 v120, v[6:9]
.LBB51_243:
	s_wait_xcnt 0x0
	s_or_b32 exec_lo, exec_lo, s2
	s_wait_storecnt_dscnt 0x0
	s_barrier_signal -1
	s_barrier_wait -1
	s_clause 0x9
	scratch_load_b128 v[4:7], off, off offset:672
	scratch_load_b128 v[8:11], off, off offset:688
	;; [unrolled: 1-line block ×10, first 2 shown]
	ds_load_b128 v[150:153], v2 offset:1504
	ds_load_b128 v[154:157], v2 offset:1520
	scratch_load_b128 v[158:161], off, off offset:656
	s_mov_b32 s2, exec_lo
	s_wait_loadcnt_dscnt 0xa01
	v_mul_f64_e32 v[162:163], v[152:153], v[6:7]
	v_mul_f64_e32 v[164:165], v[150:151], v[6:7]
	s_wait_loadcnt_dscnt 0x900
	v_mul_f64_e32 v[166:167], v[154:155], v[10:11]
	v_mul_f64_e32 v[10:11], v[156:157], v[10:11]
	s_delay_alu instid0(VALU_DEP_4) | instskip(NEXT) | instid1(VALU_DEP_4)
	v_fma_f64 v[162:163], v[150:151], v[4:5], -v[162:163]
	v_fmac_f64_e32 v[164:165], v[152:153], v[4:5]
	ds_load_b128 v[4:7], v2 offset:1536
	ds_load_b128 v[150:153], v2 offset:1552
	v_fmac_f64_e32 v[166:167], v[156:157], v[8:9]
	v_fma_f64 v[8:9], v[154:155], v[8:9], -v[10:11]
	s_wait_loadcnt_dscnt 0x801
	v_mul_f64_e32 v[168:169], v[4:5], v[14:15]
	v_mul_f64_e32 v[14:15], v[6:7], v[14:15]
	s_wait_loadcnt_dscnt 0x700
	v_mul_f64_e32 v[156:157], v[150:151], v[124:125]
	v_mul_f64_e32 v[124:125], v[152:153], v[124:125]
	v_add_f64_e32 v[10:11], 0, v[162:163]
	v_add_f64_e32 v[154:155], 0, v[164:165]
	v_fmac_f64_e32 v[168:169], v[6:7], v[12:13]
	v_fma_f64 v[12:13], v[4:5], v[12:13], -v[14:15]
	v_fmac_f64_e32 v[156:157], v[152:153], v[122:123]
	v_fma_f64 v[122:123], v[150:151], v[122:123], -v[124:125]
	v_add_f64_e32 v[14:15], v[10:11], v[8:9]
	v_add_f64_e32 v[154:155], v[154:155], v[166:167]
	ds_load_b128 v[4:7], v2 offset:1568
	ds_load_b128 v[8:11], v2 offset:1584
	s_wait_loadcnt_dscnt 0x601
	v_mul_f64_e32 v[162:163], v[4:5], v[128:129]
	v_mul_f64_e32 v[128:129], v[6:7], v[128:129]
	s_wait_loadcnt_dscnt 0x500
	v_mul_f64_e32 v[124:125], v[8:9], v[132:133]
	v_mul_f64_e32 v[132:133], v[10:11], v[132:133]
	v_add_f64_e32 v[12:13], v[14:15], v[12:13]
	v_add_f64_e32 v[14:15], v[154:155], v[168:169]
	v_fmac_f64_e32 v[162:163], v[6:7], v[126:127]
	v_fma_f64 v[126:127], v[4:5], v[126:127], -v[128:129]
	v_fmac_f64_e32 v[124:125], v[10:11], v[130:131]
	v_fma_f64 v[8:9], v[8:9], v[130:131], -v[132:133]
	v_add_f64_e32 v[122:123], v[12:13], v[122:123]
	v_add_f64_e32 v[128:129], v[14:15], v[156:157]
	ds_load_b128 v[4:7], v2 offset:1600
	ds_load_b128 v[12:15], v2 offset:1616
	s_wait_loadcnt_dscnt 0x401
	v_mul_f64_e32 v[150:151], v[4:5], v[136:137]
	v_mul_f64_e32 v[136:137], v[6:7], v[136:137]
	v_add_f64_e32 v[10:11], v[122:123], v[126:127]
	v_add_f64_e32 v[122:123], v[128:129], v[162:163]
	s_wait_loadcnt_dscnt 0x300
	v_mul_f64_e32 v[126:127], v[12:13], v[140:141]
	v_mul_f64_e32 v[128:129], v[14:15], v[140:141]
	v_fmac_f64_e32 v[150:151], v[6:7], v[134:135]
	v_fma_f64 v[130:131], v[4:5], v[134:135], -v[136:137]
	v_add_f64_e32 v[132:133], v[10:11], v[8:9]
	v_add_f64_e32 v[122:123], v[122:123], v[124:125]
	ds_load_b128 v[4:7], v2 offset:1632
	ds_load_b128 v[8:11], v2 offset:1648
	v_fmac_f64_e32 v[126:127], v[14:15], v[138:139]
	v_fma_f64 v[12:13], v[12:13], v[138:139], -v[128:129]
	s_wait_loadcnt_dscnt 0x201
	v_mul_f64_e32 v[2:3], v[4:5], v[144:145]
	v_mul_f64_e32 v[124:125], v[6:7], v[144:145]
	s_wait_loadcnt_dscnt 0x100
	v_mul_f64_e32 v[128:129], v[8:9], v[148:149]
	v_add_f64_e32 v[14:15], v[132:133], v[130:131]
	v_add_f64_e32 v[122:123], v[122:123], v[150:151]
	v_mul_f64_e32 v[130:131], v[10:11], v[148:149]
	v_fmac_f64_e32 v[2:3], v[6:7], v[142:143]
	v_fma_f64 v[4:5], v[4:5], v[142:143], -v[124:125]
	v_fmac_f64_e32 v[128:129], v[10:11], v[146:147]
	v_add_f64_e32 v[6:7], v[14:15], v[12:13]
	v_add_f64_e32 v[12:13], v[122:123], v[126:127]
	v_fma_f64 v[8:9], v[8:9], v[146:147], -v[130:131]
	s_delay_alu instid0(VALU_DEP_3) | instskip(NEXT) | instid1(VALU_DEP_3)
	v_add_f64_e32 v[4:5], v[6:7], v[4:5]
	v_add_f64_e32 v[2:3], v[12:13], v[2:3]
	s_delay_alu instid0(VALU_DEP_2) | instskip(NEXT) | instid1(VALU_DEP_2)
	v_add_f64_e32 v[4:5], v[4:5], v[8:9]
	v_add_f64_e32 v[6:7], v[2:3], v[128:129]
	s_wait_loadcnt 0x0
	s_delay_alu instid0(VALU_DEP_2) | instskip(NEXT) | instid1(VALU_DEP_2)
	v_add_f64_e64 v[2:3], v[158:159], -v[4:5]
	v_add_f64_e64 v[4:5], v[160:161], -v[6:7]
	scratch_store_b128 off, v[2:5], off offset:656
	s_wait_xcnt 0x0
	v_cmpx_lt_u32_e32 40, v1
	s_cbranch_execz .LBB51_245
; %bb.244:
	scratch_load_b128 v[2:5], off, s13
	v_mov_b32_e32 v6, 0
	s_delay_alu instid0(VALU_DEP_1)
	v_dual_mov_b32 v7, v6 :: v_dual_mov_b32 v8, v6
	v_mov_b32_e32 v9, v6
	scratch_store_b128 off, v[6:9], off offset:640
	s_wait_loadcnt 0x0
	ds_store_b128 v120, v[2:5]
.LBB51_245:
	s_wait_xcnt 0x0
	s_or_b32 exec_lo, exec_lo, s2
	s_wait_storecnt_dscnt 0x0
	s_barrier_signal -1
	s_barrier_wait -1
	s_clause 0x9
	scratch_load_b128 v[4:7], off, off offset:656
	scratch_load_b128 v[8:11], off, off offset:672
	;; [unrolled: 1-line block ×10, first 2 shown]
	v_mov_b32_e32 v2, 0
	s_mov_b32 s2, exec_lo
	ds_load_b128 v[150:153], v2 offset:1488
	s_clause 0x1
	scratch_load_b128 v[154:157], off, off offset:816
	scratch_load_b128 v[158:161], off, off offset:640
	s_wait_loadcnt_dscnt 0xb00
	v_mul_f64_e32 v[166:167], v[152:153], v[6:7]
	v_mul_f64_e32 v[168:169], v[150:151], v[6:7]
	ds_load_b128 v[162:165], v2 offset:1504
	s_wait_loadcnt_dscnt 0xa00
	v_mul_f64_e32 v[170:171], v[162:163], v[10:11]
	v_mul_f64_e32 v[10:11], v[164:165], v[10:11]
	v_fma_f64 v[166:167], v[150:151], v[4:5], -v[166:167]
	v_fmac_f64_e32 v[168:169], v[152:153], v[4:5]
	ds_load_b128 v[4:7], v2 offset:1520
	ds_load_b128 v[150:153], v2 offset:1536
	s_wait_loadcnt_dscnt 0x901
	v_mul_f64_e32 v[172:173], v[4:5], v[14:15]
	v_mul_f64_e32 v[14:15], v[6:7], v[14:15]
	v_fmac_f64_e32 v[170:171], v[164:165], v[8:9]
	v_fma_f64 v[8:9], v[162:163], v[8:9], -v[10:11]
	s_wait_loadcnt_dscnt 0x800
	v_mul_f64_e32 v[164:165], v[150:151], v[124:125]
	v_mul_f64_e32 v[124:125], v[152:153], v[124:125]
	v_add_f64_e32 v[10:11], 0, v[166:167]
	v_add_f64_e32 v[162:163], 0, v[168:169]
	v_fmac_f64_e32 v[172:173], v[6:7], v[12:13]
	v_fma_f64 v[12:13], v[4:5], v[12:13], -v[14:15]
	v_fmac_f64_e32 v[164:165], v[152:153], v[122:123]
	v_fma_f64 v[122:123], v[150:151], v[122:123], -v[124:125]
	v_add_f64_e32 v[14:15], v[10:11], v[8:9]
	v_add_f64_e32 v[162:163], v[162:163], v[170:171]
	ds_load_b128 v[4:7], v2 offset:1552
	ds_load_b128 v[8:11], v2 offset:1568
	s_wait_loadcnt_dscnt 0x701
	v_mul_f64_e32 v[166:167], v[4:5], v[128:129]
	v_mul_f64_e32 v[128:129], v[6:7], v[128:129]
	s_wait_loadcnt_dscnt 0x600
	v_mul_f64_e32 v[124:125], v[8:9], v[132:133]
	v_mul_f64_e32 v[132:133], v[10:11], v[132:133]
	v_add_f64_e32 v[12:13], v[14:15], v[12:13]
	v_add_f64_e32 v[14:15], v[162:163], v[172:173]
	v_fmac_f64_e32 v[166:167], v[6:7], v[126:127]
	v_fma_f64 v[126:127], v[4:5], v[126:127], -v[128:129]
	v_fmac_f64_e32 v[124:125], v[10:11], v[130:131]
	v_fma_f64 v[8:9], v[8:9], v[130:131], -v[132:133]
	v_add_f64_e32 v[122:123], v[12:13], v[122:123]
	v_add_f64_e32 v[128:129], v[14:15], v[164:165]
	ds_load_b128 v[4:7], v2 offset:1584
	ds_load_b128 v[12:15], v2 offset:1600
	s_wait_loadcnt_dscnt 0x501
	v_mul_f64_e32 v[150:151], v[4:5], v[136:137]
	v_mul_f64_e32 v[136:137], v[6:7], v[136:137]
	v_add_f64_e32 v[10:11], v[122:123], v[126:127]
	v_add_f64_e32 v[122:123], v[128:129], v[166:167]
	s_wait_loadcnt_dscnt 0x400
	v_mul_f64_e32 v[126:127], v[12:13], v[140:141]
	v_mul_f64_e32 v[128:129], v[14:15], v[140:141]
	v_fmac_f64_e32 v[150:151], v[6:7], v[134:135]
	v_fma_f64 v[130:131], v[4:5], v[134:135], -v[136:137]
	v_add_f64_e32 v[132:133], v[10:11], v[8:9]
	v_add_f64_e32 v[122:123], v[122:123], v[124:125]
	ds_load_b128 v[4:7], v2 offset:1616
	ds_load_b128 v[8:11], v2 offset:1632
	v_fmac_f64_e32 v[126:127], v[14:15], v[138:139]
	v_fma_f64 v[12:13], v[12:13], v[138:139], -v[128:129]
	s_wait_loadcnt_dscnt 0x301
	v_mul_f64_e32 v[124:125], v[4:5], v[144:145]
	v_mul_f64_e32 v[134:135], v[6:7], v[144:145]
	s_wait_loadcnt_dscnt 0x200
	v_mul_f64_e32 v[128:129], v[8:9], v[148:149]
	v_add_f64_e32 v[14:15], v[132:133], v[130:131]
	v_add_f64_e32 v[122:123], v[122:123], v[150:151]
	v_mul_f64_e32 v[130:131], v[10:11], v[148:149]
	v_fmac_f64_e32 v[124:125], v[6:7], v[142:143]
	v_fma_f64 v[132:133], v[4:5], v[142:143], -v[134:135]
	ds_load_b128 v[4:7], v2 offset:1648
	v_fmac_f64_e32 v[128:129], v[10:11], v[146:147]
	v_add_f64_e32 v[12:13], v[14:15], v[12:13]
	v_add_f64_e32 v[14:15], v[122:123], v[126:127]
	v_fma_f64 v[8:9], v[8:9], v[146:147], -v[130:131]
	s_wait_loadcnt_dscnt 0x100
	v_mul_f64_e32 v[122:123], v[4:5], v[156:157]
	v_mul_f64_e32 v[126:127], v[6:7], v[156:157]
	v_add_f64_e32 v[10:11], v[12:13], v[132:133]
	v_add_f64_e32 v[12:13], v[14:15], v[124:125]
	s_delay_alu instid0(VALU_DEP_4) | instskip(NEXT) | instid1(VALU_DEP_4)
	v_fmac_f64_e32 v[122:123], v[6:7], v[154:155]
	v_fma_f64 v[4:5], v[4:5], v[154:155], -v[126:127]
	s_delay_alu instid0(VALU_DEP_4) | instskip(NEXT) | instid1(VALU_DEP_4)
	v_add_f64_e32 v[6:7], v[10:11], v[8:9]
	v_add_f64_e32 v[8:9], v[12:13], v[128:129]
	s_delay_alu instid0(VALU_DEP_2) | instskip(NEXT) | instid1(VALU_DEP_2)
	v_add_f64_e32 v[4:5], v[6:7], v[4:5]
	v_add_f64_e32 v[6:7], v[8:9], v[122:123]
	s_wait_loadcnt 0x0
	s_delay_alu instid0(VALU_DEP_2) | instskip(NEXT) | instid1(VALU_DEP_2)
	v_add_f64_e64 v[4:5], v[158:159], -v[4:5]
	v_add_f64_e64 v[6:7], v[160:161], -v[6:7]
	scratch_store_b128 off, v[4:7], off offset:640
	s_wait_xcnt 0x0
	v_cmpx_lt_u32_e32 39, v1
	s_cbranch_execz .LBB51_247
; %bb.246:
	scratch_load_b128 v[6:9], off, s12
	v_dual_mov_b32 v3, v2 :: v_dual_mov_b32 v4, v2
	v_mov_b32_e32 v5, v2
	scratch_store_b128 off, v[2:5], off offset:624
	s_wait_loadcnt 0x0
	ds_store_b128 v120, v[6:9]
.LBB51_247:
	s_wait_xcnt 0x0
	s_or_b32 exec_lo, exec_lo, s2
	s_wait_storecnt_dscnt 0x0
	s_barrier_signal -1
	s_barrier_wait -1
	s_clause 0x9
	scratch_load_b128 v[4:7], off, off offset:640
	scratch_load_b128 v[8:11], off, off offset:656
	;; [unrolled: 1-line block ×10, first 2 shown]
	ds_load_b128 v[150:153], v2 offset:1472
	ds_load_b128 v[158:161], v2 offset:1488
	s_clause 0x2
	scratch_load_b128 v[154:157], off, off offset:800
	scratch_load_b128 v[162:165], off, off offset:624
	;; [unrolled: 1-line block ×3, first 2 shown]
	s_mov_b32 s2, exec_lo
	s_wait_loadcnt_dscnt 0xc01
	v_mul_f64_e32 v[170:171], v[152:153], v[6:7]
	v_mul_f64_e32 v[172:173], v[150:151], v[6:7]
	s_wait_loadcnt_dscnt 0xb00
	v_mul_f64_e32 v[174:175], v[158:159], v[10:11]
	v_mul_f64_e32 v[10:11], v[160:161], v[10:11]
	s_delay_alu instid0(VALU_DEP_4) | instskip(NEXT) | instid1(VALU_DEP_4)
	v_fma_f64 v[170:171], v[150:151], v[4:5], -v[170:171]
	v_fmac_f64_e32 v[172:173], v[152:153], v[4:5]
	ds_load_b128 v[4:7], v2 offset:1504
	ds_load_b128 v[150:153], v2 offset:1520
	v_fmac_f64_e32 v[174:175], v[160:161], v[8:9]
	v_fma_f64 v[8:9], v[158:159], v[8:9], -v[10:11]
	s_wait_loadcnt_dscnt 0xa01
	v_mul_f64_e32 v[176:177], v[4:5], v[14:15]
	v_mul_f64_e32 v[14:15], v[6:7], v[14:15]
	s_wait_loadcnt_dscnt 0x900
	v_mul_f64_e32 v[160:161], v[150:151], v[124:125]
	v_mul_f64_e32 v[124:125], v[152:153], v[124:125]
	v_add_f64_e32 v[10:11], 0, v[170:171]
	v_add_f64_e32 v[158:159], 0, v[172:173]
	v_fmac_f64_e32 v[176:177], v[6:7], v[12:13]
	v_fma_f64 v[12:13], v[4:5], v[12:13], -v[14:15]
	v_fmac_f64_e32 v[160:161], v[152:153], v[122:123]
	v_fma_f64 v[122:123], v[150:151], v[122:123], -v[124:125]
	v_add_f64_e32 v[14:15], v[10:11], v[8:9]
	v_add_f64_e32 v[158:159], v[158:159], v[174:175]
	ds_load_b128 v[4:7], v2 offset:1536
	ds_load_b128 v[8:11], v2 offset:1552
	s_wait_loadcnt_dscnt 0x801
	v_mul_f64_e32 v[170:171], v[4:5], v[128:129]
	v_mul_f64_e32 v[128:129], v[6:7], v[128:129]
	s_wait_loadcnt_dscnt 0x700
	v_mul_f64_e32 v[124:125], v[8:9], v[132:133]
	v_mul_f64_e32 v[132:133], v[10:11], v[132:133]
	v_add_f64_e32 v[12:13], v[14:15], v[12:13]
	v_add_f64_e32 v[14:15], v[158:159], v[176:177]
	v_fmac_f64_e32 v[170:171], v[6:7], v[126:127]
	v_fma_f64 v[126:127], v[4:5], v[126:127], -v[128:129]
	v_fmac_f64_e32 v[124:125], v[10:11], v[130:131]
	v_fma_f64 v[8:9], v[8:9], v[130:131], -v[132:133]
	v_add_f64_e32 v[122:123], v[12:13], v[122:123]
	v_add_f64_e32 v[128:129], v[14:15], v[160:161]
	ds_load_b128 v[4:7], v2 offset:1568
	ds_load_b128 v[12:15], v2 offset:1584
	s_wait_loadcnt_dscnt 0x601
	v_mul_f64_e32 v[150:151], v[4:5], v[136:137]
	v_mul_f64_e32 v[136:137], v[6:7], v[136:137]
	v_add_f64_e32 v[10:11], v[122:123], v[126:127]
	v_add_f64_e32 v[122:123], v[128:129], v[170:171]
	s_wait_loadcnt_dscnt 0x500
	v_mul_f64_e32 v[126:127], v[12:13], v[140:141]
	v_mul_f64_e32 v[128:129], v[14:15], v[140:141]
	v_fmac_f64_e32 v[150:151], v[6:7], v[134:135]
	v_fma_f64 v[130:131], v[4:5], v[134:135], -v[136:137]
	v_add_f64_e32 v[132:133], v[10:11], v[8:9]
	v_add_f64_e32 v[122:123], v[122:123], v[124:125]
	ds_load_b128 v[4:7], v2 offset:1600
	ds_load_b128 v[8:11], v2 offset:1616
	v_fmac_f64_e32 v[126:127], v[14:15], v[138:139]
	v_fma_f64 v[12:13], v[12:13], v[138:139], -v[128:129]
	s_wait_loadcnt_dscnt 0x401
	v_mul_f64_e32 v[124:125], v[4:5], v[144:145]
	v_mul_f64_e32 v[134:135], v[6:7], v[144:145]
	s_wait_loadcnt_dscnt 0x300
	v_mul_f64_e32 v[128:129], v[8:9], v[148:149]
	v_add_f64_e32 v[14:15], v[132:133], v[130:131]
	v_add_f64_e32 v[122:123], v[122:123], v[150:151]
	v_mul_f64_e32 v[130:131], v[10:11], v[148:149]
	v_fmac_f64_e32 v[124:125], v[6:7], v[142:143]
	v_fma_f64 v[132:133], v[4:5], v[142:143], -v[134:135]
	v_fmac_f64_e32 v[128:129], v[10:11], v[146:147]
	v_add_f64_e32 v[134:135], v[14:15], v[12:13]
	v_add_f64_e32 v[122:123], v[122:123], v[126:127]
	ds_load_b128 v[4:7], v2 offset:1632
	ds_load_b128 v[12:15], v2 offset:1648
	v_fma_f64 v[8:9], v[8:9], v[146:147], -v[130:131]
	s_wait_loadcnt_dscnt 0x201
	v_mul_f64_e32 v[2:3], v[4:5], v[156:157]
	v_mul_f64_e32 v[126:127], v[6:7], v[156:157]
	s_wait_loadcnt_dscnt 0x0
	v_mul_f64_e32 v[130:131], v[14:15], v[168:169]
	v_add_f64_e32 v[10:11], v[134:135], v[132:133]
	v_add_f64_e32 v[122:123], v[122:123], v[124:125]
	v_mul_f64_e32 v[124:125], v[12:13], v[168:169]
	v_fmac_f64_e32 v[2:3], v[6:7], v[154:155]
	v_fma_f64 v[4:5], v[4:5], v[154:155], -v[126:127]
	v_add_f64_e32 v[6:7], v[10:11], v[8:9]
	v_add_f64_e32 v[8:9], v[122:123], v[128:129]
	v_fmac_f64_e32 v[124:125], v[14:15], v[166:167]
	v_fma_f64 v[10:11], v[12:13], v[166:167], -v[130:131]
	s_delay_alu instid0(VALU_DEP_4) | instskip(NEXT) | instid1(VALU_DEP_4)
	v_add_f64_e32 v[4:5], v[6:7], v[4:5]
	v_add_f64_e32 v[2:3], v[8:9], v[2:3]
	s_delay_alu instid0(VALU_DEP_2) | instskip(NEXT) | instid1(VALU_DEP_2)
	v_add_f64_e32 v[4:5], v[4:5], v[10:11]
	v_add_f64_e32 v[6:7], v[2:3], v[124:125]
	s_delay_alu instid0(VALU_DEP_2) | instskip(NEXT) | instid1(VALU_DEP_2)
	v_add_f64_e64 v[2:3], v[162:163], -v[4:5]
	v_add_f64_e64 v[4:5], v[164:165], -v[6:7]
	scratch_store_b128 off, v[2:5], off offset:624
	s_wait_xcnt 0x0
	v_cmpx_lt_u32_e32 38, v1
	s_cbranch_execz .LBB51_249
; %bb.248:
	scratch_load_b128 v[2:5], off, s15
	v_mov_b32_e32 v6, 0
	s_delay_alu instid0(VALU_DEP_1)
	v_dual_mov_b32 v7, v6 :: v_dual_mov_b32 v8, v6
	v_mov_b32_e32 v9, v6
	scratch_store_b128 off, v[6:9], off offset:608
	s_wait_loadcnt 0x0
	ds_store_b128 v120, v[2:5]
.LBB51_249:
	s_wait_xcnt 0x0
	s_or_b32 exec_lo, exec_lo, s2
	s_wait_storecnt_dscnt 0x0
	s_barrier_signal -1
	s_barrier_wait -1
	s_clause 0x9
	scratch_load_b128 v[4:7], off, off offset:624
	scratch_load_b128 v[8:11], off, off offset:640
	;; [unrolled: 1-line block ×10, first 2 shown]
	v_mov_b32_e32 v2, 0
	s_mov_b32 s2, exec_lo
	ds_load_b128 v[150:153], v2 offset:1456
	s_clause 0x2
	scratch_load_b128 v[154:157], off, off offset:784
	scratch_load_b128 v[158:161], off, off offset:608
	;; [unrolled: 1-line block ×3, first 2 shown]
	s_wait_loadcnt_dscnt 0xc00
	v_mul_f64_e32 v[170:171], v[152:153], v[6:7]
	v_mul_f64_e32 v[174:175], v[150:151], v[6:7]
	ds_load_b128 v[162:165], v2 offset:1472
	v_fma_f64 v[178:179], v[150:151], v[4:5], -v[170:171]
	v_fmac_f64_e32 v[174:175], v[152:153], v[4:5]
	ds_load_b128 v[4:7], v2 offset:1488
	s_wait_loadcnt_dscnt 0xb01
	v_mul_f64_e32 v[176:177], v[162:163], v[10:11]
	v_mul_f64_e32 v[10:11], v[164:165], v[10:11]
	scratch_load_b128 v[150:153], off, off offset:816
	ds_load_b128 v[170:173], v2 offset:1504
	s_wait_loadcnt_dscnt 0xb01
	v_mul_f64_e32 v[180:181], v[4:5], v[14:15]
	v_mul_f64_e32 v[14:15], v[6:7], v[14:15]
	v_fmac_f64_e32 v[176:177], v[164:165], v[8:9]
	v_fma_f64 v[8:9], v[162:163], v[8:9], -v[10:11]
	v_add_f64_e32 v[10:11], 0, v[178:179]
	v_add_f64_e32 v[162:163], 0, v[174:175]
	s_wait_loadcnt_dscnt 0xa00
	v_mul_f64_e32 v[164:165], v[170:171], v[124:125]
	v_mul_f64_e32 v[124:125], v[172:173], v[124:125]
	v_fmac_f64_e32 v[180:181], v[6:7], v[12:13]
	v_fma_f64 v[12:13], v[4:5], v[12:13], -v[14:15]
	v_add_f64_e32 v[14:15], v[10:11], v[8:9]
	v_add_f64_e32 v[162:163], v[162:163], v[176:177]
	ds_load_b128 v[4:7], v2 offset:1520
	ds_load_b128 v[8:11], v2 offset:1536
	v_fmac_f64_e32 v[164:165], v[172:173], v[122:123]
	v_fma_f64 v[122:123], v[170:171], v[122:123], -v[124:125]
	s_wait_loadcnt_dscnt 0x901
	v_mul_f64_e32 v[174:175], v[4:5], v[128:129]
	v_mul_f64_e32 v[128:129], v[6:7], v[128:129]
	s_wait_loadcnt_dscnt 0x800
	v_mul_f64_e32 v[124:125], v[8:9], v[132:133]
	v_mul_f64_e32 v[132:133], v[10:11], v[132:133]
	v_add_f64_e32 v[12:13], v[14:15], v[12:13]
	v_add_f64_e32 v[14:15], v[162:163], v[180:181]
	v_fmac_f64_e32 v[174:175], v[6:7], v[126:127]
	v_fma_f64 v[126:127], v[4:5], v[126:127], -v[128:129]
	v_fmac_f64_e32 v[124:125], v[10:11], v[130:131]
	v_fma_f64 v[8:9], v[8:9], v[130:131], -v[132:133]
	v_add_f64_e32 v[122:123], v[12:13], v[122:123]
	v_add_f64_e32 v[128:129], v[14:15], v[164:165]
	ds_load_b128 v[4:7], v2 offset:1552
	ds_load_b128 v[12:15], v2 offset:1568
	s_wait_loadcnt_dscnt 0x701
	v_mul_f64_e32 v[162:163], v[4:5], v[136:137]
	v_mul_f64_e32 v[136:137], v[6:7], v[136:137]
	v_add_f64_e32 v[10:11], v[122:123], v[126:127]
	v_add_f64_e32 v[122:123], v[128:129], v[174:175]
	s_wait_loadcnt_dscnt 0x600
	v_mul_f64_e32 v[126:127], v[12:13], v[140:141]
	v_mul_f64_e32 v[128:129], v[14:15], v[140:141]
	v_fmac_f64_e32 v[162:163], v[6:7], v[134:135]
	v_fma_f64 v[130:131], v[4:5], v[134:135], -v[136:137]
	v_add_f64_e32 v[132:133], v[10:11], v[8:9]
	v_add_f64_e32 v[122:123], v[122:123], v[124:125]
	ds_load_b128 v[4:7], v2 offset:1584
	ds_load_b128 v[8:11], v2 offset:1600
	v_fmac_f64_e32 v[126:127], v[14:15], v[138:139]
	v_fma_f64 v[12:13], v[12:13], v[138:139], -v[128:129]
	s_wait_loadcnt_dscnt 0x501
	v_mul_f64_e32 v[124:125], v[4:5], v[144:145]
	v_mul_f64_e32 v[134:135], v[6:7], v[144:145]
	s_wait_loadcnt_dscnt 0x400
	v_mul_f64_e32 v[128:129], v[8:9], v[148:149]
	v_add_f64_e32 v[14:15], v[132:133], v[130:131]
	v_add_f64_e32 v[122:123], v[122:123], v[162:163]
	v_mul_f64_e32 v[130:131], v[10:11], v[148:149]
	v_fmac_f64_e32 v[124:125], v[6:7], v[142:143]
	v_fma_f64 v[132:133], v[4:5], v[142:143], -v[134:135]
	v_fmac_f64_e32 v[128:129], v[10:11], v[146:147]
	v_add_f64_e32 v[134:135], v[14:15], v[12:13]
	v_add_f64_e32 v[122:123], v[122:123], v[126:127]
	ds_load_b128 v[4:7], v2 offset:1616
	ds_load_b128 v[12:15], v2 offset:1632
	v_fma_f64 v[8:9], v[8:9], v[146:147], -v[130:131]
	s_wait_loadcnt_dscnt 0x301
	v_mul_f64_e32 v[126:127], v[4:5], v[156:157]
	v_mul_f64_e32 v[136:137], v[6:7], v[156:157]
	s_wait_loadcnt_dscnt 0x100
	v_mul_f64_e32 v[130:131], v[14:15], v[168:169]
	v_add_f64_e32 v[10:11], v[134:135], v[132:133]
	v_add_f64_e32 v[122:123], v[122:123], v[124:125]
	v_mul_f64_e32 v[124:125], v[12:13], v[168:169]
	v_fmac_f64_e32 v[126:127], v[6:7], v[154:155]
	v_fma_f64 v[132:133], v[4:5], v[154:155], -v[136:137]
	ds_load_b128 v[4:7], v2 offset:1648
	v_fma_f64 v[12:13], v[12:13], v[166:167], -v[130:131]
	v_add_f64_e32 v[8:9], v[10:11], v[8:9]
	v_add_f64_e32 v[10:11], v[122:123], v[128:129]
	v_fmac_f64_e32 v[124:125], v[14:15], v[166:167]
	s_wait_loadcnt_dscnt 0x0
	v_mul_f64_e32 v[122:123], v[4:5], v[152:153]
	v_mul_f64_e32 v[128:129], v[6:7], v[152:153]
	v_add_f64_e32 v[8:9], v[8:9], v[132:133]
	v_add_f64_e32 v[10:11], v[10:11], v[126:127]
	s_delay_alu instid0(VALU_DEP_4) | instskip(NEXT) | instid1(VALU_DEP_4)
	v_fmac_f64_e32 v[122:123], v[6:7], v[150:151]
	v_fma_f64 v[4:5], v[4:5], v[150:151], -v[128:129]
	s_delay_alu instid0(VALU_DEP_4) | instskip(NEXT) | instid1(VALU_DEP_4)
	v_add_f64_e32 v[6:7], v[8:9], v[12:13]
	v_add_f64_e32 v[8:9], v[10:11], v[124:125]
	s_delay_alu instid0(VALU_DEP_2) | instskip(NEXT) | instid1(VALU_DEP_2)
	v_add_f64_e32 v[4:5], v[6:7], v[4:5]
	v_add_f64_e32 v[6:7], v[8:9], v[122:123]
	s_delay_alu instid0(VALU_DEP_2) | instskip(NEXT) | instid1(VALU_DEP_2)
	v_add_f64_e64 v[4:5], v[158:159], -v[4:5]
	v_add_f64_e64 v[6:7], v[160:161], -v[6:7]
	scratch_store_b128 off, v[4:7], off offset:608
	s_wait_xcnt 0x0
	v_cmpx_lt_u32_e32 37, v1
	s_cbranch_execz .LBB51_251
; %bb.250:
	scratch_load_b128 v[6:9], off, s14
	v_dual_mov_b32 v3, v2 :: v_dual_mov_b32 v4, v2
	v_mov_b32_e32 v5, v2
	scratch_store_b128 off, v[2:5], off offset:592
	s_wait_loadcnt 0x0
	ds_store_b128 v120, v[6:9]
.LBB51_251:
	s_wait_xcnt 0x0
	s_or_b32 exec_lo, exec_lo, s2
	s_wait_storecnt_dscnt 0x0
	s_barrier_signal -1
	s_barrier_wait -1
	s_clause 0x9
	scratch_load_b128 v[4:7], off, off offset:608
	scratch_load_b128 v[8:11], off, off offset:624
	;; [unrolled: 1-line block ×10, first 2 shown]
	ds_load_b128 v[150:153], v2 offset:1440
	ds_load_b128 v[158:161], v2 offset:1456
	s_clause 0x2
	scratch_load_b128 v[154:157], off, off offset:768
	scratch_load_b128 v[162:165], off, off offset:592
	;; [unrolled: 1-line block ×3, first 2 shown]
	s_mov_b32 s2, exec_lo
	s_wait_loadcnt_dscnt 0xc01
	v_mul_f64_e32 v[170:171], v[152:153], v[6:7]
	v_mul_f64_e32 v[174:175], v[150:151], v[6:7]
	s_wait_loadcnt_dscnt 0xb00
	v_mul_f64_e32 v[176:177], v[158:159], v[10:11]
	v_mul_f64_e32 v[10:11], v[160:161], v[10:11]
	s_delay_alu instid0(VALU_DEP_4) | instskip(NEXT) | instid1(VALU_DEP_4)
	v_fma_f64 v[178:179], v[150:151], v[4:5], -v[170:171]
	v_fmac_f64_e32 v[174:175], v[152:153], v[4:5]
	ds_load_b128 v[4:7], v2 offset:1472
	ds_load_b128 v[150:153], v2 offset:1488
	scratch_load_b128 v[170:173], off, off offset:800
	v_fmac_f64_e32 v[176:177], v[160:161], v[8:9]
	v_fma_f64 v[158:159], v[158:159], v[8:9], -v[10:11]
	scratch_load_b128 v[8:11], off, off offset:816
	s_wait_loadcnt_dscnt 0xc01
	v_mul_f64_e32 v[180:181], v[4:5], v[14:15]
	v_mul_f64_e32 v[14:15], v[6:7], v[14:15]
	v_add_f64_e32 v[160:161], 0, v[178:179]
	v_add_f64_e32 v[174:175], 0, v[174:175]
	s_wait_loadcnt_dscnt 0xb00
	v_mul_f64_e32 v[178:179], v[150:151], v[124:125]
	v_mul_f64_e32 v[124:125], v[152:153], v[124:125]
	v_fmac_f64_e32 v[180:181], v[6:7], v[12:13]
	v_fma_f64 v[182:183], v[4:5], v[12:13], -v[14:15]
	ds_load_b128 v[4:7], v2 offset:1504
	ds_load_b128 v[12:15], v2 offset:1520
	v_add_f64_e32 v[158:159], v[160:161], v[158:159]
	v_add_f64_e32 v[160:161], v[174:175], v[176:177]
	v_fmac_f64_e32 v[178:179], v[152:153], v[122:123]
	v_fma_f64 v[122:123], v[150:151], v[122:123], -v[124:125]
	s_wait_loadcnt_dscnt 0xa01
	v_mul_f64_e32 v[174:175], v[4:5], v[128:129]
	v_mul_f64_e32 v[128:129], v[6:7], v[128:129]
	s_wait_loadcnt_dscnt 0x900
	v_mul_f64_e32 v[152:153], v[12:13], v[132:133]
	v_mul_f64_e32 v[132:133], v[14:15], v[132:133]
	v_add_f64_e32 v[124:125], v[158:159], v[182:183]
	v_add_f64_e32 v[150:151], v[160:161], v[180:181]
	v_fmac_f64_e32 v[174:175], v[6:7], v[126:127]
	v_fma_f64 v[126:127], v[4:5], v[126:127], -v[128:129]
	v_fmac_f64_e32 v[152:153], v[14:15], v[130:131]
	v_fma_f64 v[12:13], v[12:13], v[130:131], -v[132:133]
	v_add_f64_e32 v[128:129], v[124:125], v[122:123]
	v_add_f64_e32 v[150:151], v[150:151], v[178:179]
	ds_load_b128 v[4:7], v2 offset:1536
	ds_load_b128 v[122:125], v2 offset:1552
	s_wait_loadcnt_dscnt 0x801
	v_mul_f64_e32 v[158:159], v[4:5], v[136:137]
	v_mul_f64_e32 v[136:137], v[6:7], v[136:137]
	s_wait_loadcnt_dscnt 0x700
	v_mul_f64_e32 v[130:131], v[124:125], v[140:141]
	v_add_f64_e32 v[14:15], v[128:129], v[126:127]
	v_add_f64_e32 v[126:127], v[150:151], v[174:175]
	v_mul_f64_e32 v[128:129], v[122:123], v[140:141]
	v_fmac_f64_e32 v[158:159], v[6:7], v[134:135]
	v_fma_f64 v[132:133], v[4:5], v[134:135], -v[136:137]
	v_fma_f64 v[122:123], v[122:123], v[138:139], -v[130:131]
	v_add_f64_e32 v[134:135], v[14:15], v[12:13]
	v_add_f64_e32 v[126:127], v[126:127], v[152:153]
	ds_load_b128 v[4:7], v2 offset:1568
	ds_load_b128 v[12:15], v2 offset:1584
	v_fmac_f64_e32 v[128:129], v[124:125], v[138:139]
	s_wait_loadcnt_dscnt 0x601
	v_mul_f64_e32 v[136:137], v[4:5], v[144:145]
	v_mul_f64_e32 v[140:141], v[6:7], v[144:145]
	s_wait_loadcnt_dscnt 0x500
	v_mul_f64_e32 v[130:131], v[12:13], v[148:149]
	v_add_f64_e32 v[124:125], v[134:135], v[132:133]
	v_add_f64_e32 v[126:127], v[126:127], v[158:159]
	v_mul_f64_e32 v[132:133], v[14:15], v[148:149]
	v_fmac_f64_e32 v[136:137], v[6:7], v[142:143]
	v_fma_f64 v[134:135], v[4:5], v[142:143], -v[140:141]
	v_fmac_f64_e32 v[130:131], v[14:15], v[146:147]
	v_add_f64_e32 v[138:139], v[124:125], v[122:123]
	v_add_f64_e32 v[126:127], v[126:127], v[128:129]
	ds_load_b128 v[4:7], v2 offset:1600
	ds_load_b128 v[122:125], v2 offset:1616
	v_fma_f64 v[12:13], v[12:13], v[146:147], -v[132:133]
	s_wait_loadcnt_dscnt 0x401
	v_mul_f64_e32 v[128:129], v[4:5], v[156:157]
	v_mul_f64_e32 v[140:141], v[6:7], v[156:157]
	s_wait_loadcnt_dscnt 0x200
	v_mul_f64_e32 v[132:133], v[122:123], v[168:169]
	v_add_f64_e32 v[14:15], v[138:139], v[134:135]
	v_add_f64_e32 v[126:127], v[126:127], v[136:137]
	v_mul_f64_e32 v[134:135], v[124:125], v[168:169]
	v_fmac_f64_e32 v[128:129], v[6:7], v[154:155]
	v_fma_f64 v[136:137], v[4:5], v[154:155], -v[140:141]
	v_fmac_f64_e32 v[132:133], v[124:125], v[166:167]
	v_add_f64_e32 v[138:139], v[14:15], v[12:13]
	v_add_f64_e32 v[126:127], v[126:127], v[130:131]
	ds_load_b128 v[4:7], v2 offset:1632
	ds_load_b128 v[12:15], v2 offset:1648
	v_fma_f64 v[122:123], v[122:123], v[166:167], -v[134:135]
	s_wait_loadcnt_dscnt 0x101
	v_mul_f64_e32 v[2:3], v[4:5], v[172:173]
	v_mul_f64_e32 v[130:131], v[6:7], v[172:173]
	v_add_f64_e32 v[124:125], v[138:139], v[136:137]
	v_add_f64_e32 v[126:127], v[126:127], v[128:129]
	s_wait_loadcnt_dscnt 0x0
	v_mul_f64_e32 v[128:129], v[12:13], v[10:11]
	v_mul_f64_e32 v[10:11], v[14:15], v[10:11]
	v_fmac_f64_e32 v[2:3], v[6:7], v[170:171]
	v_fma_f64 v[4:5], v[4:5], v[170:171], -v[130:131]
	v_add_f64_e32 v[6:7], v[124:125], v[122:123]
	v_add_f64_e32 v[122:123], v[126:127], v[132:133]
	v_fmac_f64_e32 v[128:129], v[14:15], v[8:9]
	v_fma_f64 v[8:9], v[12:13], v[8:9], -v[10:11]
	s_delay_alu instid0(VALU_DEP_4) | instskip(NEXT) | instid1(VALU_DEP_4)
	v_add_f64_e32 v[4:5], v[6:7], v[4:5]
	v_add_f64_e32 v[2:3], v[122:123], v[2:3]
	s_delay_alu instid0(VALU_DEP_2) | instskip(NEXT) | instid1(VALU_DEP_2)
	v_add_f64_e32 v[4:5], v[4:5], v[8:9]
	v_add_f64_e32 v[6:7], v[2:3], v[128:129]
	s_delay_alu instid0(VALU_DEP_2) | instskip(NEXT) | instid1(VALU_DEP_2)
	v_add_f64_e64 v[2:3], v[162:163], -v[4:5]
	v_add_f64_e64 v[4:5], v[164:165], -v[6:7]
	scratch_store_b128 off, v[2:5], off offset:592
	s_wait_xcnt 0x0
	v_cmpx_lt_u32_e32 36, v1
	s_cbranch_execz .LBB51_253
; %bb.252:
	scratch_load_b128 v[2:5], off, s22
	v_mov_b32_e32 v6, 0
	s_delay_alu instid0(VALU_DEP_1)
	v_dual_mov_b32 v7, v6 :: v_dual_mov_b32 v8, v6
	v_mov_b32_e32 v9, v6
	scratch_store_b128 off, v[6:9], off offset:576
	s_wait_loadcnt 0x0
	ds_store_b128 v120, v[2:5]
.LBB51_253:
	s_wait_xcnt 0x0
	s_or_b32 exec_lo, exec_lo, s2
	s_wait_storecnt_dscnt 0x0
	s_barrier_signal -1
	s_barrier_wait -1
	s_clause 0x9
	scratch_load_b128 v[4:7], off, off offset:592
	scratch_load_b128 v[8:11], off, off offset:608
	;; [unrolled: 1-line block ×10, first 2 shown]
	v_mov_b32_e32 v2, 0
	s_mov_b32 s2, exec_lo
	ds_load_b128 v[150:153], v2 offset:1424
	s_clause 0x2
	scratch_load_b128 v[154:157], off, off offset:752
	scratch_load_b128 v[158:161], off, off offset:576
	;; [unrolled: 1-line block ×3, first 2 shown]
	s_wait_loadcnt_dscnt 0xc00
	v_mul_f64_e32 v[170:171], v[152:153], v[6:7]
	v_mul_f64_e32 v[174:175], v[150:151], v[6:7]
	ds_load_b128 v[162:165], v2 offset:1440
	v_fma_f64 v[178:179], v[150:151], v[4:5], -v[170:171]
	v_fmac_f64_e32 v[174:175], v[152:153], v[4:5]
	ds_load_b128 v[4:7], v2 offset:1456
	s_wait_loadcnt_dscnt 0xb01
	v_mul_f64_e32 v[176:177], v[162:163], v[10:11]
	v_mul_f64_e32 v[10:11], v[164:165], v[10:11]
	scratch_load_b128 v[150:153], off, off offset:784
	ds_load_b128 v[170:173], v2 offset:1472
	s_wait_loadcnt_dscnt 0xb01
	v_mul_f64_e32 v[180:181], v[4:5], v[14:15]
	v_mul_f64_e32 v[14:15], v[6:7], v[14:15]
	v_add_f64_e32 v[174:175], 0, v[174:175]
	v_fmac_f64_e32 v[176:177], v[164:165], v[8:9]
	v_fma_f64 v[162:163], v[162:163], v[8:9], -v[10:11]
	v_add_f64_e32 v[164:165], 0, v[178:179]
	scratch_load_b128 v[8:11], off, off offset:800
	v_fmac_f64_e32 v[180:181], v[6:7], v[12:13]
	v_fma_f64 v[182:183], v[4:5], v[12:13], -v[14:15]
	ds_load_b128 v[4:7], v2 offset:1488
	s_wait_loadcnt_dscnt 0xb01
	v_mul_f64_e32 v[178:179], v[170:171], v[124:125]
	v_mul_f64_e32 v[124:125], v[172:173], v[124:125]
	scratch_load_b128 v[12:15], off, off offset:816
	v_add_f64_e32 v[174:175], v[174:175], v[176:177]
	v_add_f64_e32 v[184:185], v[164:165], v[162:163]
	ds_load_b128 v[162:165], v2 offset:1504
	s_wait_loadcnt_dscnt 0xb01
	v_mul_f64_e32 v[176:177], v[4:5], v[128:129]
	v_mul_f64_e32 v[128:129], v[6:7], v[128:129]
	v_fmac_f64_e32 v[178:179], v[172:173], v[122:123]
	v_fma_f64 v[122:123], v[170:171], v[122:123], -v[124:125]
	s_wait_loadcnt_dscnt 0xa00
	v_mul_f64_e32 v[172:173], v[162:163], v[132:133]
	v_mul_f64_e32 v[132:133], v[164:165], v[132:133]
	v_add_f64_e32 v[170:171], v[174:175], v[180:181]
	v_add_f64_e32 v[124:125], v[184:185], v[182:183]
	v_fmac_f64_e32 v[176:177], v[6:7], v[126:127]
	v_fma_f64 v[126:127], v[4:5], v[126:127], -v[128:129]
	v_fmac_f64_e32 v[172:173], v[164:165], v[130:131]
	v_fma_f64 v[130:131], v[162:163], v[130:131], -v[132:133]
	v_add_f64_e32 v[170:171], v[170:171], v[178:179]
	v_add_f64_e32 v[128:129], v[124:125], v[122:123]
	ds_load_b128 v[4:7], v2 offset:1520
	ds_load_b128 v[122:125], v2 offset:1536
	s_wait_loadcnt_dscnt 0x901
	v_mul_f64_e32 v[174:175], v[4:5], v[136:137]
	v_mul_f64_e32 v[136:137], v[6:7], v[136:137]
	s_wait_loadcnt_dscnt 0x800
	v_mul_f64_e32 v[132:133], v[122:123], v[140:141]
	v_mul_f64_e32 v[140:141], v[124:125], v[140:141]
	v_add_f64_e32 v[126:127], v[128:129], v[126:127]
	v_add_f64_e32 v[128:129], v[170:171], v[176:177]
	v_fmac_f64_e32 v[174:175], v[6:7], v[134:135]
	v_fma_f64 v[134:135], v[4:5], v[134:135], -v[136:137]
	v_fmac_f64_e32 v[132:133], v[124:125], v[138:139]
	v_fma_f64 v[122:123], v[122:123], v[138:139], -v[140:141]
	v_add_f64_e32 v[130:131], v[126:127], v[130:131]
	v_add_f64_e32 v[136:137], v[128:129], v[172:173]
	ds_load_b128 v[4:7], v2 offset:1552
	ds_load_b128 v[126:129], v2 offset:1568
	s_wait_loadcnt_dscnt 0x701
	v_mul_f64_e32 v[162:163], v[4:5], v[144:145]
	v_mul_f64_e32 v[144:145], v[6:7], v[144:145]
	v_add_f64_e32 v[124:125], v[130:131], v[134:135]
	v_add_f64_e32 v[130:131], v[136:137], v[174:175]
	s_wait_loadcnt_dscnt 0x600
	v_mul_f64_e32 v[134:135], v[126:127], v[148:149]
	v_mul_f64_e32 v[136:137], v[128:129], v[148:149]
	v_fmac_f64_e32 v[162:163], v[6:7], v[142:143]
	v_fma_f64 v[138:139], v[4:5], v[142:143], -v[144:145]
	v_add_f64_e32 v[140:141], v[124:125], v[122:123]
	v_add_f64_e32 v[130:131], v[130:131], v[132:133]
	ds_load_b128 v[4:7], v2 offset:1584
	ds_load_b128 v[122:125], v2 offset:1600
	v_fmac_f64_e32 v[134:135], v[128:129], v[146:147]
	v_fma_f64 v[126:127], v[126:127], v[146:147], -v[136:137]
	s_wait_loadcnt_dscnt 0x501
	v_mul_f64_e32 v[132:133], v[4:5], v[156:157]
	v_mul_f64_e32 v[142:143], v[6:7], v[156:157]
	s_wait_loadcnt_dscnt 0x300
	v_mul_f64_e32 v[136:137], v[122:123], v[168:169]
	v_add_f64_e32 v[128:129], v[140:141], v[138:139]
	v_add_f64_e32 v[130:131], v[130:131], v[162:163]
	v_mul_f64_e32 v[138:139], v[124:125], v[168:169]
	v_fmac_f64_e32 v[132:133], v[6:7], v[154:155]
	v_fma_f64 v[140:141], v[4:5], v[154:155], -v[142:143]
	v_fmac_f64_e32 v[136:137], v[124:125], v[166:167]
	v_add_f64_e32 v[142:143], v[128:129], v[126:127]
	v_add_f64_e32 v[130:131], v[130:131], v[134:135]
	ds_load_b128 v[4:7], v2 offset:1616
	ds_load_b128 v[126:129], v2 offset:1632
	v_fma_f64 v[122:123], v[122:123], v[166:167], -v[138:139]
	s_wait_loadcnt_dscnt 0x201
	v_mul_f64_e32 v[134:135], v[4:5], v[152:153]
	v_mul_f64_e32 v[144:145], v[6:7], v[152:153]
	v_add_f64_e32 v[124:125], v[142:143], v[140:141]
	v_add_f64_e32 v[130:131], v[130:131], v[132:133]
	s_wait_loadcnt_dscnt 0x100
	v_mul_f64_e32 v[132:133], v[126:127], v[10:11]
	v_mul_f64_e32 v[10:11], v[128:129], v[10:11]
	v_fmac_f64_e32 v[134:135], v[6:7], v[150:151]
	v_fma_f64 v[138:139], v[4:5], v[150:151], -v[144:145]
	ds_load_b128 v[4:7], v2 offset:1648
	v_add_f64_e32 v[122:123], v[124:125], v[122:123]
	v_add_f64_e32 v[124:125], v[130:131], v[136:137]
	v_fmac_f64_e32 v[132:133], v[128:129], v[8:9]
	v_fma_f64 v[8:9], v[126:127], v[8:9], -v[10:11]
	s_wait_loadcnt_dscnt 0x0
	v_mul_f64_e32 v[130:131], v[4:5], v[14:15]
	v_mul_f64_e32 v[14:15], v[6:7], v[14:15]
	v_add_f64_e32 v[10:11], v[122:123], v[138:139]
	v_add_f64_e32 v[122:123], v[124:125], v[134:135]
	s_delay_alu instid0(VALU_DEP_4) | instskip(NEXT) | instid1(VALU_DEP_4)
	v_fmac_f64_e32 v[130:131], v[6:7], v[12:13]
	v_fma_f64 v[4:5], v[4:5], v[12:13], -v[14:15]
	s_delay_alu instid0(VALU_DEP_4) | instskip(NEXT) | instid1(VALU_DEP_4)
	v_add_f64_e32 v[6:7], v[10:11], v[8:9]
	v_add_f64_e32 v[8:9], v[122:123], v[132:133]
	s_delay_alu instid0(VALU_DEP_2) | instskip(NEXT) | instid1(VALU_DEP_2)
	v_add_f64_e32 v[4:5], v[6:7], v[4:5]
	v_add_f64_e32 v[6:7], v[8:9], v[130:131]
	s_delay_alu instid0(VALU_DEP_2) | instskip(NEXT) | instid1(VALU_DEP_2)
	v_add_f64_e64 v[4:5], v[158:159], -v[4:5]
	v_add_f64_e64 v[6:7], v[160:161], -v[6:7]
	scratch_store_b128 off, v[4:7], off offset:576
	s_wait_xcnt 0x0
	v_cmpx_lt_u32_e32 35, v1
	s_cbranch_execz .LBB51_255
; %bb.254:
	scratch_load_b128 v[6:9], off, s20
	v_dual_mov_b32 v3, v2 :: v_dual_mov_b32 v4, v2
	v_mov_b32_e32 v5, v2
	scratch_store_b128 off, v[2:5], off offset:560
	s_wait_loadcnt 0x0
	ds_store_b128 v120, v[6:9]
.LBB51_255:
	s_wait_xcnt 0x0
	s_or_b32 exec_lo, exec_lo, s2
	s_wait_storecnt_dscnt 0x0
	s_barrier_signal -1
	s_barrier_wait -1
	s_clause 0x9
	scratch_load_b128 v[4:7], off, off offset:576
	scratch_load_b128 v[8:11], off, off offset:592
	;; [unrolled: 1-line block ×10, first 2 shown]
	ds_load_b128 v[150:153], v2 offset:1408
	ds_load_b128 v[158:161], v2 offset:1424
	s_clause 0x2
	scratch_load_b128 v[154:157], off, off offset:736
	scratch_load_b128 v[162:165], off, off offset:560
	scratch_load_b128 v[166:169], off, off offset:752
	s_mov_b32 s2, exec_lo
	s_wait_loadcnt_dscnt 0xc01
	v_mul_f64_e32 v[170:171], v[152:153], v[6:7]
	v_mul_f64_e32 v[174:175], v[150:151], v[6:7]
	s_wait_loadcnt_dscnt 0xb00
	v_mul_f64_e32 v[176:177], v[158:159], v[10:11]
	v_mul_f64_e32 v[10:11], v[160:161], v[10:11]
	s_delay_alu instid0(VALU_DEP_4) | instskip(NEXT) | instid1(VALU_DEP_4)
	v_fma_f64 v[178:179], v[150:151], v[4:5], -v[170:171]
	v_fmac_f64_e32 v[174:175], v[152:153], v[4:5]
	ds_load_b128 v[4:7], v2 offset:1440
	ds_load_b128 v[150:153], v2 offset:1456
	scratch_load_b128 v[170:173], off, off offset:768
	v_fmac_f64_e32 v[176:177], v[160:161], v[8:9]
	v_fma_f64 v[158:159], v[158:159], v[8:9], -v[10:11]
	scratch_load_b128 v[8:11], off, off offset:784
	s_wait_loadcnt_dscnt 0xc01
	v_mul_f64_e32 v[180:181], v[4:5], v[14:15]
	v_mul_f64_e32 v[14:15], v[6:7], v[14:15]
	v_add_f64_e32 v[160:161], 0, v[178:179]
	v_add_f64_e32 v[174:175], 0, v[174:175]
	s_wait_loadcnt_dscnt 0xb00
	v_mul_f64_e32 v[178:179], v[150:151], v[124:125]
	v_mul_f64_e32 v[124:125], v[152:153], v[124:125]
	v_fmac_f64_e32 v[180:181], v[6:7], v[12:13]
	v_fma_f64 v[182:183], v[4:5], v[12:13], -v[14:15]
	ds_load_b128 v[4:7], v2 offset:1472
	ds_load_b128 v[12:15], v2 offset:1488
	v_add_f64_e32 v[184:185], v[160:161], v[158:159]
	v_add_f64_e32 v[174:175], v[174:175], v[176:177]
	scratch_load_b128 v[158:161], off, off offset:800
	v_fmac_f64_e32 v[178:179], v[152:153], v[122:123]
	v_fma_f64 v[150:151], v[150:151], v[122:123], -v[124:125]
	scratch_load_b128 v[122:125], off, off offset:816
	s_wait_loadcnt_dscnt 0xc01
	v_mul_f64_e32 v[176:177], v[4:5], v[128:129]
	v_mul_f64_e32 v[128:129], v[6:7], v[128:129]
	v_add_f64_e32 v[152:153], v[184:185], v[182:183]
	v_add_f64_e32 v[174:175], v[174:175], v[180:181]
	s_wait_loadcnt_dscnt 0xb00
	v_mul_f64_e32 v[180:181], v[12:13], v[132:133]
	v_mul_f64_e32 v[132:133], v[14:15], v[132:133]
	v_fmac_f64_e32 v[176:177], v[6:7], v[126:127]
	v_fma_f64 v[182:183], v[4:5], v[126:127], -v[128:129]
	ds_load_b128 v[4:7], v2 offset:1504
	ds_load_b128 v[126:129], v2 offset:1520
	v_add_f64_e32 v[150:151], v[152:153], v[150:151]
	v_add_f64_e32 v[152:153], v[174:175], v[178:179]
	s_wait_loadcnt_dscnt 0xa01
	v_mul_f64_e32 v[174:175], v[4:5], v[136:137]
	v_mul_f64_e32 v[136:137], v[6:7], v[136:137]
	v_fmac_f64_e32 v[180:181], v[14:15], v[130:131]
	v_fma_f64 v[12:13], v[12:13], v[130:131], -v[132:133]
	s_wait_loadcnt_dscnt 0x900
	v_mul_f64_e32 v[132:133], v[126:127], v[140:141]
	v_mul_f64_e32 v[140:141], v[128:129], v[140:141]
	v_add_f64_e32 v[14:15], v[150:151], v[182:183]
	v_add_f64_e32 v[130:131], v[152:153], v[176:177]
	v_fmac_f64_e32 v[174:175], v[6:7], v[134:135]
	v_fma_f64 v[134:135], v[4:5], v[134:135], -v[136:137]
	v_fmac_f64_e32 v[132:133], v[128:129], v[138:139]
	v_fma_f64 v[126:127], v[126:127], v[138:139], -v[140:141]
	v_add_f64_e32 v[136:137], v[14:15], v[12:13]
	v_add_f64_e32 v[130:131], v[130:131], v[180:181]
	ds_load_b128 v[4:7], v2 offset:1536
	ds_load_b128 v[12:15], v2 offset:1552
	s_wait_loadcnt_dscnt 0x801
	v_mul_f64_e32 v[150:151], v[4:5], v[144:145]
	v_mul_f64_e32 v[144:145], v[6:7], v[144:145]
	v_add_f64_e32 v[128:129], v[136:137], v[134:135]
	v_add_f64_e32 v[130:131], v[130:131], v[174:175]
	s_wait_loadcnt_dscnt 0x700
	v_mul_f64_e32 v[134:135], v[12:13], v[148:149]
	v_mul_f64_e32 v[136:137], v[14:15], v[148:149]
	v_fmac_f64_e32 v[150:151], v[6:7], v[142:143]
	v_fma_f64 v[138:139], v[4:5], v[142:143], -v[144:145]
	v_add_f64_e32 v[140:141], v[128:129], v[126:127]
	v_add_f64_e32 v[130:131], v[130:131], v[132:133]
	ds_load_b128 v[4:7], v2 offset:1568
	ds_load_b128 v[126:129], v2 offset:1584
	v_fmac_f64_e32 v[134:135], v[14:15], v[146:147]
	v_fma_f64 v[12:13], v[12:13], v[146:147], -v[136:137]
	s_wait_loadcnt_dscnt 0x601
	v_mul_f64_e32 v[132:133], v[4:5], v[156:157]
	v_mul_f64_e32 v[142:143], v[6:7], v[156:157]
	s_wait_loadcnt_dscnt 0x400
	v_mul_f64_e32 v[136:137], v[126:127], v[168:169]
	v_add_f64_e32 v[14:15], v[140:141], v[138:139]
	v_add_f64_e32 v[130:131], v[130:131], v[150:151]
	v_mul_f64_e32 v[138:139], v[128:129], v[168:169]
	v_fmac_f64_e32 v[132:133], v[6:7], v[154:155]
	v_fma_f64 v[140:141], v[4:5], v[154:155], -v[142:143]
	v_fmac_f64_e32 v[136:137], v[128:129], v[166:167]
	v_add_f64_e32 v[142:143], v[14:15], v[12:13]
	v_add_f64_e32 v[130:131], v[130:131], v[134:135]
	ds_load_b128 v[4:7], v2 offset:1600
	ds_load_b128 v[12:15], v2 offset:1616
	v_fma_f64 v[126:127], v[126:127], v[166:167], -v[138:139]
	s_wait_loadcnt_dscnt 0x301
	v_mul_f64_e32 v[134:135], v[4:5], v[172:173]
	v_mul_f64_e32 v[144:145], v[6:7], v[172:173]
	v_add_f64_e32 v[128:129], v[142:143], v[140:141]
	v_add_f64_e32 v[130:131], v[130:131], v[132:133]
	s_wait_loadcnt_dscnt 0x200
	v_mul_f64_e32 v[132:133], v[12:13], v[10:11]
	v_mul_f64_e32 v[10:11], v[14:15], v[10:11]
	v_fmac_f64_e32 v[134:135], v[6:7], v[170:171]
	v_fma_f64 v[138:139], v[4:5], v[170:171], -v[144:145]
	v_add_f64_e32 v[140:141], v[128:129], v[126:127]
	v_add_f64_e32 v[130:131], v[130:131], v[136:137]
	ds_load_b128 v[4:7], v2 offset:1632
	ds_load_b128 v[126:129], v2 offset:1648
	v_fmac_f64_e32 v[132:133], v[14:15], v[8:9]
	v_fma_f64 v[8:9], v[12:13], v[8:9], -v[10:11]
	s_wait_loadcnt_dscnt 0x101
	v_mul_f64_e32 v[2:3], v[4:5], v[160:161]
	v_mul_f64_e32 v[136:137], v[6:7], v[160:161]
	s_wait_loadcnt_dscnt 0x0
	v_mul_f64_e32 v[14:15], v[126:127], v[124:125]
	v_mul_f64_e32 v[124:125], v[128:129], v[124:125]
	v_add_f64_e32 v[10:11], v[140:141], v[138:139]
	v_add_f64_e32 v[12:13], v[130:131], v[134:135]
	v_fmac_f64_e32 v[2:3], v[6:7], v[158:159]
	v_fma_f64 v[4:5], v[4:5], v[158:159], -v[136:137]
	v_fmac_f64_e32 v[14:15], v[128:129], v[122:123]
	v_add_f64_e32 v[6:7], v[10:11], v[8:9]
	v_add_f64_e32 v[8:9], v[12:13], v[132:133]
	v_fma_f64 v[10:11], v[126:127], v[122:123], -v[124:125]
	s_delay_alu instid0(VALU_DEP_3) | instskip(NEXT) | instid1(VALU_DEP_3)
	v_add_f64_e32 v[4:5], v[6:7], v[4:5]
	v_add_f64_e32 v[2:3], v[8:9], v[2:3]
	s_delay_alu instid0(VALU_DEP_2) | instskip(NEXT) | instid1(VALU_DEP_2)
	v_add_f64_e32 v[4:5], v[4:5], v[10:11]
	v_add_f64_e32 v[6:7], v[2:3], v[14:15]
	s_delay_alu instid0(VALU_DEP_2) | instskip(NEXT) | instid1(VALU_DEP_2)
	v_add_f64_e64 v[2:3], v[162:163], -v[4:5]
	v_add_f64_e64 v[4:5], v[164:165], -v[6:7]
	scratch_store_b128 off, v[2:5], off offset:560
	s_wait_xcnt 0x0
	v_cmpx_lt_u32_e32 34, v1
	s_cbranch_execz .LBB51_257
; %bb.256:
	scratch_load_b128 v[2:5], off, s23
	v_mov_b32_e32 v6, 0
	s_delay_alu instid0(VALU_DEP_1)
	v_dual_mov_b32 v7, v6 :: v_dual_mov_b32 v8, v6
	v_mov_b32_e32 v9, v6
	scratch_store_b128 off, v[6:9], off offset:544
	s_wait_loadcnt 0x0
	ds_store_b128 v120, v[2:5]
.LBB51_257:
	s_wait_xcnt 0x0
	s_or_b32 exec_lo, exec_lo, s2
	s_wait_storecnt_dscnt 0x0
	s_barrier_signal -1
	s_barrier_wait -1
	s_clause 0x9
	scratch_load_b128 v[4:7], off, off offset:560
	scratch_load_b128 v[8:11], off, off offset:576
	;; [unrolled: 1-line block ×10, first 2 shown]
	v_mov_b32_e32 v2, 0
	s_mov_b32 s2, exec_lo
	ds_load_b128 v[150:153], v2 offset:1392
	s_clause 0x2
	scratch_load_b128 v[154:157], off, off offset:720
	scratch_load_b128 v[158:161], off, off offset:544
	;; [unrolled: 1-line block ×3, first 2 shown]
	s_wait_loadcnt_dscnt 0xc00
	v_mul_f64_e32 v[170:171], v[152:153], v[6:7]
	v_mul_f64_e32 v[174:175], v[150:151], v[6:7]
	ds_load_b128 v[162:165], v2 offset:1408
	v_fma_f64 v[178:179], v[150:151], v[4:5], -v[170:171]
	v_fmac_f64_e32 v[174:175], v[152:153], v[4:5]
	ds_load_b128 v[4:7], v2 offset:1424
	s_wait_loadcnt_dscnt 0xb01
	v_mul_f64_e32 v[176:177], v[162:163], v[10:11]
	v_mul_f64_e32 v[10:11], v[164:165], v[10:11]
	scratch_load_b128 v[150:153], off, off offset:752
	ds_load_b128 v[170:173], v2 offset:1440
	s_wait_loadcnt_dscnt 0xb01
	v_mul_f64_e32 v[180:181], v[4:5], v[14:15]
	v_mul_f64_e32 v[14:15], v[6:7], v[14:15]
	v_add_f64_e32 v[174:175], 0, v[174:175]
	v_fmac_f64_e32 v[176:177], v[164:165], v[8:9]
	v_fma_f64 v[162:163], v[162:163], v[8:9], -v[10:11]
	v_add_f64_e32 v[164:165], 0, v[178:179]
	scratch_load_b128 v[8:11], off, off offset:768
	v_fmac_f64_e32 v[180:181], v[6:7], v[12:13]
	v_fma_f64 v[182:183], v[4:5], v[12:13], -v[14:15]
	ds_load_b128 v[4:7], v2 offset:1456
	s_wait_loadcnt_dscnt 0xb01
	v_mul_f64_e32 v[178:179], v[170:171], v[124:125]
	v_mul_f64_e32 v[124:125], v[172:173], v[124:125]
	scratch_load_b128 v[12:15], off, off offset:784
	v_add_f64_e32 v[174:175], v[174:175], v[176:177]
	v_add_f64_e32 v[184:185], v[164:165], v[162:163]
	ds_load_b128 v[162:165], v2 offset:1472
	s_wait_loadcnt_dscnt 0xb01
	v_mul_f64_e32 v[176:177], v[4:5], v[128:129]
	v_mul_f64_e32 v[128:129], v[6:7], v[128:129]
	v_fmac_f64_e32 v[178:179], v[172:173], v[122:123]
	v_fma_f64 v[170:171], v[170:171], v[122:123], -v[124:125]
	scratch_load_b128 v[122:125], off, off offset:800
	v_add_f64_e32 v[174:175], v[174:175], v[180:181]
	v_add_f64_e32 v[172:173], v[184:185], v[182:183]
	v_fmac_f64_e32 v[176:177], v[6:7], v[126:127]
	v_fma_f64 v[182:183], v[4:5], v[126:127], -v[128:129]
	ds_load_b128 v[4:7], v2 offset:1488
	s_wait_loadcnt_dscnt 0xb01
	v_mul_f64_e32 v[180:181], v[162:163], v[132:133]
	v_mul_f64_e32 v[132:133], v[164:165], v[132:133]
	scratch_load_b128 v[126:129], off, off offset:816
	v_add_f64_e32 v[174:175], v[174:175], v[178:179]
	s_wait_loadcnt_dscnt 0xb00
	v_mul_f64_e32 v[178:179], v[4:5], v[136:137]
	v_add_f64_e32 v[184:185], v[172:173], v[170:171]
	v_mul_f64_e32 v[136:137], v[6:7], v[136:137]
	ds_load_b128 v[170:173], v2 offset:1504
	v_fmac_f64_e32 v[180:181], v[164:165], v[130:131]
	v_fma_f64 v[130:131], v[162:163], v[130:131], -v[132:133]
	s_wait_loadcnt_dscnt 0xa00
	v_mul_f64_e32 v[164:165], v[170:171], v[140:141]
	v_mul_f64_e32 v[140:141], v[172:173], v[140:141]
	v_add_f64_e32 v[162:163], v[174:175], v[176:177]
	v_fmac_f64_e32 v[178:179], v[6:7], v[134:135]
	v_add_f64_e32 v[132:133], v[184:185], v[182:183]
	v_fma_f64 v[134:135], v[4:5], v[134:135], -v[136:137]
	v_fmac_f64_e32 v[164:165], v[172:173], v[138:139]
	v_fma_f64 v[138:139], v[170:171], v[138:139], -v[140:141]
	v_add_f64_e32 v[162:163], v[162:163], v[180:181]
	v_add_f64_e32 v[136:137], v[132:133], v[130:131]
	ds_load_b128 v[4:7], v2 offset:1520
	ds_load_b128 v[130:133], v2 offset:1536
	s_wait_loadcnt_dscnt 0x901
	v_mul_f64_e32 v[174:175], v[4:5], v[144:145]
	v_mul_f64_e32 v[144:145], v[6:7], v[144:145]
	s_wait_loadcnt_dscnt 0x800
	v_mul_f64_e32 v[140:141], v[130:131], v[148:149]
	v_mul_f64_e32 v[148:149], v[132:133], v[148:149]
	v_add_f64_e32 v[134:135], v[136:137], v[134:135]
	v_add_f64_e32 v[136:137], v[162:163], v[178:179]
	v_fmac_f64_e32 v[174:175], v[6:7], v[142:143]
	v_fma_f64 v[142:143], v[4:5], v[142:143], -v[144:145]
	v_fmac_f64_e32 v[140:141], v[132:133], v[146:147]
	v_fma_f64 v[130:131], v[130:131], v[146:147], -v[148:149]
	v_add_f64_e32 v[138:139], v[134:135], v[138:139]
	v_add_f64_e32 v[144:145], v[136:137], v[164:165]
	ds_load_b128 v[4:7], v2 offset:1552
	ds_load_b128 v[134:137], v2 offset:1568
	s_wait_loadcnt_dscnt 0x701
	v_mul_f64_e32 v[162:163], v[4:5], v[156:157]
	v_mul_f64_e32 v[156:157], v[6:7], v[156:157]
	v_add_f64_e32 v[132:133], v[138:139], v[142:143]
	v_add_f64_e32 v[138:139], v[144:145], v[174:175]
	s_wait_loadcnt_dscnt 0x500
	v_mul_f64_e32 v[142:143], v[134:135], v[168:169]
	v_mul_f64_e32 v[144:145], v[136:137], v[168:169]
	v_fmac_f64_e32 v[162:163], v[6:7], v[154:155]
	v_fma_f64 v[146:147], v[4:5], v[154:155], -v[156:157]
	v_add_f64_e32 v[148:149], v[132:133], v[130:131]
	v_add_f64_e32 v[138:139], v[138:139], v[140:141]
	ds_load_b128 v[4:7], v2 offset:1584
	ds_load_b128 v[130:133], v2 offset:1600
	v_fmac_f64_e32 v[142:143], v[136:137], v[166:167]
	v_fma_f64 v[134:135], v[134:135], v[166:167], -v[144:145]
	s_wait_loadcnt_dscnt 0x401
	v_mul_f64_e32 v[140:141], v[4:5], v[152:153]
	v_mul_f64_e32 v[152:153], v[6:7], v[152:153]
	v_add_f64_e32 v[136:137], v[148:149], v[146:147]
	v_add_f64_e32 v[138:139], v[138:139], v[162:163]
	s_wait_loadcnt_dscnt 0x300
	v_mul_f64_e32 v[144:145], v[130:131], v[10:11]
	v_mul_f64_e32 v[10:11], v[132:133], v[10:11]
	v_fmac_f64_e32 v[140:141], v[6:7], v[150:151]
	v_fma_f64 v[146:147], v[4:5], v[150:151], -v[152:153]
	v_add_f64_e32 v[148:149], v[136:137], v[134:135]
	v_add_f64_e32 v[138:139], v[138:139], v[142:143]
	ds_load_b128 v[4:7], v2 offset:1616
	ds_load_b128 v[134:137], v2 offset:1632
	v_fmac_f64_e32 v[144:145], v[132:133], v[8:9]
	v_fma_f64 v[8:9], v[130:131], v[8:9], -v[10:11]
	s_wait_loadcnt_dscnt 0x201
	v_mul_f64_e32 v[142:143], v[4:5], v[14:15]
	v_mul_f64_e32 v[14:15], v[6:7], v[14:15]
	s_wait_loadcnt_dscnt 0x100
	v_mul_f64_e32 v[132:133], v[134:135], v[124:125]
	v_mul_f64_e32 v[124:125], v[136:137], v[124:125]
	v_add_f64_e32 v[10:11], v[148:149], v[146:147]
	v_add_f64_e32 v[130:131], v[138:139], v[140:141]
	v_fmac_f64_e32 v[142:143], v[6:7], v[12:13]
	v_fma_f64 v[12:13], v[4:5], v[12:13], -v[14:15]
	ds_load_b128 v[4:7], v2 offset:1648
	v_fmac_f64_e32 v[132:133], v[136:137], v[122:123]
	v_fma_f64 v[122:123], v[134:135], v[122:123], -v[124:125]
	v_add_f64_e32 v[8:9], v[10:11], v[8:9]
	v_add_f64_e32 v[10:11], v[130:131], v[144:145]
	s_wait_loadcnt_dscnt 0x0
	v_mul_f64_e32 v[14:15], v[4:5], v[128:129]
	v_mul_f64_e32 v[128:129], v[6:7], v[128:129]
	s_delay_alu instid0(VALU_DEP_4) | instskip(NEXT) | instid1(VALU_DEP_4)
	v_add_f64_e32 v[8:9], v[8:9], v[12:13]
	v_add_f64_e32 v[10:11], v[10:11], v[142:143]
	s_delay_alu instid0(VALU_DEP_4) | instskip(NEXT) | instid1(VALU_DEP_4)
	v_fmac_f64_e32 v[14:15], v[6:7], v[126:127]
	v_fma_f64 v[4:5], v[4:5], v[126:127], -v[128:129]
	s_delay_alu instid0(VALU_DEP_4) | instskip(NEXT) | instid1(VALU_DEP_4)
	v_add_f64_e32 v[6:7], v[8:9], v[122:123]
	v_add_f64_e32 v[8:9], v[10:11], v[132:133]
	s_delay_alu instid0(VALU_DEP_2) | instskip(NEXT) | instid1(VALU_DEP_2)
	v_add_f64_e32 v[4:5], v[6:7], v[4:5]
	v_add_f64_e32 v[6:7], v[8:9], v[14:15]
	s_delay_alu instid0(VALU_DEP_2) | instskip(NEXT) | instid1(VALU_DEP_2)
	v_add_f64_e64 v[4:5], v[158:159], -v[4:5]
	v_add_f64_e64 v[6:7], v[160:161], -v[6:7]
	scratch_store_b128 off, v[4:7], off offset:544
	s_wait_xcnt 0x0
	v_cmpx_lt_u32_e32 33, v1
	s_cbranch_execz .LBB51_259
; %bb.258:
	scratch_load_b128 v[6:9], off, s25
	v_dual_mov_b32 v3, v2 :: v_dual_mov_b32 v4, v2
	v_mov_b32_e32 v5, v2
	scratch_store_b128 off, v[2:5], off offset:528
	s_wait_loadcnt 0x0
	ds_store_b128 v120, v[6:9]
.LBB51_259:
	s_wait_xcnt 0x0
	s_or_b32 exec_lo, exec_lo, s2
	s_wait_storecnt_dscnt 0x0
	s_barrier_signal -1
	s_barrier_wait -1
	s_clause 0x9
	scratch_load_b128 v[4:7], off, off offset:544
	scratch_load_b128 v[8:11], off, off offset:560
	;; [unrolled: 1-line block ×10, first 2 shown]
	ds_load_b128 v[150:153], v2 offset:1376
	ds_load_b128 v[158:161], v2 offset:1392
	s_clause 0x2
	scratch_load_b128 v[154:157], off, off offset:704
	scratch_load_b128 v[162:165], off, off offset:528
	;; [unrolled: 1-line block ×3, first 2 shown]
	s_mov_b32 s2, exec_lo
	s_wait_loadcnt_dscnt 0xc01
	v_mul_f64_e32 v[170:171], v[152:153], v[6:7]
	v_mul_f64_e32 v[174:175], v[150:151], v[6:7]
	s_wait_loadcnt_dscnt 0xb00
	v_mul_f64_e32 v[176:177], v[158:159], v[10:11]
	v_mul_f64_e32 v[10:11], v[160:161], v[10:11]
	s_delay_alu instid0(VALU_DEP_4) | instskip(NEXT) | instid1(VALU_DEP_4)
	v_fma_f64 v[178:179], v[150:151], v[4:5], -v[170:171]
	v_fmac_f64_e32 v[174:175], v[152:153], v[4:5]
	ds_load_b128 v[4:7], v2 offset:1408
	ds_load_b128 v[150:153], v2 offset:1424
	scratch_load_b128 v[170:173], off, off offset:736
	v_fmac_f64_e32 v[176:177], v[160:161], v[8:9]
	v_fma_f64 v[158:159], v[158:159], v[8:9], -v[10:11]
	scratch_load_b128 v[8:11], off, off offset:752
	s_wait_loadcnt_dscnt 0xc01
	v_mul_f64_e32 v[180:181], v[4:5], v[14:15]
	v_mul_f64_e32 v[14:15], v[6:7], v[14:15]
	v_add_f64_e32 v[160:161], 0, v[178:179]
	v_add_f64_e32 v[174:175], 0, v[174:175]
	s_wait_loadcnt_dscnt 0xb00
	v_mul_f64_e32 v[178:179], v[150:151], v[124:125]
	v_mul_f64_e32 v[124:125], v[152:153], v[124:125]
	v_fmac_f64_e32 v[180:181], v[6:7], v[12:13]
	v_fma_f64 v[182:183], v[4:5], v[12:13], -v[14:15]
	ds_load_b128 v[4:7], v2 offset:1440
	ds_load_b128 v[12:15], v2 offset:1456
	v_add_f64_e32 v[184:185], v[160:161], v[158:159]
	v_add_f64_e32 v[174:175], v[174:175], v[176:177]
	scratch_load_b128 v[158:161], off, off offset:768
	v_fmac_f64_e32 v[178:179], v[152:153], v[122:123]
	v_fma_f64 v[150:151], v[150:151], v[122:123], -v[124:125]
	scratch_load_b128 v[122:125], off, off offset:784
	s_wait_loadcnt_dscnt 0xc01
	v_mul_f64_e32 v[176:177], v[4:5], v[128:129]
	v_mul_f64_e32 v[128:129], v[6:7], v[128:129]
	v_add_f64_e32 v[152:153], v[184:185], v[182:183]
	v_add_f64_e32 v[174:175], v[174:175], v[180:181]
	s_wait_loadcnt_dscnt 0xb00
	v_mul_f64_e32 v[180:181], v[12:13], v[132:133]
	v_mul_f64_e32 v[132:133], v[14:15], v[132:133]
	v_fmac_f64_e32 v[176:177], v[6:7], v[126:127]
	v_fma_f64 v[182:183], v[4:5], v[126:127], -v[128:129]
	ds_load_b128 v[4:7], v2 offset:1472
	ds_load_b128 v[126:129], v2 offset:1488
	v_add_f64_e32 v[184:185], v[152:153], v[150:151]
	v_add_f64_e32 v[174:175], v[174:175], v[178:179]
	scratch_load_b128 v[150:153], off, off offset:800
	s_wait_loadcnt_dscnt 0xb01
	v_mul_f64_e32 v[178:179], v[4:5], v[136:137]
	v_mul_f64_e32 v[136:137], v[6:7], v[136:137]
	v_fmac_f64_e32 v[180:181], v[14:15], v[130:131]
	v_fma_f64 v[130:131], v[12:13], v[130:131], -v[132:133]
	scratch_load_b128 v[12:15], off, off offset:816
	v_add_f64_e32 v[132:133], v[184:185], v[182:183]
	v_add_f64_e32 v[174:175], v[174:175], v[176:177]
	s_wait_loadcnt_dscnt 0xb00
	v_mul_f64_e32 v[176:177], v[126:127], v[140:141]
	v_mul_f64_e32 v[140:141], v[128:129], v[140:141]
	v_fmac_f64_e32 v[178:179], v[6:7], v[134:135]
	v_fma_f64 v[134:135], v[4:5], v[134:135], -v[136:137]
	v_add_f64_e32 v[136:137], v[132:133], v[130:131]
	v_add_f64_e32 v[174:175], v[174:175], v[180:181]
	ds_load_b128 v[4:7], v2 offset:1504
	ds_load_b128 v[130:133], v2 offset:1520
	v_fmac_f64_e32 v[176:177], v[128:129], v[138:139]
	v_fma_f64 v[126:127], v[126:127], v[138:139], -v[140:141]
	s_wait_loadcnt_dscnt 0xa01
	v_mul_f64_e32 v[180:181], v[4:5], v[144:145]
	v_mul_f64_e32 v[144:145], v[6:7], v[144:145]
	s_wait_loadcnt_dscnt 0x900
	v_mul_f64_e32 v[138:139], v[132:133], v[148:149]
	v_add_f64_e32 v[128:129], v[136:137], v[134:135]
	v_add_f64_e32 v[134:135], v[174:175], v[178:179]
	v_mul_f64_e32 v[136:137], v[130:131], v[148:149]
	v_fmac_f64_e32 v[180:181], v[6:7], v[142:143]
	v_fma_f64 v[140:141], v[4:5], v[142:143], -v[144:145]
	v_fma_f64 v[130:131], v[130:131], v[146:147], -v[138:139]
	v_add_f64_e32 v[142:143], v[128:129], v[126:127]
	v_add_f64_e32 v[134:135], v[134:135], v[176:177]
	ds_load_b128 v[4:7], v2 offset:1536
	ds_load_b128 v[126:129], v2 offset:1552
	v_fmac_f64_e32 v[136:137], v[132:133], v[146:147]
	s_wait_loadcnt_dscnt 0x801
	v_mul_f64_e32 v[144:145], v[4:5], v[156:157]
	v_mul_f64_e32 v[148:149], v[6:7], v[156:157]
	s_wait_loadcnt_dscnt 0x600
	v_mul_f64_e32 v[138:139], v[126:127], v[168:169]
	v_add_f64_e32 v[132:133], v[142:143], v[140:141]
	v_add_f64_e32 v[134:135], v[134:135], v[180:181]
	v_mul_f64_e32 v[140:141], v[128:129], v[168:169]
	v_fmac_f64_e32 v[144:145], v[6:7], v[154:155]
	v_fma_f64 v[142:143], v[4:5], v[154:155], -v[148:149]
	v_fmac_f64_e32 v[138:139], v[128:129], v[166:167]
	v_add_f64_e32 v[146:147], v[132:133], v[130:131]
	v_add_f64_e32 v[134:135], v[134:135], v[136:137]
	ds_load_b128 v[4:7], v2 offset:1568
	ds_load_b128 v[130:133], v2 offset:1584
	v_fma_f64 v[126:127], v[126:127], v[166:167], -v[140:141]
	s_wait_loadcnt_dscnt 0x501
	v_mul_f64_e32 v[136:137], v[4:5], v[172:173]
	v_mul_f64_e32 v[148:149], v[6:7], v[172:173]
	s_wait_loadcnt_dscnt 0x400
	v_mul_f64_e32 v[140:141], v[130:131], v[10:11]
	v_mul_f64_e32 v[10:11], v[132:133], v[10:11]
	v_add_f64_e32 v[128:129], v[146:147], v[142:143]
	v_add_f64_e32 v[134:135], v[134:135], v[144:145]
	v_fmac_f64_e32 v[136:137], v[6:7], v[170:171]
	v_fma_f64 v[142:143], v[4:5], v[170:171], -v[148:149]
	v_fmac_f64_e32 v[140:141], v[132:133], v[8:9]
	v_fma_f64 v[8:9], v[130:131], v[8:9], -v[10:11]
	v_add_f64_e32 v[144:145], v[128:129], v[126:127]
	v_add_f64_e32 v[134:135], v[134:135], v[138:139]
	ds_load_b128 v[4:7], v2 offset:1600
	ds_load_b128 v[126:129], v2 offset:1616
	s_wait_loadcnt_dscnt 0x301
	v_mul_f64_e32 v[138:139], v[4:5], v[160:161]
	v_mul_f64_e32 v[146:147], v[6:7], v[160:161]
	s_wait_loadcnt_dscnt 0x200
	v_mul_f64_e32 v[132:133], v[126:127], v[124:125]
	v_mul_f64_e32 v[124:125], v[128:129], v[124:125]
	v_add_f64_e32 v[10:11], v[144:145], v[142:143]
	v_add_f64_e32 v[130:131], v[134:135], v[136:137]
	v_fmac_f64_e32 v[138:139], v[6:7], v[158:159]
	v_fma_f64 v[134:135], v[4:5], v[158:159], -v[146:147]
	v_fmac_f64_e32 v[132:133], v[128:129], v[122:123]
	v_fma_f64 v[122:123], v[126:127], v[122:123], -v[124:125]
	v_add_f64_e32 v[136:137], v[10:11], v[8:9]
	v_add_f64_e32 v[130:131], v[130:131], v[140:141]
	ds_load_b128 v[4:7], v2 offset:1632
	ds_load_b128 v[8:11], v2 offset:1648
	s_wait_loadcnt_dscnt 0x101
	v_mul_f64_e32 v[2:3], v[4:5], v[152:153]
	v_mul_f64_e32 v[140:141], v[6:7], v[152:153]
	s_wait_loadcnt_dscnt 0x0
	v_mul_f64_e32 v[128:129], v[8:9], v[14:15]
	v_mul_f64_e32 v[14:15], v[10:11], v[14:15]
	v_add_f64_e32 v[124:125], v[136:137], v[134:135]
	v_add_f64_e32 v[126:127], v[130:131], v[138:139]
	v_fmac_f64_e32 v[2:3], v[6:7], v[150:151]
	v_fma_f64 v[4:5], v[4:5], v[150:151], -v[140:141]
	v_fmac_f64_e32 v[128:129], v[10:11], v[12:13]
	v_fma_f64 v[8:9], v[8:9], v[12:13], -v[14:15]
	v_add_f64_e32 v[6:7], v[124:125], v[122:123]
	v_add_f64_e32 v[122:123], v[126:127], v[132:133]
	s_delay_alu instid0(VALU_DEP_2) | instskip(NEXT) | instid1(VALU_DEP_2)
	v_add_f64_e32 v[4:5], v[6:7], v[4:5]
	v_add_f64_e32 v[2:3], v[122:123], v[2:3]
	s_delay_alu instid0(VALU_DEP_2) | instskip(NEXT) | instid1(VALU_DEP_2)
	;; [unrolled: 3-line block ×3, first 2 shown]
	v_add_f64_e64 v[2:3], v[162:163], -v[4:5]
	v_add_f64_e64 v[4:5], v[164:165], -v[6:7]
	scratch_store_b128 off, v[2:5], off offset:528
	s_wait_xcnt 0x0
	v_cmpx_lt_u32_e32 32, v1
	s_cbranch_execz .LBB51_261
; %bb.260:
	scratch_load_b128 v[2:5], off, s24
	v_mov_b32_e32 v6, 0
	s_delay_alu instid0(VALU_DEP_1)
	v_dual_mov_b32 v7, v6 :: v_dual_mov_b32 v8, v6
	v_mov_b32_e32 v9, v6
	scratch_store_b128 off, v[6:9], off offset:512
	s_wait_loadcnt 0x0
	ds_store_b128 v120, v[2:5]
.LBB51_261:
	s_wait_xcnt 0x0
	s_or_b32 exec_lo, exec_lo, s2
	s_wait_storecnt_dscnt 0x0
	s_barrier_signal -1
	s_barrier_wait -1
	s_clause 0x9
	scratch_load_b128 v[4:7], off, off offset:528
	scratch_load_b128 v[8:11], off, off offset:544
	;; [unrolled: 1-line block ×10, first 2 shown]
	v_mov_b32_e32 v2, 0
	s_mov_b32 s2, exec_lo
	ds_load_b128 v[150:153], v2 offset:1360
	s_clause 0x2
	scratch_load_b128 v[154:157], off, off offset:688
	scratch_load_b128 v[158:161], off, off offset:512
	scratch_load_b128 v[166:169], off, off offset:704
	s_wait_loadcnt_dscnt 0xc00
	v_mul_f64_e32 v[170:171], v[152:153], v[6:7]
	v_mul_f64_e32 v[174:175], v[150:151], v[6:7]
	ds_load_b128 v[162:165], v2 offset:1376
	v_fma_f64 v[178:179], v[150:151], v[4:5], -v[170:171]
	v_fmac_f64_e32 v[174:175], v[152:153], v[4:5]
	ds_load_b128 v[4:7], v2 offset:1392
	s_wait_loadcnt_dscnt 0xb01
	v_mul_f64_e32 v[176:177], v[162:163], v[10:11]
	v_mul_f64_e32 v[10:11], v[164:165], v[10:11]
	scratch_load_b128 v[150:153], off, off offset:720
	ds_load_b128 v[170:173], v2 offset:1408
	s_wait_loadcnt_dscnt 0xb01
	v_mul_f64_e32 v[180:181], v[4:5], v[14:15]
	v_mul_f64_e32 v[14:15], v[6:7], v[14:15]
	v_add_f64_e32 v[174:175], 0, v[174:175]
	v_fmac_f64_e32 v[176:177], v[164:165], v[8:9]
	v_fma_f64 v[162:163], v[162:163], v[8:9], -v[10:11]
	v_add_f64_e32 v[164:165], 0, v[178:179]
	scratch_load_b128 v[8:11], off, off offset:736
	v_fmac_f64_e32 v[180:181], v[6:7], v[12:13]
	v_fma_f64 v[182:183], v[4:5], v[12:13], -v[14:15]
	ds_load_b128 v[4:7], v2 offset:1424
	s_wait_loadcnt_dscnt 0xb01
	v_mul_f64_e32 v[178:179], v[170:171], v[124:125]
	v_mul_f64_e32 v[124:125], v[172:173], v[124:125]
	scratch_load_b128 v[12:15], off, off offset:752
	v_add_f64_e32 v[174:175], v[174:175], v[176:177]
	v_add_f64_e32 v[184:185], v[164:165], v[162:163]
	ds_load_b128 v[162:165], v2 offset:1440
	s_wait_loadcnt_dscnt 0xb01
	v_mul_f64_e32 v[176:177], v[4:5], v[128:129]
	v_mul_f64_e32 v[128:129], v[6:7], v[128:129]
	v_fmac_f64_e32 v[178:179], v[172:173], v[122:123]
	v_fma_f64 v[170:171], v[170:171], v[122:123], -v[124:125]
	scratch_load_b128 v[122:125], off, off offset:768
	v_add_f64_e32 v[174:175], v[174:175], v[180:181]
	v_add_f64_e32 v[172:173], v[184:185], v[182:183]
	v_fmac_f64_e32 v[176:177], v[6:7], v[126:127]
	v_fma_f64 v[182:183], v[4:5], v[126:127], -v[128:129]
	ds_load_b128 v[4:7], v2 offset:1456
	s_wait_loadcnt_dscnt 0xb01
	v_mul_f64_e32 v[180:181], v[162:163], v[132:133]
	v_mul_f64_e32 v[132:133], v[164:165], v[132:133]
	scratch_load_b128 v[126:129], off, off offset:784
	v_add_f64_e32 v[174:175], v[174:175], v[178:179]
	s_wait_loadcnt_dscnt 0xb00
	v_mul_f64_e32 v[178:179], v[4:5], v[136:137]
	v_add_f64_e32 v[184:185], v[172:173], v[170:171]
	v_mul_f64_e32 v[136:137], v[6:7], v[136:137]
	ds_load_b128 v[170:173], v2 offset:1472
	v_fmac_f64_e32 v[180:181], v[164:165], v[130:131]
	v_fma_f64 v[162:163], v[162:163], v[130:131], -v[132:133]
	scratch_load_b128 v[130:133], off, off offset:800
	v_add_f64_e32 v[174:175], v[174:175], v[176:177]
	v_fmac_f64_e32 v[178:179], v[6:7], v[134:135]
	v_add_f64_e32 v[164:165], v[184:185], v[182:183]
	v_fma_f64 v[182:183], v[4:5], v[134:135], -v[136:137]
	ds_load_b128 v[4:7], v2 offset:1488
	s_wait_loadcnt_dscnt 0xb01
	v_mul_f64_e32 v[176:177], v[170:171], v[140:141]
	v_mul_f64_e32 v[140:141], v[172:173], v[140:141]
	scratch_load_b128 v[134:137], off, off offset:816
	v_add_f64_e32 v[174:175], v[174:175], v[180:181]
	s_wait_loadcnt_dscnt 0xb00
	v_mul_f64_e32 v[180:181], v[4:5], v[144:145]
	v_add_f64_e32 v[184:185], v[164:165], v[162:163]
	v_mul_f64_e32 v[144:145], v[6:7], v[144:145]
	ds_load_b128 v[162:165], v2 offset:1504
	v_fmac_f64_e32 v[176:177], v[172:173], v[138:139]
	v_fma_f64 v[138:139], v[170:171], v[138:139], -v[140:141]
	s_wait_loadcnt_dscnt 0xa00
	v_mul_f64_e32 v[172:173], v[162:163], v[148:149]
	v_mul_f64_e32 v[148:149], v[164:165], v[148:149]
	v_add_f64_e32 v[170:171], v[174:175], v[178:179]
	v_fmac_f64_e32 v[180:181], v[6:7], v[142:143]
	v_add_f64_e32 v[140:141], v[184:185], v[182:183]
	v_fma_f64 v[142:143], v[4:5], v[142:143], -v[144:145]
	v_fmac_f64_e32 v[172:173], v[164:165], v[146:147]
	v_fma_f64 v[146:147], v[162:163], v[146:147], -v[148:149]
	v_add_f64_e32 v[170:171], v[170:171], v[176:177]
	v_add_f64_e32 v[144:145], v[140:141], v[138:139]
	ds_load_b128 v[4:7], v2 offset:1520
	ds_load_b128 v[138:141], v2 offset:1536
	s_wait_loadcnt_dscnt 0x901
	v_mul_f64_e32 v[174:175], v[4:5], v[156:157]
	v_mul_f64_e32 v[156:157], v[6:7], v[156:157]
	s_wait_loadcnt_dscnt 0x700
	v_mul_f64_e32 v[148:149], v[138:139], v[168:169]
	v_mul_f64_e32 v[162:163], v[140:141], v[168:169]
	v_add_f64_e32 v[142:143], v[144:145], v[142:143]
	v_add_f64_e32 v[144:145], v[170:171], v[180:181]
	v_fmac_f64_e32 v[174:175], v[6:7], v[154:155]
	v_fma_f64 v[154:155], v[4:5], v[154:155], -v[156:157]
	v_fmac_f64_e32 v[148:149], v[140:141], v[166:167]
	v_fma_f64 v[138:139], v[138:139], v[166:167], -v[162:163]
	v_add_f64_e32 v[146:147], v[142:143], v[146:147]
	v_add_f64_e32 v[156:157], v[144:145], v[172:173]
	ds_load_b128 v[4:7], v2 offset:1552
	ds_load_b128 v[142:145], v2 offset:1568
	s_wait_loadcnt_dscnt 0x601
	v_mul_f64_e32 v[164:165], v[4:5], v[152:153]
	v_mul_f64_e32 v[152:153], v[6:7], v[152:153]
	v_add_f64_e32 v[140:141], v[146:147], v[154:155]
	v_add_f64_e32 v[146:147], v[156:157], v[174:175]
	s_wait_loadcnt_dscnt 0x500
	v_mul_f64_e32 v[154:155], v[142:143], v[10:11]
	v_mul_f64_e32 v[10:11], v[144:145], v[10:11]
	v_fmac_f64_e32 v[164:165], v[6:7], v[150:151]
	v_fma_f64 v[150:151], v[4:5], v[150:151], -v[152:153]
	v_add_f64_e32 v[152:153], v[140:141], v[138:139]
	v_add_f64_e32 v[146:147], v[146:147], v[148:149]
	ds_load_b128 v[4:7], v2 offset:1584
	ds_load_b128 v[138:141], v2 offset:1600
	v_fmac_f64_e32 v[154:155], v[144:145], v[8:9]
	v_fma_f64 v[8:9], v[142:143], v[8:9], -v[10:11]
	s_wait_loadcnt_dscnt 0x401
	v_mul_f64_e32 v[148:149], v[4:5], v[14:15]
	v_mul_f64_e32 v[14:15], v[6:7], v[14:15]
	s_wait_loadcnt_dscnt 0x300
	v_mul_f64_e32 v[144:145], v[138:139], v[124:125]
	v_mul_f64_e32 v[124:125], v[140:141], v[124:125]
	v_add_f64_e32 v[10:11], v[152:153], v[150:151]
	v_add_f64_e32 v[142:143], v[146:147], v[164:165]
	v_fmac_f64_e32 v[148:149], v[6:7], v[12:13]
	v_fma_f64 v[12:13], v[4:5], v[12:13], -v[14:15]
	v_fmac_f64_e32 v[144:145], v[140:141], v[122:123]
	v_fma_f64 v[122:123], v[138:139], v[122:123], -v[124:125]
	v_add_f64_e32 v[14:15], v[10:11], v[8:9]
	v_add_f64_e32 v[142:143], v[142:143], v[154:155]
	ds_load_b128 v[4:7], v2 offset:1616
	ds_load_b128 v[8:11], v2 offset:1632
	s_wait_loadcnt_dscnt 0x201
	v_mul_f64_e32 v[146:147], v[4:5], v[128:129]
	v_mul_f64_e32 v[128:129], v[6:7], v[128:129]
	s_wait_loadcnt_dscnt 0x100
	v_mul_f64_e32 v[124:125], v[8:9], v[132:133]
	v_mul_f64_e32 v[132:133], v[10:11], v[132:133]
	v_add_f64_e32 v[12:13], v[14:15], v[12:13]
	v_add_f64_e32 v[14:15], v[142:143], v[148:149]
	v_fmac_f64_e32 v[146:147], v[6:7], v[126:127]
	v_fma_f64 v[126:127], v[4:5], v[126:127], -v[128:129]
	ds_load_b128 v[4:7], v2 offset:1648
	v_fmac_f64_e32 v[124:125], v[10:11], v[130:131]
	v_fma_f64 v[8:9], v[8:9], v[130:131], -v[132:133]
	v_add_f64_e32 v[12:13], v[12:13], v[122:123]
	v_add_f64_e32 v[14:15], v[14:15], v[144:145]
	s_wait_loadcnt_dscnt 0x0
	v_mul_f64_e32 v[122:123], v[4:5], v[136:137]
	v_mul_f64_e32 v[128:129], v[6:7], v[136:137]
	s_delay_alu instid0(VALU_DEP_4) | instskip(NEXT) | instid1(VALU_DEP_4)
	v_add_f64_e32 v[10:11], v[12:13], v[126:127]
	v_add_f64_e32 v[12:13], v[14:15], v[146:147]
	s_delay_alu instid0(VALU_DEP_4) | instskip(NEXT) | instid1(VALU_DEP_4)
	v_fmac_f64_e32 v[122:123], v[6:7], v[134:135]
	v_fma_f64 v[4:5], v[4:5], v[134:135], -v[128:129]
	s_delay_alu instid0(VALU_DEP_4) | instskip(NEXT) | instid1(VALU_DEP_4)
	v_add_f64_e32 v[6:7], v[10:11], v[8:9]
	v_add_f64_e32 v[8:9], v[12:13], v[124:125]
	s_delay_alu instid0(VALU_DEP_2) | instskip(NEXT) | instid1(VALU_DEP_2)
	v_add_f64_e32 v[4:5], v[6:7], v[4:5]
	v_add_f64_e32 v[6:7], v[8:9], v[122:123]
	s_delay_alu instid0(VALU_DEP_2) | instskip(NEXT) | instid1(VALU_DEP_2)
	v_add_f64_e64 v[4:5], v[158:159], -v[4:5]
	v_add_f64_e64 v[6:7], v[160:161], -v[6:7]
	scratch_store_b128 off, v[4:7], off offset:512
	s_wait_xcnt 0x0
	v_cmpx_lt_u32_e32 31, v1
	s_cbranch_execz .LBB51_263
; %bb.262:
	scratch_load_b128 v[6:9], off, s21
	v_dual_mov_b32 v3, v2 :: v_dual_mov_b32 v4, v2
	v_mov_b32_e32 v5, v2
	scratch_store_b128 off, v[2:5], off offset:496
	s_wait_loadcnt 0x0
	ds_store_b128 v120, v[6:9]
.LBB51_263:
	s_wait_xcnt 0x0
	s_or_b32 exec_lo, exec_lo, s2
	s_wait_storecnt_dscnt 0x0
	s_barrier_signal -1
	s_barrier_wait -1
	s_clause 0x9
	scratch_load_b128 v[4:7], off, off offset:512
	scratch_load_b128 v[8:11], off, off offset:528
	;; [unrolled: 1-line block ×10, first 2 shown]
	ds_load_b128 v[150:153], v2 offset:1344
	ds_load_b128 v[158:161], v2 offset:1360
	s_clause 0x2
	scratch_load_b128 v[154:157], off, off offset:672
	scratch_load_b128 v[162:165], off, off offset:496
	scratch_load_b128 v[166:169], off, off offset:688
	s_mov_b32 s2, exec_lo
	s_wait_loadcnt_dscnt 0xc01
	v_mul_f64_e32 v[170:171], v[152:153], v[6:7]
	v_mul_f64_e32 v[174:175], v[150:151], v[6:7]
	s_wait_loadcnt_dscnt 0xb00
	v_mul_f64_e32 v[176:177], v[158:159], v[10:11]
	v_mul_f64_e32 v[10:11], v[160:161], v[10:11]
	s_delay_alu instid0(VALU_DEP_4) | instskip(NEXT) | instid1(VALU_DEP_4)
	v_fma_f64 v[178:179], v[150:151], v[4:5], -v[170:171]
	v_fmac_f64_e32 v[174:175], v[152:153], v[4:5]
	ds_load_b128 v[4:7], v2 offset:1376
	ds_load_b128 v[150:153], v2 offset:1392
	scratch_load_b128 v[170:173], off, off offset:704
	v_fmac_f64_e32 v[176:177], v[160:161], v[8:9]
	v_fma_f64 v[158:159], v[158:159], v[8:9], -v[10:11]
	scratch_load_b128 v[8:11], off, off offset:720
	s_wait_loadcnt_dscnt 0xc01
	v_mul_f64_e32 v[180:181], v[4:5], v[14:15]
	v_mul_f64_e32 v[14:15], v[6:7], v[14:15]
	v_add_f64_e32 v[160:161], 0, v[178:179]
	v_add_f64_e32 v[174:175], 0, v[174:175]
	s_wait_loadcnt_dscnt 0xb00
	v_mul_f64_e32 v[178:179], v[150:151], v[124:125]
	v_mul_f64_e32 v[124:125], v[152:153], v[124:125]
	v_fmac_f64_e32 v[180:181], v[6:7], v[12:13]
	v_fma_f64 v[182:183], v[4:5], v[12:13], -v[14:15]
	ds_load_b128 v[4:7], v2 offset:1408
	ds_load_b128 v[12:15], v2 offset:1424
	v_add_f64_e32 v[184:185], v[160:161], v[158:159]
	v_add_f64_e32 v[174:175], v[174:175], v[176:177]
	scratch_load_b128 v[158:161], off, off offset:736
	v_fmac_f64_e32 v[178:179], v[152:153], v[122:123]
	v_fma_f64 v[150:151], v[150:151], v[122:123], -v[124:125]
	scratch_load_b128 v[122:125], off, off offset:752
	s_wait_loadcnt_dscnt 0xc01
	v_mul_f64_e32 v[176:177], v[4:5], v[128:129]
	v_mul_f64_e32 v[128:129], v[6:7], v[128:129]
	v_add_f64_e32 v[152:153], v[184:185], v[182:183]
	v_add_f64_e32 v[174:175], v[174:175], v[180:181]
	s_wait_loadcnt_dscnt 0xb00
	v_mul_f64_e32 v[180:181], v[12:13], v[132:133]
	v_mul_f64_e32 v[132:133], v[14:15], v[132:133]
	v_fmac_f64_e32 v[176:177], v[6:7], v[126:127]
	v_fma_f64 v[182:183], v[4:5], v[126:127], -v[128:129]
	ds_load_b128 v[4:7], v2 offset:1440
	ds_load_b128 v[126:129], v2 offset:1456
	v_add_f64_e32 v[184:185], v[152:153], v[150:151]
	v_add_f64_e32 v[174:175], v[174:175], v[178:179]
	scratch_load_b128 v[150:153], off, off offset:768
	s_wait_loadcnt_dscnt 0xb01
	v_mul_f64_e32 v[178:179], v[4:5], v[136:137]
	v_mul_f64_e32 v[136:137], v[6:7], v[136:137]
	v_fmac_f64_e32 v[180:181], v[14:15], v[130:131]
	v_fma_f64 v[130:131], v[12:13], v[130:131], -v[132:133]
	scratch_load_b128 v[12:15], off, off offset:784
	v_add_f64_e32 v[132:133], v[184:185], v[182:183]
	v_add_f64_e32 v[174:175], v[174:175], v[176:177]
	s_wait_loadcnt_dscnt 0xb00
	v_mul_f64_e32 v[176:177], v[126:127], v[140:141]
	v_mul_f64_e32 v[140:141], v[128:129], v[140:141]
	v_fmac_f64_e32 v[178:179], v[6:7], v[134:135]
	v_fma_f64 v[182:183], v[4:5], v[134:135], -v[136:137]
	v_add_f64_e32 v[184:185], v[132:133], v[130:131]
	v_add_f64_e32 v[174:175], v[174:175], v[180:181]
	ds_load_b128 v[4:7], v2 offset:1472
	ds_load_b128 v[130:133], v2 offset:1488
	scratch_load_b128 v[134:137], off, off offset:800
	v_fmac_f64_e32 v[176:177], v[128:129], v[138:139]
	v_fma_f64 v[138:139], v[126:127], v[138:139], -v[140:141]
	scratch_load_b128 v[126:129], off, off offset:816
	s_wait_loadcnt_dscnt 0xc01
	v_mul_f64_e32 v[180:181], v[4:5], v[144:145]
	v_mul_f64_e32 v[144:145], v[6:7], v[144:145]
	v_add_f64_e32 v[140:141], v[184:185], v[182:183]
	v_add_f64_e32 v[174:175], v[174:175], v[178:179]
	s_wait_loadcnt_dscnt 0xb00
	v_mul_f64_e32 v[178:179], v[130:131], v[148:149]
	v_mul_f64_e32 v[148:149], v[132:133], v[148:149]
	v_fmac_f64_e32 v[180:181], v[6:7], v[142:143]
	v_fma_f64 v[142:143], v[4:5], v[142:143], -v[144:145]
	v_add_f64_e32 v[144:145], v[140:141], v[138:139]
	v_add_f64_e32 v[174:175], v[174:175], v[176:177]
	ds_load_b128 v[4:7], v2 offset:1504
	ds_load_b128 v[138:141], v2 offset:1520
	v_fmac_f64_e32 v[178:179], v[132:133], v[146:147]
	v_fma_f64 v[130:131], v[130:131], v[146:147], -v[148:149]
	s_wait_loadcnt_dscnt 0xa01
	v_mul_f64_e32 v[176:177], v[4:5], v[156:157]
	v_mul_f64_e32 v[156:157], v[6:7], v[156:157]
	s_wait_loadcnt_dscnt 0x800
	v_mul_f64_e32 v[146:147], v[140:141], v[168:169]
	v_add_f64_e32 v[132:133], v[144:145], v[142:143]
	v_add_f64_e32 v[142:143], v[174:175], v[180:181]
	v_mul_f64_e32 v[144:145], v[138:139], v[168:169]
	v_fmac_f64_e32 v[176:177], v[6:7], v[154:155]
	v_fma_f64 v[148:149], v[4:5], v[154:155], -v[156:157]
	v_fma_f64 v[138:139], v[138:139], v[166:167], -v[146:147]
	v_add_f64_e32 v[154:155], v[132:133], v[130:131]
	v_add_f64_e32 v[142:143], v[142:143], v[178:179]
	ds_load_b128 v[4:7], v2 offset:1536
	ds_load_b128 v[130:133], v2 offset:1552
	v_fmac_f64_e32 v[144:145], v[140:141], v[166:167]
	s_wait_loadcnt_dscnt 0x701
	v_mul_f64_e32 v[156:157], v[4:5], v[172:173]
	v_mul_f64_e32 v[168:169], v[6:7], v[172:173]
	s_wait_loadcnt_dscnt 0x600
	v_mul_f64_e32 v[146:147], v[130:131], v[10:11]
	v_mul_f64_e32 v[10:11], v[132:133], v[10:11]
	v_add_f64_e32 v[140:141], v[154:155], v[148:149]
	v_add_f64_e32 v[142:143], v[142:143], v[176:177]
	v_fmac_f64_e32 v[156:157], v[6:7], v[170:171]
	v_fma_f64 v[148:149], v[4:5], v[170:171], -v[168:169]
	v_fmac_f64_e32 v[146:147], v[132:133], v[8:9]
	v_fma_f64 v[8:9], v[130:131], v[8:9], -v[10:11]
	v_add_f64_e32 v[154:155], v[140:141], v[138:139]
	v_add_f64_e32 v[142:143], v[142:143], v[144:145]
	ds_load_b128 v[4:7], v2 offset:1568
	ds_load_b128 v[138:141], v2 offset:1584
	s_wait_loadcnt_dscnt 0x501
	v_mul_f64_e32 v[144:145], v[4:5], v[160:161]
	v_mul_f64_e32 v[160:161], v[6:7], v[160:161]
	s_wait_loadcnt_dscnt 0x400
	v_mul_f64_e32 v[132:133], v[138:139], v[124:125]
	v_mul_f64_e32 v[124:125], v[140:141], v[124:125]
	v_add_f64_e32 v[10:11], v[154:155], v[148:149]
	v_add_f64_e32 v[130:131], v[142:143], v[156:157]
	v_fmac_f64_e32 v[144:145], v[6:7], v[158:159]
	v_fma_f64 v[142:143], v[4:5], v[158:159], -v[160:161]
	v_fmac_f64_e32 v[132:133], v[140:141], v[122:123]
	v_fma_f64 v[122:123], v[138:139], v[122:123], -v[124:125]
	v_add_f64_e32 v[148:149], v[10:11], v[8:9]
	v_add_f64_e32 v[130:131], v[130:131], v[146:147]
	ds_load_b128 v[4:7], v2 offset:1600
	ds_load_b128 v[8:11], v2 offset:1616
	;; [unrolled: 16-line block ×3, first 2 shown]
	s_wait_loadcnt_dscnt 0x101
	v_mul_f64_e32 v[2:3], v[4:5], v[136:137]
	v_mul_f64_e32 v[132:133], v[6:7], v[136:137]
	s_wait_loadcnt_dscnt 0x0
	v_mul_f64_e32 v[14:15], v[122:123], v[128:129]
	v_mul_f64_e32 v[128:129], v[124:125], v[128:129]
	v_add_f64_e32 v[10:11], v[142:143], v[140:141]
	v_add_f64_e32 v[12:13], v[130:131], v[146:147]
	v_fmac_f64_e32 v[2:3], v[6:7], v[134:135]
	v_fma_f64 v[4:5], v[4:5], v[134:135], -v[132:133]
	v_fmac_f64_e32 v[14:15], v[124:125], v[126:127]
	v_add_f64_e32 v[6:7], v[10:11], v[8:9]
	v_add_f64_e32 v[8:9], v[12:13], v[138:139]
	v_fma_f64 v[10:11], v[122:123], v[126:127], -v[128:129]
	s_delay_alu instid0(VALU_DEP_3) | instskip(NEXT) | instid1(VALU_DEP_3)
	v_add_f64_e32 v[4:5], v[6:7], v[4:5]
	v_add_f64_e32 v[2:3], v[8:9], v[2:3]
	s_delay_alu instid0(VALU_DEP_2) | instskip(NEXT) | instid1(VALU_DEP_2)
	v_add_f64_e32 v[4:5], v[4:5], v[10:11]
	v_add_f64_e32 v[6:7], v[2:3], v[14:15]
	s_delay_alu instid0(VALU_DEP_2) | instskip(NEXT) | instid1(VALU_DEP_2)
	v_add_f64_e64 v[2:3], v[162:163], -v[4:5]
	v_add_f64_e64 v[4:5], v[164:165], -v[6:7]
	scratch_store_b128 off, v[2:5], off offset:496
	s_wait_xcnt 0x0
	v_cmpx_lt_u32_e32 30, v1
	s_cbranch_execz .LBB51_265
; %bb.264:
	scratch_load_b128 v[2:5], off, s51
	v_mov_b32_e32 v6, 0
	s_delay_alu instid0(VALU_DEP_1)
	v_dual_mov_b32 v7, v6 :: v_dual_mov_b32 v8, v6
	v_mov_b32_e32 v9, v6
	scratch_store_b128 off, v[6:9], off offset:480
	s_wait_loadcnt 0x0
	ds_store_b128 v120, v[2:5]
.LBB51_265:
	s_wait_xcnt 0x0
	s_or_b32 exec_lo, exec_lo, s2
	s_wait_storecnt_dscnt 0x0
	s_barrier_signal -1
	s_barrier_wait -1
	s_clause 0x9
	scratch_load_b128 v[4:7], off, off offset:496
	scratch_load_b128 v[8:11], off, off offset:512
	;; [unrolled: 1-line block ×10, first 2 shown]
	v_mov_b32_e32 v2, 0
	s_mov_b32 s2, exec_lo
	ds_load_b128 v[150:153], v2 offset:1328
	s_clause 0x2
	scratch_load_b128 v[154:157], off, off offset:656
	scratch_load_b128 v[158:161], off, off offset:480
	;; [unrolled: 1-line block ×3, first 2 shown]
	s_wait_loadcnt_dscnt 0xc00
	v_mul_f64_e32 v[170:171], v[152:153], v[6:7]
	v_mul_f64_e32 v[174:175], v[150:151], v[6:7]
	ds_load_b128 v[162:165], v2 offset:1344
	v_fma_f64 v[178:179], v[150:151], v[4:5], -v[170:171]
	v_fmac_f64_e32 v[174:175], v[152:153], v[4:5]
	ds_load_b128 v[4:7], v2 offset:1360
	s_wait_loadcnt_dscnt 0xb01
	v_mul_f64_e32 v[176:177], v[162:163], v[10:11]
	v_mul_f64_e32 v[10:11], v[164:165], v[10:11]
	scratch_load_b128 v[150:153], off, off offset:688
	ds_load_b128 v[170:173], v2 offset:1376
	s_wait_loadcnt_dscnt 0xb01
	v_mul_f64_e32 v[180:181], v[4:5], v[14:15]
	v_mul_f64_e32 v[14:15], v[6:7], v[14:15]
	v_add_f64_e32 v[174:175], 0, v[174:175]
	v_fmac_f64_e32 v[176:177], v[164:165], v[8:9]
	v_fma_f64 v[162:163], v[162:163], v[8:9], -v[10:11]
	v_add_f64_e32 v[164:165], 0, v[178:179]
	scratch_load_b128 v[8:11], off, off offset:704
	v_fmac_f64_e32 v[180:181], v[6:7], v[12:13]
	v_fma_f64 v[182:183], v[4:5], v[12:13], -v[14:15]
	ds_load_b128 v[4:7], v2 offset:1392
	s_wait_loadcnt_dscnt 0xb01
	v_mul_f64_e32 v[178:179], v[170:171], v[124:125]
	v_mul_f64_e32 v[124:125], v[172:173], v[124:125]
	scratch_load_b128 v[12:15], off, off offset:720
	v_add_f64_e32 v[174:175], v[174:175], v[176:177]
	v_add_f64_e32 v[184:185], v[164:165], v[162:163]
	ds_load_b128 v[162:165], v2 offset:1408
	s_wait_loadcnt_dscnt 0xb01
	v_mul_f64_e32 v[176:177], v[4:5], v[128:129]
	v_mul_f64_e32 v[128:129], v[6:7], v[128:129]
	v_fmac_f64_e32 v[178:179], v[172:173], v[122:123]
	v_fma_f64 v[170:171], v[170:171], v[122:123], -v[124:125]
	scratch_load_b128 v[122:125], off, off offset:736
	v_add_f64_e32 v[174:175], v[174:175], v[180:181]
	v_add_f64_e32 v[172:173], v[184:185], v[182:183]
	v_fmac_f64_e32 v[176:177], v[6:7], v[126:127]
	v_fma_f64 v[182:183], v[4:5], v[126:127], -v[128:129]
	ds_load_b128 v[4:7], v2 offset:1424
	s_wait_loadcnt_dscnt 0xb01
	v_mul_f64_e32 v[180:181], v[162:163], v[132:133]
	v_mul_f64_e32 v[132:133], v[164:165], v[132:133]
	scratch_load_b128 v[126:129], off, off offset:752
	v_add_f64_e32 v[174:175], v[174:175], v[178:179]
	s_wait_loadcnt_dscnt 0xb00
	v_mul_f64_e32 v[178:179], v[4:5], v[136:137]
	v_add_f64_e32 v[184:185], v[172:173], v[170:171]
	v_mul_f64_e32 v[136:137], v[6:7], v[136:137]
	ds_load_b128 v[170:173], v2 offset:1440
	v_fmac_f64_e32 v[180:181], v[164:165], v[130:131]
	v_fma_f64 v[162:163], v[162:163], v[130:131], -v[132:133]
	scratch_load_b128 v[130:133], off, off offset:768
	v_add_f64_e32 v[174:175], v[174:175], v[176:177]
	v_fmac_f64_e32 v[178:179], v[6:7], v[134:135]
	v_add_f64_e32 v[164:165], v[184:185], v[182:183]
	v_fma_f64 v[182:183], v[4:5], v[134:135], -v[136:137]
	ds_load_b128 v[4:7], v2 offset:1456
	s_wait_loadcnt_dscnt 0xb01
	v_mul_f64_e32 v[176:177], v[170:171], v[140:141]
	v_mul_f64_e32 v[140:141], v[172:173], v[140:141]
	scratch_load_b128 v[134:137], off, off offset:784
	v_add_f64_e32 v[174:175], v[174:175], v[180:181]
	s_wait_loadcnt_dscnt 0xb00
	v_mul_f64_e32 v[180:181], v[4:5], v[144:145]
	v_add_f64_e32 v[184:185], v[164:165], v[162:163]
	v_mul_f64_e32 v[144:145], v[6:7], v[144:145]
	ds_load_b128 v[162:165], v2 offset:1472
	v_fmac_f64_e32 v[176:177], v[172:173], v[138:139]
	v_fma_f64 v[170:171], v[170:171], v[138:139], -v[140:141]
	scratch_load_b128 v[138:141], off, off offset:800
	v_add_f64_e32 v[174:175], v[174:175], v[178:179]
	v_fmac_f64_e32 v[180:181], v[6:7], v[142:143]
	v_add_f64_e32 v[172:173], v[184:185], v[182:183]
	v_fma_f64 v[182:183], v[4:5], v[142:143], -v[144:145]
	ds_load_b128 v[4:7], v2 offset:1488
	s_wait_loadcnt_dscnt 0xb01
	v_mul_f64_e32 v[178:179], v[162:163], v[148:149]
	v_mul_f64_e32 v[148:149], v[164:165], v[148:149]
	scratch_load_b128 v[142:145], off, off offset:816
	v_add_f64_e32 v[174:175], v[174:175], v[176:177]
	s_wait_loadcnt_dscnt 0xb00
	v_mul_f64_e32 v[176:177], v[4:5], v[156:157]
	v_add_f64_e32 v[184:185], v[172:173], v[170:171]
	v_mul_f64_e32 v[156:157], v[6:7], v[156:157]
	ds_load_b128 v[170:173], v2 offset:1504
	v_fmac_f64_e32 v[178:179], v[164:165], v[146:147]
	v_fma_f64 v[146:147], v[162:163], v[146:147], -v[148:149]
	s_wait_loadcnt_dscnt 0x900
	v_mul_f64_e32 v[164:165], v[170:171], v[168:169]
	v_mul_f64_e32 v[168:169], v[172:173], v[168:169]
	v_add_f64_e32 v[162:163], v[174:175], v[180:181]
	v_fmac_f64_e32 v[176:177], v[6:7], v[154:155]
	v_add_f64_e32 v[148:149], v[184:185], v[182:183]
	v_fma_f64 v[154:155], v[4:5], v[154:155], -v[156:157]
	v_fmac_f64_e32 v[164:165], v[172:173], v[166:167]
	v_fma_f64 v[166:167], v[170:171], v[166:167], -v[168:169]
	v_add_f64_e32 v[162:163], v[162:163], v[178:179]
	v_add_f64_e32 v[156:157], v[148:149], v[146:147]
	ds_load_b128 v[4:7], v2 offset:1520
	ds_load_b128 v[146:149], v2 offset:1536
	s_wait_loadcnt_dscnt 0x801
	v_mul_f64_e32 v[174:175], v[4:5], v[152:153]
	v_mul_f64_e32 v[152:153], v[6:7], v[152:153]
	v_add_f64_e32 v[154:155], v[156:157], v[154:155]
	v_add_f64_e32 v[156:157], v[162:163], v[176:177]
	s_wait_loadcnt_dscnt 0x700
	v_mul_f64_e32 v[162:163], v[146:147], v[10:11]
	v_mul_f64_e32 v[10:11], v[148:149], v[10:11]
	v_fmac_f64_e32 v[174:175], v[6:7], v[150:151]
	v_fma_f64 v[168:169], v[4:5], v[150:151], -v[152:153]
	ds_load_b128 v[4:7], v2 offset:1552
	ds_load_b128 v[150:153], v2 offset:1568
	v_add_f64_e32 v[154:155], v[154:155], v[166:167]
	v_add_f64_e32 v[156:157], v[156:157], v[164:165]
	v_fmac_f64_e32 v[162:163], v[148:149], v[8:9]
	v_fma_f64 v[8:9], v[146:147], v[8:9], -v[10:11]
	s_wait_loadcnt_dscnt 0x601
	v_mul_f64_e32 v[164:165], v[4:5], v[14:15]
	v_mul_f64_e32 v[14:15], v[6:7], v[14:15]
	s_wait_loadcnt_dscnt 0x500
	v_mul_f64_e32 v[148:149], v[150:151], v[124:125]
	v_mul_f64_e32 v[124:125], v[152:153], v[124:125]
	v_add_f64_e32 v[10:11], v[154:155], v[168:169]
	v_add_f64_e32 v[146:147], v[156:157], v[174:175]
	v_fmac_f64_e32 v[164:165], v[6:7], v[12:13]
	v_fma_f64 v[12:13], v[4:5], v[12:13], -v[14:15]
	v_fmac_f64_e32 v[148:149], v[152:153], v[122:123]
	v_fma_f64 v[122:123], v[150:151], v[122:123], -v[124:125]
	v_add_f64_e32 v[14:15], v[10:11], v[8:9]
	v_add_f64_e32 v[146:147], v[146:147], v[162:163]
	ds_load_b128 v[4:7], v2 offset:1584
	ds_load_b128 v[8:11], v2 offset:1600
	s_wait_loadcnt_dscnt 0x401
	v_mul_f64_e32 v[154:155], v[4:5], v[128:129]
	v_mul_f64_e32 v[128:129], v[6:7], v[128:129]
	s_wait_loadcnt_dscnt 0x300
	v_mul_f64_e32 v[124:125], v[8:9], v[132:133]
	v_mul_f64_e32 v[132:133], v[10:11], v[132:133]
	v_add_f64_e32 v[12:13], v[14:15], v[12:13]
	v_add_f64_e32 v[14:15], v[146:147], v[164:165]
	v_fmac_f64_e32 v[154:155], v[6:7], v[126:127]
	v_fma_f64 v[126:127], v[4:5], v[126:127], -v[128:129]
	v_fmac_f64_e32 v[124:125], v[10:11], v[130:131]
	v_fma_f64 v[8:9], v[8:9], v[130:131], -v[132:133]
	v_add_f64_e32 v[122:123], v[12:13], v[122:123]
	v_add_f64_e32 v[128:129], v[14:15], v[148:149]
	ds_load_b128 v[4:7], v2 offset:1616
	ds_load_b128 v[12:15], v2 offset:1632
	s_wait_loadcnt_dscnt 0x201
	v_mul_f64_e32 v[146:147], v[4:5], v[136:137]
	v_mul_f64_e32 v[136:137], v[6:7], v[136:137]
	v_add_f64_e32 v[10:11], v[122:123], v[126:127]
	v_add_f64_e32 v[122:123], v[128:129], v[154:155]
	s_wait_loadcnt_dscnt 0x100
	v_mul_f64_e32 v[126:127], v[12:13], v[140:141]
	v_mul_f64_e32 v[128:129], v[14:15], v[140:141]
	v_fmac_f64_e32 v[146:147], v[6:7], v[134:135]
	v_fma_f64 v[130:131], v[4:5], v[134:135], -v[136:137]
	ds_load_b128 v[4:7], v2 offset:1648
	v_add_f64_e32 v[8:9], v[10:11], v[8:9]
	v_add_f64_e32 v[10:11], v[122:123], v[124:125]
	v_fmac_f64_e32 v[126:127], v[14:15], v[138:139]
	v_fma_f64 v[12:13], v[12:13], v[138:139], -v[128:129]
	s_wait_loadcnt_dscnt 0x0
	v_mul_f64_e32 v[122:123], v[4:5], v[144:145]
	v_mul_f64_e32 v[124:125], v[6:7], v[144:145]
	v_add_f64_e32 v[8:9], v[8:9], v[130:131]
	v_add_f64_e32 v[10:11], v[10:11], v[146:147]
	s_delay_alu instid0(VALU_DEP_4) | instskip(NEXT) | instid1(VALU_DEP_4)
	v_fmac_f64_e32 v[122:123], v[6:7], v[142:143]
	v_fma_f64 v[4:5], v[4:5], v[142:143], -v[124:125]
	s_delay_alu instid0(VALU_DEP_4) | instskip(NEXT) | instid1(VALU_DEP_4)
	v_add_f64_e32 v[6:7], v[8:9], v[12:13]
	v_add_f64_e32 v[8:9], v[10:11], v[126:127]
	s_delay_alu instid0(VALU_DEP_2) | instskip(NEXT) | instid1(VALU_DEP_2)
	v_add_f64_e32 v[4:5], v[6:7], v[4:5]
	v_add_f64_e32 v[6:7], v[8:9], v[122:123]
	s_delay_alu instid0(VALU_DEP_2) | instskip(NEXT) | instid1(VALU_DEP_2)
	v_add_f64_e64 v[4:5], v[158:159], -v[4:5]
	v_add_f64_e64 v[6:7], v[160:161], -v[6:7]
	scratch_store_b128 off, v[4:7], off offset:480
	s_wait_xcnt 0x0
	v_cmpx_lt_u32_e32 29, v1
	s_cbranch_execz .LBB51_267
; %bb.266:
	scratch_load_b128 v[6:9], off, s49
	v_dual_mov_b32 v3, v2 :: v_dual_mov_b32 v4, v2
	v_mov_b32_e32 v5, v2
	scratch_store_b128 off, v[2:5], off offset:464
	s_wait_loadcnt 0x0
	ds_store_b128 v120, v[6:9]
.LBB51_267:
	s_wait_xcnt 0x0
	s_or_b32 exec_lo, exec_lo, s2
	s_wait_storecnt_dscnt 0x0
	s_barrier_signal -1
	s_barrier_wait -1
	s_clause 0x9
	scratch_load_b128 v[4:7], off, off offset:480
	scratch_load_b128 v[8:11], off, off offset:496
	;; [unrolled: 1-line block ×10, first 2 shown]
	ds_load_b128 v[150:153], v2 offset:1312
	ds_load_b128 v[158:161], v2 offset:1328
	s_clause 0x2
	scratch_load_b128 v[154:157], off, off offset:640
	scratch_load_b128 v[162:165], off, off offset:464
	;; [unrolled: 1-line block ×3, first 2 shown]
	s_mov_b32 s2, exec_lo
	s_wait_loadcnt_dscnt 0xc01
	v_mul_f64_e32 v[170:171], v[152:153], v[6:7]
	v_mul_f64_e32 v[174:175], v[150:151], v[6:7]
	s_wait_loadcnt_dscnt 0xb00
	v_mul_f64_e32 v[176:177], v[158:159], v[10:11]
	v_mul_f64_e32 v[10:11], v[160:161], v[10:11]
	s_delay_alu instid0(VALU_DEP_4) | instskip(NEXT) | instid1(VALU_DEP_4)
	v_fma_f64 v[178:179], v[150:151], v[4:5], -v[170:171]
	v_fmac_f64_e32 v[174:175], v[152:153], v[4:5]
	ds_load_b128 v[4:7], v2 offset:1344
	ds_load_b128 v[150:153], v2 offset:1360
	scratch_load_b128 v[170:173], off, off offset:672
	v_fmac_f64_e32 v[176:177], v[160:161], v[8:9]
	v_fma_f64 v[158:159], v[158:159], v[8:9], -v[10:11]
	scratch_load_b128 v[8:11], off, off offset:688
	s_wait_loadcnt_dscnt 0xc01
	v_mul_f64_e32 v[180:181], v[4:5], v[14:15]
	v_mul_f64_e32 v[14:15], v[6:7], v[14:15]
	v_add_f64_e32 v[160:161], 0, v[178:179]
	v_add_f64_e32 v[174:175], 0, v[174:175]
	s_wait_loadcnt_dscnt 0xb00
	v_mul_f64_e32 v[178:179], v[150:151], v[124:125]
	v_mul_f64_e32 v[124:125], v[152:153], v[124:125]
	v_fmac_f64_e32 v[180:181], v[6:7], v[12:13]
	v_fma_f64 v[182:183], v[4:5], v[12:13], -v[14:15]
	ds_load_b128 v[4:7], v2 offset:1376
	ds_load_b128 v[12:15], v2 offset:1392
	v_add_f64_e32 v[184:185], v[160:161], v[158:159]
	v_add_f64_e32 v[174:175], v[174:175], v[176:177]
	scratch_load_b128 v[158:161], off, off offset:704
	v_fmac_f64_e32 v[178:179], v[152:153], v[122:123]
	v_fma_f64 v[150:151], v[150:151], v[122:123], -v[124:125]
	scratch_load_b128 v[122:125], off, off offset:720
	s_wait_loadcnt_dscnt 0xc01
	v_mul_f64_e32 v[176:177], v[4:5], v[128:129]
	v_mul_f64_e32 v[128:129], v[6:7], v[128:129]
	v_add_f64_e32 v[152:153], v[184:185], v[182:183]
	v_add_f64_e32 v[174:175], v[174:175], v[180:181]
	s_wait_loadcnt_dscnt 0xb00
	v_mul_f64_e32 v[180:181], v[12:13], v[132:133]
	v_mul_f64_e32 v[132:133], v[14:15], v[132:133]
	v_fmac_f64_e32 v[176:177], v[6:7], v[126:127]
	v_fma_f64 v[182:183], v[4:5], v[126:127], -v[128:129]
	ds_load_b128 v[4:7], v2 offset:1408
	ds_load_b128 v[126:129], v2 offset:1424
	v_add_f64_e32 v[184:185], v[152:153], v[150:151]
	v_add_f64_e32 v[174:175], v[174:175], v[178:179]
	scratch_load_b128 v[150:153], off, off offset:736
	s_wait_loadcnt_dscnt 0xb01
	v_mul_f64_e32 v[178:179], v[4:5], v[136:137]
	v_mul_f64_e32 v[136:137], v[6:7], v[136:137]
	v_fmac_f64_e32 v[180:181], v[14:15], v[130:131]
	v_fma_f64 v[130:131], v[12:13], v[130:131], -v[132:133]
	scratch_load_b128 v[12:15], off, off offset:752
	v_add_f64_e32 v[132:133], v[184:185], v[182:183]
	v_add_f64_e32 v[174:175], v[174:175], v[176:177]
	s_wait_loadcnt_dscnt 0xb00
	v_mul_f64_e32 v[176:177], v[126:127], v[140:141]
	v_mul_f64_e32 v[140:141], v[128:129], v[140:141]
	v_fmac_f64_e32 v[178:179], v[6:7], v[134:135]
	v_fma_f64 v[182:183], v[4:5], v[134:135], -v[136:137]
	v_add_f64_e32 v[184:185], v[132:133], v[130:131]
	v_add_f64_e32 v[174:175], v[174:175], v[180:181]
	ds_load_b128 v[4:7], v2 offset:1440
	ds_load_b128 v[130:133], v2 offset:1456
	scratch_load_b128 v[134:137], off, off offset:768
	v_fmac_f64_e32 v[176:177], v[128:129], v[138:139]
	v_fma_f64 v[138:139], v[126:127], v[138:139], -v[140:141]
	scratch_load_b128 v[126:129], off, off offset:784
	s_wait_loadcnt_dscnt 0xc01
	v_mul_f64_e32 v[180:181], v[4:5], v[144:145]
	v_mul_f64_e32 v[144:145], v[6:7], v[144:145]
	v_add_f64_e32 v[140:141], v[184:185], v[182:183]
	v_add_f64_e32 v[174:175], v[174:175], v[178:179]
	s_wait_loadcnt_dscnt 0xb00
	v_mul_f64_e32 v[178:179], v[130:131], v[148:149]
	v_mul_f64_e32 v[148:149], v[132:133], v[148:149]
	v_fmac_f64_e32 v[180:181], v[6:7], v[142:143]
	v_fma_f64 v[182:183], v[4:5], v[142:143], -v[144:145]
	v_add_f64_e32 v[184:185], v[140:141], v[138:139]
	v_add_f64_e32 v[174:175], v[174:175], v[176:177]
	ds_load_b128 v[4:7], v2 offset:1472
	ds_load_b128 v[138:141], v2 offset:1488
	scratch_load_b128 v[142:145], off, off offset:800
	v_fmac_f64_e32 v[178:179], v[132:133], v[146:147]
	v_fma_f64 v[146:147], v[130:131], v[146:147], -v[148:149]
	scratch_load_b128 v[130:133], off, off offset:816
	s_wait_loadcnt_dscnt 0xc01
	v_mul_f64_e32 v[176:177], v[4:5], v[156:157]
	v_mul_f64_e32 v[156:157], v[6:7], v[156:157]
	v_add_f64_e32 v[148:149], v[184:185], v[182:183]
	v_add_f64_e32 v[174:175], v[174:175], v[180:181]
	s_wait_loadcnt_dscnt 0xa00
	v_mul_f64_e32 v[180:181], v[138:139], v[168:169]
	v_mul_f64_e32 v[168:169], v[140:141], v[168:169]
	v_fmac_f64_e32 v[176:177], v[6:7], v[154:155]
	v_fma_f64 v[154:155], v[4:5], v[154:155], -v[156:157]
	v_add_f64_e32 v[156:157], v[148:149], v[146:147]
	v_add_f64_e32 v[174:175], v[174:175], v[178:179]
	ds_load_b128 v[4:7], v2 offset:1504
	ds_load_b128 v[146:149], v2 offset:1520
	v_fmac_f64_e32 v[180:181], v[140:141], v[166:167]
	v_fma_f64 v[138:139], v[138:139], v[166:167], -v[168:169]
	s_wait_loadcnt_dscnt 0x901
	v_mul_f64_e32 v[178:179], v[4:5], v[172:173]
	v_mul_f64_e32 v[172:173], v[6:7], v[172:173]
	v_add_f64_e32 v[140:141], v[156:157], v[154:155]
	v_add_f64_e32 v[154:155], v[174:175], v[176:177]
	s_wait_loadcnt_dscnt 0x800
	v_mul_f64_e32 v[156:157], v[146:147], v[10:11]
	v_mul_f64_e32 v[10:11], v[148:149], v[10:11]
	v_fmac_f64_e32 v[178:179], v[6:7], v[170:171]
	v_fma_f64 v[166:167], v[4:5], v[170:171], -v[172:173]
	v_add_f64_e32 v[168:169], v[140:141], v[138:139]
	v_add_f64_e32 v[154:155], v[154:155], v[180:181]
	ds_load_b128 v[4:7], v2 offset:1536
	ds_load_b128 v[138:141], v2 offset:1552
	v_fmac_f64_e32 v[156:157], v[148:149], v[8:9]
	v_fma_f64 v[8:9], v[146:147], v[8:9], -v[10:11]
	s_wait_loadcnt_dscnt 0x701
	v_mul_f64_e32 v[170:171], v[4:5], v[160:161]
	v_mul_f64_e32 v[160:161], v[6:7], v[160:161]
	s_wait_loadcnt_dscnt 0x600
	v_mul_f64_e32 v[148:149], v[138:139], v[124:125]
	v_mul_f64_e32 v[124:125], v[140:141], v[124:125]
	v_add_f64_e32 v[10:11], v[168:169], v[166:167]
	v_add_f64_e32 v[146:147], v[154:155], v[178:179]
	v_fmac_f64_e32 v[170:171], v[6:7], v[158:159]
	v_fma_f64 v[154:155], v[4:5], v[158:159], -v[160:161]
	v_fmac_f64_e32 v[148:149], v[140:141], v[122:123]
	v_fma_f64 v[122:123], v[138:139], v[122:123], -v[124:125]
	v_add_f64_e32 v[158:159], v[10:11], v[8:9]
	v_add_f64_e32 v[146:147], v[146:147], v[156:157]
	ds_load_b128 v[4:7], v2 offset:1568
	ds_load_b128 v[8:11], v2 offset:1584
	s_wait_loadcnt_dscnt 0x501
	v_mul_f64_e32 v[156:157], v[4:5], v[152:153]
	v_mul_f64_e32 v[152:153], v[6:7], v[152:153]
	s_wait_loadcnt_dscnt 0x400
	v_mul_f64_e32 v[140:141], v[8:9], v[14:15]
	v_mul_f64_e32 v[14:15], v[10:11], v[14:15]
	v_add_f64_e32 v[124:125], v[158:159], v[154:155]
	v_add_f64_e32 v[138:139], v[146:147], v[170:171]
	v_fmac_f64_e32 v[156:157], v[6:7], v[150:151]
	v_fma_f64 v[146:147], v[4:5], v[150:151], -v[152:153]
	v_fmac_f64_e32 v[140:141], v[10:11], v[12:13]
	v_fma_f64 v[8:9], v[8:9], v[12:13], -v[14:15]
	v_add_f64_e32 v[150:151], v[124:125], v[122:123]
	v_add_f64_e32 v[138:139], v[138:139], v[148:149]
	ds_load_b128 v[4:7], v2 offset:1600
	ds_load_b128 v[122:125], v2 offset:1616
	;; [unrolled: 16-line block ×3, first 2 shown]
	s_wait_loadcnt_dscnt 0x101
	v_mul_f64_e32 v[2:3], v[4:5], v[144:145]
	v_mul_f64_e32 v[138:139], v[6:7], v[144:145]
	s_wait_loadcnt_dscnt 0x0
	v_mul_f64_e32 v[126:127], v[8:9], v[132:133]
	v_mul_f64_e32 v[128:129], v[10:11], v[132:133]
	v_add_f64_e32 v[124:125], v[136:137], v[134:135]
	v_add_f64_e32 v[12:13], v[12:13], v[148:149]
	v_fmac_f64_e32 v[2:3], v[6:7], v[142:143]
	v_fma_f64 v[4:5], v[4:5], v[142:143], -v[138:139]
	v_fmac_f64_e32 v[126:127], v[10:11], v[130:131]
	v_fma_f64 v[8:9], v[8:9], v[130:131], -v[128:129]
	v_add_f64_e32 v[6:7], v[124:125], v[122:123]
	v_add_f64_e32 v[12:13], v[12:13], v[14:15]
	s_delay_alu instid0(VALU_DEP_2) | instskip(NEXT) | instid1(VALU_DEP_2)
	v_add_f64_e32 v[4:5], v[6:7], v[4:5]
	v_add_f64_e32 v[2:3], v[12:13], v[2:3]
	s_delay_alu instid0(VALU_DEP_2) | instskip(NEXT) | instid1(VALU_DEP_2)
	;; [unrolled: 3-line block ×3, first 2 shown]
	v_add_f64_e64 v[2:3], v[162:163], -v[4:5]
	v_add_f64_e64 v[4:5], v[164:165], -v[6:7]
	scratch_store_b128 off, v[2:5], off offset:464
	s_wait_xcnt 0x0
	v_cmpx_lt_u32_e32 28, v1
	s_cbranch_execz .LBB51_269
; %bb.268:
	scratch_load_b128 v[2:5], off, s45
	v_mov_b32_e32 v6, 0
	s_delay_alu instid0(VALU_DEP_1)
	v_dual_mov_b32 v7, v6 :: v_dual_mov_b32 v8, v6
	v_mov_b32_e32 v9, v6
	scratch_store_b128 off, v[6:9], off offset:448
	s_wait_loadcnt 0x0
	ds_store_b128 v120, v[2:5]
.LBB51_269:
	s_wait_xcnt 0x0
	s_or_b32 exec_lo, exec_lo, s2
	s_wait_storecnt_dscnt 0x0
	s_barrier_signal -1
	s_barrier_wait -1
	s_clause 0x9
	scratch_load_b128 v[4:7], off, off offset:464
	scratch_load_b128 v[8:11], off, off offset:480
	;; [unrolled: 1-line block ×10, first 2 shown]
	v_mov_b32_e32 v2, 0
	s_mov_b32 s2, exec_lo
	ds_load_b128 v[150:153], v2 offset:1296
	s_clause 0x2
	scratch_load_b128 v[154:157], off, off offset:624
	scratch_load_b128 v[158:161], off, off offset:448
	;; [unrolled: 1-line block ×3, first 2 shown]
	s_wait_loadcnt_dscnt 0xc00
	v_mul_f64_e32 v[170:171], v[152:153], v[6:7]
	v_mul_f64_e32 v[174:175], v[150:151], v[6:7]
	ds_load_b128 v[162:165], v2 offset:1312
	v_fma_f64 v[178:179], v[150:151], v[4:5], -v[170:171]
	v_fmac_f64_e32 v[174:175], v[152:153], v[4:5]
	ds_load_b128 v[4:7], v2 offset:1328
	s_wait_loadcnt_dscnt 0xb01
	v_mul_f64_e32 v[176:177], v[162:163], v[10:11]
	v_mul_f64_e32 v[10:11], v[164:165], v[10:11]
	scratch_load_b128 v[150:153], off, off offset:656
	ds_load_b128 v[170:173], v2 offset:1344
	s_wait_loadcnt_dscnt 0xb01
	v_mul_f64_e32 v[180:181], v[4:5], v[14:15]
	v_mul_f64_e32 v[14:15], v[6:7], v[14:15]
	v_add_f64_e32 v[174:175], 0, v[174:175]
	v_fmac_f64_e32 v[176:177], v[164:165], v[8:9]
	v_fma_f64 v[162:163], v[162:163], v[8:9], -v[10:11]
	v_add_f64_e32 v[164:165], 0, v[178:179]
	scratch_load_b128 v[8:11], off, off offset:672
	v_fmac_f64_e32 v[180:181], v[6:7], v[12:13]
	v_fma_f64 v[182:183], v[4:5], v[12:13], -v[14:15]
	ds_load_b128 v[4:7], v2 offset:1360
	s_wait_loadcnt_dscnt 0xb01
	v_mul_f64_e32 v[178:179], v[170:171], v[124:125]
	v_mul_f64_e32 v[124:125], v[172:173], v[124:125]
	scratch_load_b128 v[12:15], off, off offset:688
	v_add_f64_e32 v[174:175], v[174:175], v[176:177]
	v_add_f64_e32 v[184:185], v[164:165], v[162:163]
	ds_load_b128 v[162:165], v2 offset:1376
	s_wait_loadcnt_dscnt 0xb01
	v_mul_f64_e32 v[176:177], v[4:5], v[128:129]
	v_mul_f64_e32 v[128:129], v[6:7], v[128:129]
	v_fmac_f64_e32 v[178:179], v[172:173], v[122:123]
	v_fma_f64 v[170:171], v[170:171], v[122:123], -v[124:125]
	scratch_load_b128 v[122:125], off, off offset:704
	v_add_f64_e32 v[174:175], v[174:175], v[180:181]
	v_add_f64_e32 v[172:173], v[184:185], v[182:183]
	v_fmac_f64_e32 v[176:177], v[6:7], v[126:127]
	v_fma_f64 v[182:183], v[4:5], v[126:127], -v[128:129]
	ds_load_b128 v[4:7], v2 offset:1392
	s_wait_loadcnt_dscnt 0xb01
	v_mul_f64_e32 v[180:181], v[162:163], v[132:133]
	v_mul_f64_e32 v[132:133], v[164:165], v[132:133]
	scratch_load_b128 v[126:129], off, off offset:720
	v_add_f64_e32 v[174:175], v[174:175], v[178:179]
	s_wait_loadcnt_dscnt 0xb00
	v_mul_f64_e32 v[178:179], v[4:5], v[136:137]
	v_add_f64_e32 v[184:185], v[172:173], v[170:171]
	v_mul_f64_e32 v[136:137], v[6:7], v[136:137]
	ds_load_b128 v[170:173], v2 offset:1408
	v_fmac_f64_e32 v[180:181], v[164:165], v[130:131]
	v_fma_f64 v[162:163], v[162:163], v[130:131], -v[132:133]
	scratch_load_b128 v[130:133], off, off offset:736
	v_add_f64_e32 v[174:175], v[174:175], v[176:177]
	v_fmac_f64_e32 v[178:179], v[6:7], v[134:135]
	v_add_f64_e32 v[164:165], v[184:185], v[182:183]
	v_fma_f64 v[182:183], v[4:5], v[134:135], -v[136:137]
	ds_load_b128 v[4:7], v2 offset:1424
	s_wait_loadcnt_dscnt 0xb01
	v_mul_f64_e32 v[176:177], v[170:171], v[140:141]
	v_mul_f64_e32 v[140:141], v[172:173], v[140:141]
	scratch_load_b128 v[134:137], off, off offset:752
	v_add_f64_e32 v[174:175], v[174:175], v[180:181]
	s_wait_loadcnt_dscnt 0xb00
	v_mul_f64_e32 v[180:181], v[4:5], v[144:145]
	v_add_f64_e32 v[184:185], v[164:165], v[162:163]
	v_mul_f64_e32 v[144:145], v[6:7], v[144:145]
	ds_load_b128 v[162:165], v2 offset:1440
	v_fmac_f64_e32 v[176:177], v[172:173], v[138:139]
	v_fma_f64 v[170:171], v[170:171], v[138:139], -v[140:141]
	scratch_load_b128 v[138:141], off, off offset:768
	v_add_f64_e32 v[174:175], v[174:175], v[178:179]
	v_fmac_f64_e32 v[180:181], v[6:7], v[142:143]
	v_add_f64_e32 v[172:173], v[184:185], v[182:183]
	;; [unrolled: 18-line block ×3, first 2 shown]
	v_fma_f64 v[182:183], v[4:5], v[154:155], -v[156:157]
	ds_load_b128 v[4:7], v2 offset:1488
	s_wait_loadcnt_dscnt 0xa01
	v_mul_f64_e32 v[180:181], v[170:171], v[168:169]
	v_mul_f64_e32 v[168:169], v[172:173], v[168:169]
	scratch_load_b128 v[154:157], off, off offset:816
	v_add_f64_e32 v[174:175], v[174:175], v[178:179]
	v_add_f64_e32 v[184:185], v[164:165], v[162:163]
	s_wait_loadcnt_dscnt 0xa00
	v_mul_f64_e32 v[178:179], v[4:5], v[152:153]
	v_mul_f64_e32 v[152:153], v[6:7], v[152:153]
	v_fmac_f64_e32 v[180:181], v[172:173], v[166:167]
	v_fma_f64 v[166:167], v[170:171], v[166:167], -v[168:169]
	ds_load_b128 v[162:165], v2 offset:1504
	v_add_f64_e32 v[170:171], v[174:175], v[176:177]
	v_add_f64_e32 v[168:169], v[184:185], v[182:183]
	s_wait_loadcnt_dscnt 0x900
	v_mul_f64_e32 v[172:173], v[162:163], v[10:11]
	v_mul_f64_e32 v[10:11], v[164:165], v[10:11]
	v_fmac_f64_e32 v[178:179], v[6:7], v[150:151]
	v_fma_f64 v[174:175], v[4:5], v[150:151], -v[152:153]
	ds_load_b128 v[4:7], v2 offset:1520
	ds_load_b128 v[150:153], v2 offset:1536
	v_add_f64_e32 v[166:167], v[168:169], v[166:167]
	v_add_f64_e32 v[168:169], v[170:171], v[180:181]
	s_wait_loadcnt_dscnt 0x801
	v_mul_f64_e32 v[170:171], v[4:5], v[14:15]
	v_mul_f64_e32 v[14:15], v[6:7], v[14:15]
	v_fmac_f64_e32 v[172:173], v[164:165], v[8:9]
	v_fma_f64 v[8:9], v[162:163], v[8:9], -v[10:11]
	s_wait_loadcnt_dscnt 0x700
	v_mul_f64_e32 v[164:165], v[150:151], v[124:125]
	v_mul_f64_e32 v[124:125], v[152:153], v[124:125]
	v_add_f64_e32 v[10:11], v[166:167], v[174:175]
	v_add_f64_e32 v[162:163], v[168:169], v[178:179]
	v_fmac_f64_e32 v[170:171], v[6:7], v[12:13]
	v_fma_f64 v[12:13], v[4:5], v[12:13], -v[14:15]
	v_fmac_f64_e32 v[164:165], v[152:153], v[122:123]
	v_fma_f64 v[122:123], v[150:151], v[122:123], -v[124:125]
	v_add_f64_e32 v[14:15], v[10:11], v[8:9]
	v_add_f64_e32 v[162:163], v[162:163], v[172:173]
	ds_load_b128 v[4:7], v2 offset:1552
	ds_load_b128 v[8:11], v2 offset:1568
	s_wait_loadcnt_dscnt 0x601
	v_mul_f64_e32 v[166:167], v[4:5], v[128:129]
	v_mul_f64_e32 v[128:129], v[6:7], v[128:129]
	s_wait_loadcnt_dscnt 0x500
	v_mul_f64_e32 v[124:125], v[8:9], v[132:133]
	v_mul_f64_e32 v[132:133], v[10:11], v[132:133]
	v_add_f64_e32 v[12:13], v[14:15], v[12:13]
	v_add_f64_e32 v[14:15], v[162:163], v[170:171]
	v_fmac_f64_e32 v[166:167], v[6:7], v[126:127]
	v_fma_f64 v[126:127], v[4:5], v[126:127], -v[128:129]
	v_fmac_f64_e32 v[124:125], v[10:11], v[130:131]
	v_fma_f64 v[8:9], v[8:9], v[130:131], -v[132:133]
	v_add_f64_e32 v[122:123], v[12:13], v[122:123]
	v_add_f64_e32 v[128:129], v[14:15], v[164:165]
	ds_load_b128 v[4:7], v2 offset:1584
	ds_load_b128 v[12:15], v2 offset:1600
	s_wait_loadcnt_dscnt 0x401
	v_mul_f64_e32 v[150:151], v[4:5], v[136:137]
	v_mul_f64_e32 v[136:137], v[6:7], v[136:137]
	v_add_f64_e32 v[10:11], v[122:123], v[126:127]
	v_add_f64_e32 v[122:123], v[128:129], v[166:167]
	s_wait_loadcnt_dscnt 0x300
	v_mul_f64_e32 v[126:127], v[12:13], v[140:141]
	v_mul_f64_e32 v[128:129], v[14:15], v[140:141]
	v_fmac_f64_e32 v[150:151], v[6:7], v[134:135]
	v_fma_f64 v[130:131], v[4:5], v[134:135], -v[136:137]
	v_add_f64_e32 v[132:133], v[10:11], v[8:9]
	v_add_f64_e32 v[122:123], v[122:123], v[124:125]
	ds_load_b128 v[4:7], v2 offset:1616
	ds_load_b128 v[8:11], v2 offset:1632
	v_fmac_f64_e32 v[126:127], v[14:15], v[138:139]
	v_fma_f64 v[12:13], v[12:13], v[138:139], -v[128:129]
	s_wait_loadcnt_dscnt 0x201
	v_mul_f64_e32 v[124:125], v[4:5], v[144:145]
	v_mul_f64_e32 v[134:135], v[6:7], v[144:145]
	s_wait_loadcnt_dscnt 0x100
	v_mul_f64_e32 v[128:129], v[8:9], v[148:149]
	v_add_f64_e32 v[14:15], v[132:133], v[130:131]
	v_add_f64_e32 v[122:123], v[122:123], v[150:151]
	v_mul_f64_e32 v[130:131], v[10:11], v[148:149]
	v_fmac_f64_e32 v[124:125], v[6:7], v[142:143]
	v_fma_f64 v[132:133], v[4:5], v[142:143], -v[134:135]
	ds_load_b128 v[4:7], v2 offset:1648
	v_fmac_f64_e32 v[128:129], v[10:11], v[146:147]
	v_add_f64_e32 v[12:13], v[14:15], v[12:13]
	v_add_f64_e32 v[14:15], v[122:123], v[126:127]
	v_fma_f64 v[8:9], v[8:9], v[146:147], -v[130:131]
	s_wait_loadcnt_dscnt 0x0
	v_mul_f64_e32 v[122:123], v[4:5], v[156:157]
	v_mul_f64_e32 v[126:127], v[6:7], v[156:157]
	v_add_f64_e32 v[10:11], v[12:13], v[132:133]
	v_add_f64_e32 v[12:13], v[14:15], v[124:125]
	s_delay_alu instid0(VALU_DEP_4) | instskip(NEXT) | instid1(VALU_DEP_4)
	v_fmac_f64_e32 v[122:123], v[6:7], v[154:155]
	v_fma_f64 v[4:5], v[4:5], v[154:155], -v[126:127]
	s_delay_alu instid0(VALU_DEP_4) | instskip(NEXT) | instid1(VALU_DEP_4)
	v_add_f64_e32 v[6:7], v[10:11], v[8:9]
	v_add_f64_e32 v[8:9], v[12:13], v[128:129]
	s_delay_alu instid0(VALU_DEP_2) | instskip(NEXT) | instid1(VALU_DEP_2)
	v_add_f64_e32 v[4:5], v[6:7], v[4:5]
	v_add_f64_e32 v[6:7], v[8:9], v[122:123]
	s_delay_alu instid0(VALU_DEP_2) | instskip(NEXT) | instid1(VALU_DEP_2)
	v_add_f64_e64 v[4:5], v[158:159], -v[4:5]
	v_add_f64_e64 v[6:7], v[160:161], -v[6:7]
	scratch_store_b128 off, v[4:7], off offset:448
	s_wait_xcnt 0x0
	v_cmpx_lt_u32_e32 27, v1
	s_cbranch_execz .LBB51_271
; %bb.270:
	scratch_load_b128 v[6:9], off, s42
	v_dual_mov_b32 v3, v2 :: v_dual_mov_b32 v4, v2
	v_mov_b32_e32 v5, v2
	scratch_store_b128 off, v[2:5], off offset:432
	s_wait_loadcnt 0x0
	ds_store_b128 v120, v[6:9]
.LBB51_271:
	s_wait_xcnt 0x0
	s_or_b32 exec_lo, exec_lo, s2
	s_wait_storecnt_dscnt 0x0
	s_barrier_signal -1
	s_barrier_wait -1
	s_clause 0x9
	scratch_load_b128 v[4:7], off, off offset:448
	scratch_load_b128 v[8:11], off, off offset:464
	scratch_load_b128 v[12:15], off, off offset:480
	scratch_load_b128 v[122:125], off, off offset:496
	scratch_load_b128 v[126:129], off, off offset:512
	scratch_load_b128 v[130:133], off, off offset:528
	scratch_load_b128 v[134:137], off, off offset:544
	scratch_load_b128 v[138:141], off, off offset:560
	scratch_load_b128 v[142:145], off, off offset:576
	scratch_load_b128 v[146:149], off, off offset:592
	ds_load_b128 v[150:153], v2 offset:1280
	ds_load_b128 v[158:161], v2 offset:1296
	s_clause 0x2
	scratch_load_b128 v[154:157], off, off offset:608
	scratch_load_b128 v[162:165], off, off offset:432
	;; [unrolled: 1-line block ×3, first 2 shown]
	s_mov_b32 s2, exec_lo
	s_wait_loadcnt_dscnt 0xc01
	v_mul_f64_e32 v[170:171], v[152:153], v[6:7]
	v_mul_f64_e32 v[174:175], v[150:151], v[6:7]
	s_wait_loadcnt_dscnt 0xb00
	v_mul_f64_e32 v[176:177], v[158:159], v[10:11]
	v_mul_f64_e32 v[10:11], v[160:161], v[10:11]
	s_delay_alu instid0(VALU_DEP_4) | instskip(NEXT) | instid1(VALU_DEP_4)
	v_fma_f64 v[178:179], v[150:151], v[4:5], -v[170:171]
	v_fmac_f64_e32 v[174:175], v[152:153], v[4:5]
	ds_load_b128 v[4:7], v2 offset:1312
	ds_load_b128 v[150:153], v2 offset:1328
	scratch_load_b128 v[170:173], off, off offset:640
	v_fmac_f64_e32 v[176:177], v[160:161], v[8:9]
	v_fma_f64 v[158:159], v[158:159], v[8:9], -v[10:11]
	scratch_load_b128 v[8:11], off, off offset:656
	s_wait_loadcnt_dscnt 0xc01
	v_mul_f64_e32 v[180:181], v[4:5], v[14:15]
	v_mul_f64_e32 v[14:15], v[6:7], v[14:15]
	v_add_f64_e32 v[160:161], 0, v[178:179]
	v_add_f64_e32 v[174:175], 0, v[174:175]
	s_wait_loadcnt_dscnt 0xb00
	v_mul_f64_e32 v[178:179], v[150:151], v[124:125]
	v_mul_f64_e32 v[124:125], v[152:153], v[124:125]
	v_fmac_f64_e32 v[180:181], v[6:7], v[12:13]
	v_fma_f64 v[182:183], v[4:5], v[12:13], -v[14:15]
	ds_load_b128 v[4:7], v2 offset:1344
	ds_load_b128 v[12:15], v2 offset:1360
	v_add_f64_e32 v[184:185], v[160:161], v[158:159]
	v_add_f64_e32 v[174:175], v[174:175], v[176:177]
	scratch_load_b128 v[158:161], off, off offset:672
	v_fmac_f64_e32 v[178:179], v[152:153], v[122:123]
	v_fma_f64 v[150:151], v[150:151], v[122:123], -v[124:125]
	scratch_load_b128 v[122:125], off, off offset:688
	s_wait_loadcnt_dscnt 0xc01
	v_mul_f64_e32 v[176:177], v[4:5], v[128:129]
	v_mul_f64_e32 v[128:129], v[6:7], v[128:129]
	v_add_f64_e32 v[152:153], v[184:185], v[182:183]
	v_add_f64_e32 v[174:175], v[174:175], v[180:181]
	s_wait_loadcnt_dscnt 0xb00
	v_mul_f64_e32 v[180:181], v[12:13], v[132:133]
	v_mul_f64_e32 v[132:133], v[14:15], v[132:133]
	v_fmac_f64_e32 v[176:177], v[6:7], v[126:127]
	v_fma_f64 v[182:183], v[4:5], v[126:127], -v[128:129]
	ds_load_b128 v[4:7], v2 offset:1376
	ds_load_b128 v[126:129], v2 offset:1392
	v_add_f64_e32 v[184:185], v[152:153], v[150:151]
	v_add_f64_e32 v[174:175], v[174:175], v[178:179]
	scratch_load_b128 v[150:153], off, off offset:704
	s_wait_loadcnt_dscnt 0xb01
	v_mul_f64_e32 v[178:179], v[4:5], v[136:137]
	v_mul_f64_e32 v[136:137], v[6:7], v[136:137]
	v_fmac_f64_e32 v[180:181], v[14:15], v[130:131]
	v_fma_f64 v[130:131], v[12:13], v[130:131], -v[132:133]
	scratch_load_b128 v[12:15], off, off offset:720
	v_add_f64_e32 v[132:133], v[184:185], v[182:183]
	v_add_f64_e32 v[174:175], v[174:175], v[176:177]
	s_wait_loadcnt_dscnt 0xb00
	v_mul_f64_e32 v[176:177], v[126:127], v[140:141]
	v_mul_f64_e32 v[140:141], v[128:129], v[140:141]
	v_fmac_f64_e32 v[178:179], v[6:7], v[134:135]
	v_fma_f64 v[182:183], v[4:5], v[134:135], -v[136:137]
	v_add_f64_e32 v[184:185], v[132:133], v[130:131]
	v_add_f64_e32 v[174:175], v[174:175], v[180:181]
	ds_load_b128 v[4:7], v2 offset:1408
	ds_load_b128 v[130:133], v2 offset:1424
	scratch_load_b128 v[134:137], off, off offset:736
	v_fmac_f64_e32 v[176:177], v[128:129], v[138:139]
	v_fma_f64 v[138:139], v[126:127], v[138:139], -v[140:141]
	scratch_load_b128 v[126:129], off, off offset:752
	s_wait_loadcnt_dscnt 0xc01
	v_mul_f64_e32 v[180:181], v[4:5], v[144:145]
	v_mul_f64_e32 v[144:145], v[6:7], v[144:145]
	v_add_f64_e32 v[140:141], v[184:185], v[182:183]
	v_add_f64_e32 v[174:175], v[174:175], v[178:179]
	s_wait_loadcnt_dscnt 0xb00
	v_mul_f64_e32 v[178:179], v[130:131], v[148:149]
	v_mul_f64_e32 v[148:149], v[132:133], v[148:149]
	v_fmac_f64_e32 v[180:181], v[6:7], v[142:143]
	v_fma_f64 v[182:183], v[4:5], v[142:143], -v[144:145]
	v_add_f64_e32 v[184:185], v[140:141], v[138:139]
	v_add_f64_e32 v[174:175], v[174:175], v[176:177]
	ds_load_b128 v[4:7], v2 offset:1440
	ds_load_b128 v[138:141], v2 offset:1456
	scratch_load_b128 v[142:145], off, off offset:768
	v_fmac_f64_e32 v[178:179], v[132:133], v[146:147]
	v_fma_f64 v[146:147], v[130:131], v[146:147], -v[148:149]
	scratch_load_b128 v[130:133], off, off offset:784
	s_wait_loadcnt_dscnt 0xc01
	v_mul_f64_e32 v[176:177], v[4:5], v[156:157]
	v_mul_f64_e32 v[156:157], v[6:7], v[156:157]
	;; [unrolled: 18-line block ×3, first 2 shown]
	v_add_f64_e32 v[168:169], v[184:185], v[182:183]
	v_add_f64_e32 v[174:175], v[174:175], v[176:177]
	s_wait_loadcnt_dscnt 0xa00
	v_mul_f64_e32 v[176:177], v[146:147], v[10:11]
	v_mul_f64_e32 v[10:11], v[148:149], v[10:11]
	v_fmac_f64_e32 v[178:179], v[6:7], v[170:171]
	v_fma_f64 v[170:171], v[4:5], v[170:171], -v[172:173]
	v_add_f64_e32 v[172:173], v[168:169], v[166:167]
	v_add_f64_e32 v[174:175], v[174:175], v[180:181]
	ds_load_b128 v[4:7], v2 offset:1504
	ds_load_b128 v[166:169], v2 offset:1520
	v_fmac_f64_e32 v[176:177], v[148:149], v[8:9]
	v_fma_f64 v[8:9], v[146:147], v[8:9], -v[10:11]
	s_wait_loadcnt_dscnt 0x901
	v_mul_f64_e32 v[180:181], v[4:5], v[160:161]
	v_mul_f64_e32 v[160:161], v[6:7], v[160:161]
	s_wait_loadcnt_dscnt 0x800
	v_mul_f64_e32 v[148:149], v[166:167], v[124:125]
	v_mul_f64_e32 v[124:125], v[168:169], v[124:125]
	v_add_f64_e32 v[10:11], v[172:173], v[170:171]
	v_add_f64_e32 v[146:147], v[174:175], v[178:179]
	v_fmac_f64_e32 v[180:181], v[6:7], v[158:159]
	v_fma_f64 v[158:159], v[4:5], v[158:159], -v[160:161]
	v_fmac_f64_e32 v[148:149], v[168:169], v[122:123]
	v_fma_f64 v[122:123], v[166:167], v[122:123], -v[124:125]
	v_add_f64_e32 v[160:161], v[10:11], v[8:9]
	v_add_f64_e32 v[146:147], v[146:147], v[176:177]
	ds_load_b128 v[4:7], v2 offset:1536
	ds_load_b128 v[8:11], v2 offset:1552
	s_wait_loadcnt_dscnt 0x701
	v_mul_f64_e32 v[170:171], v[4:5], v[152:153]
	v_mul_f64_e32 v[152:153], v[6:7], v[152:153]
	v_add_f64_e32 v[124:125], v[160:161], v[158:159]
	v_add_f64_e32 v[146:147], v[146:147], v[180:181]
	s_wait_loadcnt_dscnt 0x600
	v_mul_f64_e32 v[158:159], v[8:9], v[14:15]
	v_mul_f64_e32 v[14:15], v[10:11], v[14:15]
	v_fmac_f64_e32 v[170:171], v[6:7], v[150:151]
	v_fma_f64 v[150:151], v[4:5], v[150:151], -v[152:153]
	v_add_f64_e32 v[152:153], v[124:125], v[122:123]
	v_add_f64_e32 v[146:147], v[146:147], v[148:149]
	ds_load_b128 v[4:7], v2 offset:1568
	ds_load_b128 v[122:125], v2 offset:1584
	v_fmac_f64_e32 v[158:159], v[10:11], v[12:13]
	v_fma_f64 v[8:9], v[8:9], v[12:13], -v[14:15]
	s_wait_loadcnt_dscnt 0x501
	v_mul_f64_e32 v[148:149], v[4:5], v[136:137]
	v_mul_f64_e32 v[136:137], v[6:7], v[136:137]
	s_wait_loadcnt_dscnt 0x400
	v_mul_f64_e32 v[14:15], v[122:123], v[128:129]
	v_mul_f64_e32 v[128:129], v[124:125], v[128:129]
	v_add_f64_e32 v[10:11], v[152:153], v[150:151]
	v_add_f64_e32 v[12:13], v[146:147], v[170:171]
	v_fmac_f64_e32 v[148:149], v[6:7], v[134:135]
	v_fma_f64 v[134:135], v[4:5], v[134:135], -v[136:137]
	v_fmac_f64_e32 v[14:15], v[124:125], v[126:127]
	v_fma_f64 v[122:123], v[122:123], v[126:127], -v[128:129]
	v_add_f64_e32 v[136:137], v[10:11], v[8:9]
	v_add_f64_e32 v[12:13], v[12:13], v[158:159]
	ds_load_b128 v[4:7], v2 offset:1600
	ds_load_b128 v[8:11], v2 offset:1616
	s_wait_loadcnt_dscnt 0x301
	v_mul_f64_e32 v[146:147], v[4:5], v[144:145]
	v_mul_f64_e32 v[144:145], v[6:7], v[144:145]
	s_wait_loadcnt_dscnt 0x200
	v_mul_f64_e32 v[126:127], v[8:9], v[132:133]
	v_mul_f64_e32 v[128:129], v[10:11], v[132:133]
	v_add_f64_e32 v[124:125], v[136:137], v[134:135]
	v_add_f64_e32 v[12:13], v[12:13], v[148:149]
	v_fmac_f64_e32 v[146:147], v[6:7], v[142:143]
	v_fma_f64 v[132:133], v[4:5], v[142:143], -v[144:145]
	v_fmac_f64_e32 v[126:127], v[10:11], v[130:131]
	v_fma_f64 v[8:9], v[8:9], v[130:131], -v[128:129]
	v_add_f64_e32 v[122:123], v[124:125], v[122:123]
	v_add_f64_e32 v[124:125], v[12:13], v[14:15]
	ds_load_b128 v[4:7], v2 offset:1632
	ds_load_b128 v[12:15], v2 offset:1648
	s_wait_loadcnt_dscnt 0x101
	v_mul_f64_e32 v[2:3], v[4:5], v[156:157]
	v_mul_f64_e32 v[134:135], v[6:7], v[156:157]
	s_wait_loadcnt_dscnt 0x0
	v_mul_f64_e32 v[128:129], v[14:15], v[140:141]
	v_add_f64_e32 v[10:11], v[122:123], v[132:133]
	v_add_f64_e32 v[122:123], v[124:125], v[146:147]
	v_mul_f64_e32 v[124:125], v[12:13], v[140:141]
	v_fmac_f64_e32 v[2:3], v[6:7], v[154:155]
	v_fma_f64 v[4:5], v[4:5], v[154:155], -v[134:135]
	v_add_f64_e32 v[6:7], v[10:11], v[8:9]
	v_add_f64_e32 v[8:9], v[122:123], v[126:127]
	v_fmac_f64_e32 v[124:125], v[14:15], v[138:139]
	v_fma_f64 v[10:11], v[12:13], v[138:139], -v[128:129]
	s_delay_alu instid0(VALU_DEP_4) | instskip(NEXT) | instid1(VALU_DEP_4)
	v_add_f64_e32 v[4:5], v[6:7], v[4:5]
	v_add_f64_e32 v[2:3], v[8:9], v[2:3]
	s_delay_alu instid0(VALU_DEP_2) | instskip(NEXT) | instid1(VALU_DEP_2)
	v_add_f64_e32 v[4:5], v[4:5], v[10:11]
	v_add_f64_e32 v[6:7], v[2:3], v[124:125]
	s_delay_alu instid0(VALU_DEP_2) | instskip(NEXT) | instid1(VALU_DEP_2)
	v_add_f64_e64 v[2:3], v[162:163], -v[4:5]
	v_add_f64_e64 v[4:5], v[164:165], -v[6:7]
	scratch_store_b128 off, v[2:5], off offset:432
	s_wait_xcnt 0x0
	v_cmpx_lt_u32_e32 26, v1
	s_cbranch_execz .LBB51_273
; %bb.272:
	scratch_load_b128 v[2:5], off, s52
	v_mov_b32_e32 v6, 0
	s_delay_alu instid0(VALU_DEP_1)
	v_dual_mov_b32 v7, v6 :: v_dual_mov_b32 v8, v6
	v_mov_b32_e32 v9, v6
	scratch_store_b128 off, v[6:9], off offset:416
	s_wait_loadcnt 0x0
	ds_store_b128 v120, v[2:5]
.LBB51_273:
	s_wait_xcnt 0x0
	s_or_b32 exec_lo, exec_lo, s2
	s_wait_storecnt_dscnt 0x0
	s_barrier_signal -1
	s_barrier_wait -1
	s_clause 0x9
	scratch_load_b128 v[4:7], off, off offset:432
	scratch_load_b128 v[8:11], off, off offset:448
	;; [unrolled: 1-line block ×10, first 2 shown]
	v_mov_b32_e32 v2, 0
	s_mov_b32 s2, exec_lo
	ds_load_b128 v[150:153], v2 offset:1264
	s_clause 0x2
	scratch_load_b128 v[154:157], off, off offset:592
	scratch_load_b128 v[158:161], off, off offset:416
	;; [unrolled: 1-line block ×3, first 2 shown]
	s_wait_loadcnt_dscnt 0xc00
	v_mul_f64_e32 v[170:171], v[152:153], v[6:7]
	v_mul_f64_e32 v[174:175], v[150:151], v[6:7]
	ds_load_b128 v[162:165], v2 offset:1280
	v_fma_f64 v[178:179], v[150:151], v[4:5], -v[170:171]
	v_fmac_f64_e32 v[174:175], v[152:153], v[4:5]
	ds_load_b128 v[4:7], v2 offset:1296
	s_wait_loadcnt_dscnt 0xb01
	v_mul_f64_e32 v[176:177], v[162:163], v[10:11]
	v_mul_f64_e32 v[10:11], v[164:165], v[10:11]
	scratch_load_b128 v[150:153], off, off offset:624
	ds_load_b128 v[170:173], v2 offset:1312
	s_wait_loadcnt_dscnt 0xb01
	v_mul_f64_e32 v[180:181], v[4:5], v[14:15]
	v_mul_f64_e32 v[14:15], v[6:7], v[14:15]
	v_add_f64_e32 v[174:175], 0, v[174:175]
	v_fmac_f64_e32 v[176:177], v[164:165], v[8:9]
	v_fma_f64 v[162:163], v[162:163], v[8:9], -v[10:11]
	v_add_f64_e32 v[164:165], 0, v[178:179]
	scratch_load_b128 v[8:11], off, off offset:640
	v_fmac_f64_e32 v[180:181], v[6:7], v[12:13]
	v_fma_f64 v[182:183], v[4:5], v[12:13], -v[14:15]
	ds_load_b128 v[4:7], v2 offset:1328
	s_wait_loadcnt_dscnt 0xb01
	v_mul_f64_e32 v[178:179], v[170:171], v[124:125]
	v_mul_f64_e32 v[124:125], v[172:173], v[124:125]
	scratch_load_b128 v[12:15], off, off offset:656
	v_add_f64_e32 v[174:175], v[174:175], v[176:177]
	v_add_f64_e32 v[184:185], v[164:165], v[162:163]
	ds_load_b128 v[162:165], v2 offset:1344
	s_wait_loadcnt_dscnt 0xb01
	v_mul_f64_e32 v[176:177], v[4:5], v[128:129]
	v_mul_f64_e32 v[128:129], v[6:7], v[128:129]
	v_fmac_f64_e32 v[178:179], v[172:173], v[122:123]
	v_fma_f64 v[170:171], v[170:171], v[122:123], -v[124:125]
	scratch_load_b128 v[122:125], off, off offset:672
	v_add_f64_e32 v[174:175], v[174:175], v[180:181]
	v_add_f64_e32 v[172:173], v[184:185], v[182:183]
	v_fmac_f64_e32 v[176:177], v[6:7], v[126:127]
	v_fma_f64 v[182:183], v[4:5], v[126:127], -v[128:129]
	ds_load_b128 v[4:7], v2 offset:1360
	s_wait_loadcnt_dscnt 0xb01
	v_mul_f64_e32 v[180:181], v[162:163], v[132:133]
	v_mul_f64_e32 v[132:133], v[164:165], v[132:133]
	scratch_load_b128 v[126:129], off, off offset:688
	v_add_f64_e32 v[174:175], v[174:175], v[178:179]
	s_wait_loadcnt_dscnt 0xb00
	v_mul_f64_e32 v[178:179], v[4:5], v[136:137]
	v_add_f64_e32 v[184:185], v[172:173], v[170:171]
	v_mul_f64_e32 v[136:137], v[6:7], v[136:137]
	ds_load_b128 v[170:173], v2 offset:1376
	v_fmac_f64_e32 v[180:181], v[164:165], v[130:131]
	v_fma_f64 v[162:163], v[162:163], v[130:131], -v[132:133]
	scratch_load_b128 v[130:133], off, off offset:704
	v_add_f64_e32 v[174:175], v[174:175], v[176:177]
	v_fmac_f64_e32 v[178:179], v[6:7], v[134:135]
	v_add_f64_e32 v[164:165], v[184:185], v[182:183]
	v_fma_f64 v[182:183], v[4:5], v[134:135], -v[136:137]
	ds_load_b128 v[4:7], v2 offset:1392
	s_wait_loadcnt_dscnt 0xb01
	v_mul_f64_e32 v[176:177], v[170:171], v[140:141]
	v_mul_f64_e32 v[140:141], v[172:173], v[140:141]
	scratch_load_b128 v[134:137], off, off offset:720
	v_add_f64_e32 v[174:175], v[174:175], v[180:181]
	s_wait_loadcnt_dscnt 0xb00
	v_mul_f64_e32 v[180:181], v[4:5], v[144:145]
	v_add_f64_e32 v[184:185], v[164:165], v[162:163]
	v_mul_f64_e32 v[144:145], v[6:7], v[144:145]
	ds_load_b128 v[162:165], v2 offset:1408
	v_fmac_f64_e32 v[176:177], v[172:173], v[138:139]
	v_fma_f64 v[170:171], v[170:171], v[138:139], -v[140:141]
	scratch_load_b128 v[138:141], off, off offset:736
	v_add_f64_e32 v[174:175], v[174:175], v[178:179]
	v_fmac_f64_e32 v[180:181], v[6:7], v[142:143]
	v_add_f64_e32 v[172:173], v[184:185], v[182:183]
	;; [unrolled: 18-line block ×3, first 2 shown]
	v_fma_f64 v[182:183], v[4:5], v[154:155], -v[156:157]
	ds_load_b128 v[4:7], v2 offset:1456
	s_wait_loadcnt_dscnt 0xa01
	v_mul_f64_e32 v[180:181], v[170:171], v[168:169]
	v_mul_f64_e32 v[168:169], v[172:173], v[168:169]
	scratch_load_b128 v[154:157], off, off offset:784
	v_add_f64_e32 v[174:175], v[174:175], v[178:179]
	v_add_f64_e32 v[184:185], v[164:165], v[162:163]
	s_wait_loadcnt_dscnt 0xa00
	v_mul_f64_e32 v[178:179], v[4:5], v[152:153]
	v_mul_f64_e32 v[152:153], v[6:7], v[152:153]
	v_fmac_f64_e32 v[180:181], v[172:173], v[166:167]
	v_fma_f64 v[170:171], v[170:171], v[166:167], -v[168:169]
	ds_load_b128 v[162:165], v2 offset:1472
	scratch_load_b128 v[166:169], off, off offset:800
	v_add_f64_e32 v[174:175], v[174:175], v[176:177]
	v_add_f64_e32 v[172:173], v[184:185], v[182:183]
	v_fmac_f64_e32 v[178:179], v[6:7], v[150:151]
	v_fma_f64 v[182:183], v[4:5], v[150:151], -v[152:153]
	ds_load_b128 v[4:7], v2 offset:1488
	s_wait_loadcnt_dscnt 0xa01
	v_mul_f64_e32 v[176:177], v[162:163], v[10:11]
	v_mul_f64_e32 v[10:11], v[164:165], v[10:11]
	scratch_load_b128 v[150:153], off, off offset:816
	v_add_f64_e32 v[174:175], v[174:175], v[180:181]
	s_wait_loadcnt_dscnt 0xa00
	v_mul_f64_e32 v[180:181], v[4:5], v[14:15]
	v_add_f64_e32 v[184:185], v[172:173], v[170:171]
	v_mul_f64_e32 v[14:15], v[6:7], v[14:15]
	ds_load_b128 v[170:173], v2 offset:1504
	v_fmac_f64_e32 v[176:177], v[164:165], v[8:9]
	v_fma_f64 v[8:9], v[162:163], v[8:9], -v[10:11]
	s_wait_loadcnt_dscnt 0x900
	v_mul_f64_e32 v[164:165], v[170:171], v[124:125]
	v_mul_f64_e32 v[124:125], v[172:173], v[124:125]
	v_add_f64_e32 v[162:163], v[174:175], v[178:179]
	v_fmac_f64_e32 v[180:181], v[6:7], v[12:13]
	v_add_f64_e32 v[10:11], v[184:185], v[182:183]
	v_fma_f64 v[12:13], v[4:5], v[12:13], -v[14:15]
	v_fmac_f64_e32 v[164:165], v[172:173], v[122:123]
	v_fma_f64 v[122:123], v[170:171], v[122:123], -v[124:125]
	v_add_f64_e32 v[162:163], v[162:163], v[176:177]
	v_add_f64_e32 v[14:15], v[10:11], v[8:9]
	ds_load_b128 v[4:7], v2 offset:1520
	ds_load_b128 v[8:11], v2 offset:1536
	s_wait_loadcnt_dscnt 0x801
	v_mul_f64_e32 v[174:175], v[4:5], v[128:129]
	v_mul_f64_e32 v[128:129], v[6:7], v[128:129]
	s_wait_loadcnt_dscnt 0x700
	v_mul_f64_e32 v[124:125], v[8:9], v[132:133]
	v_mul_f64_e32 v[132:133], v[10:11], v[132:133]
	v_add_f64_e32 v[12:13], v[14:15], v[12:13]
	v_add_f64_e32 v[14:15], v[162:163], v[180:181]
	v_fmac_f64_e32 v[174:175], v[6:7], v[126:127]
	v_fma_f64 v[126:127], v[4:5], v[126:127], -v[128:129]
	v_fmac_f64_e32 v[124:125], v[10:11], v[130:131]
	v_fma_f64 v[8:9], v[8:9], v[130:131], -v[132:133]
	v_add_f64_e32 v[122:123], v[12:13], v[122:123]
	v_add_f64_e32 v[128:129], v[14:15], v[164:165]
	ds_load_b128 v[4:7], v2 offset:1552
	ds_load_b128 v[12:15], v2 offset:1568
	s_wait_loadcnt_dscnt 0x601
	v_mul_f64_e32 v[162:163], v[4:5], v[136:137]
	v_mul_f64_e32 v[136:137], v[6:7], v[136:137]
	v_add_f64_e32 v[10:11], v[122:123], v[126:127]
	v_add_f64_e32 v[122:123], v[128:129], v[174:175]
	s_wait_loadcnt_dscnt 0x500
	v_mul_f64_e32 v[126:127], v[12:13], v[140:141]
	v_mul_f64_e32 v[128:129], v[14:15], v[140:141]
	v_fmac_f64_e32 v[162:163], v[6:7], v[134:135]
	v_fma_f64 v[130:131], v[4:5], v[134:135], -v[136:137]
	v_add_f64_e32 v[132:133], v[10:11], v[8:9]
	v_add_f64_e32 v[122:123], v[122:123], v[124:125]
	ds_load_b128 v[4:7], v2 offset:1584
	ds_load_b128 v[8:11], v2 offset:1600
	v_fmac_f64_e32 v[126:127], v[14:15], v[138:139]
	v_fma_f64 v[12:13], v[12:13], v[138:139], -v[128:129]
	s_wait_loadcnt_dscnt 0x401
	v_mul_f64_e32 v[124:125], v[4:5], v[144:145]
	v_mul_f64_e32 v[134:135], v[6:7], v[144:145]
	s_wait_loadcnt_dscnt 0x300
	v_mul_f64_e32 v[128:129], v[8:9], v[148:149]
	v_add_f64_e32 v[14:15], v[132:133], v[130:131]
	v_add_f64_e32 v[122:123], v[122:123], v[162:163]
	v_mul_f64_e32 v[130:131], v[10:11], v[148:149]
	v_fmac_f64_e32 v[124:125], v[6:7], v[142:143]
	v_fma_f64 v[132:133], v[4:5], v[142:143], -v[134:135]
	v_fmac_f64_e32 v[128:129], v[10:11], v[146:147]
	v_add_f64_e32 v[134:135], v[14:15], v[12:13]
	v_add_f64_e32 v[122:123], v[122:123], v[126:127]
	ds_load_b128 v[4:7], v2 offset:1616
	ds_load_b128 v[12:15], v2 offset:1632
	v_fma_f64 v[8:9], v[8:9], v[146:147], -v[130:131]
	s_wait_loadcnt_dscnt 0x201
	v_mul_f64_e32 v[126:127], v[4:5], v[156:157]
	v_mul_f64_e32 v[136:137], v[6:7], v[156:157]
	s_wait_loadcnt_dscnt 0x100
	v_mul_f64_e32 v[130:131], v[14:15], v[168:169]
	v_add_f64_e32 v[10:11], v[134:135], v[132:133]
	v_add_f64_e32 v[122:123], v[122:123], v[124:125]
	v_mul_f64_e32 v[124:125], v[12:13], v[168:169]
	v_fmac_f64_e32 v[126:127], v[6:7], v[154:155]
	v_fma_f64 v[132:133], v[4:5], v[154:155], -v[136:137]
	ds_load_b128 v[4:7], v2 offset:1648
	v_fma_f64 v[12:13], v[12:13], v[166:167], -v[130:131]
	v_add_f64_e32 v[8:9], v[10:11], v[8:9]
	v_add_f64_e32 v[10:11], v[122:123], v[128:129]
	v_fmac_f64_e32 v[124:125], v[14:15], v[166:167]
	s_wait_loadcnt_dscnt 0x0
	v_mul_f64_e32 v[122:123], v[4:5], v[152:153]
	v_mul_f64_e32 v[128:129], v[6:7], v[152:153]
	v_add_f64_e32 v[8:9], v[8:9], v[132:133]
	v_add_f64_e32 v[10:11], v[10:11], v[126:127]
	s_delay_alu instid0(VALU_DEP_4) | instskip(NEXT) | instid1(VALU_DEP_4)
	v_fmac_f64_e32 v[122:123], v[6:7], v[150:151]
	v_fma_f64 v[4:5], v[4:5], v[150:151], -v[128:129]
	s_delay_alu instid0(VALU_DEP_4) | instskip(NEXT) | instid1(VALU_DEP_4)
	v_add_f64_e32 v[6:7], v[8:9], v[12:13]
	v_add_f64_e32 v[8:9], v[10:11], v[124:125]
	s_delay_alu instid0(VALU_DEP_2) | instskip(NEXT) | instid1(VALU_DEP_2)
	v_add_f64_e32 v[4:5], v[6:7], v[4:5]
	v_add_f64_e32 v[6:7], v[8:9], v[122:123]
	s_delay_alu instid0(VALU_DEP_2) | instskip(NEXT) | instid1(VALU_DEP_2)
	v_add_f64_e64 v[4:5], v[158:159], -v[4:5]
	v_add_f64_e64 v[6:7], v[160:161], -v[6:7]
	scratch_store_b128 off, v[4:7], off offset:416
	s_wait_xcnt 0x0
	v_cmpx_lt_u32_e32 25, v1
	s_cbranch_execz .LBB51_275
; %bb.274:
	scratch_load_b128 v[6:9], off, s50
	v_dual_mov_b32 v3, v2 :: v_dual_mov_b32 v4, v2
	v_mov_b32_e32 v5, v2
	scratch_store_b128 off, v[2:5], off offset:400
	s_wait_loadcnt 0x0
	ds_store_b128 v120, v[6:9]
.LBB51_275:
	s_wait_xcnt 0x0
	s_or_b32 exec_lo, exec_lo, s2
	s_wait_storecnt_dscnt 0x0
	s_barrier_signal -1
	s_barrier_wait -1
	s_clause 0x9
	scratch_load_b128 v[4:7], off, off offset:416
	scratch_load_b128 v[8:11], off, off offset:432
	;; [unrolled: 1-line block ×10, first 2 shown]
	ds_load_b128 v[150:153], v2 offset:1248
	ds_load_b128 v[158:161], v2 offset:1264
	s_clause 0x2
	scratch_load_b128 v[154:157], off, off offset:576
	scratch_load_b128 v[162:165], off, off offset:400
	;; [unrolled: 1-line block ×3, first 2 shown]
	s_mov_b32 s2, exec_lo
	s_wait_loadcnt_dscnt 0xc01
	v_mul_f64_e32 v[170:171], v[152:153], v[6:7]
	v_mul_f64_e32 v[174:175], v[150:151], v[6:7]
	s_wait_loadcnt_dscnt 0xb00
	v_mul_f64_e32 v[176:177], v[158:159], v[10:11]
	v_mul_f64_e32 v[10:11], v[160:161], v[10:11]
	s_delay_alu instid0(VALU_DEP_4) | instskip(NEXT) | instid1(VALU_DEP_4)
	v_fma_f64 v[178:179], v[150:151], v[4:5], -v[170:171]
	v_fmac_f64_e32 v[174:175], v[152:153], v[4:5]
	ds_load_b128 v[4:7], v2 offset:1280
	ds_load_b128 v[150:153], v2 offset:1296
	scratch_load_b128 v[170:173], off, off offset:608
	v_fmac_f64_e32 v[176:177], v[160:161], v[8:9]
	v_fma_f64 v[158:159], v[158:159], v[8:9], -v[10:11]
	scratch_load_b128 v[8:11], off, off offset:624
	s_wait_loadcnt_dscnt 0xc01
	v_mul_f64_e32 v[180:181], v[4:5], v[14:15]
	v_mul_f64_e32 v[14:15], v[6:7], v[14:15]
	v_add_f64_e32 v[160:161], 0, v[178:179]
	v_add_f64_e32 v[174:175], 0, v[174:175]
	s_wait_loadcnt_dscnt 0xb00
	v_mul_f64_e32 v[178:179], v[150:151], v[124:125]
	v_mul_f64_e32 v[124:125], v[152:153], v[124:125]
	v_fmac_f64_e32 v[180:181], v[6:7], v[12:13]
	v_fma_f64 v[182:183], v[4:5], v[12:13], -v[14:15]
	ds_load_b128 v[4:7], v2 offset:1312
	ds_load_b128 v[12:15], v2 offset:1328
	v_add_f64_e32 v[184:185], v[160:161], v[158:159]
	v_add_f64_e32 v[174:175], v[174:175], v[176:177]
	scratch_load_b128 v[158:161], off, off offset:640
	v_fmac_f64_e32 v[178:179], v[152:153], v[122:123]
	v_fma_f64 v[150:151], v[150:151], v[122:123], -v[124:125]
	scratch_load_b128 v[122:125], off, off offset:656
	s_wait_loadcnt_dscnt 0xc01
	v_mul_f64_e32 v[176:177], v[4:5], v[128:129]
	v_mul_f64_e32 v[128:129], v[6:7], v[128:129]
	v_add_f64_e32 v[152:153], v[184:185], v[182:183]
	v_add_f64_e32 v[174:175], v[174:175], v[180:181]
	s_wait_loadcnt_dscnt 0xb00
	v_mul_f64_e32 v[180:181], v[12:13], v[132:133]
	v_mul_f64_e32 v[132:133], v[14:15], v[132:133]
	v_fmac_f64_e32 v[176:177], v[6:7], v[126:127]
	v_fma_f64 v[182:183], v[4:5], v[126:127], -v[128:129]
	ds_load_b128 v[4:7], v2 offset:1344
	ds_load_b128 v[126:129], v2 offset:1360
	v_add_f64_e32 v[184:185], v[152:153], v[150:151]
	v_add_f64_e32 v[174:175], v[174:175], v[178:179]
	scratch_load_b128 v[150:153], off, off offset:672
	s_wait_loadcnt_dscnt 0xb01
	v_mul_f64_e32 v[178:179], v[4:5], v[136:137]
	v_mul_f64_e32 v[136:137], v[6:7], v[136:137]
	v_fmac_f64_e32 v[180:181], v[14:15], v[130:131]
	v_fma_f64 v[130:131], v[12:13], v[130:131], -v[132:133]
	scratch_load_b128 v[12:15], off, off offset:688
	v_add_f64_e32 v[132:133], v[184:185], v[182:183]
	v_add_f64_e32 v[174:175], v[174:175], v[176:177]
	s_wait_loadcnt_dscnt 0xb00
	v_mul_f64_e32 v[176:177], v[126:127], v[140:141]
	v_mul_f64_e32 v[140:141], v[128:129], v[140:141]
	v_fmac_f64_e32 v[178:179], v[6:7], v[134:135]
	v_fma_f64 v[182:183], v[4:5], v[134:135], -v[136:137]
	v_add_f64_e32 v[184:185], v[132:133], v[130:131]
	v_add_f64_e32 v[174:175], v[174:175], v[180:181]
	ds_load_b128 v[4:7], v2 offset:1376
	ds_load_b128 v[130:133], v2 offset:1392
	scratch_load_b128 v[134:137], off, off offset:704
	v_fmac_f64_e32 v[176:177], v[128:129], v[138:139]
	v_fma_f64 v[138:139], v[126:127], v[138:139], -v[140:141]
	scratch_load_b128 v[126:129], off, off offset:720
	s_wait_loadcnt_dscnt 0xc01
	v_mul_f64_e32 v[180:181], v[4:5], v[144:145]
	v_mul_f64_e32 v[144:145], v[6:7], v[144:145]
	v_add_f64_e32 v[140:141], v[184:185], v[182:183]
	v_add_f64_e32 v[174:175], v[174:175], v[178:179]
	s_wait_loadcnt_dscnt 0xb00
	v_mul_f64_e32 v[178:179], v[130:131], v[148:149]
	v_mul_f64_e32 v[148:149], v[132:133], v[148:149]
	v_fmac_f64_e32 v[180:181], v[6:7], v[142:143]
	v_fma_f64 v[182:183], v[4:5], v[142:143], -v[144:145]
	v_add_f64_e32 v[184:185], v[140:141], v[138:139]
	v_add_f64_e32 v[174:175], v[174:175], v[176:177]
	ds_load_b128 v[4:7], v2 offset:1408
	ds_load_b128 v[138:141], v2 offset:1424
	scratch_load_b128 v[142:145], off, off offset:736
	v_fmac_f64_e32 v[178:179], v[132:133], v[146:147]
	v_fma_f64 v[146:147], v[130:131], v[146:147], -v[148:149]
	scratch_load_b128 v[130:133], off, off offset:752
	s_wait_loadcnt_dscnt 0xc01
	v_mul_f64_e32 v[176:177], v[4:5], v[156:157]
	v_mul_f64_e32 v[156:157], v[6:7], v[156:157]
	;; [unrolled: 18-line block ×4, first 2 shown]
	v_add_f64_e32 v[148:149], v[184:185], v[182:183]
	v_add_f64_e32 v[174:175], v[174:175], v[178:179]
	s_wait_loadcnt_dscnt 0xa00
	v_mul_f64_e32 v[178:179], v[166:167], v[124:125]
	v_mul_f64_e32 v[124:125], v[168:169], v[124:125]
	v_fmac_f64_e32 v[180:181], v[6:7], v[158:159]
	v_fma_f64 v[158:159], v[4:5], v[158:159], -v[160:161]
	v_add_f64_e32 v[160:161], v[148:149], v[146:147]
	v_add_f64_e32 v[174:175], v[174:175], v[176:177]
	ds_load_b128 v[4:7], v2 offset:1504
	ds_load_b128 v[146:149], v2 offset:1520
	v_fmac_f64_e32 v[178:179], v[168:169], v[122:123]
	v_fma_f64 v[122:123], v[166:167], v[122:123], -v[124:125]
	s_wait_loadcnt_dscnt 0x901
	v_mul_f64_e32 v[176:177], v[4:5], v[152:153]
	v_mul_f64_e32 v[152:153], v[6:7], v[152:153]
	v_add_f64_e32 v[124:125], v[160:161], v[158:159]
	v_add_f64_e32 v[158:159], v[174:175], v[180:181]
	s_wait_loadcnt_dscnt 0x800
	v_mul_f64_e32 v[160:161], v[146:147], v[14:15]
	v_mul_f64_e32 v[14:15], v[148:149], v[14:15]
	v_fmac_f64_e32 v[176:177], v[6:7], v[150:151]
	v_fma_f64 v[150:151], v[4:5], v[150:151], -v[152:153]
	v_add_f64_e32 v[152:153], v[124:125], v[122:123]
	v_add_f64_e32 v[158:159], v[158:159], v[178:179]
	ds_load_b128 v[4:7], v2 offset:1536
	ds_load_b128 v[122:125], v2 offset:1552
	v_fmac_f64_e32 v[160:161], v[148:149], v[12:13]
	v_fma_f64 v[12:13], v[146:147], v[12:13], -v[14:15]
	s_wait_loadcnt_dscnt 0x701
	v_mul_f64_e32 v[166:167], v[4:5], v[136:137]
	v_mul_f64_e32 v[136:137], v[6:7], v[136:137]
	s_wait_loadcnt_dscnt 0x600
	v_mul_f64_e32 v[148:149], v[122:123], v[128:129]
	v_mul_f64_e32 v[128:129], v[124:125], v[128:129]
	v_add_f64_e32 v[14:15], v[152:153], v[150:151]
	v_add_f64_e32 v[146:147], v[158:159], v[176:177]
	v_fmac_f64_e32 v[166:167], v[6:7], v[134:135]
	v_fma_f64 v[134:135], v[4:5], v[134:135], -v[136:137]
	v_fmac_f64_e32 v[148:149], v[124:125], v[126:127]
	v_fma_f64 v[122:123], v[122:123], v[126:127], -v[128:129]
	v_add_f64_e32 v[136:137], v[14:15], v[12:13]
	v_add_f64_e32 v[146:147], v[146:147], v[160:161]
	ds_load_b128 v[4:7], v2 offset:1568
	ds_load_b128 v[12:15], v2 offset:1584
	s_wait_loadcnt_dscnt 0x501
	v_mul_f64_e32 v[150:151], v[4:5], v[144:145]
	v_mul_f64_e32 v[144:145], v[6:7], v[144:145]
	s_wait_loadcnt_dscnt 0x400
	v_mul_f64_e32 v[128:129], v[12:13], v[132:133]
	v_mul_f64_e32 v[132:133], v[14:15], v[132:133]
	v_add_f64_e32 v[124:125], v[136:137], v[134:135]
	v_add_f64_e32 v[126:127], v[146:147], v[166:167]
	v_fmac_f64_e32 v[150:151], v[6:7], v[142:143]
	v_fma_f64 v[134:135], v[4:5], v[142:143], -v[144:145]
	v_fmac_f64_e32 v[128:129], v[14:15], v[130:131]
	v_fma_f64 v[12:13], v[12:13], v[130:131], -v[132:133]
	v_add_f64_e32 v[136:137], v[124:125], v[122:123]
	v_add_f64_e32 v[126:127], v[126:127], v[148:149]
	ds_load_b128 v[4:7], v2 offset:1600
	ds_load_b128 v[122:125], v2 offset:1616
	;; [unrolled: 16-line block ×3, first 2 shown]
	s_wait_loadcnt_dscnt 0x101
	v_mul_f64_e32 v[2:3], v[4:5], v[172:173]
	v_mul_f64_e32 v[128:129], v[6:7], v[172:173]
	s_wait_loadcnt_dscnt 0x0
	v_mul_f64_e32 v[132:133], v[12:13], v[10:11]
	v_mul_f64_e32 v[10:11], v[14:15], v[10:11]
	v_add_f64_e32 v[124:125], v[136:137], v[134:135]
	v_add_f64_e32 v[126:127], v[126:127], v[142:143]
	v_fmac_f64_e32 v[2:3], v[6:7], v[170:171]
	v_fma_f64 v[4:5], v[4:5], v[170:171], -v[128:129]
	v_fmac_f64_e32 v[132:133], v[14:15], v[8:9]
	v_fma_f64 v[8:9], v[12:13], v[8:9], -v[10:11]
	v_add_f64_e32 v[6:7], v[124:125], v[122:123]
	v_add_f64_e32 v[122:123], v[126:127], v[130:131]
	s_delay_alu instid0(VALU_DEP_2) | instskip(NEXT) | instid1(VALU_DEP_2)
	v_add_f64_e32 v[4:5], v[6:7], v[4:5]
	v_add_f64_e32 v[2:3], v[122:123], v[2:3]
	s_delay_alu instid0(VALU_DEP_2) | instskip(NEXT) | instid1(VALU_DEP_2)
	;; [unrolled: 3-line block ×3, first 2 shown]
	v_add_f64_e64 v[2:3], v[162:163], -v[4:5]
	v_add_f64_e64 v[4:5], v[164:165], -v[6:7]
	scratch_store_b128 off, v[2:5], off offset:400
	s_wait_xcnt 0x0
	v_cmpx_lt_u32_e32 24, v1
	s_cbranch_execz .LBB51_277
; %bb.276:
	scratch_load_b128 v[2:5], off, s47
	v_mov_b32_e32 v6, 0
	s_delay_alu instid0(VALU_DEP_1)
	v_dual_mov_b32 v7, v6 :: v_dual_mov_b32 v8, v6
	v_mov_b32_e32 v9, v6
	scratch_store_b128 off, v[6:9], off offset:384
	s_wait_loadcnt 0x0
	ds_store_b128 v120, v[2:5]
.LBB51_277:
	s_wait_xcnt 0x0
	s_or_b32 exec_lo, exec_lo, s2
	s_wait_storecnt_dscnt 0x0
	s_barrier_signal -1
	s_barrier_wait -1
	s_clause 0x9
	scratch_load_b128 v[4:7], off, off offset:400
	scratch_load_b128 v[8:11], off, off offset:416
	;; [unrolled: 1-line block ×10, first 2 shown]
	v_mov_b32_e32 v2, 0
	s_mov_b32 s2, exec_lo
	ds_load_b128 v[150:153], v2 offset:1232
	s_clause 0x2
	scratch_load_b128 v[154:157], off, off offset:560
	scratch_load_b128 v[158:161], off, off offset:384
	scratch_load_b128 v[166:169], off, off offset:576
	s_wait_loadcnt_dscnt 0xc00
	v_mul_f64_e32 v[170:171], v[152:153], v[6:7]
	v_mul_f64_e32 v[174:175], v[150:151], v[6:7]
	ds_load_b128 v[162:165], v2 offset:1248
	v_fma_f64 v[178:179], v[150:151], v[4:5], -v[170:171]
	v_fmac_f64_e32 v[174:175], v[152:153], v[4:5]
	ds_load_b128 v[4:7], v2 offset:1264
	s_wait_loadcnt_dscnt 0xb01
	v_mul_f64_e32 v[176:177], v[162:163], v[10:11]
	v_mul_f64_e32 v[10:11], v[164:165], v[10:11]
	scratch_load_b128 v[150:153], off, off offset:592
	ds_load_b128 v[170:173], v2 offset:1280
	s_wait_loadcnt_dscnt 0xb01
	v_mul_f64_e32 v[180:181], v[4:5], v[14:15]
	v_mul_f64_e32 v[14:15], v[6:7], v[14:15]
	v_add_f64_e32 v[174:175], 0, v[174:175]
	v_fmac_f64_e32 v[176:177], v[164:165], v[8:9]
	v_fma_f64 v[162:163], v[162:163], v[8:9], -v[10:11]
	v_add_f64_e32 v[164:165], 0, v[178:179]
	scratch_load_b128 v[8:11], off, off offset:608
	v_fmac_f64_e32 v[180:181], v[6:7], v[12:13]
	v_fma_f64 v[182:183], v[4:5], v[12:13], -v[14:15]
	ds_load_b128 v[4:7], v2 offset:1296
	s_wait_loadcnt_dscnt 0xb01
	v_mul_f64_e32 v[178:179], v[170:171], v[124:125]
	v_mul_f64_e32 v[124:125], v[172:173], v[124:125]
	scratch_load_b128 v[12:15], off, off offset:624
	v_add_f64_e32 v[174:175], v[174:175], v[176:177]
	v_add_f64_e32 v[184:185], v[164:165], v[162:163]
	ds_load_b128 v[162:165], v2 offset:1312
	s_wait_loadcnt_dscnt 0xb01
	v_mul_f64_e32 v[176:177], v[4:5], v[128:129]
	v_mul_f64_e32 v[128:129], v[6:7], v[128:129]
	v_fmac_f64_e32 v[178:179], v[172:173], v[122:123]
	v_fma_f64 v[170:171], v[170:171], v[122:123], -v[124:125]
	scratch_load_b128 v[122:125], off, off offset:640
	v_add_f64_e32 v[174:175], v[174:175], v[180:181]
	v_add_f64_e32 v[172:173], v[184:185], v[182:183]
	v_fmac_f64_e32 v[176:177], v[6:7], v[126:127]
	v_fma_f64 v[182:183], v[4:5], v[126:127], -v[128:129]
	ds_load_b128 v[4:7], v2 offset:1328
	s_wait_loadcnt_dscnt 0xb01
	v_mul_f64_e32 v[180:181], v[162:163], v[132:133]
	v_mul_f64_e32 v[132:133], v[164:165], v[132:133]
	scratch_load_b128 v[126:129], off, off offset:656
	v_add_f64_e32 v[174:175], v[174:175], v[178:179]
	s_wait_loadcnt_dscnt 0xb00
	v_mul_f64_e32 v[178:179], v[4:5], v[136:137]
	v_add_f64_e32 v[184:185], v[172:173], v[170:171]
	v_mul_f64_e32 v[136:137], v[6:7], v[136:137]
	ds_load_b128 v[170:173], v2 offset:1344
	v_fmac_f64_e32 v[180:181], v[164:165], v[130:131]
	v_fma_f64 v[162:163], v[162:163], v[130:131], -v[132:133]
	scratch_load_b128 v[130:133], off, off offset:672
	v_add_f64_e32 v[174:175], v[174:175], v[176:177]
	v_fmac_f64_e32 v[178:179], v[6:7], v[134:135]
	v_add_f64_e32 v[164:165], v[184:185], v[182:183]
	v_fma_f64 v[182:183], v[4:5], v[134:135], -v[136:137]
	ds_load_b128 v[4:7], v2 offset:1360
	s_wait_loadcnt_dscnt 0xb01
	v_mul_f64_e32 v[176:177], v[170:171], v[140:141]
	v_mul_f64_e32 v[140:141], v[172:173], v[140:141]
	scratch_load_b128 v[134:137], off, off offset:688
	v_add_f64_e32 v[174:175], v[174:175], v[180:181]
	s_wait_loadcnt_dscnt 0xb00
	v_mul_f64_e32 v[180:181], v[4:5], v[144:145]
	v_add_f64_e32 v[184:185], v[164:165], v[162:163]
	v_mul_f64_e32 v[144:145], v[6:7], v[144:145]
	ds_load_b128 v[162:165], v2 offset:1376
	v_fmac_f64_e32 v[176:177], v[172:173], v[138:139]
	v_fma_f64 v[170:171], v[170:171], v[138:139], -v[140:141]
	scratch_load_b128 v[138:141], off, off offset:704
	v_add_f64_e32 v[174:175], v[174:175], v[178:179]
	v_fmac_f64_e32 v[180:181], v[6:7], v[142:143]
	v_add_f64_e32 v[172:173], v[184:185], v[182:183]
	;; [unrolled: 18-line block ×3, first 2 shown]
	v_fma_f64 v[182:183], v[4:5], v[154:155], -v[156:157]
	ds_load_b128 v[4:7], v2 offset:1424
	s_wait_loadcnt_dscnt 0xa01
	v_mul_f64_e32 v[180:181], v[170:171], v[168:169]
	v_mul_f64_e32 v[168:169], v[172:173], v[168:169]
	scratch_load_b128 v[154:157], off, off offset:752
	v_add_f64_e32 v[174:175], v[174:175], v[178:179]
	v_add_f64_e32 v[184:185], v[164:165], v[162:163]
	s_wait_loadcnt_dscnt 0xa00
	v_mul_f64_e32 v[178:179], v[4:5], v[152:153]
	v_mul_f64_e32 v[152:153], v[6:7], v[152:153]
	v_fmac_f64_e32 v[180:181], v[172:173], v[166:167]
	v_fma_f64 v[170:171], v[170:171], v[166:167], -v[168:169]
	ds_load_b128 v[162:165], v2 offset:1440
	scratch_load_b128 v[166:169], off, off offset:768
	v_add_f64_e32 v[174:175], v[174:175], v[176:177]
	v_add_f64_e32 v[172:173], v[184:185], v[182:183]
	v_fmac_f64_e32 v[178:179], v[6:7], v[150:151]
	v_fma_f64 v[182:183], v[4:5], v[150:151], -v[152:153]
	ds_load_b128 v[4:7], v2 offset:1456
	s_wait_loadcnt_dscnt 0xa01
	v_mul_f64_e32 v[176:177], v[162:163], v[10:11]
	v_mul_f64_e32 v[10:11], v[164:165], v[10:11]
	scratch_load_b128 v[150:153], off, off offset:784
	v_add_f64_e32 v[174:175], v[174:175], v[180:181]
	s_wait_loadcnt_dscnt 0xa00
	v_mul_f64_e32 v[180:181], v[4:5], v[14:15]
	v_add_f64_e32 v[184:185], v[172:173], v[170:171]
	v_mul_f64_e32 v[14:15], v[6:7], v[14:15]
	ds_load_b128 v[170:173], v2 offset:1472
	v_fmac_f64_e32 v[176:177], v[164:165], v[8:9]
	v_fma_f64 v[162:163], v[162:163], v[8:9], -v[10:11]
	scratch_load_b128 v[8:11], off, off offset:800
	v_add_f64_e32 v[174:175], v[174:175], v[178:179]
	v_fmac_f64_e32 v[180:181], v[6:7], v[12:13]
	v_add_f64_e32 v[164:165], v[184:185], v[182:183]
	v_fma_f64 v[182:183], v[4:5], v[12:13], -v[14:15]
	ds_load_b128 v[4:7], v2 offset:1488
	s_wait_loadcnt_dscnt 0xa01
	v_mul_f64_e32 v[178:179], v[170:171], v[124:125]
	v_mul_f64_e32 v[124:125], v[172:173], v[124:125]
	scratch_load_b128 v[12:15], off, off offset:816
	v_add_f64_e32 v[174:175], v[174:175], v[176:177]
	s_wait_loadcnt_dscnt 0xa00
	v_mul_f64_e32 v[176:177], v[4:5], v[128:129]
	v_add_f64_e32 v[184:185], v[164:165], v[162:163]
	v_mul_f64_e32 v[128:129], v[6:7], v[128:129]
	ds_load_b128 v[162:165], v2 offset:1504
	v_fmac_f64_e32 v[178:179], v[172:173], v[122:123]
	v_fma_f64 v[122:123], v[170:171], v[122:123], -v[124:125]
	s_wait_loadcnt_dscnt 0x900
	v_mul_f64_e32 v[172:173], v[162:163], v[132:133]
	v_mul_f64_e32 v[132:133], v[164:165], v[132:133]
	v_add_f64_e32 v[170:171], v[174:175], v[180:181]
	v_fmac_f64_e32 v[176:177], v[6:7], v[126:127]
	v_add_f64_e32 v[124:125], v[184:185], v[182:183]
	v_fma_f64 v[126:127], v[4:5], v[126:127], -v[128:129]
	v_fmac_f64_e32 v[172:173], v[164:165], v[130:131]
	v_fma_f64 v[130:131], v[162:163], v[130:131], -v[132:133]
	v_add_f64_e32 v[170:171], v[170:171], v[178:179]
	v_add_f64_e32 v[128:129], v[124:125], v[122:123]
	ds_load_b128 v[4:7], v2 offset:1520
	ds_load_b128 v[122:125], v2 offset:1536
	s_wait_loadcnt_dscnt 0x801
	v_mul_f64_e32 v[174:175], v[4:5], v[136:137]
	v_mul_f64_e32 v[136:137], v[6:7], v[136:137]
	s_wait_loadcnt_dscnt 0x700
	v_mul_f64_e32 v[132:133], v[122:123], v[140:141]
	v_mul_f64_e32 v[140:141], v[124:125], v[140:141]
	v_add_f64_e32 v[126:127], v[128:129], v[126:127]
	v_add_f64_e32 v[128:129], v[170:171], v[176:177]
	v_fmac_f64_e32 v[174:175], v[6:7], v[134:135]
	v_fma_f64 v[134:135], v[4:5], v[134:135], -v[136:137]
	v_fmac_f64_e32 v[132:133], v[124:125], v[138:139]
	v_fma_f64 v[122:123], v[122:123], v[138:139], -v[140:141]
	v_add_f64_e32 v[130:131], v[126:127], v[130:131]
	v_add_f64_e32 v[136:137], v[128:129], v[172:173]
	ds_load_b128 v[4:7], v2 offset:1552
	ds_load_b128 v[126:129], v2 offset:1568
	s_wait_loadcnt_dscnt 0x601
	v_mul_f64_e32 v[162:163], v[4:5], v[144:145]
	v_mul_f64_e32 v[144:145], v[6:7], v[144:145]
	v_add_f64_e32 v[124:125], v[130:131], v[134:135]
	v_add_f64_e32 v[130:131], v[136:137], v[174:175]
	s_wait_loadcnt_dscnt 0x500
	v_mul_f64_e32 v[134:135], v[126:127], v[148:149]
	v_mul_f64_e32 v[136:137], v[128:129], v[148:149]
	v_fmac_f64_e32 v[162:163], v[6:7], v[142:143]
	v_fma_f64 v[138:139], v[4:5], v[142:143], -v[144:145]
	v_add_f64_e32 v[140:141], v[124:125], v[122:123]
	v_add_f64_e32 v[130:131], v[130:131], v[132:133]
	ds_load_b128 v[4:7], v2 offset:1584
	ds_load_b128 v[122:125], v2 offset:1600
	v_fmac_f64_e32 v[134:135], v[128:129], v[146:147]
	v_fma_f64 v[126:127], v[126:127], v[146:147], -v[136:137]
	s_wait_loadcnt_dscnt 0x401
	v_mul_f64_e32 v[132:133], v[4:5], v[156:157]
	v_mul_f64_e32 v[142:143], v[6:7], v[156:157]
	s_wait_loadcnt_dscnt 0x300
	v_mul_f64_e32 v[136:137], v[122:123], v[168:169]
	v_add_f64_e32 v[128:129], v[140:141], v[138:139]
	v_add_f64_e32 v[130:131], v[130:131], v[162:163]
	v_mul_f64_e32 v[138:139], v[124:125], v[168:169]
	v_fmac_f64_e32 v[132:133], v[6:7], v[154:155]
	v_fma_f64 v[140:141], v[4:5], v[154:155], -v[142:143]
	v_fmac_f64_e32 v[136:137], v[124:125], v[166:167]
	v_add_f64_e32 v[142:143], v[128:129], v[126:127]
	v_add_f64_e32 v[130:131], v[130:131], v[134:135]
	ds_load_b128 v[4:7], v2 offset:1616
	ds_load_b128 v[126:129], v2 offset:1632
	v_fma_f64 v[122:123], v[122:123], v[166:167], -v[138:139]
	s_wait_loadcnt_dscnt 0x201
	v_mul_f64_e32 v[134:135], v[4:5], v[152:153]
	v_mul_f64_e32 v[144:145], v[6:7], v[152:153]
	v_add_f64_e32 v[124:125], v[142:143], v[140:141]
	v_add_f64_e32 v[130:131], v[130:131], v[132:133]
	s_wait_loadcnt_dscnt 0x100
	v_mul_f64_e32 v[132:133], v[126:127], v[10:11]
	v_mul_f64_e32 v[10:11], v[128:129], v[10:11]
	v_fmac_f64_e32 v[134:135], v[6:7], v[150:151]
	v_fma_f64 v[138:139], v[4:5], v[150:151], -v[144:145]
	ds_load_b128 v[4:7], v2 offset:1648
	v_add_f64_e32 v[122:123], v[124:125], v[122:123]
	v_add_f64_e32 v[124:125], v[130:131], v[136:137]
	v_fmac_f64_e32 v[132:133], v[128:129], v[8:9]
	v_fma_f64 v[8:9], v[126:127], v[8:9], -v[10:11]
	s_wait_loadcnt_dscnt 0x0
	v_mul_f64_e32 v[130:131], v[4:5], v[14:15]
	v_mul_f64_e32 v[14:15], v[6:7], v[14:15]
	v_add_f64_e32 v[10:11], v[122:123], v[138:139]
	v_add_f64_e32 v[122:123], v[124:125], v[134:135]
	s_delay_alu instid0(VALU_DEP_4) | instskip(NEXT) | instid1(VALU_DEP_4)
	v_fmac_f64_e32 v[130:131], v[6:7], v[12:13]
	v_fma_f64 v[4:5], v[4:5], v[12:13], -v[14:15]
	s_delay_alu instid0(VALU_DEP_4) | instskip(NEXT) | instid1(VALU_DEP_4)
	v_add_f64_e32 v[6:7], v[10:11], v[8:9]
	v_add_f64_e32 v[8:9], v[122:123], v[132:133]
	s_delay_alu instid0(VALU_DEP_2) | instskip(NEXT) | instid1(VALU_DEP_2)
	v_add_f64_e32 v[4:5], v[6:7], v[4:5]
	v_add_f64_e32 v[6:7], v[8:9], v[130:131]
	s_delay_alu instid0(VALU_DEP_2) | instskip(NEXT) | instid1(VALU_DEP_2)
	v_add_f64_e64 v[4:5], v[158:159], -v[4:5]
	v_add_f64_e64 v[6:7], v[160:161], -v[6:7]
	scratch_store_b128 off, v[4:7], off offset:384
	s_wait_xcnt 0x0
	v_cmpx_lt_u32_e32 23, v1
	s_cbranch_execz .LBB51_279
; %bb.278:
	scratch_load_b128 v[6:9], off, s44
	v_dual_mov_b32 v3, v2 :: v_dual_mov_b32 v4, v2
	v_mov_b32_e32 v5, v2
	scratch_store_b128 off, v[2:5], off offset:368
	s_wait_loadcnt 0x0
	ds_store_b128 v120, v[6:9]
.LBB51_279:
	s_wait_xcnt 0x0
	s_or_b32 exec_lo, exec_lo, s2
	s_wait_storecnt_dscnt 0x0
	s_barrier_signal -1
	s_barrier_wait -1
	s_clause 0x9
	scratch_load_b128 v[4:7], off, off offset:384
	scratch_load_b128 v[8:11], off, off offset:400
	;; [unrolled: 1-line block ×10, first 2 shown]
	ds_load_b128 v[150:153], v2 offset:1216
	ds_load_b128 v[158:161], v2 offset:1232
	s_clause 0x2
	scratch_load_b128 v[154:157], off, off offset:544
	scratch_load_b128 v[162:165], off, off offset:368
	;; [unrolled: 1-line block ×3, first 2 shown]
	s_mov_b32 s2, exec_lo
	s_wait_loadcnt_dscnt 0xc01
	v_mul_f64_e32 v[170:171], v[152:153], v[6:7]
	v_mul_f64_e32 v[174:175], v[150:151], v[6:7]
	s_wait_loadcnt_dscnt 0xb00
	v_mul_f64_e32 v[176:177], v[158:159], v[10:11]
	v_mul_f64_e32 v[10:11], v[160:161], v[10:11]
	s_delay_alu instid0(VALU_DEP_4) | instskip(NEXT) | instid1(VALU_DEP_4)
	v_fma_f64 v[178:179], v[150:151], v[4:5], -v[170:171]
	v_fmac_f64_e32 v[174:175], v[152:153], v[4:5]
	ds_load_b128 v[4:7], v2 offset:1248
	ds_load_b128 v[150:153], v2 offset:1264
	scratch_load_b128 v[170:173], off, off offset:576
	v_fmac_f64_e32 v[176:177], v[160:161], v[8:9]
	v_fma_f64 v[158:159], v[158:159], v[8:9], -v[10:11]
	scratch_load_b128 v[8:11], off, off offset:592
	s_wait_loadcnt_dscnt 0xc01
	v_mul_f64_e32 v[180:181], v[4:5], v[14:15]
	v_mul_f64_e32 v[14:15], v[6:7], v[14:15]
	v_add_f64_e32 v[160:161], 0, v[178:179]
	v_add_f64_e32 v[174:175], 0, v[174:175]
	s_wait_loadcnt_dscnt 0xb00
	v_mul_f64_e32 v[178:179], v[150:151], v[124:125]
	v_mul_f64_e32 v[124:125], v[152:153], v[124:125]
	v_fmac_f64_e32 v[180:181], v[6:7], v[12:13]
	v_fma_f64 v[182:183], v[4:5], v[12:13], -v[14:15]
	ds_load_b128 v[4:7], v2 offset:1280
	ds_load_b128 v[12:15], v2 offset:1296
	v_add_f64_e32 v[184:185], v[160:161], v[158:159]
	v_add_f64_e32 v[174:175], v[174:175], v[176:177]
	scratch_load_b128 v[158:161], off, off offset:608
	v_fmac_f64_e32 v[178:179], v[152:153], v[122:123]
	v_fma_f64 v[150:151], v[150:151], v[122:123], -v[124:125]
	scratch_load_b128 v[122:125], off, off offset:624
	s_wait_loadcnt_dscnt 0xc01
	v_mul_f64_e32 v[176:177], v[4:5], v[128:129]
	v_mul_f64_e32 v[128:129], v[6:7], v[128:129]
	v_add_f64_e32 v[152:153], v[184:185], v[182:183]
	v_add_f64_e32 v[174:175], v[174:175], v[180:181]
	s_wait_loadcnt_dscnt 0xb00
	v_mul_f64_e32 v[180:181], v[12:13], v[132:133]
	v_mul_f64_e32 v[132:133], v[14:15], v[132:133]
	v_fmac_f64_e32 v[176:177], v[6:7], v[126:127]
	v_fma_f64 v[182:183], v[4:5], v[126:127], -v[128:129]
	ds_load_b128 v[4:7], v2 offset:1312
	ds_load_b128 v[126:129], v2 offset:1328
	v_add_f64_e32 v[184:185], v[152:153], v[150:151]
	v_add_f64_e32 v[174:175], v[174:175], v[178:179]
	scratch_load_b128 v[150:153], off, off offset:640
	s_wait_loadcnt_dscnt 0xb01
	v_mul_f64_e32 v[178:179], v[4:5], v[136:137]
	v_mul_f64_e32 v[136:137], v[6:7], v[136:137]
	v_fmac_f64_e32 v[180:181], v[14:15], v[130:131]
	v_fma_f64 v[130:131], v[12:13], v[130:131], -v[132:133]
	scratch_load_b128 v[12:15], off, off offset:656
	v_add_f64_e32 v[132:133], v[184:185], v[182:183]
	v_add_f64_e32 v[174:175], v[174:175], v[176:177]
	s_wait_loadcnt_dscnt 0xb00
	v_mul_f64_e32 v[176:177], v[126:127], v[140:141]
	v_mul_f64_e32 v[140:141], v[128:129], v[140:141]
	v_fmac_f64_e32 v[178:179], v[6:7], v[134:135]
	v_fma_f64 v[182:183], v[4:5], v[134:135], -v[136:137]
	v_add_f64_e32 v[184:185], v[132:133], v[130:131]
	v_add_f64_e32 v[174:175], v[174:175], v[180:181]
	ds_load_b128 v[4:7], v2 offset:1344
	ds_load_b128 v[130:133], v2 offset:1360
	scratch_load_b128 v[134:137], off, off offset:672
	v_fmac_f64_e32 v[176:177], v[128:129], v[138:139]
	v_fma_f64 v[138:139], v[126:127], v[138:139], -v[140:141]
	scratch_load_b128 v[126:129], off, off offset:688
	s_wait_loadcnt_dscnt 0xc01
	v_mul_f64_e32 v[180:181], v[4:5], v[144:145]
	v_mul_f64_e32 v[144:145], v[6:7], v[144:145]
	v_add_f64_e32 v[140:141], v[184:185], v[182:183]
	v_add_f64_e32 v[174:175], v[174:175], v[178:179]
	s_wait_loadcnt_dscnt 0xb00
	v_mul_f64_e32 v[178:179], v[130:131], v[148:149]
	v_mul_f64_e32 v[148:149], v[132:133], v[148:149]
	v_fmac_f64_e32 v[180:181], v[6:7], v[142:143]
	v_fma_f64 v[182:183], v[4:5], v[142:143], -v[144:145]
	v_add_f64_e32 v[184:185], v[140:141], v[138:139]
	v_add_f64_e32 v[174:175], v[174:175], v[176:177]
	ds_load_b128 v[4:7], v2 offset:1376
	ds_load_b128 v[138:141], v2 offset:1392
	scratch_load_b128 v[142:145], off, off offset:704
	v_fmac_f64_e32 v[178:179], v[132:133], v[146:147]
	v_fma_f64 v[146:147], v[130:131], v[146:147], -v[148:149]
	scratch_load_b128 v[130:133], off, off offset:720
	s_wait_loadcnt_dscnt 0xc01
	v_mul_f64_e32 v[176:177], v[4:5], v[156:157]
	v_mul_f64_e32 v[156:157], v[6:7], v[156:157]
	;; [unrolled: 18-line block ×5, first 2 shown]
	v_add_f64_e32 v[168:169], v[184:185], v[182:183]
	v_add_f64_e32 v[174:175], v[174:175], v[180:181]
	s_wait_loadcnt_dscnt 0xa00
	v_mul_f64_e32 v[180:181], v[146:147], v[14:15]
	v_mul_f64_e32 v[14:15], v[148:149], v[14:15]
	v_fmac_f64_e32 v[176:177], v[6:7], v[150:151]
	v_fma_f64 v[182:183], v[4:5], v[150:151], -v[152:153]
	ds_load_b128 v[4:7], v2 offset:1504
	ds_load_b128 v[150:153], v2 offset:1520
	v_add_f64_e32 v[166:167], v[168:169], v[166:167]
	v_add_f64_e32 v[168:169], v[174:175], v[178:179]
	v_fmac_f64_e32 v[180:181], v[148:149], v[12:13]
	v_fma_f64 v[12:13], v[146:147], v[12:13], -v[14:15]
	s_wait_loadcnt_dscnt 0x901
	v_mul_f64_e32 v[174:175], v[4:5], v[136:137]
	v_mul_f64_e32 v[136:137], v[6:7], v[136:137]
	s_wait_loadcnt_dscnt 0x800
	v_mul_f64_e32 v[148:149], v[150:151], v[128:129]
	v_mul_f64_e32 v[128:129], v[152:153], v[128:129]
	v_add_f64_e32 v[14:15], v[166:167], v[182:183]
	v_add_f64_e32 v[146:147], v[168:169], v[176:177]
	v_fmac_f64_e32 v[174:175], v[6:7], v[134:135]
	v_fma_f64 v[134:135], v[4:5], v[134:135], -v[136:137]
	v_fmac_f64_e32 v[148:149], v[152:153], v[126:127]
	v_fma_f64 v[126:127], v[150:151], v[126:127], -v[128:129]
	v_add_f64_e32 v[136:137], v[14:15], v[12:13]
	v_add_f64_e32 v[146:147], v[146:147], v[180:181]
	ds_load_b128 v[4:7], v2 offset:1536
	ds_load_b128 v[12:15], v2 offset:1552
	s_wait_loadcnt_dscnt 0x701
	v_mul_f64_e32 v[166:167], v[4:5], v[144:145]
	v_mul_f64_e32 v[144:145], v[6:7], v[144:145]
	v_add_f64_e32 v[128:129], v[136:137], v[134:135]
	v_add_f64_e32 v[134:135], v[146:147], v[174:175]
	s_wait_loadcnt_dscnt 0x600
	v_mul_f64_e32 v[136:137], v[12:13], v[132:133]
	v_mul_f64_e32 v[132:133], v[14:15], v[132:133]
	v_fmac_f64_e32 v[166:167], v[6:7], v[142:143]
	v_fma_f64 v[142:143], v[4:5], v[142:143], -v[144:145]
	v_add_f64_e32 v[144:145], v[128:129], v[126:127]
	v_add_f64_e32 v[134:135], v[134:135], v[148:149]
	ds_load_b128 v[4:7], v2 offset:1568
	ds_load_b128 v[126:129], v2 offset:1584
	v_fmac_f64_e32 v[136:137], v[14:15], v[130:131]
	v_fma_f64 v[12:13], v[12:13], v[130:131], -v[132:133]
	s_wait_loadcnt_dscnt 0x501
	v_mul_f64_e32 v[146:147], v[4:5], v[156:157]
	v_mul_f64_e32 v[148:149], v[6:7], v[156:157]
	s_wait_loadcnt_dscnt 0x400
	v_mul_f64_e32 v[132:133], v[126:127], v[140:141]
	v_add_f64_e32 v[14:15], v[144:145], v[142:143]
	v_add_f64_e32 v[130:131], v[134:135], v[166:167]
	v_mul_f64_e32 v[134:135], v[128:129], v[140:141]
	v_fmac_f64_e32 v[146:147], v[6:7], v[154:155]
	v_fma_f64 v[140:141], v[4:5], v[154:155], -v[148:149]
	v_fmac_f64_e32 v[132:133], v[128:129], v[138:139]
	v_add_f64_e32 v[142:143], v[14:15], v[12:13]
	v_add_f64_e32 v[130:131], v[130:131], v[136:137]
	ds_load_b128 v[4:7], v2 offset:1600
	ds_load_b128 v[12:15], v2 offset:1616
	v_fma_f64 v[126:127], v[126:127], v[138:139], -v[134:135]
	s_wait_loadcnt_dscnt 0x301
	v_mul_f64_e32 v[136:137], v[4:5], v[172:173]
	v_mul_f64_e32 v[144:145], v[6:7], v[172:173]
	s_wait_loadcnt_dscnt 0x200
	v_mul_f64_e32 v[134:135], v[12:13], v[10:11]
	v_mul_f64_e32 v[10:11], v[14:15], v[10:11]
	v_add_f64_e32 v[128:129], v[142:143], v[140:141]
	v_add_f64_e32 v[130:131], v[130:131], v[146:147]
	v_fmac_f64_e32 v[136:137], v[6:7], v[170:171]
	v_fma_f64 v[138:139], v[4:5], v[170:171], -v[144:145]
	v_fmac_f64_e32 v[134:135], v[14:15], v[8:9]
	v_fma_f64 v[8:9], v[12:13], v[8:9], -v[10:11]
	v_add_f64_e32 v[140:141], v[128:129], v[126:127]
	v_add_f64_e32 v[130:131], v[130:131], v[132:133]
	ds_load_b128 v[4:7], v2 offset:1632
	ds_load_b128 v[126:129], v2 offset:1648
	s_wait_loadcnt_dscnt 0x101
	v_mul_f64_e32 v[2:3], v[4:5], v[160:161]
	v_mul_f64_e32 v[132:133], v[6:7], v[160:161]
	s_wait_loadcnt_dscnt 0x0
	v_mul_f64_e32 v[14:15], v[126:127], v[124:125]
	v_mul_f64_e32 v[124:125], v[128:129], v[124:125]
	v_add_f64_e32 v[10:11], v[140:141], v[138:139]
	v_add_f64_e32 v[12:13], v[130:131], v[136:137]
	v_fmac_f64_e32 v[2:3], v[6:7], v[158:159]
	v_fma_f64 v[4:5], v[4:5], v[158:159], -v[132:133]
	v_fmac_f64_e32 v[14:15], v[128:129], v[122:123]
	v_add_f64_e32 v[6:7], v[10:11], v[8:9]
	v_add_f64_e32 v[8:9], v[12:13], v[134:135]
	v_fma_f64 v[10:11], v[126:127], v[122:123], -v[124:125]
	s_delay_alu instid0(VALU_DEP_3) | instskip(NEXT) | instid1(VALU_DEP_3)
	v_add_f64_e32 v[4:5], v[6:7], v[4:5]
	v_add_f64_e32 v[2:3], v[8:9], v[2:3]
	s_delay_alu instid0(VALU_DEP_2) | instskip(NEXT) | instid1(VALU_DEP_2)
	v_add_f64_e32 v[4:5], v[4:5], v[10:11]
	v_add_f64_e32 v[6:7], v[2:3], v[14:15]
	s_delay_alu instid0(VALU_DEP_2) | instskip(NEXT) | instid1(VALU_DEP_2)
	v_add_f64_e64 v[2:3], v[162:163], -v[4:5]
	v_add_f64_e64 v[4:5], v[164:165], -v[6:7]
	scratch_store_b128 off, v[2:5], off offset:368
	s_wait_xcnt 0x0
	v_cmpx_lt_u32_e32 22, v1
	s_cbranch_execz .LBB51_281
; %bb.280:
	scratch_load_b128 v[2:5], off, s41
	v_mov_b32_e32 v6, 0
	s_delay_alu instid0(VALU_DEP_1)
	v_dual_mov_b32 v7, v6 :: v_dual_mov_b32 v8, v6
	v_mov_b32_e32 v9, v6
	scratch_store_b128 off, v[6:9], off offset:352
	s_wait_loadcnt 0x0
	ds_store_b128 v120, v[2:5]
.LBB51_281:
	s_wait_xcnt 0x0
	s_or_b32 exec_lo, exec_lo, s2
	s_wait_storecnt_dscnt 0x0
	s_barrier_signal -1
	s_barrier_wait -1
	s_clause 0x9
	scratch_load_b128 v[4:7], off, off offset:368
	scratch_load_b128 v[8:11], off, off offset:384
	;; [unrolled: 1-line block ×10, first 2 shown]
	v_mov_b32_e32 v2, 0
	s_mov_b32 s2, exec_lo
	ds_load_b128 v[150:153], v2 offset:1200
	s_clause 0x2
	scratch_load_b128 v[154:157], off, off offset:528
	scratch_load_b128 v[158:161], off, off offset:352
	;; [unrolled: 1-line block ×3, first 2 shown]
	s_wait_loadcnt_dscnt 0xc00
	v_mul_f64_e32 v[170:171], v[152:153], v[6:7]
	v_mul_f64_e32 v[174:175], v[150:151], v[6:7]
	ds_load_b128 v[162:165], v2 offset:1216
	v_fma_f64 v[178:179], v[150:151], v[4:5], -v[170:171]
	v_fmac_f64_e32 v[174:175], v[152:153], v[4:5]
	ds_load_b128 v[4:7], v2 offset:1232
	s_wait_loadcnt_dscnt 0xb01
	v_mul_f64_e32 v[176:177], v[162:163], v[10:11]
	v_mul_f64_e32 v[10:11], v[164:165], v[10:11]
	scratch_load_b128 v[150:153], off, off offset:560
	ds_load_b128 v[170:173], v2 offset:1248
	s_wait_loadcnt_dscnt 0xb01
	v_mul_f64_e32 v[180:181], v[4:5], v[14:15]
	v_mul_f64_e32 v[14:15], v[6:7], v[14:15]
	v_add_f64_e32 v[174:175], 0, v[174:175]
	v_fmac_f64_e32 v[176:177], v[164:165], v[8:9]
	v_fma_f64 v[162:163], v[162:163], v[8:9], -v[10:11]
	v_add_f64_e32 v[164:165], 0, v[178:179]
	scratch_load_b128 v[8:11], off, off offset:576
	v_fmac_f64_e32 v[180:181], v[6:7], v[12:13]
	v_fma_f64 v[182:183], v[4:5], v[12:13], -v[14:15]
	ds_load_b128 v[4:7], v2 offset:1264
	s_wait_loadcnt_dscnt 0xb01
	v_mul_f64_e32 v[178:179], v[170:171], v[124:125]
	v_mul_f64_e32 v[124:125], v[172:173], v[124:125]
	scratch_load_b128 v[12:15], off, off offset:592
	v_add_f64_e32 v[174:175], v[174:175], v[176:177]
	v_add_f64_e32 v[184:185], v[164:165], v[162:163]
	ds_load_b128 v[162:165], v2 offset:1280
	s_wait_loadcnt_dscnt 0xb01
	v_mul_f64_e32 v[176:177], v[4:5], v[128:129]
	v_mul_f64_e32 v[128:129], v[6:7], v[128:129]
	v_fmac_f64_e32 v[178:179], v[172:173], v[122:123]
	v_fma_f64 v[170:171], v[170:171], v[122:123], -v[124:125]
	scratch_load_b128 v[122:125], off, off offset:608
	v_add_f64_e32 v[174:175], v[174:175], v[180:181]
	v_add_f64_e32 v[172:173], v[184:185], v[182:183]
	v_fmac_f64_e32 v[176:177], v[6:7], v[126:127]
	v_fma_f64 v[182:183], v[4:5], v[126:127], -v[128:129]
	ds_load_b128 v[4:7], v2 offset:1296
	s_wait_loadcnt_dscnt 0xb01
	v_mul_f64_e32 v[180:181], v[162:163], v[132:133]
	v_mul_f64_e32 v[132:133], v[164:165], v[132:133]
	scratch_load_b128 v[126:129], off, off offset:624
	v_add_f64_e32 v[174:175], v[174:175], v[178:179]
	s_wait_loadcnt_dscnt 0xb00
	v_mul_f64_e32 v[178:179], v[4:5], v[136:137]
	v_add_f64_e32 v[184:185], v[172:173], v[170:171]
	v_mul_f64_e32 v[136:137], v[6:7], v[136:137]
	ds_load_b128 v[170:173], v2 offset:1312
	v_fmac_f64_e32 v[180:181], v[164:165], v[130:131]
	v_fma_f64 v[162:163], v[162:163], v[130:131], -v[132:133]
	scratch_load_b128 v[130:133], off, off offset:640
	v_add_f64_e32 v[174:175], v[174:175], v[176:177]
	v_fmac_f64_e32 v[178:179], v[6:7], v[134:135]
	v_add_f64_e32 v[164:165], v[184:185], v[182:183]
	v_fma_f64 v[182:183], v[4:5], v[134:135], -v[136:137]
	ds_load_b128 v[4:7], v2 offset:1328
	s_wait_loadcnt_dscnt 0xb01
	v_mul_f64_e32 v[176:177], v[170:171], v[140:141]
	v_mul_f64_e32 v[140:141], v[172:173], v[140:141]
	scratch_load_b128 v[134:137], off, off offset:656
	v_add_f64_e32 v[174:175], v[174:175], v[180:181]
	s_wait_loadcnt_dscnt 0xb00
	v_mul_f64_e32 v[180:181], v[4:5], v[144:145]
	v_add_f64_e32 v[184:185], v[164:165], v[162:163]
	v_mul_f64_e32 v[144:145], v[6:7], v[144:145]
	ds_load_b128 v[162:165], v2 offset:1344
	v_fmac_f64_e32 v[176:177], v[172:173], v[138:139]
	v_fma_f64 v[170:171], v[170:171], v[138:139], -v[140:141]
	scratch_load_b128 v[138:141], off, off offset:672
	v_add_f64_e32 v[174:175], v[174:175], v[178:179]
	v_fmac_f64_e32 v[180:181], v[6:7], v[142:143]
	v_add_f64_e32 v[172:173], v[184:185], v[182:183]
	;; [unrolled: 18-line block ×3, first 2 shown]
	v_fma_f64 v[182:183], v[4:5], v[154:155], -v[156:157]
	ds_load_b128 v[4:7], v2 offset:1392
	s_wait_loadcnt_dscnt 0xa01
	v_mul_f64_e32 v[180:181], v[170:171], v[168:169]
	v_mul_f64_e32 v[168:169], v[172:173], v[168:169]
	scratch_load_b128 v[154:157], off, off offset:720
	v_add_f64_e32 v[174:175], v[174:175], v[178:179]
	v_add_f64_e32 v[184:185], v[164:165], v[162:163]
	s_wait_loadcnt_dscnt 0xa00
	v_mul_f64_e32 v[178:179], v[4:5], v[152:153]
	v_mul_f64_e32 v[152:153], v[6:7], v[152:153]
	v_fmac_f64_e32 v[180:181], v[172:173], v[166:167]
	v_fma_f64 v[170:171], v[170:171], v[166:167], -v[168:169]
	ds_load_b128 v[162:165], v2 offset:1408
	scratch_load_b128 v[166:169], off, off offset:736
	v_add_f64_e32 v[174:175], v[174:175], v[176:177]
	v_add_f64_e32 v[172:173], v[184:185], v[182:183]
	v_fmac_f64_e32 v[178:179], v[6:7], v[150:151]
	v_fma_f64 v[182:183], v[4:5], v[150:151], -v[152:153]
	ds_load_b128 v[4:7], v2 offset:1424
	s_wait_loadcnt_dscnt 0xa01
	v_mul_f64_e32 v[176:177], v[162:163], v[10:11]
	v_mul_f64_e32 v[10:11], v[164:165], v[10:11]
	scratch_load_b128 v[150:153], off, off offset:752
	v_add_f64_e32 v[174:175], v[174:175], v[180:181]
	s_wait_loadcnt_dscnt 0xa00
	v_mul_f64_e32 v[180:181], v[4:5], v[14:15]
	v_add_f64_e32 v[184:185], v[172:173], v[170:171]
	v_mul_f64_e32 v[14:15], v[6:7], v[14:15]
	ds_load_b128 v[170:173], v2 offset:1440
	v_fmac_f64_e32 v[176:177], v[164:165], v[8:9]
	v_fma_f64 v[162:163], v[162:163], v[8:9], -v[10:11]
	scratch_load_b128 v[8:11], off, off offset:768
	v_add_f64_e32 v[174:175], v[174:175], v[178:179]
	v_fmac_f64_e32 v[180:181], v[6:7], v[12:13]
	v_add_f64_e32 v[164:165], v[184:185], v[182:183]
	v_fma_f64 v[182:183], v[4:5], v[12:13], -v[14:15]
	ds_load_b128 v[4:7], v2 offset:1456
	s_wait_loadcnt_dscnt 0xa01
	v_mul_f64_e32 v[178:179], v[170:171], v[124:125]
	v_mul_f64_e32 v[124:125], v[172:173], v[124:125]
	scratch_load_b128 v[12:15], off, off offset:784
	v_add_f64_e32 v[174:175], v[174:175], v[176:177]
	s_wait_loadcnt_dscnt 0xa00
	v_mul_f64_e32 v[176:177], v[4:5], v[128:129]
	v_add_f64_e32 v[184:185], v[164:165], v[162:163]
	v_mul_f64_e32 v[128:129], v[6:7], v[128:129]
	ds_load_b128 v[162:165], v2 offset:1472
	v_fmac_f64_e32 v[178:179], v[172:173], v[122:123]
	v_fma_f64 v[170:171], v[170:171], v[122:123], -v[124:125]
	scratch_load_b128 v[122:125], off, off offset:800
	v_add_f64_e32 v[174:175], v[174:175], v[180:181]
	v_fmac_f64_e32 v[176:177], v[6:7], v[126:127]
	v_add_f64_e32 v[172:173], v[184:185], v[182:183]
	v_fma_f64 v[182:183], v[4:5], v[126:127], -v[128:129]
	ds_load_b128 v[4:7], v2 offset:1488
	s_wait_loadcnt_dscnt 0xa01
	v_mul_f64_e32 v[180:181], v[162:163], v[132:133]
	v_mul_f64_e32 v[132:133], v[164:165], v[132:133]
	scratch_load_b128 v[126:129], off, off offset:816
	v_add_f64_e32 v[174:175], v[174:175], v[178:179]
	s_wait_loadcnt_dscnt 0xa00
	v_mul_f64_e32 v[178:179], v[4:5], v[136:137]
	v_add_f64_e32 v[184:185], v[172:173], v[170:171]
	v_mul_f64_e32 v[136:137], v[6:7], v[136:137]
	ds_load_b128 v[170:173], v2 offset:1504
	v_fmac_f64_e32 v[180:181], v[164:165], v[130:131]
	v_fma_f64 v[130:131], v[162:163], v[130:131], -v[132:133]
	s_wait_loadcnt_dscnt 0x900
	v_mul_f64_e32 v[164:165], v[170:171], v[140:141]
	v_mul_f64_e32 v[140:141], v[172:173], v[140:141]
	v_add_f64_e32 v[162:163], v[174:175], v[176:177]
	v_fmac_f64_e32 v[178:179], v[6:7], v[134:135]
	v_add_f64_e32 v[132:133], v[184:185], v[182:183]
	v_fma_f64 v[134:135], v[4:5], v[134:135], -v[136:137]
	v_fmac_f64_e32 v[164:165], v[172:173], v[138:139]
	v_fma_f64 v[138:139], v[170:171], v[138:139], -v[140:141]
	v_add_f64_e32 v[162:163], v[162:163], v[180:181]
	v_add_f64_e32 v[136:137], v[132:133], v[130:131]
	ds_load_b128 v[4:7], v2 offset:1520
	ds_load_b128 v[130:133], v2 offset:1536
	s_wait_loadcnt_dscnt 0x801
	v_mul_f64_e32 v[174:175], v[4:5], v[144:145]
	v_mul_f64_e32 v[144:145], v[6:7], v[144:145]
	s_wait_loadcnt_dscnt 0x700
	v_mul_f64_e32 v[140:141], v[130:131], v[148:149]
	v_mul_f64_e32 v[148:149], v[132:133], v[148:149]
	v_add_f64_e32 v[134:135], v[136:137], v[134:135]
	v_add_f64_e32 v[136:137], v[162:163], v[178:179]
	v_fmac_f64_e32 v[174:175], v[6:7], v[142:143]
	v_fma_f64 v[142:143], v[4:5], v[142:143], -v[144:145]
	v_fmac_f64_e32 v[140:141], v[132:133], v[146:147]
	v_fma_f64 v[130:131], v[130:131], v[146:147], -v[148:149]
	v_add_f64_e32 v[138:139], v[134:135], v[138:139]
	v_add_f64_e32 v[144:145], v[136:137], v[164:165]
	ds_load_b128 v[4:7], v2 offset:1552
	ds_load_b128 v[134:137], v2 offset:1568
	s_wait_loadcnt_dscnt 0x601
	v_mul_f64_e32 v[162:163], v[4:5], v[156:157]
	v_mul_f64_e32 v[156:157], v[6:7], v[156:157]
	v_add_f64_e32 v[132:133], v[138:139], v[142:143]
	v_add_f64_e32 v[138:139], v[144:145], v[174:175]
	s_wait_loadcnt_dscnt 0x500
	v_mul_f64_e32 v[142:143], v[134:135], v[168:169]
	v_mul_f64_e32 v[144:145], v[136:137], v[168:169]
	v_fmac_f64_e32 v[162:163], v[6:7], v[154:155]
	v_fma_f64 v[146:147], v[4:5], v[154:155], -v[156:157]
	v_add_f64_e32 v[148:149], v[132:133], v[130:131]
	v_add_f64_e32 v[138:139], v[138:139], v[140:141]
	ds_load_b128 v[4:7], v2 offset:1584
	ds_load_b128 v[130:133], v2 offset:1600
	v_fmac_f64_e32 v[142:143], v[136:137], v[166:167]
	v_fma_f64 v[134:135], v[134:135], v[166:167], -v[144:145]
	s_wait_loadcnt_dscnt 0x401
	v_mul_f64_e32 v[140:141], v[4:5], v[152:153]
	v_mul_f64_e32 v[152:153], v[6:7], v[152:153]
	s_wait_loadcnt_dscnt 0x300
	v_mul_f64_e32 v[144:145], v[130:131], v[10:11]
	v_mul_f64_e32 v[10:11], v[132:133], v[10:11]
	v_add_f64_e32 v[136:137], v[148:149], v[146:147]
	v_add_f64_e32 v[138:139], v[138:139], v[162:163]
	v_fmac_f64_e32 v[140:141], v[6:7], v[150:151]
	v_fma_f64 v[146:147], v[4:5], v[150:151], -v[152:153]
	v_fmac_f64_e32 v[144:145], v[132:133], v[8:9]
	v_fma_f64 v[8:9], v[130:131], v[8:9], -v[10:11]
	v_add_f64_e32 v[148:149], v[136:137], v[134:135]
	v_add_f64_e32 v[138:139], v[138:139], v[142:143]
	ds_load_b128 v[4:7], v2 offset:1616
	ds_load_b128 v[134:137], v2 offset:1632
	s_wait_loadcnt_dscnt 0x201
	v_mul_f64_e32 v[142:143], v[4:5], v[14:15]
	v_mul_f64_e32 v[14:15], v[6:7], v[14:15]
	s_wait_loadcnt_dscnt 0x100
	v_mul_f64_e32 v[132:133], v[134:135], v[124:125]
	v_mul_f64_e32 v[124:125], v[136:137], v[124:125]
	v_add_f64_e32 v[10:11], v[148:149], v[146:147]
	v_add_f64_e32 v[130:131], v[138:139], v[140:141]
	v_fmac_f64_e32 v[142:143], v[6:7], v[12:13]
	v_fma_f64 v[12:13], v[4:5], v[12:13], -v[14:15]
	ds_load_b128 v[4:7], v2 offset:1648
	v_fmac_f64_e32 v[132:133], v[136:137], v[122:123]
	v_fma_f64 v[122:123], v[134:135], v[122:123], -v[124:125]
	v_add_f64_e32 v[8:9], v[10:11], v[8:9]
	v_add_f64_e32 v[10:11], v[130:131], v[144:145]
	s_wait_loadcnt_dscnt 0x0
	v_mul_f64_e32 v[14:15], v[4:5], v[128:129]
	v_mul_f64_e32 v[128:129], v[6:7], v[128:129]
	s_delay_alu instid0(VALU_DEP_4) | instskip(NEXT) | instid1(VALU_DEP_4)
	v_add_f64_e32 v[8:9], v[8:9], v[12:13]
	v_add_f64_e32 v[10:11], v[10:11], v[142:143]
	s_delay_alu instid0(VALU_DEP_4) | instskip(NEXT) | instid1(VALU_DEP_4)
	v_fmac_f64_e32 v[14:15], v[6:7], v[126:127]
	v_fma_f64 v[4:5], v[4:5], v[126:127], -v[128:129]
	s_delay_alu instid0(VALU_DEP_4) | instskip(NEXT) | instid1(VALU_DEP_4)
	v_add_f64_e32 v[6:7], v[8:9], v[122:123]
	v_add_f64_e32 v[8:9], v[10:11], v[132:133]
	s_delay_alu instid0(VALU_DEP_2) | instskip(NEXT) | instid1(VALU_DEP_2)
	v_add_f64_e32 v[4:5], v[6:7], v[4:5]
	v_add_f64_e32 v[6:7], v[8:9], v[14:15]
	s_delay_alu instid0(VALU_DEP_2) | instskip(NEXT) | instid1(VALU_DEP_2)
	v_add_f64_e64 v[4:5], v[158:159], -v[4:5]
	v_add_f64_e64 v[6:7], v[160:161], -v[6:7]
	scratch_store_b128 off, v[4:7], off offset:352
	s_wait_xcnt 0x0
	v_cmpx_lt_u32_e32 21, v1
	s_cbranch_execz .LBB51_283
; %bb.282:
	scratch_load_b128 v[6:9], off, s39
	v_dual_mov_b32 v3, v2 :: v_dual_mov_b32 v4, v2
	v_mov_b32_e32 v5, v2
	scratch_store_b128 off, v[2:5], off offset:336
	s_wait_loadcnt 0x0
	ds_store_b128 v120, v[6:9]
.LBB51_283:
	s_wait_xcnt 0x0
	s_or_b32 exec_lo, exec_lo, s2
	s_wait_storecnt_dscnt 0x0
	s_barrier_signal -1
	s_barrier_wait -1
	s_clause 0x9
	scratch_load_b128 v[4:7], off, off offset:352
	scratch_load_b128 v[8:11], off, off offset:368
	;; [unrolled: 1-line block ×10, first 2 shown]
	ds_load_b128 v[150:153], v2 offset:1184
	ds_load_b128 v[158:161], v2 offset:1200
	s_clause 0x2
	scratch_load_b128 v[154:157], off, off offset:512
	scratch_load_b128 v[162:165], off, off offset:336
	;; [unrolled: 1-line block ×3, first 2 shown]
	s_mov_b32 s2, exec_lo
	s_wait_loadcnt_dscnt 0xc01
	v_mul_f64_e32 v[170:171], v[152:153], v[6:7]
	v_mul_f64_e32 v[174:175], v[150:151], v[6:7]
	s_wait_loadcnt_dscnt 0xb00
	v_mul_f64_e32 v[176:177], v[158:159], v[10:11]
	v_mul_f64_e32 v[10:11], v[160:161], v[10:11]
	s_delay_alu instid0(VALU_DEP_4) | instskip(NEXT) | instid1(VALU_DEP_4)
	v_fma_f64 v[178:179], v[150:151], v[4:5], -v[170:171]
	v_fmac_f64_e32 v[174:175], v[152:153], v[4:5]
	ds_load_b128 v[4:7], v2 offset:1216
	ds_load_b128 v[150:153], v2 offset:1232
	scratch_load_b128 v[170:173], off, off offset:544
	v_fmac_f64_e32 v[176:177], v[160:161], v[8:9]
	v_fma_f64 v[158:159], v[158:159], v[8:9], -v[10:11]
	scratch_load_b128 v[8:11], off, off offset:560
	s_wait_loadcnt_dscnt 0xc01
	v_mul_f64_e32 v[180:181], v[4:5], v[14:15]
	v_mul_f64_e32 v[14:15], v[6:7], v[14:15]
	v_add_f64_e32 v[160:161], 0, v[178:179]
	v_add_f64_e32 v[174:175], 0, v[174:175]
	s_wait_loadcnt_dscnt 0xb00
	v_mul_f64_e32 v[178:179], v[150:151], v[124:125]
	v_mul_f64_e32 v[124:125], v[152:153], v[124:125]
	v_fmac_f64_e32 v[180:181], v[6:7], v[12:13]
	v_fma_f64 v[182:183], v[4:5], v[12:13], -v[14:15]
	ds_load_b128 v[4:7], v2 offset:1248
	ds_load_b128 v[12:15], v2 offset:1264
	v_add_f64_e32 v[184:185], v[160:161], v[158:159]
	v_add_f64_e32 v[174:175], v[174:175], v[176:177]
	scratch_load_b128 v[158:161], off, off offset:576
	v_fmac_f64_e32 v[178:179], v[152:153], v[122:123]
	v_fma_f64 v[150:151], v[150:151], v[122:123], -v[124:125]
	scratch_load_b128 v[122:125], off, off offset:592
	s_wait_loadcnt_dscnt 0xc01
	v_mul_f64_e32 v[176:177], v[4:5], v[128:129]
	v_mul_f64_e32 v[128:129], v[6:7], v[128:129]
	v_add_f64_e32 v[152:153], v[184:185], v[182:183]
	v_add_f64_e32 v[174:175], v[174:175], v[180:181]
	s_wait_loadcnt_dscnt 0xb00
	v_mul_f64_e32 v[180:181], v[12:13], v[132:133]
	v_mul_f64_e32 v[132:133], v[14:15], v[132:133]
	v_fmac_f64_e32 v[176:177], v[6:7], v[126:127]
	v_fma_f64 v[182:183], v[4:5], v[126:127], -v[128:129]
	ds_load_b128 v[4:7], v2 offset:1280
	ds_load_b128 v[126:129], v2 offset:1296
	v_add_f64_e32 v[184:185], v[152:153], v[150:151]
	v_add_f64_e32 v[174:175], v[174:175], v[178:179]
	scratch_load_b128 v[150:153], off, off offset:608
	s_wait_loadcnt_dscnt 0xb01
	v_mul_f64_e32 v[178:179], v[4:5], v[136:137]
	v_mul_f64_e32 v[136:137], v[6:7], v[136:137]
	v_fmac_f64_e32 v[180:181], v[14:15], v[130:131]
	v_fma_f64 v[130:131], v[12:13], v[130:131], -v[132:133]
	scratch_load_b128 v[12:15], off, off offset:624
	v_add_f64_e32 v[132:133], v[184:185], v[182:183]
	v_add_f64_e32 v[174:175], v[174:175], v[176:177]
	s_wait_loadcnt_dscnt 0xb00
	v_mul_f64_e32 v[176:177], v[126:127], v[140:141]
	v_mul_f64_e32 v[140:141], v[128:129], v[140:141]
	v_fmac_f64_e32 v[178:179], v[6:7], v[134:135]
	v_fma_f64 v[182:183], v[4:5], v[134:135], -v[136:137]
	v_add_f64_e32 v[184:185], v[132:133], v[130:131]
	v_add_f64_e32 v[174:175], v[174:175], v[180:181]
	ds_load_b128 v[4:7], v2 offset:1312
	ds_load_b128 v[130:133], v2 offset:1328
	scratch_load_b128 v[134:137], off, off offset:640
	v_fmac_f64_e32 v[176:177], v[128:129], v[138:139]
	v_fma_f64 v[138:139], v[126:127], v[138:139], -v[140:141]
	scratch_load_b128 v[126:129], off, off offset:656
	s_wait_loadcnt_dscnt 0xc01
	v_mul_f64_e32 v[180:181], v[4:5], v[144:145]
	v_mul_f64_e32 v[144:145], v[6:7], v[144:145]
	v_add_f64_e32 v[140:141], v[184:185], v[182:183]
	v_add_f64_e32 v[174:175], v[174:175], v[178:179]
	s_wait_loadcnt_dscnt 0xb00
	v_mul_f64_e32 v[178:179], v[130:131], v[148:149]
	v_mul_f64_e32 v[148:149], v[132:133], v[148:149]
	v_fmac_f64_e32 v[180:181], v[6:7], v[142:143]
	v_fma_f64 v[182:183], v[4:5], v[142:143], -v[144:145]
	v_add_f64_e32 v[184:185], v[140:141], v[138:139]
	v_add_f64_e32 v[174:175], v[174:175], v[176:177]
	ds_load_b128 v[4:7], v2 offset:1344
	ds_load_b128 v[138:141], v2 offset:1360
	scratch_load_b128 v[142:145], off, off offset:672
	v_fmac_f64_e32 v[178:179], v[132:133], v[146:147]
	v_fma_f64 v[146:147], v[130:131], v[146:147], -v[148:149]
	scratch_load_b128 v[130:133], off, off offset:688
	s_wait_loadcnt_dscnt 0xc01
	v_mul_f64_e32 v[176:177], v[4:5], v[156:157]
	v_mul_f64_e32 v[156:157], v[6:7], v[156:157]
	;; [unrolled: 18-line block ×5, first 2 shown]
	v_add_f64_e32 v[168:169], v[184:185], v[182:183]
	v_add_f64_e32 v[174:175], v[174:175], v[180:181]
	s_wait_loadcnt_dscnt 0xa00
	v_mul_f64_e32 v[180:181], v[146:147], v[14:15]
	v_mul_f64_e32 v[14:15], v[148:149], v[14:15]
	v_fmac_f64_e32 v[176:177], v[6:7], v[150:151]
	v_fma_f64 v[182:183], v[4:5], v[150:151], -v[152:153]
	ds_load_b128 v[4:7], v2 offset:1472
	ds_load_b128 v[150:153], v2 offset:1488
	v_add_f64_e32 v[184:185], v[168:169], v[166:167]
	v_add_f64_e32 v[174:175], v[174:175], v[178:179]
	scratch_load_b128 v[166:169], off, off offset:800
	v_fmac_f64_e32 v[180:181], v[148:149], v[12:13]
	v_fma_f64 v[146:147], v[146:147], v[12:13], -v[14:15]
	scratch_load_b128 v[12:15], off, off offset:816
	s_wait_loadcnt_dscnt 0xb01
	v_mul_f64_e32 v[178:179], v[4:5], v[136:137]
	v_mul_f64_e32 v[136:137], v[6:7], v[136:137]
	v_add_f64_e32 v[148:149], v[184:185], v[182:183]
	v_add_f64_e32 v[174:175], v[174:175], v[176:177]
	s_wait_loadcnt_dscnt 0xa00
	v_mul_f64_e32 v[176:177], v[150:151], v[128:129]
	v_mul_f64_e32 v[128:129], v[152:153], v[128:129]
	v_fmac_f64_e32 v[178:179], v[6:7], v[134:135]
	v_fma_f64 v[182:183], v[4:5], v[134:135], -v[136:137]
	ds_load_b128 v[4:7], v2 offset:1504
	ds_load_b128 v[134:137], v2 offset:1520
	v_add_f64_e32 v[146:147], v[148:149], v[146:147]
	v_add_f64_e32 v[148:149], v[174:175], v[180:181]
	v_fmac_f64_e32 v[176:177], v[152:153], v[126:127]
	s_wait_loadcnt_dscnt 0x901
	v_mul_f64_e32 v[174:175], v[4:5], v[144:145]
	v_mul_f64_e32 v[144:145], v[6:7], v[144:145]
	v_fma_f64 v[126:127], v[150:151], v[126:127], -v[128:129]
	v_add_f64_e32 v[128:129], v[146:147], v[182:183]
	v_add_f64_e32 v[146:147], v[148:149], v[178:179]
	s_wait_loadcnt_dscnt 0x800
	v_mul_f64_e32 v[148:149], v[134:135], v[132:133]
	v_mul_f64_e32 v[132:133], v[136:137], v[132:133]
	v_fmac_f64_e32 v[174:175], v[6:7], v[142:143]
	v_fma_f64 v[142:143], v[4:5], v[142:143], -v[144:145]
	v_add_f64_e32 v[144:145], v[128:129], v[126:127]
	v_add_f64_e32 v[146:147], v[146:147], v[176:177]
	ds_load_b128 v[4:7], v2 offset:1536
	ds_load_b128 v[126:129], v2 offset:1552
	v_fmac_f64_e32 v[148:149], v[136:137], v[130:131]
	v_fma_f64 v[130:131], v[134:135], v[130:131], -v[132:133]
	s_wait_loadcnt_dscnt 0x701
	v_mul_f64_e32 v[150:151], v[4:5], v[156:157]
	v_mul_f64_e32 v[152:153], v[6:7], v[156:157]
	s_wait_loadcnt_dscnt 0x600
	v_mul_f64_e32 v[136:137], v[126:127], v[140:141]
	v_mul_f64_e32 v[140:141], v[128:129], v[140:141]
	v_add_f64_e32 v[132:133], v[144:145], v[142:143]
	v_add_f64_e32 v[134:135], v[146:147], v[174:175]
	v_fmac_f64_e32 v[150:151], v[6:7], v[154:155]
	v_fma_f64 v[142:143], v[4:5], v[154:155], -v[152:153]
	v_fmac_f64_e32 v[136:137], v[128:129], v[138:139]
	v_fma_f64 v[126:127], v[126:127], v[138:139], -v[140:141]
	v_add_f64_e32 v[144:145], v[132:133], v[130:131]
	v_add_f64_e32 v[134:135], v[134:135], v[148:149]
	ds_load_b128 v[4:7], v2 offset:1568
	ds_load_b128 v[130:133], v2 offset:1584
	s_wait_loadcnt_dscnt 0x501
	v_mul_f64_e32 v[146:147], v[4:5], v[172:173]
	v_mul_f64_e32 v[148:149], v[6:7], v[172:173]
	s_wait_loadcnt_dscnt 0x400
	v_mul_f64_e32 v[138:139], v[130:131], v[10:11]
	v_mul_f64_e32 v[10:11], v[132:133], v[10:11]
	v_add_f64_e32 v[128:129], v[144:145], v[142:143]
	v_add_f64_e32 v[134:135], v[134:135], v[150:151]
	v_fmac_f64_e32 v[146:147], v[6:7], v[170:171]
	v_fma_f64 v[140:141], v[4:5], v[170:171], -v[148:149]
	v_fmac_f64_e32 v[138:139], v[132:133], v[8:9]
	v_fma_f64 v[8:9], v[130:131], v[8:9], -v[10:11]
	v_add_f64_e32 v[142:143], v[128:129], v[126:127]
	v_add_f64_e32 v[134:135], v[134:135], v[136:137]
	ds_load_b128 v[4:7], v2 offset:1600
	ds_load_b128 v[126:129], v2 offset:1616
	;; [unrolled: 16-line block ×3, first 2 shown]
	s_wait_loadcnt_dscnt 0x101
	v_mul_f64_e32 v[2:3], v[4:5], v[168:169]
	v_mul_f64_e32 v[138:139], v[6:7], v[168:169]
	s_wait_loadcnt_dscnt 0x0
	v_mul_f64_e32 v[128:129], v[8:9], v[14:15]
	v_mul_f64_e32 v[14:15], v[10:11], v[14:15]
	v_add_f64_e32 v[124:125], v[140:141], v[134:135]
	v_add_f64_e32 v[126:127], v[130:131], v[136:137]
	v_fmac_f64_e32 v[2:3], v[6:7], v[166:167]
	v_fma_f64 v[4:5], v[4:5], v[166:167], -v[138:139]
	v_fmac_f64_e32 v[128:129], v[10:11], v[12:13]
	v_fma_f64 v[8:9], v[8:9], v[12:13], -v[14:15]
	v_add_f64_e32 v[6:7], v[124:125], v[122:123]
	v_add_f64_e32 v[122:123], v[126:127], v[132:133]
	s_delay_alu instid0(VALU_DEP_2) | instskip(NEXT) | instid1(VALU_DEP_2)
	v_add_f64_e32 v[4:5], v[6:7], v[4:5]
	v_add_f64_e32 v[2:3], v[122:123], v[2:3]
	s_delay_alu instid0(VALU_DEP_2) | instskip(NEXT) | instid1(VALU_DEP_2)
	;; [unrolled: 3-line block ×3, first 2 shown]
	v_add_f64_e64 v[2:3], v[162:163], -v[4:5]
	v_add_f64_e64 v[4:5], v[164:165], -v[6:7]
	scratch_store_b128 off, v[2:5], off offset:336
	s_wait_xcnt 0x0
	v_cmpx_lt_u32_e32 20, v1
	s_cbranch_execz .LBB51_285
; %bb.284:
	scratch_load_b128 v[2:5], off, s48
	v_mov_b32_e32 v6, 0
	s_delay_alu instid0(VALU_DEP_1)
	v_dual_mov_b32 v7, v6 :: v_dual_mov_b32 v8, v6
	v_mov_b32_e32 v9, v6
	scratch_store_b128 off, v[6:9], off offset:320
	s_wait_loadcnt 0x0
	ds_store_b128 v120, v[2:5]
.LBB51_285:
	s_wait_xcnt 0x0
	s_or_b32 exec_lo, exec_lo, s2
	s_wait_storecnt_dscnt 0x0
	s_barrier_signal -1
	s_barrier_wait -1
	s_clause 0x9
	scratch_load_b128 v[4:7], off, off offset:336
	scratch_load_b128 v[8:11], off, off offset:352
	;; [unrolled: 1-line block ×10, first 2 shown]
	v_mov_b32_e32 v2, 0
	s_mov_b32 s2, exec_lo
	ds_load_b128 v[150:153], v2 offset:1168
	s_clause 0x2
	scratch_load_b128 v[154:157], off, off offset:496
	scratch_load_b128 v[158:161], off, off offset:320
	;; [unrolled: 1-line block ×3, first 2 shown]
	s_wait_loadcnt_dscnt 0xc00
	v_mul_f64_e32 v[170:171], v[152:153], v[6:7]
	v_mul_f64_e32 v[174:175], v[150:151], v[6:7]
	ds_load_b128 v[162:165], v2 offset:1184
	v_fma_f64 v[178:179], v[150:151], v[4:5], -v[170:171]
	v_fmac_f64_e32 v[174:175], v[152:153], v[4:5]
	ds_load_b128 v[4:7], v2 offset:1200
	s_wait_loadcnt_dscnt 0xb01
	v_mul_f64_e32 v[176:177], v[162:163], v[10:11]
	v_mul_f64_e32 v[10:11], v[164:165], v[10:11]
	scratch_load_b128 v[150:153], off, off offset:528
	ds_load_b128 v[170:173], v2 offset:1216
	s_wait_loadcnt_dscnt 0xb01
	v_mul_f64_e32 v[180:181], v[4:5], v[14:15]
	v_mul_f64_e32 v[14:15], v[6:7], v[14:15]
	v_add_f64_e32 v[174:175], 0, v[174:175]
	v_fmac_f64_e32 v[176:177], v[164:165], v[8:9]
	v_fma_f64 v[162:163], v[162:163], v[8:9], -v[10:11]
	v_add_f64_e32 v[164:165], 0, v[178:179]
	scratch_load_b128 v[8:11], off, off offset:544
	v_fmac_f64_e32 v[180:181], v[6:7], v[12:13]
	v_fma_f64 v[182:183], v[4:5], v[12:13], -v[14:15]
	ds_load_b128 v[4:7], v2 offset:1232
	s_wait_loadcnt_dscnt 0xb01
	v_mul_f64_e32 v[178:179], v[170:171], v[124:125]
	v_mul_f64_e32 v[124:125], v[172:173], v[124:125]
	scratch_load_b128 v[12:15], off, off offset:560
	v_add_f64_e32 v[174:175], v[174:175], v[176:177]
	v_add_f64_e32 v[184:185], v[164:165], v[162:163]
	ds_load_b128 v[162:165], v2 offset:1248
	s_wait_loadcnt_dscnt 0xb01
	v_mul_f64_e32 v[176:177], v[4:5], v[128:129]
	v_mul_f64_e32 v[128:129], v[6:7], v[128:129]
	v_fmac_f64_e32 v[178:179], v[172:173], v[122:123]
	v_fma_f64 v[170:171], v[170:171], v[122:123], -v[124:125]
	scratch_load_b128 v[122:125], off, off offset:576
	v_add_f64_e32 v[174:175], v[174:175], v[180:181]
	v_add_f64_e32 v[172:173], v[184:185], v[182:183]
	v_fmac_f64_e32 v[176:177], v[6:7], v[126:127]
	v_fma_f64 v[182:183], v[4:5], v[126:127], -v[128:129]
	ds_load_b128 v[4:7], v2 offset:1264
	s_wait_loadcnt_dscnt 0xb01
	v_mul_f64_e32 v[180:181], v[162:163], v[132:133]
	v_mul_f64_e32 v[132:133], v[164:165], v[132:133]
	scratch_load_b128 v[126:129], off, off offset:592
	v_add_f64_e32 v[174:175], v[174:175], v[178:179]
	s_wait_loadcnt_dscnt 0xb00
	v_mul_f64_e32 v[178:179], v[4:5], v[136:137]
	v_add_f64_e32 v[184:185], v[172:173], v[170:171]
	v_mul_f64_e32 v[136:137], v[6:7], v[136:137]
	ds_load_b128 v[170:173], v2 offset:1280
	v_fmac_f64_e32 v[180:181], v[164:165], v[130:131]
	v_fma_f64 v[162:163], v[162:163], v[130:131], -v[132:133]
	scratch_load_b128 v[130:133], off, off offset:608
	v_add_f64_e32 v[174:175], v[174:175], v[176:177]
	v_fmac_f64_e32 v[178:179], v[6:7], v[134:135]
	v_add_f64_e32 v[164:165], v[184:185], v[182:183]
	v_fma_f64 v[182:183], v[4:5], v[134:135], -v[136:137]
	ds_load_b128 v[4:7], v2 offset:1296
	s_wait_loadcnt_dscnt 0xb01
	v_mul_f64_e32 v[176:177], v[170:171], v[140:141]
	v_mul_f64_e32 v[140:141], v[172:173], v[140:141]
	scratch_load_b128 v[134:137], off, off offset:624
	v_add_f64_e32 v[174:175], v[174:175], v[180:181]
	s_wait_loadcnt_dscnt 0xb00
	v_mul_f64_e32 v[180:181], v[4:5], v[144:145]
	v_add_f64_e32 v[184:185], v[164:165], v[162:163]
	v_mul_f64_e32 v[144:145], v[6:7], v[144:145]
	ds_load_b128 v[162:165], v2 offset:1312
	v_fmac_f64_e32 v[176:177], v[172:173], v[138:139]
	v_fma_f64 v[170:171], v[170:171], v[138:139], -v[140:141]
	scratch_load_b128 v[138:141], off, off offset:640
	v_add_f64_e32 v[174:175], v[174:175], v[178:179]
	v_fmac_f64_e32 v[180:181], v[6:7], v[142:143]
	v_add_f64_e32 v[172:173], v[184:185], v[182:183]
	;; [unrolled: 18-line block ×3, first 2 shown]
	v_fma_f64 v[182:183], v[4:5], v[154:155], -v[156:157]
	ds_load_b128 v[4:7], v2 offset:1360
	s_wait_loadcnt_dscnt 0xa01
	v_mul_f64_e32 v[180:181], v[170:171], v[168:169]
	v_mul_f64_e32 v[168:169], v[172:173], v[168:169]
	scratch_load_b128 v[154:157], off, off offset:688
	v_add_f64_e32 v[174:175], v[174:175], v[178:179]
	v_add_f64_e32 v[184:185], v[164:165], v[162:163]
	s_wait_loadcnt_dscnt 0xa00
	v_mul_f64_e32 v[178:179], v[4:5], v[152:153]
	v_mul_f64_e32 v[152:153], v[6:7], v[152:153]
	v_fmac_f64_e32 v[180:181], v[172:173], v[166:167]
	v_fma_f64 v[170:171], v[170:171], v[166:167], -v[168:169]
	ds_load_b128 v[162:165], v2 offset:1376
	scratch_load_b128 v[166:169], off, off offset:704
	v_add_f64_e32 v[174:175], v[174:175], v[176:177]
	v_add_f64_e32 v[172:173], v[184:185], v[182:183]
	v_fmac_f64_e32 v[178:179], v[6:7], v[150:151]
	v_fma_f64 v[182:183], v[4:5], v[150:151], -v[152:153]
	ds_load_b128 v[4:7], v2 offset:1392
	s_wait_loadcnt_dscnt 0xa01
	v_mul_f64_e32 v[176:177], v[162:163], v[10:11]
	v_mul_f64_e32 v[10:11], v[164:165], v[10:11]
	scratch_load_b128 v[150:153], off, off offset:720
	v_add_f64_e32 v[174:175], v[174:175], v[180:181]
	s_wait_loadcnt_dscnt 0xa00
	v_mul_f64_e32 v[180:181], v[4:5], v[14:15]
	v_add_f64_e32 v[184:185], v[172:173], v[170:171]
	v_mul_f64_e32 v[14:15], v[6:7], v[14:15]
	ds_load_b128 v[170:173], v2 offset:1408
	v_fmac_f64_e32 v[176:177], v[164:165], v[8:9]
	v_fma_f64 v[162:163], v[162:163], v[8:9], -v[10:11]
	scratch_load_b128 v[8:11], off, off offset:736
	v_add_f64_e32 v[174:175], v[174:175], v[178:179]
	v_fmac_f64_e32 v[180:181], v[6:7], v[12:13]
	v_add_f64_e32 v[164:165], v[184:185], v[182:183]
	v_fma_f64 v[182:183], v[4:5], v[12:13], -v[14:15]
	ds_load_b128 v[4:7], v2 offset:1424
	s_wait_loadcnt_dscnt 0xa01
	v_mul_f64_e32 v[178:179], v[170:171], v[124:125]
	v_mul_f64_e32 v[124:125], v[172:173], v[124:125]
	scratch_load_b128 v[12:15], off, off offset:752
	v_add_f64_e32 v[174:175], v[174:175], v[176:177]
	s_wait_loadcnt_dscnt 0xa00
	v_mul_f64_e32 v[176:177], v[4:5], v[128:129]
	v_add_f64_e32 v[184:185], v[164:165], v[162:163]
	v_mul_f64_e32 v[128:129], v[6:7], v[128:129]
	ds_load_b128 v[162:165], v2 offset:1440
	v_fmac_f64_e32 v[178:179], v[172:173], v[122:123]
	v_fma_f64 v[170:171], v[170:171], v[122:123], -v[124:125]
	scratch_load_b128 v[122:125], off, off offset:768
	v_add_f64_e32 v[174:175], v[174:175], v[180:181]
	v_fmac_f64_e32 v[176:177], v[6:7], v[126:127]
	v_add_f64_e32 v[172:173], v[184:185], v[182:183]
	;; [unrolled: 18-line block ×3, first 2 shown]
	v_fma_f64 v[182:183], v[4:5], v[134:135], -v[136:137]
	ds_load_b128 v[4:7], v2 offset:1488
	s_wait_loadcnt_dscnt 0xa01
	v_mul_f64_e32 v[176:177], v[170:171], v[140:141]
	v_mul_f64_e32 v[140:141], v[172:173], v[140:141]
	scratch_load_b128 v[134:137], off, off offset:816
	v_add_f64_e32 v[174:175], v[174:175], v[180:181]
	s_wait_loadcnt_dscnt 0xa00
	v_mul_f64_e32 v[180:181], v[4:5], v[144:145]
	v_add_f64_e32 v[184:185], v[164:165], v[162:163]
	v_mul_f64_e32 v[144:145], v[6:7], v[144:145]
	ds_load_b128 v[162:165], v2 offset:1504
	v_fmac_f64_e32 v[176:177], v[172:173], v[138:139]
	v_fma_f64 v[138:139], v[170:171], v[138:139], -v[140:141]
	s_wait_loadcnt_dscnt 0x900
	v_mul_f64_e32 v[172:173], v[162:163], v[148:149]
	v_mul_f64_e32 v[148:149], v[164:165], v[148:149]
	v_add_f64_e32 v[170:171], v[174:175], v[178:179]
	v_fmac_f64_e32 v[180:181], v[6:7], v[142:143]
	v_add_f64_e32 v[140:141], v[184:185], v[182:183]
	v_fma_f64 v[142:143], v[4:5], v[142:143], -v[144:145]
	v_fmac_f64_e32 v[172:173], v[164:165], v[146:147]
	v_fma_f64 v[146:147], v[162:163], v[146:147], -v[148:149]
	v_add_f64_e32 v[170:171], v[170:171], v[176:177]
	v_add_f64_e32 v[144:145], v[140:141], v[138:139]
	ds_load_b128 v[4:7], v2 offset:1520
	ds_load_b128 v[138:141], v2 offset:1536
	s_wait_loadcnt_dscnt 0x801
	v_mul_f64_e32 v[174:175], v[4:5], v[156:157]
	v_mul_f64_e32 v[156:157], v[6:7], v[156:157]
	s_wait_loadcnt_dscnt 0x700
	v_mul_f64_e32 v[148:149], v[138:139], v[168:169]
	v_mul_f64_e32 v[162:163], v[140:141], v[168:169]
	v_add_f64_e32 v[142:143], v[144:145], v[142:143]
	v_add_f64_e32 v[144:145], v[170:171], v[180:181]
	v_fmac_f64_e32 v[174:175], v[6:7], v[154:155]
	v_fma_f64 v[154:155], v[4:5], v[154:155], -v[156:157]
	v_fmac_f64_e32 v[148:149], v[140:141], v[166:167]
	v_fma_f64 v[138:139], v[138:139], v[166:167], -v[162:163]
	v_add_f64_e32 v[146:147], v[142:143], v[146:147]
	v_add_f64_e32 v[156:157], v[144:145], v[172:173]
	ds_load_b128 v[4:7], v2 offset:1552
	ds_load_b128 v[142:145], v2 offset:1568
	s_wait_loadcnt_dscnt 0x601
	v_mul_f64_e32 v[164:165], v[4:5], v[152:153]
	v_mul_f64_e32 v[152:153], v[6:7], v[152:153]
	v_add_f64_e32 v[140:141], v[146:147], v[154:155]
	v_add_f64_e32 v[146:147], v[156:157], v[174:175]
	s_wait_loadcnt_dscnt 0x500
	v_mul_f64_e32 v[154:155], v[142:143], v[10:11]
	v_mul_f64_e32 v[10:11], v[144:145], v[10:11]
	v_fmac_f64_e32 v[164:165], v[6:7], v[150:151]
	v_fma_f64 v[150:151], v[4:5], v[150:151], -v[152:153]
	v_add_f64_e32 v[152:153], v[140:141], v[138:139]
	v_add_f64_e32 v[146:147], v[146:147], v[148:149]
	ds_load_b128 v[4:7], v2 offset:1584
	ds_load_b128 v[138:141], v2 offset:1600
	v_fmac_f64_e32 v[154:155], v[144:145], v[8:9]
	v_fma_f64 v[8:9], v[142:143], v[8:9], -v[10:11]
	s_wait_loadcnt_dscnt 0x401
	v_mul_f64_e32 v[148:149], v[4:5], v[14:15]
	v_mul_f64_e32 v[14:15], v[6:7], v[14:15]
	s_wait_loadcnt_dscnt 0x300
	v_mul_f64_e32 v[144:145], v[138:139], v[124:125]
	v_mul_f64_e32 v[124:125], v[140:141], v[124:125]
	v_add_f64_e32 v[10:11], v[152:153], v[150:151]
	v_add_f64_e32 v[142:143], v[146:147], v[164:165]
	v_fmac_f64_e32 v[148:149], v[6:7], v[12:13]
	v_fma_f64 v[12:13], v[4:5], v[12:13], -v[14:15]
	v_fmac_f64_e32 v[144:145], v[140:141], v[122:123]
	v_fma_f64 v[122:123], v[138:139], v[122:123], -v[124:125]
	v_add_f64_e32 v[14:15], v[10:11], v[8:9]
	v_add_f64_e32 v[142:143], v[142:143], v[154:155]
	ds_load_b128 v[4:7], v2 offset:1616
	ds_load_b128 v[8:11], v2 offset:1632
	s_wait_loadcnt_dscnt 0x201
	v_mul_f64_e32 v[146:147], v[4:5], v[128:129]
	v_mul_f64_e32 v[128:129], v[6:7], v[128:129]
	s_wait_loadcnt_dscnt 0x100
	v_mul_f64_e32 v[124:125], v[8:9], v[132:133]
	v_mul_f64_e32 v[132:133], v[10:11], v[132:133]
	v_add_f64_e32 v[12:13], v[14:15], v[12:13]
	v_add_f64_e32 v[14:15], v[142:143], v[148:149]
	v_fmac_f64_e32 v[146:147], v[6:7], v[126:127]
	v_fma_f64 v[126:127], v[4:5], v[126:127], -v[128:129]
	ds_load_b128 v[4:7], v2 offset:1648
	v_fmac_f64_e32 v[124:125], v[10:11], v[130:131]
	v_fma_f64 v[8:9], v[8:9], v[130:131], -v[132:133]
	v_add_f64_e32 v[12:13], v[12:13], v[122:123]
	v_add_f64_e32 v[14:15], v[14:15], v[144:145]
	s_wait_loadcnt_dscnt 0x0
	v_mul_f64_e32 v[122:123], v[4:5], v[136:137]
	v_mul_f64_e32 v[128:129], v[6:7], v[136:137]
	s_delay_alu instid0(VALU_DEP_4) | instskip(NEXT) | instid1(VALU_DEP_4)
	v_add_f64_e32 v[10:11], v[12:13], v[126:127]
	v_add_f64_e32 v[12:13], v[14:15], v[146:147]
	s_delay_alu instid0(VALU_DEP_4) | instskip(NEXT) | instid1(VALU_DEP_4)
	v_fmac_f64_e32 v[122:123], v[6:7], v[134:135]
	v_fma_f64 v[4:5], v[4:5], v[134:135], -v[128:129]
	s_delay_alu instid0(VALU_DEP_4) | instskip(NEXT) | instid1(VALU_DEP_4)
	v_add_f64_e32 v[6:7], v[10:11], v[8:9]
	v_add_f64_e32 v[8:9], v[12:13], v[124:125]
	s_delay_alu instid0(VALU_DEP_2) | instskip(NEXT) | instid1(VALU_DEP_2)
	v_add_f64_e32 v[4:5], v[6:7], v[4:5]
	v_add_f64_e32 v[6:7], v[8:9], v[122:123]
	s_delay_alu instid0(VALU_DEP_2) | instskip(NEXT) | instid1(VALU_DEP_2)
	v_add_f64_e64 v[4:5], v[158:159], -v[4:5]
	v_add_f64_e64 v[6:7], v[160:161], -v[6:7]
	scratch_store_b128 off, v[4:7], off offset:320
	s_wait_xcnt 0x0
	v_cmpx_lt_u32_e32 19, v1
	s_cbranch_execz .LBB51_287
; %bb.286:
	scratch_load_b128 v[6:9], off, s46
	v_dual_mov_b32 v3, v2 :: v_dual_mov_b32 v4, v2
	v_mov_b32_e32 v5, v2
	scratch_store_b128 off, v[2:5], off offset:304
	s_wait_loadcnt 0x0
	ds_store_b128 v120, v[6:9]
.LBB51_287:
	s_wait_xcnt 0x0
	s_or_b32 exec_lo, exec_lo, s2
	s_wait_storecnt_dscnt 0x0
	s_barrier_signal -1
	s_barrier_wait -1
	s_clause 0x9
	scratch_load_b128 v[4:7], off, off offset:320
	scratch_load_b128 v[8:11], off, off offset:336
	scratch_load_b128 v[12:15], off, off offset:352
	scratch_load_b128 v[122:125], off, off offset:368
	scratch_load_b128 v[126:129], off, off offset:384
	scratch_load_b128 v[130:133], off, off offset:400
	scratch_load_b128 v[134:137], off, off offset:416
	scratch_load_b128 v[138:141], off, off offset:432
	scratch_load_b128 v[142:145], off, off offset:448
	scratch_load_b128 v[146:149], off, off offset:464
	ds_load_b128 v[150:153], v2 offset:1152
	ds_load_b128 v[158:161], v2 offset:1168
	s_clause 0x2
	scratch_load_b128 v[154:157], off, off offset:480
	scratch_load_b128 v[162:165], off, off offset:304
	;; [unrolled: 1-line block ×3, first 2 shown]
	s_mov_b32 s2, exec_lo
	s_wait_loadcnt_dscnt 0xc01
	v_mul_f64_e32 v[170:171], v[152:153], v[6:7]
	v_mul_f64_e32 v[174:175], v[150:151], v[6:7]
	s_wait_loadcnt_dscnt 0xb00
	v_mul_f64_e32 v[176:177], v[158:159], v[10:11]
	v_mul_f64_e32 v[10:11], v[160:161], v[10:11]
	s_delay_alu instid0(VALU_DEP_4) | instskip(NEXT) | instid1(VALU_DEP_4)
	v_fma_f64 v[178:179], v[150:151], v[4:5], -v[170:171]
	v_fmac_f64_e32 v[174:175], v[152:153], v[4:5]
	ds_load_b128 v[4:7], v2 offset:1184
	ds_load_b128 v[150:153], v2 offset:1200
	scratch_load_b128 v[170:173], off, off offset:512
	v_fmac_f64_e32 v[176:177], v[160:161], v[8:9]
	v_fma_f64 v[158:159], v[158:159], v[8:9], -v[10:11]
	scratch_load_b128 v[8:11], off, off offset:528
	s_wait_loadcnt_dscnt 0xc01
	v_mul_f64_e32 v[180:181], v[4:5], v[14:15]
	v_mul_f64_e32 v[14:15], v[6:7], v[14:15]
	v_add_f64_e32 v[160:161], 0, v[178:179]
	v_add_f64_e32 v[174:175], 0, v[174:175]
	s_wait_loadcnt_dscnt 0xb00
	v_mul_f64_e32 v[178:179], v[150:151], v[124:125]
	v_mul_f64_e32 v[124:125], v[152:153], v[124:125]
	v_fmac_f64_e32 v[180:181], v[6:7], v[12:13]
	v_fma_f64 v[182:183], v[4:5], v[12:13], -v[14:15]
	ds_load_b128 v[4:7], v2 offset:1216
	ds_load_b128 v[12:15], v2 offset:1232
	v_add_f64_e32 v[184:185], v[160:161], v[158:159]
	v_add_f64_e32 v[174:175], v[174:175], v[176:177]
	scratch_load_b128 v[158:161], off, off offset:544
	v_fmac_f64_e32 v[178:179], v[152:153], v[122:123]
	v_fma_f64 v[150:151], v[150:151], v[122:123], -v[124:125]
	scratch_load_b128 v[122:125], off, off offset:560
	s_wait_loadcnt_dscnt 0xc01
	v_mul_f64_e32 v[176:177], v[4:5], v[128:129]
	v_mul_f64_e32 v[128:129], v[6:7], v[128:129]
	v_add_f64_e32 v[152:153], v[184:185], v[182:183]
	v_add_f64_e32 v[174:175], v[174:175], v[180:181]
	s_wait_loadcnt_dscnt 0xb00
	v_mul_f64_e32 v[180:181], v[12:13], v[132:133]
	v_mul_f64_e32 v[132:133], v[14:15], v[132:133]
	v_fmac_f64_e32 v[176:177], v[6:7], v[126:127]
	v_fma_f64 v[182:183], v[4:5], v[126:127], -v[128:129]
	ds_load_b128 v[4:7], v2 offset:1248
	ds_load_b128 v[126:129], v2 offset:1264
	v_add_f64_e32 v[184:185], v[152:153], v[150:151]
	v_add_f64_e32 v[174:175], v[174:175], v[178:179]
	scratch_load_b128 v[150:153], off, off offset:576
	s_wait_loadcnt_dscnt 0xb01
	v_mul_f64_e32 v[178:179], v[4:5], v[136:137]
	v_mul_f64_e32 v[136:137], v[6:7], v[136:137]
	v_fmac_f64_e32 v[180:181], v[14:15], v[130:131]
	v_fma_f64 v[130:131], v[12:13], v[130:131], -v[132:133]
	scratch_load_b128 v[12:15], off, off offset:592
	v_add_f64_e32 v[132:133], v[184:185], v[182:183]
	v_add_f64_e32 v[174:175], v[174:175], v[176:177]
	s_wait_loadcnt_dscnt 0xb00
	v_mul_f64_e32 v[176:177], v[126:127], v[140:141]
	v_mul_f64_e32 v[140:141], v[128:129], v[140:141]
	v_fmac_f64_e32 v[178:179], v[6:7], v[134:135]
	v_fma_f64 v[182:183], v[4:5], v[134:135], -v[136:137]
	v_add_f64_e32 v[184:185], v[132:133], v[130:131]
	v_add_f64_e32 v[174:175], v[174:175], v[180:181]
	ds_load_b128 v[4:7], v2 offset:1280
	ds_load_b128 v[130:133], v2 offset:1296
	scratch_load_b128 v[134:137], off, off offset:608
	v_fmac_f64_e32 v[176:177], v[128:129], v[138:139]
	v_fma_f64 v[138:139], v[126:127], v[138:139], -v[140:141]
	scratch_load_b128 v[126:129], off, off offset:624
	s_wait_loadcnt_dscnt 0xc01
	v_mul_f64_e32 v[180:181], v[4:5], v[144:145]
	v_mul_f64_e32 v[144:145], v[6:7], v[144:145]
	v_add_f64_e32 v[140:141], v[184:185], v[182:183]
	v_add_f64_e32 v[174:175], v[174:175], v[178:179]
	s_wait_loadcnt_dscnt 0xb00
	v_mul_f64_e32 v[178:179], v[130:131], v[148:149]
	v_mul_f64_e32 v[148:149], v[132:133], v[148:149]
	v_fmac_f64_e32 v[180:181], v[6:7], v[142:143]
	v_fma_f64 v[182:183], v[4:5], v[142:143], -v[144:145]
	v_add_f64_e32 v[184:185], v[140:141], v[138:139]
	v_add_f64_e32 v[174:175], v[174:175], v[176:177]
	ds_load_b128 v[4:7], v2 offset:1312
	ds_load_b128 v[138:141], v2 offset:1328
	scratch_load_b128 v[142:145], off, off offset:640
	v_fmac_f64_e32 v[178:179], v[132:133], v[146:147]
	v_fma_f64 v[146:147], v[130:131], v[146:147], -v[148:149]
	scratch_load_b128 v[130:133], off, off offset:656
	s_wait_loadcnt_dscnt 0xc01
	v_mul_f64_e32 v[176:177], v[4:5], v[156:157]
	v_mul_f64_e32 v[156:157], v[6:7], v[156:157]
	;; [unrolled: 18-line block ×5, first 2 shown]
	v_add_f64_e32 v[168:169], v[184:185], v[182:183]
	v_add_f64_e32 v[174:175], v[174:175], v[180:181]
	s_wait_loadcnt_dscnt 0xa00
	v_mul_f64_e32 v[180:181], v[146:147], v[14:15]
	v_mul_f64_e32 v[14:15], v[148:149], v[14:15]
	v_fmac_f64_e32 v[176:177], v[6:7], v[150:151]
	v_fma_f64 v[182:183], v[4:5], v[150:151], -v[152:153]
	ds_load_b128 v[4:7], v2 offset:1440
	ds_load_b128 v[150:153], v2 offset:1456
	v_add_f64_e32 v[184:185], v[168:169], v[166:167]
	v_add_f64_e32 v[174:175], v[174:175], v[178:179]
	scratch_load_b128 v[166:169], off, off offset:768
	v_fmac_f64_e32 v[180:181], v[148:149], v[12:13]
	v_fma_f64 v[146:147], v[146:147], v[12:13], -v[14:15]
	scratch_load_b128 v[12:15], off, off offset:784
	s_wait_loadcnt_dscnt 0xb01
	v_mul_f64_e32 v[178:179], v[4:5], v[136:137]
	v_mul_f64_e32 v[136:137], v[6:7], v[136:137]
	v_add_f64_e32 v[148:149], v[184:185], v[182:183]
	v_add_f64_e32 v[174:175], v[174:175], v[176:177]
	s_wait_loadcnt_dscnt 0xa00
	v_mul_f64_e32 v[176:177], v[150:151], v[128:129]
	v_mul_f64_e32 v[128:129], v[152:153], v[128:129]
	v_fmac_f64_e32 v[178:179], v[6:7], v[134:135]
	v_fma_f64 v[182:183], v[4:5], v[134:135], -v[136:137]
	ds_load_b128 v[4:7], v2 offset:1472
	ds_load_b128 v[134:137], v2 offset:1488
	v_add_f64_e32 v[184:185], v[148:149], v[146:147]
	v_add_f64_e32 v[174:175], v[174:175], v[180:181]
	scratch_load_b128 v[146:149], off, off offset:800
	s_wait_loadcnt_dscnt 0xa01
	v_mul_f64_e32 v[180:181], v[4:5], v[144:145]
	v_mul_f64_e32 v[144:145], v[6:7], v[144:145]
	v_fmac_f64_e32 v[176:177], v[152:153], v[126:127]
	v_fma_f64 v[150:151], v[150:151], v[126:127], -v[128:129]
	scratch_load_b128 v[126:129], off, off offset:816
	v_add_f64_e32 v[152:153], v[184:185], v[182:183]
	v_add_f64_e32 v[174:175], v[174:175], v[178:179]
	s_wait_loadcnt_dscnt 0xa00
	v_mul_f64_e32 v[178:179], v[134:135], v[132:133]
	v_mul_f64_e32 v[132:133], v[136:137], v[132:133]
	v_fmac_f64_e32 v[180:181], v[6:7], v[142:143]
	v_fma_f64 v[182:183], v[4:5], v[142:143], -v[144:145]
	ds_load_b128 v[4:7], v2 offset:1504
	ds_load_b128 v[142:145], v2 offset:1520
	v_add_f64_e32 v[150:151], v[152:153], v[150:151]
	v_add_f64_e32 v[152:153], v[174:175], v[176:177]
	v_fmac_f64_e32 v[178:179], v[136:137], v[130:131]
	s_wait_loadcnt_dscnt 0x901
	v_mul_f64_e32 v[174:175], v[4:5], v[156:157]
	v_mul_f64_e32 v[156:157], v[6:7], v[156:157]
	v_fma_f64 v[130:131], v[134:135], v[130:131], -v[132:133]
	s_wait_loadcnt_dscnt 0x800
	v_mul_f64_e32 v[136:137], v[142:143], v[140:141]
	v_mul_f64_e32 v[140:141], v[144:145], v[140:141]
	v_add_f64_e32 v[132:133], v[150:151], v[182:183]
	v_add_f64_e32 v[134:135], v[152:153], v[180:181]
	v_fmac_f64_e32 v[174:175], v[6:7], v[154:155]
	v_fma_f64 v[150:151], v[4:5], v[154:155], -v[156:157]
	v_fmac_f64_e32 v[136:137], v[144:145], v[138:139]
	v_fma_f64 v[138:139], v[142:143], v[138:139], -v[140:141]
	v_add_f64_e32 v[152:153], v[132:133], v[130:131]
	v_add_f64_e32 v[134:135], v[134:135], v[178:179]
	ds_load_b128 v[4:7], v2 offset:1536
	ds_load_b128 v[130:133], v2 offset:1552
	s_wait_loadcnt_dscnt 0x701
	v_mul_f64_e32 v[154:155], v[4:5], v[172:173]
	v_mul_f64_e32 v[156:157], v[6:7], v[172:173]
	s_wait_loadcnt_dscnt 0x600
	v_mul_f64_e32 v[142:143], v[130:131], v[10:11]
	v_mul_f64_e32 v[10:11], v[132:133], v[10:11]
	v_add_f64_e32 v[140:141], v[152:153], v[150:151]
	v_add_f64_e32 v[134:135], v[134:135], v[174:175]
	v_fmac_f64_e32 v[154:155], v[6:7], v[170:171]
	v_fma_f64 v[144:145], v[4:5], v[170:171], -v[156:157]
	v_fmac_f64_e32 v[142:143], v[132:133], v[8:9]
	v_fma_f64 v[8:9], v[130:131], v[8:9], -v[10:11]
	v_add_f64_e32 v[138:139], v[140:141], v[138:139]
	v_add_f64_e32 v[140:141], v[134:135], v[136:137]
	ds_load_b128 v[4:7], v2 offset:1568
	ds_load_b128 v[134:137], v2 offset:1584
	s_wait_loadcnt_dscnt 0x501
	v_mul_f64_e32 v[150:151], v[4:5], v[160:161]
	v_mul_f64_e32 v[152:153], v[6:7], v[160:161]
	;; [unrolled: 16-line block ×4, first 2 shown]
	s_wait_loadcnt_dscnt 0x0
	v_mul_f64_e32 v[14:15], v[122:123], v[128:129]
	v_mul_f64_e32 v[128:129], v[124:125], v[128:129]
	v_add_f64_e32 v[10:11], v[138:139], v[136:137]
	v_add_f64_e32 v[12:13], v[130:131], v[142:143]
	v_fmac_f64_e32 v[2:3], v[6:7], v[146:147]
	v_fma_f64 v[4:5], v[4:5], v[146:147], -v[132:133]
	v_fmac_f64_e32 v[14:15], v[124:125], v[126:127]
	v_add_f64_e32 v[6:7], v[10:11], v[8:9]
	v_add_f64_e32 v[8:9], v[12:13], v[134:135]
	v_fma_f64 v[10:11], v[122:123], v[126:127], -v[128:129]
	s_delay_alu instid0(VALU_DEP_3) | instskip(NEXT) | instid1(VALU_DEP_3)
	v_add_f64_e32 v[4:5], v[6:7], v[4:5]
	v_add_f64_e32 v[2:3], v[8:9], v[2:3]
	s_delay_alu instid0(VALU_DEP_2) | instskip(NEXT) | instid1(VALU_DEP_2)
	v_add_f64_e32 v[4:5], v[4:5], v[10:11]
	v_add_f64_e32 v[6:7], v[2:3], v[14:15]
	s_delay_alu instid0(VALU_DEP_2) | instskip(NEXT) | instid1(VALU_DEP_2)
	v_add_f64_e64 v[2:3], v[162:163], -v[4:5]
	v_add_f64_e64 v[4:5], v[164:165], -v[6:7]
	scratch_store_b128 off, v[2:5], off offset:304
	s_wait_xcnt 0x0
	v_cmpx_lt_u32_e32 18, v1
	s_cbranch_execz .LBB51_289
; %bb.288:
	scratch_load_b128 v[2:5], off, s43
	v_mov_b32_e32 v6, 0
	s_delay_alu instid0(VALU_DEP_1)
	v_dual_mov_b32 v7, v6 :: v_dual_mov_b32 v8, v6
	v_mov_b32_e32 v9, v6
	scratch_store_b128 off, v[6:9], off offset:288
	s_wait_loadcnt 0x0
	ds_store_b128 v120, v[2:5]
.LBB51_289:
	s_wait_xcnt 0x0
	s_or_b32 exec_lo, exec_lo, s2
	s_wait_storecnt_dscnt 0x0
	s_barrier_signal -1
	s_barrier_wait -1
	s_clause 0x9
	scratch_load_b128 v[4:7], off, off offset:304
	scratch_load_b128 v[8:11], off, off offset:320
	;; [unrolled: 1-line block ×10, first 2 shown]
	v_mov_b32_e32 v2, 0
	s_mov_b32 s2, exec_lo
	ds_load_b128 v[150:153], v2 offset:1136
	s_clause 0x2
	scratch_load_b128 v[154:157], off, off offset:464
	scratch_load_b128 v[158:161], off, off offset:288
	;; [unrolled: 1-line block ×3, first 2 shown]
	s_wait_loadcnt_dscnt 0xc00
	v_mul_f64_e32 v[170:171], v[152:153], v[6:7]
	v_mul_f64_e32 v[174:175], v[150:151], v[6:7]
	ds_load_b128 v[162:165], v2 offset:1152
	v_fma_f64 v[178:179], v[150:151], v[4:5], -v[170:171]
	v_fmac_f64_e32 v[174:175], v[152:153], v[4:5]
	ds_load_b128 v[4:7], v2 offset:1168
	s_wait_loadcnt_dscnt 0xb01
	v_mul_f64_e32 v[176:177], v[162:163], v[10:11]
	v_mul_f64_e32 v[10:11], v[164:165], v[10:11]
	scratch_load_b128 v[150:153], off, off offset:496
	ds_load_b128 v[170:173], v2 offset:1184
	s_wait_loadcnt_dscnt 0xb01
	v_mul_f64_e32 v[180:181], v[4:5], v[14:15]
	v_mul_f64_e32 v[14:15], v[6:7], v[14:15]
	v_add_f64_e32 v[174:175], 0, v[174:175]
	v_fmac_f64_e32 v[176:177], v[164:165], v[8:9]
	v_fma_f64 v[162:163], v[162:163], v[8:9], -v[10:11]
	v_add_f64_e32 v[164:165], 0, v[178:179]
	scratch_load_b128 v[8:11], off, off offset:512
	v_fmac_f64_e32 v[180:181], v[6:7], v[12:13]
	v_fma_f64 v[182:183], v[4:5], v[12:13], -v[14:15]
	ds_load_b128 v[4:7], v2 offset:1200
	s_wait_loadcnt_dscnt 0xb01
	v_mul_f64_e32 v[178:179], v[170:171], v[124:125]
	v_mul_f64_e32 v[124:125], v[172:173], v[124:125]
	scratch_load_b128 v[12:15], off, off offset:528
	v_add_f64_e32 v[174:175], v[174:175], v[176:177]
	v_add_f64_e32 v[184:185], v[164:165], v[162:163]
	ds_load_b128 v[162:165], v2 offset:1216
	s_wait_loadcnt_dscnt 0xb01
	v_mul_f64_e32 v[176:177], v[4:5], v[128:129]
	v_mul_f64_e32 v[128:129], v[6:7], v[128:129]
	v_fmac_f64_e32 v[178:179], v[172:173], v[122:123]
	v_fma_f64 v[170:171], v[170:171], v[122:123], -v[124:125]
	scratch_load_b128 v[122:125], off, off offset:544
	v_add_f64_e32 v[174:175], v[174:175], v[180:181]
	v_add_f64_e32 v[172:173], v[184:185], v[182:183]
	v_fmac_f64_e32 v[176:177], v[6:7], v[126:127]
	v_fma_f64 v[182:183], v[4:5], v[126:127], -v[128:129]
	ds_load_b128 v[4:7], v2 offset:1232
	s_wait_loadcnt_dscnt 0xb01
	v_mul_f64_e32 v[180:181], v[162:163], v[132:133]
	v_mul_f64_e32 v[132:133], v[164:165], v[132:133]
	scratch_load_b128 v[126:129], off, off offset:560
	v_add_f64_e32 v[174:175], v[174:175], v[178:179]
	s_wait_loadcnt_dscnt 0xb00
	v_mul_f64_e32 v[178:179], v[4:5], v[136:137]
	v_add_f64_e32 v[184:185], v[172:173], v[170:171]
	v_mul_f64_e32 v[136:137], v[6:7], v[136:137]
	ds_load_b128 v[170:173], v2 offset:1248
	v_fmac_f64_e32 v[180:181], v[164:165], v[130:131]
	v_fma_f64 v[162:163], v[162:163], v[130:131], -v[132:133]
	scratch_load_b128 v[130:133], off, off offset:576
	v_add_f64_e32 v[174:175], v[174:175], v[176:177]
	v_fmac_f64_e32 v[178:179], v[6:7], v[134:135]
	v_add_f64_e32 v[164:165], v[184:185], v[182:183]
	v_fma_f64 v[182:183], v[4:5], v[134:135], -v[136:137]
	ds_load_b128 v[4:7], v2 offset:1264
	s_wait_loadcnt_dscnt 0xb01
	v_mul_f64_e32 v[176:177], v[170:171], v[140:141]
	v_mul_f64_e32 v[140:141], v[172:173], v[140:141]
	scratch_load_b128 v[134:137], off, off offset:592
	v_add_f64_e32 v[174:175], v[174:175], v[180:181]
	s_wait_loadcnt_dscnt 0xb00
	v_mul_f64_e32 v[180:181], v[4:5], v[144:145]
	v_add_f64_e32 v[184:185], v[164:165], v[162:163]
	v_mul_f64_e32 v[144:145], v[6:7], v[144:145]
	ds_load_b128 v[162:165], v2 offset:1280
	v_fmac_f64_e32 v[176:177], v[172:173], v[138:139]
	v_fma_f64 v[170:171], v[170:171], v[138:139], -v[140:141]
	scratch_load_b128 v[138:141], off, off offset:608
	v_add_f64_e32 v[174:175], v[174:175], v[178:179]
	v_fmac_f64_e32 v[180:181], v[6:7], v[142:143]
	v_add_f64_e32 v[172:173], v[184:185], v[182:183]
	v_fma_f64 v[182:183], v[4:5], v[142:143], -v[144:145]
	ds_load_b128 v[4:7], v2 offset:1296
	s_wait_loadcnt_dscnt 0xb01
	v_mul_f64_e32 v[178:179], v[162:163], v[148:149]
	v_mul_f64_e32 v[148:149], v[164:165], v[148:149]
	scratch_load_b128 v[142:145], off, off offset:624
	v_add_f64_e32 v[174:175], v[174:175], v[176:177]
	s_wait_loadcnt_dscnt 0xb00
	v_mul_f64_e32 v[176:177], v[4:5], v[156:157]
	v_add_f64_e32 v[184:185], v[172:173], v[170:171]
	v_mul_f64_e32 v[156:157], v[6:7], v[156:157]
	ds_load_b128 v[170:173], v2 offset:1312
	v_fmac_f64_e32 v[178:179], v[164:165], v[146:147]
	v_fma_f64 v[162:163], v[162:163], v[146:147], -v[148:149]
	scratch_load_b128 v[146:149], off, off offset:640
	v_add_f64_e32 v[174:175], v[174:175], v[180:181]
	v_fmac_f64_e32 v[176:177], v[6:7], v[154:155]
	v_add_f64_e32 v[164:165], v[184:185], v[182:183]
	v_fma_f64 v[182:183], v[4:5], v[154:155], -v[156:157]
	ds_load_b128 v[4:7], v2 offset:1328
	s_wait_loadcnt_dscnt 0xa01
	v_mul_f64_e32 v[180:181], v[170:171], v[168:169]
	v_mul_f64_e32 v[168:169], v[172:173], v[168:169]
	scratch_load_b128 v[154:157], off, off offset:656
	v_add_f64_e32 v[174:175], v[174:175], v[178:179]
	v_add_f64_e32 v[184:185], v[164:165], v[162:163]
	s_wait_loadcnt_dscnt 0xa00
	v_mul_f64_e32 v[178:179], v[4:5], v[152:153]
	v_mul_f64_e32 v[152:153], v[6:7], v[152:153]
	v_fmac_f64_e32 v[180:181], v[172:173], v[166:167]
	v_fma_f64 v[170:171], v[170:171], v[166:167], -v[168:169]
	ds_load_b128 v[162:165], v2 offset:1344
	scratch_load_b128 v[166:169], off, off offset:672
	v_add_f64_e32 v[174:175], v[174:175], v[176:177]
	v_add_f64_e32 v[172:173], v[184:185], v[182:183]
	v_fmac_f64_e32 v[178:179], v[6:7], v[150:151]
	v_fma_f64 v[182:183], v[4:5], v[150:151], -v[152:153]
	ds_load_b128 v[4:7], v2 offset:1360
	s_wait_loadcnt_dscnt 0xa01
	v_mul_f64_e32 v[176:177], v[162:163], v[10:11]
	v_mul_f64_e32 v[10:11], v[164:165], v[10:11]
	scratch_load_b128 v[150:153], off, off offset:688
	v_add_f64_e32 v[174:175], v[174:175], v[180:181]
	s_wait_loadcnt_dscnt 0xa00
	v_mul_f64_e32 v[180:181], v[4:5], v[14:15]
	v_add_f64_e32 v[184:185], v[172:173], v[170:171]
	v_mul_f64_e32 v[14:15], v[6:7], v[14:15]
	ds_load_b128 v[170:173], v2 offset:1376
	v_fmac_f64_e32 v[176:177], v[164:165], v[8:9]
	v_fma_f64 v[162:163], v[162:163], v[8:9], -v[10:11]
	scratch_load_b128 v[8:11], off, off offset:704
	v_add_f64_e32 v[174:175], v[174:175], v[178:179]
	v_fmac_f64_e32 v[180:181], v[6:7], v[12:13]
	v_add_f64_e32 v[164:165], v[184:185], v[182:183]
	v_fma_f64 v[182:183], v[4:5], v[12:13], -v[14:15]
	ds_load_b128 v[4:7], v2 offset:1392
	s_wait_loadcnt_dscnt 0xa01
	v_mul_f64_e32 v[178:179], v[170:171], v[124:125]
	v_mul_f64_e32 v[124:125], v[172:173], v[124:125]
	scratch_load_b128 v[12:15], off, off offset:720
	v_add_f64_e32 v[174:175], v[174:175], v[176:177]
	s_wait_loadcnt_dscnt 0xa00
	v_mul_f64_e32 v[176:177], v[4:5], v[128:129]
	v_add_f64_e32 v[184:185], v[164:165], v[162:163]
	v_mul_f64_e32 v[128:129], v[6:7], v[128:129]
	ds_load_b128 v[162:165], v2 offset:1408
	v_fmac_f64_e32 v[178:179], v[172:173], v[122:123]
	v_fma_f64 v[170:171], v[170:171], v[122:123], -v[124:125]
	scratch_load_b128 v[122:125], off, off offset:736
	v_add_f64_e32 v[174:175], v[174:175], v[180:181]
	v_fmac_f64_e32 v[176:177], v[6:7], v[126:127]
	v_add_f64_e32 v[172:173], v[184:185], v[182:183]
	;; [unrolled: 18-line block ×4, first 2 shown]
	v_fma_f64 v[182:183], v[4:5], v[142:143], -v[144:145]
	ds_load_b128 v[4:7], v2 offset:1488
	s_wait_loadcnt_dscnt 0xa01
	v_mul_f64_e32 v[178:179], v[162:163], v[148:149]
	v_mul_f64_e32 v[148:149], v[164:165], v[148:149]
	scratch_load_b128 v[142:145], off, off offset:816
	v_add_f64_e32 v[174:175], v[174:175], v[176:177]
	s_wait_loadcnt_dscnt 0xa00
	v_mul_f64_e32 v[176:177], v[4:5], v[156:157]
	v_add_f64_e32 v[184:185], v[172:173], v[170:171]
	v_mul_f64_e32 v[156:157], v[6:7], v[156:157]
	ds_load_b128 v[170:173], v2 offset:1504
	v_fmac_f64_e32 v[178:179], v[164:165], v[146:147]
	v_fma_f64 v[146:147], v[162:163], v[146:147], -v[148:149]
	s_wait_loadcnt_dscnt 0x900
	v_mul_f64_e32 v[164:165], v[170:171], v[168:169]
	v_mul_f64_e32 v[168:169], v[172:173], v[168:169]
	v_add_f64_e32 v[162:163], v[174:175], v[180:181]
	v_fmac_f64_e32 v[176:177], v[6:7], v[154:155]
	v_add_f64_e32 v[148:149], v[184:185], v[182:183]
	v_fma_f64 v[154:155], v[4:5], v[154:155], -v[156:157]
	v_fmac_f64_e32 v[164:165], v[172:173], v[166:167]
	v_fma_f64 v[166:167], v[170:171], v[166:167], -v[168:169]
	v_add_f64_e32 v[162:163], v[162:163], v[178:179]
	v_add_f64_e32 v[156:157], v[148:149], v[146:147]
	ds_load_b128 v[4:7], v2 offset:1520
	ds_load_b128 v[146:149], v2 offset:1536
	s_wait_loadcnt_dscnt 0x801
	v_mul_f64_e32 v[174:175], v[4:5], v[152:153]
	v_mul_f64_e32 v[152:153], v[6:7], v[152:153]
	v_add_f64_e32 v[154:155], v[156:157], v[154:155]
	v_add_f64_e32 v[156:157], v[162:163], v[176:177]
	s_wait_loadcnt_dscnt 0x700
	v_mul_f64_e32 v[162:163], v[146:147], v[10:11]
	v_mul_f64_e32 v[10:11], v[148:149], v[10:11]
	v_fmac_f64_e32 v[174:175], v[6:7], v[150:151]
	v_fma_f64 v[168:169], v[4:5], v[150:151], -v[152:153]
	ds_load_b128 v[4:7], v2 offset:1552
	ds_load_b128 v[150:153], v2 offset:1568
	v_add_f64_e32 v[154:155], v[154:155], v[166:167]
	v_add_f64_e32 v[156:157], v[156:157], v[164:165]
	v_fmac_f64_e32 v[162:163], v[148:149], v[8:9]
	v_fma_f64 v[8:9], v[146:147], v[8:9], -v[10:11]
	s_wait_loadcnt_dscnt 0x601
	v_mul_f64_e32 v[164:165], v[4:5], v[14:15]
	v_mul_f64_e32 v[14:15], v[6:7], v[14:15]
	s_wait_loadcnt_dscnt 0x500
	v_mul_f64_e32 v[148:149], v[150:151], v[124:125]
	v_mul_f64_e32 v[124:125], v[152:153], v[124:125]
	v_add_f64_e32 v[10:11], v[154:155], v[168:169]
	v_add_f64_e32 v[146:147], v[156:157], v[174:175]
	v_fmac_f64_e32 v[164:165], v[6:7], v[12:13]
	v_fma_f64 v[12:13], v[4:5], v[12:13], -v[14:15]
	v_fmac_f64_e32 v[148:149], v[152:153], v[122:123]
	v_fma_f64 v[122:123], v[150:151], v[122:123], -v[124:125]
	v_add_f64_e32 v[14:15], v[10:11], v[8:9]
	v_add_f64_e32 v[146:147], v[146:147], v[162:163]
	ds_load_b128 v[4:7], v2 offset:1584
	ds_load_b128 v[8:11], v2 offset:1600
	s_wait_loadcnt_dscnt 0x401
	v_mul_f64_e32 v[154:155], v[4:5], v[128:129]
	v_mul_f64_e32 v[128:129], v[6:7], v[128:129]
	s_wait_loadcnt_dscnt 0x300
	v_mul_f64_e32 v[124:125], v[8:9], v[132:133]
	v_mul_f64_e32 v[132:133], v[10:11], v[132:133]
	v_add_f64_e32 v[12:13], v[14:15], v[12:13]
	v_add_f64_e32 v[14:15], v[146:147], v[164:165]
	v_fmac_f64_e32 v[154:155], v[6:7], v[126:127]
	v_fma_f64 v[126:127], v[4:5], v[126:127], -v[128:129]
	v_fmac_f64_e32 v[124:125], v[10:11], v[130:131]
	v_fma_f64 v[8:9], v[8:9], v[130:131], -v[132:133]
	v_add_f64_e32 v[122:123], v[12:13], v[122:123]
	v_add_f64_e32 v[128:129], v[14:15], v[148:149]
	ds_load_b128 v[4:7], v2 offset:1616
	ds_load_b128 v[12:15], v2 offset:1632
	s_wait_loadcnt_dscnt 0x201
	v_mul_f64_e32 v[146:147], v[4:5], v[136:137]
	v_mul_f64_e32 v[136:137], v[6:7], v[136:137]
	v_add_f64_e32 v[10:11], v[122:123], v[126:127]
	v_add_f64_e32 v[122:123], v[128:129], v[154:155]
	s_wait_loadcnt_dscnt 0x100
	v_mul_f64_e32 v[126:127], v[12:13], v[140:141]
	v_mul_f64_e32 v[128:129], v[14:15], v[140:141]
	v_fmac_f64_e32 v[146:147], v[6:7], v[134:135]
	v_fma_f64 v[130:131], v[4:5], v[134:135], -v[136:137]
	ds_load_b128 v[4:7], v2 offset:1648
	v_add_f64_e32 v[8:9], v[10:11], v[8:9]
	v_add_f64_e32 v[10:11], v[122:123], v[124:125]
	v_fmac_f64_e32 v[126:127], v[14:15], v[138:139]
	v_fma_f64 v[12:13], v[12:13], v[138:139], -v[128:129]
	s_wait_loadcnt_dscnt 0x0
	v_mul_f64_e32 v[122:123], v[4:5], v[144:145]
	v_mul_f64_e32 v[124:125], v[6:7], v[144:145]
	v_add_f64_e32 v[8:9], v[8:9], v[130:131]
	v_add_f64_e32 v[10:11], v[10:11], v[146:147]
	s_delay_alu instid0(VALU_DEP_4) | instskip(NEXT) | instid1(VALU_DEP_4)
	v_fmac_f64_e32 v[122:123], v[6:7], v[142:143]
	v_fma_f64 v[4:5], v[4:5], v[142:143], -v[124:125]
	s_delay_alu instid0(VALU_DEP_4) | instskip(NEXT) | instid1(VALU_DEP_4)
	v_add_f64_e32 v[6:7], v[8:9], v[12:13]
	v_add_f64_e32 v[8:9], v[10:11], v[126:127]
	s_delay_alu instid0(VALU_DEP_2) | instskip(NEXT) | instid1(VALU_DEP_2)
	v_add_f64_e32 v[4:5], v[6:7], v[4:5]
	v_add_f64_e32 v[6:7], v[8:9], v[122:123]
	s_delay_alu instid0(VALU_DEP_2) | instskip(NEXT) | instid1(VALU_DEP_2)
	v_add_f64_e64 v[4:5], v[158:159], -v[4:5]
	v_add_f64_e64 v[6:7], v[160:161], -v[6:7]
	scratch_store_b128 off, v[4:7], off offset:288
	s_wait_xcnt 0x0
	v_cmpx_lt_u32_e32 17, v1
	s_cbranch_execz .LBB51_291
; %bb.290:
	scratch_load_b128 v[6:9], off, s40
	v_dual_mov_b32 v3, v2 :: v_dual_mov_b32 v4, v2
	v_mov_b32_e32 v5, v2
	scratch_store_b128 off, v[2:5], off offset:272
	s_wait_loadcnt 0x0
	ds_store_b128 v120, v[6:9]
.LBB51_291:
	s_wait_xcnt 0x0
	s_or_b32 exec_lo, exec_lo, s2
	s_wait_storecnt_dscnt 0x0
	s_barrier_signal -1
	s_barrier_wait -1
	s_clause 0x9
	scratch_load_b128 v[4:7], off, off offset:288
	scratch_load_b128 v[8:11], off, off offset:304
	;; [unrolled: 1-line block ×10, first 2 shown]
	ds_load_b128 v[150:153], v2 offset:1120
	ds_load_b128 v[158:161], v2 offset:1136
	s_clause 0x2
	scratch_load_b128 v[154:157], off, off offset:448
	scratch_load_b128 v[162:165], off, off offset:272
	;; [unrolled: 1-line block ×3, first 2 shown]
	s_mov_b32 s2, exec_lo
	s_wait_loadcnt_dscnt 0xc01
	v_mul_f64_e32 v[170:171], v[152:153], v[6:7]
	v_mul_f64_e32 v[174:175], v[150:151], v[6:7]
	s_wait_loadcnt_dscnt 0xb00
	v_mul_f64_e32 v[176:177], v[158:159], v[10:11]
	v_mul_f64_e32 v[10:11], v[160:161], v[10:11]
	s_delay_alu instid0(VALU_DEP_4) | instskip(NEXT) | instid1(VALU_DEP_4)
	v_fma_f64 v[178:179], v[150:151], v[4:5], -v[170:171]
	v_fmac_f64_e32 v[174:175], v[152:153], v[4:5]
	ds_load_b128 v[4:7], v2 offset:1152
	ds_load_b128 v[150:153], v2 offset:1168
	scratch_load_b128 v[170:173], off, off offset:480
	v_fmac_f64_e32 v[176:177], v[160:161], v[8:9]
	v_fma_f64 v[158:159], v[158:159], v[8:9], -v[10:11]
	scratch_load_b128 v[8:11], off, off offset:496
	s_wait_loadcnt_dscnt 0xc01
	v_mul_f64_e32 v[180:181], v[4:5], v[14:15]
	v_mul_f64_e32 v[14:15], v[6:7], v[14:15]
	v_add_f64_e32 v[160:161], 0, v[178:179]
	v_add_f64_e32 v[174:175], 0, v[174:175]
	s_wait_loadcnt_dscnt 0xb00
	v_mul_f64_e32 v[178:179], v[150:151], v[124:125]
	v_mul_f64_e32 v[124:125], v[152:153], v[124:125]
	v_fmac_f64_e32 v[180:181], v[6:7], v[12:13]
	v_fma_f64 v[182:183], v[4:5], v[12:13], -v[14:15]
	ds_load_b128 v[4:7], v2 offset:1184
	ds_load_b128 v[12:15], v2 offset:1200
	v_add_f64_e32 v[184:185], v[160:161], v[158:159]
	v_add_f64_e32 v[174:175], v[174:175], v[176:177]
	scratch_load_b128 v[158:161], off, off offset:512
	v_fmac_f64_e32 v[178:179], v[152:153], v[122:123]
	v_fma_f64 v[150:151], v[150:151], v[122:123], -v[124:125]
	scratch_load_b128 v[122:125], off, off offset:528
	s_wait_loadcnt_dscnt 0xc01
	v_mul_f64_e32 v[176:177], v[4:5], v[128:129]
	v_mul_f64_e32 v[128:129], v[6:7], v[128:129]
	v_add_f64_e32 v[152:153], v[184:185], v[182:183]
	v_add_f64_e32 v[174:175], v[174:175], v[180:181]
	s_wait_loadcnt_dscnt 0xb00
	v_mul_f64_e32 v[180:181], v[12:13], v[132:133]
	v_mul_f64_e32 v[132:133], v[14:15], v[132:133]
	v_fmac_f64_e32 v[176:177], v[6:7], v[126:127]
	v_fma_f64 v[182:183], v[4:5], v[126:127], -v[128:129]
	ds_load_b128 v[4:7], v2 offset:1216
	ds_load_b128 v[126:129], v2 offset:1232
	v_add_f64_e32 v[184:185], v[152:153], v[150:151]
	v_add_f64_e32 v[174:175], v[174:175], v[178:179]
	scratch_load_b128 v[150:153], off, off offset:544
	s_wait_loadcnt_dscnt 0xb01
	v_mul_f64_e32 v[178:179], v[4:5], v[136:137]
	v_mul_f64_e32 v[136:137], v[6:7], v[136:137]
	v_fmac_f64_e32 v[180:181], v[14:15], v[130:131]
	v_fma_f64 v[130:131], v[12:13], v[130:131], -v[132:133]
	scratch_load_b128 v[12:15], off, off offset:560
	v_add_f64_e32 v[132:133], v[184:185], v[182:183]
	v_add_f64_e32 v[174:175], v[174:175], v[176:177]
	s_wait_loadcnt_dscnt 0xb00
	v_mul_f64_e32 v[176:177], v[126:127], v[140:141]
	v_mul_f64_e32 v[140:141], v[128:129], v[140:141]
	v_fmac_f64_e32 v[178:179], v[6:7], v[134:135]
	v_fma_f64 v[182:183], v[4:5], v[134:135], -v[136:137]
	v_add_f64_e32 v[184:185], v[132:133], v[130:131]
	v_add_f64_e32 v[174:175], v[174:175], v[180:181]
	ds_load_b128 v[4:7], v2 offset:1248
	ds_load_b128 v[130:133], v2 offset:1264
	scratch_load_b128 v[134:137], off, off offset:576
	v_fmac_f64_e32 v[176:177], v[128:129], v[138:139]
	v_fma_f64 v[138:139], v[126:127], v[138:139], -v[140:141]
	scratch_load_b128 v[126:129], off, off offset:592
	s_wait_loadcnt_dscnt 0xc01
	v_mul_f64_e32 v[180:181], v[4:5], v[144:145]
	v_mul_f64_e32 v[144:145], v[6:7], v[144:145]
	v_add_f64_e32 v[140:141], v[184:185], v[182:183]
	v_add_f64_e32 v[174:175], v[174:175], v[178:179]
	s_wait_loadcnt_dscnt 0xb00
	v_mul_f64_e32 v[178:179], v[130:131], v[148:149]
	v_mul_f64_e32 v[148:149], v[132:133], v[148:149]
	v_fmac_f64_e32 v[180:181], v[6:7], v[142:143]
	v_fma_f64 v[182:183], v[4:5], v[142:143], -v[144:145]
	v_add_f64_e32 v[184:185], v[140:141], v[138:139]
	v_add_f64_e32 v[174:175], v[174:175], v[176:177]
	ds_load_b128 v[4:7], v2 offset:1280
	ds_load_b128 v[138:141], v2 offset:1296
	scratch_load_b128 v[142:145], off, off offset:608
	v_fmac_f64_e32 v[178:179], v[132:133], v[146:147]
	v_fma_f64 v[146:147], v[130:131], v[146:147], -v[148:149]
	scratch_load_b128 v[130:133], off, off offset:624
	s_wait_loadcnt_dscnt 0xc01
	v_mul_f64_e32 v[176:177], v[4:5], v[156:157]
	v_mul_f64_e32 v[156:157], v[6:7], v[156:157]
	;; [unrolled: 18-line block ×5, first 2 shown]
	v_add_f64_e32 v[168:169], v[184:185], v[182:183]
	v_add_f64_e32 v[174:175], v[174:175], v[180:181]
	s_wait_loadcnt_dscnt 0xa00
	v_mul_f64_e32 v[180:181], v[146:147], v[14:15]
	v_mul_f64_e32 v[14:15], v[148:149], v[14:15]
	v_fmac_f64_e32 v[176:177], v[6:7], v[150:151]
	v_fma_f64 v[182:183], v[4:5], v[150:151], -v[152:153]
	ds_load_b128 v[4:7], v2 offset:1408
	ds_load_b128 v[150:153], v2 offset:1424
	v_add_f64_e32 v[184:185], v[168:169], v[166:167]
	v_add_f64_e32 v[174:175], v[174:175], v[178:179]
	scratch_load_b128 v[166:169], off, off offset:736
	v_fmac_f64_e32 v[180:181], v[148:149], v[12:13]
	v_fma_f64 v[146:147], v[146:147], v[12:13], -v[14:15]
	scratch_load_b128 v[12:15], off, off offset:752
	s_wait_loadcnt_dscnt 0xb01
	v_mul_f64_e32 v[178:179], v[4:5], v[136:137]
	v_mul_f64_e32 v[136:137], v[6:7], v[136:137]
	v_add_f64_e32 v[148:149], v[184:185], v[182:183]
	v_add_f64_e32 v[174:175], v[174:175], v[176:177]
	s_wait_loadcnt_dscnt 0xa00
	v_mul_f64_e32 v[176:177], v[150:151], v[128:129]
	v_mul_f64_e32 v[128:129], v[152:153], v[128:129]
	v_fmac_f64_e32 v[178:179], v[6:7], v[134:135]
	v_fma_f64 v[182:183], v[4:5], v[134:135], -v[136:137]
	ds_load_b128 v[4:7], v2 offset:1440
	ds_load_b128 v[134:137], v2 offset:1456
	v_add_f64_e32 v[184:185], v[148:149], v[146:147]
	v_add_f64_e32 v[174:175], v[174:175], v[180:181]
	scratch_load_b128 v[146:149], off, off offset:768
	s_wait_loadcnt_dscnt 0xa01
	v_mul_f64_e32 v[180:181], v[4:5], v[144:145]
	v_mul_f64_e32 v[144:145], v[6:7], v[144:145]
	v_fmac_f64_e32 v[176:177], v[152:153], v[126:127]
	v_fma_f64 v[150:151], v[150:151], v[126:127], -v[128:129]
	scratch_load_b128 v[126:129], off, off offset:784
	v_add_f64_e32 v[152:153], v[184:185], v[182:183]
	v_add_f64_e32 v[174:175], v[174:175], v[178:179]
	s_wait_loadcnt_dscnt 0xa00
	v_mul_f64_e32 v[178:179], v[134:135], v[132:133]
	v_mul_f64_e32 v[132:133], v[136:137], v[132:133]
	v_fmac_f64_e32 v[180:181], v[6:7], v[142:143]
	v_fma_f64 v[182:183], v[4:5], v[142:143], -v[144:145]
	ds_load_b128 v[4:7], v2 offset:1472
	ds_load_b128 v[142:145], v2 offset:1488
	v_add_f64_e32 v[184:185], v[152:153], v[150:151]
	v_add_f64_e32 v[174:175], v[174:175], v[176:177]
	scratch_load_b128 v[150:153], off, off offset:800
	s_wait_loadcnt_dscnt 0xa01
	v_mul_f64_e32 v[176:177], v[4:5], v[156:157]
	v_mul_f64_e32 v[156:157], v[6:7], v[156:157]
	v_fmac_f64_e32 v[178:179], v[136:137], v[130:131]
	v_fma_f64 v[134:135], v[134:135], v[130:131], -v[132:133]
	scratch_load_b128 v[130:133], off, off offset:816
	v_add_f64_e32 v[136:137], v[184:185], v[182:183]
	v_add_f64_e32 v[174:175], v[174:175], v[180:181]
	s_wait_loadcnt_dscnt 0xa00
	v_mul_f64_e32 v[180:181], v[142:143], v[140:141]
	v_mul_f64_e32 v[140:141], v[144:145], v[140:141]
	v_fmac_f64_e32 v[176:177], v[6:7], v[154:155]
	v_fma_f64 v[154:155], v[4:5], v[154:155], -v[156:157]
	v_add_f64_e32 v[156:157], v[136:137], v[134:135]
	v_add_f64_e32 v[174:175], v[174:175], v[178:179]
	ds_load_b128 v[4:7], v2 offset:1504
	ds_load_b128 v[134:137], v2 offset:1520
	v_fmac_f64_e32 v[180:181], v[144:145], v[138:139]
	v_fma_f64 v[138:139], v[142:143], v[138:139], -v[140:141]
	s_wait_loadcnt_dscnt 0x901
	v_mul_f64_e32 v[178:179], v[4:5], v[172:173]
	v_mul_f64_e32 v[172:173], v[6:7], v[172:173]
	s_wait_loadcnt_dscnt 0x800
	v_mul_f64_e32 v[144:145], v[134:135], v[10:11]
	v_mul_f64_e32 v[10:11], v[136:137], v[10:11]
	v_add_f64_e32 v[140:141], v[156:157], v[154:155]
	v_add_f64_e32 v[142:143], v[174:175], v[176:177]
	v_fmac_f64_e32 v[178:179], v[6:7], v[170:171]
	v_fma_f64 v[154:155], v[4:5], v[170:171], -v[172:173]
	v_fmac_f64_e32 v[144:145], v[136:137], v[8:9]
	v_fma_f64 v[8:9], v[134:135], v[8:9], -v[10:11]
	v_add_f64_e32 v[156:157], v[140:141], v[138:139]
	v_add_f64_e32 v[142:143], v[142:143], v[180:181]
	ds_load_b128 v[4:7], v2 offset:1536
	ds_load_b128 v[138:141], v2 offset:1552
	s_wait_loadcnt_dscnt 0x701
	v_mul_f64_e32 v[170:171], v[4:5], v[160:161]
	v_mul_f64_e32 v[160:161], v[6:7], v[160:161]
	s_wait_loadcnt_dscnt 0x600
	v_mul_f64_e32 v[136:137], v[138:139], v[124:125]
	v_mul_f64_e32 v[124:125], v[140:141], v[124:125]
	v_add_f64_e32 v[10:11], v[156:157], v[154:155]
	v_add_f64_e32 v[134:135], v[142:143], v[178:179]
	v_fmac_f64_e32 v[170:171], v[6:7], v[158:159]
	v_fma_f64 v[142:143], v[4:5], v[158:159], -v[160:161]
	v_fmac_f64_e32 v[136:137], v[140:141], v[122:123]
	v_fma_f64 v[122:123], v[138:139], v[122:123], -v[124:125]
	v_add_f64_e32 v[154:155], v[10:11], v[8:9]
	v_add_f64_e32 v[134:135], v[134:135], v[144:145]
	ds_load_b128 v[4:7], v2 offset:1568
	ds_load_b128 v[8:11], v2 offset:1584
	;; [unrolled: 16-line block ×4, first 2 shown]
	s_wait_loadcnt_dscnt 0x101
	v_mul_f64_e32 v[2:3], v[4:5], v[152:153]
	v_mul_f64_e32 v[138:139], v[6:7], v[152:153]
	s_wait_loadcnt_dscnt 0x0
	v_mul_f64_e32 v[126:127], v[8:9], v[132:133]
	v_mul_f64_e32 v[128:129], v[10:11], v[132:133]
	v_add_f64_e32 v[124:125], v[140:141], v[134:135]
	v_add_f64_e32 v[12:13], v[12:13], v[136:137]
	v_fmac_f64_e32 v[2:3], v[6:7], v[150:151]
	v_fma_f64 v[4:5], v[4:5], v[150:151], -v[138:139]
	v_fmac_f64_e32 v[126:127], v[10:11], v[130:131]
	v_fma_f64 v[8:9], v[8:9], v[130:131], -v[128:129]
	v_add_f64_e32 v[6:7], v[124:125], v[122:123]
	v_add_f64_e32 v[12:13], v[12:13], v[14:15]
	s_delay_alu instid0(VALU_DEP_2) | instskip(NEXT) | instid1(VALU_DEP_2)
	v_add_f64_e32 v[4:5], v[6:7], v[4:5]
	v_add_f64_e32 v[2:3], v[12:13], v[2:3]
	s_delay_alu instid0(VALU_DEP_2) | instskip(NEXT) | instid1(VALU_DEP_2)
	;; [unrolled: 3-line block ×3, first 2 shown]
	v_add_f64_e64 v[2:3], v[162:163], -v[4:5]
	v_add_f64_e64 v[4:5], v[164:165], -v[6:7]
	scratch_store_b128 off, v[2:5], off offset:272
	s_wait_xcnt 0x0
	v_cmpx_lt_u32_e32 16, v1
	s_cbranch_execz .LBB51_293
; %bb.292:
	scratch_load_b128 v[2:5], off, s38
	v_mov_b32_e32 v6, 0
	s_delay_alu instid0(VALU_DEP_1)
	v_dual_mov_b32 v7, v6 :: v_dual_mov_b32 v8, v6
	v_mov_b32_e32 v9, v6
	scratch_store_b128 off, v[6:9], off offset:256
	s_wait_loadcnt 0x0
	ds_store_b128 v120, v[2:5]
.LBB51_293:
	s_wait_xcnt 0x0
	s_or_b32 exec_lo, exec_lo, s2
	s_wait_storecnt_dscnt 0x0
	s_barrier_signal -1
	s_barrier_wait -1
	s_clause 0x9
	scratch_load_b128 v[4:7], off, off offset:272
	scratch_load_b128 v[8:11], off, off offset:288
	;; [unrolled: 1-line block ×10, first 2 shown]
	v_mov_b32_e32 v2, 0
	s_mov_b32 s2, exec_lo
	ds_load_b128 v[150:153], v2 offset:1104
	s_clause 0x2
	scratch_load_b128 v[154:157], off, off offset:432
	scratch_load_b128 v[158:161], off, off offset:256
	;; [unrolled: 1-line block ×3, first 2 shown]
	s_wait_loadcnt_dscnt 0xc00
	v_mul_f64_e32 v[170:171], v[152:153], v[6:7]
	v_mul_f64_e32 v[174:175], v[150:151], v[6:7]
	ds_load_b128 v[162:165], v2 offset:1120
	v_fma_f64 v[178:179], v[150:151], v[4:5], -v[170:171]
	v_fmac_f64_e32 v[174:175], v[152:153], v[4:5]
	ds_load_b128 v[4:7], v2 offset:1136
	s_wait_loadcnt_dscnt 0xb01
	v_mul_f64_e32 v[176:177], v[162:163], v[10:11]
	v_mul_f64_e32 v[10:11], v[164:165], v[10:11]
	scratch_load_b128 v[150:153], off, off offset:464
	ds_load_b128 v[170:173], v2 offset:1152
	s_wait_loadcnt_dscnt 0xb01
	v_mul_f64_e32 v[180:181], v[4:5], v[14:15]
	v_mul_f64_e32 v[14:15], v[6:7], v[14:15]
	v_add_f64_e32 v[174:175], 0, v[174:175]
	v_fmac_f64_e32 v[176:177], v[164:165], v[8:9]
	v_fma_f64 v[162:163], v[162:163], v[8:9], -v[10:11]
	v_add_f64_e32 v[164:165], 0, v[178:179]
	scratch_load_b128 v[8:11], off, off offset:480
	v_fmac_f64_e32 v[180:181], v[6:7], v[12:13]
	v_fma_f64 v[182:183], v[4:5], v[12:13], -v[14:15]
	ds_load_b128 v[4:7], v2 offset:1168
	s_wait_loadcnt_dscnt 0xb01
	v_mul_f64_e32 v[178:179], v[170:171], v[124:125]
	v_mul_f64_e32 v[124:125], v[172:173], v[124:125]
	scratch_load_b128 v[12:15], off, off offset:496
	v_add_f64_e32 v[174:175], v[174:175], v[176:177]
	v_add_f64_e32 v[184:185], v[164:165], v[162:163]
	ds_load_b128 v[162:165], v2 offset:1184
	s_wait_loadcnt_dscnt 0xb01
	v_mul_f64_e32 v[176:177], v[4:5], v[128:129]
	v_mul_f64_e32 v[128:129], v[6:7], v[128:129]
	v_fmac_f64_e32 v[178:179], v[172:173], v[122:123]
	v_fma_f64 v[170:171], v[170:171], v[122:123], -v[124:125]
	scratch_load_b128 v[122:125], off, off offset:512
	v_add_f64_e32 v[174:175], v[174:175], v[180:181]
	v_add_f64_e32 v[172:173], v[184:185], v[182:183]
	v_fmac_f64_e32 v[176:177], v[6:7], v[126:127]
	v_fma_f64 v[182:183], v[4:5], v[126:127], -v[128:129]
	ds_load_b128 v[4:7], v2 offset:1200
	s_wait_loadcnt_dscnt 0xb01
	v_mul_f64_e32 v[180:181], v[162:163], v[132:133]
	v_mul_f64_e32 v[132:133], v[164:165], v[132:133]
	scratch_load_b128 v[126:129], off, off offset:528
	v_add_f64_e32 v[174:175], v[174:175], v[178:179]
	s_wait_loadcnt_dscnt 0xb00
	v_mul_f64_e32 v[178:179], v[4:5], v[136:137]
	v_add_f64_e32 v[184:185], v[172:173], v[170:171]
	v_mul_f64_e32 v[136:137], v[6:7], v[136:137]
	ds_load_b128 v[170:173], v2 offset:1216
	v_fmac_f64_e32 v[180:181], v[164:165], v[130:131]
	v_fma_f64 v[162:163], v[162:163], v[130:131], -v[132:133]
	scratch_load_b128 v[130:133], off, off offset:544
	v_add_f64_e32 v[174:175], v[174:175], v[176:177]
	v_fmac_f64_e32 v[178:179], v[6:7], v[134:135]
	v_add_f64_e32 v[164:165], v[184:185], v[182:183]
	v_fma_f64 v[182:183], v[4:5], v[134:135], -v[136:137]
	ds_load_b128 v[4:7], v2 offset:1232
	s_wait_loadcnt_dscnt 0xb01
	v_mul_f64_e32 v[176:177], v[170:171], v[140:141]
	v_mul_f64_e32 v[140:141], v[172:173], v[140:141]
	scratch_load_b128 v[134:137], off, off offset:560
	v_add_f64_e32 v[174:175], v[174:175], v[180:181]
	s_wait_loadcnt_dscnt 0xb00
	v_mul_f64_e32 v[180:181], v[4:5], v[144:145]
	v_add_f64_e32 v[184:185], v[164:165], v[162:163]
	v_mul_f64_e32 v[144:145], v[6:7], v[144:145]
	ds_load_b128 v[162:165], v2 offset:1248
	v_fmac_f64_e32 v[176:177], v[172:173], v[138:139]
	v_fma_f64 v[170:171], v[170:171], v[138:139], -v[140:141]
	scratch_load_b128 v[138:141], off, off offset:576
	v_add_f64_e32 v[174:175], v[174:175], v[178:179]
	v_fmac_f64_e32 v[180:181], v[6:7], v[142:143]
	v_add_f64_e32 v[172:173], v[184:185], v[182:183]
	;; [unrolled: 18-line block ×3, first 2 shown]
	v_fma_f64 v[182:183], v[4:5], v[154:155], -v[156:157]
	ds_load_b128 v[4:7], v2 offset:1296
	s_wait_loadcnt_dscnt 0xa01
	v_mul_f64_e32 v[180:181], v[170:171], v[168:169]
	v_mul_f64_e32 v[168:169], v[172:173], v[168:169]
	scratch_load_b128 v[154:157], off, off offset:624
	v_add_f64_e32 v[174:175], v[174:175], v[178:179]
	v_add_f64_e32 v[184:185], v[164:165], v[162:163]
	s_wait_loadcnt_dscnt 0xa00
	v_mul_f64_e32 v[178:179], v[4:5], v[152:153]
	v_mul_f64_e32 v[152:153], v[6:7], v[152:153]
	v_fmac_f64_e32 v[180:181], v[172:173], v[166:167]
	v_fma_f64 v[170:171], v[170:171], v[166:167], -v[168:169]
	ds_load_b128 v[162:165], v2 offset:1312
	scratch_load_b128 v[166:169], off, off offset:640
	v_add_f64_e32 v[174:175], v[174:175], v[176:177]
	v_add_f64_e32 v[172:173], v[184:185], v[182:183]
	v_fmac_f64_e32 v[178:179], v[6:7], v[150:151]
	v_fma_f64 v[182:183], v[4:5], v[150:151], -v[152:153]
	ds_load_b128 v[4:7], v2 offset:1328
	s_wait_loadcnt_dscnt 0xa01
	v_mul_f64_e32 v[176:177], v[162:163], v[10:11]
	v_mul_f64_e32 v[10:11], v[164:165], v[10:11]
	scratch_load_b128 v[150:153], off, off offset:656
	v_add_f64_e32 v[174:175], v[174:175], v[180:181]
	s_wait_loadcnt_dscnt 0xa00
	v_mul_f64_e32 v[180:181], v[4:5], v[14:15]
	v_add_f64_e32 v[184:185], v[172:173], v[170:171]
	v_mul_f64_e32 v[14:15], v[6:7], v[14:15]
	ds_load_b128 v[170:173], v2 offset:1344
	v_fmac_f64_e32 v[176:177], v[164:165], v[8:9]
	v_fma_f64 v[162:163], v[162:163], v[8:9], -v[10:11]
	scratch_load_b128 v[8:11], off, off offset:672
	v_add_f64_e32 v[174:175], v[174:175], v[178:179]
	v_fmac_f64_e32 v[180:181], v[6:7], v[12:13]
	v_add_f64_e32 v[164:165], v[184:185], v[182:183]
	v_fma_f64 v[182:183], v[4:5], v[12:13], -v[14:15]
	ds_load_b128 v[4:7], v2 offset:1360
	s_wait_loadcnt_dscnt 0xa01
	v_mul_f64_e32 v[178:179], v[170:171], v[124:125]
	v_mul_f64_e32 v[124:125], v[172:173], v[124:125]
	scratch_load_b128 v[12:15], off, off offset:688
	v_add_f64_e32 v[174:175], v[174:175], v[176:177]
	s_wait_loadcnt_dscnt 0xa00
	v_mul_f64_e32 v[176:177], v[4:5], v[128:129]
	v_add_f64_e32 v[184:185], v[164:165], v[162:163]
	v_mul_f64_e32 v[128:129], v[6:7], v[128:129]
	ds_load_b128 v[162:165], v2 offset:1376
	v_fmac_f64_e32 v[178:179], v[172:173], v[122:123]
	v_fma_f64 v[170:171], v[170:171], v[122:123], -v[124:125]
	scratch_load_b128 v[122:125], off, off offset:704
	v_add_f64_e32 v[174:175], v[174:175], v[180:181]
	v_fmac_f64_e32 v[176:177], v[6:7], v[126:127]
	v_add_f64_e32 v[172:173], v[184:185], v[182:183]
	;; [unrolled: 18-line block ×5, first 2 shown]
	v_fma_f64 v[182:183], v[4:5], v[154:155], -v[156:157]
	ds_load_b128 v[4:7], v2 offset:1488
	s_wait_loadcnt_dscnt 0xa01
	v_mul_f64_e32 v[180:181], v[170:171], v[168:169]
	v_mul_f64_e32 v[168:169], v[172:173], v[168:169]
	scratch_load_b128 v[154:157], off, off offset:816
	v_add_f64_e32 v[174:175], v[174:175], v[178:179]
	s_wait_loadcnt_dscnt 0xa00
	v_mul_f64_e32 v[178:179], v[4:5], v[152:153]
	v_add_f64_e32 v[184:185], v[164:165], v[162:163]
	v_mul_f64_e32 v[152:153], v[6:7], v[152:153]
	ds_load_b128 v[162:165], v2 offset:1504
	v_fmac_f64_e32 v[180:181], v[172:173], v[166:167]
	v_fma_f64 v[166:167], v[170:171], v[166:167], -v[168:169]
	s_wait_loadcnt_dscnt 0x900
	v_mul_f64_e32 v[172:173], v[162:163], v[10:11]
	v_mul_f64_e32 v[10:11], v[164:165], v[10:11]
	v_add_f64_e32 v[170:171], v[174:175], v[176:177]
	v_fmac_f64_e32 v[178:179], v[6:7], v[150:151]
	v_add_f64_e32 v[168:169], v[184:185], v[182:183]
	v_fma_f64 v[174:175], v[4:5], v[150:151], -v[152:153]
	ds_load_b128 v[4:7], v2 offset:1520
	ds_load_b128 v[150:153], v2 offset:1536
	v_fmac_f64_e32 v[172:173], v[164:165], v[8:9]
	v_fma_f64 v[8:9], v[162:163], v[8:9], -v[10:11]
	v_add_f64_e32 v[166:167], v[168:169], v[166:167]
	v_add_f64_e32 v[168:169], v[170:171], v[180:181]
	s_wait_loadcnt_dscnt 0x801
	v_mul_f64_e32 v[170:171], v[4:5], v[14:15]
	v_mul_f64_e32 v[14:15], v[6:7], v[14:15]
	s_wait_loadcnt_dscnt 0x700
	v_mul_f64_e32 v[164:165], v[150:151], v[124:125]
	v_mul_f64_e32 v[124:125], v[152:153], v[124:125]
	v_add_f64_e32 v[10:11], v[166:167], v[174:175]
	v_add_f64_e32 v[162:163], v[168:169], v[178:179]
	v_fmac_f64_e32 v[170:171], v[6:7], v[12:13]
	v_fma_f64 v[12:13], v[4:5], v[12:13], -v[14:15]
	v_fmac_f64_e32 v[164:165], v[152:153], v[122:123]
	v_fma_f64 v[122:123], v[150:151], v[122:123], -v[124:125]
	v_add_f64_e32 v[14:15], v[10:11], v[8:9]
	v_add_f64_e32 v[162:163], v[162:163], v[172:173]
	ds_load_b128 v[4:7], v2 offset:1552
	ds_load_b128 v[8:11], v2 offset:1568
	s_wait_loadcnt_dscnt 0x601
	v_mul_f64_e32 v[166:167], v[4:5], v[128:129]
	v_mul_f64_e32 v[128:129], v[6:7], v[128:129]
	s_wait_loadcnt_dscnt 0x500
	v_mul_f64_e32 v[124:125], v[8:9], v[132:133]
	v_mul_f64_e32 v[132:133], v[10:11], v[132:133]
	v_add_f64_e32 v[12:13], v[14:15], v[12:13]
	v_add_f64_e32 v[14:15], v[162:163], v[170:171]
	v_fmac_f64_e32 v[166:167], v[6:7], v[126:127]
	v_fma_f64 v[126:127], v[4:5], v[126:127], -v[128:129]
	v_fmac_f64_e32 v[124:125], v[10:11], v[130:131]
	v_fma_f64 v[8:9], v[8:9], v[130:131], -v[132:133]
	v_add_f64_e32 v[122:123], v[12:13], v[122:123]
	v_add_f64_e32 v[128:129], v[14:15], v[164:165]
	ds_load_b128 v[4:7], v2 offset:1584
	ds_load_b128 v[12:15], v2 offset:1600
	s_wait_loadcnt_dscnt 0x401
	v_mul_f64_e32 v[150:151], v[4:5], v[136:137]
	v_mul_f64_e32 v[136:137], v[6:7], v[136:137]
	v_add_f64_e32 v[10:11], v[122:123], v[126:127]
	v_add_f64_e32 v[122:123], v[128:129], v[166:167]
	s_wait_loadcnt_dscnt 0x300
	v_mul_f64_e32 v[126:127], v[12:13], v[140:141]
	v_mul_f64_e32 v[128:129], v[14:15], v[140:141]
	v_fmac_f64_e32 v[150:151], v[6:7], v[134:135]
	v_fma_f64 v[130:131], v[4:5], v[134:135], -v[136:137]
	v_add_f64_e32 v[132:133], v[10:11], v[8:9]
	v_add_f64_e32 v[122:123], v[122:123], v[124:125]
	ds_load_b128 v[4:7], v2 offset:1616
	ds_load_b128 v[8:11], v2 offset:1632
	v_fmac_f64_e32 v[126:127], v[14:15], v[138:139]
	v_fma_f64 v[12:13], v[12:13], v[138:139], -v[128:129]
	s_wait_loadcnt_dscnt 0x201
	v_mul_f64_e32 v[124:125], v[4:5], v[144:145]
	v_mul_f64_e32 v[134:135], v[6:7], v[144:145]
	s_wait_loadcnt_dscnt 0x100
	v_mul_f64_e32 v[128:129], v[8:9], v[148:149]
	v_add_f64_e32 v[14:15], v[132:133], v[130:131]
	v_add_f64_e32 v[122:123], v[122:123], v[150:151]
	v_mul_f64_e32 v[130:131], v[10:11], v[148:149]
	v_fmac_f64_e32 v[124:125], v[6:7], v[142:143]
	v_fma_f64 v[132:133], v[4:5], v[142:143], -v[134:135]
	ds_load_b128 v[4:7], v2 offset:1648
	v_fmac_f64_e32 v[128:129], v[10:11], v[146:147]
	v_add_f64_e32 v[12:13], v[14:15], v[12:13]
	v_add_f64_e32 v[14:15], v[122:123], v[126:127]
	v_fma_f64 v[8:9], v[8:9], v[146:147], -v[130:131]
	s_wait_loadcnt_dscnt 0x0
	v_mul_f64_e32 v[122:123], v[4:5], v[156:157]
	v_mul_f64_e32 v[126:127], v[6:7], v[156:157]
	v_add_f64_e32 v[10:11], v[12:13], v[132:133]
	v_add_f64_e32 v[12:13], v[14:15], v[124:125]
	s_delay_alu instid0(VALU_DEP_4) | instskip(NEXT) | instid1(VALU_DEP_4)
	v_fmac_f64_e32 v[122:123], v[6:7], v[154:155]
	v_fma_f64 v[4:5], v[4:5], v[154:155], -v[126:127]
	s_delay_alu instid0(VALU_DEP_4) | instskip(NEXT) | instid1(VALU_DEP_4)
	v_add_f64_e32 v[6:7], v[10:11], v[8:9]
	v_add_f64_e32 v[8:9], v[12:13], v[128:129]
	s_delay_alu instid0(VALU_DEP_2) | instskip(NEXT) | instid1(VALU_DEP_2)
	v_add_f64_e32 v[4:5], v[6:7], v[4:5]
	v_add_f64_e32 v[6:7], v[8:9], v[122:123]
	s_delay_alu instid0(VALU_DEP_2) | instskip(NEXT) | instid1(VALU_DEP_2)
	v_add_f64_e64 v[4:5], v[158:159], -v[4:5]
	v_add_f64_e64 v[6:7], v[160:161], -v[6:7]
	scratch_store_b128 off, v[4:7], off offset:256
	s_wait_xcnt 0x0
	v_cmpx_lt_u32_e32 15, v1
	s_cbranch_execz .LBB51_295
; %bb.294:
	scratch_load_b128 v[6:9], off, s58
	v_dual_mov_b32 v3, v2 :: v_dual_mov_b32 v4, v2
	v_mov_b32_e32 v5, v2
	scratch_store_b128 off, v[2:5], off offset:240
	s_wait_loadcnt 0x0
	ds_store_b128 v120, v[6:9]
.LBB51_295:
	s_wait_xcnt 0x0
	s_or_b32 exec_lo, exec_lo, s2
	s_wait_storecnt_dscnt 0x0
	s_barrier_signal -1
	s_barrier_wait -1
	s_clause 0x9
	scratch_load_b128 v[4:7], off, off offset:256
	scratch_load_b128 v[8:11], off, off offset:272
	;; [unrolled: 1-line block ×10, first 2 shown]
	ds_load_b128 v[150:153], v2 offset:1088
	ds_load_b128 v[158:161], v2 offset:1104
	s_clause 0x2
	scratch_load_b128 v[154:157], off, off offset:416
	scratch_load_b128 v[162:165], off, off offset:240
	;; [unrolled: 1-line block ×3, first 2 shown]
	s_mov_b32 s2, exec_lo
	s_wait_loadcnt_dscnt 0xc01
	v_mul_f64_e32 v[170:171], v[152:153], v[6:7]
	v_mul_f64_e32 v[174:175], v[150:151], v[6:7]
	s_wait_loadcnt_dscnt 0xb00
	v_mul_f64_e32 v[176:177], v[158:159], v[10:11]
	v_mul_f64_e32 v[10:11], v[160:161], v[10:11]
	s_delay_alu instid0(VALU_DEP_4) | instskip(NEXT) | instid1(VALU_DEP_4)
	v_fma_f64 v[178:179], v[150:151], v[4:5], -v[170:171]
	v_fmac_f64_e32 v[174:175], v[152:153], v[4:5]
	ds_load_b128 v[4:7], v2 offset:1120
	ds_load_b128 v[150:153], v2 offset:1136
	scratch_load_b128 v[170:173], off, off offset:448
	v_fmac_f64_e32 v[176:177], v[160:161], v[8:9]
	v_fma_f64 v[158:159], v[158:159], v[8:9], -v[10:11]
	scratch_load_b128 v[8:11], off, off offset:464
	s_wait_loadcnt_dscnt 0xc01
	v_mul_f64_e32 v[180:181], v[4:5], v[14:15]
	v_mul_f64_e32 v[14:15], v[6:7], v[14:15]
	v_add_f64_e32 v[160:161], 0, v[178:179]
	v_add_f64_e32 v[174:175], 0, v[174:175]
	s_wait_loadcnt_dscnt 0xb00
	v_mul_f64_e32 v[178:179], v[150:151], v[124:125]
	v_mul_f64_e32 v[124:125], v[152:153], v[124:125]
	v_fmac_f64_e32 v[180:181], v[6:7], v[12:13]
	v_fma_f64 v[182:183], v[4:5], v[12:13], -v[14:15]
	ds_load_b128 v[4:7], v2 offset:1152
	ds_load_b128 v[12:15], v2 offset:1168
	v_add_f64_e32 v[184:185], v[160:161], v[158:159]
	v_add_f64_e32 v[174:175], v[174:175], v[176:177]
	scratch_load_b128 v[158:161], off, off offset:480
	v_fmac_f64_e32 v[178:179], v[152:153], v[122:123]
	v_fma_f64 v[150:151], v[150:151], v[122:123], -v[124:125]
	scratch_load_b128 v[122:125], off, off offset:496
	s_wait_loadcnt_dscnt 0xc01
	v_mul_f64_e32 v[176:177], v[4:5], v[128:129]
	v_mul_f64_e32 v[128:129], v[6:7], v[128:129]
	v_add_f64_e32 v[152:153], v[184:185], v[182:183]
	v_add_f64_e32 v[174:175], v[174:175], v[180:181]
	s_wait_loadcnt_dscnt 0xb00
	v_mul_f64_e32 v[180:181], v[12:13], v[132:133]
	v_mul_f64_e32 v[132:133], v[14:15], v[132:133]
	v_fmac_f64_e32 v[176:177], v[6:7], v[126:127]
	v_fma_f64 v[182:183], v[4:5], v[126:127], -v[128:129]
	ds_load_b128 v[4:7], v2 offset:1184
	ds_load_b128 v[126:129], v2 offset:1200
	v_add_f64_e32 v[184:185], v[152:153], v[150:151]
	v_add_f64_e32 v[174:175], v[174:175], v[178:179]
	scratch_load_b128 v[150:153], off, off offset:512
	s_wait_loadcnt_dscnt 0xb01
	v_mul_f64_e32 v[178:179], v[4:5], v[136:137]
	v_mul_f64_e32 v[136:137], v[6:7], v[136:137]
	v_fmac_f64_e32 v[180:181], v[14:15], v[130:131]
	v_fma_f64 v[130:131], v[12:13], v[130:131], -v[132:133]
	scratch_load_b128 v[12:15], off, off offset:528
	v_add_f64_e32 v[132:133], v[184:185], v[182:183]
	v_add_f64_e32 v[174:175], v[174:175], v[176:177]
	s_wait_loadcnt_dscnt 0xb00
	v_mul_f64_e32 v[176:177], v[126:127], v[140:141]
	v_mul_f64_e32 v[140:141], v[128:129], v[140:141]
	v_fmac_f64_e32 v[178:179], v[6:7], v[134:135]
	v_fma_f64 v[182:183], v[4:5], v[134:135], -v[136:137]
	v_add_f64_e32 v[184:185], v[132:133], v[130:131]
	v_add_f64_e32 v[174:175], v[174:175], v[180:181]
	ds_load_b128 v[4:7], v2 offset:1216
	ds_load_b128 v[130:133], v2 offset:1232
	scratch_load_b128 v[134:137], off, off offset:544
	v_fmac_f64_e32 v[176:177], v[128:129], v[138:139]
	v_fma_f64 v[138:139], v[126:127], v[138:139], -v[140:141]
	scratch_load_b128 v[126:129], off, off offset:560
	s_wait_loadcnt_dscnt 0xc01
	v_mul_f64_e32 v[180:181], v[4:5], v[144:145]
	v_mul_f64_e32 v[144:145], v[6:7], v[144:145]
	v_add_f64_e32 v[140:141], v[184:185], v[182:183]
	v_add_f64_e32 v[174:175], v[174:175], v[178:179]
	s_wait_loadcnt_dscnt 0xb00
	v_mul_f64_e32 v[178:179], v[130:131], v[148:149]
	v_mul_f64_e32 v[148:149], v[132:133], v[148:149]
	v_fmac_f64_e32 v[180:181], v[6:7], v[142:143]
	v_fma_f64 v[182:183], v[4:5], v[142:143], -v[144:145]
	v_add_f64_e32 v[184:185], v[140:141], v[138:139]
	v_add_f64_e32 v[174:175], v[174:175], v[176:177]
	ds_load_b128 v[4:7], v2 offset:1248
	ds_load_b128 v[138:141], v2 offset:1264
	scratch_load_b128 v[142:145], off, off offset:576
	v_fmac_f64_e32 v[178:179], v[132:133], v[146:147]
	v_fma_f64 v[146:147], v[130:131], v[146:147], -v[148:149]
	scratch_load_b128 v[130:133], off, off offset:592
	s_wait_loadcnt_dscnt 0xc01
	v_mul_f64_e32 v[176:177], v[4:5], v[156:157]
	v_mul_f64_e32 v[156:157], v[6:7], v[156:157]
	;; [unrolled: 18-line block ×5, first 2 shown]
	v_add_f64_e32 v[168:169], v[184:185], v[182:183]
	v_add_f64_e32 v[174:175], v[174:175], v[180:181]
	s_wait_loadcnt_dscnt 0xa00
	v_mul_f64_e32 v[180:181], v[146:147], v[14:15]
	v_mul_f64_e32 v[14:15], v[148:149], v[14:15]
	v_fmac_f64_e32 v[176:177], v[6:7], v[150:151]
	v_fma_f64 v[182:183], v[4:5], v[150:151], -v[152:153]
	ds_load_b128 v[4:7], v2 offset:1376
	ds_load_b128 v[150:153], v2 offset:1392
	v_add_f64_e32 v[184:185], v[168:169], v[166:167]
	v_add_f64_e32 v[174:175], v[174:175], v[178:179]
	scratch_load_b128 v[166:169], off, off offset:704
	v_fmac_f64_e32 v[180:181], v[148:149], v[12:13]
	v_fma_f64 v[146:147], v[146:147], v[12:13], -v[14:15]
	scratch_load_b128 v[12:15], off, off offset:720
	s_wait_loadcnt_dscnt 0xb01
	v_mul_f64_e32 v[178:179], v[4:5], v[136:137]
	v_mul_f64_e32 v[136:137], v[6:7], v[136:137]
	v_add_f64_e32 v[148:149], v[184:185], v[182:183]
	v_add_f64_e32 v[174:175], v[174:175], v[176:177]
	s_wait_loadcnt_dscnt 0xa00
	v_mul_f64_e32 v[176:177], v[150:151], v[128:129]
	v_mul_f64_e32 v[128:129], v[152:153], v[128:129]
	v_fmac_f64_e32 v[178:179], v[6:7], v[134:135]
	v_fma_f64 v[182:183], v[4:5], v[134:135], -v[136:137]
	ds_load_b128 v[4:7], v2 offset:1408
	ds_load_b128 v[134:137], v2 offset:1424
	v_add_f64_e32 v[184:185], v[148:149], v[146:147]
	v_add_f64_e32 v[174:175], v[174:175], v[180:181]
	scratch_load_b128 v[146:149], off, off offset:736
	s_wait_loadcnt_dscnt 0xa01
	v_mul_f64_e32 v[180:181], v[4:5], v[144:145]
	v_mul_f64_e32 v[144:145], v[6:7], v[144:145]
	v_fmac_f64_e32 v[176:177], v[152:153], v[126:127]
	v_fma_f64 v[150:151], v[150:151], v[126:127], -v[128:129]
	scratch_load_b128 v[126:129], off, off offset:752
	v_add_f64_e32 v[152:153], v[184:185], v[182:183]
	v_add_f64_e32 v[174:175], v[174:175], v[178:179]
	s_wait_loadcnt_dscnt 0xa00
	v_mul_f64_e32 v[178:179], v[134:135], v[132:133]
	v_mul_f64_e32 v[132:133], v[136:137], v[132:133]
	v_fmac_f64_e32 v[180:181], v[6:7], v[142:143]
	v_fma_f64 v[182:183], v[4:5], v[142:143], -v[144:145]
	ds_load_b128 v[4:7], v2 offset:1440
	ds_load_b128 v[142:145], v2 offset:1456
	v_add_f64_e32 v[184:185], v[152:153], v[150:151]
	v_add_f64_e32 v[174:175], v[174:175], v[176:177]
	scratch_load_b128 v[150:153], off, off offset:768
	s_wait_loadcnt_dscnt 0xa01
	v_mul_f64_e32 v[176:177], v[4:5], v[156:157]
	v_mul_f64_e32 v[156:157], v[6:7], v[156:157]
	v_fmac_f64_e32 v[178:179], v[136:137], v[130:131]
	v_fma_f64 v[134:135], v[134:135], v[130:131], -v[132:133]
	scratch_load_b128 v[130:133], off, off offset:784
	v_add_f64_e32 v[136:137], v[184:185], v[182:183]
	v_add_f64_e32 v[174:175], v[174:175], v[180:181]
	s_wait_loadcnt_dscnt 0xa00
	v_mul_f64_e32 v[180:181], v[142:143], v[140:141]
	v_mul_f64_e32 v[140:141], v[144:145], v[140:141]
	v_fmac_f64_e32 v[176:177], v[6:7], v[154:155]
	v_fma_f64 v[182:183], v[4:5], v[154:155], -v[156:157]
	v_add_f64_e32 v[184:185], v[136:137], v[134:135]
	v_add_f64_e32 v[174:175], v[174:175], v[178:179]
	ds_load_b128 v[4:7], v2 offset:1472
	ds_load_b128 v[134:137], v2 offset:1488
	scratch_load_b128 v[154:157], off, off offset:800
	v_fmac_f64_e32 v[180:181], v[144:145], v[138:139]
	v_fma_f64 v[142:143], v[142:143], v[138:139], -v[140:141]
	scratch_load_b128 v[138:141], off, off offset:816
	s_wait_loadcnt_dscnt 0xb01
	v_mul_f64_e32 v[178:179], v[4:5], v[172:173]
	v_mul_f64_e32 v[172:173], v[6:7], v[172:173]
	v_add_f64_e32 v[144:145], v[184:185], v[182:183]
	v_add_f64_e32 v[174:175], v[174:175], v[176:177]
	s_wait_loadcnt_dscnt 0xa00
	v_mul_f64_e32 v[176:177], v[134:135], v[10:11]
	v_mul_f64_e32 v[10:11], v[136:137], v[10:11]
	v_fmac_f64_e32 v[178:179], v[6:7], v[170:171]
	v_fma_f64 v[170:171], v[4:5], v[170:171], -v[172:173]
	v_add_f64_e32 v[172:173], v[144:145], v[142:143]
	v_add_f64_e32 v[174:175], v[174:175], v[180:181]
	ds_load_b128 v[4:7], v2 offset:1504
	ds_load_b128 v[142:145], v2 offset:1520
	v_fmac_f64_e32 v[176:177], v[136:137], v[8:9]
	v_fma_f64 v[8:9], v[134:135], v[8:9], -v[10:11]
	s_wait_loadcnt_dscnt 0x901
	v_mul_f64_e32 v[180:181], v[4:5], v[160:161]
	v_mul_f64_e32 v[160:161], v[6:7], v[160:161]
	s_wait_loadcnt_dscnt 0x800
	v_mul_f64_e32 v[136:137], v[142:143], v[124:125]
	v_mul_f64_e32 v[124:125], v[144:145], v[124:125]
	v_add_f64_e32 v[10:11], v[172:173], v[170:171]
	v_add_f64_e32 v[134:135], v[174:175], v[178:179]
	v_fmac_f64_e32 v[180:181], v[6:7], v[158:159]
	v_fma_f64 v[158:159], v[4:5], v[158:159], -v[160:161]
	v_fmac_f64_e32 v[136:137], v[144:145], v[122:123]
	v_fma_f64 v[122:123], v[142:143], v[122:123], -v[124:125]
	v_add_f64_e32 v[160:161], v[10:11], v[8:9]
	v_add_f64_e32 v[134:135], v[134:135], v[176:177]
	ds_load_b128 v[4:7], v2 offset:1536
	ds_load_b128 v[8:11], v2 offset:1552
	s_wait_loadcnt_dscnt 0x701
	v_mul_f64_e32 v[170:171], v[4:5], v[168:169]
	v_mul_f64_e32 v[168:169], v[6:7], v[168:169]
	s_wait_loadcnt_dscnt 0x600
	v_mul_f64_e32 v[142:143], v[8:9], v[14:15]
	v_mul_f64_e32 v[14:15], v[10:11], v[14:15]
	v_add_f64_e32 v[124:125], v[160:161], v[158:159]
	v_add_f64_e32 v[134:135], v[134:135], v[180:181]
	v_fmac_f64_e32 v[170:171], v[6:7], v[166:167]
	v_fma_f64 v[144:145], v[4:5], v[166:167], -v[168:169]
	v_fmac_f64_e32 v[142:143], v[10:11], v[12:13]
	v_fma_f64 v[8:9], v[8:9], v[12:13], -v[14:15]
	v_add_f64_e32 v[158:159], v[124:125], v[122:123]
	v_add_f64_e32 v[134:135], v[134:135], v[136:137]
	ds_load_b128 v[4:7], v2 offset:1568
	ds_load_b128 v[122:125], v2 offset:1584
	;; [unrolled: 16-line block ×4, first 2 shown]
	s_wait_loadcnt_dscnt 0x101
	v_mul_f64_e32 v[2:3], v[4:5], v[156:157]
	v_mul_f64_e32 v[134:135], v[6:7], v[156:157]
	s_wait_loadcnt_dscnt 0x0
	v_mul_f64_e32 v[128:129], v[14:15], v[140:141]
	v_add_f64_e32 v[10:11], v[122:123], v[132:133]
	v_add_f64_e32 v[122:123], v[124:125], v[142:143]
	v_mul_f64_e32 v[124:125], v[12:13], v[140:141]
	v_fmac_f64_e32 v[2:3], v[6:7], v[154:155]
	v_fma_f64 v[4:5], v[4:5], v[154:155], -v[134:135]
	v_add_f64_e32 v[6:7], v[10:11], v[8:9]
	v_add_f64_e32 v[8:9], v[122:123], v[126:127]
	v_fmac_f64_e32 v[124:125], v[14:15], v[138:139]
	v_fma_f64 v[10:11], v[12:13], v[138:139], -v[128:129]
	s_delay_alu instid0(VALU_DEP_4) | instskip(NEXT) | instid1(VALU_DEP_4)
	v_add_f64_e32 v[4:5], v[6:7], v[4:5]
	v_add_f64_e32 v[2:3], v[8:9], v[2:3]
	s_delay_alu instid0(VALU_DEP_2) | instskip(NEXT) | instid1(VALU_DEP_2)
	v_add_f64_e32 v[4:5], v[4:5], v[10:11]
	v_add_f64_e32 v[6:7], v[2:3], v[124:125]
	s_delay_alu instid0(VALU_DEP_2) | instskip(NEXT) | instid1(VALU_DEP_2)
	v_add_f64_e64 v[2:3], v[162:163], -v[4:5]
	v_add_f64_e64 v[4:5], v[164:165], -v[6:7]
	scratch_store_b128 off, v[2:5], off offset:240
	s_wait_xcnt 0x0
	v_cmpx_lt_u32_e32 14, v1
	s_cbranch_execz .LBB51_297
; %bb.296:
	scratch_load_b128 v[2:5], off, s63
	v_mov_b32_e32 v6, 0
	s_delay_alu instid0(VALU_DEP_1)
	v_dual_mov_b32 v7, v6 :: v_dual_mov_b32 v8, v6
	v_mov_b32_e32 v9, v6
	scratch_store_b128 off, v[6:9], off offset:224
	s_wait_loadcnt 0x0
	ds_store_b128 v120, v[2:5]
.LBB51_297:
	s_wait_xcnt 0x0
	s_or_b32 exec_lo, exec_lo, s2
	s_wait_storecnt_dscnt 0x0
	s_barrier_signal -1
	s_barrier_wait -1
	s_clause 0x9
	scratch_load_b128 v[4:7], off, off offset:240
	scratch_load_b128 v[8:11], off, off offset:256
	;; [unrolled: 1-line block ×10, first 2 shown]
	v_mov_b32_e32 v2, 0
	s_mov_b32 s2, exec_lo
	ds_load_b128 v[150:153], v2 offset:1072
	s_clause 0x2
	scratch_load_b128 v[154:157], off, off offset:400
	scratch_load_b128 v[158:161], off, off offset:224
	scratch_load_b128 v[166:169], off, off offset:416
	s_wait_loadcnt_dscnt 0xc00
	v_mul_f64_e32 v[170:171], v[152:153], v[6:7]
	v_mul_f64_e32 v[174:175], v[150:151], v[6:7]
	ds_load_b128 v[162:165], v2 offset:1088
	v_fma_f64 v[178:179], v[150:151], v[4:5], -v[170:171]
	v_fmac_f64_e32 v[174:175], v[152:153], v[4:5]
	ds_load_b128 v[4:7], v2 offset:1104
	s_wait_loadcnt_dscnt 0xb01
	v_mul_f64_e32 v[176:177], v[162:163], v[10:11]
	v_mul_f64_e32 v[10:11], v[164:165], v[10:11]
	scratch_load_b128 v[150:153], off, off offset:432
	ds_load_b128 v[170:173], v2 offset:1120
	s_wait_loadcnt_dscnt 0xb01
	v_mul_f64_e32 v[180:181], v[4:5], v[14:15]
	v_mul_f64_e32 v[14:15], v[6:7], v[14:15]
	v_add_f64_e32 v[174:175], 0, v[174:175]
	v_fmac_f64_e32 v[176:177], v[164:165], v[8:9]
	v_fma_f64 v[162:163], v[162:163], v[8:9], -v[10:11]
	v_add_f64_e32 v[164:165], 0, v[178:179]
	scratch_load_b128 v[8:11], off, off offset:448
	v_fmac_f64_e32 v[180:181], v[6:7], v[12:13]
	v_fma_f64 v[182:183], v[4:5], v[12:13], -v[14:15]
	ds_load_b128 v[4:7], v2 offset:1136
	s_wait_loadcnt_dscnt 0xb01
	v_mul_f64_e32 v[178:179], v[170:171], v[124:125]
	v_mul_f64_e32 v[124:125], v[172:173], v[124:125]
	scratch_load_b128 v[12:15], off, off offset:464
	v_add_f64_e32 v[174:175], v[174:175], v[176:177]
	v_add_f64_e32 v[184:185], v[164:165], v[162:163]
	ds_load_b128 v[162:165], v2 offset:1152
	s_wait_loadcnt_dscnt 0xb01
	v_mul_f64_e32 v[176:177], v[4:5], v[128:129]
	v_mul_f64_e32 v[128:129], v[6:7], v[128:129]
	v_fmac_f64_e32 v[178:179], v[172:173], v[122:123]
	v_fma_f64 v[170:171], v[170:171], v[122:123], -v[124:125]
	scratch_load_b128 v[122:125], off, off offset:480
	v_add_f64_e32 v[174:175], v[174:175], v[180:181]
	v_add_f64_e32 v[172:173], v[184:185], v[182:183]
	v_fmac_f64_e32 v[176:177], v[6:7], v[126:127]
	v_fma_f64 v[182:183], v[4:5], v[126:127], -v[128:129]
	ds_load_b128 v[4:7], v2 offset:1168
	s_wait_loadcnt_dscnt 0xb01
	v_mul_f64_e32 v[180:181], v[162:163], v[132:133]
	v_mul_f64_e32 v[132:133], v[164:165], v[132:133]
	scratch_load_b128 v[126:129], off, off offset:496
	v_add_f64_e32 v[174:175], v[174:175], v[178:179]
	s_wait_loadcnt_dscnt 0xb00
	v_mul_f64_e32 v[178:179], v[4:5], v[136:137]
	v_add_f64_e32 v[184:185], v[172:173], v[170:171]
	v_mul_f64_e32 v[136:137], v[6:7], v[136:137]
	ds_load_b128 v[170:173], v2 offset:1184
	v_fmac_f64_e32 v[180:181], v[164:165], v[130:131]
	v_fma_f64 v[162:163], v[162:163], v[130:131], -v[132:133]
	scratch_load_b128 v[130:133], off, off offset:512
	v_add_f64_e32 v[174:175], v[174:175], v[176:177]
	v_fmac_f64_e32 v[178:179], v[6:7], v[134:135]
	v_add_f64_e32 v[164:165], v[184:185], v[182:183]
	v_fma_f64 v[182:183], v[4:5], v[134:135], -v[136:137]
	ds_load_b128 v[4:7], v2 offset:1200
	s_wait_loadcnt_dscnt 0xb01
	v_mul_f64_e32 v[176:177], v[170:171], v[140:141]
	v_mul_f64_e32 v[140:141], v[172:173], v[140:141]
	scratch_load_b128 v[134:137], off, off offset:528
	v_add_f64_e32 v[174:175], v[174:175], v[180:181]
	s_wait_loadcnt_dscnt 0xb00
	v_mul_f64_e32 v[180:181], v[4:5], v[144:145]
	v_add_f64_e32 v[184:185], v[164:165], v[162:163]
	v_mul_f64_e32 v[144:145], v[6:7], v[144:145]
	ds_load_b128 v[162:165], v2 offset:1216
	v_fmac_f64_e32 v[176:177], v[172:173], v[138:139]
	v_fma_f64 v[170:171], v[170:171], v[138:139], -v[140:141]
	scratch_load_b128 v[138:141], off, off offset:544
	v_add_f64_e32 v[174:175], v[174:175], v[178:179]
	v_fmac_f64_e32 v[180:181], v[6:7], v[142:143]
	v_add_f64_e32 v[172:173], v[184:185], v[182:183]
	;; [unrolled: 18-line block ×3, first 2 shown]
	v_fma_f64 v[182:183], v[4:5], v[154:155], -v[156:157]
	ds_load_b128 v[4:7], v2 offset:1264
	s_wait_loadcnt_dscnt 0xa01
	v_mul_f64_e32 v[180:181], v[170:171], v[168:169]
	v_mul_f64_e32 v[168:169], v[172:173], v[168:169]
	scratch_load_b128 v[154:157], off, off offset:592
	v_add_f64_e32 v[174:175], v[174:175], v[178:179]
	v_add_f64_e32 v[184:185], v[164:165], v[162:163]
	s_wait_loadcnt_dscnt 0xa00
	v_mul_f64_e32 v[178:179], v[4:5], v[152:153]
	v_mul_f64_e32 v[152:153], v[6:7], v[152:153]
	v_fmac_f64_e32 v[180:181], v[172:173], v[166:167]
	v_fma_f64 v[170:171], v[170:171], v[166:167], -v[168:169]
	ds_load_b128 v[162:165], v2 offset:1280
	scratch_load_b128 v[166:169], off, off offset:608
	v_add_f64_e32 v[174:175], v[174:175], v[176:177]
	v_add_f64_e32 v[172:173], v[184:185], v[182:183]
	v_fmac_f64_e32 v[178:179], v[6:7], v[150:151]
	v_fma_f64 v[182:183], v[4:5], v[150:151], -v[152:153]
	ds_load_b128 v[4:7], v2 offset:1296
	s_wait_loadcnt_dscnt 0xa01
	v_mul_f64_e32 v[176:177], v[162:163], v[10:11]
	v_mul_f64_e32 v[10:11], v[164:165], v[10:11]
	scratch_load_b128 v[150:153], off, off offset:624
	v_add_f64_e32 v[174:175], v[174:175], v[180:181]
	s_wait_loadcnt_dscnt 0xa00
	v_mul_f64_e32 v[180:181], v[4:5], v[14:15]
	v_add_f64_e32 v[184:185], v[172:173], v[170:171]
	v_mul_f64_e32 v[14:15], v[6:7], v[14:15]
	ds_load_b128 v[170:173], v2 offset:1312
	v_fmac_f64_e32 v[176:177], v[164:165], v[8:9]
	v_fma_f64 v[162:163], v[162:163], v[8:9], -v[10:11]
	scratch_load_b128 v[8:11], off, off offset:640
	v_add_f64_e32 v[174:175], v[174:175], v[178:179]
	v_fmac_f64_e32 v[180:181], v[6:7], v[12:13]
	v_add_f64_e32 v[164:165], v[184:185], v[182:183]
	v_fma_f64 v[182:183], v[4:5], v[12:13], -v[14:15]
	ds_load_b128 v[4:7], v2 offset:1328
	s_wait_loadcnt_dscnt 0xa01
	v_mul_f64_e32 v[178:179], v[170:171], v[124:125]
	v_mul_f64_e32 v[124:125], v[172:173], v[124:125]
	scratch_load_b128 v[12:15], off, off offset:656
	v_add_f64_e32 v[174:175], v[174:175], v[176:177]
	s_wait_loadcnt_dscnt 0xa00
	v_mul_f64_e32 v[176:177], v[4:5], v[128:129]
	v_add_f64_e32 v[184:185], v[164:165], v[162:163]
	v_mul_f64_e32 v[128:129], v[6:7], v[128:129]
	ds_load_b128 v[162:165], v2 offset:1344
	v_fmac_f64_e32 v[178:179], v[172:173], v[122:123]
	v_fma_f64 v[170:171], v[170:171], v[122:123], -v[124:125]
	scratch_load_b128 v[122:125], off, off offset:672
	v_add_f64_e32 v[174:175], v[174:175], v[180:181]
	v_fmac_f64_e32 v[176:177], v[6:7], v[126:127]
	v_add_f64_e32 v[172:173], v[184:185], v[182:183]
	;; [unrolled: 18-line block ×6, first 2 shown]
	v_fma_f64 v[182:183], v[4:5], v[150:151], -v[152:153]
	ds_load_b128 v[4:7], v2 offset:1488
	s_wait_loadcnt_dscnt 0xa01
	v_mul_f64_e32 v[176:177], v[162:163], v[10:11]
	v_mul_f64_e32 v[10:11], v[164:165], v[10:11]
	scratch_load_b128 v[150:153], off, off offset:816
	v_add_f64_e32 v[174:175], v[174:175], v[180:181]
	s_wait_loadcnt_dscnt 0xa00
	v_mul_f64_e32 v[180:181], v[4:5], v[14:15]
	v_add_f64_e32 v[184:185], v[172:173], v[170:171]
	v_mul_f64_e32 v[14:15], v[6:7], v[14:15]
	ds_load_b128 v[170:173], v2 offset:1504
	v_fmac_f64_e32 v[176:177], v[164:165], v[8:9]
	v_fma_f64 v[8:9], v[162:163], v[8:9], -v[10:11]
	s_wait_loadcnt_dscnt 0x900
	v_mul_f64_e32 v[164:165], v[170:171], v[124:125]
	v_mul_f64_e32 v[124:125], v[172:173], v[124:125]
	v_add_f64_e32 v[162:163], v[174:175], v[178:179]
	v_fmac_f64_e32 v[180:181], v[6:7], v[12:13]
	v_add_f64_e32 v[10:11], v[184:185], v[182:183]
	v_fma_f64 v[12:13], v[4:5], v[12:13], -v[14:15]
	v_fmac_f64_e32 v[164:165], v[172:173], v[122:123]
	v_fma_f64 v[122:123], v[170:171], v[122:123], -v[124:125]
	v_add_f64_e32 v[162:163], v[162:163], v[176:177]
	v_add_f64_e32 v[14:15], v[10:11], v[8:9]
	ds_load_b128 v[4:7], v2 offset:1520
	ds_load_b128 v[8:11], v2 offset:1536
	s_wait_loadcnt_dscnt 0x801
	v_mul_f64_e32 v[174:175], v[4:5], v[128:129]
	v_mul_f64_e32 v[128:129], v[6:7], v[128:129]
	s_wait_loadcnt_dscnt 0x700
	v_mul_f64_e32 v[124:125], v[8:9], v[132:133]
	v_mul_f64_e32 v[132:133], v[10:11], v[132:133]
	v_add_f64_e32 v[12:13], v[14:15], v[12:13]
	v_add_f64_e32 v[14:15], v[162:163], v[180:181]
	v_fmac_f64_e32 v[174:175], v[6:7], v[126:127]
	v_fma_f64 v[126:127], v[4:5], v[126:127], -v[128:129]
	v_fmac_f64_e32 v[124:125], v[10:11], v[130:131]
	v_fma_f64 v[8:9], v[8:9], v[130:131], -v[132:133]
	v_add_f64_e32 v[122:123], v[12:13], v[122:123]
	v_add_f64_e32 v[128:129], v[14:15], v[164:165]
	ds_load_b128 v[4:7], v2 offset:1552
	ds_load_b128 v[12:15], v2 offset:1568
	s_wait_loadcnt_dscnt 0x601
	v_mul_f64_e32 v[162:163], v[4:5], v[136:137]
	v_mul_f64_e32 v[136:137], v[6:7], v[136:137]
	v_add_f64_e32 v[10:11], v[122:123], v[126:127]
	v_add_f64_e32 v[122:123], v[128:129], v[174:175]
	s_wait_loadcnt_dscnt 0x500
	v_mul_f64_e32 v[126:127], v[12:13], v[140:141]
	v_mul_f64_e32 v[128:129], v[14:15], v[140:141]
	v_fmac_f64_e32 v[162:163], v[6:7], v[134:135]
	v_fma_f64 v[130:131], v[4:5], v[134:135], -v[136:137]
	v_add_f64_e32 v[132:133], v[10:11], v[8:9]
	v_add_f64_e32 v[122:123], v[122:123], v[124:125]
	ds_load_b128 v[4:7], v2 offset:1584
	ds_load_b128 v[8:11], v2 offset:1600
	v_fmac_f64_e32 v[126:127], v[14:15], v[138:139]
	v_fma_f64 v[12:13], v[12:13], v[138:139], -v[128:129]
	s_wait_loadcnt_dscnt 0x401
	v_mul_f64_e32 v[124:125], v[4:5], v[144:145]
	v_mul_f64_e32 v[134:135], v[6:7], v[144:145]
	s_wait_loadcnt_dscnt 0x300
	v_mul_f64_e32 v[128:129], v[8:9], v[148:149]
	v_add_f64_e32 v[14:15], v[132:133], v[130:131]
	v_add_f64_e32 v[122:123], v[122:123], v[162:163]
	v_mul_f64_e32 v[130:131], v[10:11], v[148:149]
	v_fmac_f64_e32 v[124:125], v[6:7], v[142:143]
	v_fma_f64 v[132:133], v[4:5], v[142:143], -v[134:135]
	v_fmac_f64_e32 v[128:129], v[10:11], v[146:147]
	v_add_f64_e32 v[134:135], v[14:15], v[12:13]
	v_add_f64_e32 v[122:123], v[122:123], v[126:127]
	ds_load_b128 v[4:7], v2 offset:1616
	ds_load_b128 v[12:15], v2 offset:1632
	v_fma_f64 v[8:9], v[8:9], v[146:147], -v[130:131]
	s_wait_loadcnt_dscnt 0x201
	v_mul_f64_e32 v[126:127], v[4:5], v[156:157]
	v_mul_f64_e32 v[136:137], v[6:7], v[156:157]
	s_wait_loadcnt_dscnt 0x100
	v_mul_f64_e32 v[130:131], v[14:15], v[168:169]
	v_add_f64_e32 v[10:11], v[134:135], v[132:133]
	v_add_f64_e32 v[122:123], v[122:123], v[124:125]
	v_mul_f64_e32 v[124:125], v[12:13], v[168:169]
	v_fmac_f64_e32 v[126:127], v[6:7], v[154:155]
	v_fma_f64 v[132:133], v[4:5], v[154:155], -v[136:137]
	ds_load_b128 v[4:7], v2 offset:1648
	v_fma_f64 v[12:13], v[12:13], v[166:167], -v[130:131]
	v_add_f64_e32 v[8:9], v[10:11], v[8:9]
	v_add_f64_e32 v[10:11], v[122:123], v[128:129]
	v_fmac_f64_e32 v[124:125], v[14:15], v[166:167]
	s_wait_loadcnt_dscnt 0x0
	v_mul_f64_e32 v[122:123], v[4:5], v[152:153]
	v_mul_f64_e32 v[128:129], v[6:7], v[152:153]
	v_add_f64_e32 v[8:9], v[8:9], v[132:133]
	v_add_f64_e32 v[10:11], v[10:11], v[126:127]
	s_delay_alu instid0(VALU_DEP_4) | instskip(NEXT) | instid1(VALU_DEP_4)
	v_fmac_f64_e32 v[122:123], v[6:7], v[150:151]
	v_fma_f64 v[4:5], v[4:5], v[150:151], -v[128:129]
	s_delay_alu instid0(VALU_DEP_4) | instskip(NEXT) | instid1(VALU_DEP_4)
	v_add_f64_e32 v[6:7], v[8:9], v[12:13]
	v_add_f64_e32 v[8:9], v[10:11], v[124:125]
	s_delay_alu instid0(VALU_DEP_2) | instskip(NEXT) | instid1(VALU_DEP_2)
	v_add_f64_e32 v[4:5], v[6:7], v[4:5]
	v_add_f64_e32 v[6:7], v[8:9], v[122:123]
	s_delay_alu instid0(VALU_DEP_2) | instskip(NEXT) | instid1(VALU_DEP_2)
	v_add_f64_e64 v[4:5], v[158:159], -v[4:5]
	v_add_f64_e64 v[6:7], v[160:161], -v[6:7]
	scratch_store_b128 off, v[4:7], off offset:224
	s_wait_xcnt 0x0
	v_cmpx_lt_u32_e32 13, v1
	s_cbranch_execz .LBB51_299
; %bb.298:
	scratch_load_b128 v[6:9], off, s62
	v_dual_mov_b32 v3, v2 :: v_dual_mov_b32 v4, v2
	v_mov_b32_e32 v5, v2
	scratch_store_b128 off, v[2:5], off offset:208
	s_wait_loadcnt 0x0
	ds_store_b128 v120, v[6:9]
.LBB51_299:
	s_wait_xcnt 0x0
	s_or_b32 exec_lo, exec_lo, s2
	s_wait_storecnt_dscnt 0x0
	s_barrier_signal -1
	s_barrier_wait -1
	s_clause 0x9
	scratch_load_b128 v[4:7], off, off offset:224
	scratch_load_b128 v[8:11], off, off offset:240
	;; [unrolled: 1-line block ×10, first 2 shown]
	ds_load_b128 v[150:153], v2 offset:1056
	ds_load_b128 v[158:161], v2 offset:1072
	s_clause 0x2
	scratch_load_b128 v[154:157], off, off offset:384
	scratch_load_b128 v[162:165], off, off offset:208
	;; [unrolled: 1-line block ×3, first 2 shown]
	s_mov_b32 s2, exec_lo
	s_wait_loadcnt_dscnt 0xc01
	v_mul_f64_e32 v[170:171], v[152:153], v[6:7]
	v_mul_f64_e32 v[174:175], v[150:151], v[6:7]
	s_wait_loadcnt_dscnt 0xb00
	v_mul_f64_e32 v[176:177], v[158:159], v[10:11]
	v_mul_f64_e32 v[10:11], v[160:161], v[10:11]
	s_delay_alu instid0(VALU_DEP_4) | instskip(NEXT) | instid1(VALU_DEP_4)
	v_fma_f64 v[178:179], v[150:151], v[4:5], -v[170:171]
	v_fmac_f64_e32 v[174:175], v[152:153], v[4:5]
	ds_load_b128 v[4:7], v2 offset:1088
	ds_load_b128 v[150:153], v2 offset:1104
	scratch_load_b128 v[170:173], off, off offset:416
	v_fmac_f64_e32 v[176:177], v[160:161], v[8:9]
	v_fma_f64 v[158:159], v[158:159], v[8:9], -v[10:11]
	scratch_load_b128 v[8:11], off, off offset:432
	s_wait_loadcnt_dscnt 0xc01
	v_mul_f64_e32 v[180:181], v[4:5], v[14:15]
	v_mul_f64_e32 v[14:15], v[6:7], v[14:15]
	v_add_f64_e32 v[160:161], 0, v[178:179]
	v_add_f64_e32 v[174:175], 0, v[174:175]
	s_wait_loadcnt_dscnt 0xb00
	v_mul_f64_e32 v[178:179], v[150:151], v[124:125]
	v_mul_f64_e32 v[124:125], v[152:153], v[124:125]
	v_fmac_f64_e32 v[180:181], v[6:7], v[12:13]
	v_fma_f64 v[182:183], v[4:5], v[12:13], -v[14:15]
	ds_load_b128 v[4:7], v2 offset:1120
	ds_load_b128 v[12:15], v2 offset:1136
	v_add_f64_e32 v[184:185], v[160:161], v[158:159]
	v_add_f64_e32 v[174:175], v[174:175], v[176:177]
	scratch_load_b128 v[158:161], off, off offset:448
	v_fmac_f64_e32 v[178:179], v[152:153], v[122:123]
	v_fma_f64 v[150:151], v[150:151], v[122:123], -v[124:125]
	scratch_load_b128 v[122:125], off, off offset:464
	s_wait_loadcnt_dscnt 0xc01
	v_mul_f64_e32 v[176:177], v[4:5], v[128:129]
	v_mul_f64_e32 v[128:129], v[6:7], v[128:129]
	v_add_f64_e32 v[152:153], v[184:185], v[182:183]
	v_add_f64_e32 v[174:175], v[174:175], v[180:181]
	s_wait_loadcnt_dscnt 0xb00
	v_mul_f64_e32 v[180:181], v[12:13], v[132:133]
	v_mul_f64_e32 v[132:133], v[14:15], v[132:133]
	v_fmac_f64_e32 v[176:177], v[6:7], v[126:127]
	v_fma_f64 v[182:183], v[4:5], v[126:127], -v[128:129]
	ds_load_b128 v[4:7], v2 offset:1152
	ds_load_b128 v[126:129], v2 offset:1168
	v_add_f64_e32 v[184:185], v[152:153], v[150:151]
	v_add_f64_e32 v[174:175], v[174:175], v[178:179]
	scratch_load_b128 v[150:153], off, off offset:480
	s_wait_loadcnt_dscnt 0xb01
	v_mul_f64_e32 v[178:179], v[4:5], v[136:137]
	v_mul_f64_e32 v[136:137], v[6:7], v[136:137]
	v_fmac_f64_e32 v[180:181], v[14:15], v[130:131]
	v_fma_f64 v[130:131], v[12:13], v[130:131], -v[132:133]
	scratch_load_b128 v[12:15], off, off offset:496
	v_add_f64_e32 v[132:133], v[184:185], v[182:183]
	v_add_f64_e32 v[174:175], v[174:175], v[176:177]
	s_wait_loadcnt_dscnt 0xb00
	v_mul_f64_e32 v[176:177], v[126:127], v[140:141]
	v_mul_f64_e32 v[140:141], v[128:129], v[140:141]
	v_fmac_f64_e32 v[178:179], v[6:7], v[134:135]
	v_fma_f64 v[182:183], v[4:5], v[134:135], -v[136:137]
	v_add_f64_e32 v[184:185], v[132:133], v[130:131]
	v_add_f64_e32 v[174:175], v[174:175], v[180:181]
	ds_load_b128 v[4:7], v2 offset:1184
	ds_load_b128 v[130:133], v2 offset:1200
	scratch_load_b128 v[134:137], off, off offset:512
	v_fmac_f64_e32 v[176:177], v[128:129], v[138:139]
	v_fma_f64 v[138:139], v[126:127], v[138:139], -v[140:141]
	scratch_load_b128 v[126:129], off, off offset:528
	s_wait_loadcnt_dscnt 0xc01
	v_mul_f64_e32 v[180:181], v[4:5], v[144:145]
	v_mul_f64_e32 v[144:145], v[6:7], v[144:145]
	v_add_f64_e32 v[140:141], v[184:185], v[182:183]
	v_add_f64_e32 v[174:175], v[174:175], v[178:179]
	s_wait_loadcnt_dscnt 0xb00
	v_mul_f64_e32 v[178:179], v[130:131], v[148:149]
	v_mul_f64_e32 v[148:149], v[132:133], v[148:149]
	v_fmac_f64_e32 v[180:181], v[6:7], v[142:143]
	v_fma_f64 v[182:183], v[4:5], v[142:143], -v[144:145]
	v_add_f64_e32 v[184:185], v[140:141], v[138:139]
	v_add_f64_e32 v[174:175], v[174:175], v[176:177]
	ds_load_b128 v[4:7], v2 offset:1216
	ds_load_b128 v[138:141], v2 offset:1232
	scratch_load_b128 v[142:145], off, off offset:544
	v_fmac_f64_e32 v[178:179], v[132:133], v[146:147]
	v_fma_f64 v[146:147], v[130:131], v[146:147], -v[148:149]
	scratch_load_b128 v[130:133], off, off offset:560
	s_wait_loadcnt_dscnt 0xc01
	v_mul_f64_e32 v[176:177], v[4:5], v[156:157]
	v_mul_f64_e32 v[156:157], v[6:7], v[156:157]
	;; [unrolled: 18-line block ×5, first 2 shown]
	v_add_f64_e32 v[168:169], v[184:185], v[182:183]
	v_add_f64_e32 v[174:175], v[174:175], v[180:181]
	s_wait_loadcnt_dscnt 0xa00
	v_mul_f64_e32 v[180:181], v[146:147], v[14:15]
	v_mul_f64_e32 v[14:15], v[148:149], v[14:15]
	v_fmac_f64_e32 v[176:177], v[6:7], v[150:151]
	v_fma_f64 v[182:183], v[4:5], v[150:151], -v[152:153]
	ds_load_b128 v[4:7], v2 offset:1344
	ds_load_b128 v[150:153], v2 offset:1360
	v_add_f64_e32 v[184:185], v[168:169], v[166:167]
	v_add_f64_e32 v[174:175], v[174:175], v[178:179]
	scratch_load_b128 v[166:169], off, off offset:672
	v_fmac_f64_e32 v[180:181], v[148:149], v[12:13]
	v_fma_f64 v[146:147], v[146:147], v[12:13], -v[14:15]
	scratch_load_b128 v[12:15], off, off offset:688
	s_wait_loadcnt_dscnt 0xb01
	v_mul_f64_e32 v[178:179], v[4:5], v[136:137]
	v_mul_f64_e32 v[136:137], v[6:7], v[136:137]
	v_add_f64_e32 v[148:149], v[184:185], v[182:183]
	v_add_f64_e32 v[174:175], v[174:175], v[176:177]
	s_wait_loadcnt_dscnt 0xa00
	v_mul_f64_e32 v[176:177], v[150:151], v[128:129]
	v_mul_f64_e32 v[128:129], v[152:153], v[128:129]
	v_fmac_f64_e32 v[178:179], v[6:7], v[134:135]
	v_fma_f64 v[182:183], v[4:5], v[134:135], -v[136:137]
	ds_load_b128 v[4:7], v2 offset:1376
	ds_load_b128 v[134:137], v2 offset:1392
	v_add_f64_e32 v[184:185], v[148:149], v[146:147]
	v_add_f64_e32 v[174:175], v[174:175], v[180:181]
	scratch_load_b128 v[146:149], off, off offset:704
	s_wait_loadcnt_dscnt 0xa01
	v_mul_f64_e32 v[180:181], v[4:5], v[144:145]
	v_mul_f64_e32 v[144:145], v[6:7], v[144:145]
	v_fmac_f64_e32 v[176:177], v[152:153], v[126:127]
	v_fma_f64 v[150:151], v[150:151], v[126:127], -v[128:129]
	scratch_load_b128 v[126:129], off, off offset:720
	v_add_f64_e32 v[152:153], v[184:185], v[182:183]
	v_add_f64_e32 v[174:175], v[174:175], v[178:179]
	s_wait_loadcnt_dscnt 0xa00
	v_mul_f64_e32 v[178:179], v[134:135], v[132:133]
	v_mul_f64_e32 v[132:133], v[136:137], v[132:133]
	v_fmac_f64_e32 v[180:181], v[6:7], v[142:143]
	v_fma_f64 v[182:183], v[4:5], v[142:143], -v[144:145]
	ds_load_b128 v[4:7], v2 offset:1408
	ds_load_b128 v[142:145], v2 offset:1424
	v_add_f64_e32 v[184:185], v[152:153], v[150:151]
	v_add_f64_e32 v[174:175], v[174:175], v[176:177]
	scratch_load_b128 v[150:153], off, off offset:736
	s_wait_loadcnt_dscnt 0xa01
	v_mul_f64_e32 v[176:177], v[4:5], v[156:157]
	v_mul_f64_e32 v[156:157], v[6:7], v[156:157]
	v_fmac_f64_e32 v[178:179], v[136:137], v[130:131]
	v_fma_f64 v[134:135], v[134:135], v[130:131], -v[132:133]
	scratch_load_b128 v[130:133], off, off offset:752
	v_add_f64_e32 v[136:137], v[184:185], v[182:183]
	v_add_f64_e32 v[174:175], v[174:175], v[180:181]
	s_wait_loadcnt_dscnt 0xa00
	v_mul_f64_e32 v[180:181], v[142:143], v[140:141]
	v_mul_f64_e32 v[140:141], v[144:145], v[140:141]
	v_fmac_f64_e32 v[176:177], v[6:7], v[154:155]
	v_fma_f64 v[182:183], v[4:5], v[154:155], -v[156:157]
	v_add_f64_e32 v[184:185], v[136:137], v[134:135]
	v_add_f64_e32 v[174:175], v[174:175], v[178:179]
	ds_load_b128 v[4:7], v2 offset:1440
	ds_load_b128 v[134:137], v2 offset:1456
	scratch_load_b128 v[154:157], off, off offset:768
	v_fmac_f64_e32 v[180:181], v[144:145], v[138:139]
	v_fma_f64 v[142:143], v[142:143], v[138:139], -v[140:141]
	scratch_load_b128 v[138:141], off, off offset:784
	s_wait_loadcnt_dscnt 0xb01
	v_mul_f64_e32 v[178:179], v[4:5], v[172:173]
	v_mul_f64_e32 v[172:173], v[6:7], v[172:173]
	v_add_f64_e32 v[144:145], v[184:185], v[182:183]
	v_add_f64_e32 v[174:175], v[174:175], v[176:177]
	s_wait_loadcnt_dscnt 0xa00
	v_mul_f64_e32 v[176:177], v[134:135], v[10:11]
	v_mul_f64_e32 v[10:11], v[136:137], v[10:11]
	v_fmac_f64_e32 v[178:179], v[6:7], v[170:171]
	v_fma_f64 v[182:183], v[4:5], v[170:171], -v[172:173]
	v_add_f64_e32 v[184:185], v[144:145], v[142:143]
	v_add_f64_e32 v[174:175], v[174:175], v[180:181]
	ds_load_b128 v[4:7], v2 offset:1472
	ds_load_b128 v[142:145], v2 offset:1488
	scratch_load_b128 v[170:173], off, off offset:800
	v_fmac_f64_e32 v[176:177], v[136:137], v[8:9]
	v_fma_f64 v[134:135], v[134:135], v[8:9], -v[10:11]
	scratch_load_b128 v[8:11], off, off offset:816
	s_wait_loadcnt_dscnt 0xb01
	v_mul_f64_e32 v[180:181], v[4:5], v[160:161]
	v_mul_f64_e32 v[160:161], v[6:7], v[160:161]
	v_add_f64_e32 v[136:137], v[184:185], v[182:183]
	v_add_f64_e32 v[174:175], v[174:175], v[178:179]
	s_wait_loadcnt_dscnt 0xa00
	v_mul_f64_e32 v[178:179], v[142:143], v[124:125]
	v_mul_f64_e32 v[124:125], v[144:145], v[124:125]
	v_fmac_f64_e32 v[180:181], v[6:7], v[158:159]
	v_fma_f64 v[158:159], v[4:5], v[158:159], -v[160:161]
	v_add_f64_e32 v[160:161], v[136:137], v[134:135]
	v_add_f64_e32 v[174:175], v[174:175], v[176:177]
	ds_load_b128 v[4:7], v2 offset:1504
	ds_load_b128 v[134:137], v2 offset:1520
	v_fmac_f64_e32 v[178:179], v[144:145], v[122:123]
	v_fma_f64 v[122:123], v[142:143], v[122:123], -v[124:125]
	s_wait_loadcnt_dscnt 0x901
	v_mul_f64_e32 v[176:177], v[4:5], v[168:169]
	v_mul_f64_e32 v[168:169], v[6:7], v[168:169]
	s_wait_loadcnt_dscnt 0x800
	v_mul_f64_e32 v[144:145], v[134:135], v[14:15]
	v_mul_f64_e32 v[14:15], v[136:137], v[14:15]
	v_add_f64_e32 v[124:125], v[160:161], v[158:159]
	v_add_f64_e32 v[142:143], v[174:175], v[180:181]
	v_fmac_f64_e32 v[176:177], v[6:7], v[166:167]
	v_fma_f64 v[158:159], v[4:5], v[166:167], -v[168:169]
	v_fmac_f64_e32 v[144:145], v[136:137], v[12:13]
	v_fma_f64 v[12:13], v[134:135], v[12:13], -v[14:15]
	v_add_f64_e32 v[160:161], v[124:125], v[122:123]
	v_add_f64_e32 v[142:143], v[142:143], v[178:179]
	ds_load_b128 v[4:7], v2 offset:1536
	ds_load_b128 v[122:125], v2 offset:1552
	s_wait_loadcnt_dscnt 0x701
	v_mul_f64_e32 v[166:167], v[4:5], v[148:149]
	v_mul_f64_e32 v[148:149], v[6:7], v[148:149]
	s_wait_loadcnt_dscnt 0x600
	v_mul_f64_e32 v[136:137], v[122:123], v[128:129]
	v_mul_f64_e32 v[128:129], v[124:125], v[128:129]
	v_add_f64_e32 v[14:15], v[160:161], v[158:159]
	v_add_f64_e32 v[134:135], v[142:143], v[176:177]
	v_fmac_f64_e32 v[166:167], v[6:7], v[146:147]
	v_fma_f64 v[142:143], v[4:5], v[146:147], -v[148:149]
	v_fmac_f64_e32 v[136:137], v[124:125], v[126:127]
	v_fma_f64 v[122:123], v[122:123], v[126:127], -v[128:129]
	v_add_f64_e32 v[146:147], v[14:15], v[12:13]
	v_add_f64_e32 v[134:135], v[134:135], v[144:145]
	ds_load_b128 v[4:7], v2 offset:1568
	ds_load_b128 v[12:15], v2 offset:1584
	;; [unrolled: 16-line block ×4, first 2 shown]
	s_wait_loadcnt_dscnt 0x101
	v_mul_f64_e32 v[2:3], v[4:5], v[172:173]
	v_mul_f64_e32 v[128:129], v[6:7], v[172:173]
	s_wait_loadcnt_dscnt 0x0
	v_mul_f64_e32 v[132:133], v[12:13], v[10:11]
	v_mul_f64_e32 v[10:11], v[14:15], v[10:11]
	v_add_f64_e32 v[124:125], v[140:141], v[134:135]
	v_add_f64_e32 v[126:127], v[126:127], v[136:137]
	v_fmac_f64_e32 v[2:3], v[6:7], v[170:171]
	v_fma_f64 v[4:5], v[4:5], v[170:171], -v[128:129]
	v_fmac_f64_e32 v[132:133], v[14:15], v[8:9]
	v_fma_f64 v[8:9], v[12:13], v[8:9], -v[10:11]
	v_add_f64_e32 v[6:7], v[124:125], v[122:123]
	v_add_f64_e32 v[122:123], v[126:127], v[130:131]
	s_delay_alu instid0(VALU_DEP_2) | instskip(NEXT) | instid1(VALU_DEP_2)
	v_add_f64_e32 v[4:5], v[6:7], v[4:5]
	v_add_f64_e32 v[2:3], v[122:123], v[2:3]
	s_delay_alu instid0(VALU_DEP_2) | instskip(NEXT) | instid1(VALU_DEP_2)
	;; [unrolled: 3-line block ×3, first 2 shown]
	v_add_f64_e64 v[2:3], v[162:163], -v[4:5]
	v_add_f64_e64 v[4:5], v[164:165], -v[6:7]
	scratch_store_b128 off, v[2:5], off offset:208
	s_wait_xcnt 0x0
	v_cmpx_lt_u32_e32 12, v1
	s_cbranch_execz .LBB51_301
; %bb.300:
	scratch_load_b128 v[2:5], off, s61
	v_mov_b32_e32 v6, 0
	s_delay_alu instid0(VALU_DEP_1)
	v_dual_mov_b32 v7, v6 :: v_dual_mov_b32 v8, v6
	v_mov_b32_e32 v9, v6
	scratch_store_b128 off, v[6:9], off offset:192
	s_wait_loadcnt 0x0
	ds_store_b128 v120, v[2:5]
.LBB51_301:
	s_wait_xcnt 0x0
	s_or_b32 exec_lo, exec_lo, s2
	s_wait_storecnt_dscnt 0x0
	s_barrier_signal -1
	s_barrier_wait -1
	s_clause 0x9
	scratch_load_b128 v[4:7], off, off offset:208
	scratch_load_b128 v[8:11], off, off offset:224
	;; [unrolled: 1-line block ×10, first 2 shown]
	v_mov_b32_e32 v2, 0
	s_mov_b32 s2, exec_lo
	ds_load_b128 v[150:153], v2 offset:1040
	s_clause 0x2
	scratch_load_b128 v[154:157], off, off offset:368
	scratch_load_b128 v[158:161], off, off offset:192
	;; [unrolled: 1-line block ×3, first 2 shown]
	s_wait_loadcnt_dscnt 0xc00
	v_mul_f64_e32 v[170:171], v[152:153], v[6:7]
	v_mul_f64_e32 v[174:175], v[150:151], v[6:7]
	ds_load_b128 v[162:165], v2 offset:1056
	v_fma_f64 v[178:179], v[150:151], v[4:5], -v[170:171]
	v_fmac_f64_e32 v[174:175], v[152:153], v[4:5]
	ds_load_b128 v[4:7], v2 offset:1072
	s_wait_loadcnt_dscnt 0xb01
	v_mul_f64_e32 v[176:177], v[162:163], v[10:11]
	v_mul_f64_e32 v[10:11], v[164:165], v[10:11]
	scratch_load_b128 v[150:153], off, off offset:400
	ds_load_b128 v[170:173], v2 offset:1088
	s_wait_loadcnt_dscnt 0xb01
	v_mul_f64_e32 v[180:181], v[4:5], v[14:15]
	v_mul_f64_e32 v[14:15], v[6:7], v[14:15]
	v_add_f64_e32 v[174:175], 0, v[174:175]
	v_fmac_f64_e32 v[176:177], v[164:165], v[8:9]
	v_fma_f64 v[162:163], v[162:163], v[8:9], -v[10:11]
	v_add_f64_e32 v[164:165], 0, v[178:179]
	scratch_load_b128 v[8:11], off, off offset:416
	v_fmac_f64_e32 v[180:181], v[6:7], v[12:13]
	v_fma_f64 v[182:183], v[4:5], v[12:13], -v[14:15]
	ds_load_b128 v[4:7], v2 offset:1104
	s_wait_loadcnt_dscnt 0xb01
	v_mul_f64_e32 v[178:179], v[170:171], v[124:125]
	v_mul_f64_e32 v[124:125], v[172:173], v[124:125]
	scratch_load_b128 v[12:15], off, off offset:432
	v_add_f64_e32 v[174:175], v[174:175], v[176:177]
	v_add_f64_e32 v[184:185], v[164:165], v[162:163]
	ds_load_b128 v[162:165], v2 offset:1120
	s_wait_loadcnt_dscnt 0xb01
	v_mul_f64_e32 v[176:177], v[4:5], v[128:129]
	v_mul_f64_e32 v[128:129], v[6:7], v[128:129]
	v_fmac_f64_e32 v[178:179], v[172:173], v[122:123]
	v_fma_f64 v[170:171], v[170:171], v[122:123], -v[124:125]
	scratch_load_b128 v[122:125], off, off offset:448
	v_add_f64_e32 v[174:175], v[174:175], v[180:181]
	v_add_f64_e32 v[172:173], v[184:185], v[182:183]
	v_fmac_f64_e32 v[176:177], v[6:7], v[126:127]
	v_fma_f64 v[182:183], v[4:5], v[126:127], -v[128:129]
	ds_load_b128 v[4:7], v2 offset:1136
	s_wait_loadcnt_dscnt 0xb01
	v_mul_f64_e32 v[180:181], v[162:163], v[132:133]
	v_mul_f64_e32 v[132:133], v[164:165], v[132:133]
	scratch_load_b128 v[126:129], off, off offset:464
	v_add_f64_e32 v[174:175], v[174:175], v[178:179]
	s_wait_loadcnt_dscnt 0xb00
	v_mul_f64_e32 v[178:179], v[4:5], v[136:137]
	v_add_f64_e32 v[184:185], v[172:173], v[170:171]
	v_mul_f64_e32 v[136:137], v[6:7], v[136:137]
	ds_load_b128 v[170:173], v2 offset:1152
	v_fmac_f64_e32 v[180:181], v[164:165], v[130:131]
	v_fma_f64 v[162:163], v[162:163], v[130:131], -v[132:133]
	scratch_load_b128 v[130:133], off, off offset:480
	v_add_f64_e32 v[174:175], v[174:175], v[176:177]
	v_fmac_f64_e32 v[178:179], v[6:7], v[134:135]
	v_add_f64_e32 v[164:165], v[184:185], v[182:183]
	v_fma_f64 v[182:183], v[4:5], v[134:135], -v[136:137]
	ds_load_b128 v[4:7], v2 offset:1168
	s_wait_loadcnt_dscnt 0xb01
	v_mul_f64_e32 v[176:177], v[170:171], v[140:141]
	v_mul_f64_e32 v[140:141], v[172:173], v[140:141]
	scratch_load_b128 v[134:137], off, off offset:496
	v_add_f64_e32 v[174:175], v[174:175], v[180:181]
	s_wait_loadcnt_dscnt 0xb00
	v_mul_f64_e32 v[180:181], v[4:5], v[144:145]
	v_add_f64_e32 v[184:185], v[164:165], v[162:163]
	v_mul_f64_e32 v[144:145], v[6:7], v[144:145]
	ds_load_b128 v[162:165], v2 offset:1184
	v_fmac_f64_e32 v[176:177], v[172:173], v[138:139]
	v_fma_f64 v[170:171], v[170:171], v[138:139], -v[140:141]
	scratch_load_b128 v[138:141], off, off offset:512
	v_add_f64_e32 v[174:175], v[174:175], v[178:179]
	v_fmac_f64_e32 v[180:181], v[6:7], v[142:143]
	v_add_f64_e32 v[172:173], v[184:185], v[182:183]
	;; [unrolled: 18-line block ×3, first 2 shown]
	v_fma_f64 v[182:183], v[4:5], v[154:155], -v[156:157]
	ds_load_b128 v[4:7], v2 offset:1232
	s_wait_loadcnt_dscnt 0xa01
	v_mul_f64_e32 v[180:181], v[170:171], v[168:169]
	v_mul_f64_e32 v[168:169], v[172:173], v[168:169]
	scratch_load_b128 v[154:157], off, off offset:560
	v_add_f64_e32 v[174:175], v[174:175], v[178:179]
	v_add_f64_e32 v[184:185], v[164:165], v[162:163]
	s_wait_loadcnt_dscnt 0xa00
	v_mul_f64_e32 v[178:179], v[4:5], v[152:153]
	v_mul_f64_e32 v[152:153], v[6:7], v[152:153]
	v_fmac_f64_e32 v[180:181], v[172:173], v[166:167]
	v_fma_f64 v[170:171], v[170:171], v[166:167], -v[168:169]
	ds_load_b128 v[162:165], v2 offset:1248
	scratch_load_b128 v[166:169], off, off offset:576
	v_add_f64_e32 v[174:175], v[174:175], v[176:177]
	v_add_f64_e32 v[172:173], v[184:185], v[182:183]
	v_fmac_f64_e32 v[178:179], v[6:7], v[150:151]
	v_fma_f64 v[182:183], v[4:5], v[150:151], -v[152:153]
	ds_load_b128 v[4:7], v2 offset:1264
	s_wait_loadcnt_dscnt 0xa01
	v_mul_f64_e32 v[176:177], v[162:163], v[10:11]
	v_mul_f64_e32 v[10:11], v[164:165], v[10:11]
	scratch_load_b128 v[150:153], off, off offset:592
	v_add_f64_e32 v[174:175], v[174:175], v[180:181]
	s_wait_loadcnt_dscnt 0xa00
	v_mul_f64_e32 v[180:181], v[4:5], v[14:15]
	v_add_f64_e32 v[184:185], v[172:173], v[170:171]
	v_mul_f64_e32 v[14:15], v[6:7], v[14:15]
	ds_load_b128 v[170:173], v2 offset:1280
	v_fmac_f64_e32 v[176:177], v[164:165], v[8:9]
	v_fma_f64 v[162:163], v[162:163], v[8:9], -v[10:11]
	scratch_load_b128 v[8:11], off, off offset:608
	v_add_f64_e32 v[174:175], v[174:175], v[178:179]
	v_fmac_f64_e32 v[180:181], v[6:7], v[12:13]
	v_add_f64_e32 v[164:165], v[184:185], v[182:183]
	v_fma_f64 v[182:183], v[4:5], v[12:13], -v[14:15]
	ds_load_b128 v[4:7], v2 offset:1296
	s_wait_loadcnt_dscnt 0xa01
	v_mul_f64_e32 v[178:179], v[170:171], v[124:125]
	v_mul_f64_e32 v[124:125], v[172:173], v[124:125]
	scratch_load_b128 v[12:15], off, off offset:624
	v_add_f64_e32 v[174:175], v[174:175], v[176:177]
	s_wait_loadcnt_dscnt 0xa00
	v_mul_f64_e32 v[176:177], v[4:5], v[128:129]
	v_add_f64_e32 v[184:185], v[164:165], v[162:163]
	v_mul_f64_e32 v[128:129], v[6:7], v[128:129]
	ds_load_b128 v[162:165], v2 offset:1312
	v_fmac_f64_e32 v[178:179], v[172:173], v[122:123]
	v_fma_f64 v[170:171], v[170:171], v[122:123], -v[124:125]
	scratch_load_b128 v[122:125], off, off offset:640
	v_add_f64_e32 v[174:175], v[174:175], v[180:181]
	v_fmac_f64_e32 v[176:177], v[6:7], v[126:127]
	v_add_f64_e32 v[172:173], v[184:185], v[182:183]
	;; [unrolled: 18-line block ×7, first 2 shown]
	v_fma_f64 v[182:183], v[4:5], v[12:13], -v[14:15]
	ds_load_b128 v[4:7], v2 offset:1488
	s_wait_loadcnt_dscnt 0xa01
	v_mul_f64_e32 v[178:179], v[170:171], v[124:125]
	v_mul_f64_e32 v[124:125], v[172:173], v[124:125]
	scratch_load_b128 v[12:15], off, off offset:816
	v_add_f64_e32 v[174:175], v[174:175], v[176:177]
	s_wait_loadcnt_dscnt 0xa00
	v_mul_f64_e32 v[176:177], v[4:5], v[128:129]
	v_add_f64_e32 v[184:185], v[164:165], v[162:163]
	v_mul_f64_e32 v[128:129], v[6:7], v[128:129]
	ds_load_b128 v[162:165], v2 offset:1504
	v_fmac_f64_e32 v[178:179], v[172:173], v[122:123]
	v_fma_f64 v[122:123], v[170:171], v[122:123], -v[124:125]
	s_wait_loadcnt_dscnt 0x900
	v_mul_f64_e32 v[172:173], v[162:163], v[132:133]
	v_mul_f64_e32 v[132:133], v[164:165], v[132:133]
	v_add_f64_e32 v[170:171], v[174:175], v[180:181]
	v_fmac_f64_e32 v[176:177], v[6:7], v[126:127]
	v_add_f64_e32 v[124:125], v[184:185], v[182:183]
	v_fma_f64 v[126:127], v[4:5], v[126:127], -v[128:129]
	v_fmac_f64_e32 v[172:173], v[164:165], v[130:131]
	v_fma_f64 v[130:131], v[162:163], v[130:131], -v[132:133]
	v_add_f64_e32 v[170:171], v[170:171], v[178:179]
	v_add_f64_e32 v[128:129], v[124:125], v[122:123]
	ds_load_b128 v[4:7], v2 offset:1520
	ds_load_b128 v[122:125], v2 offset:1536
	s_wait_loadcnt_dscnt 0x801
	v_mul_f64_e32 v[174:175], v[4:5], v[136:137]
	v_mul_f64_e32 v[136:137], v[6:7], v[136:137]
	s_wait_loadcnt_dscnt 0x700
	v_mul_f64_e32 v[132:133], v[122:123], v[140:141]
	v_mul_f64_e32 v[140:141], v[124:125], v[140:141]
	v_add_f64_e32 v[126:127], v[128:129], v[126:127]
	v_add_f64_e32 v[128:129], v[170:171], v[176:177]
	v_fmac_f64_e32 v[174:175], v[6:7], v[134:135]
	v_fma_f64 v[134:135], v[4:5], v[134:135], -v[136:137]
	v_fmac_f64_e32 v[132:133], v[124:125], v[138:139]
	v_fma_f64 v[122:123], v[122:123], v[138:139], -v[140:141]
	v_add_f64_e32 v[130:131], v[126:127], v[130:131]
	v_add_f64_e32 v[136:137], v[128:129], v[172:173]
	ds_load_b128 v[4:7], v2 offset:1552
	ds_load_b128 v[126:129], v2 offset:1568
	s_wait_loadcnt_dscnt 0x601
	v_mul_f64_e32 v[162:163], v[4:5], v[144:145]
	v_mul_f64_e32 v[144:145], v[6:7], v[144:145]
	v_add_f64_e32 v[124:125], v[130:131], v[134:135]
	v_add_f64_e32 v[130:131], v[136:137], v[174:175]
	s_wait_loadcnt_dscnt 0x500
	v_mul_f64_e32 v[134:135], v[126:127], v[148:149]
	v_mul_f64_e32 v[136:137], v[128:129], v[148:149]
	v_fmac_f64_e32 v[162:163], v[6:7], v[142:143]
	v_fma_f64 v[138:139], v[4:5], v[142:143], -v[144:145]
	v_add_f64_e32 v[140:141], v[124:125], v[122:123]
	v_add_f64_e32 v[130:131], v[130:131], v[132:133]
	ds_load_b128 v[4:7], v2 offset:1584
	ds_load_b128 v[122:125], v2 offset:1600
	v_fmac_f64_e32 v[134:135], v[128:129], v[146:147]
	v_fma_f64 v[126:127], v[126:127], v[146:147], -v[136:137]
	s_wait_loadcnt_dscnt 0x401
	v_mul_f64_e32 v[132:133], v[4:5], v[156:157]
	v_mul_f64_e32 v[142:143], v[6:7], v[156:157]
	s_wait_loadcnt_dscnt 0x300
	v_mul_f64_e32 v[136:137], v[122:123], v[168:169]
	v_add_f64_e32 v[128:129], v[140:141], v[138:139]
	v_add_f64_e32 v[130:131], v[130:131], v[162:163]
	v_mul_f64_e32 v[138:139], v[124:125], v[168:169]
	v_fmac_f64_e32 v[132:133], v[6:7], v[154:155]
	v_fma_f64 v[140:141], v[4:5], v[154:155], -v[142:143]
	v_fmac_f64_e32 v[136:137], v[124:125], v[166:167]
	v_add_f64_e32 v[142:143], v[128:129], v[126:127]
	v_add_f64_e32 v[130:131], v[130:131], v[134:135]
	ds_load_b128 v[4:7], v2 offset:1616
	ds_load_b128 v[126:129], v2 offset:1632
	v_fma_f64 v[122:123], v[122:123], v[166:167], -v[138:139]
	s_wait_loadcnt_dscnt 0x201
	v_mul_f64_e32 v[134:135], v[4:5], v[152:153]
	v_mul_f64_e32 v[144:145], v[6:7], v[152:153]
	v_add_f64_e32 v[124:125], v[142:143], v[140:141]
	v_add_f64_e32 v[130:131], v[130:131], v[132:133]
	s_wait_loadcnt_dscnt 0x100
	v_mul_f64_e32 v[132:133], v[126:127], v[10:11]
	v_mul_f64_e32 v[10:11], v[128:129], v[10:11]
	v_fmac_f64_e32 v[134:135], v[6:7], v[150:151]
	v_fma_f64 v[138:139], v[4:5], v[150:151], -v[144:145]
	ds_load_b128 v[4:7], v2 offset:1648
	v_add_f64_e32 v[122:123], v[124:125], v[122:123]
	v_add_f64_e32 v[124:125], v[130:131], v[136:137]
	v_fmac_f64_e32 v[132:133], v[128:129], v[8:9]
	v_fma_f64 v[8:9], v[126:127], v[8:9], -v[10:11]
	s_wait_loadcnt_dscnt 0x0
	v_mul_f64_e32 v[130:131], v[4:5], v[14:15]
	v_mul_f64_e32 v[14:15], v[6:7], v[14:15]
	v_add_f64_e32 v[10:11], v[122:123], v[138:139]
	v_add_f64_e32 v[122:123], v[124:125], v[134:135]
	s_delay_alu instid0(VALU_DEP_4) | instskip(NEXT) | instid1(VALU_DEP_4)
	v_fmac_f64_e32 v[130:131], v[6:7], v[12:13]
	v_fma_f64 v[4:5], v[4:5], v[12:13], -v[14:15]
	s_delay_alu instid0(VALU_DEP_4) | instskip(NEXT) | instid1(VALU_DEP_4)
	v_add_f64_e32 v[6:7], v[10:11], v[8:9]
	v_add_f64_e32 v[8:9], v[122:123], v[132:133]
	s_delay_alu instid0(VALU_DEP_2) | instskip(NEXT) | instid1(VALU_DEP_2)
	v_add_f64_e32 v[4:5], v[6:7], v[4:5]
	v_add_f64_e32 v[6:7], v[8:9], v[130:131]
	s_delay_alu instid0(VALU_DEP_2) | instskip(NEXT) | instid1(VALU_DEP_2)
	v_add_f64_e64 v[4:5], v[158:159], -v[4:5]
	v_add_f64_e64 v[6:7], v[160:161], -v[6:7]
	scratch_store_b128 off, v[4:7], off offset:192
	s_wait_xcnt 0x0
	v_cmpx_lt_u32_e32 11, v1
	s_cbranch_execz .LBB51_303
; %bb.302:
	scratch_load_b128 v[6:9], off, s59
	v_dual_mov_b32 v3, v2 :: v_dual_mov_b32 v4, v2
	v_mov_b32_e32 v5, v2
	scratch_store_b128 off, v[2:5], off offset:176
	s_wait_loadcnt 0x0
	ds_store_b128 v120, v[6:9]
.LBB51_303:
	s_wait_xcnt 0x0
	s_or_b32 exec_lo, exec_lo, s2
	s_wait_storecnt_dscnt 0x0
	s_barrier_signal -1
	s_barrier_wait -1
	s_clause 0x9
	scratch_load_b128 v[4:7], off, off offset:192
	scratch_load_b128 v[8:11], off, off offset:208
	;; [unrolled: 1-line block ×10, first 2 shown]
	ds_load_b128 v[150:153], v2 offset:1024
	ds_load_b128 v[158:161], v2 offset:1040
	s_clause 0x2
	scratch_load_b128 v[154:157], off, off offset:352
	scratch_load_b128 v[162:165], off, off offset:176
	scratch_load_b128 v[166:169], off, off offset:368
	s_mov_b32 s2, exec_lo
	s_wait_loadcnt_dscnt 0xc01
	v_mul_f64_e32 v[170:171], v[152:153], v[6:7]
	v_mul_f64_e32 v[174:175], v[150:151], v[6:7]
	s_wait_loadcnt_dscnt 0xb00
	v_mul_f64_e32 v[176:177], v[158:159], v[10:11]
	v_mul_f64_e32 v[10:11], v[160:161], v[10:11]
	s_delay_alu instid0(VALU_DEP_4) | instskip(NEXT) | instid1(VALU_DEP_4)
	v_fma_f64 v[178:179], v[150:151], v[4:5], -v[170:171]
	v_fmac_f64_e32 v[174:175], v[152:153], v[4:5]
	ds_load_b128 v[4:7], v2 offset:1056
	ds_load_b128 v[150:153], v2 offset:1072
	scratch_load_b128 v[170:173], off, off offset:384
	v_fmac_f64_e32 v[176:177], v[160:161], v[8:9]
	v_fma_f64 v[158:159], v[158:159], v[8:9], -v[10:11]
	scratch_load_b128 v[8:11], off, off offset:400
	s_wait_loadcnt_dscnt 0xc01
	v_mul_f64_e32 v[180:181], v[4:5], v[14:15]
	v_mul_f64_e32 v[14:15], v[6:7], v[14:15]
	v_add_f64_e32 v[160:161], 0, v[178:179]
	v_add_f64_e32 v[174:175], 0, v[174:175]
	s_wait_loadcnt_dscnt 0xb00
	v_mul_f64_e32 v[178:179], v[150:151], v[124:125]
	v_mul_f64_e32 v[124:125], v[152:153], v[124:125]
	v_fmac_f64_e32 v[180:181], v[6:7], v[12:13]
	v_fma_f64 v[182:183], v[4:5], v[12:13], -v[14:15]
	ds_load_b128 v[4:7], v2 offset:1088
	ds_load_b128 v[12:15], v2 offset:1104
	v_add_f64_e32 v[184:185], v[160:161], v[158:159]
	v_add_f64_e32 v[174:175], v[174:175], v[176:177]
	scratch_load_b128 v[158:161], off, off offset:416
	v_fmac_f64_e32 v[178:179], v[152:153], v[122:123]
	v_fma_f64 v[150:151], v[150:151], v[122:123], -v[124:125]
	scratch_load_b128 v[122:125], off, off offset:432
	s_wait_loadcnt_dscnt 0xc01
	v_mul_f64_e32 v[176:177], v[4:5], v[128:129]
	v_mul_f64_e32 v[128:129], v[6:7], v[128:129]
	v_add_f64_e32 v[152:153], v[184:185], v[182:183]
	v_add_f64_e32 v[174:175], v[174:175], v[180:181]
	s_wait_loadcnt_dscnt 0xb00
	v_mul_f64_e32 v[180:181], v[12:13], v[132:133]
	v_mul_f64_e32 v[132:133], v[14:15], v[132:133]
	v_fmac_f64_e32 v[176:177], v[6:7], v[126:127]
	v_fma_f64 v[182:183], v[4:5], v[126:127], -v[128:129]
	ds_load_b128 v[4:7], v2 offset:1120
	ds_load_b128 v[126:129], v2 offset:1136
	v_add_f64_e32 v[184:185], v[152:153], v[150:151]
	v_add_f64_e32 v[174:175], v[174:175], v[178:179]
	scratch_load_b128 v[150:153], off, off offset:448
	s_wait_loadcnt_dscnt 0xb01
	v_mul_f64_e32 v[178:179], v[4:5], v[136:137]
	v_mul_f64_e32 v[136:137], v[6:7], v[136:137]
	v_fmac_f64_e32 v[180:181], v[14:15], v[130:131]
	v_fma_f64 v[130:131], v[12:13], v[130:131], -v[132:133]
	scratch_load_b128 v[12:15], off, off offset:464
	v_add_f64_e32 v[132:133], v[184:185], v[182:183]
	v_add_f64_e32 v[174:175], v[174:175], v[176:177]
	s_wait_loadcnt_dscnt 0xb00
	v_mul_f64_e32 v[176:177], v[126:127], v[140:141]
	v_mul_f64_e32 v[140:141], v[128:129], v[140:141]
	v_fmac_f64_e32 v[178:179], v[6:7], v[134:135]
	v_fma_f64 v[182:183], v[4:5], v[134:135], -v[136:137]
	v_add_f64_e32 v[184:185], v[132:133], v[130:131]
	v_add_f64_e32 v[174:175], v[174:175], v[180:181]
	ds_load_b128 v[4:7], v2 offset:1152
	ds_load_b128 v[130:133], v2 offset:1168
	scratch_load_b128 v[134:137], off, off offset:480
	v_fmac_f64_e32 v[176:177], v[128:129], v[138:139]
	v_fma_f64 v[138:139], v[126:127], v[138:139], -v[140:141]
	scratch_load_b128 v[126:129], off, off offset:496
	s_wait_loadcnt_dscnt 0xc01
	v_mul_f64_e32 v[180:181], v[4:5], v[144:145]
	v_mul_f64_e32 v[144:145], v[6:7], v[144:145]
	v_add_f64_e32 v[140:141], v[184:185], v[182:183]
	v_add_f64_e32 v[174:175], v[174:175], v[178:179]
	s_wait_loadcnt_dscnt 0xb00
	v_mul_f64_e32 v[178:179], v[130:131], v[148:149]
	v_mul_f64_e32 v[148:149], v[132:133], v[148:149]
	v_fmac_f64_e32 v[180:181], v[6:7], v[142:143]
	v_fma_f64 v[182:183], v[4:5], v[142:143], -v[144:145]
	v_add_f64_e32 v[184:185], v[140:141], v[138:139]
	v_add_f64_e32 v[174:175], v[174:175], v[176:177]
	ds_load_b128 v[4:7], v2 offset:1184
	ds_load_b128 v[138:141], v2 offset:1200
	scratch_load_b128 v[142:145], off, off offset:512
	v_fmac_f64_e32 v[178:179], v[132:133], v[146:147]
	v_fma_f64 v[146:147], v[130:131], v[146:147], -v[148:149]
	scratch_load_b128 v[130:133], off, off offset:528
	s_wait_loadcnt_dscnt 0xc01
	v_mul_f64_e32 v[176:177], v[4:5], v[156:157]
	v_mul_f64_e32 v[156:157], v[6:7], v[156:157]
	;; [unrolled: 18-line block ×5, first 2 shown]
	v_add_f64_e32 v[168:169], v[184:185], v[182:183]
	v_add_f64_e32 v[174:175], v[174:175], v[180:181]
	s_wait_loadcnt_dscnt 0xa00
	v_mul_f64_e32 v[180:181], v[146:147], v[14:15]
	v_mul_f64_e32 v[14:15], v[148:149], v[14:15]
	v_fmac_f64_e32 v[176:177], v[6:7], v[150:151]
	v_fma_f64 v[182:183], v[4:5], v[150:151], -v[152:153]
	ds_load_b128 v[4:7], v2 offset:1312
	ds_load_b128 v[150:153], v2 offset:1328
	v_add_f64_e32 v[184:185], v[168:169], v[166:167]
	v_add_f64_e32 v[174:175], v[174:175], v[178:179]
	scratch_load_b128 v[166:169], off, off offset:640
	v_fmac_f64_e32 v[180:181], v[148:149], v[12:13]
	v_fma_f64 v[146:147], v[146:147], v[12:13], -v[14:15]
	scratch_load_b128 v[12:15], off, off offset:656
	s_wait_loadcnt_dscnt 0xb01
	v_mul_f64_e32 v[178:179], v[4:5], v[136:137]
	v_mul_f64_e32 v[136:137], v[6:7], v[136:137]
	v_add_f64_e32 v[148:149], v[184:185], v[182:183]
	v_add_f64_e32 v[174:175], v[174:175], v[176:177]
	s_wait_loadcnt_dscnt 0xa00
	v_mul_f64_e32 v[176:177], v[150:151], v[128:129]
	v_mul_f64_e32 v[128:129], v[152:153], v[128:129]
	v_fmac_f64_e32 v[178:179], v[6:7], v[134:135]
	v_fma_f64 v[182:183], v[4:5], v[134:135], -v[136:137]
	ds_load_b128 v[4:7], v2 offset:1344
	ds_load_b128 v[134:137], v2 offset:1360
	v_add_f64_e32 v[184:185], v[148:149], v[146:147]
	v_add_f64_e32 v[174:175], v[174:175], v[180:181]
	scratch_load_b128 v[146:149], off, off offset:672
	s_wait_loadcnt_dscnt 0xa01
	v_mul_f64_e32 v[180:181], v[4:5], v[144:145]
	v_mul_f64_e32 v[144:145], v[6:7], v[144:145]
	v_fmac_f64_e32 v[176:177], v[152:153], v[126:127]
	v_fma_f64 v[150:151], v[150:151], v[126:127], -v[128:129]
	scratch_load_b128 v[126:129], off, off offset:688
	v_add_f64_e32 v[152:153], v[184:185], v[182:183]
	v_add_f64_e32 v[174:175], v[174:175], v[178:179]
	s_wait_loadcnt_dscnt 0xa00
	v_mul_f64_e32 v[178:179], v[134:135], v[132:133]
	v_mul_f64_e32 v[132:133], v[136:137], v[132:133]
	v_fmac_f64_e32 v[180:181], v[6:7], v[142:143]
	v_fma_f64 v[182:183], v[4:5], v[142:143], -v[144:145]
	ds_load_b128 v[4:7], v2 offset:1376
	ds_load_b128 v[142:145], v2 offset:1392
	v_add_f64_e32 v[184:185], v[152:153], v[150:151]
	v_add_f64_e32 v[174:175], v[174:175], v[176:177]
	scratch_load_b128 v[150:153], off, off offset:704
	s_wait_loadcnt_dscnt 0xa01
	v_mul_f64_e32 v[176:177], v[4:5], v[156:157]
	v_mul_f64_e32 v[156:157], v[6:7], v[156:157]
	v_fmac_f64_e32 v[178:179], v[136:137], v[130:131]
	v_fma_f64 v[134:135], v[134:135], v[130:131], -v[132:133]
	scratch_load_b128 v[130:133], off, off offset:720
	v_add_f64_e32 v[136:137], v[184:185], v[182:183]
	v_add_f64_e32 v[174:175], v[174:175], v[180:181]
	s_wait_loadcnt_dscnt 0xa00
	v_mul_f64_e32 v[180:181], v[142:143], v[140:141]
	v_mul_f64_e32 v[140:141], v[144:145], v[140:141]
	v_fmac_f64_e32 v[176:177], v[6:7], v[154:155]
	v_fma_f64 v[182:183], v[4:5], v[154:155], -v[156:157]
	v_add_f64_e32 v[184:185], v[136:137], v[134:135]
	v_add_f64_e32 v[174:175], v[174:175], v[178:179]
	ds_load_b128 v[4:7], v2 offset:1408
	ds_load_b128 v[134:137], v2 offset:1424
	scratch_load_b128 v[154:157], off, off offset:736
	v_fmac_f64_e32 v[180:181], v[144:145], v[138:139]
	v_fma_f64 v[142:143], v[142:143], v[138:139], -v[140:141]
	scratch_load_b128 v[138:141], off, off offset:752
	s_wait_loadcnt_dscnt 0xb01
	v_mul_f64_e32 v[178:179], v[4:5], v[172:173]
	v_mul_f64_e32 v[172:173], v[6:7], v[172:173]
	v_add_f64_e32 v[144:145], v[184:185], v[182:183]
	v_add_f64_e32 v[174:175], v[174:175], v[176:177]
	s_wait_loadcnt_dscnt 0xa00
	v_mul_f64_e32 v[176:177], v[134:135], v[10:11]
	v_mul_f64_e32 v[10:11], v[136:137], v[10:11]
	v_fmac_f64_e32 v[178:179], v[6:7], v[170:171]
	v_fma_f64 v[182:183], v[4:5], v[170:171], -v[172:173]
	v_add_f64_e32 v[184:185], v[144:145], v[142:143]
	v_add_f64_e32 v[174:175], v[174:175], v[180:181]
	ds_load_b128 v[4:7], v2 offset:1440
	ds_load_b128 v[142:145], v2 offset:1456
	scratch_load_b128 v[170:173], off, off offset:768
	v_fmac_f64_e32 v[176:177], v[136:137], v[8:9]
	v_fma_f64 v[134:135], v[134:135], v[8:9], -v[10:11]
	scratch_load_b128 v[8:11], off, off offset:784
	s_wait_loadcnt_dscnt 0xb01
	v_mul_f64_e32 v[180:181], v[4:5], v[160:161]
	v_mul_f64_e32 v[160:161], v[6:7], v[160:161]
	;; [unrolled: 18-line block ×3, first 2 shown]
	v_add_f64_e32 v[144:145], v[184:185], v[182:183]
	v_add_f64_e32 v[174:175], v[174:175], v[180:181]
	s_wait_loadcnt_dscnt 0xa00
	v_mul_f64_e32 v[180:181], v[134:135], v[14:15]
	v_mul_f64_e32 v[14:15], v[136:137], v[14:15]
	v_fmac_f64_e32 v[176:177], v[6:7], v[166:167]
	v_fma_f64 v[166:167], v[4:5], v[166:167], -v[168:169]
	v_add_f64_e32 v[168:169], v[144:145], v[142:143]
	v_add_f64_e32 v[174:175], v[174:175], v[178:179]
	ds_load_b128 v[4:7], v2 offset:1504
	ds_load_b128 v[142:145], v2 offset:1520
	v_fmac_f64_e32 v[180:181], v[136:137], v[12:13]
	v_fma_f64 v[12:13], v[134:135], v[12:13], -v[14:15]
	s_wait_loadcnt_dscnt 0x901
	v_mul_f64_e32 v[178:179], v[4:5], v[148:149]
	v_mul_f64_e32 v[148:149], v[6:7], v[148:149]
	s_wait_loadcnt_dscnt 0x800
	v_mul_f64_e32 v[136:137], v[142:143], v[128:129]
	v_mul_f64_e32 v[128:129], v[144:145], v[128:129]
	v_add_f64_e32 v[14:15], v[168:169], v[166:167]
	v_add_f64_e32 v[134:135], v[174:175], v[176:177]
	v_fmac_f64_e32 v[178:179], v[6:7], v[146:147]
	v_fma_f64 v[146:147], v[4:5], v[146:147], -v[148:149]
	v_fmac_f64_e32 v[136:137], v[144:145], v[126:127]
	v_fma_f64 v[126:127], v[142:143], v[126:127], -v[128:129]
	v_add_f64_e32 v[148:149], v[14:15], v[12:13]
	v_add_f64_e32 v[134:135], v[134:135], v[180:181]
	ds_load_b128 v[4:7], v2 offset:1536
	ds_load_b128 v[12:15], v2 offset:1552
	s_wait_loadcnt_dscnt 0x701
	v_mul_f64_e32 v[166:167], v[4:5], v[152:153]
	v_mul_f64_e32 v[152:153], v[6:7], v[152:153]
	s_wait_loadcnt_dscnt 0x600
	v_mul_f64_e32 v[142:143], v[12:13], v[132:133]
	v_mul_f64_e32 v[132:133], v[14:15], v[132:133]
	v_add_f64_e32 v[128:129], v[148:149], v[146:147]
	v_add_f64_e32 v[134:135], v[134:135], v[178:179]
	v_fmac_f64_e32 v[166:167], v[6:7], v[150:151]
	v_fma_f64 v[144:145], v[4:5], v[150:151], -v[152:153]
	v_fmac_f64_e32 v[142:143], v[14:15], v[130:131]
	v_fma_f64 v[12:13], v[12:13], v[130:131], -v[132:133]
	v_add_f64_e32 v[146:147], v[128:129], v[126:127]
	v_add_f64_e32 v[134:135], v[134:135], v[136:137]
	ds_load_b128 v[4:7], v2 offset:1568
	ds_load_b128 v[126:129], v2 offset:1584
	s_wait_loadcnt_dscnt 0x501
	v_mul_f64_e32 v[136:137], v[4:5], v[156:157]
	v_mul_f64_e32 v[148:149], v[6:7], v[156:157]
	s_wait_loadcnt_dscnt 0x400
	v_mul_f64_e32 v[132:133], v[126:127], v[140:141]
	v_add_f64_e32 v[14:15], v[146:147], v[144:145]
	v_add_f64_e32 v[130:131], v[134:135], v[166:167]
	v_mul_f64_e32 v[134:135], v[128:129], v[140:141]
	v_fmac_f64_e32 v[136:137], v[6:7], v[154:155]
	v_fma_f64 v[140:141], v[4:5], v[154:155], -v[148:149]
	v_fmac_f64_e32 v[132:133], v[128:129], v[138:139]
	v_add_f64_e32 v[144:145], v[14:15], v[12:13]
	v_add_f64_e32 v[130:131], v[130:131], v[142:143]
	ds_load_b128 v[4:7], v2 offset:1600
	ds_load_b128 v[12:15], v2 offset:1616
	v_fma_f64 v[126:127], v[126:127], v[138:139], -v[134:135]
	s_wait_loadcnt_dscnt 0x301
	v_mul_f64_e32 v[142:143], v[4:5], v[172:173]
	v_mul_f64_e32 v[146:147], v[6:7], v[172:173]
	s_wait_loadcnt_dscnt 0x200
	v_mul_f64_e32 v[134:135], v[12:13], v[10:11]
	v_mul_f64_e32 v[10:11], v[14:15], v[10:11]
	v_add_f64_e32 v[128:129], v[144:145], v[140:141]
	v_add_f64_e32 v[130:131], v[130:131], v[136:137]
	v_fmac_f64_e32 v[142:143], v[6:7], v[170:171]
	v_fma_f64 v[136:137], v[4:5], v[170:171], -v[146:147]
	v_fmac_f64_e32 v[134:135], v[14:15], v[8:9]
	v_fma_f64 v[8:9], v[12:13], v[8:9], -v[10:11]
	v_add_f64_e32 v[138:139], v[128:129], v[126:127]
	v_add_f64_e32 v[130:131], v[130:131], v[132:133]
	ds_load_b128 v[4:7], v2 offset:1632
	ds_load_b128 v[126:129], v2 offset:1648
	s_wait_loadcnt_dscnt 0x101
	v_mul_f64_e32 v[2:3], v[4:5], v[160:161]
	v_mul_f64_e32 v[132:133], v[6:7], v[160:161]
	s_wait_loadcnt_dscnt 0x0
	v_mul_f64_e32 v[14:15], v[126:127], v[124:125]
	v_mul_f64_e32 v[124:125], v[128:129], v[124:125]
	v_add_f64_e32 v[10:11], v[138:139], v[136:137]
	v_add_f64_e32 v[12:13], v[130:131], v[142:143]
	v_fmac_f64_e32 v[2:3], v[6:7], v[158:159]
	v_fma_f64 v[4:5], v[4:5], v[158:159], -v[132:133]
	v_fmac_f64_e32 v[14:15], v[128:129], v[122:123]
	v_add_f64_e32 v[6:7], v[10:11], v[8:9]
	v_add_f64_e32 v[8:9], v[12:13], v[134:135]
	v_fma_f64 v[10:11], v[126:127], v[122:123], -v[124:125]
	s_delay_alu instid0(VALU_DEP_3) | instskip(NEXT) | instid1(VALU_DEP_3)
	v_add_f64_e32 v[4:5], v[6:7], v[4:5]
	v_add_f64_e32 v[2:3], v[8:9], v[2:3]
	s_delay_alu instid0(VALU_DEP_2) | instskip(NEXT) | instid1(VALU_DEP_2)
	v_add_f64_e32 v[4:5], v[4:5], v[10:11]
	v_add_f64_e32 v[6:7], v[2:3], v[14:15]
	s_delay_alu instid0(VALU_DEP_2) | instskip(NEXT) | instid1(VALU_DEP_2)
	v_add_f64_e64 v[2:3], v[162:163], -v[4:5]
	v_add_f64_e64 v[4:5], v[164:165], -v[6:7]
	scratch_store_b128 off, v[2:5], off offset:176
	s_wait_xcnt 0x0
	v_cmpx_lt_u32_e32 10, v1
	s_cbranch_execz .LBB51_305
; %bb.304:
	scratch_load_b128 v[2:5], off, s56
	v_mov_b32_e32 v6, 0
	s_delay_alu instid0(VALU_DEP_1)
	v_dual_mov_b32 v7, v6 :: v_dual_mov_b32 v8, v6
	v_mov_b32_e32 v9, v6
	scratch_store_b128 off, v[6:9], off offset:160
	s_wait_loadcnt 0x0
	ds_store_b128 v120, v[2:5]
.LBB51_305:
	s_wait_xcnt 0x0
	s_or_b32 exec_lo, exec_lo, s2
	s_wait_storecnt_dscnt 0x0
	s_barrier_signal -1
	s_barrier_wait -1
	s_clause 0x9
	scratch_load_b128 v[4:7], off, off offset:176
	scratch_load_b128 v[8:11], off, off offset:192
	;; [unrolled: 1-line block ×10, first 2 shown]
	v_mov_b32_e32 v2, 0
	s_mov_b32 s2, exec_lo
	ds_load_b128 v[150:153], v2 offset:1008
	s_clause 0x2
	scratch_load_b128 v[154:157], off, off offset:336
	scratch_load_b128 v[158:161], off, off offset:160
	;; [unrolled: 1-line block ×3, first 2 shown]
	s_wait_loadcnt_dscnt 0xc00
	v_mul_f64_e32 v[170:171], v[152:153], v[6:7]
	v_mul_f64_e32 v[174:175], v[150:151], v[6:7]
	ds_load_b128 v[162:165], v2 offset:1024
	v_fma_f64 v[178:179], v[150:151], v[4:5], -v[170:171]
	v_fmac_f64_e32 v[174:175], v[152:153], v[4:5]
	ds_load_b128 v[4:7], v2 offset:1040
	s_wait_loadcnt_dscnt 0xb01
	v_mul_f64_e32 v[176:177], v[162:163], v[10:11]
	v_mul_f64_e32 v[10:11], v[164:165], v[10:11]
	scratch_load_b128 v[150:153], off, off offset:368
	ds_load_b128 v[170:173], v2 offset:1056
	s_wait_loadcnt_dscnt 0xb01
	v_mul_f64_e32 v[180:181], v[4:5], v[14:15]
	v_mul_f64_e32 v[14:15], v[6:7], v[14:15]
	v_add_f64_e32 v[174:175], 0, v[174:175]
	v_fmac_f64_e32 v[176:177], v[164:165], v[8:9]
	v_fma_f64 v[162:163], v[162:163], v[8:9], -v[10:11]
	v_add_f64_e32 v[164:165], 0, v[178:179]
	scratch_load_b128 v[8:11], off, off offset:384
	v_fmac_f64_e32 v[180:181], v[6:7], v[12:13]
	v_fma_f64 v[182:183], v[4:5], v[12:13], -v[14:15]
	ds_load_b128 v[4:7], v2 offset:1072
	s_wait_loadcnt_dscnt 0xb01
	v_mul_f64_e32 v[178:179], v[170:171], v[124:125]
	v_mul_f64_e32 v[124:125], v[172:173], v[124:125]
	scratch_load_b128 v[12:15], off, off offset:400
	v_add_f64_e32 v[174:175], v[174:175], v[176:177]
	v_add_f64_e32 v[184:185], v[164:165], v[162:163]
	ds_load_b128 v[162:165], v2 offset:1088
	s_wait_loadcnt_dscnt 0xb01
	v_mul_f64_e32 v[176:177], v[4:5], v[128:129]
	v_mul_f64_e32 v[128:129], v[6:7], v[128:129]
	v_fmac_f64_e32 v[178:179], v[172:173], v[122:123]
	v_fma_f64 v[170:171], v[170:171], v[122:123], -v[124:125]
	scratch_load_b128 v[122:125], off, off offset:416
	v_add_f64_e32 v[174:175], v[174:175], v[180:181]
	v_add_f64_e32 v[172:173], v[184:185], v[182:183]
	v_fmac_f64_e32 v[176:177], v[6:7], v[126:127]
	v_fma_f64 v[182:183], v[4:5], v[126:127], -v[128:129]
	ds_load_b128 v[4:7], v2 offset:1104
	s_wait_loadcnt_dscnt 0xb01
	v_mul_f64_e32 v[180:181], v[162:163], v[132:133]
	v_mul_f64_e32 v[132:133], v[164:165], v[132:133]
	scratch_load_b128 v[126:129], off, off offset:432
	v_add_f64_e32 v[174:175], v[174:175], v[178:179]
	s_wait_loadcnt_dscnt 0xb00
	v_mul_f64_e32 v[178:179], v[4:5], v[136:137]
	v_add_f64_e32 v[184:185], v[172:173], v[170:171]
	v_mul_f64_e32 v[136:137], v[6:7], v[136:137]
	ds_load_b128 v[170:173], v2 offset:1120
	v_fmac_f64_e32 v[180:181], v[164:165], v[130:131]
	v_fma_f64 v[162:163], v[162:163], v[130:131], -v[132:133]
	scratch_load_b128 v[130:133], off, off offset:448
	v_add_f64_e32 v[174:175], v[174:175], v[176:177]
	v_fmac_f64_e32 v[178:179], v[6:7], v[134:135]
	v_add_f64_e32 v[164:165], v[184:185], v[182:183]
	v_fma_f64 v[182:183], v[4:5], v[134:135], -v[136:137]
	ds_load_b128 v[4:7], v2 offset:1136
	s_wait_loadcnt_dscnt 0xb01
	v_mul_f64_e32 v[176:177], v[170:171], v[140:141]
	v_mul_f64_e32 v[140:141], v[172:173], v[140:141]
	scratch_load_b128 v[134:137], off, off offset:464
	v_add_f64_e32 v[174:175], v[174:175], v[180:181]
	s_wait_loadcnt_dscnt 0xb00
	v_mul_f64_e32 v[180:181], v[4:5], v[144:145]
	v_add_f64_e32 v[184:185], v[164:165], v[162:163]
	v_mul_f64_e32 v[144:145], v[6:7], v[144:145]
	ds_load_b128 v[162:165], v2 offset:1152
	v_fmac_f64_e32 v[176:177], v[172:173], v[138:139]
	v_fma_f64 v[170:171], v[170:171], v[138:139], -v[140:141]
	scratch_load_b128 v[138:141], off, off offset:480
	v_add_f64_e32 v[174:175], v[174:175], v[178:179]
	v_fmac_f64_e32 v[180:181], v[6:7], v[142:143]
	v_add_f64_e32 v[172:173], v[184:185], v[182:183]
	;; [unrolled: 18-line block ×3, first 2 shown]
	v_fma_f64 v[182:183], v[4:5], v[154:155], -v[156:157]
	ds_load_b128 v[4:7], v2 offset:1200
	s_wait_loadcnt_dscnt 0xa01
	v_mul_f64_e32 v[180:181], v[170:171], v[168:169]
	v_mul_f64_e32 v[168:169], v[172:173], v[168:169]
	scratch_load_b128 v[154:157], off, off offset:528
	v_add_f64_e32 v[174:175], v[174:175], v[178:179]
	v_add_f64_e32 v[184:185], v[164:165], v[162:163]
	s_wait_loadcnt_dscnt 0xa00
	v_mul_f64_e32 v[178:179], v[4:5], v[152:153]
	v_mul_f64_e32 v[152:153], v[6:7], v[152:153]
	v_fmac_f64_e32 v[180:181], v[172:173], v[166:167]
	v_fma_f64 v[170:171], v[170:171], v[166:167], -v[168:169]
	ds_load_b128 v[162:165], v2 offset:1216
	scratch_load_b128 v[166:169], off, off offset:544
	v_add_f64_e32 v[174:175], v[174:175], v[176:177]
	v_add_f64_e32 v[172:173], v[184:185], v[182:183]
	v_fmac_f64_e32 v[178:179], v[6:7], v[150:151]
	v_fma_f64 v[182:183], v[4:5], v[150:151], -v[152:153]
	ds_load_b128 v[4:7], v2 offset:1232
	s_wait_loadcnt_dscnt 0xa01
	v_mul_f64_e32 v[176:177], v[162:163], v[10:11]
	v_mul_f64_e32 v[10:11], v[164:165], v[10:11]
	scratch_load_b128 v[150:153], off, off offset:560
	v_add_f64_e32 v[174:175], v[174:175], v[180:181]
	s_wait_loadcnt_dscnt 0xa00
	v_mul_f64_e32 v[180:181], v[4:5], v[14:15]
	v_add_f64_e32 v[184:185], v[172:173], v[170:171]
	v_mul_f64_e32 v[14:15], v[6:7], v[14:15]
	ds_load_b128 v[170:173], v2 offset:1248
	v_fmac_f64_e32 v[176:177], v[164:165], v[8:9]
	v_fma_f64 v[162:163], v[162:163], v[8:9], -v[10:11]
	scratch_load_b128 v[8:11], off, off offset:576
	v_add_f64_e32 v[174:175], v[174:175], v[178:179]
	v_fmac_f64_e32 v[180:181], v[6:7], v[12:13]
	v_add_f64_e32 v[164:165], v[184:185], v[182:183]
	v_fma_f64 v[182:183], v[4:5], v[12:13], -v[14:15]
	ds_load_b128 v[4:7], v2 offset:1264
	s_wait_loadcnt_dscnt 0xa01
	v_mul_f64_e32 v[178:179], v[170:171], v[124:125]
	v_mul_f64_e32 v[124:125], v[172:173], v[124:125]
	scratch_load_b128 v[12:15], off, off offset:592
	v_add_f64_e32 v[174:175], v[174:175], v[176:177]
	s_wait_loadcnt_dscnt 0xa00
	v_mul_f64_e32 v[176:177], v[4:5], v[128:129]
	v_add_f64_e32 v[184:185], v[164:165], v[162:163]
	v_mul_f64_e32 v[128:129], v[6:7], v[128:129]
	ds_load_b128 v[162:165], v2 offset:1280
	v_fmac_f64_e32 v[178:179], v[172:173], v[122:123]
	v_fma_f64 v[170:171], v[170:171], v[122:123], -v[124:125]
	scratch_load_b128 v[122:125], off, off offset:608
	v_add_f64_e32 v[174:175], v[174:175], v[180:181]
	v_fmac_f64_e32 v[176:177], v[6:7], v[126:127]
	v_add_f64_e32 v[172:173], v[184:185], v[182:183]
	;; [unrolled: 18-line block ×8, first 2 shown]
	v_fma_f64 v[182:183], v[4:5], v[126:127], -v[128:129]
	ds_load_b128 v[4:7], v2 offset:1488
	s_wait_loadcnt_dscnt 0xa01
	v_mul_f64_e32 v[180:181], v[162:163], v[132:133]
	v_mul_f64_e32 v[132:133], v[164:165], v[132:133]
	scratch_load_b128 v[126:129], off, off offset:816
	v_add_f64_e32 v[174:175], v[174:175], v[178:179]
	s_wait_loadcnt_dscnt 0xa00
	v_mul_f64_e32 v[178:179], v[4:5], v[136:137]
	v_add_f64_e32 v[184:185], v[172:173], v[170:171]
	v_mul_f64_e32 v[136:137], v[6:7], v[136:137]
	ds_load_b128 v[170:173], v2 offset:1504
	v_fmac_f64_e32 v[180:181], v[164:165], v[130:131]
	v_fma_f64 v[130:131], v[162:163], v[130:131], -v[132:133]
	s_wait_loadcnt_dscnt 0x900
	v_mul_f64_e32 v[164:165], v[170:171], v[140:141]
	v_mul_f64_e32 v[140:141], v[172:173], v[140:141]
	v_add_f64_e32 v[162:163], v[174:175], v[176:177]
	v_fmac_f64_e32 v[178:179], v[6:7], v[134:135]
	v_add_f64_e32 v[132:133], v[184:185], v[182:183]
	v_fma_f64 v[134:135], v[4:5], v[134:135], -v[136:137]
	v_fmac_f64_e32 v[164:165], v[172:173], v[138:139]
	v_fma_f64 v[138:139], v[170:171], v[138:139], -v[140:141]
	v_add_f64_e32 v[162:163], v[162:163], v[180:181]
	v_add_f64_e32 v[136:137], v[132:133], v[130:131]
	ds_load_b128 v[4:7], v2 offset:1520
	ds_load_b128 v[130:133], v2 offset:1536
	s_wait_loadcnt_dscnt 0x801
	v_mul_f64_e32 v[174:175], v[4:5], v[144:145]
	v_mul_f64_e32 v[144:145], v[6:7], v[144:145]
	s_wait_loadcnt_dscnt 0x700
	v_mul_f64_e32 v[140:141], v[130:131], v[148:149]
	v_mul_f64_e32 v[148:149], v[132:133], v[148:149]
	v_add_f64_e32 v[134:135], v[136:137], v[134:135]
	v_add_f64_e32 v[136:137], v[162:163], v[178:179]
	v_fmac_f64_e32 v[174:175], v[6:7], v[142:143]
	v_fma_f64 v[142:143], v[4:5], v[142:143], -v[144:145]
	v_fmac_f64_e32 v[140:141], v[132:133], v[146:147]
	v_fma_f64 v[130:131], v[130:131], v[146:147], -v[148:149]
	v_add_f64_e32 v[138:139], v[134:135], v[138:139]
	v_add_f64_e32 v[144:145], v[136:137], v[164:165]
	ds_load_b128 v[4:7], v2 offset:1552
	ds_load_b128 v[134:137], v2 offset:1568
	s_wait_loadcnt_dscnt 0x601
	v_mul_f64_e32 v[162:163], v[4:5], v[156:157]
	v_mul_f64_e32 v[156:157], v[6:7], v[156:157]
	v_add_f64_e32 v[132:133], v[138:139], v[142:143]
	v_add_f64_e32 v[138:139], v[144:145], v[174:175]
	s_wait_loadcnt_dscnt 0x500
	v_mul_f64_e32 v[142:143], v[134:135], v[168:169]
	v_mul_f64_e32 v[144:145], v[136:137], v[168:169]
	v_fmac_f64_e32 v[162:163], v[6:7], v[154:155]
	v_fma_f64 v[146:147], v[4:5], v[154:155], -v[156:157]
	v_add_f64_e32 v[148:149], v[132:133], v[130:131]
	v_add_f64_e32 v[138:139], v[138:139], v[140:141]
	ds_load_b128 v[4:7], v2 offset:1584
	ds_load_b128 v[130:133], v2 offset:1600
	v_fmac_f64_e32 v[142:143], v[136:137], v[166:167]
	v_fma_f64 v[134:135], v[134:135], v[166:167], -v[144:145]
	s_wait_loadcnt_dscnt 0x401
	v_mul_f64_e32 v[140:141], v[4:5], v[152:153]
	v_mul_f64_e32 v[152:153], v[6:7], v[152:153]
	s_wait_loadcnt_dscnt 0x300
	v_mul_f64_e32 v[144:145], v[130:131], v[10:11]
	v_mul_f64_e32 v[10:11], v[132:133], v[10:11]
	v_add_f64_e32 v[136:137], v[148:149], v[146:147]
	v_add_f64_e32 v[138:139], v[138:139], v[162:163]
	v_fmac_f64_e32 v[140:141], v[6:7], v[150:151]
	v_fma_f64 v[146:147], v[4:5], v[150:151], -v[152:153]
	v_fmac_f64_e32 v[144:145], v[132:133], v[8:9]
	v_fma_f64 v[8:9], v[130:131], v[8:9], -v[10:11]
	v_add_f64_e32 v[148:149], v[136:137], v[134:135]
	v_add_f64_e32 v[138:139], v[138:139], v[142:143]
	ds_load_b128 v[4:7], v2 offset:1616
	ds_load_b128 v[134:137], v2 offset:1632
	s_wait_loadcnt_dscnt 0x201
	v_mul_f64_e32 v[142:143], v[4:5], v[14:15]
	v_mul_f64_e32 v[14:15], v[6:7], v[14:15]
	s_wait_loadcnt_dscnt 0x100
	v_mul_f64_e32 v[132:133], v[134:135], v[124:125]
	v_mul_f64_e32 v[124:125], v[136:137], v[124:125]
	v_add_f64_e32 v[10:11], v[148:149], v[146:147]
	v_add_f64_e32 v[130:131], v[138:139], v[140:141]
	v_fmac_f64_e32 v[142:143], v[6:7], v[12:13]
	v_fma_f64 v[12:13], v[4:5], v[12:13], -v[14:15]
	ds_load_b128 v[4:7], v2 offset:1648
	v_fmac_f64_e32 v[132:133], v[136:137], v[122:123]
	v_fma_f64 v[122:123], v[134:135], v[122:123], -v[124:125]
	v_add_f64_e32 v[8:9], v[10:11], v[8:9]
	v_add_f64_e32 v[10:11], v[130:131], v[144:145]
	s_wait_loadcnt_dscnt 0x0
	v_mul_f64_e32 v[14:15], v[4:5], v[128:129]
	v_mul_f64_e32 v[128:129], v[6:7], v[128:129]
	s_delay_alu instid0(VALU_DEP_4) | instskip(NEXT) | instid1(VALU_DEP_4)
	v_add_f64_e32 v[8:9], v[8:9], v[12:13]
	v_add_f64_e32 v[10:11], v[10:11], v[142:143]
	s_delay_alu instid0(VALU_DEP_4) | instskip(NEXT) | instid1(VALU_DEP_4)
	v_fmac_f64_e32 v[14:15], v[6:7], v[126:127]
	v_fma_f64 v[4:5], v[4:5], v[126:127], -v[128:129]
	s_delay_alu instid0(VALU_DEP_4) | instskip(NEXT) | instid1(VALU_DEP_4)
	v_add_f64_e32 v[6:7], v[8:9], v[122:123]
	v_add_f64_e32 v[8:9], v[10:11], v[132:133]
	s_delay_alu instid0(VALU_DEP_2) | instskip(NEXT) | instid1(VALU_DEP_2)
	v_add_f64_e32 v[4:5], v[6:7], v[4:5]
	v_add_f64_e32 v[6:7], v[8:9], v[14:15]
	s_delay_alu instid0(VALU_DEP_2) | instskip(NEXT) | instid1(VALU_DEP_2)
	v_add_f64_e64 v[4:5], v[158:159], -v[4:5]
	v_add_f64_e64 v[6:7], v[160:161], -v[6:7]
	scratch_store_b128 off, v[4:7], off offset:160
	s_wait_xcnt 0x0
	v_cmpx_lt_u32_e32 9, v1
	s_cbranch_execz .LBB51_307
; %bb.306:
	scratch_load_b128 v[6:9], off, s54
	v_dual_mov_b32 v3, v2 :: v_dual_mov_b32 v4, v2
	v_mov_b32_e32 v5, v2
	scratch_store_b128 off, v[2:5], off offset:144
	s_wait_loadcnt 0x0
	ds_store_b128 v120, v[6:9]
.LBB51_307:
	s_wait_xcnt 0x0
	s_or_b32 exec_lo, exec_lo, s2
	s_wait_storecnt_dscnt 0x0
	s_barrier_signal -1
	s_barrier_wait -1
	s_clause 0x9
	scratch_load_b128 v[4:7], off, off offset:160
	scratch_load_b128 v[8:11], off, off offset:176
	;; [unrolled: 1-line block ×10, first 2 shown]
	ds_load_b128 v[150:153], v2 offset:992
	ds_load_b128 v[158:161], v2 offset:1008
	s_clause 0x2
	scratch_load_b128 v[154:157], off, off offset:320
	scratch_load_b128 v[162:165], off, off offset:144
	;; [unrolled: 1-line block ×3, first 2 shown]
	s_mov_b32 s2, exec_lo
	s_wait_loadcnt_dscnt 0xc01
	v_mul_f64_e32 v[170:171], v[152:153], v[6:7]
	v_mul_f64_e32 v[174:175], v[150:151], v[6:7]
	s_wait_loadcnt_dscnt 0xb00
	v_mul_f64_e32 v[176:177], v[158:159], v[10:11]
	v_mul_f64_e32 v[10:11], v[160:161], v[10:11]
	s_delay_alu instid0(VALU_DEP_4) | instskip(NEXT) | instid1(VALU_DEP_4)
	v_fma_f64 v[178:179], v[150:151], v[4:5], -v[170:171]
	v_fmac_f64_e32 v[174:175], v[152:153], v[4:5]
	ds_load_b128 v[4:7], v2 offset:1024
	ds_load_b128 v[150:153], v2 offset:1040
	scratch_load_b128 v[170:173], off, off offset:352
	v_fmac_f64_e32 v[176:177], v[160:161], v[8:9]
	v_fma_f64 v[158:159], v[158:159], v[8:9], -v[10:11]
	scratch_load_b128 v[8:11], off, off offset:368
	s_wait_loadcnt_dscnt 0xc01
	v_mul_f64_e32 v[180:181], v[4:5], v[14:15]
	v_mul_f64_e32 v[14:15], v[6:7], v[14:15]
	v_add_f64_e32 v[160:161], 0, v[178:179]
	v_add_f64_e32 v[174:175], 0, v[174:175]
	s_wait_loadcnt_dscnt 0xb00
	v_mul_f64_e32 v[178:179], v[150:151], v[124:125]
	v_mul_f64_e32 v[124:125], v[152:153], v[124:125]
	v_fmac_f64_e32 v[180:181], v[6:7], v[12:13]
	v_fma_f64 v[182:183], v[4:5], v[12:13], -v[14:15]
	ds_load_b128 v[4:7], v2 offset:1056
	ds_load_b128 v[12:15], v2 offset:1072
	v_add_f64_e32 v[184:185], v[160:161], v[158:159]
	v_add_f64_e32 v[174:175], v[174:175], v[176:177]
	scratch_load_b128 v[158:161], off, off offset:384
	v_fmac_f64_e32 v[178:179], v[152:153], v[122:123]
	v_fma_f64 v[150:151], v[150:151], v[122:123], -v[124:125]
	scratch_load_b128 v[122:125], off, off offset:400
	s_wait_loadcnt_dscnt 0xc01
	v_mul_f64_e32 v[176:177], v[4:5], v[128:129]
	v_mul_f64_e32 v[128:129], v[6:7], v[128:129]
	v_add_f64_e32 v[152:153], v[184:185], v[182:183]
	v_add_f64_e32 v[174:175], v[174:175], v[180:181]
	s_wait_loadcnt_dscnt 0xb00
	v_mul_f64_e32 v[180:181], v[12:13], v[132:133]
	v_mul_f64_e32 v[132:133], v[14:15], v[132:133]
	v_fmac_f64_e32 v[176:177], v[6:7], v[126:127]
	v_fma_f64 v[182:183], v[4:5], v[126:127], -v[128:129]
	ds_load_b128 v[4:7], v2 offset:1088
	ds_load_b128 v[126:129], v2 offset:1104
	v_add_f64_e32 v[184:185], v[152:153], v[150:151]
	v_add_f64_e32 v[174:175], v[174:175], v[178:179]
	scratch_load_b128 v[150:153], off, off offset:416
	s_wait_loadcnt_dscnt 0xb01
	v_mul_f64_e32 v[178:179], v[4:5], v[136:137]
	v_mul_f64_e32 v[136:137], v[6:7], v[136:137]
	v_fmac_f64_e32 v[180:181], v[14:15], v[130:131]
	v_fma_f64 v[130:131], v[12:13], v[130:131], -v[132:133]
	scratch_load_b128 v[12:15], off, off offset:432
	v_add_f64_e32 v[132:133], v[184:185], v[182:183]
	v_add_f64_e32 v[174:175], v[174:175], v[176:177]
	s_wait_loadcnt_dscnt 0xb00
	v_mul_f64_e32 v[176:177], v[126:127], v[140:141]
	v_mul_f64_e32 v[140:141], v[128:129], v[140:141]
	v_fmac_f64_e32 v[178:179], v[6:7], v[134:135]
	v_fma_f64 v[182:183], v[4:5], v[134:135], -v[136:137]
	v_add_f64_e32 v[184:185], v[132:133], v[130:131]
	v_add_f64_e32 v[174:175], v[174:175], v[180:181]
	ds_load_b128 v[4:7], v2 offset:1120
	ds_load_b128 v[130:133], v2 offset:1136
	scratch_load_b128 v[134:137], off, off offset:448
	v_fmac_f64_e32 v[176:177], v[128:129], v[138:139]
	v_fma_f64 v[138:139], v[126:127], v[138:139], -v[140:141]
	scratch_load_b128 v[126:129], off, off offset:464
	s_wait_loadcnt_dscnt 0xc01
	v_mul_f64_e32 v[180:181], v[4:5], v[144:145]
	v_mul_f64_e32 v[144:145], v[6:7], v[144:145]
	v_add_f64_e32 v[140:141], v[184:185], v[182:183]
	v_add_f64_e32 v[174:175], v[174:175], v[178:179]
	s_wait_loadcnt_dscnt 0xb00
	v_mul_f64_e32 v[178:179], v[130:131], v[148:149]
	v_mul_f64_e32 v[148:149], v[132:133], v[148:149]
	v_fmac_f64_e32 v[180:181], v[6:7], v[142:143]
	v_fma_f64 v[182:183], v[4:5], v[142:143], -v[144:145]
	v_add_f64_e32 v[184:185], v[140:141], v[138:139]
	v_add_f64_e32 v[174:175], v[174:175], v[176:177]
	ds_load_b128 v[4:7], v2 offset:1152
	ds_load_b128 v[138:141], v2 offset:1168
	scratch_load_b128 v[142:145], off, off offset:480
	v_fmac_f64_e32 v[178:179], v[132:133], v[146:147]
	v_fma_f64 v[146:147], v[130:131], v[146:147], -v[148:149]
	scratch_load_b128 v[130:133], off, off offset:496
	s_wait_loadcnt_dscnt 0xc01
	v_mul_f64_e32 v[176:177], v[4:5], v[156:157]
	v_mul_f64_e32 v[156:157], v[6:7], v[156:157]
	;; [unrolled: 18-line block ×5, first 2 shown]
	v_add_f64_e32 v[168:169], v[184:185], v[182:183]
	v_add_f64_e32 v[174:175], v[174:175], v[180:181]
	s_wait_loadcnt_dscnt 0xa00
	v_mul_f64_e32 v[180:181], v[146:147], v[14:15]
	v_mul_f64_e32 v[14:15], v[148:149], v[14:15]
	v_fmac_f64_e32 v[176:177], v[6:7], v[150:151]
	v_fma_f64 v[182:183], v[4:5], v[150:151], -v[152:153]
	ds_load_b128 v[4:7], v2 offset:1280
	ds_load_b128 v[150:153], v2 offset:1296
	v_add_f64_e32 v[184:185], v[168:169], v[166:167]
	v_add_f64_e32 v[174:175], v[174:175], v[178:179]
	scratch_load_b128 v[166:169], off, off offset:608
	v_fmac_f64_e32 v[180:181], v[148:149], v[12:13]
	v_fma_f64 v[146:147], v[146:147], v[12:13], -v[14:15]
	scratch_load_b128 v[12:15], off, off offset:624
	s_wait_loadcnt_dscnt 0xb01
	v_mul_f64_e32 v[178:179], v[4:5], v[136:137]
	v_mul_f64_e32 v[136:137], v[6:7], v[136:137]
	v_add_f64_e32 v[148:149], v[184:185], v[182:183]
	v_add_f64_e32 v[174:175], v[174:175], v[176:177]
	s_wait_loadcnt_dscnt 0xa00
	v_mul_f64_e32 v[176:177], v[150:151], v[128:129]
	v_mul_f64_e32 v[128:129], v[152:153], v[128:129]
	v_fmac_f64_e32 v[178:179], v[6:7], v[134:135]
	v_fma_f64 v[182:183], v[4:5], v[134:135], -v[136:137]
	ds_load_b128 v[4:7], v2 offset:1312
	ds_load_b128 v[134:137], v2 offset:1328
	v_add_f64_e32 v[184:185], v[148:149], v[146:147]
	v_add_f64_e32 v[174:175], v[174:175], v[180:181]
	scratch_load_b128 v[146:149], off, off offset:640
	s_wait_loadcnt_dscnt 0xa01
	v_mul_f64_e32 v[180:181], v[4:5], v[144:145]
	v_mul_f64_e32 v[144:145], v[6:7], v[144:145]
	v_fmac_f64_e32 v[176:177], v[152:153], v[126:127]
	v_fma_f64 v[150:151], v[150:151], v[126:127], -v[128:129]
	scratch_load_b128 v[126:129], off, off offset:656
	v_add_f64_e32 v[152:153], v[184:185], v[182:183]
	v_add_f64_e32 v[174:175], v[174:175], v[178:179]
	s_wait_loadcnt_dscnt 0xa00
	v_mul_f64_e32 v[178:179], v[134:135], v[132:133]
	v_mul_f64_e32 v[132:133], v[136:137], v[132:133]
	v_fmac_f64_e32 v[180:181], v[6:7], v[142:143]
	v_fma_f64 v[182:183], v[4:5], v[142:143], -v[144:145]
	ds_load_b128 v[4:7], v2 offset:1344
	ds_load_b128 v[142:145], v2 offset:1360
	v_add_f64_e32 v[184:185], v[152:153], v[150:151]
	v_add_f64_e32 v[174:175], v[174:175], v[176:177]
	scratch_load_b128 v[150:153], off, off offset:672
	s_wait_loadcnt_dscnt 0xa01
	v_mul_f64_e32 v[176:177], v[4:5], v[156:157]
	v_mul_f64_e32 v[156:157], v[6:7], v[156:157]
	v_fmac_f64_e32 v[178:179], v[136:137], v[130:131]
	v_fma_f64 v[134:135], v[134:135], v[130:131], -v[132:133]
	scratch_load_b128 v[130:133], off, off offset:688
	v_add_f64_e32 v[136:137], v[184:185], v[182:183]
	v_add_f64_e32 v[174:175], v[174:175], v[180:181]
	s_wait_loadcnt_dscnt 0xa00
	v_mul_f64_e32 v[180:181], v[142:143], v[140:141]
	v_mul_f64_e32 v[140:141], v[144:145], v[140:141]
	v_fmac_f64_e32 v[176:177], v[6:7], v[154:155]
	v_fma_f64 v[182:183], v[4:5], v[154:155], -v[156:157]
	v_add_f64_e32 v[184:185], v[136:137], v[134:135]
	v_add_f64_e32 v[174:175], v[174:175], v[178:179]
	ds_load_b128 v[4:7], v2 offset:1376
	ds_load_b128 v[134:137], v2 offset:1392
	scratch_load_b128 v[154:157], off, off offset:704
	v_fmac_f64_e32 v[180:181], v[144:145], v[138:139]
	v_fma_f64 v[142:143], v[142:143], v[138:139], -v[140:141]
	scratch_load_b128 v[138:141], off, off offset:720
	s_wait_loadcnt_dscnt 0xb01
	v_mul_f64_e32 v[178:179], v[4:5], v[172:173]
	v_mul_f64_e32 v[172:173], v[6:7], v[172:173]
	v_add_f64_e32 v[144:145], v[184:185], v[182:183]
	v_add_f64_e32 v[174:175], v[174:175], v[176:177]
	s_wait_loadcnt_dscnt 0xa00
	v_mul_f64_e32 v[176:177], v[134:135], v[10:11]
	v_mul_f64_e32 v[10:11], v[136:137], v[10:11]
	v_fmac_f64_e32 v[178:179], v[6:7], v[170:171]
	v_fma_f64 v[182:183], v[4:5], v[170:171], -v[172:173]
	v_add_f64_e32 v[184:185], v[144:145], v[142:143]
	v_add_f64_e32 v[174:175], v[174:175], v[180:181]
	ds_load_b128 v[4:7], v2 offset:1408
	ds_load_b128 v[142:145], v2 offset:1424
	scratch_load_b128 v[170:173], off, off offset:736
	v_fmac_f64_e32 v[176:177], v[136:137], v[8:9]
	v_fma_f64 v[134:135], v[134:135], v[8:9], -v[10:11]
	scratch_load_b128 v[8:11], off, off offset:752
	s_wait_loadcnt_dscnt 0xb01
	v_mul_f64_e32 v[180:181], v[4:5], v[160:161]
	v_mul_f64_e32 v[160:161], v[6:7], v[160:161]
	;; [unrolled: 18-line block ×4, first 2 shown]
	v_add_f64_e32 v[136:137], v[184:185], v[182:183]
	v_add_f64_e32 v[174:175], v[174:175], v[176:177]
	s_wait_loadcnt_dscnt 0xa00
	v_mul_f64_e32 v[176:177], v[142:143], v[128:129]
	v_mul_f64_e32 v[128:129], v[144:145], v[128:129]
	v_fmac_f64_e32 v[178:179], v[6:7], v[146:147]
	v_fma_f64 v[146:147], v[4:5], v[146:147], -v[148:149]
	v_add_f64_e32 v[148:149], v[136:137], v[134:135]
	v_add_f64_e32 v[174:175], v[174:175], v[180:181]
	ds_load_b128 v[4:7], v2 offset:1504
	ds_load_b128 v[134:137], v2 offset:1520
	v_fmac_f64_e32 v[176:177], v[144:145], v[126:127]
	v_fma_f64 v[126:127], v[142:143], v[126:127], -v[128:129]
	s_wait_loadcnt_dscnt 0x901
	v_mul_f64_e32 v[180:181], v[4:5], v[152:153]
	v_mul_f64_e32 v[152:153], v[6:7], v[152:153]
	s_wait_loadcnt_dscnt 0x800
	v_mul_f64_e32 v[144:145], v[134:135], v[132:133]
	v_mul_f64_e32 v[132:133], v[136:137], v[132:133]
	v_add_f64_e32 v[128:129], v[148:149], v[146:147]
	v_add_f64_e32 v[142:143], v[174:175], v[178:179]
	v_fmac_f64_e32 v[180:181], v[6:7], v[150:151]
	v_fma_f64 v[146:147], v[4:5], v[150:151], -v[152:153]
	v_fmac_f64_e32 v[144:145], v[136:137], v[130:131]
	v_fma_f64 v[130:131], v[134:135], v[130:131], -v[132:133]
	v_add_f64_e32 v[148:149], v[128:129], v[126:127]
	v_add_f64_e32 v[142:143], v[142:143], v[176:177]
	ds_load_b128 v[4:7], v2 offset:1536
	ds_load_b128 v[126:129], v2 offset:1552
	s_wait_loadcnt_dscnt 0x701
	v_mul_f64_e32 v[150:151], v[4:5], v[156:157]
	v_mul_f64_e32 v[152:153], v[6:7], v[156:157]
	s_wait_loadcnt_dscnt 0x600
	v_mul_f64_e32 v[136:137], v[126:127], v[140:141]
	v_mul_f64_e32 v[140:141], v[128:129], v[140:141]
	v_add_f64_e32 v[132:133], v[148:149], v[146:147]
	v_add_f64_e32 v[134:135], v[142:143], v[180:181]
	v_fmac_f64_e32 v[150:151], v[6:7], v[154:155]
	v_fma_f64 v[142:143], v[4:5], v[154:155], -v[152:153]
	v_fmac_f64_e32 v[136:137], v[128:129], v[138:139]
	v_fma_f64 v[126:127], v[126:127], v[138:139], -v[140:141]
	v_add_f64_e32 v[146:147], v[132:133], v[130:131]
	v_add_f64_e32 v[134:135], v[134:135], v[144:145]
	ds_load_b128 v[4:7], v2 offset:1568
	ds_load_b128 v[130:133], v2 offset:1584
	;; [unrolled: 16-line block ×4, first 2 shown]
	s_wait_loadcnt_dscnt 0x101
	v_mul_f64_e32 v[2:3], v[4:5], v[168:169]
	v_mul_f64_e32 v[138:139], v[6:7], v[168:169]
	s_wait_loadcnt_dscnt 0x0
	v_mul_f64_e32 v[128:129], v[8:9], v[14:15]
	v_mul_f64_e32 v[14:15], v[10:11], v[14:15]
	v_add_f64_e32 v[124:125], v[140:141], v[134:135]
	v_add_f64_e32 v[126:127], v[130:131], v[136:137]
	v_fmac_f64_e32 v[2:3], v[6:7], v[166:167]
	v_fma_f64 v[4:5], v[4:5], v[166:167], -v[138:139]
	v_fmac_f64_e32 v[128:129], v[10:11], v[12:13]
	v_fma_f64 v[8:9], v[8:9], v[12:13], -v[14:15]
	v_add_f64_e32 v[6:7], v[124:125], v[122:123]
	v_add_f64_e32 v[122:123], v[126:127], v[132:133]
	s_delay_alu instid0(VALU_DEP_2) | instskip(NEXT) | instid1(VALU_DEP_2)
	v_add_f64_e32 v[4:5], v[6:7], v[4:5]
	v_add_f64_e32 v[2:3], v[122:123], v[2:3]
	s_delay_alu instid0(VALU_DEP_2) | instskip(NEXT) | instid1(VALU_DEP_2)
	;; [unrolled: 3-line block ×3, first 2 shown]
	v_add_f64_e64 v[2:3], v[162:163], -v[4:5]
	v_add_f64_e64 v[4:5], v[164:165], -v[6:7]
	scratch_store_b128 off, v[2:5], off offset:144
	s_wait_xcnt 0x0
	v_cmpx_lt_u32_e32 8, v1
	s_cbranch_execz .LBB51_309
; %bb.308:
	scratch_load_b128 v[2:5], off, s53
	v_mov_b32_e32 v6, 0
	s_delay_alu instid0(VALU_DEP_1)
	v_dual_mov_b32 v7, v6 :: v_dual_mov_b32 v8, v6
	v_mov_b32_e32 v9, v6
	scratch_store_b128 off, v[6:9], off offset:128
	s_wait_loadcnt 0x0
	ds_store_b128 v120, v[2:5]
.LBB51_309:
	s_wait_xcnt 0x0
	s_or_b32 exec_lo, exec_lo, s2
	s_wait_storecnt_dscnt 0x0
	s_barrier_signal -1
	s_barrier_wait -1
	s_clause 0x9
	scratch_load_b128 v[4:7], off, off offset:144
	scratch_load_b128 v[8:11], off, off offset:160
	;; [unrolled: 1-line block ×10, first 2 shown]
	v_mov_b32_e32 v2, 0
	s_mov_b32 s2, exec_lo
	ds_load_b128 v[150:153], v2 offset:976
	s_clause 0x2
	scratch_load_b128 v[154:157], off, off offset:304
	scratch_load_b128 v[158:161], off, off offset:128
	scratch_load_b128 v[166:169], off, off offset:320
	s_wait_loadcnt_dscnt 0xc00
	v_mul_f64_e32 v[170:171], v[152:153], v[6:7]
	v_mul_f64_e32 v[174:175], v[150:151], v[6:7]
	ds_load_b128 v[162:165], v2 offset:992
	v_fma_f64 v[178:179], v[150:151], v[4:5], -v[170:171]
	v_fmac_f64_e32 v[174:175], v[152:153], v[4:5]
	ds_load_b128 v[4:7], v2 offset:1008
	s_wait_loadcnt_dscnt 0xb01
	v_mul_f64_e32 v[176:177], v[162:163], v[10:11]
	v_mul_f64_e32 v[10:11], v[164:165], v[10:11]
	scratch_load_b128 v[150:153], off, off offset:336
	ds_load_b128 v[170:173], v2 offset:1024
	s_wait_loadcnt_dscnt 0xb01
	v_mul_f64_e32 v[180:181], v[4:5], v[14:15]
	v_mul_f64_e32 v[14:15], v[6:7], v[14:15]
	v_add_f64_e32 v[174:175], 0, v[174:175]
	v_fmac_f64_e32 v[176:177], v[164:165], v[8:9]
	v_fma_f64 v[162:163], v[162:163], v[8:9], -v[10:11]
	v_add_f64_e32 v[164:165], 0, v[178:179]
	scratch_load_b128 v[8:11], off, off offset:352
	v_fmac_f64_e32 v[180:181], v[6:7], v[12:13]
	v_fma_f64 v[182:183], v[4:5], v[12:13], -v[14:15]
	ds_load_b128 v[4:7], v2 offset:1040
	s_wait_loadcnt_dscnt 0xb01
	v_mul_f64_e32 v[178:179], v[170:171], v[124:125]
	v_mul_f64_e32 v[124:125], v[172:173], v[124:125]
	scratch_load_b128 v[12:15], off, off offset:368
	v_add_f64_e32 v[174:175], v[174:175], v[176:177]
	v_add_f64_e32 v[184:185], v[164:165], v[162:163]
	ds_load_b128 v[162:165], v2 offset:1056
	s_wait_loadcnt_dscnt 0xb01
	v_mul_f64_e32 v[176:177], v[4:5], v[128:129]
	v_mul_f64_e32 v[128:129], v[6:7], v[128:129]
	v_fmac_f64_e32 v[178:179], v[172:173], v[122:123]
	v_fma_f64 v[170:171], v[170:171], v[122:123], -v[124:125]
	scratch_load_b128 v[122:125], off, off offset:384
	v_add_f64_e32 v[174:175], v[174:175], v[180:181]
	v_add_f64_e32 v[172:173], v[184:185], v[182:183]
	v_fmac_f64_e32 v[176:177], v[6:7], v[126:127]
	v_fma_f64 v[182:183], v[4:5], v[126:127], -v[128:129]
	ds_load_b128 v[4:7], v2 offset:1072
	s_wait_loadcnt_dscnt 0xb01
	v_mul_f64_e32 v[180:181], v[162:163], v[132:133]
	v_mul_f64_e32 v[132:133], v[164:165], v[132:133]
	scratch_load_b128 v[126:129], off, off offset:400
	v_add_f64_e32 v[174:175], v[174:175], v[178:179]
	s_wait_loadcnt_dscnt 0xb00
	v_mul_f64_e32 v[178:179], v[4:5], v[136:137]
	v_add_f64_e32 v[184:185], v[172:173], v[170:171]
	v_mul_f64_e32 v[136:137], v[6:7], v[136:137]
	ds_load_b128 v[170:173], v2 offset:1088
	v_fmac_f64_e32 v[180:181], v[164:165], v[130:131]
	v_fma_f64 v[162:163], v[162:163], v[130:131], -v[132:133]
	scratch_load_b128 v[130:133], off, off offset:416
	v_add_f64_e32 v[174:175], v[174:175], v[176:177]
	v_fmac_f64_e32 v[178:179], v[6:7], v[134:135]
	v_add_f64_e32 v[164:165], v[184:185], v[182:183]
	v_fma_f64 v[182:183], v[4:5], v[134:135], -v[136:137]
	ds_load_b128 v[4:7], v2 offset:1104
	s_wait_loadcnt_dscnt 0xb01
	v_mul_f64_e32 v[176:177], v[170:171], v[140:141]
	v_mul_f64_e32 v[140:141], v[172:173], v[140:141]
	scratch_load_b128 v[134:137], off, off offset:432
	v_add_f64_e32 v[174:175], v[174:175], v[180:181]
	s_wait_loadcnt_dscnt 0xb00
	v_mul_f64_e32 v[180:181], v[4:5], v[144:145]
	v_add_f64_e32 v[184:185], v[164:165], v[162:163]
	v_mul_f64_e32 v[144:145], v[6:7], v[144:145]
	ds_load_b128 v[162:165], v2 offset:1120
	v_fmac_f64_e32 v[176:177], v[172:173], v[138:139]
	v_fma_f64 v[170:171], v[170:171], v[138:139], -v[140:141]
	scratch_load_b128 v[138:141], off, off offset:448
	v_add_f64_e32 v[174:175], v[174:175], v[178:179]
	v_fmac_f64_e32 v[180:181], v[6:7], v[142:143]
	v_add_f64_e32 v[172:173], v[184:185], v[182:183]
	;; [unrolled: 18-line block ×3, first 2 shown]
	v_fma_f64 v[182:183], v[4:5], v[154:155], -v[156:157]
	ds_load_b128 v[4:7], v2 offset:1168
	s_wait_loadcnt_dscnt 0xa01
	v_mul_f64_e32 v[180:181], v[170:171], v[168:169]
	v_mul_f64_e32 v[168:169], v[172:173], v[168:169]
	scratch_load_b128 v[154:157], off, off offset:496
	v_add_f64_e32 v[174:175], v[174:175], v[178:179]
	v_add_f64_e32 v[184:185], v[164:165], v[162:163]
	s_wait_loadcnt_dscnt 0xa00
	v_mul_f64_e32 v[178:179], v[4:5], v[152:153]
	v_mul_f64_e32 v[152:153], v[6:7], v[152:153]
	v_fmac_f64_e32 v[180:181], v[172:173], v[166:167]
	v_fma_f64 v[170:171], v[170:171], v[166:167], -v[168:169]
	ds_load_b128 v[162:165], v2 offset:1184
	scratch_load_b128 v[166:169], off, off offset:512
	v_add_f64_e32 v[174:175], v[174:175], v[176:177]
	v_add_f64_e32 v[172:173], v[184:185], v[182:183]
	v_fmac_f64_e32 v[178:179], v[6:7], v[150:151]
	v_fma_f64 v[182:183], v[4:5], v[150:151], -v[152:153]
	ds_load_b128 v[4:7], v2 offset:1200
	s_wait_loadcnt_dscnt 0xa01
	v_mul_f64_e32 v[176:177], v[162:163], v[10:11]
	v_mul_f64_e32 v[10:11], v[164:165], v[10:11]
	scratch_load_b128 v[150:153], off, off offset:528
	v_add_f64_e32 v[174:175], v[174:175], v[180:181]
	s_wait_loadcnt_dscnt 0xa00
	v_mul_f64_e32 v[180:181], v[4:5], v[14:15]
	v_add_f64_e32 v[184:185], v[172:173], v[170:171]
	v_mul_f64_e32 v[14:15], v[6:7], v[14:15]
	ds_load_b128 v[170:173], v2 offset:1216
	v_fmac_f64_e32 v[176:177], v[164:165], v[8:9]
	v_fma_f64 v[162:163], v[162:163], v[8:9], -v[10:11]
	scratch_load_b128 v[8:11], off, off offset:544
	v_add_f64_e32 v[174:175], v[174:175], v[178:179]
	v_fmac_f64_e32 v[180:181], v[6:7], v[12:13]
	v_add_f64_e32 v[164:165], v[184:185], v[182:183]
	v_fma_f64 v[182:183], v[4:5], v[12:13], -v[14:15]
	ds_load_b128 v[4:7], v2 offset:1232
	s_wait_loadcnt_dscnt 0xa01
	v_mul_f64_e32 v[178:179], v[170:171], v[124:125]
	v_mul_f64_e32 v[124:125], v[172:173], v[124:125]
	scratch_load_b128 v[12:15], off, off offset:560
	v_add_f64_e32 v[174:175], v[174:175], v[176:177]
	s_wait_loadcnt_dscnt 0xa00
	v_mul_f64_e32 v[176:177], v[4:5], v[128:129]
	v_add_f64_e32 v[184:185], v[164:165], v[162:163]
	v_mul_f64_e32 v[128:129], v[6:7], v[128:129]
	ds_load_b128 v[162:165], v2 offset:1248
	v_fmac_f64_e32 v[178:179], v[172:173], v[122:123]
	v_fma_f64 v[170:171], v[170:171], v[122:123], -v[124:125]
	scratch_load_b128 v[122:125], off, off offset:576
	v_add_f64_e32 v[174:175], v[174:175], v[180:181]
	v_fmac_f64_e32 v[176:177], v[6:7], v[126:127]
	v_add_f64_e32 v[172:173], v[184:185], v[182:183]
	;; [unrolled: 18-line block ×9, first 2 shown]
	v_fma_f64 v[182:183], v[4:5], v[134:135], -v[136:137]
	ds_load_b128 v[4:7], v2 offset:1488
	s_wait_loadcnt_dscnt 0xa01
	v_mul_f64_e32 v[176:177], v[170:171], v[140:141]
	v_mul_f64_e32 v[140:141], v[172:173], v[140:141]
	scratch_load_b128 v[134:137], off, off offset:816
	v_add_f64_e32 v[174:175], v[174:175], v[180:181]
	s_wait_loadcnt_dscnt 0xa00
	v_mul_f64_e32 v[180:181], v[4:5], v[144:145]
	v_add_f64_e32 v[184:185], v[164:165], v[162:163]
	v_mul_f64_e32 v[144:145], v[6:7], v[144:145]
	ds_load_b128 v[162:165], v2 offset:1504
	v_fmac_f64_e32 v[176:177], v[172:173], v[138:139]
	v_fma_f64 v[138:139], v[170:171], v[138:139], -v[140:141]
	s_wait_loadcnt_dscnt 0x900
	v_mul_f64_e32 v[172:173], v[162:163], v[148:149]
	v_mul_f64_e32 v[148:149], v[164:165], v[148:149]
	v_add_f64_e32 v[170:171], v[174:175], v[178:179]
	v_fmac_f64_e32 v[180:181], v[6:7], v[142:143]
	v_add_f64_e32 v[140:141], v[184:185], v[182:183]
	v_fma_f64 v[142:143], v[4:5], v[142:143], -v[144:145]
	v_fmac_f64_e32 v[172:173], v[164:165], v[146:147]
	v_fma_f64 v[146:147], v[162:163], v[146:147], -v[148:149]
	v_add_f64_e32 v[170:171], v[170:171], v[176:177]
	v_add_f64_e32 v[144:145], v[140:141], v[138:139]
	ds_load_b128 v[4:7], v2 offset:1520
	ds_load_b128 v[138:141], v2 offset:1536
	s_wait_loadcnt_dscnt 0x801
	v_mul_f64_e32 v[174:175], v[4:5], v[156:157]
	v_mul_f64_e32 v[156:157], v[6:7], v[156:157]
	s_wait_loadcnt_dscnt 0x700
	v_mul_f64_e32 v[148:149], v[138:139], v[168:169]
	v_mul_f64_e32 v[162:163], v[140:141], v[168:169]
	v_add_f64_e32 v[142:143], v[144:145], v[142:143]
	v_add_f64_e32 v[144:145], v[170:171], v[180:181]
	v_fmac_f64_e32 v[174:175], v[6:7], v[154:155]
	v_fma_f64 v[154:155], v[4:5], v[154:155], -v[156:157]
	v_fmac_f64_e32 v[148:149], v[140:141], v[166:167]
	v_fma_f64 v[138:139], v[138:139], v[166:167], -v[162:163]
	v_add_f64_e32 v[146:147], v[142:143], v[146:147]
	v_add_f64_e32 v[156:157], v[144:145], v[172:173]
	ds_load_b128 v[4:7], v2 offset:1552
	ds_load_b128 v[142:145], v2 offset:1568
	s_wait_loadcnt_dscnt 0x601
	v_mul_f64_e32 v[164:165], v[4:5], v[152:153]
	v_mul_f64_e32 v[152:153], v[6:7], v[152:153]
	v_add_f64_e32 v[140:141], v[146:147], v[154:155]
	v_add_f64_e32 v[146:147], v[156:157], v[174:175]
	s_wait_loadcnt_dscnt 0x500
	v_mul_f64_e32 v[154:155], v[142:143], v[10:11]
	v_mul_f64_e32 v[10:11], v[144:145], v[10:11]
	v_fmac_f64_e32 v[164:165], v[6:7], v[150:151]
	v_fma_f64 v[150:151], v[4:5], v[150:151], -v[152:153]
	v_add_f64_e32 v[152:153], v[140:141], v[138:139]
	v_add_f64_e32 v[146:147], v[146:147], v[148:149]
	ds_load_b128 v[4:7], v2 offset:1584
	ds_load_b128 v[138:141], v2 offset:1600
	v_fmac_f64_e32 v[154:155], v[144:145], v[8:9]
	v_fma_f64 v[8:9], v[142:143], v[8:9], -v[10:11]
	s_wait_loadcnt_dscnt 0x401
	v_mul_f64_e32 v[148:149], v[4:5], v[14:15]
	v_mul_f64_e32 v[14:15], v[6:7], v[14:15]
	s_wait_loadcnt_dscnt 0x300
	v_mul_f64_e32 v[144:145], v[138:139], v[124:125]
	v_mul_f64_e32 v[124:125], v[140:141], v[124:125]
	v_add_f64_e32 v[10:11], v[152:153], v[150:151]
	v_add_f64_e32 v[142:143], v[146:147], v[164:165]
	v_fmac_f64_e32 v[148:149], v[6:7], v[12:13]
	v_fma_f64 v[12:13], v[4:5], v[12:13], -v[14:15]
	v_fmac_f64_e32 v[144:145], v[140:141], v[122:123]
	v_fma_f64 v[122:123], v[138:139], v[122:123], -v[124:125]
	v_add_f64_e32 v[14:15], v[10:11], v[8:9]
	v_add_f64_e32 v[142:143], v[142:143], v[154:155]
	ds_load_b128 v[4:7], v2 offset:1616
	ds_load_b128 v[8:11], v2 offset:1632
	s_wait_loadcnt_dscnt 0x201
	v_mul_f64_e32 v[146:147], v[4:5], v[128:129]
	v_mul_f64_e32 v[128:129], v[6:7], v[128:129]
	s_wait_loadcnt_dscnt 0x100
	v_mul_f64_e32 v[124:125], v[8:9], v[132:133]
	v_mul_f64_e32 v[132:133], v[10:11], v[132:133]
	v_add_f64_e32 v[12:13], v[14:15], v[12:13]
	v_add_f64_e32 v[14:15], v[142:143], v[148:149]
	v_fmac_f64_e32 v[146:147], v[6:7], v[126:127]
	v_fma_f64 v[126:127], v[4:5], v[126:127], -v[128:129]
	ds_load_b128 v[4:7], v2 offset:1648
	v_fmac_f64_e32 v[124:125], v[10:11], v[130:131]
	v_fma_f64 v[8:9], v[8:9], v[130:131], -v[132:133]
	v_add_f64_e32 v[12:13], v[12:13], v[122:123]
	v_add_f64_e32 v[14:15], v[14:15], v[144:145]
	s_wait_loadcnt_dscnt 0x0
	v_mul_f64_e32 v[122:123], v[4:5], v[136:137]
	v_mul_f64_e32 v[128:129], v[6:7], v[136:137]
	s_delay_alu instid0(VALU_DEP_4) | instskip(NEXT) | instid1(VALU_DEP_4)
	v_add_f64_e32 v[10:11], v[12:13], v[126:127]
	v_add_f64_e32 v[12:13], v[14:15], v[146:147]
	s_delay_alu instid0(VALU_DEP_4) | instskip(NEXT) | instid1(VALU_DEP_4)
	v_fmac_f64_e32 v[122:123], v[6:7], v[134:135]
	v_fma_f64 v[4:5], v[4:5], v[134:135], -v[128:129]
	s_delay_alu instid0(VALU_DEP_4) | instskip(NEXT) | instid1(VALU_DEP_4)
	v_add_f64_e32 v[6:7], v[10:11], v[8:9]
	v_add_f64_e32 v[8:9], v[12:13], v[124:125]
	s_delay_alu instid0(VALU_DEP_2) | instskip(NEXT) | instid1(VALU_DEP_2)
	v_add_f64_e32 v[4:5], v[6:7], v[4:5]
	v_add_f64_e32 v[6:7], v[8:9], v[122:123]
	s_delay_alu instid0(VALU_DEP_2) | instskip(NEXT) | instid1(VALU_DEP_2)
	v_add_f64_e64 v[4:5], v[158:159], -v[4:5]
	v_add_f64_e64 v[6:7], v[160:161], -v[6:7]
	scratch_store_b128 off, v[4:7], off offset:128
	s_wait_xcnt 0x0
	v_cmpx_lt_u32_e32 7, v1
	s_cbranch_execz .LBB51_311
; %bb.310:
	scratch_load_b128 v[6:9], off, s60
	v_dual_mov_b32 v3, v2 :: v_dual_mov_b32 v4, v2
	v_mov_b32_e32 v5, v2
	scratch_store_b128 off, v[2:5], off offset:112
	s_wait_loadcnt 0x0
	ds_store_b128 v120, v[6:9]
.LBB51_311:
	s_wait_xcnt 0x0
	s_or_b32 exec_lo, exec_lo, s2
	s_wait_storecnt_dscnt 0x0
	s_barrier_signal -1
	s_barrier_wait -1
	s_clause 0x9
	scratch_load_b128 v[4:7], off, off offset:128
	scratch_load_b128 v[8:11], off, off offset:144
	;; [unrolled: 1-line block ×10, first 2 shown]
	ds_load_b128 v[150:153], v2 offset:960
	ds_load_b128 v[158:161], v2 offset:976
	s_clause 0x2
	scratch_load_b128 v[154:157], off, off offset:288
	scratch_load_b128 v[162:165], off, off offset:112
	;; [unrolled: 1-line block ×3, first 2 shown]
	s_mov_b32 s2, exec_lo
	s_wait_loadcnt_dscnt 0xc01
	v_mul_f64_e32 v[170:171], v[152:153], v[6:7]
	v_mul_f64_e32 v[174:175], v[150:151], v[6:7]
	s_wait_loadcnt_dscnt 0xb00
	v_mul_f64_e32 v[176:177], v[158:159], v[10:11]
	v_mul_f64_e32 v[10:11], v[160:161], v[10:11]
	s_delay_alu instid0(VALU_DEP_4) | instskip(NEXT) | instid1(VALU_DEP_4)
	v_fma_f64 v[178:179], v[150:151], v[4:5], -v[170:171]
	v_fmac_f64_e32 v[174:175], v[152:153], v[4:5]
	ds_load_b128 v[4:7], v2 offset:992
	ds_load_b128 v[150:153], v2 offset:1008
	scratch_load_b128 v[170:173], off, off offset:320
	v_fmac_f64_e32 v[176:177], v[160:161], v[8:9]
	v_fma_f64 v[158:159], v[158:159], v[8:9], -v[10:11]
	scratch_load_b128 v[8:11], off, off offset:336
	s_wait_loadcnt_dscnt 0xc01
	v_mul_f64_e32 v[180:181], v[4:5], v[14:15]
	v_mul_f64_e32 v[14:15], v[6:7], v[14:15]
	v_add_f64_e32 v[160:161], 0, v[178:179]
	v_add_f64_e32 v[174:175], 0, v[174:175]
	s_wait_loadcnt_dscnt 0xb00
	v_mul_f64_e32 v[178:179], v[150:151], v[124:125]
	v_mul_f64_e32 v[124:125], v[152:153], v[124:125]
	v_fmac_f64_e32 v[180:181], v[6:7], v[12:13]
	v_fma_f64 v[182:183], v[4:5], v[12:13], -v[14:15]
	ds_load_b128 v[4:7], v2 offset:1024
	ds_load_b128 v[12:15], v2 offset:1040
	v_add_f64_e32 v[184:185], v[160:161], v[158:159]
	v_add_f64_e32 v[174:175], v[174:175], v[176:177]
	scratch_load_b128 v[158:161], off, off offset:352
	v_fmac_f64_e32 v[178:179], v[152:153], v[122:123]
	v_fma_f64 v[150:151], v[150:151], v[122:123], -v[124:125]
	scratch_load_b128 v[122:125], off, off offset:368
	s_wait_loadcnt_dscnt 0xc01
	v_mul_f64_e32 v[176:177], v[4:5], v[128:129]
	v_mul_f64_e32 v[128:129], v[6:7], v[128:129]
	v_add_f64_e32 v[152:153], v[184:185], v[182:183]
	v_add_f64_e32 v[174:175], v[174:175], v[180:181]
	s_wait_loadcnt_dscnt 0xb00
	v_mul_f64_e32 v[180:181], v[12:13], v[132:133]
	v_mul_f64_e32 v[132:133], v[14:15], v[132:133]
	v_fmac_f64_e32 v[176:177], v[6:7], v[126:127]
	v_fma_f64 v[182:183], v[4:5], v[126:127], -v[128:129]
	ds_load_b128 v[4:7], v2 offset:1056
	ds_load_b128 v[126:129], v2 offset:1072
	v_add_f64_e32 v[184:185], v[152:153], v[150:151]
	v_add_f64_e32 v[174:175], v[174:175], v[178:179]
	scratch_load_b128 v[150:153], off, off offset:384
	s_wait_loadcnt_dscnt 0xb01
	v_mul_f64_e32 v[178:179], v[4:5], v[136:137]
	v_mul_f64_e32 v[136:137], v[6:7], v[136:137]
	v_fmac_f64_e32 v[180:181], v[14:15], v[130:131]
	v_fma_f64 v[130:131], v[12:13], v[130:131], -v[132:133]
	scratch_load_b128 v[12:15], off, off offset:400
	v_add_f64_e32 v[132:133], v[184:185], v[182:183]
	v_add_f64_e32 v[174:175], v[174:175], v[176:177]
	s_wait_loadcnt_dscnt 0xb00
	v_mul_f64_e32 v[176:177], v[126:127], v[140:141]
	v_mul_f64_e32 v[140:141], v[128:129], v[140:141]
	v_fmac_f64_e32 v[178:179], v[6:7], v[134:135]
	v_fma_f64 v[182:183], v[4:5], v[134:135], -v[136:137]
	v_add_f64_e32 v[184:185], v[132:133], v[130:131]
	v_add_f64_e32 v[174:175], v[174:175], v[180:181]
	ds_load_b128 v[4:7], v2 offset:1088
	ds_load_b128 v[130:133], v2 offset:1104
	scratch_load_b128 v[134:137], off, off offset:416
	v_fmac_f64_e32 v[176:177], v[128:129], v[138:139]
	v_fma_f64 v[138:139], v[126:127], v[138:139], -v[140:141]
	scratch_load_b128 v[126:129], off, off offset:432
	s_wait_loadcnt_dscnt 0xc01
	v_mul_f64_e32 v[180:181], v[4:5], v[144:145]
	v_mul_f64_e32 v[144:145], v[6:7], v[144:145]
	v_add_f64_e32 v[140:141], v[184:185], v[182:183]
	v_add_f64_e32 v[174:175], v[174:175], v[178:179]
	s_wait_loadcnt_dscnt 0xb00
	v_mul_f64_e32 v[178:179], v[130:131], v[148:149]
	v_mul_f64_e32 v[148:149], v[132:133], v[148:149]
	v_fmac_f64_e32 v[180:181], v[6:7], v[142:143]
	v_fma_f64 v[182:183], v[4:5], v[142:143], -v[144:145]
	v_add_f64_e32 v[184:185], v[140:141], v[138:139]
	v_add_f64_e32 v[174:175], v[174:175], v[176:177]
	ds_load_b128 v[4:7], v2 offset:1120
	ds_load_b128 v[138:141], v2 offset:1136
	scratch_load_b128 v[142:145], off, off offset:448
	v_fmac_f64_e32 v[178:179], v[132:133], v[146:147]
	v_fma_f64 v[146:147], v[130:131], v[146:147], -v[148:149]
	scratch_load_b128 v[130:133], off, off offset:464
	s_wait_loadcnt_dscnt 0xc01
	v_mul_f64_e32 v[176:177], v[4:5], v[156:157]
	v_mul_f64_e32 v[156:157], v[6:7], v[156:157]
	;; [unrolled: 18-line block ×5, first 2 shown]
	v_add_f64_e32 v[168:169], v[184:185], v[182:183]
	v_add_f64_e32 v[174:175], v[174:175], v[180:181]
	s_wait_loadcnt_dscnt 0xa00
	v_mul_f64_e32 v[180:181], v[146:147], v[14:15]
	v_mul_f64_e32 v[14:15], v[148:149], v[14:15]
	v_fmac_f64_e32 v[176:177], v[6:7], v[150:151]
	v_fma_f64 v[182:183], v[4:5], v[150:151], -v[152:153]
	ds_load_b128 v[4:7], v2 offset:1248
	ds_load_b128 v[150:153], v2 offset:1264
	v_add_f64_e32 v[184:185], v[168:169], v[166:167]
	v_add_f64_e32 v[174:175], v[174:175], v[178:179]
	scratch_load_b128 v[166:169], off, off offset:576
	v_fmac_f64_e32 v[180:181], v[148:149], v[12:13]
	v_fma_f64 v[146:147], v[146:147], v[12:13], -v[14:15]
	scratch_load_b128 v[12:15], off, off offset:592
	s_wait_loadcnt_dscnt 0xb01
	v_mul_f64_e32 v[178:179], v[4:5], v[136:137]
	v_mul_f64_e32 v[136:137], v[6:7], v[136:137]
	v_add_f64_e32 v[148:149], v[184:185], v[182:183]
	v_add_f64_e32 v[174:175], v[174:175], v[176:177]
	s_wait_loadcnt_dscnt 0xa00
	v_mul_f64_e32 v[176:177], v[150:151], v[128:129]
	v_mul_f64_e32 v[128:129], v[152:153], v[128:129]
	v_fmac_f64_e32 v[178:179], v[6:7], v[134:135]
	v_fma_f64 v[182:183], v[4:5], v[134:135], -v[136:137]
	ds_load_b128 v[4:7], v2 offset:1280
	ds_load_b128 v[134:137], v2 offset:1296
	v_add_f64_e32 v[184:185], v[148:149], v[146:147]
	v_add_f64_e32 v[174:175], v[174:175], v[180:181]
	scratch_load_b128 v[146:149], off, off offset:608
	s_wait_loadcnt_dscnt 0xa01
	v_mul_f64_e32 v[180:181], v[4:5], v[144:145]
	v_mul_f64_e32 v[144:145], v[6:7], v[144:145]
	v_fmac_f64_e32 v[176:177], v[152:153], v[126:127]
	v_fma_f64 v[150:151], v[150:151], v[126:127], -v[128:129]
	scratch_load_b128 v[126:129], off, off offset:624
	v_add_f64_e32 v[152:153], v[184:185], v[182:183]
	v_add_f64_e32 v[174:175], v[174:175], v[178:179]
	s_wait_loadcnt_dscnt 0xa00
	v_mul_f64_e32 v[178:179], v[134:135], v[132:133]
	v_mul_f64_e32 v[132:133], v[136:137], v[132:133]
	v_fmac_f64_e32 v[180:181], v[6:7], v[142:143]
	v_fma_f64 v[182:183], v[4:5], v[142:143], -v[144:145]
	ds_load_b128 v[4:7], v2 offset:1312
	ds_load_b128 v[142:145], v2 offset:1328
	v_add_f64_e32 v[184:185], v[152:153], v[150:151]
	v_add_f64_e32 v[174:175], v[174:175], v[176:177]
	scratch_load_b128 v[150:153], off, off offset:640
	s_wait_loadcnt_dscnt 0xa01
	v_mul_f64_e32 v[176:177], v[4:5], v[156:157]
	v_mul_f64_e32 v[156:157], v[6:7], v[156:157]
	v_fmac_f64_e32 v[178:179], v[136:137], v[130:131]
	v_fma_f64 v[134:135], v[134:135], v[130:131], -v[132:133]
	scratch_load_b128 v[130:133], off, off offset:656
	v_add_f64_e32 v[136:137], v[184:185], v[182:183]
	v_add_f64_e32 v[174:175], v[174:175], v[180:181]
	s_wait_loadcnt_dscnt 0xa00
	v_mul_f64_e32 v[180:181], v[142:143], v[140:141]
	v_mul_f64_e32 v[140:141], v[144:145], v[140:141]
	v_fmac_f64_e32 v[176:177], v[6:7], v[154:155]
	v_fma_f64 v[182:183], v[4:5], v[154:155], -v[156:157]
	v_add_f64_e32 v[184:185], v[136:137], v[134:135]
	v_add_f64_e32 v[174:175], v[174:175], v[178:179]
	ds_load_b128 v[4:7], v2 offset:1344
	ds_load_b128 v[134:137], v2 offset:1360
	scratch_load_b128 v[154:157], off, off offset:672
	v_fmac_f64_e32 v[180:181], v[144:145], v[138:139]
	v_fma_f64 v[142:143], v[142:143], v[138:139], -v[140:141]
	scratch_load_b128 v[138:141], off, off offset:688
	s_wait_loadcnt_dscnt 0xb01
	v_mul_f64_e32 v[178:179], v[4:5], v[172:173]
	v_mul_f64_e32 v[172:173], v[6:7], v[172:173]
	v_add_f64_e32 v[144:145], v[184:185], v[182:183]
	v_add_f64_e32 v[174:175], v[174:175], v[176:177]
	s_wait_loadcnt_dscnt 0xa00
	v_mul_f64_e32 v[176:177], v[134:135], v[10:11]
	v_mul_f64_e32 v[10:11], v[136:137], v[10:11]
	v_fmac_f64_e32 v[178:179], v[6:7], v[170:171]
	v_fma_f64 v[182:183], v[4:5], v[170:171], -v[172:173]
	v_add_f64_e32 v[184:185], v[144:145], v[142:143]
	v_add_f64_e32 v[174:175], v[174:175], v[180:181]
	ds_load_b128 v[4:7], v2 offset:1376
	ds_load_b128 v[142:145], v2 offset:1392
	scratch_load_b128 v[170:173], off, off offset:704
	v_fmac_f64_e32 v[176:177], v[136:137], v[8:9]
	v_fma_f64 v[134:135], v[134:135], v[8:9], -v[10:11]
	scratch_load_b128 v[8:11], off, off offset:720
	s_wait_loadcnt_dscnt 0xb01
	v_mul_f64_e32 v[180:181], v[4:5], v[160:161]
	v_mul_f64_e32 v[160:161], v[6:7], v[160:161]
	;; [unrolled: 18-line block ×5, first 2 shown]
	v_add_f64_e32 v[144:145], v[184:185], v[182:183]
	v_add_f64_e32 v[174:175], v[174:175], v[178:179]
	s_wait_loadcnt_dscnt 0xa00
	v_mul_f64_e32 v[178:179], v[134:135], v[132:133]
	v_mul_f64_e32 v[132:133], v[136:137], v[132:133]
	v_fmac_f64_e32 v[180:181], v[6:7], v[150:151]
	v_fma_f64 v[150:151], v[4:5], v[150:151], -v[152:153]
	v_add_f64_e32 v[152:153], v[144:145], v[142:143]
	v_add_f64_e32 v[174:175], v[174:175], v[176:177]
	ds_load_b128 v[4:7], v2 offset:1504
	ds_load_b128 v[142:145], v2 offset:1520
	v_fmac_f64_e32 v[178:179], v[136:137], v[130:131]
	v_fma_f64 v[130:131], v[134:135], v[130:131], -v[132:133]
	s_wait_loadcnt_dscnt 0x901
	v_mul_f64_e32 v[176:177], v[4:5], v[156:157]
	v_mul_f64_e32 v[156:157], v[6:7], v[156:157]
	s_wait_loadcnt_dscnt 0x800
	v_mul_f64_e32 v[136:137], v[142:143], v[140:141]
	v_mul_f64_e32 v[140:141], v[144:145], v[140:141]
	v_add_f64_e32 v[132:133], v[152:153], v[150:151]
	v_add_f64_e32 v[134:135], v[174:175], v[180:181]
	v_fmac_f64_e32 v[176:177], v[6:7], v[154:155]
	v_fma_f64 v[150:151], v[4:5], v[154:155], -v[156:157]
	v_fmac_f64_e32 v[136:137], v[144:145], v[138:139]
	v_fma_f64 v[138:139], v[142:143], v[138:139], -v[140:141]
	v_add_f64_e32 v[152:153], v[132:133], v[130:131]
	v_add_f64_e32 v[134:135], v[134:135], v[178:179]
	ds_load_b128 v[4:7], v2 offset:1536
	ds_load_b128 v[130:133], v2 offset:1552
	s_wait_loadcnt_dscnt 0x701
	v_mul_f64_e32 v[154:155], v[4:5], v[172:173]
	v_mul_f64_e32 v[156:157], v[6:7], v[172:173]
	s_wait_loadcnt_dscnt 0x600
	v_mul_f64_e32 v[142:143], v[130:131], v[10:11]
	v_mul_f64_e32 v[10:11], v[132:133], v[10:11]
	v_add_f64_e32 v[140:141], v[152:153], v[150:151]
	v_add_f64_e32 v[134:135], v[134:135], v[176:177]
	v_fmac_f64_e32 v[154:155], v[6:7], v[170:171]
	v_fma_f64 v[144:145], v[4:5], v[170:171], -v[156:157]
	v_fmac_f64_e32 v[142:143], v[132:133], v[8:9]
	v_fma_f64 v[8:9], v[130:131], v[8:9], -v[10:11]
	v_add_f64_e32 v[138:139], v[140:141], v[138:139]
	v_add_f64_e32 v[140:141], v[134:135], v[136:137]
	ds_load_b128 v[4:7], v2 offset:1568
	ds_load_b128 v[134:137], v2 offset:1584
	s_wait_loadcnt_dscnt 0x501
	v_mul_f64_e32 v[150:151], v[4:5], v[160:161]
	v_mul_f64_e32 v[152:153], v[6:7], v[160:161]
	s_wait_loadcnt_dscnt 0x400
	v_mul_f64_e32 v[132:133], v[134:135], v[124:125]
	v_mul_f64_e32 v[124:125], v[136:137], v[124:125]
	v_add_f64_e32 v[10:11], v[138:139], v[144:145]
	v_add_f64_e32 v[130:131], v[140:141], v[154:155]
	v_fmac_f64_e32 v[150:151], v[6:7], v[158:159]
	v_fma_f64 v[138:139], v[4:5], v[158:159], -v[152:153]
	v_fmac_f64_e32 v[132:133], v[136:137], v[122:123]
	v_fma_f64 v[122:123], v[134:135], v[122:123], -v[124:125]
	v_add_f64_e32 v[140:141], v[10:11], v[8:9]
	v_add_f64_e32 v[130:131], v[130:131], v[142:143]
	ds_load_b128 v[4:7], v2 offset:1600
	ds_load_b128 v[8:11], v2 offset:1616
	s_wait_loadcnt_dscnt 0x301
	v_mul_f64_e32 v[142:143], v[4:5], v[168:169]
	v_mul_f64_e32 v[144:145], v[6:7], v[168:169]
	s_wait_loadcnt_dscnt 0x200
	v_mul_f64_e32 v[134:135], v[8:9], v[14:15]
	v_mul_f64_e32 v[14:15], v[10:11], v[14:15]
	v_add_f64_e32 v[124:125], v[140:141], v[138:139]
	v_add_f64_e32 v[130:131], v[130:131], v[150:151]
	v_fmac_f64_e32 v[142:143], v[6:7], v[166:167]
	v_fma_f64 v[136:137], v[4:5], v[166:167], -v[144:145]
	v_fmac_f64_e32 v[134:135], v[10:11], v[12:13]
	v_fma_f64 v[8:9], v[8:9], v[12:13], -v[14:15]
	v_add_f64_e32 v[138:139], v[124:125], v[122:123]
	v_add_f64_e32 v[130:131], v[130:131], v[132:133]
	ds_load_b128 v[4:7], v2 offset:1632
	ds_load_b128 v[122:125], v2 offset:1648
	s_wait_loadcnt_dscnt 0x101
	v_mul_f64_e32 v[2:3], v[4:5], v[148:149]
	v_mul_f64_e32 v[132:133], v[6:7], v[148:149]
	s_wait_loadcnt_dscnt 0x0
	v_mul_f64_e32 v[14:15], v[122:123], v[128:129]
	v_mul_f64_e32 v[128:129], v[124:125], v[128:129]
	v_add_f64_e32 v[10:11], v[138:139], v[136:137]
	v_add_f64_e32 v[12:13], v[130:131], v[142:143]
	v_fmac_f64_e32 v[2:3], v[6:7], v[146:147]
	v_fma_f64 v[4:5], v[4:5], v[146:147], -v[132:133]
	v_fmac_f64_e32 v[14:15], v[124:125], v[126:127]
	v_add_f64_e32 v[6:7], v[10:11], v[8:9]
	v_add_f64_e32 v[8:9], v[12:13], v[134:135]
	v_fma_f64 v[10:11], v[122:123], v[126:127], -v[128:129]
	s_delay_alu instid0(VALU_DEP_3) | instskip(NEXT) | instid1(VALU_DEP_3)
	v_add_f64_e32 v[4:5], v[6:7], v[4:5]
	v_add_f64_e32 v[2:3], v[8:9], v[2:3]
	s_delay_alu instid0(VALU_DEP_2) | instskip(NEXT) | instid1(VALU_DEP_2)
	v_add_f64_e32 v[4:5], v[4:5], v[10:11]
	v_add_f64_e32 v[6:7], v[2:3], v[14:15]
	s_delay_alu instid0(VALU_DEP_2) | instskip(NEXT) | instid1(VALU_DEP_2)
	v_add_f64_e64 v[2:3], v[162:163], -v[4:5]
	v_add_f64_e64 v[4:5], v[164:165], -v[6:7]
	scratch_store_b128 off, v[2:5], off offset:112
	s_wait_xcnt 0x0
	v_cmpx_lt_u32_e32 6, v1
	s_cbranch_execz .LBB51_313
; %bb.312:
	scratch_load_b128 v[2:5], off, s57
	v_mov_b32_e32 v6, 0
	s_delay_alu instid0(VALU_DEP_1)
	v_dual_mov_b32 v7, v6 :: v_dual_mov_b32 v8, v6
	v_mov_b32_e32 v9, v6
	scratch_store_b128 off, v[6:9], off offset:96
	s_wait_loadcnt 0x0
	ds_store_b128 v120, v[2:5]
.LBB51_313:
	s_wait_xcnt 0x0
	s_or_b32 exec_lo, exec_lo, s2
	s_wait_storecnt_dscnt 0x0
	s_barrier_signal -1
	s_barrier_wait -1
	s_clause 0x9
	scratch_load_b128 v[4:7], off, off offset:112
	scratch_load_b128 v[8:11], off, off offset:128
	;; [unrolled: 1-line block ×10, first 2 shown]
	v_mov_b32_e32 v2, 0
	s_mov_b32 s2, exec_lo
	ds_load_b128 v[150:153], v2 offset:944
	s_clause 0x2
	scratch_load_b128 v[154:157], off, off offset:272
	scratch_load_b128 v[158:161], off, off offset:96
	;; [unrolled: 1-line block ×3, first 2 shown]
	s_wait_loadcnt_dscnt 0xc00
	v_mul_f64_e32 v[170:171], v[152:153], v[6:7]
	v_mul_f64_e32 v[174:175], v[150:151], v[6:7]
	ds_load_b128 v[162:165], v2 offset:960
	v_fma_f64 v[178:179], v[150:151], v[4:5], -v[170:171]
	v_fmac_f64_e32 v[174:175], v[152:153], v[4:5]
	ds_load_b128 v[4:7], v2 offset:976
	s_wait_loadcnt_dscnt 0xb01
	v_mul_f64_e32 v[176:177], v[162:163], v[10:11]
	v_mul_f64_e32 v[10:11], v[164:165], v[10:11]
	scratch_load_b128 v[150:153], off, off offset:304
	ds_load_b128 v[170:173], v2 offset:992
	s_wait_loadcnt_dscnt 0xb01
	v_mul_f64_e32 v[180:181], v[4:5], v[14:15]
	v_mul_f64_e32 v[14:15], v[6:7], v[14:15]
	v_add_f64_e32 v[174:175], 0, v[174:175]
	v_fmac_f64_e32 v[176:177], v[164:165], v[8:9]
	v_fma_f64 v[162:163], v[162:163], v[8:9], -v[10:11]
	v_add_f64_e32 v[164:165], 0, v[178:179]
	scratch_load_b128 v[8:11], off, off offset:320
	v_fmac_f64_e32 v[180:181], v[6:7], v[12:13]
	v_fma_f64 v[182:183], v[4:5], v[12:13], -v[14:15]
	ds_load_b128 v[4:7], v2 offset:1008
	s_wait_loadcnt_dscnt 0xb01
	v_mul_f64_e32 v[178:179], v[170:171], v[124:125]
	v_mul_f64_e32 v[124:125], v[172:173], v[124:125]
	scratch_load_b128 v[12:15], off, off offset:336
	v_add_f64_e32 v[174:175], v[174:175], v[176:177]
	v_add_f64_e32 v[184:185], v[164:165], v[162:163]
	ds_load_b128 v[162:165], v2 offset:1024
	s_wait_loadcnt_dscnt 0xb01
	v_mul_f64_e32 v[176:177], v[4:5], v[128:129]
	v_mul_f64_e32 v[128:129], v[6:7], v[128:129]
	v_fmac_f64_e32 v[178:179], v[172:173], v[122:123]
	v_fma_f64 v[170:171], v[170:171], v[122:123], -v[124:125]
	scratch_load_b128 v[122:125], off, off offset:352
	v_add_f64_e32 v[174:175], v[174:175], v[180:181]
	v_add_f64_e32 v[172:173], v[184:185], v[182:183]
	v_fmac_f64_e32 v[176:177], v[6:7], v[126:127]
	v_fma_f64 v[182:183], v[4:5], v[126:127], -v[128:129]
	ds_load_b128 v[4:7], v2 offset:1040
	s_wait_loadcnt_dscnt 0xb01
	v_mul_f64_e32 v[180:181], v[162:163], v[132:133]
	v_mul_f64_e32 v[132:133], v[164:165], v[132:133]
	scratch_load_b128 v[126:129], off, off offset:368
	v_add_f64_e32 v[174:175], v[174:175], v[178:179]
	s_wait_loadcnt_dscnt 0xb00
	v_mul_f64_e32 v[178:179], v[4:5], v[136:137]
	v_add_f64_e32 v[184:185], v[172:173], v[170:171]
	v_mul_f64_e32 v[136:137], v[6:7], v[136:137]
	ds_load_b128 v[170:173], v2 offset:1056
	v_fmac_f64_e32 v[180:181], v[164:165], v[130:131]
	v_fma_f64 v[162:163], v[162:163], v[130:131], -v[132:133]
	scratch_load_b128 v[130:133], off, off offset:384
	v_add_f64_e32 v[174:175], v[174:175], v[176:177]
	v_fmac_f64_e32 v[178:179], v[6:7], v[134:135]
	v_add_f64_e32 v[164:165], v[184:185], v[182:183]
	v_fma_f64 v[182:183], v[4:5], v[134:135], -v[136:137]
	ds_load_b128 v[4:7], v2 offset:1072
	s_wait_loadcnt_dscnt 0xb01
	v_mul_f64_e32 v[176:177], v[170:171], v[140:141]
	v_mul_f64_e32 v[140:141], v[172:173], v[140:141]
	scratch_load_b128 v[134:137], off, off offset:400
	v_add_f64_e32 v[174:175], v[174:175], v[180:181]
	s_wait_loadcnt_dscnt 0xb00
	v_mul_f64_e32 v[180:181], v[4:5], v[144:145]
	v_add_f64_e32 v[184:185], v[164:165], v[162:163]
	v_mul_f64_e32 v[144:145], v[6:7], v[144:145]
	ds_load_b128 v[162:165], v2 offset:1088
	v_fmac_f64_e32 v[176:177], v[172:173], v[138:139]
	v_fma_f64 v[170:171], v[170:171], v[138:139], -v[140:141]
	scratch_load_b128 v[138:141], off, off offset:416
	v_add_f64_e32 v[174:175], v[174:175], v[178:179]
	v_fmac_f64_e32 v[180:181], v[6:7], v[142:143]
	v_add_f64_e32 v[172:173], v[184:185], v[182:183]
	;; [unrolled: 18-line block ×3, first 2 shown]
	v_fma_f64 v[182:183], v[4:5], v[154:155], -v[156:157]
	ds_load_b128 v[4:7], v2 offset:1136
	s_wait_loadcnt_dscnt 0xa01
	v_mul_f64_e32 v[180:181], v[170:171], v[168:169]
	v_mul_f64_e32 v[168:169], v[172:173], v[168:169]
	scratch_load_b128 v[154:157], off, off offset:464
	v_add_f64_e32 v[174:175], v[174:175], v[178:179]
	v_add_f64_e32 v[184:185], v[164:165], v[162:163]
	s_wait_loadcnt_dscnt 0xa00
	v_mul_f64_e32 v[178:179], v[4:5], v[152:153]
	v_mul_f64_e32 v[152:153], v[6:7], v[152:153]
	v_fmac_f64_e32 v[180:181], v[172:173], v[166:167]
	v_fma_f64 v[170:171], v[170:171], v[166:167], -v[168:169]
	ds_load_b128 v[162:165], v2 offset:1152
	scratch_load_b128 v[166:169], off, off offset:480
	v_add_f64_e32 v[174:175], v[174:175], v[176:177]
	v_add_f64_e32 v[172:173], v[184:185], v[182:183]
	v_fmac_f64_e32 v[178:179], v[6:7], v[150:151]
	v_fma_f64 v[182:183], v[4:5], v[150:151], -v[152:153]
	ds_load_b128 v[4:7], v2 offset:1168
	s_wait_loadcnt_dscnt 0xa01
	v_mul_f64_e32 v[176:177], v[162:163], v[10:11]
	v_mul_f64_e32 v[10:11], v[164:165], v[10:11]
	scratch_load_b128 v[150:153], off, off offset:496
	v_add_f64_e32 v[174:175], v[174:175], v[180:181]
	s_wait_loadcnt_dscnt 0xa00
	v_mul_f64_e32 v[180:181], v[4:5], v[14:15]
	v_add_f64_e32 v[184:185], v[172:173], v[170:171]
	v_mul_f64_e32 v[14:15], v[6:7], v[14:15]
	ds_load_b128 v[170:173], v2 offset:1184
	v_fmac_f64_e32 v[176:177], v[164:165], v[8:9]
	v_fma_f64 v[162:163], v[162:163], v[8:9], -v[10:11]
	scratch_load_b128 v[8:11], off, off offset:512
	v_add_f64_e32 v[174:175], v[174:175], v[178:179]
	v_fmac_f64_e32 v[180:181], v[6:7], v[12:13]
	v_add_f64_e32 v[164:165], v[184:185], v[182:183]
	v_fma_f64 v[182:183], v[4:5], v[12:13], -v[14:15]
	ds_load_b128 v[4:7], v2 offset:1200
	s_wait_loadcnt_dscnt 0xa01
	v_mul_f64_e32 v[178:179], v[170:171], v[124:125]
	v_mul_f64_e32 v[124:125], v[172:173], v[124:125]
	scratch_load_b128 v[12:15], off, off offset:528
	v_add_f64_e32 v[174:175], v[174:175], v[176:177]
	s_wait_loadcnt_dscnt 0xa00
	v_mul_f64_e32 v[176:177], v[4:5], v[128:129]
	v_add_f64_e32 v[184:185], v[164:165], v[162:163]
	v_mul_f64_e32 v[128:129], v[6:7], v[128:129]
	ds_load_b128 v[162:165], v2 offset:1216
	v_fmac_f64_e32 v[178:179], v[172:173], v[122:123]
	v_fma_f64 v[170:171], v[170:171], v[122:123], -v[124:125]
	scratch_load_b128 v[122:125], off, off offset:544
	v_add_f64_e32 v[174:175], v[174:175], v[180:181]
	v_fmac_f64_e32 v[176:177], v[6:7], v[126:127]
	v_add_f64_e32 v[172:173], v[184:185], v[182:183]
	;; [unrolled: 18-line block ×10, first 2 shown]
	v_fma_f64 v[182:183], v[4:5], v[142:143], -v[144:145]
	ds_load_b128 v[4:7], v2 offset:1488
	s_wait_loadcnt_dscnt 0xa01
	v_mul_f64_e32 v[178:179], v[162:163], v[148:149]
	v_mul_f64_e32 v[148:149], v[164:165], v[148:149]
	scratch_load_b128 v[142:145], off, off offset:816
	v_add_f64_e32 v[174:175], v[174:175], v[176:177]
	s_wait_loadcnt_dscnt 0xa00
	v_mul_f64_e32 v[176:177], v[4:5], v[156:157]
	v_add_f64_e32 v[184:185], v[172:173], v[170:171]
	v_mul_f64_e32 v[156:157], v[6:7], v[156:157]
	ds_load_b128 v[170:173], v2 offset:1504
	v_fmac_f64_e32 v[178:179], v[164:165], v[146:147]
	v_fma_f64 v[146:147], v[162:163], v[146:147], -v[148:149]
	s_wait_loadcnt_dscnt 0x900
	v_mul_f64_e32 v[164:165], v[170:171], v[168:169]
	v_mul_f64_e32 v[168:169], v[172:173], v[168:169]
	v_add_f64_e32 v[162:163], v[174:175], v[180:181]
	v_fmac_f64_e32 v[176:177], v[6:7], v[154:155]
	v_add_f64_e32 v[148:149], v[184:185], v[182:183]
	v_fma_f64 v[154:155], v[4:5], v[154:155], -v[156:157]
	v_fmac_f64_e32 v[164:165], v[172:173], v[166:167]
	v_fma_f64 v[166:167], v[170:171], v[166:167], -v[168:169]
	v_add_f64_e32 v[162:163], v[162:163], v[178:179]
	v_add_f64_e32 v[156:157], v[148:149], v[146:147]
	ds_load_b128 v[4:7], v2 offset:1520
	ds_load_b128 v[146:149], v2 offset:1536
	s_wait_loadcnt_dscnt 0x801
	v_mul_f64_e32 v[174:175], v[4:5], v[152:153]
	v_mul_f64_e32 v[152:153], v[6:7], v[152:153]
	v_add_f64_e32 v[154:155], v[156:157], v[154:155]
	v_add_f64_e32 v[156:157], v[162:163], v[176:177]
	s_wait_loadcnt_dscnt 0x700
	v_mul_f64_e32 v[162:163], v[146:147], v[10:11]
	v_mul_f64_e32 v[10:11], v[148:149], v[10:11]
	v_fmac_f64_e32 v[174:175], v[6:7], v[150:151]
	v_fma_f64 v[168:169], v[4:5], v[150:151], -v[152:153]
	ds_load_b128 v[4:7], v2 offset:1552
	ds_load_b128 v[150:153], v2 offset:1568
	v_add_f64_e32 v[154:155], v[154:155], v[166:167]
	v_add_f64_e32 v[156:157], v[156:157], v[164:165]
	v_fmac_f64_e32 v[162:163], v[148:149], v[8:9]
	v_fma_f64 v[8:9], v[146:147], v[8:9], -v[10:11]
	s_wait_loadcnt_dscnt 0x601
	v_mul_f64_e32 v[164:165], v[4:5], v[14:15]
	v_mul_f64_e32 v[14:15], v[6:7], v[14:15]
	s_wait_loadcnt_dscnt 0x500
	v_mul_f64_e32 v[148:149], v[150:151], v[124:125]
	v_mul_f64_e32 v[124:125], v[152:153], v[124:125]
	v_add_f64_e32 v[10:11], v[154:155], v[168:169]
	v_add_f64_e32 v[146:147], v[156:157], v[174:175]
	v_fmac_f64_e32 v[164:165], v[6:7], v[12:13]
	v_fma_f64 v[12:13], v[4:5], v[12:13], -v[14:15]
	v_fmac_f64_e32 v[148:149], v[152:153], v[122:123]
	v_fma_f64 v[122:123], v[150:151], v[122:123], -v[124:125]
	v_add_f64_e32 v[14:15], v[10:11], v[8:9]
	v_add_f64_e32 v[146:147], v[146:147], v[162:163]
	ds_load_b128 v[4:7], v2 offset:1584
	ds_load_b128 v[8:11], v2 offset:1600
	s_wait_loadcnt_dscnt 0x401
	v_mul_f64_e32 v[154:155], v[4:5], v[128:129]
	v_mul_f64_e32 v[128:129], v[6:7], v[128:129]
	s_wait_loadcnt_dscnt 0x300
	v_mul_f64_e32 v[124:125], v[8:9], v[132:133]
	v_mul_f64_e32 v[132:133], v[10:11], v[132:133]
	v_add_f64_e32 v[12:13], v[14:15], v[12:13]
	v_add_f64_e32 v[14:15], v[146:147], v[164:165]
	v_fmac_f64_e32 v[154:155], v[6:7], v[126:127]
	v_fma_f64 v[126:127], v[4:5], v[126:127], -v[128:129]
	v_fmac_f64_e32 v[124:125], v[10:11], v[130:131]
	v_fma_f64 v[8:9], v[8:9], v[130:131], -v[132:133]
	v_add_f64_e32 v[122:123], v[12:13], v[122:123]
	v_add_f64_e32 v[128:129], v[14:15], v[148:149]
	ds_load_b128 v[4:7], v2 offset:1616
	ds_load_b128 v[12:15], v2 offset:1632
	s_wait_loadcnt_dscnt 0x201
	v_mul_f64_e32 v[146:147], v[4:5], v[136:137]
	v_mul_f64_e32 v[136:137], v[6:7], v[136:137]
	v_add_f64_e32 v[10:11], v[122:123], v[126:127]
	v_add_f64_e32 v[122:123], v[128:129], v[154:155]
	s_wait_loadcnt_dscnt 0x100
	v_mul_f64_e32 v[126:127], v[12:13], v[140:141]
	v_mul_f64_e32 v[128:129], v[14:15], v[140:141]
	v_fmac_f64_e32 v[146:147], v[6:7], v[134:135]
	v_fma_f64 v[130:131], v[4:5], v[134:135], -v[136:137]
	ds_load_b128 v[4:7], v2 offset:1648
	v_add_f64_e32 v[8:9], v[10:11], v[8:9]
	v_add_f64_e32 v[10:11], v[122:123], v[124:125]
	v_fmac_f64_e32 v[126:127], v[14:15], v[138:139]
	v_fma_f64 v[12:13], v[12:13], v[138:139], -v[128:129]
	s_wait_loadcnt_dscnt 0x0
	v_mul_f64_e32 v[122:123], v[4:5], v[144:145]
	v_mul_f64_e32 v[124:125], v[6:7], v[144:145]
	v_add_f64_e32 v[8:9], v[8:9], v[130:131]
	v_add_f64_e32 v[10:11], v[10:11], v[146:147]
	s_delay_alu instid0(VALU_DEP_4) | instskip(NEXT) | instid1(VALU_DEP_4)
	v_fmac_f64_e32 v[122:123], v[6:7], v[142:143]
	v_fma_f64 v[4:5], v[4:5], v[142:143], -v[124:125]
	s_delay_alu instid0(VALU_DEP_4) | instskip(NEXT) | instid1(VALU_DEP_4)
	v_add_f64_e32 v[6:7], v[8:9], v[12:13]
	v_add_f64_e32 v[8:9], v[10:11], v[126:127]
	s_delay_alu instid0(VALU_DEP_2) | instskip(NEXT) | instid1(VALU_DEP_2)
	v_add_f64_e32 v[4:5], v[6:7], v[4:5]
	v_add_f64_e32 v[6:7], v[8:9], v[122:123]
	s_delay_alu instid0(VALU_DEP_2) | instskip(NEXT) | instid1(VALU_DEP_2)
	v_add_f64_e64 v[4:5], v[158:159], -v[4:5]
	v_add_f64_e64 v[6:7], v[160:161], -v[6:7]
	scratch_store_b128 off, v[4:7], off offset:96
	s_wait_xcnt 0x0
	v_cmpx_lt_u32_e32 5, v1
	s_cbranch_execz .LBB51_315
; %bb.314:
	scratch_load_b128 v[6:9], off, s55
	v_dual_mov_b32 v3, v2 :: v_dual_mov_b32 v4, v2
	v_mov_b32_e32 v5, v2
	scratch_store_b128 off, v[2:5], off offset:80
	s_wait_loadcnt 0x0
	ds_store_b128 v120, v[6:9]
.LBB51_315:
	s_wait_xcnt 0x0
	s_or_b32 exec_lo, exec_lo, s2
	s_wait_storecnt_dscnt 0x0
	s_barrier_signal -1
	s_barrier_wait -1
	s_clause 0x9
	scratch_load_b128 v[4:7], off, off offset:96
	scratch_load_b128 v[8:11], off, off offset:112
	;; [unrolled: 1-line block ×10, first 2 shown]
	ds_load_b128 v[150:153], v2 offset:928
	ds_load_b128 v[158:161], v2 offset:944
	s_clause 0x2
	scratch_load_b128 v[154:157], off, off offset:256
	scratch_load_b128 v[162:165], off, off offset:80
	scratch_load_b128 v[166:169], off, off offset:272
	s_mov_b32 s2, exec_lo
	s_wait_loadcnt_dscnt 0xc01
	v_mul_f64_e32 v[170:171], v[152:153], v[6:7]
	v_mul_f64_e32 v[174:175], v[150:151], v[6:7]
	s_wait_loadcnt_dscnt 0xb00
	v_mul_f64_e32 v[176:177], v[158:159], v[10:11]
	v_mul_f64_e32 v[10:11], v[160:161], v[10:11]
	s_delay_alu instid0(VALU_DEP_4) | instskip(NEXT) | instid1(VALU_DEP_4)
	v_fma_f64 v[178:179], v[150:151], v[4:5], -v[170:171]
	v_fmac_f64_e32 v[174:175], v[152:153], v[4:5]
	ds_load_b128 v[4:7], v2 offset:960
	ds_load_b128 v[150:153], v2 offset:976
	scratch_load_b128 v[170:173], off, off offset:288
	v_fmac_f64_e32 v[176:177], v[160:161], v[8:9]
	v_fma_f64 v[158:159], v[158:159], v[8:9], -v[10:11]
	scratch_load_b128 v[8:11], off, off offset:304
	s_wait_loadcnt_dscnt 0xc01
	v_mul_f64_e32 v[180:181], v[4:5], v[14:15]
	v_mul_f64_e32 v[14:15], v[6:7], v[14:15]
	v_add_f64_e32 v[160:161], 0, v[178:179]
	v_add_f64_e32 v[174:175], 0, v[174:175]
	s_wait_loadcnt_dscnt 0xb00
	v_mul_f64_e32 v[178:179], v[150:151], v[124:125]
	v_mul_f64_e32 v[124:125], v[152:153], v[124:125]
	v_fmac_f64_e32 v[180:181], v[6:7], v[12:13]
	v_fma_f64 v[182:183], v[4:5], v[12:13], -v[14:15]
	ds_load_b128 v[4:7], v2 offset:992
	ds_load_b128 v[12:15], v2 offset:1008
	v_add_f64_e32 v[184:185], v[160:161], v[158:159]
	v_add_f64_e32 v[174:175], v[174:175], v[176:177]
	scratch_load_b128 v[158:161], off, off offset:320
	v_fmac_f64_e32 v[178:179], v[152:153], v[122:123]
	v_fma_f64 v[150:151], v[150:151], v[122:123], -v[124:125]
	scratch_load_b128 v[122:125], off, off offset:336
	s_wait_loadcnt_dscnt 0xc01
	v_mul_f64_e32 v[176:177], v[4:5], v[128:129]
	v_mul_f64_e32 v[128:129], v[6:7], v[128:129]
	v_add_f64_e32 v[152:153], v[184:185], v[182:183]
	v_add_f64_e32 v[174:175], v[174:175], v[180:181]
	s_wait_loadcnt_dscnt 0xb00
	v_mul_f64_e32 v[180:181], v[12:13], v[132:133]
	v_mul_f64_e32 v[132:133], v[14:15], v[132:133]
	v_fmac_f64_e32 v[176:177], v[6:7], v[126:127]
	v_fma_f64 v[182:183], v[4:5], v[126:127], -v[128:129]
	ds_load_b128 v[4:7], v2 offset:1024
	ds_load_b128 v[126:129], v2 offset:1040
	v_add_f64_e32 v[184:185], v[152:153], v[150:151]
	v_add_f64_e32 v[174:175], v[174:175], v[178:179]
	scratch_load_b128 v[150:153], off, off offset:352
	s_wait_loadcnt_dscnt 0xb01
	v_mul_f64_e32 v[178:179], v[4:5], v[136:137]
	v_mul_f64_e32 v[136:137], v[6:7], v[136:137]
	v_fmac_f64_e32 v[180:181], v[14:15], v[130:131]
	v_fma_f64 v[130:131], v[12:13], v[130:131], -v[132:133]
	scratch_load_b128 v[12:15], off, off offset:368
	v_add_f64_e32 v[132:133], v[184:185], v[182:183]
	v_add_f64_e32 v[174:175], v[174:175], v[176:177]
	s_wait_loadcnt_dscnt 0xb00
	v_mul_f64_e32 v[176:177], v[126:127], v[140:141]
	v_mul_f64_e32 v[140:141], v[128:129], v[140:141]
	v_fmac_f64_e32 v[178:179], v[6:7], v[134:135]
	v_fma_f64 v[182:183], v[4:5], v[134:135], -v[136:137]
	v_add_f64_e32 v[184:185], v[132:133], v[130:131]
	v_add_f64_e32 v[174:175], v[174:175], v[180:181]
	ds_load_b128 v[4:7], v2 offset:1056
	ds_load_b128 v[130:133], v2 offset:1072
	scratch_load_b128 v[134:137], off, off offset:384
	v_fmac_f64_e32 v[176:177], v[128:129], v[138:139]
	v_fma_f64 v[138:139], v[126:127], v[138:139], -v[140:141]
	scratch_load_b128 v[126:129], off, off offset:400
	s_wait_loadcnt_dscnt 0xc01
	v_mul_f64_e32 v[180:181], v[4:5], v[144:145]
	v_mul_f64_e32 v[144:145], v[6:7], v[144:145]
	v_add_f64_e32 v[140:141], v[184:185], v[182:183]
	v_add_f64_e32 v[174:175], v[174:175], v[178:179]
	s_wait_loadcnt_dscnt 0xb00
	v_mul_f64_e32 v[178:179], v[130:131], v[148:149]
	v_mul_f64_e32 v[148:149], v[132:133], v[148:149]
	v_fmac_f64_e32 v[180:181], v[6:7], v[142:143]
	v_fma_f64 v[182:183], v[4:5], v[142:143], -v[144:145]
	v_add_f64_e32 v[184:185], v[140:141], v[138:139]
	v_add_f64_e32 v[174:175], v[174:175], v[176:177]
	ds_load_b128 v[4:7], v2 offset:1088
	ds_load_b128 v[138:141], v2 offset:1104
	scratch_load_b128 v[142:145], off, off offset:416
	v_fmac_f64_e32 v[178:179], v[132:133], v[146:147]
	v_fma_f64 v[146:147], v[130:131], v[146:147], -v[148:149]
	scratch_load_b128 v[130:133], off, off offset:432
	s_wait_loadcnt_dscnt 0xc01
	v_mul_f64_e32 v[176:177], v[4:5], v[156:157]
	v_mul_f64_e32 v[156:157], v[6:7], v[156:157]
	;; [unrolled: 18-line block ×5, first 2 shown]
	v_add_f64_e32 v[168:169], v[184:185], v[182:183]
	v_add_f64_e32 v[174:175], v[174:175], v[180:181]
	s_wait_loadcnt_dscnt 0xa00
	v_mul_f64_e32 v[180:181], v[146:147], v[14:15]
	v_mul_f64_e32 v[14:15], v[148:149], v[14:15]
	v_fmac_f64_e32 v[176:177], v[6:7], v[150:151]
	v_fma_f64 v[182:183], v[4:5], v[150:151], -v[152:153]
	ds_load_b128 v[4:7], v2 offset:1216
	ds_load_b128 v[150:153], v2 offset:1232
	v_add_f64_e32 v[184:185], v[168:169], v[166:167]
	v_add_f64_e32 v[174:175], v[174:175], v[178:179]
	scratch_load_b128 v[166:169], off, off offset:544
	v_fmac_f64_e32 v[180:181], v[148:149], v[12:13]
	v_fma_f64 v[146:147], v[146:147], v[12:13], -v[14:15]
	scratch_load_b128 v[12:15], off, off offset:560
	s_wait_loadcnt_dscnt 0xb01
	v_mul_f64_e32 v[178:179], v[4:5], v[136:137]
	v_mul_f64_e32 v[136:137], v[6:7], v[136:137]
	v_add_f64_e32 v[148:149], v[184:185], v[182:183]
	v_add_f64_e32 v[174:175], v[174:175], v[176:177]
	s_wait_loadcnt_dscnt 0xa00
	v_mul_f64_e32 v[176:177], v[150:151], v[128:129]
	v_mul_f64_e32 v[128:129], v[152:153], v[128:129]
	v_fmac_f64_e32 v[178:179], v[6:7], v[134:135]
	v_fma_f64 v[182:183], v[4:5], v[134:135], -v[136:137]
	ds_load_b128 v[4:7], v2 offset:1248
	ds_load_b128 v[134:137], v2 offset:1264
	v_add_f64_e32 v[184:185], v[148:149], v[146:147]
	v_add_f64_e32 v[174:175], v[174:175], v[180:181]
	scratch_load_b128 v[146:149], off, off offset:576
	s_wait_loadcnt_dscnt 0xa01
	v_mul_f64_e32 v[180:181], v[4:5], v[144:145]
	v_mul_f64_e32 v[144:145], v[6:7], v[144:145]
	v_fmac_f64_e32 v[176:177], v[152:153], v[126:127]
	v_fma_f64 v[150:151], v[150:151], v[126:127], -v[128:129]
	scratch_load_b128 v[126:129], off, off offset:592
	v_add_f64_e32 v[152:153], v[184:185], v[182:183]
	v_add_f64_e32 v[174:175], v[174:175], v[178:179]
	s_wait_loadcnt_dscnt 0xa00
	v_mul_f64_e32 v[178:179], v[134:135], v[132:133]
	v_mul_f64_e32 v[132:133], v[136:137], v[132:133]
	v_fmac_f64_e32 v[180:181], v[6:7], v[142:143]
	v_fma_f64 v[182:183], v[4:5], v[142:143], -v[144:145]
	ds_load_b128 v[4:7], v2 offset:1280
	ds_load_b128 v[142:145], v2 offset:1296
	v_add_f64_e32 v[184:185], v[152:153], v[150:151]
	v_add_f64_e32 v[174:175], v[174:175], v[176:177]
	scratch_load_b128 v[150:153], off, off offset:608
	s_wait_loadcnt_dscnt 0xa01
	v_mul_f64_e32 v[176:177], v[4:5], v[156:157]
	v_mul_f64_e32 v[156:157], v[6:7], v[156:157]
	v_fmac_f64_e32 v[178:179], v[136:137], v[130:131]
	v_fma_f64 v[134:135], v[134:135], v[130:131], -v[132:133]
	scratch_load_b128 v[130:133], off, off offset:624
	v_add_f64_e32 v[136:137], v[184:185], v[182:183]
	v_add_f64_e32 v[174:175], v[174:175], v[180:181]
	s_wait_loadcnt_dscnt 0xa00
	v_mul_f64_e32 v[180:181], v[142:143], v[140:141]
	v_mul_f64_e32 v[140:141], v[144:145], v[140:141]
	v_fmac_f64_e32 v[176:177], v[6:7], v[154:155]
	v_fma_f64 v[182:183], v[4:5], v[154:155], -v[156:157]
	v_add_f64_e32 v[184:185], v[136:137], v[134:135]
	v_add_f64_e32 v[174:175], v[174:175], v[178:179]
	ds_load_b128 v[4:7], v2 offset:1312
	ds_load_b128 v[134:137], v2 offset:1328
	scratch_load_b128 v[154:157], off, off offset:640
	v_fmac_f64_e32 v[180:181], v[144:145], v[138:139]
	v_fma_f64 v[142:143], v[142:143], v[138:139], -v[140:141]
	scratch_load_b128 v[138:141], off, off offset:656
	s_wait_loadcnt_dscnt 0xb01
	v_mul_f64_e32 v[178:179], v[4:5], v[172:173]
	v_mul_f64_e32 v[172:173], v[6:7], v[172:173]
	v_add_f64_e32 v[144:145], v[184:185], v[182:183]
	v_add_f64_e32 v[174:175], v[174:175], v[176:177]
	s_wait_loadcnt_dscnt 0xa00
	v_mul_f64_e32 v[176:177], v[134:135], v[10:11]
	v_mul_f64_e32 v[10:11], v[136:137], v[10:11]
	v_fmac_f64_e32 v[178:179], v[6:7], v[170:171]
	v_fma_f64 v[182:183], v[4:5], v[170:171], -v[172:173]
	v_add_f64_e32 v[184:185], v[144:145], v[142:143]
	v_add_f64_e32 v[174:175], v[174:175], v[180:181]
	ds_load_b128 v[4:7], v2 offset:1344
	ds_load_b128 v[142:145], v2 offset:1360
	scratch_load_b128 v[170:173], off, off offset:672
	v_fmac_f64_e32 v[176:177], v[136:137], v[8:9]
	v_fma_f64 v[134:135], v[134:135], v[8:9], -v[10:11]
	scratch_load_b128 v[8:11], off, off offset:688
	s_wait_loadcnt_dscnt 0xb01
	v_mul_f64_e32 v[180:181], v[4:5], v[160:161]
	v_mul_f64_e32 v[160:161], v[6:7], v[160:161]
	;; [unrolled: 18-line block ×6, first 2 shown]
	v_add_f64_e32 v[136:137], v[184:185], v[182:183]
	v_add_f64_e32 v[174:175], v[174:175], v[180:181]
	s_wait_loadcnt_dscnt 0xa00
	v_mul_f64_e32 v[180:181], v[142:143], v[140:141]
	v_mul_f64_e32 v[140:141], v[144:145], v[140:141]
	v_fmac_f64_e32 v[176:177], v[6:7], v[154:155]
	v_fma_f64 v[154:155], v[4:5], v[154:155], -v[156:157]
	v_add_f64_e32 v[156:157], v[136:137], v[134:135]
	v_add_f64_e32 v[174:175], v[174:175], v[178:179]
	ds_load_b128 v[4:7], v2 offset:1504
	ds_load_b128 v[134:137], v2 offset:1520
	v_fmac_f64_e32 v[180:181], v[144:145], v[138:139]
	v_fma_f64 v[138:139], v[142:143], v[138:139], -v[140:141]
	s_wait_loadcnt_dscnt 0x901
	v_mul_f64_e32 v[178:179], v[4:5], v[172:173]
	v_mul_f64_e32 v[172:173], v[6:7], v[172:173]
	s_wait_loadcnt_dscnt 0x800
	v_mul_f64_e32 v[144:145], v[134:135], v[10:11]
	v_mul_f64_e32 v[10:11], v[136:137], v[10:11]
	v_add_f64_e32 v[140:141], v[156:157], v[154:155]
	v_add_f64_e32 v[142:143], v[174:175], v[176:177]
	v_fmac_f64_e32 v[178:179], v[6:7], v[170:171]
	v_fma_f64 v[154:155], v[4:5], v[170:171], -v[172:173]
	v_fmac_f64_e32 v[144:145], v[136:137], v[8:9]
	v_fma_f64 v[8:9], v[134:135], v[8:9], -v[10:11]
	v_add_f64_e32 v[156:157], v[140:141], v[138:139]
	v_add_f64_e32 v[142:143], v[142:143], v[180:181]
	ds_load_b128 v[4:7], v2 offset:1536
	ds_load_b128 v[138:141], v2 offset:1552
	s_wait_loadcnt_dscnt 0x701
	v_mul_f64_e32 v[170:171], v[4:5], v[160:161]
	v_mul_f64_e32 v[160:161], v[6:7], v[160:161]
	s_wait_loadcnt_dscnt 0x600
	v_mul_f64_e32 v[136:137], v[138:139], v[124:125]
	v_mul_f64_e32 v[124:125], v[140:141], v[124:125]
	v_add_f64_e32 v[10:11], v[156:157], v[154:155]
	v_add_f64_e32 v[134:135], v[142:143], v[178:179]
	v_fmac_f64_e32 v[170:171], v[6:7], v[158:159]
	v_fma_f64 v[142:143], v[4:5], v[158:159], -v[160:161]
	v_fmac_f64_e32 v[136:137], v[140:141], v[122:123]
	v_fma_f64 v[122:123], v[138:139], v[122:123], -v[124:125]
	v_add_f64_e32 v[154:155], v[10:11], v[8:9]
	v_add_f64_e32 v[134:135], v[134:135], v[144:145]
	ds_load_b128 v[4:7], v2 offset:1568
	ds_load_b128 v[8:11], v2 offset:1584
	;; [unrolled: 16-line block ×4, first 2 shown]
	s_wait_loadcnt_dscnt 0x101
	v_mul_f64_e32 v[2:3], v[4:5], v[152:153]
	v_mul_f64_e32 v[138:139], v[6:7], v[152:153]
	s_wait_loadcnt_dscnt 0x0
	v_mul_f64_e32 v[126:127], v[8:9], v[132:133]
	v_mul_f64_e32 v[128:129], v[10:11], v[132:133]
	v_add_f64_e32 v[124:125], v[140:141], v[134:135]
	v_add_f64_e32 v[12:13], v[12:13], v[136:137]
	v_fmac_f64_e32 v[2:3], v[6:7], v[150:151]
	v_fma_f64 v[4:5], v[4:5], v[150:151], -v[138:139]
	v_fmac_f64_e32 v[126:127], v[10:11], v[130:131]
	v_fma_f64 v[8:9], v[8:9], v[130:131], -v[128:129]
	v_add_f64_e32 v[6:7], v[124:125], v[122:123]
	v_add_f64_e32 v[12:13], v[12:13], v[14:15]
	s_delay_alu instid0(VALU_DEP_2) | instskip(NEXT) | instid1(VALU_DEP_2)
	v_add_f64_e32 v[4:5], v[6:7], v[4:5]
	v_add_f64_e32 v[2:3], v[12:13], v[2:3]
	s_delay_alu instid0(VALU_DEP_2) | instskip(NEXT) | instid1(VALU_DEP_2)
	;; [unrolled: 3-line block ×3, first 2 shown]
	v_add_f64_e64 v[2:3], v[162:163], -v[4:5]
	v_add_f64_e64 v[4:5], v[164:165], -v[6:7]
	scratch_store_b128 off, v[2:5], off offset:80
	s_wait_xcnt 0x0
	v_cmpx_lt_u32_e32 4, v1
	s_cbranch_execz .LBB51_317
; %bb.316:
	scratch_load_b128 v[2:5], off, s35
	v_mov_b32_e32 v6, 0
	s_delay_alu instid0(VALU_DEP_1)
	v_dual_mov_b32 v7, v6 :: v_dual_mov_b32 v8, v6
	v_mov_b32_e32 v9, v6
	scratch_store_b128 off, v[6:9], off offset:64
	s_wait_loadcnt 0x0
	ds_store_b128 v120, v[2:5]
.LBB51_317:
	s_wait_xcnt 0x0
	s_or_b32 exec_lo, exec_lo, s2
	s_wait_storecnt_dscnt 0x0
	s_barrier_signal -1
	s_barrier_wait -1
	s_clause 0x9
	scratch_load_b128 v[4:7], off, off offset:80
	scratch_load_b128 v[8:11], off, off offset:96
	;; [unrolled: 1-line block ×10, first 2 shown]
	v_mov_b32_e32 v2, 0
	s_mov_b32 s2, exec_lo
	ds_load_b128 v[150:153], v2 offset:912
	s_clause 0x2
	scratch_load_b128 v[154:157], off, off offset:240
	scratch_load_b128 v[158:161], off, off offset:64
	;; [unrolled: 1-line block ×3, first 2 shown]
	s_wait_loadcnt_dscnt 0xc00
	v_mul_f64_e32 v[170:171], v[152:153], v[6:7]
	v_mul_f64_e32 v[174:175], v[150:151], v[6:7]
	ds_load_b128 v[162:165], v2 offset:928
	v_fma_f64 v[178:179], v[150:151], v[4:5], -v[170:171]
	v_fmac_f64_e32 v[174:175], v[152:153], v[4:5]
	ds_load_b128 v[4:7], v2 offset:944
	s_wait_loadcnt_dscnt 0xb01
	v_mul_f64_e32 v[176:177], v[162:163], v[10:11]
	v_mul_f64_e32 v[10:11], v[164:165], v[10:11]
	scratch_load_b128 v[150:153], off, off offset:272
	ds_load_b128 v[170:173], v2 offset:960
	s_wait_loadcnt_dscnt 0xb01
	v_mul_f64_e32 v[180:181], v[4:5], v[14:15]
	v_mul_f64_e32 v[14:15], v[6:7], v[14:15]
	v_add_f64_e32 v[174:175], 0, v[174:175]
	v_fmac_f64_e32 v[176:177], v[164:165], v[8:9]
	v_fma_f64 v[162:163], v[162:163], v[8:9], -v[10:11]
	v_add_f64_e32 v[164:165], 0, v[178:179]
	scratch_load_b128 v[8:11], off, off offset:288
	v_fmac_f64_e32 v[180:181], v[6:7], v[12:13]
	v_fma_f64 v[182:183], v[4:5], v[12:13], -v[14:15]
	ds_load_b128 v[4:7], v2 offset:976
	s_wait_loadcnt_dscnt 0xb01
	v_mul_f64_e32 v[178:179], v[170:171], v[124:125]
	v_mul_f64_e32 v[124:125], v[172:173], v[124:125]
	scratch_load_b128 v[12:15], off, off offset:304
	v_add_f64_e32 v[174:175], v[174:175], v[176:177]
	v_add_f64_e32 v[184:185], v[164:165], v[162:163]
	ds_load_b128 v[162:165], v2 offset:992
	s_wait_loadcnt_dscnt 0xb01
	v_mul_f64_e32 v[176:177], v[4:5], v[128:129]
	v_mul_f64_e32 v[128:129], v[6:7], v[128:129]
	v_fmac_f64_e32 v[178:179], v[172:173], v[122:123]
	v_fma_f64 v[170:171], v[170:171], v[122:123], -v[124:125]
	scratch_load_b128 v[122:125], off, off offset:320
	v_add_f64_e32 v[174:175], v[174:175], v[180:181]
	v_add_f64_e32 v[172:173], v[184:185], v[182:183]
	v_fmac_f64_e32 v[176:177], v[6:7], v[126:127]
	v_fma_f64 v[182:183], v[4:5], v[126:127], -v[128:129]
	ds_load_b128 v[4:7], v2 offset:1008
	s_wait_loadcnt_dscnt 0xb01
	v_mul_f64_e32 v[180:181], v[162:163], v[132:133]
	v_mul_f64_e32 v[132:133], v[164:165], v[132:133]
	scratch_load_b128 v[126:129], off, off offset:336
	v_add_f64_e32 v[174:175], v[174:175], v[178:179]
	s_wait_loadcnt_dscnt 0xb00
	v_mul_f64_e32 v[178:179], v[4:5], v[136:137]
	v_add_f64_e32 v[184:185], v[172:173], v[170:171]
	v_mul_f64_e32 v[136:137], v[6:7], v[136:137]
	ds_load_b128 v[170:173], v2 offset:1024
	v_fmac_f64_e32 v[180:181], v[164:165], v[130:131]
	v_fma_f64 v[162:163], v[162:163], v[130:131], -v[132:133]
	scratch_load_b128 v[130:133], off, off offset:352
	v_add_f64_e32 v[174:175], v[174:175], v[176:177]
	v_fmac_f64_e32 v[178:179], v[6:7], v[134:135]
	v_add_f64_e32 v[164:165], v[184:185], v[182:183]
	v_fma_f64 v[182:183], v[4:5], v[134:135], -v[136:137]
	ds_load_b128 v[4:7], v2 offset:1040
	s_wait_loadcnt_dscnt 0xb01
	v_mul_f64_e32 v[176:177], v[170:171], v[140:141]
	v_mul_f64_e32 v[140:141], v[172:173], v[140:141]
	scratch_load_b128 v[134:137], off, off offset:368
	v_add_f64_e32 v[174:175], v[174:175], v[180:181]
	s_wait_loadcnt_dscnt 0xb00
	v_mul_f64_e32 v[180:181], v[4:5], v[144:145]
	v_add_f64_e32 v[184:185], v[164:165], v[162:163]
	v_mul_f64_e32 v[144:145], v[6:7], v[144:145]
	ds_load_b128 v[162:165], v2 offset:1056
	v_fmac_f64_e32 v[176:177], v[172:173], v[138:139]
	v_fma_f64 v[170:171], v[170:171], v[138:139], -v[140:141]
	scratch_load_b128 v[138:141], off, off offset:384
	v_add_f64_e32 v[174:175], v[174:175], v[178:179]
	v_fmac_f64_e32 v[180:181], v[6:7], v[142:143]
	v_add_f64_e32 v[172:173], v[184:185], v[182:183]
	;; [unrolled: 18-line block ×3, first 2 shown]
	v_fma_f64 v[182:183], v[4:5], v[154:155], -v[156:157]
	ds_load_b128 v[4:7], v2 offset:1104
	s_wait_loadcnt_dscnt 0xa01
	v_mul_f64_e32 v[180:181], v[170:171], v[168:169]
	v_mul_f64_e32 v[168:169], v[172:173], v[168:169]
	scratch_load_b128 v[154:157], off, off offset:432
	v_add_f64_e32 v[174:175], v[174:175], v[178:179]
	v_add_f64_e32 v[184:185], v[164:165], v[162:163]
	s_wait_loadcnt_dscnt 0xa00
	v_mul_f64_e32 v[178:179], v[4:5], v[152:153]
	v_mul_f64_e32 v[152:153], v[6:7], v[152:153]
	v_fmac_f64_e32 v[180:181], v[172:173], v[166:167]
	v_fma_f64 v[170:171], v[170:171], v[166:167], -v[168:169]
	ds_load_b128 v[162:165], v2 offset:1120
	scratch_load_b128 v[166:169], off, off offset:448
	v_add_f64_e32 v[174:175], v[174:175], v[176:177]
	v_add_f64_e32 v[172:173], v[184:185], v[182:183]
	v_fmac_f64_e32 v[178:179], v[6:7], v[150:151]
	v_fma_f64 v[182:183], v[4:5], v[150:151], -v[152:153]
	ds_load_b128 v[4:7], v2 offset:1136
	s_wait_loadcnt_dscnt 0xa01
	v_mul_f64_e32 v[176:177], v[162:163], v[10:11]
	v_mul_f64_e32 v[10:11], v[164:165], v[10:11]
	scratch_load_b128 v[150:153], off, off offset:464
	v_add_f64_e32 v[174:175], v[174:175], v[180:181]
	s_wait_loadcnt_dscnt 0xa00
	v_mul_f64_e32 v[180:181], v[4:5], v[14:15]
	v_add_f64_e32 v[184:185], v[172:173], v[170:171]
	v_mul_f64_e32 v[14:15], v[6:7], v[14:15]
	ds_load_b128 v[170:173], v2 offset:1152
	v_fmac_f64_e32 v[176:177], v[164:165], v[8:9]
	v_fma_f64 v[162:163], v[162:163], v[8:9], -v[10:11]
	scratch_load_b128 v[8:11], off, off offset:480
	v_add_f64_e32 v[174:175], v[174:175], v[178:179]
	v_fmac_f64_e32 v[180:181], v[6:7], v[12:13]
	v_add_f64_e32 v[164:165], v[184:185], v[182:183]
	v_fma_f64 v[182:183], v[4:5], v[12:13], -v[14:15]
	ds_load_b128 v[4:7], v2 offset:1168
	s_wait_loadcnt_dscnt 0xa01
	v_mul_f64_e32 v[178:179], v[170:171], v[124:125]
	v_mul_f64_e32 v[124:125], v[172:173], v[124:125]
	scratch_load_b128 v[12:15], off, off offset:496
	v_add_f64_e32 v[174:175], v[174:175], v[176:177]
	s_wait_loadcnt_dscnt 0xa00
	v_mul_f64_e32 v[176:177], v[4:5], v[128:129]
	v_add_f64_e32 v[184:185], v[164:165], v[162:163]
	v_mul_f64_e32 v[128:129], v[6:7], v[128:129]
	ds_load_b128 v[162:165], v2 offset:1184
	v_fmac_f64_e32 v[178:179], v[172:173], v[122:123]
	v_fma_f64 v[170:171], v[170:171], v[122:123], -v[124:125]
	scratch_load_b128 v[122:125], off, off offset:512
	v_add_f64_e32 v[174:175], v[174:175], v[180:181]
	v_fmac_f64_e32 v[176:177], v[6:7], v[126:127]
	v_add_f64_e32 v[172:173], v[184:185], v[182:183]
	;; [unrolled: 18-line block ×11, first 2 shown]
	v_fma_f64 v[182:183], v[4:5], v[154:155], -v[156:157]
	ds_load_b128 v[4:7], v2 offset:1488
	s_wait_loadcnt_dscnt 0xa01
	v_mul_f64_e32 v[180:181], v[170:171], v[168:169]
	v_mul_f64_e32 v[168:169], v[172:173], v[168:169]
	scratch_load_b128 v[154:157], off, off offset:816
	v_add_f64_e32 v[174:175], v[174:175], v[178:179]
	s_wait_loadcnt_dscnt 0xa00
	v_mul_f64_e32 v[178:179], v[4:5], v[152:153]
	v_add_f64_e32 v[184:185], v[164:165], v[162:163]
	v_mul_f64_e32 v[152:153], v[6:7], v[152:153]
	ds_load_b128 v[162:165], v2 offset:1504
	v_fmac_f64_e32 v[180:181], v[172:173], v[166:167]
	v_fma_f64 v[166:167], v[170:171], v[166:167], -v[168:169]
	s_wait_loadcnt_dscnt 0x900
	v_mul_f64_e32 v[172:173], v[162:163], v[10:11]
	v_mul_f64_e32 v[10:11], v[164:165], v[10:11]
	v_add_f64_e32 v[170:171], v[174:175], v[176:177]
	v_fmac_f64_e32 v[178:179], v[6:7], v[150:151]
	v_add_f64_e32 v[168:169], v[184:185], v[182:183]
	v_fma_f64 v[174:175], v[4:5], v[150:151], -v[152:153]
	ds_load_b128 v[4:7], v2 offset:1520
	ds_load_b128 v[150:153], v2 offset:1536
	v_fmac_f64_e32 v[172:173], v[164:165], v[8:9]
	v_fma_f64 v[8:9], v[162:163], v[8:9], -v[10:11]
	v_add_f64_e32 v[166:167], v[168:169], v[166:167]
	v_add_f64_e32 v[168:169], v[170:171], v[180:181]
	s_wait_loadcnt_dscnt 0x801
	v_mul_f64_e32 v[170:171], v[4:5], v[14:15]
	v_mul_f64_e32 v[14:15], v[6:7], v[14:15]
	s_wait_loadcnt_dscnt 0x700
	v_mul_f64_e32 v[164:165], v[150:151], v[124:125]
	v_mul_f64_e32 v[124:125], v[152:153], v[124:125]
	v_add_f64_e32 v[10:11], v[166:167], v[174:175]
	v_add_f64_e32 v[162:163], v[168:169], v[178:179]
	v_fmac_f64_e32 v[170:171], v[6:7], v[12:13]
	v_fma_f64 v[12:13], v[4:5], v[12:13], -v[14:15]
	v_fmac_f64_e32 v[164:165], v[152:153], v[122:123]
	v_fma_f64 v[122:123], v[150:151], v[122:123], -v[124:125]
	v_add_f64_e32 v[14:15], v[10:11], v[8:9]
	v_add_f64_e32 v[162:163], v[162:163], v[172:173]
	ds_load_b128 v[4:7], v2 offset:1552
	ds_load_b128 v[8:11], v2 offset:1568
	s_wait_loadcnt_dscnt 0x601
	v_mul_f64_e32 v[166:167], v[4:5], v[128:129]
	v_mul_f64_e32 v[128:129], v[6:7], v[128:129]
	s_wait_loadcnt_dscnt 0x500
	v_mul_f64_e32 v[124:125], v[8:9], v[132:133]
	v_mul_f64_e32 v[132:133], v[10:11], v[132:133]
	v_add_f64_e32 v[12:13], v[14:15], v[12:13]
	v_add_f64_e32 v[14:15], v[162:163], v[170:171]
	v_fmac_f64_e32 v[166:167], v[6:7], v[126:127]
	v_fma_f64 v[126:127], v[4:5], v[126:127], -v[128:129]
	v_fmac_f64_e32 v[124:125], v[10:11], v[130:131]
	v_fma_f64 v[8:9], v[8:9], v[130:131], -v[132:133]
	v_add_f64_e32 v[122:123], v[12:13], v[122:123]
	v_add_f64_e32 v[128:129], v[14:15], v[164:165]
	ds_load_b128 v[4:7], v2 offset:1584
	ds_load_b128 v[12:15], v2 offset:1600
	s_wait_loadcnt_dscnt 0x401
	v_mul_f64_e32 v[150:151], v[4:5], v[136:137]
	v_mul_f64_e32 v[136:137], v[6:7], v[136:137]
	v_add_f64_e32 v[10:11], v[122:123], v[126:127]
	v_add_f64_e32 v[122:123], v[128:129], v[166:167]
	s_wait_loadcnt_dscnt 0x300
	v_mul_f64_e32 v[126:127], v[12:13], v[140:141]
	v_mul_f64_e32 v[128:129], v[14:15], v[140:141]
	v_fmac_f64_e32 v[150:151], v[6:7], v[134:135]
	v_fma_f64 v[130:131], v[4:5], v[134:135], -v[136:137]
	v_add_f64_e32 v[132:133], v[10:11], v[8:9]
	v_add_f64_e32 v[122:123], v[122:123], v[124:125]
	ds_load_b128 v[4:7], v2 offset:1616
	ds_load_b128 v[8:11], v2 offset:1632
	v_fmac_f64_e32 v[126:127], v[14:15], v[138:139]
	v_fma_f64 v[12:13], v[12:13], v[138:139], -v[128:129]
	s_wait_loadcnt_dscnt 0x201
	v_mul_f64_e32 v[124:125], v[4:5], v[144:145]
	v_mul_f64_e32 v[134:135], v[6:7], v[144:145]
	s_wait_loadcnt_dscnt 0x100
	v_mul_f64_e32 v[128:129], v[8:9], v[148:149]
	v_add_f64_e32 v[14:15], v[132:133], v[130:131]
	v_add_f64_e32 v[122:123], v[122:123], v[150:151]
	v_mul_f64_e32 v[130:131], v[10:11], v[148:149]
	v_fmac_f64_e32 v[124:125], v[6:7], v[142:143]
	v_fma_f64 v[132:133], v[4:5], v[142:143], -v[134:135]
	ds_load_b128 v[4:7], v2 offset:1648
	v_fmac_f64_e32 v[128:129], v[10:11], v[146:147]
	v_add_f64_e32 v[12:13], v[14:15], v[12:13]
	v_add_f64_e32 v[14:15], v[122:123], v[126:127]
	v_fma_f64 v[8:9], v[8:9], v[146:147], -v[130:131]
	s_wait_loadcnt_dscnt 0x0
	v_mul_f64_e32 v[122:123], v[4:5], v[156:157]
	v_mul_f64_e32 v[126:127], v[6:7], v[156:157]
	v_add_f64_e32 v[10:11], v[12:13], v[132:133]
	v_add_f64_e32 v[12:13], v[14:15], v[124:125]
	s_delay_alu instid0(VALU_DEP_4) | instskip(NEXT) | instid1(VALU_DEP_4)
	v_fmac_f64_e32 v[122:123], v[6:7], v[154:155]
	v_fma_f64 v[4:5], v[4:5], v[154:155], -v[126:127]
	s_delay_alu instid0(VALU_DEP_4) | instskip(NEXT) | instid1(VALU_DEP_4)
	v_add_f64_e32 v[6:7], v[10:11], v[8:9]
	v_add_f64_e32 v[8:9], v[12:13], v[128:129]
	s_delay_alu instid0(VALU_DEP_2) | instskip(NEXT) | instid1(VALU_DEP_2)
	v_add_f64_e32 v[4:5], v[6:7], v[4:5]
	v_add_f64_e32 v[6:7], v[8:9], v[122:123]
	s_delay_alu instid0(VALU_DEP_2) | instskip(NEXT) | instid1(VALU_DEP_2)
	v_add_f64_e64 v[4:5], v[158:159], -v[4:5]
	v_add_f64_e64 v[6:7], v[160:161], -v[6:7]
	scratch_store_b128 off, v[4:7], off offset:64
	s_wait_xcnt 0x0
	v_cmpx_lt_u32_e32 3, v1
	s_cbranch_execz .LBB51_319
; %bb.318:
	scratch_load_b128 v[6:9], off, s34
	v_dual_mov_b32 v3, v2 :: v_dual_mov_b32 v4, v2
	v_mov_b32_e32 v5, v2
	scratch_store_b128 off, v[2:5], off offset:48
	s_wait_loadcnt 0x0
	ds_store_b128 v120, v[6:9]
.LBB51_319:
	s_wait_xcnt 0x0
	s_or_b32 exec_lo, exec_lo, s2
	s_wait_storecnt_dscnt 0x0
	s_barrier_signal -1
	s_barrier_wait -1
	s_clause 0x9
	scratch_load_b128 v[4:7], off, off offset:64
	scratch_load_b128 v[8:11], off, off offset:80
	;; [unrolled: 1-line block ×10, first 2 shown]
	ds_load_b128 v[150:153], v2 offset:896
	ds_load_b128 v[158:161], v2 offset:912
	s_clause 0x2
	scratch_load_b128 v[154:157], off, off offset:224
	scratch_load_b128 v[162:165], off, off offset:48
	;; [unrolled: 1-line block ×3, first 2 shown]
	s_mov_b32 s2, exec_lo
	s_wait_loadcnt_dscnt 0xc01
	v_mul_f64_e32 v[170:171], v[152:153], v[6:7]
	v_mul_f64_e32 v[174:175], v[150:151], v[6:7]
	s_wait_loadcnt_dscnt 0xb00
	v_mul_f64_e32 v[176:177], v[158:159], v[10:11]
	v_mul_f64_e32 v[10:11], v[160:161], v[10:11]
	s_delay_alu instid0(VALU_DEP_4) | instskip(NEXT) | instid1(VALU_DEP_4)
	v_fma_f64 v[178:179], v[150:151], v[4:5], -v[170:171]
	v_fmac_f64_e32 v[174:175], v[152:153], v[4:5]
	ds_load_b128 v[4:7], v2 offset:928
	ds_load_b128 v[150:153], v2 offset:944
	scratch_load_b128 v[170:173], off, off offset:256
	v_fmac_f64_e32 v[176:177], v[160:161], v[8:9]
	v_fma_f64 v[158:159], v[158:159], v[8:9], -v[10:11]
	scratch_load_b128 v[8:11], off, off offset:272
	s_wait_loadcnt_dscnt 0xc01
	v_mul_f64_e32 v[180:181], v[4:5], v[14:15]
	v_mul_f64_e32 v[14:15], v[6:7], v[14:15]
	v_add_f64_e32 v[160:161], 0, v[178:179]
	v_add_f64_e32 v[174:175], 0, v[174:175]
	s_wait_loadcnt_dscnt 0xb00
	v_mul_f64_e32 v[178:179], v[150:151], v[124:125]
	v_mul_f64_e32 v[124:125], v[152:153], v[124:125]
	v_fmac_f64_e32 v[180:181], v[6:7], v[12:13]
	v_fma_f64 v[182:183], v[4:5], v[12:13], -v[14:15]
	ds_load_b128 v[4:7], v2 offset:960
	ds_load_b128 v[12:15], v2 offset:976
	v_add_f64_e32 v[184:185], v[160:161], v[158:159]
	v_add_f64_e32 v[174:175], v[174:175], v[176:177]
	scratch_load_b128 v[158:161], off, off offset:288
	v_fmac_f64_e32 v[178:179], v[152:153], v[122:123]
	v_fma_f64 v[150:151], v[150:151], v[122:123], -v[124:125]
	scratch_load_b128 v[122:125], off, off offset:304
	s_wait_loadcnt_dscnt 0xc01
	v_mul_f64_e32 v[176:177], v[4:5], v[128:129]
	v_mul_f64_e32 v[128:129], v[6:7], v[128:129]
	v_add_f64_e32 v[152:153], v[184:185], v[182:183]
	v_add_f64_e32 v[174:175], v[174:175], v[180:181]
	s_wait_loadcnt_dscnt 0xb00
	v_mul_f64_e32 v[180:181], v[12:13], v[132:133]
	v_mul_f64_e32 v[132:133], v[14:15], v[132:133]
	v_fmac_f64_e32 v[176:177], v[6:7], v[126:127]
	v_fma_f64 v[182:183], v[4:5], v[126:127], -v[128:129]
	ds_load_b128 v[4:7], v2 offset:992
	ds_load_b128 v[126:129], v2 offset:1008
	v_add_f64_e32 v[184:185], v[152:153], v[150:151]
	v_add_f64_e32 v[174:175], v[174:175], v[178:179]
	scratch_load_b128 v[150:153], off, off offset:320
	s_wait_loadcnt_dscnt 0xb01
	v_mul_f64_e32 v[178:179], v[4:5], v[136:137]
	v_mul_f64_e32 v[136:137], v[6:7], v[136:137]
	v_fmac_f64_e32 v[180:181], v[14:15], v[130:131]
	v_fma_f64 v[130:131], v[12:13], v[130:131], -v[132:133]
	scratch_load_b128 v[12:15], off, off offset:336
	v_add_f64_e32 v[132:133], v[184:185], v[182:183]
	v_add_f64_e32 v[174:175], v[174:175], v[176:177]
	s_wait_loadcnt_dscnt 0xb00
	v_mul_f64_e32 v[176:177], v[126:127], v[140:141]
	v_mul_f64_e32 v[140:141], v[128:129], v[140:141]
	v_fmac_f64_e32 v[178:179], v[6:7], v[134:135]
	v_fma_f64 v[182:183], v[4:5], v[134:135], -v[136:137]
	v_add_f64_e32 v[184:185], v[132:133], v[130:131]
	v_add_f64_e32 v[174:175], v[174:175], v[180:181]
	ds_load_b128 v[4:7], v2 offset:1024
	ds_load_b128 v[130:133], v2 offset:1040
	scratch_load_b128 v[134:137], off, off offset:352
	v_fmac_f64_e32 v[176:177], v[128:129], v[138:139]
	v_fma_f64 v[138:139], v[126:127], v[138:139], -v[140:141]
	scratch_load_b128 v[126:129], off, off offset:368
	s_wait_loadcnt_dscnt 0xc01
	v_mul_f64_e32 v[180:181], v[4:5], v[144:145]
	v_mul_f64_e32 v[144:145], v[6:7], v[144:145]
	v_add_f64_e32 v[140:141], v[184:185], v[182:183]
	v_add_f64_e32 v[174:175], v[174:175], v[178:179]
	s_wait_loadcnt_dscnt 0xb00
	v_mul_f64_e32 v[178:179], v[130:131], v[148:149]
	v_mul_f64_e32 v[148:149], v[132:133], v[148:149]
	v_fmac_f64_e32 v[180:181], v[6:7], v[142:143]
	v_fma_f64 v[182:183], v[4:5], v[142:143], -v[144:145]
	v_add_f64_e32 v[184:185], v[140:141], v[138:139]
	v_add_f64_e32 v[174:175], v[174:175], v[176:177]
	ds_load_b128 v[4:7], v2 offset:1056
	ds_load_b128 v[138:141], v2 offset:1072
	scratch_load_b128 v[142:145], off, off offset:384
	v_fmac_f64_e32 v[178:179], v[132:133], v[146:147]
	v_fma_f64 v[146:147], v[130:131], v[146:147], -v[148:149]
	scratch_load_b128 v[130:133], off, off offset:400
	s_wait_loadcnt_dscnt 0xc01
	v_mul_f64_e32 v[176:177], v[4:5], v[156:157]
	v_mul_f64_e32 v[156:157], v[6:7], v[156:157]
	;; [unrolled: 18-line block ×5, first 2 shown]
	v_add_f64_e32 v[168:169], v[184:185], v[182:183]
	v_add_f64_e32 v[174:175], v[174:175], v[180:181]
	s_wait_loadcnt_dscnt 0xa00
	v_mul_f64_e32 v[180:181], v[146:147], v[14:15]
	v_mul_f64_e32 v[14:15], v[148:149], v[14:15]
	v_fmac_f64_e32 v[176:177], v[6:7], v[150:151]
	v_fma_f64 v[182:183], v[4:5], v[150:151], -v[152:153]
	ds_load_b128 v[4:7], v2 offset:1184
	ds_load_b128 v[150:153], v2 offset:1200
	v_add_f64_e32 v[184:185], v[168:169], v[166:167]
	v_add_f64_e32 v[174:175], v[174:175], v[178:179]
	scratch_load_b128 v[166:169], off, off offset:512
	v_fmac_f64_e32 v[180:181], v[148:149], v[12:13]
	v_fma_f64 v[146:147], v[146:147], v[12:13], -v[14:15]
	scratch_load_b128 v[12:15], off, off offset:528
	s_wait_loadcnt_dscnt 0xb01
	v_mul_f64_e32 v[178:179], v[4:5], v[136:137]
	v_mul_f64_e32 v[136:137], v[6:7], v[136:137]
	v_add_f64_e32 v[148:149], v[184:185], v[182:183]
	v_add_f64_e32 v[174:175], v[174:175], v[176:177]
	s_wait_loadcnt_dscnt 0xa00
	v_mul_f64_e32 v[176:177], v[150:151], v[128:129]
	v_mul_f64_e32 v[128:129], v[152:153], v[128:129]
	v_fmac_f64_e32 v[178:179], v[6:7], v[134:135]
	v_fma_f64 v[182:183], v[4:5], v[134:135], -v[136:137]
	ds_load_b128 v[4:7], v2 offset:1216
	ds_load_b128 v[134:137], v2 offset:1232
	v_add_f64_e32 v[184:185], v[148:149], v[146:147]
	v_add_f64_e32 v[174:175], v[174:175], v[180:181]
	scratch_load_b128 v[146:149], off, off offset:544
	s_wait_loadcnt_dscnt 0xa01
	v_mul_f64_e32 v[180:181], v[4:5], v[144:145]
	v_mul_f64_e32 v[144:145], v[6:7], v[144:145]
	v_fmac_f64_e32 v[176:177], v[152:153], v[126:127]
	v_fma_f64 v[150:151], v[150:151], v[126:127], -v[128:129]
	scratch_load_b128 v[126:129], off, off offset:560
	v_add_f64_e32 v[152:153], v[184:185], v[182:183]
	v_add_f64_e32 v[174:175], v[174:175], v[178:179]
	s_wait_loadcnt_dscnt 0xa00
	v_mul_f64_e32 v[178:179], v[134:135], v[132:133]
	v_mul_f64_e32 v[132:133], v[136:137], v[132:133]
	v_fmac_f64_e32 v[180:181], v[6:7], v[142:143]
	v_fma_f64 v[182:183], v[4:5], v[142:143], -v[144:145]
	ds_load_b128 v[4:7], v2 offset:1248
	ds_load_b128 v[142:145], v2 offset:1264
	v_add_f64_e32 v[184:185], v[152:153], v[150:151]
	v_add_f64_e32 v[174:175], v[174:175], v[176:177]
	scratch_load_b128 v[150:153], off, off offset:576
	s_wait_loadcnt_dscnt 0xa01
	v_mul_f64_e32 v[176:177], v[4:5], v[156:157]
	v_mul_f64_e32 v[156:157], v[6:7], v[156:157]
	v_fmac_f64_e32 v[178:179], v[136:137], v[130:131]
	v_fma_f64 v[134:135], v[134:135], v[130:131], -v[132:133]
	scratch_load_b128 v[130:133], off, off offset:592
	v_add_f64_e32 v[136:137], v[184:185], v[182:183]
	v_add_f64_e32 v[174:175], v[174:175], v[180:181]
	s_wait_loadcnt_dscnt 0xa00
	v_mul_f64_e32 v[180:181], v[142:143], v[140:141]
	v_mul_f64_e32 v[140:141], v[144:145], v[140:141]
	v_fmac_f64_e32 v[176:177], v[6:7], v[154:155]
	v_fma_f64 v[182:183], v[4:5], v[154:155], -v[156:157]
	v_add_f64_e32 v[184:185], v[136:137], v[134:135]
	v_add_f64_e32 v[174:175], v[174:175], v[178:179]
	ds_load_b128 v[4:7], v2 offset:1280
	ds_load_b128 v[134:137], v2 offset:1296
	scratch_load_b128 v[154:157], off, off offset:608
	v_fmac_f64_e32 v[180:181], v[144:145], v[138:139]
	v_fma_f64 v[142:143], v[142:143], v[138:139], -v[140:141]
	scratch_load_b128 v[138:141], off, off offset:624
	s_wait_loadcnt_dscnt 0xb01
	v_mul_f64_e32 v[178:179], v[4:5], v[172:173]
	v_mul_f64_e32 v[172:173], v[6:7], v[172:173]
	v_add_f64_e32 v[144:145], v[184:185], v[182:183]
	v_add_f64_e32 v[174:175], v[174:175], v[176:177]
	s_wait_loadcnt_dscnt 0xa00
	v_mul_f64_e32 v[176:177], v[134:135], v[10:11]
	v_mul_f64_e32 v[10:11], v[136:137], v[10:11]
	v_fmac_f64_e32 v[178:179], v[6:7], v[170:171]
	v_fma_f64 v[182:183], v[4:5], v[170:171], -v[172:173]
	v_add_f64_e32 v[184:185], v[144:145], v[142:143]
	v_add_f64_e32 v[174:175], v[174:175], v[180:181]
	ds_load_b128 v[4:7], v2 offset:1312
	ds_load_b128 v[142:145], v2 offset:1328
	scratch_load_b128 v[170:173], off, off offset:640
	v_fmac_f64_e32 v[176:177], v[136:137], v[8:9]
	v_fma_f64 v[134:135], v[134:135], v[8:9], -v[10:11]
	scratch_load_b128 v[8:11], off, off offset:656
	s_wait_loadcnt_dscnt 0xb01
	v_mul_f64_e32 v[180:181], v[4:5], v[160:161]
	v_mul_f64_e32 v[160:161], v[6:7], v[160:161]
	;; [unrolled: 18-line block ×7, first 2 shown]
	v_add_f64_e32 v[144:145], v[184:185], v[182:183]
	v_add_f64_e32 v[174:175], v[174:175], v[176:177]
	s_wait_loadcnt_dscnt 0xa00
	v_mul_f64_e32 v[176:177], v[134:135], v[10:11]
	v_mul_f64_e32 v[10:11], v[136:137], v[10:11]
	v_fmac_f64_e32 v[178:179], v[6:7], v[170:171]
	v_fma_f64 v[170:171], v[4:5], v[170:171], -v[172:173]
	v_add_f64_e32 v[172:173], v[144:145], v[142:143]
	v_add_f64_e32 v[174:175], v[174:175], v[180:181]
	ds_load_b128 v[4:7], v2 offset:1504
	ds_load_b128 v[142:145], v2 offset:1520
	v_fmac_f64_e32 v[176:177], v[136:137], v[8:9]
	v_fma_f64 v[8:9], v[134:135], v[8:9], -v[10:11]
	s_wait_loadcnt_dscnt 0x901
	v_mul_f64_e32 v[180:181], v[4:5], v[160:161]
	v_mul_f64_e32 v[160:161], v[6:7], v[160:161]
	s_wait_loadcnt_dscnt 0x800
	v_mul_f64_e32 v[136:137], v[142:143], v[124:125]
	v_mul_f64_e32 v[124:125], v[144:145], v[124:125]
	v_add_f64_e32 v[10:11], v[172:173], v[170:171]
	v_add_f64_e32 v[134:135], v[174:175], v[178:179]
	v_fmac_f64_e32 v[180:181], v[6:7], v[158:159]
	v_fma_f64 v[158:159], v[4:5], v[158:159], -v[160:161]
	v_fmac_f64_e32 v[136:137], v[144:145], v[122:123]
	v_fma_f64 v[122:123], v[142:143], v[122:123], -v[124:125]
	v_add_f64_e32 v[160:161], v[10:11], v[8:9]
	v_add_f64_e32 v[134:135], v[134:135], v[176:177]
	ds_load_b128 v[4:7], v2 offset:1536
	ds_load_b128 v[8:11], v2 offset:1552
	s_wait_loadcnt_dscnt 0x701
	v_mul_f64_e32 v[170:171], v[4:5], v[168:169]
	v_mul_f64_e32 v[168:169], v[6:7], v[168:169]
	s_wait_loadcnt_dscnt 0x600
	v_mul_f64_e32 v[142:143], v[8:9], v[14:15]
	v_mul_f64_e32 v[14:15], v[10:11], v[14:15]
	v_add_f64_e32 v[124:125], v[160:161], v[158:159]
	v_add_f64_e32 v[134:135], v[134:135], v[180:181]
	v_fmac_f64_e32 v[170:171], v[6:7], v[166:167]
	v_fma_f64 v[144:145], v[4:5], v[166:167], -v[168:169]
	v_fmac_f64_e32 v[142:143], v[10:11], v[12:13]
	v_fma_f64 v[8:9], v[8:9], v[12:13], -v[14:15]
	v_add_f64_e32 v[158:159], v[124:125], v[122:123]
	v_add_f64_e32 v[134:135], v[134:135], v[136:137]
	ds_load_b128 v[4:7], v2 offset:1568
	ds_load_b128 v[122:125], v2 offset:1584
	;; [unrolled: 16-line block ×4, first 2 shown]
	s_wait_loadcnt_dscnt 0x101
	v_mul_f64_e32 v[2:3], v[4:5], v[156:157]
	v_mul_f64_e32 v[134:135], v[6:7], v[156:157]
	s_wait_loadcnt_dscnt 0x0
	v_mul_f64_e32 v[128:129], v[14:15], v[140:141]
	v_add_f64_e32 v[10:11], v[122:123], v[132:133]
	v_add_f64_e32 v[122:123], v[124:125], v[142:143]
	v_mul_f64_e32 v[124:125], v[12:13], v[140:141]
	v_fmac_f64_e32 v[2:3], v[6:7], v[154:155]
	v_fma_f64 v[4:5], v[4:5], v[154:155], -v[134:135]
	v_add_f64_e32 v[6:7], v[10:11], v[8:9]
	v_add_f64_e32 v[8:9], v[122:123], v[126:127]
	v_fmac_f64_e32 v[124:125], v[14:15], v[138:139]
	v_fma_f64 v[10:11], v[12:13], v[138:139], -v[128:129]
	s_delay_alu instid0(VALU_DEP_4) | instskip(NEXT) | instid1(VALU_DEP_4)
	v_add_f64_e32 v[4:5], v[6:7], v[4:5]
	v_add_f64_e32 v[2:3], v[8:9], v[2:3]
	s_delay_alu instid0(VALU_DEP_2) | instskip(NEXT) | instid1(VALU_DEP_2)
	v_add_f64_e32 v[4:5], v[4:5], v[10:11]
	v_add_f64_e32 v[6:7], v[2:3], v[124:125]
	s_delay_alu instid0(VALU_DEP_2) | instskip(NEXT) | instid1(VALU_DEP_2)
	v_add_f64_e64 v[2:3], v[162:163], -v[4:5]
	v_add_f64_e64 v[4:5], v[164:165], -v[6:7]
	scratch_store_b128 off, v[2:5], off offset:48
	s_wait_xcnt 0x0
	v_cmpx_lt_u32_e32 2, v1
	s_cbranch_execz .LBB51_321
; %bb.320:
	scratch_load_b128 v[2:5], off, s33
	v_mov_b32_e32 v6, 0
	s_delay_alu instid0(VALU_DEP_1)
	v_dual_mov_b32 v7, v6 :: v_dual_mov_b32 v8, v6
	v_mov_b32_e32 v9, v6
	scratch_store_b128 off, v[6:9], off offset:32
	s_wait_loadcnt 0x0
	ds_store_b128 v120, v[2:5]
.LBB51_321:
	s_wait_xcnt 0x0
	s_or_b32 exec_lo, exec_lo, s2
	s_wait_storecnt_dscnt 0x0
	s_barrier_signal -1
	s_barrier_wait -1
	s_clause 0x9
	scratch_load_b128 v[4:7], off, off offset:48
	scratch_load_b128 v[8:11], off, off offset:64
	;; [unrolled: 1-line block ×10, first 2 shown]
	v_mov_b32_e32 v2, 0
	s_mov_b32 s2, exec_lo
	v_dual_ashrrev_i32 v21, 31, v20 :: v_dual_ashrrev_i32 v23, 31, v22
	v_ashrrev_i32_e32 v25, 31, v24
	ds_load_b128 v[150:153], v2 offset:880
	s_clause 0x2
	scratch_load_b128 v[154:157], off, off offset:208
	scratch_load_b128 v[158:161], off, off offset:32
	;; [unrolled: 1-line block ×3, first 2 shown]
	v_ashrrev_i32_e32 v29, 31, v28
	v_ashrrev_i32_e32 v33, 31, v32
	v_dual_ashrrev_i32 v37, 31, v36 :: v_dual_ashrrev_i32 v27, 31, v26
	v_ashrrev_i32_e32 v41, 31, v40
	v_dual_ashrrev_i32 v45, 31, v44 :: v_dual_ashrrev_i32 v31, 31, v30
	v_ashrrev_i32_e32 v35, 31, v34
	v_ashrrev_i32_e32 v39, 31, v38
	v_dual_ashrrev_i32 v43, 31, v42 :: v_dual_ashrrev_i32 v49, 31, v48
	v_ashrrev_i32_e32 v47, 31, v46
	v_dual_ashrrev_i32 v51, 31, v50 :: v_dual_ashrrev_i32 v53, 31, v52
	v_dual_ashrrev_i32 v55, 31, v54 :: v_dual_ashrrev_i32 v57, 31, v56
	;; [unrolled: 1-line block ×10, first 2 shown]
	v_ashrrev_i32_e32 v91, 31, v90
	v_dual_ashrrev_i32 v95, 31, v94 :: v_dual_ashrrev_i32 v93, 31, v92
	v_dual_ashrrev_i32 v97, 31, v96 :: v_dual_ashrrev_i32 v99, 31, v98
	;; [unrolled: 1-line block ×7, first 2 shown]
	s_wait_loadcnt_dscnt 0xc00
	v_mul_f64_e32 v[170:171], v[152:153], v[6:7]
	v_mul_f64_e32 v[174:175], v[150:151], v[6:7]
	ds_load_b128 v[162:165], v2 offset:896
	v_fma_f64 v[178:179], v[150:151], v[4:5], -v[170:171]
	v_fmac_f64_e32 v[174:175], v[152:153], v[4:5]
	ds_load_b128 v[4:7], v2 offset:912
	s_wait_loadcnt_dscnt 0xb01
	v_mul_f64_e32 v[176:177], v[162:163], v[10:11]
	v_mul_f64_e32 v[10:11], v[164:165], v[10:11]
	scratch_load_b128 v[150:153], off, off offset:240
	ds_load_b128 v[170:173], v2 offset:928
	s_wait_loadcnt_dscnt 0xb01
	v_mul_f64_e32 v[180:181], v[4:5], v[14:15]
	v_mul_f64_e32 v[14:15], v[6:7], v[14:15]
	v_add_f64_e32 v[174:175], 0, v[174:175]
	v_fmac_f64_e32 v[176:177], v[164:165], v[8:9]
	v_fma_f64 v[162:163], v[162:163], v[8:9], -v[10:11]
	v_add_f64_e32 v[164:165], 0, v[178:179]
	scratch_load_b128 v[8:11], off, off offset:256
	v_fmac_f64_e32 v[180:181], v[6:7], v[12:13]
	v_fma_f64 v[182:183], v[4:5], v[12:13], -v[14:15]
	ds_load_b128 v[4:7], v2 offset:944
	s_wait_loadcnt_dscnt 0xb01
	v_mul_f64_e32 v[178:179], v[170:171], v[124:125]
	v_mul_f64_e32 v[124:125], v[172:173], v[124:125]
	scratch_load_b128 v[12:15], off, off offset:272
	v_add_f64_e32 v[174:175], v[174:175], v[176:177]
	v_add_f64_e32 v[184:185], v[164:165], v[162:163]
	ds_load_b128 v[162:165], v2 offset:960
	s_wait_loadcnt_dscnt 0xb01
	v_mul_f64_e32 v[176:177], v[4:5], v[128:129]
	v_mul_f64_e32 v[128:129], v[6:7], v[128:129]
	v_fmac_f64_e32 v[178:179], v[172:173], v[122:123]
	v_fma_f64 v[170:171], v[170:171], v[122:123], -v[124:125]
	scratch_load_b128 v[122:125], off, off offset:288
	v_add_f64_e32 v[174:175], v[174:175], v[180:181]
	v_add_f64_e32 v[172:173], v[184:185], v[182:183]
	v_fmac_f64_e32 v[176:177], v[6:7], v[126:127]
	v_fma_f64 v[182:183], v[4:5], v[126:127], -v[128:129]
	ds_load_b128 v[4:7], v2 offset:976
	s_wait_loadcnt_dscnt 0xb01
	v_mul_f64_e32 v[180:181], v[162:163], v[132:133]
	v_mul_f64_e32 v[132:133], v[164:165], v[132:133]
	scratch_load_b128 v[126:129], off, off offset:304
	v_add_f64_e32 v[174:175], v[174:175], v[178:179]
	s_wait_loadcnt_dscnt 0xb00
	v_mul_f64_e32 v[178:179], v[4:5], v[136:137]
	v_add_f64_e32 v[184:185], v[172:173], v[170:171]
	v_mul_f64_e32 v[136:137], v[6:7], v[136:137]
	ds_load_b128 v[170:173], v2 offset:992
	v_fmac_f64_e32 v[180:181], v[164:165], v[130:131]
	v_fma_f64 v[162:163], v[162:163], v[130:131], -v[132:133]
	scratch_load_b128 v[130:133], off, off offset:320
	v_add_f64_e32 v[174:175], v[174:175], v[176:177]
	v_fmac_f64_e32 v[178:179], v[6:7], v[134:135]
	v_add_f64_e32 v[164:165], v[184:185], v[182:183]
	v_fma_f64 v[182:183], v[4:5], v[134:135], -v[136:137]
	ds_load_b128 v[4:7], v2 offset:1008
	s_wait_loadcnt_dscnt 0xb01
	v_mul_f64_e32 v[176:177], v[170:171], v[140:141]
	v_mul_f64_e32 v[140:141], v[172:173], v[140:141]
	scratch_load_b128 v[134:137], off, off offset:336
	v_add_f64_e32 v[174:175], v[174:175], v[180:181]
	s_wait_loadcnt_dscnt 0xb00
	v_mul_f64_e32 v[180:181], v[4:5], v[144:145]
	v_add_f64_e32 v[184:185], v[164:165], v[162:163]
	v_mul_f64_e32 v[144:145], v[6:7], v[144:145]
	ds_load_b128 v[162:165], v2 offset:1024
	v_fmac_f64_e32 v[176:177], v[172:173], v[138:139]
	v_fma_f64 v[170:171], v[170:171], v[138:139], -v[140:141]
	scratch_load_b128 v[138:141], off, off offset:352
	v_add_f64_e32 v[174:175], v[174:175], v[178:179]
	v_fmac_f64_e32 v[180:181], v[6:7], v[142:143]
	v_add_f64_e32 v[172:173], v[184:185], v[182:183]
	;; [unrolled: 18-line block ×3, first 2 shown]
	v_fma_f64 v[182:183], v[4:5], v[154:155], -v[156:157]
	ds_load_b128 v[4:7], v2 offset:1072
	s_wait_loadcnt_dscnt 0xa01
	v_mul_f64_e32 v[180:181], v[170:171], v[168:169]
	v_mul_f64_e32 v[168:169], v[172:173], v[168:169]
	scratch_load_b128 v[154:157], off, off offset:400
	v_add_f64_e32 v[174:175], v[174:175], v[178:179]
	v_add_f64_e32 v[184:185], v[164:165], v[162:163]
	s_wait_loadcnt_dscnt 0xa00
	v_mul_f64_e32 v[178:179], v[4:5], v[152:153]
	v_mul_f64_e32 v[152:153], v[6:7], v[152:153]
	v_fmac_f64_e32 v[180:181], v[172:173], v[166:167]
	v_fma_f64 v[170:171], v[170:171], v[166:167], -v[168:169]
	ds_load_b128 v[162:165], v2 offset:1088
	scratch_load_b128 v[166:169], off, off offset:416
	v_add_f64_e32 v[174:175], v[174:175], v[176:177]
	v_add_f64_e32 v[172:173], v[184:185], v[182:183]
	v_fmac_f64_e32 v[178:179], v[6:7], v[150:151]
	v_fma_f64 v[182:183], v[4:5], v[150:151], -v[152:153]
	ds_load_b128 v[4:7], v2 offset:1104
	s_wait_loadcnt_dscnt 0xa01
	v_mul_f64_e32 v[176:177], v[162:163], v[10:11]
	v_mul_f64_e32 v[10:11], v[164:165], v[10:11]
	scratch_load_b128 v[150:153], off, off offset:432
	v_add_f64_e32 v[174:175], v[174:175], v[180:181]
	s_wait_loadcnt_dscnt 0xa00
	v_mul_f64_e32 v[180:181], v[4:5], v[14:15]
	v_add_f64_e32 v[184:185], v[172:173], v[170:171]
	v_mul_f64_e32 v[14:15], v[6:7], v[14:15]
	ds_load_b128 v[170:173], v2 offset:1120
	v_fmac_f64_e32 v[176:177], v[164:165], v[8:9]
	v_fma_f64 v[162:163], v[162:163], v[8:9], -v[10:11]
	scratch_load_b128 v[8:11], off, off offset:448
	v_add_f64_e32 v[174:175], v[174:175], v[178:179]
	v_fmac_f64_e32 v[180:181], v[6:7], v[12:13]
	v_add_f64_e32 v[164:165], v[184:185], v[182:183]
	v_fma_f64 v[182:183], v[4:5], v[12:13], -v[14:15]
	ds_load_b128 v[4:7], v2 offset:1136
	s_wait_loadcnt_dscnt 0xa01
	v_mul_f64_e32 v[178:179], v[170:171], v[124:125]
	v_mul_f64_e32 v[124:125], v[172:173], v[124:125]
	scratch_load_b128 v[12:15], off, off offset:464
	v_add_f64_e32 v[174:175], v[174:175], v[176:177]
	s_wait_loadcnt_dscnt 0xa00
	v_mul_f64_e32 v[176:177], v[4:5], v[128:129]
	v_add_f64_e32 v[184:185], v[164:165], v[162:163]
	v_mul_f64_e32 v[128:129], v[6:7], v[128:129]
	ds_load_b128 v[162:165], v2 offset:1152
	v_fmac_f64_e32 v[178:179], v[172:173], v[122:123]
	v_fma_f64 v[170:171], v[170:171], v[122:123], -v[124:125]
	scratch_load_b128 v[122:125], off, off offset:480
	v_add_f64_e32 v[174:175], v[174:175], v[180:181]
	v_fmac_f64_e32 v[176:177], v[6:7], v[126:127]
	v_add_f64_e32 v[172:173], v[184:185], v[182:183]
	;; [unrolled: 18-line block ×12, first 2 shown]
	v_fma_f64 v[182:183], v[4:5], v[150:151], -v[152:153]
	ds_load_b128 v[4:7], v2 offset:1488
	s_wait_loadcnt_dscnt 0xa01
	v_mul_f64_e32 v[176:177], v[162:163], v[10:11]
	v_mul_f64_e32 v[10:11], v[164:165], v[10:11]
	scratch_load_b128 v[150:153], off, off offset:816
	v_add_f64_e32 v[174:175], v[174:175], v[180:181]
	s_wait_loadcnt_dscnt 0xa00
	v_mul_f64_e32 v[180:181], v[4:5], v[14:15]
	v_add_f64_e32 v[184:185], v[172:173], v[170:171]
	v_mul_f64_e32 v[14:15], v[6:7], v[14:15]
	ds_load_b128 v[170:173], v2 offset:1504
	v_fmac_f64_e32 v[176:177], v[164:165], v[8:9]
	v_fma_f64 v[8:9], v[162:163], v[8:9], -v[10:11]
	s_wait_loadcnt_dscnt 0x900
	v_mul_f64_e32 v[164:165], v[170:171], v[124:125]
	v_mul_f64_e32 v[124:125], v[172:173], v[124:125]
	v_add_f64_e32 v[162:163], v[174:175], v[178:179]
	v_fmac_f64_e32 v[180:181], v[6:7], v[12:13]
	v_add_f64_e32 v[10:11], v[184:185], v[182:183]
	v_fma_f64 v[12:13], v[4:5], v[12:13], -v[14:15]
	v_fmac_f64_e32 v[164:165], v[172:173], v[122:123]
	v_fma_f64 v[122:123], v[170:171], v[122:123], -v[124:125]
	v_add_f64_e32 v[162:163], v[162:163], v[176:177]
	v_add_f64_e32 v[14:15], v[10:11], v[8:9]
	ds_load_b128 v[4:7], v2 offset:1520
	ds_load_b128 v[8:11], v2 offset:1536
	s_wait_loadcnt_dscnt 0x801
	v_mul_f64_e32 v[174:175], v[4:5], v[128:129]
	v_mul_f64_e32 v[128:129], v[6:7], v[128:129]
	s_wait_loadcnt_dscnt 0x700
	v_mul_f64_e32 v[124:125], v[8:9], v[132:133]
	v_mul_f64_e32 v[132:133], v[10:11], v[132:133]
	v_add_f64_e32 v[12:13], v[14:15], v[12:13]
	v_add_f64_e32 v[14:15], v[162:163], v[180:181]
	v_fmac_f64_e32 v[174:175], v[6:7], v[126:127]
	v_fma_f64 v[126:127], v[4:5], v[126:127], -v[128:129]
	v_fmac_f64_e32 v[124:125], v[10:11], v[130:131]
	v_fma_f64 v[8:9], v[8:9], v[130:131], -v[132:133]
	v_add_f64_e32 v[122:123], v[12:13], v[122:123]
	v_add_f64_e32 v[128:129], v[14:15], v[164:165]
	ds_load_b128 v[4:7], v2 offset:1552
	ds_load_b128 v[12:15], v2 offset:1568
	s_wait_loadcnt_dscnt 0x601
	v_mul_f64_e32 v[162:163], v[4:5], v[136:137]
	v_mul_f64_e32 v[136:137], v[6:7], v[136:137]
	v_add_f64_e32 v[10:11], v[122:123], v[126:127]
	v_add_f64_e32 v[122:123], v[128:129], v[174:175]
	s_wait_loadcnt_dscnt 0x500
	v_mul_f64_e32 v[126:127], v[12:13], v[140:141]
	v_mul_f64_e32 v[128:129], v[14:15], v[140:141]
	v_fmac_f64_e32 v[162:163], v[6:7], v[134:135]
	v_fma_f64 v[130:131], v[4:5], v[134:135], -v[136:137]
	v_add_f64_e32 v[132:133], v[10:11], v[8:9]
	v_add_f64_e32 v[122:123], v[122:123], v[124:125]
	ds_load_b128 v[4:7], v2 offset:1584
	ds_load_b128 v[8:11], v2 offset:1600
	v_fmac_f64_e32 v[126:127], v[14:15], v[138:139]
	v_fma_f64 v[12:13], v[12:13], v[138:139], -v[128:129]
	s_wait_loadcnt_dscnt 0x401
	v_mul_f64_e32 v[124:125], v[4:5], v[144:145]
	v_mul_f64_e32 v[134:135], v[6:7], v[144:145]
	s_wait_loadcnt_dscnt 0x300
	v_mul_f64_e32 v[128:129], v[8:9], v[148:149]
	v_add_f64_e32 v[14:15], v[132:133], v[130:131]
	v_add_f64_e32 v[122:123], v[122:123], v[162:163]
	v_mul_f64_e32 v[130:131], v[10:11], v[148:149]
	v_fmac_f64_e32 v[124:125], v[6:7], v[142:143]
	v_fma_f64 v[132:133], v[4:5], v[142:143], -v[134:135]
	v_fmac_f64_e32 v[128:129], v[10:11], v[146:147]
	v_add_f64_e32 v[134:135], v[14:15], v[12:13]
	v_add_f64_e32 v[122:123], v[122:123], v[126:127]
	ds_load_b128 v[4:7], v2 offset:1616
	ds_load_b128 v[12:15], v2 offset:1632
	v_fma_f64 v[8:9], v[8:9], v[146:147], -v[130:131]
	s_wait_loadcnt_dscnt 0x201
	v_mul_f64_e32 v[126:127], v[4:5], v[156:157]
	v_mul_f64_e32 v[136:137], v[6:7], v[156:157]
	s_wait_loadcnt_dscnt 0x100
	v_mul_f64_e32 v[130:131], v[14:15], v[168:169]
	v_add_f64_e32 v[10:11], v[134:135], v[132:133]
	v_add_f64_e32 v[122:123], v[122:123], v[124:125]
	v_mul_f64_e32 v[124:125], v[12:13], v[168:169]
	v_fmac_f64_e32 v[126:127], v[6:7], v[154:155]
	v_fma_f64 v[132:133], v[4:5], v[154:155], -v[136:137]
	ds_load_b128 v[4:7], v2 offset:1648
	v_fma_f64 v[12:13], v[12:13], v[166:167], -v[130:131]
	v_add_f64_e32 v[8:9], v[10:11], v[8:9]
	v_add_f64_e32 v[10:11], v[122:123], v[128:129]
	v_fmac_f64_e32 v[124:125], v[14:15], v[166:167]
	s_wait_loadcnt_dscnt 0x0
	v_mul_f64_e32 v[122:123], v[4:5], v[152:153]
	v_mul_f64_e32 v[128:129], v[6:7], v[152:153]
	v_add_f64_e32 v[8:9], v[8:9], v[132:133]
	v_add_f64_e32 v[10:11], v[10:11], v[126:127]
	s_delay_alu instid0(VALU_DEP_4) | instskip(NEXT) | instid1(VALU_DEP_4)
	v_fmac_f64_e32 v[122:123], v[6:7], v[150:151]
	v_fma_f64 v[4:5], v[4:5], v[150:151], -v[128:129]
	s_delay_alu instid0(VALU_DEP_4) | instskip(NEXT) | instid1(VALU_DEP_4)
	v_add_f64_e32 v[6:7], v[8:9], v[12:13]
	v_add_f64_e32 v[8:9], v[10:11], v[124:125]
	s_delay_alu instid0(VALU_DEP_2) | instskip(NEXT) | instid1(VALU_DEP_2)
	v_add_f64_e32 v[4:5], v[6:7], v[4:5]
	v_add_f64_e32 v[6:7], v[8:9], v[122:123]
	s_delay_alu instid0(VALU_DEP_2) | instskip(NEXT) | instid1(VALU_DEP_2)
	v_add_f64_e64 v[4:5], v[158:159], -v[4:5]
	v_add_f64_e64 v[6:7], v[160:161], -v[6:7]
	scratch_store_b128 off, v[4:7], off offset:32
	s_wait_xcnt 0x0
	v_cmpx_lt_u32_e32 1, v1
	s_cbranch_execz .LBB51_323
; %bb.322:
	scratch_load_b128 v[6:9], off, s37
	v_dual_mov_b32 v3, v2 :: v_dual_mov_b32 v4, v2
	v_mov_b32_e32 v5, v2
	scratch_store_b128 off, v[2:5], off offset:16
	s_wait_loadcnt 0x0
	ds_store_b128 v120, v[6:9]
.LBB51_323:
	s_wait_xcnt 0x0
	s_or_b32 exec_lo, exec_lo, s2
	s_wait_storecnt_dscnt 0x0
	s_barrier_signal -1
	s_barrier_wait -1
	s_clause 0x9
	scratch_load_b128 v[4:7], off, off offset:32
	scratch_load_b128 v[8:11], off, off offset:48
	;; [unrolled: 1-line block ×10, first 2 shown]
	ds_load_b128 v[150:153], v2 offset:864
	ds_load_b128 v[158:161], v2 offset:880
	s_clause 0x2
	scratch_load_b128 v[154:157], off, off offset:192
	scratch_load_b128 v[162:165], off, off offset:16
	;; [unrolled: 1-line block ×3, first 2 shown]
	s_mov_b32 s2, exec_lo
	s_wait_loadcnt_dscnt 0xc01
	v_mul_f64_e32 v[170:171], v[152:153], v[6:7]
	v_mul_f64_e32 v[174:175], v[150:151], v[6:7]
	s_wait_loadcnt_dscnt 0xb00
	v_mul_f64_e32 v[176:177], v[158:159], v[10:11]
	v_mul_f64_e32 v[10:11], v[160:161], v[10:11]
	s_delay_alu instid0(VALU_DEP_4) | instskip(NEXT) | instid1(VALU_DEP_4)
	v_fma_f64 v[178:179], v[150:151], v[4:5], -v[170:171]
	v_fmac_f64_e32 v[174:175], v[152:153], v[4:5]
	ds_load_b128 v[4:7], v2 offset:896
	ds_load_b128 v[150:153], v2 offset:912
	scratch_load_b128 v[170:173], off, off offset:224
	v_fmac_f64_e32 v[176:177], v[160:161], v[8:9]
	v_fma_f64 v[158:159], v[158:159], v[8:9], -v[10:11]
	scratch_load_b128 v[8:11], off, off offset:240
	s_wait_loadcnt_dscnt 0xc01
	v_mul_f64_e32 v[180:181], v[4:5], v[14:15]
	v_mul_f64_e32 v[14:15], v[6:7], v[14:15]
	v_add_f64_e32 v[160:161], 0, v[178:179]
	v_add_f64_e32 v[174:175], 0, v[174:175]
	s_wait_loadcnt_dscnt 0xb00
	v_mul_f64_e32 v[178:179], v[150:151], v[124:125]
	v_mul_f64_e32 v[124:125], v[152:153], v[124:125]
	v_fmac_f64_e32 v[180:181], v[6:7], v[12:13]
	v_fma_f64 v[182:183], v[4:5], v[12:13], -v[14:15]
	ds_load_b128 v[4:7], v2 offset:928
	ds_load_b128 v[12:15], v2 offset:944
	v_add_f64_e32 v[184:185], v[160:161], v[158:159]
	v_add_f64_e32 v[174:175], v[174:175], v[176:177]
	scratch_load_b128 v[158:161], off, off offset:256
	v_fmac_f64_e32 v[178:179], v[152:153], v[122:123]
	v_fma_f64 v[150:151], v[150:151], v[122:123], -v[124:125]
	scratch_load_b128 v[122:125], off, off offset:272
	s_wait_loadcnt_dscnt 0xc01
	v_mul_f64_e32 v[176:177], v[4:5], v[128:129]
	v_mul_f64_e32 v[128:129], v[6:7], v[128:129]
	v_add_f64_e32 v[152:153], v[184:185], v[182:183]
	v_add_f64_e32 v[174:175], v[174:175], v[180:181]
	s_wait_loadcnt_dscnt 0xb00
	v_mul_f64_e32 v[180:181], v[12:13], v[132:133]
	v_mul_f64_e32 v[132:133], v[14:15], v[132:133]
	v_fmac_f64_e32 v[176:177], v[6:7], v[126:127]
	v_fma_f64 v[182:183], v[4:5], v[126:127], -v[128:129]
	ds_load_b128 v[4:7], v2 offset:960
	ds_load_b128 v[126:129], v2 offset:976
	v_add_f64_e32 v[184:185], v[152:153], v[150:151]
	v_add_f64_e32 v[174:175], v[174:175], v[178:179]
	scratch_load_b128 v[150:153], off, off offset:288
	s_wait_loadcnt_dscnt 0xb01
	v_mul_f64_e32 v[178:179], v[4:5], v[136:137]
	v_mul_f64_e32 v[136:137], v[6:7], v[136:137]
	v_fmac_f64_e32 v[180:181], v[14:15], v[130:131]
	v_fma_f64 v[130:131], v[12:13], v[130:131], -v[132:133]
	scratch_load_b128 v[12:15], off, off offset:304
	v_add_f64_e32 v[132:133], v[184:185], v[182:183]
	v_add_f64_e32 v[174:175], v[174:175], v[176:177]
	s_wait_loadcnt_dscnt 0xb00
	v_mul_f64_e32 v[176:177], v[126:127], v[140:141]
	v_mul_f64_e32 v[140:141], v[128:129], v[140:141]
	v_fmac_f64_e32 v[178:179], v[6:7], v[134:135]
	v_fma_f64 v[182:183], v[4:5], v[134:135], -v[136:137]
	v_add_f64_e32 v[184:185], v[132:133], v[130:131]
	v_add_f64_e32 v[174:175], v[174:175], v[180:181]
	ds_load_b128 v[4:7], v2 offset:992
	ds_load_b128 v[130:133], v2 offset:1008
	scratch_load_b128 v[134:137], off, off offset:320
	v_fmac_f64_e32 v[176:177], v[128:129], v[138:139]
	v_fma_f64 v[138:139], v[126:127], v[138:139], -v[140:141]
	scratch_load_b128 v[126:129], off, off offset:336
	s_wait_loadcnt_dscnt 0xc01
	v_mul_f64_e32 v[180:181], v[4:5], v[144:145]
	v_mul_f64_e32 v[144:145], v[6:7], v[144:145]
	v_add_f64_e32 v[140:141], v[184:185], v[182:183]
	v_add_f64_e32 v[174:175], v[174:175], v[178:179]
	s_wait_loadcnt_dscnt 0xb00
	v_mul_f64_e32 v[178:179], v[130:131], v[148:149]
	v_mul_f64_e32 v[148:149], v[132:133], v[148:149]
	v_fmac_f64_e32 v[180:181], v[6:7], v[142:143]
	v_fma_f64 v[182:183], v[4:5], v[142:143], -v[144:145]
	v_add_f64_e32 v[184:185], v[140:141], v[138:139]
	v_add_f64_e32 v[174:175], v[174:175], v[176:177]
	ds_load_b128 v[4:7], v2 offset:1024
	ds_load_b128 v[138:141], v2 offset:1040
	scratch_load_b128 v[142:145], off, off offset:352
	v_fmac_f64_e32 v[178:179], v[132:133], v[146:147]
	v_fma_f64 v[146:147], v[130:131], v[146:147], -v[148:149]
	scratch_load_b128 v[130:133], off, off offset:368
	s_wait_loadcnt_dscnt 0xc01
	v_mul_f64_e32 v[176:177], v[4:5], v[156:157]
	v_mul_f64_e32 v[156:157], v[6:7], v[156:157]
	;; [unrolled: 18-line block ×5, first 2 shown]
	v_add_f64_e32 v[168:169], v[184:185], v[182:183]
	v_add_f64_e32 v[174:175], v[174:175], v[180:181]
	s_wait_loadcnt_dscnt 0xa00
	v_mul_f64_e32 v[180:181], v[146:147], v[14:15]
	v_mul_f64_e32 v[14:15], v[148:149], v[14:15]
	v_fmac_f64_e32 v[176:177], v[6:7], v[150:151]
	v_fma_f64 v[182:183], v[4:5], v[150:151], -v[152:153]
	ds_load_b128 v[4:7], v2 offset:1152
	ds_load_b128 v[150:153], v2 offset:1168
	v_add_f64_e32 v[184:185], v[168:169], v[166:167]
	v_add_f64_e32 v[174:175], v[174:175], v[178:179]
	scratch_load_b128 v[166:169], off, off offset:480
	v_fmac_f64_e32 v[180:181], v[148:149], v[12:13]
	v_fma_f64 v[146:147], v[146:147], v[12:13], -v[14:15]
	scratch_load_b128 v[12:15], off, off offset:496
	s_wait_loadcnt_dscnt 0xb01
	v_mul_f64_e32 v[178:179], v[4:5], v[136:137]
	v_mul_f64_e32 v[136:137], v[6:7], v[136:137]
	v_add_f64_e32 v[148:149], v[184:185], v[182:183]
	v_add_f64_e32 v[174:175], v[174:175], v[176:177]
	s_wait_loadcnt_dscnt 0xa00
	v_mul_f64_e32 v[176:177], v[150:151], v[128:129]
	v_mul_f64_e32 v[128:129], v[152:153], v[128:129]
	v_fmac_f64_e32 v[178:179], v[6:7], v[134:135]
	v_fma_f64 v[182:183], v[4:5], v[134:135], -v[136:137]
	ds_load_b128 v[4:7], v2 offset:1184
	ds_load_b128 v[134:137], v2 offset:1200
	v_add_f64_e32 v[184:185], v[148:149], v[146:147]
	v_add_f64_e32 v[174:175], v[174:175], v[180:181]
	scratch_load_b128 v[146:149], off, off offset:512
	s_wait_loadcnt_dscnt 0xa01
	v_mul_f64_e32 v[180:181], v[4:5], v[144:145]
	v_mul_f64_e32 v[144:145], v[6:7], v[144:145]
	v_fmac_f64_e32 v[176:177], v[152:153], v[126:127]
	v_fma_f64 v[150:151], v[150:151], v[126:127], -v[128:129]
	scratch_load_b128 v[126:129], off, off offset:528
	v_add_f64_e32 v[152:153], v[184:185], v[182:183]
	v_add_f64_e32 v[174:175], v[174:175], v[178:179]
	s_wait_loadcnt_dscnt 0xa00
	v_mul_f64_e32 v[178:179], v[134:135], v[132:133]
	v_mul_f64_e32 v[132:133], v[136:137], v[132:133]
	v_fmac_f64_e32 v[180:181], v[6:7], v[142:143]
	v_fma_f64 v[182:183], v[4:5], v[142:143], -v[144:145]
	ds_load_b128 v[4:7], v2 offset:1216
	ds_load_b128 v[142:145], v2 offset:1232
	v_add_f64_e32 v[184:185], v[152:153], v[150:151]
	v_add_f64_e32 v[174:175], v[174:175], v[176:177]
	scratch_load_b128 v[150:153], off, off offset:544
	s_wait_loadcnt_dscnt 0xa01
	v_mul_f64_e32 v[176:177], v[4:5], v[156:157]
	v_mul_f64_e32 v[156:157], v[6:7], v[156:157]
	v_fmac_f64_e32 v[178:179], v[136:137], v[130:131]
	v_fma_f64 v[134:135], v[134:135], v[130:131], -v[132:133]
	scratch_load_b128 v[130:133], off, off offset:560
	v_add_f64_e32 v[136:137], v[184:185], v[182:183]
	v_add_f64_e32 v[174:175], v[174:175], v[180:181]
	s_wait_loadcnt_dscnt 0xa00
	v_mul_f64_e32 v[180:181], v[142:143], v[140:141]
	v_mul_f64_e32 v[140:141], v[144:145], v[140:141]
	v_fmac_f64_e32 v[176:177], v[6:7], v[154:155]
	v_fma_f64 v[182:183], v[4:5], v[154:155], -v[156:157]
	v_add_f64_e32 v[184:185], v[136:137], v[134:135]
	v_add_f64_e32 v[174:175], v[174:175], v[178:179]
	ds_load_b128 v[4:7], v2 offset:1248
	ds_load_b128 v[134:137], v2 offset:1264
	scratch_load_b128 v[154:157], off, off offset:576
	v_fmac_f64_e32 v[180:181], v[144:145], v[138:139]
	v_fma_f64 v[142:143], v[142:143], v[138:139], -v[140:141]
	scratch_load_b128 v[138:141], off, off offset:592
	s_wait_loadcnt_dscnt 0xb01
	v_mul_f64_e32 v[178:179], v[4:5], v[172:173]
	v_mul_f64_e32 v[172:173], v[6:7], v[172:173]
	v_add_f64_e32 v[144:145], v[184:185], v[182:183]
	v_add_f64_e32 v[174:175], v[174:175], v[176:177]
	s_wait_loadcnt_dscnt 0xa00
	v_mul_f64_e32 v[176:177], v[134:135], v[10:11]
	v_mul_f64_e32 v[10:11], v[136:137], v[10:11]
	v_fmac_f64_e32 v[178:179], v[6:7], v[170:171]
	v_fma_f64 v[182:183], v[4:5], v[170:171], -v[172:173]
	v_add_f64_e32 v[184:185], v[144:145], v[142:143]
	v_add_f64_e32 v[174:175], v[174:175], v[180:181]
	ds_load_b128 v[4:7], v2 offset:1280
	ds_load_b128 v[142:145], v2 offset:1296
	scratch_load_b128 v[170:173], off, off offset:608
	v_fmac_f64_e32 v[176:177], v[136:137], v[8:9]
	v_fma_f64 v[134:135], v[134:135], v[8:9], -v[10:11]
	scratch_load_b128 v[8:11], off, off offset:624
	s_wait_loadcnt_dscnt 0xb01
	v_mul_f64_e32 v[180:181], v[4:5], v[160:161]
	v_mul_f64_e32 v[160:161], v[6:7], v[160:161]
	;; [unrolled: 18-line block ×8, first 2 shown]
	v_add_f64_e32 v[136:137], v[184:185], v[182:183]
	v_add_f64_e32 v[174:175], v[174:175], v[178:179]
	s_wait_loadcnt_dscnt 0xa00
	v_mul_f64_e32 v[178:179], v[142:143], v[124:125]
	v_mul_f64_e32 v[124:125], v[144:145], v[124:125]
	v_fmac_f64_e32 v[180:181], v[6:7], v[158:159]
	v_fma_f64 v[158:159], v[4:5], v[158:159], -v[160:161]
	v_add_f64_e32 v[160:161], v[136:137], v[134:135]
	v_add_f64_e32 v[174:175], v[174:175], v[176:177]
	ds_load_b128 v[4:7], v2 offset:1504
	ds_load_b128 v[134:137], v2 offset:1520
	v_fmac_f64_e32 v[178:179], v[144:145], v[122:123]
	v_fma_f64 v[122:123], v[142:143], v[122:123], -v[124:125]
	s_wait_loadcnt_dscnt 0x901
	v_mul_f64_e32 v[176:177], v[4:5], v[168:169]
	v_mul_f64_e32 v[168:169], v[6:7], v[168:169]
	s_wait_loadcnt_dscnt 0x800
	v_mul_f64_e32 v[144:145], v[134:135], v[14:15]
	v_mul_f64_e32 v[14:15], v[136:137], v[14:15]
	v_add_f64_e32 v[124:125], v[160:161], v[158:159]
	v_add_f64_e32 v[142:143], v[174:175], v[180:181]
	v_fmac_f64_e32 v[176:177], v[6:7], v[166:167]
	v_fma_f64 v[158:159], v[4:5], v[166:167], -v[168:169]
	v_fmac_f64_e32 v[144:145], v[136:137], v[12:13]
	v_fma_f64 v[12:13], v[134:135], v[12:13], -v[14:15]
	v_add_f64_e32 v[160:161], v[124:125], v[122:123]
	v_add_f64_e32 v[142:143], v[142:143], v[178:179]
	ds_load_b128 v[4:7], v2 offset:1536
	ds_load_b128 v[122:125], v2 offset:1552
	s_wait_loadcnt_dscnt 0x701
	v_mul_f64_e32 v[166:167], v[4:5], v[148:149]
	v_mul_f64_e32 v[148:149], v[6:7], v[148:149]
	s_wait_loadcnt_dscnt 0x600
	v_mul_f64_e32 v[136:137], v[122:123], v[128:129]
	v_mul_f64_e32 v[128:129], v[124:125], v[128:129]
	v_add_f64_e32 v[14:15], v[160:161], v[158:159]
	v_add_f64_e32 v[134:135], v[142:143], v[176:177]
	v_fmac_f64_e32 v[166:167], v[6:7], v[146:147]
	v_fma_f64 v[142:143], v[4:5], v[146:147], -v[148:149]
	v_fmac_f64_e32 v[136:137], v[124:125], v[126:127]
	v_fma_f64 v[122:123], v[122:123], v[126:127], -v[128:129]
	v_add_f64_e32 v[146:147], v[14:15], v[12:13]
	v_add_f64_e32 v[134:135], v[134:135], v[144:145]
	ds_load_b128 v[4:7], v2 offset:1568
	ds_load_b128 v[12:15], v2 offset:1584
	s_wait_loadcnt_dscnt 0x501
	v_mul_f64_e32 v[144:145], v[4:5], v[152:153]
	v_mul_f64_e32 v[148:149], v[6:7], v[152:153]
	s_wait_loadcnt_dscnt 0x400
	v_mul_f64_e32 v[128:129], v[12:13], v[132:133]
	v_mul_f64_e32 v[132:133], v[14:15], v[132:133]
	v_add_f64_e32 v[124:125], v[146:147], v[142:143]
	v_add_f64_e32 v[126:127], v[134:135], v[166:167]
	v_fmac_f64_e32 v[144:145], v[6:7], v[150:151]
	v_fma_f64 v[134:135], v[4:5], v[150:151], -v[148:149]
	v_fmac_f64_e32 v[128:129], v[14:15], v[130:131]
	v_fma_f64 v[12:13], v[12:13], v[130:131], -v[132:133]
	v_add_f64_e32 v[142:143], v[124:125], v[122:123]
	v_add_f64_e32 v[126:127], v[126:127], v[136:137]
	ds_load_b128 v[4:7], v2 offset:1600
	ds_load_b128 v[122:125], v2 offset:1616
	s_wait_loadcnt_dscnt 0x301
	v_mul_f64_e32 v[136:137], v[4:5], v[156:157]
	v_mul_f64_e32 v[146:147], v[6:7], v[156:157]
	s_wait_loadcnt_dscnt 0x200
	v_mul_f64_e32 v[130:131], v[122:123], v[140:141]
	v_mul_f64_e32 v[132:133], v[124:125], v[140:141]
	v_add_f64_e32 v[14:15], v[142:143], v[134:135]
	v_add_f64_e32 v[126:127], v[126:127], v[144:145]
	v_fmac_f64_e32 v[136:137], v[6:7], v[154:155]
	v_fma_f64 v[134:135], v[4:5], v[154:155], -v[146:147]
	v_fmac_f64_e32 v[130:131], v[124:125], v[138:139]
	v_fma_f64 v[122:123], v[122:123], v[138:139], -v[132:133]
	v_add_f64_e32 v[140:141], v[14:15], v[12:13]
	v_add_f64_e32 v[126:127], v[126:127], v[128:129]
	ds_load_b128 v[4:7], v2 offset:1632
	ds_load_b128 v[12:15], v2 offset:1648
	s_wait_loadcnt_dscnt 0x101
	v_mul_f64_e32 v[2:3], v[4:5], v[172:173]
	v_mul_f64_e32 v[128:129], v[6:7], v[172:173]
	s_wait_loadcnt_dscnt 0x0
	v_mul_f64_e32 v[132:133], v[12:13], v[10:11]
	v_mul_f64_e32 v[10:11], v[14:15], v[10:11]
	v_add_f64_e32 v[124:125], v[140:141], v[134:135]
	v_add_f64_e32 v[126:127], v[126:127], v[136:137]
	v_fmac_f64_e32 v[2:3], v[6:7], v[170:171]
	v_fma_f64 v[4:5], v[4:5], v[170:171], -v[128:129]
	v_fmac_f64_e32 v[132:133], v[14:15], v[8:9]
	v_fma_f64 v[8:9], v[12:13], v[8:9], -v[10:11]
	v_add_f64_e32 v[6:7], v[124:125], v[122:123]
	v_add_f64_e32 v[122:123], v[126:127], v[130:131]
	s_delay_alu instid0(VALU_DEP_2) | instskip(NEXT) | instid1(VALU_DEP_2)
	v_add_f64_e32 v[4:5], v[6:7], v[4:5]
	v_add_f64_e32 v[2:3], v[122:123], v[2:3]
	s_delay_alu instid0(VALU_DEP_2) | instskip(NEXT) | instid1(VALU_DEP_2)
	;; [unrolled: 3-line block ×3, first 2 shown]
	v_add_f64_e64 v[2:3], v[162:163], -v[4:5]
	v_add_f64_e64 v[4:5], v[164:165], -v[6:7]
	scratch_store_b128 off, v[2:5], off offset:16
	s_wait_xcnt 0x0
	v_cmpx_ne_u32_e32 0, v1
	s_cbranch_execz .LBB51_325
; %bb.324:
	scratch_load_b128 v[2:5], off, off
	v_mov_b32_e32 v6, 0
	s_delay_alu instid0(VALU_DEP_1)
	v_dual_mov_b32 v7, v6 :: v_dual_mov_b32 v8, v6
	v_mov_b32_e32 v9, v6
	scratch_store_b128 off, v[6:9], off
	s_wait_loadcnt 0x0
	ds_store_b128 v120, v[2:5]
.LBB51_325:
	s_wait_xcnt 0x0
	s_or_b32 exec_lo, exec_lo, s2
	s_wait_storecnt_dscnt 0x0
	s_barrier_signal -1
	s_barrier_wait -1
	s_clause 0x9
	scratch_load_b128 v[2:5], off, off offset:16
	scratch_load_b128 v[6:9], off, off offset:32
	;; [unrolled: 1-line block ×10, first 2 shown]
	v_mov_b32_e32 v134, 0
	s_and_b32 vcc_lo, exec_lo, s64
	ds_load_b128 v[152:155], v134 offset:848
	s_clause 0x2
	scratch_load_b128 v[156:159], off, off offset:176
	scratch_load_b128 v[160:163], off, off
	scratch_load_b128 v[168:171], off, off offset:192
	s_wait_loadcnt_dscnt 0xc00
	v_mul_f64_e32 v[14:15], v[154:155], v[4:5]
	v_mul_f64_e32 v[132:133], v[152:153], v[4:5]
	ds_load_b128 v[164:167], v134 offset:864
	ds_load_b128 v[172:175], v134 offset:896
	v_fma_f64 v[14:15], v[152:153], v[2:3], -v[14:15]
	v_fmac_f64_e32 v[132:133], v[154:155], v[2:3]
	ds_load_b128 v[2:5], v134 offset:880
	s_wait_loadcnt_dscnt 0xb02
	v_mul_f64_e32 v[176:177], v[164:165], v[8:9]
	v_mul_f64_e32 v[8:9], v[166:167], v[8:9]
	scratch_load_b128 v[152:155], off, off offset:208
	s_wait_loadcnt_dscnt 0xb00
	v_mul_f64_e32 v[178:179], v[2:3], v[12:13]
	v_mul_f64_e32 v[12:13], v[4:5], v[12:13]
	v_add_f64_e32 v[14:15], 0, v[14:15]
	v_add_f64_e32 v[132:133], 0, v[132:133]
	v_fmac_f64_e32 v[176:177], v[166:167], v[6:7]
	v_fma_f64 v[164:165], v[164:165], v[6:7], -v[8:9]
	scratch_load_b128 v[6:9], off, off offset:224
	v_fmac_f64_e32 v[178:179], v[4:5], v[10:11]
	v_fma_f64 v[182:183], v[2:3], v[10:11], -v[12:13]
	ds_load_b128 v[2:5], v134 offset:912
	s_wait_loadcnt 0xb
	v_mul_f64_e32 v[180:181], v[172:173], v[122:123]
	v_mul_f64_e32 v[122:123], v[174:175], v[122:123]
	scratch_load_b128 v[10:13], off, off offset:240
	v_add_f64_e32 v[132:133], v[132:133], v[176:177]
	v_add_f64_e32 v[14:15], v[14:15], v[164:165]
	ds_load_b128 v[164:167], v134 offset:928
	s_wait_loadcnt_dscnt 0xb01
	v_mul_f64_e32 v[176:177], v[2:3], v[126:127]
	v_mul_f64_e32 v[126:127], v[4:5], v[126:127]
	v_fmac_f64_e32 v[180:181], v[174:175], v[120:121]
	v_fma_f64 v[172:173], v[172:173], v[120:121], -v[122:123]
	scratch_load_b128 v[120:123], off, off offset:256
	v_add_f64_e32 v[132:133], v[132:133], v[178:179]
	v_add_f64_e32 v[14:15], v[14:15], v[182:183]
	v_fmac_f64_e32 v[176:177], v[4:5], v[124:125]
	v_fma_f64 v[182:183], v[2:3], v[124:125], -v[126:127]
	ds_load_b128 v[2:5], v134 offset:944
	s_wait_loadcnt_dscnt 0xb01
	v_mul_f64_e32 v[174:175], v[164:165], v[130:131]
	v_mul_f64_e32 v[178:179], v[166:167], v[130:131]
	scratch_load_b128 v[124:127], off, off offset:272
	v_add_f64_e32 v[14:15], v[14:15], v[172:173]
	v_add_f64_e32 v[172:173], v[132:133], v[180:181]
	s_wait_loadcnt_dscnt 0xb00
	v_mul_f64_e32 v[180:181], v[2:3], v[138:139]
	v_mul_f64_e32 v[138:139], v[4:5], v[138:139]
	ds_load_b128 v[130:133], v134 offset:960
	v_fmac_f64_e32 v[174:175], v[166:167], v[128:129]
	v_fma_f64 v[128:129], v[164:165], v[128:129], -v[178:179]
	scratch_load_b128 v[164:167], off, off offset:288
	v_add_f64_e32 v[14:15], v[14:15], v[182:183]
	v_add_f64_e32 v[172:173], v[172:173], v[176:177]
	v_fmac_f64_e32 v[180:181], v[4:5], v[136:137]
	v_fma_f64 v[178:179], v[2:3], v[136:137], -v[138:139]
	ds_load_b128 v[2:5], v134 offset:976
	s_wait_loadcnt_dscnt 0xb01
	v_mul_f64_e32 v[176:177], v[130:131], v[142:143]
	v_mul_f64_e32 v[142:143], v[132:133], v[142:143]
	scratch_load_b128 v[136:139], off, off offset:304
	s_wait_loadcnt_dscnt 0xb00
	v_mul_f64_e32 v[182:183], v[2:3], v[146:147]
	v_mul_f64_e32 v[146:147], v[4:5], v[146:147]
	v_add_f64_e32 v[14:15], v[14:15], v[128:129]
	v_add_f64_e32 v[128:129], v[172:173], v[174:175]
	ds_load_b128 v[172:175], v134 offset:992
	v_fmac_f64_e32 v[176:177], v[132:133], v[140:141]
	v_fma_f64 v[132:133], v[130:131], v[140:141], -v[142:143]
	v_fmac_f64_e32 v[182:183], v[4:5], v[144:145]
	v_add_f64_e32 v[14:15], v[14:15], v[178:179]
	v_add_f64_e32 v[140:141], v[128:129], v[180:181]
	scratch_load_b128 v[128:131], off, off offset:320
	v_fma_f64 v[180:181], v[2:3], v[144:145], -v[146:147]
	ds_load_b128 v[2:5], v134 offset:1008
	s_wait_loadcnt_dscnt 0xb01
	v_mul_f64_e32 v[178:179], v[172:173], v[150:151]
	v_mul_f64_e32 v[150:151], v[174:175], v[150:151]
	ds_load_b128 v[144:147], v134 offset:1024
	v_add_f64_e32 v[14:15], v[14:15], v[132:133]
	v_add_f64_e32 v[132:133], v[140:141], v[176:177]
	scratch_load_b128 v[140:143], off, off offset:336
	s_wait_loadcnt_dscnt 0xb01
	v_mul_f64_e32 v[176:177], v[2:3], v[158:159]
	v_mul_f64_e32 v[158:159], v[4:5], v[158:159]
	v_fmac_f64_e32 v[178:179], v[174:175], v[148:149]
	v_fma_f64 v[172:173], v[172:173], v[148:149], -v[150:151]
	scratch_load_b128 v[148:151], off, off offset:352
	v_add_f64_e32 v[14:15], v[14:15], v[180:181]
	v_add_f64_e32 v[132:133], v[132:133], v[182:183]
	v_fmac_f64_e32 v[176:177], v[4:5], v[156:157]
	v_fma_f64 v[182:183], v[2:3], v[156:157], -v[158:159]
	ds_load_b128 v[2:5], v134 offset:1040
	s_wait_loadcnt_dscnt 0xa01
	v_mul_f64_e32 v[174:175], v[144:145], v[170:171]
	v_mul_f64_e32 v[180:181], v[146:147], v[170:171]
	scratch_load_b128 v[156:159], off, off offset:368
	v_add_f64_e32 v[14:15], v[14:15], v[172:173]
	v_add_f64_e32 v[132:133], v[132:133], v[178:179]
	s_wait_loadcnt_dscnt 0xa00
	v_mul_f64_e32 v[178:179], v[2:3], v[154:155]
	v_mul_f64_e32 v[154:155], v[4:5], v[154:155]
	ds_load_b128 v[170:173], v134 offset:1056
	v_fmac_f64_e32 v[174:175], v[146:147], v[168:169]
	v_fma_f64 v[168:169], v[144:145], v[168:169], -v[180:181]
	scratch_load_b128 v[144:147], off, off offset:384
	v_add_f64_e32 v[14:15], v[14:15], v[182:183]
	v_add_f64_e32 v[132:133], v[132:133], v[176:177]
	v_fmac_f64_e32 v[178:179], v[4:5], v[152:153]
	v_fma_f64 v[182:183], v[2:3], v[152:153], -v[154:155]
	ds_load_b128 v[2:5], v134 offset:1072
	s_wait_loadcnt_dscnt 0xa01
	v_mul_f64_e32 v[180:181], v[170:171], v[8:9]
	v_mul_f64_e32 v[8:9], v[172:173], v[8:9]
	scratch_load_b128 v[152:155], off, off offset:400
	s_wait_loadcnt_dscnt 0xa00
	v_mul_f64_e32 v[184:185], v[2:3], v[12:13]
	v_mul_f64_e32 v[12:13], v[4:5], v[12:13]
	v_add_f64_e32 v[14:15], v[14:15], v[168:169]
	v_add_f64_e32 v[132:133], v[132:133], v[174:175]
	ds_load_b128 v[174:177], v134 offset:1088
	v_fmac_f64_e32 v[180:181], v[172:173], v[6:7]
	v_fma_f64 v[168:169], v[170:171], v[6:7], -v[8:9]
	scratch_load_b128 v[6:9], off, off offset:416
	v_fmac_f64_e32 v[184:185], v[4:5], v[10:11]
	v_add_f64_e32 v[14:15], v[14:15], v[182:183]
	v_add_f64_e32 v[132:133], v[132:133], v[178:179]
	v_fma_f64 v[178:179], v[2:3], v[10:11], -v[12:13]
	ds_load_b128 v[2:5], v134 offset:1104
	s_wait_loadcnt_dscnt 0xa01
	v_mul_f64_e32 v[172:173], v[174:175], v[122:123]
	v_mul_f64_e32 v[122:123], v[176:177], v[122:123]
	scratch_load_b128 v[10:13], off, off offset:432
	v_add_f64_e32 v[14:15], v[14:15], v[168:169]
	v_add_f64_e32 v[132:133], v[132:133], v[180:181]
	s_wait_loadcnt_dscnt 0xa00
	v_mul_f64_e32 v[180:181], v[2:3], v[126:127]
	v_mul_f64_e32 v[126:127], v[4:5], v[126:127]
	v_fmac_f64_e32 v[172:173], v[176:177], v[120:121]
	v_fma_f64 v[174:175], v[174:175], v[120:121], -v[122:123]
	ds_load_b128 v[168:171], v134 offset:1120
	scratch_load_b128 v[120:123], off, off offset:448
	v_add_f64_e32 v[14:15], v[14:15], v[178:179]
	v_add_f64_e32 v[132:133], v[132:133], v[184:185]
	v_fmac_f64_e32 v[180:181], v[4:5], v[124:125]
	v_fma_f64 v[178:179], v[2:3], v[124:125], -v[126:127]
	ds_load_b128 v[2:5], v134 offset:1136
	s_wait_loadcnt_dscnt 0xa01
	v_mul_f64_e32 v[176:177], v[168:169], v[166:167]
	v_mul_f64_e32 v[166:167], v[170:171], v[166:167]
	scratch_load_b128 v[124:127], off, off offset:464
	s_wait_loadcnt_dscnt 0xa00
	v_mul_f64_e32 v[182:183], v[2:3], v[138:139]
	v_mul_f64_e32 v[138:139], v[4:5], v[138:139]
	v_add_f64_e32 v[14:15], v[14:15], v[174:175]
	v_add_f64_e32 v[132:133], v[132:133], v[172:173]
	ds_load_b128 v[172:175], v134 offset:1152
	v_fmac_f64_e32 v[176:177], v[170:171], v[164:165]
	v_fma_f64 v[168:169], v[168:169], v[164:165], -v[166:167]
	scratch_load_b128 v[164:167], off, off offset:480
	v_fmac_f64_e32 v[182:183], v[4:5], v[136:137]
	v_add_f64_e32 v[14:15], v[14:15], v[178:179]
	v_add_f64_e32 v[132:133], v[132:133], v[180:181]
	v_fma_f64 v[180:181], v[2:3], v[136:137], -v[138:139]
	ds_load_b128 v[2:5], v134 offset:1168
	s_wait_loadcnt_dscnt 0xa01
	v_mul_f64_e32 v[178:179], v[172:173], v[130:131]
	v_mul_f64_e32 v[170:171], v[174:175], v[130:131]
	ds_load_b128 v[136:139], v134 offset:1184
	v_add_f64_e32 v[14:15], v[14:15], v[168:169]
	v_add_f64_e32 v[168:169], v[132:133], v[176:177]
	scratch_load_b128 v[130:133], off, off offset:496
	s_wait_loadcnt_dscnt 0xa01
	v_mul_f64_e32 v[176:177], v[2:3], v[142:143]
	v_mul_f64_e32 v[142:143], v[4:5], v[142:143]
	v_fmac_f64_e32 v[178:179], v[174:175], v[128:129]
	v_fma_f64 v[128:129], v[172:173], v[128:129], -v[170:171]
	v_add_f64_e32 v[14:15], v[14:15], v[180:181]
	v_add_f64_e32 v[172:173], v[168:169], v[182:183]
	scratch_load_b128 v[168:171], off, off offset:512
	v_fmac_f64_e32 v[176:177], v[4:5], v[140:141]
	v_fma_f64 v[182:183], v[2:3], v[140:141], -v[142:143]
	ds_load_b128 v[2:5], v134 offset:1200
	s_wait_loadcnt_dscnt 0xa01
	v_mul_f64_e32 v[180:181], v[136:137], v[150:151]
	v_mul_f64_e32 v[150:151], v[138:139], v[150:151]
	scratch_load_b128 v[140:143], off, off offset:528
	v_add_f64_e32 v[14:15], v[14:15], v[128:129]
	v_add_f64_e32 v[128:129], v[172:173], v[178:179]
	s_wait_loadcnt_dscnt 0xa00
	v_mul_f64_e32 v[178:179], v[2:3], v[158:159]
	v_mul_f64_e32 v[158:159], v[4:5], v[158:159]
	ds_load_b128 v[172:175], v134 offset:1216
	v_fmac_f64_e32 v[180:181], v[138:139], v[148:149]
	v_fma_f64 v[148:149], v[136:137], v[148:149], -v[150:151]
	scratch_load_b128 v[136:139], off, off offset:544
	v_add_f64_e32 v[14:15], v[14:15], v[182:183]
	v_add_f64_e32 v[128:129], v[128:129], v[176:177]
	v_fmac_f64_e32 v[178:179], v[4:5], v[156:157]
	v_fma_f64 v[182:183], v[2:3], v[156:157], -v[158:159]
	ds_load_b128 v[2:5], v134 offset:1232
	s_wait_loadcnt_dscnt 0xa01
	v_mul_f64_e32 v[150:151], v[172:173], v[146:147]
	v_mul_f64_e32 v[176:177], v[174:175], v[146:147]
	ds_load_b128 v[156:159], v134 offset:1248
	v_add_f64_e32 v[14:15], v[14:15], v[148:149]
	v_add_f64_e32 v[128:129], v[128:129], v[180:181]
	scratch_load_b128 v[146:149], off, off offset:560
	s_wait_loadcnt_dscnt 0xa01
	v_mul_f64_e32 v[180:181], v[2:3], v[154:155]
	v_mul_f64_e32 v[154:155], v[4:5], v[154:155]
	v_fmac_f64_e32 v[150:151], v[174:175], v[144:145]
	v_fma_f64 v[144:145], v[172:173], v[144:145], -v[176:177]
	scratch_load_b128 v[172:175], off, off offset:576
	v_add_f64_e32 v[14:15], v[14:15], v[182:183]
	v_add_f64_e32 v[128:129], v[128:129], v[178:179]
	ds_load_b128 v[176:179], v134 offset:1280
	v_fmac_f64_e32 v[180:181], v[4:5], v[152:153]
	v_fma_f64 v[154:155], v[2:3], v[152:153], -v[154:155]
	ds_load_b128 v[2:5], v134 offset:1264
	s_wait_loadcnt_dscnt 0xa02
	v_mul_f64_e32 v[182:183], v[156:157], v[8:9]
	v_mul_f64_e32 v[8:9], v[158:159], v[8:9]
	v_add_f64_e32 v[14:15], v[14:15], v[144:145]
	v_add_f64_e32 v[128:129], v[128:129], v[150:151]
	scratch_load_b128 v[150:153], off, off offset:592
	s_wait_loadcnt_dscnt 0xa00
	v_mul_f64_e32 v[144:145], v[2:3], v[12:13]
	v_mul_f64_e32 v[12:13], v[4:5], v[12:13]
	v_fmac_f64_e32 v[182:183], v[158:159], v[6:7]
	v_fma_f64 v[156:157], v[156:157], v[6:7], -v[8:9]
	scratch_load_b128 v[6:9], off, off offset:608
	v_add_f64_e32 v[14:15], v[14:15], v[154:155]
	v_add_f64_e32 v[128:129], v[128:129], v[180:181]
	v_fmac_f64_e32 v[144:145], v[4:5], v[10:11]
	v_fma_f64 v[180:181], v[2:3], v[10:11], -v[12:13]
	ds_load_b128 v[2:5], v134 offset:1296
	s_wait_loadcnt 0xa
	v_mul_f64_e32 v[158:159], v[176:177], v[122:123]
	v_mul_f64_e32 v[122:123], v[178:179], v[122:123]
	scratch_load_b128 v[10:13], off, off offset:624
	v_add_f64_e32 v[14:15], v[14:15], v[156:157]
	v_add_f64_e32 v[128:129], v[128:129], v[182:183]
	s_wait_loadcnt_dscnt 0xa00
	v_mul_f64_e32 v[182:183], v[2:3], v[126:127]
	v_mul_f64_e32 v[126:127], v[4:5], v[126:127]
	ds_load_b128 v[154:157], v134 offset:1312
	v_fmac_f64_e32 v[158:159], v[178:179], v[120:121]
	v_fma_f64 v[176:177], v[176:177], v[120:121], -v[122:123]
	scratch_load_b128 v[120:123], off, off offset:640
	v_add_f64_e32 v[14:15], v[14:15], v[180:181]
	v_add_f64_e32 v[128:129], v[128:129], v[144:145]
	v_fmac_f64_e32 v[182:183], v[4:5], v[124:125]
	v_fma_f64 v[180:181], v[2:3], v[124:125], -v[126:127]
	ds_load_b128 v[2:5], v134 offset:1328
	s_wait_loadcnt_dscnt 0xa01
	v_mul_f64_e32 v[144:145], v[154:155], v[166:167]
	v_mul_f64_e32 v[166:167], v[156:157], v[166:167]
	scratch_load_b128 v[124:127], off, off offset:656
	v_add_f64_e32 v[14:15], v[14:15], v[176:177]
	v_add_f64_e32 v[128:129], v[128:129], v[158:159]
	s_wait_loadcnt_dscnt 0xa00
	v_mul_f64_e32 v[158:159], v[2:3], v[132:133]
	v_mul_f64_e32 v[132:133], v[4:5], v[132:133]
	ds_load_b128 v[176:179], v134 offset:1344
	v_fmac_f64_e32 v[144:145], v[156:157], v[164:165]
	v_fma_f64 v[164:165], v[154:155], v[164:165], -v[166:167]
	scratch_load_b128 v[154:157], off, off offset:672
	v_add_f64_e32 v[14:15], v[14:15], v[180:181]
	v_add_f64_e32 v[128:129], v[128:129], v[182:183]
	v_fmac_f64_e32 v[158:159], v[4:5], v[130:131]
	v_fma_f64 v[132:133], v[2:3], v[130:131], -v[132:133]
	ds_load_b128 v[2:5], v134 offset:1360
	s_wait_loadcnt_dscnt 0xa01
	v_mul_f64_e32 v[180:181], v[176:177], v[170:171]
	v_mul_f64_e32 v[170:171], v[178:179], v[170:171]
	s_wait_loadcnt_dscnt 0x900
	v_mul_f64_e32 v[182:183], v[2:3], v[142:143]
	v_mul_f64_e32 v[184:185], v[4:5], v[142:143]
	v_add_f64_e32 v[14:15], v[14:15], v[164:165]
	v_add_f64_e32 v[144:145], v[128:129], v[144:145]
	scratch_load_b128 v[128:131], off, off offset:688
	ds_load_b128 v[164:167], v134 offset:1376
	v_fmac_f64_e32 v[180:181], v[178:179], v[168:169]
	v_fma_f64 v[168:169], v[176:177], v[168:169], -v[170:171]
	v_fmac_f64_e32 v[182:183], v[4:5], v[140:141]
	v_fma_f64 v[178:179], v[2:3], v[140:141], -v[184:185]
	ds_load_b128 v[2:5], v134 offset:1392
	s_wait_loadcnt_dscnt 0x901
	v_mul_f64_e32 v[176:177], v[166:167], v[138:139]
	v_add_f64_e32 v[14:15], v[14:15], v[132:133]
	v_add_f64_e32 v[132:133], v[144:145], v[158:159]
	scratch_load_b128 v[142:145], off, off offset:704
	v_mul_f64_e32 v[158:159], v[164:165], v[138:139]
	scratch_load_b128 v[138:141], off, off offset:720
	v_add_f64_e32 v[14:15], v[14:15], v[168:169]
	v_add_f64_e32 v[132:133], v[132:133], v[180:181]
	s_wait_loadcnt_dscnt 0xa00
	v_mul_f64_e32 v[180:181], v[2:3], v[148:149]
	v_mul_f64_e32 v[148:149], v[4:5], v[148:149]
	v_fmac_f64_e32 v[158:159], v[166:167], v[136:137]
	v_fma_f64 v[136:137], v[164:165], v[136:137], -v[176:177]
	ds_load_b128 v[168:171], v134 offset:1408
	scratch_load_b128 v[164:167], off, off offset:736
	v_add_f64_e32 v[14:15], v[14:15], v[178:179]
	v_add_f64_e32 v[132:133], v[132:133], v[182:183]
	v_fmac_f64_e32 v[180:181], v[4:5], v[146:147]
	v_fma_f64 v[184:185], v[2:3], v[146:147], -v[148:149]
	ds_load_b128 v[2:5], v134 offset:1424
	s_wait_loadcnt_dscnt 0xa01
	v_mul_f64_e32 v[178:179], v[168:169], v[174:175]
	v_mul_f64_e32 v[182:183], v[170:171], v[174:175]
	scratch_load_b128 v[146:149], off, off offset:752
	ds_load_b128 v[174:177], v134 offset:1440
	v_add_f64_e32 v[14:15], v[14:15], v[136:137]
	v_add_f64_e32 v[132:133], v[132:133], v[158:159]
	s_wait_loadcnt_dscnt 0xa01
	v_mul_f64_e32 v[136:137], v[2:3], v[152:153]
	v_mul_f64_e32 v[152:153], v[4:5], v[152:153]
	v_fmac_f64_e32 v[178:179], v[170:171], v[172:173]
	v_fma_f64 v[158:159], v[168:169], v[172:173], -v[182:183]
	scratch_load_b128 v[168:171], off, off offset:768
	v_add_f64_e32 v[14:15], v[14:15], v[184:185]
	v_add_f64_e32 v[132:133], v[132:133], v[180:181]
	v_fmac_f64_e32 v[136:137], v[4:5], v[150:151]
	v_fma_f64 v[182:183], v[2:3], v[150:151], -v[152:153]
	ds_load_b128 v[2:5], v134 offset:1456
	s_wait_loadcnt_dscnt 0xa01
	v_mul_f64_e32 v[172:173], v[174:175], v[8:9]
	v_mul_f64_e32 v[8:9], v[176:177], v[8:9]
	scratch_load_b128 v[150:153], off, off offset:784
	v_add_f64_e32 v[14:15], v[14:15], v[158:159]
	v_add_f64_e32 v[132:133], v[132:133], v[178:179]
	s_wait_loadcnt_dscnt 0xa00
	v_mul_f64_e32 v[158:159], v[2:3], v[12:13]
	v_mul_f64_e32 v[12:13], v[4:5], v[12:13]
	ds_load_b128 v[178:181], v134 offset:1472
	v_fmac_f64_e32 v[172:173], v[176:177], v[6:7]
	v_fma_f64 v[174:175], v[174:175], v[6:7], -v[8:9]
	scratch_load_b128 v[6:9], off, off offset:800
	v_add_f64_e32 v[14:15], v[14:15], v[182:183]
	v_add_f64_e32 v[132:133], v[132:133], v[136:137]
	v_fmac_f64_e32 v[158:159], v[4:5], v[10:11]
	v_fma_f64 v[176:177], v[2:3], v[10:11], -v[12:13]
	ds_load_b128 v[2:5], v134 offset:1488
	s_wait_loadcnt_dscnt 0xa01
	v_mul_f64_e32 v[136:137], v[178:179], v[122:123]
	v_mul_f64_e32 v[122:123], v[180:181], v[122:123]
	scratch_load_b128 v[10:13], off, off offset:816
	s_wait_loadcnt_dscnt 0xa00
	v_mul_f64_e32 v[182:183], v[2:3], v[126:127]
	v_mul_f64_e32 v[126:127], v[4:5], v[126:127]
	v_add_f64_e32 v[14:15], v[14:15], v[174:175]
	v_add_f64_e32 v[132:133], v[132:133], v[172:173]
	ds_load_b128 v[172:175], v134 offset:1504
	v_fmac_f64_e32 v[136:137], v[180:181], v[120:121]
	v_fma_f64 v[120:121], v[178:179], v[120:121], -v[122:123]
	v_fmac_f64_e32 v[182:183], v[4:5], v[124:125]
	v_fma_f64 v[124:125], v[2:3], v[124:125], -v[126:127]
	v_add_f64_e32 v[14:15], v[14:15], v[176:177]
	v_add_f64_e32 v[122:123], v[132:133], v[158:159]
	s_wait_loadcnt_dscnt 0x900
	v_mul_f64_e32 v[132:133], v[172:173], v[156:157]
	v_mul_f64_e32 v[156:157], v[174:175], v[156:157]
	s_delay_alu instid0(VALU_DEP_4) | instskip(NEXT) | instid1(VALU_DEP_4)
	v_add_f64_e32 v[14:15], v[14:15], v[120:121]
	v_add_f64_e32 v[126:127], v[122:123], v[136:137]
	ds_load_b128 v[2:5], v134 offset:1520
	ds_load_b128 v[120:123], v134 offset:1536
	v_fmac_f64_e32 v[132:133], v[174:175], v[154:155]
	v_fma_f64 v[154:155], v[172:173], v[154:155], -v[156:157]
	s_wait_loadcnt_dscnt 0x801
	v_mul_f64_e32 v[136:137], v[2:3], v[130:131]
	v_mul_f64_e32 v[130:131], v[4:5], v[130:131]
	v_add_f64_e32 v[14:15], v[14:15], v[124:125]
	v_add_f64_e32 v[124:125], v[126:127], v[182:183]
	s_wait_loadcnt_dscnt 0x700
	v_mul_f64_e32 v[156:157], v[120:121], v[144:145]
	v_mul_f64_e32 v[144:145], v[122:123], v[144:145]
	v_fmac_f64_e32 v[136:137], v[4:5], v[128:129]
	v_fma_f64 v[128:129], v[2:3], v[128:129], -v[130:131]
	v_add_f64_e32 v[14:15], v[14:15], v[154:155]
	v_add_f64_e32 v[130:131], v[124:125], v[132:133]
	ds_load_b128 v[2:5], v134 offset:1552
	ds_load_b128 v[124:127], v134 offset:1568
	v_fmac_f64_e32 v[156:157], v[122:123], v[142:143]
	v_fma_f64 v[120:121], v[120:121], v[142:143], -v[144:145]
	s_wait_loadcnt_dscnt 0x601
	v_mul_f64_e32 v[132:133], v[2:3], v[140:141]
	v_mul_f64_e32 v[140:141], v[4:5], v[140:141]
	v_add_f64_e32 v[14:15], v[14:15], v[128:129]
	v_add_f64_e32 v[122:123], v[130:131], v[136:137]
	s_wait_loadcnt_dscnt 0x500
	v_mul_f64_e32 v[128:129], v[124:125], v[166:167]
	v_mul_f64_e32 v[130:131], v[126:127], v[166:167]
	v_fmac_f64_e32 v[132:133], v[4:5], v[138:139]
	v_fma_f64 v[136:137], v[2:3], v[138:139], -v[140:141]
	v_add_f64_e32 v[14:15], v[14:15], v[120:121]
	v_add_f64_e32 v[138:139], v[122:123], v[156:157]
	ds_load_b128 v[2:5], v134 offset:1584
	ds_load_b128 v[120:123], v134 offset:1600
	v_fmac_f64_e32 v[128:129], v[126:127], v[164:165]
	v_fma_f64 v[124:125], v[124:125], v[164:165], -v[130:131]
	s_wait_loadcnt_dscnt 0x401
	v_mul_f64_e32 v[140:141], v[2:3], v[148:149]
	v_mul_f64_e32 v[142:143], v[4:5], v[148:149]
	s_wait_loadcnt_dscnt 0x300
	v_mul_f64_e32 v[130:131], v[120:121], v[170:171]
	v_add_f64_e32 v[14:15], v[14:15], v[136:137]
	v_add_f64_e32 v[126:127], v[138:139], v[132:133]
	v_mul_f64_e32 v[132:133], v[122:123], v[170:171]
	v_fmac_f64_e32 v[140:141], v[4:5], v[146:147]
	v_fma_f64 v[136:137], v[2:3], v[146:147], -v[142:143]
	v_fmac_f64_e32 v[130:131], v[122:123], v[168:169]
	v_add_f64_e32 v[14:15], v[14:15], v[124:125]
	v_add_f64_e32 v[128:129], v[126:127], v[128:129]
	ds_load_b128 v[2:5], v134 offset:1616
	ds_load_b128 v[124:127], v134 offset:1632
	v_fma_f64 v[120:121], v[120:121], v[168:169], -v[132:133]
	s_wait_loadcnt_dscnt 0x201
	v_mul_f64_e32 v[138:139], v[2:3], v[152:153]
	v_mul_f64_e32 v[142:143], v[4:5], v[152:153]
	v_add_f64_e32 v[14:15], v[14:15], v[136:137]
	v_add_f64_e32 v[122:123], v[128:129], v[140:141]
	s_wait_loadcnt_dscnt 0x100
	v_mul_f64_e32 v[128:129], v[124:125], v[8:9]
	v_mul_f64_e32 v[8:9], v[126:127], v[8:9]
	v_fmac_f64_e32 v[138:139], v[4:5], v[150:151]
	v_fma_f64 v[132:133], v[2:3], v[150:151], -v[142:143]
	ds_load_b128 v[2:5], v134 offset:1648
	v_add_f64_e32 v[14:15], v[14:15], v[120:121]
	v_add_f64_e32 v[120:121], v[122:123], v[130:131]
	v_fmac_f64_e32 v[128:129], v[126:127], v[6:7]
	v_fma_f64 v[6:7], v[124:125], v[6:7], -v[8:9]
	v_lshl_add_u64 v[130:131], v[20:21], 4, s[4:5]
	v_lshl_add_u64 v[126:127], v[26:27], 4, s[4:5]
	;; [unrolled: 1-line block ×7, first 2 shown]
	s_wait_loadcnt_dscnt 0x0
	v_mul_f64_e32 v[122:123], v[2:3], v[12:13]
	v_mul_f64_e32 v[12:13], v[4:5], v[12:13]
	v_lshl_add_u64 v[50:51], v[78:79], 4, s[4:5]
	v_lshl_add_u64 v[56:57], v[84:85], 4, s[4:5]
	v_lshl_add_u64 v[62:63], v[90:91], 4, s[4:5]
	v_lshl_add_u64 v[78:79], v[106:107], 4, s[4:5]
	v_lshl_add_u64 v[84:85], v[112:113], 4, s[4:5]
	v_lshl_add_u64 v[90:91], v[118:119], 4, s[4:5]
	v_add_f64_e32 v[8:9], v[14:15], v[132:133]
	v_add_f64_e32 v[14:15], v[120:121], v[138:139]
	v_lshl_add_u64 v[132:133], v[22:23], 4, s[4:5]
	v_lshl_add_u64 v[120:121], v[32:33], 4, s[4:5]
	;; [unrolled: 1-line block ×8, first 2 shown]
	v_fmac_f64_e32 v[122:123], v[4:5], v[10:11]
	v_fma_f64 v[2:3], v[2:3], v[10:11], -v[12:13]
	v_lshl_add_u64 v[10:11], v[44:45], 4, s[4:5]
	v_lshl_add_u64 v[12:13], v[46:47], 4, s[4:5]
	;; [unrolled: 1-line block ×6, first 2 shown]
	v_add_f64_e32 v[4:5], v[8:9], v[6:7]
	v_add_f64_e32 v[6:7], v[14:15], v[128:129]
	v_lshl_add_u64 v[128:129], v[24:25], 4, s[4:5]
	v_lshl_add_u64 v[8:9], v[42:43], 4, s[4:5]
	;; [unrolled: 1-line block ×10, first 2 shown]
	v_add_f64_e32 v[136:137], v[4:5], v[2:3]
	v_add_f64_e32 v[138:139], v[6:7], v[122:123]
	v_lshl_add_u64 v[122:123], v[28:29], 4, s[4:5]
	v_lshl_add_u64 v[2:3], v[36:37], 4, s[4:5]
	;; [unrolled: 1-line block ×13, first 2 shown]
	v_add_f64_e64 v[136:137], v[160:161], -v[136:137]
	v_add_f64_e64 v[138:139], v[162:163], -v[138:139]
	scratch_store_b128 off, v[136:139], off
	s_cbranch_vccz .LBB51_428
; %bb.326:
	global_load_b32 v92, v134, s[16:17] offset:200
	s_load_b64 s[2:3], s[0:1], 0x4
	v_bfe_u32 v93, v0, 10, 10
	v_bfe_u32 v0, v0, 20, 10
	s_wait_kmcnt 0x0
	s_lshr_b32 s0, s2, 16
	s_delay_alu instid0(VALU_DEP_2) | instskip(SKIP_1) | instid1(SALU_CYCLE_1)
	v_mul_u32_u24_e32 v93, s3, v93
	s_mul_i32 s0, s0, s3
	v_mul_u32_u24_e32 v1, s0, v1
	s_delay_alu instid0(VALU_DEP_1) | instskip(NEXT) | instid1(VALU_DEP_1)
	v_add3_u32 v0, v1, v93, v0
	v_lshl_add_u32 v0, v0, 4, 0x688
	s_wait_loadcnt 0x0
	v_cmp_ne_u32_e32 vcc_lo, 51, v92
	s_cbranch_vccz .LBB51_328
; %bb.327:
	v_lshlrev_b32_e32 v1, 4, v92
	s_clause 0x1
	scratch_load_b128 v[92:95], off, s27
	scratch_load_b128 v[96:99], v1, off offset:-16
	s_wait_loadcnt 0x1
	ds_store_2addr_b64 v0, v[92:93], v[94:95] offset1:1
	s_wait_loadcnt 0x0
	s_clause 0x1
	scratch_store_b128 off, v[96:99], s27
	scratch_store_b128 v1, v[92:95], off offset:-16
.LBB51_328:
	s_wait_xcnt 0x0
	v_mov_b32_e32 v1, 0
	global_load_b32 v92, v1, s[16:17] offset:196
	s_wait_loadcnt 0x0
	v_cmp_eq_u32_e32 vcc_lo, 50, v92
	s_cbranch_vccnz .LBB51_330
; %bb.329:
	v_lshlrev_b32_e32 v92, 4, v92
	s_delay_alu instid0(VALU_DEP_1)
	v_mov_b32_e32 v100, v92
	s_clause 0x1
	scratch_load_b128 v[92:95], off, s26
	scratch_load_b128 v[96:99], v100, off offset:-16
	s_wait_loadcnt 0x1
	ds_store_2addr_b64 v0, v[92:93], v[94:95] offset1:1
	s_wait_loadcnt 0x0
	s_clause 0x1
	scratch_store_b128 off, v[96:99], s26
	scratch_store_b128 v100, v[92:95], off offset:-16
.LBB51_330:
	global_load_b32 v1, v1, s[16:17] offset:192
	s_wait_loadcnt 0x0
	v_cmp_eq_u32_e32 vcc_lo, 49, v1
	s_cbranch_vccnz .LBB51_332
; %bb.331:
	s_wait_xcnt 0x0
	v_lshlrev_b32_e32 v1, 4, v1
	s_clause 0x1
	scratch_load_b128 v[92:95], off, s29
	scratch_load_b128 v[96:99], v1, off offset:-16
	s_wait_loadcnt 0x1
	ds_store_2addr_b64 v0, v[92:93], v[94:95] offset1:1
	s_wait_loadcnt 0x0
	s_clause 0x1
	scratch_store_b128 off, v[96:99], s29
	scratch_store_b128 v1, v[92:95], off offset:-16
.LBB51_332:
	s_wait_xcnt 0x0
	v_mov_b32_e32 v1, 0
	global_load_b32 v92, v1, s[16:17] offset:188
	s_wait_loadcnt 0x0
	v_cmp_eq_u32_e32 vcc_lo, 48, v92
	s_cbranch_vccnz .LBB51_334
; %bb.333:
	v_lshlrev_b32_e32 v92, 4, v92
	s_delay_alu instid0(VALU_DEP_1)
	v_mov_b32_e32 v100, v92
	s_clause 0x1
	scratch_load_b128 v[92:95], off, s28
	scratch_load_b128 v[96:99], v100, off offset:-16
	s_wait_loadcnt 0x1
	ds_store_2addr_b64 v0, v[92:93], v[94:95] offset1:1
	s_wait_loadcnt 0x0
	s_clause 0x1
	scratch_store_b128 off, v[96:99], s28
	scratch_store_b128 v100, v[92:95], off offset:-16
.LBB51_334:
	global_load_b32 v1, v1, s[16:17] offset:184
	s_wait_loadcnt 0x0
	v_cmp_eq_u32_e32 vcc_lo, 47, v1
	s_cbranch_vccnz .LBB51_336
; %bb.335:
	s_wait_xcnt 0x0
	v_lshlrev_b32_e32 v1, 4, v1
	s_clause 0x1
	scratch_load_b128 v[92:95], off, s31
	scratch_load_b128 v[96:99], v1, off offset:-16
	s_wait_loadcnt 0x1
	ds_store_2addr_b64 v0, v[92:93], v[94:95] offset1:1
	s_wait_loadcnt 0x0
	s_clause 0x1
	scratch_store_b128 off, v[96:99], s31
	scratch_store_b128 v1, v[92:95], off offset:-16
.LBB51_336:
	;; [unrolled: 37-line block ×24, first 2 shown]
	s_wait_xcnt 0x0
	v_mov_b32_e32 v1, 0
	global_load_b32 v92, v1, s[16:17] offset:4
	s_wait_loadcnt 0x0
	v_cmp_eq_u32_e32 vcc_lo, 2, v92
	s_cbranch_vccnz .LBB51_426
; %bb.425:
	v_lshlrev_b32_e32 v92, 4, v92
	s_delay_alu instid0(VALU_DEP_1)
	v_mov_b32_e32 v100, v92
	s_clause 0x1
	scratch_load_b128 v[92:95], off, s37
	scratch_load_b128 v[96:99], v100, off offset:-16
	s_wait_loadcnt 0x1
	ds_store_2addr_b64 v0, v[92:93], v[94:95] offset1:1
	s_wait_loadcnt 0x0
	s_clause 0x1
	scratch_store_b128 off, v[96:99], s37
	scratch_store_b128 v100, v[92:95], off offset:-16
.LBB51_426:
	global_load_b32 v1, v1, s[16:17]
	s_wait_loadcnt 0x0
	v_cmp_eq_u32_e32 vcc_lo, 1, v1
	s_cbranch_vccnz .LBB51_428
; %bb.427:
	s_wait_xcnt 0x0
	v_lshlrev_b32_e32 v1, 4, v1
	scratch_load_b128 v[92:95], off, off
	scratch_load_b128 v[96:99], v1, off offset:-16
	s_wait_loadcnt 0x1
	ds_store_2addr_b64 v0, v[92:93], v[94:95] offset1:1
	s_wait_loadcnt 0x0
	scratch_store_b128 off, v[96:99], off
	scratch_store_b128 v1, v[92:95], off offset:-16
.LBB51_428:
	scratch_load_b128 v[92:95], off, off
	s_clause 0x22
	scratch_load_b128 v[96:99], off, s37
	scratch_load_b128 v[100:103], off, s33
	;; [unrolled: 1-line block ×15, first 2 shown]
	; meta instruction
	; meta instruction
	;; [unrolled: 1-line block ×15, first 2 shown]
	scratch_load_b128 v[170:173], off, s38
	scratch_load_b128 v[174:177], off, s40
	;; [unrolled: 1-line block ×15, first 2 shown]
	; meta instruction
	; meta instruction
	;; [unrolled: 1-line block ×15, first 2 shown]
	scratch_load_b128 v[230:233], off, s21
	scratch_load_b128 v[234:237], off, s24
	;; [unrolled: 1-line block ×5, first 2 shown]
	s_wait_loadcnt 0x23
	global_store_b128 v[16:17], v[92:95], off
	s_clause 0x1
	scratch_load_b128 v[92:95], off, s20
	scratch_load_b128 v[250:253], off, s22
	s_wait_loadcnt 0x24
	global_store_b128 v[18:19], v[96:99], off
	s_clause 0x1
	scratch_load_b128 v[16:19], off, s14
	scratch_load_b128 v[96:99], off, s15
	s_wait_loadcnt 0x25
	global_store_b128 v[130:131], v[100:103], off
	s_wait_loadcnt 0x24
	global_store_b128 v[132:133], v[104:107], off
	s_clause 0x1
	scratch_load_b128 v[100:103], off, s12
	scratch_load_b128 v[104:107], off, s13
	s_wait_loadcnt 0x25
	global_store_b128 v[128:129], v[108:111], off
	s_clause 0x1
	scratch_load_b128 v[108:111], off, s10
	scratch_load_b128 v[128:131], off, s11
	;; [unrolled: 5-line block ×3, first 2 shown]
	s_wait_loadcnt 0x27
	global_store_b128 v[122:123], v[116:119], off
	s_wait_loadcnt 0x26
	global_store_b128 v[124:125], v[134:137], off
	s_clause 0x1
	scratch_load_b128 v[116:119], off, s30
	scratch_load_b128 v[122:125], off, s31
	s_wait_loadcnt 0x27
	global_store_b128 v[120:121], v[138:141], off
	s_clause 0x1
	scratch_load_b128 v[132:135], off, s28
	scratch_load_b128 v[136:139], off, s29
	s_wait_loadcnt 0x28
	global_store_b128 v[30:31], v[142:145], off
	s_clause 0x2
	scratch_load_b128 v[140:143], off, s26
	s_set_vgpr_msb 64                       ;  msbs: dst=1 src0=0 src1=0 src2=0
	scratch_load_b128 v[2:5] /*v[258:261]*/, off, s27
	s_wait_loadcnt 0x29
	global_store_b128 v[2:3], v[146:149], off
	s_wait_loadcnt 0x28
	global_store_b128 v[4:5], v[150:153], off
	;; [unrolled: 2-line block ×40, first 2 shown]
	s_wait_loadcnt 0x0
	s_set_vgpr_msb 4                        ;  msbs: dst=0 src0=0 src1=1 src2=0
	s_clause 0x2
	global_store_b128 v[88:89], v[2:5] /*v[258:261]*/, off
	s_set_vgpr_msb 0                        ;  msbs: dst=0 src0=0 src1=0 src2=0
	global_store_b128 v[90:91], v[246:249], off
	s_sendmsg sendmsg(MSG_DEALLOC_VGPRS)
	s_endpgm
	.section	.rodata,"a",@progbits
	.p2align	6, 0x0
	.amdhsa_kernel _ZN9rocsolver6v33100L18getri_kernel_smallILi52E19rocblas_complex_numIdEPS3_EEvT1_iilPiilS6_bb
		.amdhsa_group_segment_fixed_size 2696
		.amdhsa_private_segment_fixed_size 848
		.amdhsa_kernarg_size 60
		.amdhsa_user_sgpr_count 4
		.amdhsa_user_sgpr_dispatch_ptr 1
		.amdhsa_user_sgpr_queue_ptr 0
		.amdhsa_user_sgpr_kernarg_segment_ptr 1
		.amdhsa_user_sgpr_dispatch_id 0
		.amdhsa_user_sgpr_kernarg_preload_length 0
		.amdhsa_user_sgpr_kernarg_preload_offset 0
		.amdhsa_user_sgpr_private_segment_size 0
		.amdhsa_wavefront_size32 1
		.amdhsa_uses_dynamic_stack 0
		.amdhsa_enable_private_segment 1
		.amdhsa_system_sgpr_workgroup_id_x 1
		.amdhsa_system_sgpr_workgroup_id_y 0
		.amdhsa_system_sgpr_workgroup_id_z 0
		.amdhsa_system_sgpr_workgroup_info 0
		.amdhsa_system_vgpr_workitem_id 2
		.amdhsa_next_free_vgpr 262
		.amdhsa_next_free_sgpr 87
		.amdhsa_named_barrier_count 0
		.amdhsa_reserve_vcc 1
		.amdhsa_float_round_mode_32 0
		.amdhsa_float_round_mode_16_64 0
		.amdhsa_float_denorm_mode_32 3
		.amdhsa_float_denorm_mode_16_64 3
		.amdhsa_fp16_overflow 0
		.amdhsa_memory_ordered 1
		.amdhsa_forward_progress 1
		.amdhsa_inst_pref_size 255
		.amdhsa_round_robin_scheduling 0
		.amdhsa_exception_fp_ieee_invalid_op 0
		.amdhsa_exception_fp_denorm_src 0
		.amdhsa_exception_fp_ieee_div_zero 0
		.amdhsa_exception_fp_ieee_overflow 0
		.amdhsa_exception_fp_ieee_underflow 0
		.amdhsa_exception_fp_ieee_inexact 0
		.amdhsa_exception_int_div_zero 0
	.end_amdhsa_kernel
	.section	.text._ZN9rocsolver6v33100L18getri_kernel_smallILi52E19rocblas_complex_numIdEPS3_EEvT1_iilPiilS6_bb,"axG",@progbits,_ZN9rocsolver6v33100L18getri_kernel_smallILi52E19rocblas_complex_numIdEPS3_EEvT1_iilPiilS6_bb,comdat
.Lfunc_end51:
	.size	_ZN9rocsolver6v33100L18getri_kernel_smallILi52E19rocblas_complex_numIdEPS3_EEvT1_iilPiilS6_bb, .Lfunc_end51-_ZN9rocsolver6v33100L18getri_kernel_smallILi52E19rocblas_complex_numIdEPS3_EEvT1_iilPiilS6_bb
                                        ; -- End function
	.set _ZN9rocsolver6v33100L18getri_kernel_smallILi52E19rocblas_complex_numIdEPS3_EEvT1_iilPiilS6_bb.num_vgpr, 262
	.set _ZN9rocsolver6v33100L18getri_kernel_smallILi52E19rocblas_complex_numIdEPS3_EEvT1_iilPiilS6_bb.num_agpr, 0
	.set _ZN9rocsolver6v33100L18getri_kernel_smallILi52E19rocblas_complex_numIdEPS3_EEvT1_iilPiilS6_bb.numbered_sgpr, 87
	.set _ZN9rocsolver6v33100L18getri_kernel_smallILi52E19rocblas_complex_numIdEPS3_EEvT1_iilPiilS6_bb.num_named_barrier, 0
	.set _ZN9rocsolver6v33100L18getri_kernel_smallILi52E19rocblas_complex_numIdEPS3_EEvT1_iilPiilS6_bb.private_seg_size, 848
	.set _ZN9rocsolver6v33100L18getri_kernel_smallILi52E19rocblas_complex_numIdEPS3_EEvT1_iilPiilS6_bb.uses_vcc, 1
	.set _ZN9rocsolver6v33100L18getri_kernel_smallILi52E19rocblas_complex_numIdEPS3_EEvT1_iilPiilS6_bb.uses_flat_scratch, 1
	.set _ZN9rocsolver6v33100L18getri_kernel_smallILi52E19rocblas_complex_numIdEPS3_EEvT1_iilPiilS6_bb.has_dyn_sized_stack, 0
	.set _ZN9rocsolver6v33100L18getri_kernel_smallILi52E19rocblas_complex_numIdEPS3_EEvT1_iilPiilS6_bb.has_recursion, 0
	.set _ZN9rocsolver6v33100L18getri_kernel_smallILi52E19rocblas_complex_numIdEPS3_EEvT1_iilPiilS6_bb.has_indirect_call, 0
	.section	.AMDGPU.csdata,"",@progbits
; Kernel info:
; codeLenInByte = 101392
; TotalNumSgprs: 89
; NumVgprs: 262
; ScratchSize: 848
; MemoryBound: 0
; FloatMode: 240
; IeeeMode: 1
; LDSByteSize: 2696 bytes/workgroup (compile time only)
; SGPRBlocks: 0
; VGPRBlocks: 16
; NumSGPRsForWavesPerEU: 89
; NumVGPRsForWavesPerEU: 262
; NamedBarCnt: 0
; Occupancy: 3
; WaveLimiterHint : 1
; COMPUTE_PGM_RSRC2:SCRATCH_EN: 1
; COMPUTE_PGM_RSRC2:USER_SGPR: 4
; COMPUTE_PGM_RSRC2:TRAP_HANDLER: 0
; COMPUTE_PGM_RSRC2:TGID_X_EN: 1
; COMPUTE_PGM_RSRC2:TGID_Y_EN: 0
; COMPUTE_PGM_RSRC2:TGID_Z_EN: 0
; COMPUTE_PGM_RSRC2:TIDIG_COMP_CNT: 2
	.section	.text._ZN9rocsolver6v33100L18getri_kernel_smallILi53E19rocblas_complex_numIdEPS3_EEvT1_iilPiilS6_bb,"axG",@progbits,_ZN9rocsolver6v33100L18getri_kernel_smallILi53E19rocblas_complex_numIdEPS3_EEvT1_iilPiilS6_bb,comdat
	.globl	_ZN9rocsolver6v33100L18getri_kernel_smallILi53E19rocblas_complex_numIdEPS3_EEvT1_iilPiilS6_bb ; -- Begin function _ZN9rocsolver6v33100L18getri_kernel_smallILi53E19rocblas_complex_numIdEPS3_EEvT1_iilPiilS6_bb
	.p2align	8
	.type	_ZN9rocsolver6v33100L18getri_kernel_smallILi53E19rocblas_complex_numIdEPS3_EEvT1_iilPiilS6_bb,@function
_ZN9rocsolver6v33100L18getri_kernel_smallILi53E19rocblas_complex_numIdEPS3_EEvT1_iilPiilS6_bb: ; @_ZN9rocsolver6v33100L18getri_kernel_smallILi53E19rocblas_complex_numIdEPS3_EEvT1_iilPiilS6_bb
; %bb.0:
	v_and_b32_e32 v1, 0x3ff, v0
	s_mov_b32 s4, exec_lo
	s_delay_alu instid0(VALU_DEP_1)
	v_cmpx_gt_u32_e32 53, v1
	s_cbranch_execz .LBB52_226
; %bb.1:
	s_clause 0x2
	s_load_b32 s8, s[2:3], 0x38
	s_load_b128 s[12:15], s[2:3], 0x10
	s_load_b128 s[4:7], s[2:3], 0x28
	s_getreg_b32 s11, hwreg(HW_REG_IB_STS2, 6, 4)
                                        ; implicit-def: $sgpr16_sgpr17
	s_wait_kmcnt 0x0
	s_bitcmp1_b32 s8, 8
	s_cselect_b32 s65, -1, 0
	s_bfe_u32 s9, ttmp6, 0x4000c
	s_and_b32 s10, ttmp6, 15
	s_add_co_i32 s9, s9, 1
	s_delay_alu instid0(SALU_CYCLE_1) | instskip(NEXT) | instid1(SALU_CYCLE_1)
	s_mul_i32 s9, ttmp9, s9
	s_add_co_i32 s10, s10, s9
	s_cmp_eq_u32 s11, 0
	s_cselect_b32 s18, ttmp9, s10
	s_bfe_u32 s8, s8, 0x10008
	s_ashr_i32 s19, s18, 31
	s_cmp_eq_u32 s8, 0
	s_cbranch_scc1 .LBB52_3
; %bb.2:
	s_load_b32 s8, s[2:3], 0x20
	s_mul_u64 s[4:5], s[4:5], s[18:19]
	s_delay_alu instid0(SALU_CYCLE_1) | instskip(NEXT) | instid1(SALU_CYCLE_1)
	s_lshl_b64 s[4:5], s[4:5], 2
	s_add_nc_u64 s[4:5], s[14:15], s[4:5]
	s_wait_kmcnt 0x0
	s_ashr_i32 s9, s8, 31
	s_delay_alu instid0(SALU_CYCLE_1) | instskip(NEXT) | instid1(SALU_CYCLE_1)
	s_lshl_b64 s[8:9], s[8:9], 2
	s_add_nc_u64 s[16:17], s[4:5], s[8:9]
.LBB52_3:
	s_clause 0x1
	s_load_b128 s[8:11], s[2:3], 0x0
	s_load_b32 s66, s[2:3], 0x38
	s_wait_xcnt 0x0
	s_mul_u64 s[2:3], s[12:13], s[18:19]
	s_movk_i32 s67, 0x1f0
	s_lshl_b64 s[2:3], s[2:3], 4
	s_movk_i32 s68, 0x200
	s_movk_i32 s69, 0x210
	;; [unrolled: 1-line block ×15, first 2 shown]
	s_wait_kmcnt 0x0
	v_add3_u32 v20, s11, s11, v1
	s_ashr_i32 s5, s10, 31
	s_mov_b32 s4, s10
	s_add_nc_u64 s[2:3], s[8:9], s[2:3]
	s_lshl_b64 s[4:5], s[4:5], 4
	v_add_nc_u32_e32 v22, s11, v20
	s_add_nc_u64 s[4:5], s[2:3], s[4:5]
	s_ashr_i32 s3, s11, 31
	s_mov_b32 s2, s11
	s_clause 0x1
	global_load_b128 v[2:5], v1, s[4:5] scale_offset
	global_load_b128 v[6:9], v20, s[4:5] scale_offset
	v_dual_add_nc_u32 v24, s11, v22 :: v_dual_lshlrev_b32 v14, 4, v1
	s_movk_i32 s83, 0x2f0
	s_movk_i32 s84, 0x300
	;; [unrolled: 1-line block ×3, first 2 shown]
	s_delay_alu instid0(VALU_DEP_1) | instskip(SKIP_3) | instid1(VALU_DEP_1)
	v_dual_mov_b32 v15, 0 :: v_dual_add_nc_u32 v26, s11, v24
	s_movk_i32 s86, 0x320
	s_movk_i32 s87, 0x330
	;; [unrolled: 1-line block ×3, first 2 shown]
	v_add_nc_u32_e32 v28, s11, v26
	v_add_nc_u64_e32 v[16:17], s[4:5], v[14:15]
	s_mov_b32 s38, 16
	s_mov_b32 s35, 32
	s_mov_b32 s36, 48
	v_add_nc_u32_e32 v30, s11, v28
	s_mov_b32 s37, 64
	s_movk_i32 s56, 0x50
	v_lshl_add_u64 v[18:19], s[2:3], 4, v[16:17]
	s_movk_i32 s58, 0x60
	v_add_nc_u32_e32 v32, s11, v30
	s_clause 0x4
	global_load_b128 v[10:13], v22, s[4:5] scale_offset
	global_load_b128 v[112:115], v24, s[4:5] scale_offset
	global_load_b128 v[116:119], v[18:19], off
	global_load_b128 v[120:123], v26, s[4:5] scale_offset
	global_load_b128 v[124:127], v28, s[4:5] scale_offset
	s_movk_i32 s61, 0x70
	s_movk_i32 s54, 0x80
	v_add_nc_u32_e32 v34, s11, v32
	s_movk_i32 s55, 0x90
	s_movk_i32 s57, 0xa0
	;; [unrolled: 1-line block ×4, first 2 shown]
	v_add_nc_u32_e32 v36, s11, v34
	s_movk_i32 s63, 0xd0
	s_movk_i32 s64, 0xe0
	;; [unrolled: 1-line block ×4, first 2 shown]
	v_add_nc_u32_e32 v38, s11, v36
	s_clause 0x1
	global_load_b128 v[128:131], v30, s[4:5] scale_offset
	global_load_b128 v[132:135], v32, s[4:5] scale_offset
	s_movk_i32 s41, 0x110
	s_movk_i32 s44, 0x120
	;; [unrolled: 1-line block ×3, first 2 shown]
	v_add_nc_u32_e32 v40, s11, v38
	s_clause 0x2
	global_load_b128 v[136:139], v34, s[4:5] scale_offset
	global_load_b128 v[140:143], v36, s[4:5] scale_offset
	;; [unrolled: 1-line block ×3, first 2 shown]
	s_movk_i32 s49, 0x140
	s_movk_i32 s40, 0x150
	;; [unrolled: 1-line block ×3, first 2 shown]
	v_add_nc_u32_e32 v42, s11, v40
	s_movk_i32 s45, 0x170
	s_movk_i32 s48, 0x180
	;; [unrolled: 1-line block ×4, first 2 shown]
	v_add_nc_u32_e32 v44, s11, v42
	s_movk_i32 s43, 0x1b0
	s_movk_i32 s46, 0x1c0
	;; [unrolled: 1-line block ×4, first 2 shown]
	v_add_nc_u32_e32 v46, s11, v44
	s_mov_b32 s29, s67
	s_mov_b32 s31, s68
	s_mov_b32 s34, s69
	s_mov_b32 s33, s70
	v_add_nc_u32_e32 v48, s11, v46
	s_clause 0x1
	global_load_b128 v[148:151], v40, s[4:5] scale_offset
	global_load_b128 v[152:155], v42, s[4:5] scale_offset
	s_mov_b32 s27, s71
	s_mov_b32 s28, s72
	s_mov_b32 s23, s73
	v_add_nc_u32_e32 v50, s11, v48
	s_mov_b32 s25, s74
	s_mov_b32 s21, s75
	;; [unrolled: 1-line block ×4, first 2 shown]
	v_add_nc_u32_e32 v52, s11, v50
	s_clause 0x3
	global_load_b128 v[156:159], v44, s[4:5] scale_offset
	global_load_b128 v[160:163], v46, s[4:5] scale_offset
	;; [unrolled: 1-line block ×4, first 2 shown]
	s_mov_b32 s20, s78
	s_mov_b32 s13, s79
	v_add_nc_u32_e32 v54, s11, v52
	s_mov_b32 s14, s80
	s_mov_b32 s12, s82
	;; [unrolled: 1-line block ×4, first 2 shown]
	v_add_nc_u32_e32 v56, s11, v54
	s_mov_b32 s8, s85
	s_mov_b32 s30, s86
	;; [unrolled: 1-line block ×4, first 2 shown]
	v_add_nc_u32_e32 v58, s11, v56
	s_bitcmp0_b32 s66, 0
	s_mov_b32 s3, -1
	s_delay_alu instid0(VALU_DEP_1) | instskip(NEXT) | instid1(VALU_DEP_1)
	v_add_nc_u32_e32 v62, s11, v58
	v_add_nc_u32_e32 v60, s11, v62
	s_delay_alu instid0(VALU_DEP_1)
	v_add_nc_u32_e32 v64, s11, v60
	s_clause 0x3
	global_load_b128 v[172:175], v52, s[4:5] scale_offset
	global_load_b128 v[176:179], v54, s[4:5] scale_offset
	;; [unrolled: 1-line block ×4, first 2 shown]
	v_add_nc_u32_e32 v66, s11, v64
	s_delay_alu instid0(VALU_DEP_1) | instskip(NEXT) | instid1(VALU_DEP_1)
	v_add_nc_u32_e32 v68, s11, v66
	v_add_nc_u32_e32 v70, s11, v68
	s_delay_alu instid0(VALU_DEP_1)
	v_add_nc_u32_e32 v72, s11, v70
	s_clause 0x3
	global_load_b128 v[188:191], v62, s[4:5] scale_offset
	global_load_b128 v[192:195], v60, s[4:5] scale_offset
	;; [unrolled: 1-line block ×4, first 2 shown]
	v_add_nc_u32_e32 v74, s11, v72
	s_delay_alu instid0(VALU_DEP_1)
	v_add_nc_u32_e32 v76, s11, v74
	s_clause 0x3
	global_load_b128 v[204:207], v68, s[4:5] scale_offset
	global_load_b128 v[208:211], v70, s[4:5] scale_offset
	;; [unrolled: 1-line block ×4, first 2 shown]
	v_add_nc_u32_e32 v78, s11, v76
	s_delay_alu instid0(VALU_DEP_1) | instskip(NEXT) | instid1(VALU_DEP_1)
	v_add_nc_u32_e32 v80, s11, v78
	v_add_nc_u32_e32 v82, s11, v80
	s_delay_alu instid0(VALU_DEP_1) | instskip(NEXT) | instid1(VALU_DEP_1)
	v_add_nc_u32_e32 v84, s11, v82
	v_add_nc_u32_e32 v86, s11, v84
	s_delay_alu instid0(VALU_DEP_1)
	v_add_nc_u32_e32 v88, s11, v86
	s_clause 0x3
	global_load_b128 v[220:223], v76, s[4:5] scale_offset
	global_load_b128 v[224:227], v78, s[4:5] scale_offset
	;; [unrolled: 1-line block ×4, first 2 shown]
	v_add_nc_u32_e32 v90, s11, v88
	s_delay_alu instid0(VALU_DEP_1) | instskip(NEXT) | instid1(VALU_DEP_1)
	v_add_nc_u32_e32 v92, s11, v90
	v_add_nc_u32_e32 v94, s11, v92
	s_delay_alu instid0(VALU_DEP_1)
	v_add_nc_u32_e32 v96, s11, v94
	s_clause 0x3
	global_load_b128 v[236:239], v84, s[4:5] scale_offset
	global_load_b128 v[240:243], v86, s[4:5] scale_offset
	;; [unrolled: 1-line block ×4, first 2 shown]
	s_wait_loadcnt 0x25
	scratch_store_b128 off, v[2:5], off
	s_wait_loadcnt 0x24
	scratch_store_b128 off, v[6:9], off offset:32
	v_add_nc_u32_e32 v98, s11, v96
	s_delay_alu instid0(VALU_DEP_1)
	v_add_nc_u32_e32 v100, s11, v98
	s_clause 0x1
	global_load_b128 v[2:5], v92, s[4:5] scale_offset
	global_load_b128 v[6:9], v94, s[4:5] scale_offset
	s_wait_loadcnt 0x25
	scratch_store_b128 off, v[10:13], off offset:48
	s_wait_loadcnt 0x24
	scratch_store_b128 off, v[112:115], off offset:64
	v_add_nc_u32_e32 v102, s11, v100
	s_clause 0x1
	global_load_b128 v[10:13], v96, s[4:5] scale_offset
	global_load_b128 v[252:255], v98, s[4:5] scale_offset
	s_wait_loadcnt 0x25
	scratch_store_b128 off, v[116:119], off offset:16
	s_wait_loadcnt 0x24
	scratch_store_b128 off, v[120:123], off offset:80
	;; [unrolled: 2-line block ×3, first 2 shown]
	v_add_nc_u32_e32 v104, s11, v102
	s_delay_alu instid0(VALU_DEP_1) | instskip(NEXT) | instid1(VALU_DEP_1)
	v_add_nc_u32_e32 v106, s11, v104
	v_add_nc_u32_e32 v108, s11, v106
	s_clause 0x2
	global_load_b128 v[122:125], v100, s[4:5] scale_offset
	s_set_vgpr_msb 64                       ;  msbs: dst=1 src0=0 src1=0 src2=0
	global_load_b128 v[0:3] /*v[256:259]*/, v102, s[4:5] scale_offset
	s_wait_loadcnt 0x24
	scratch_store_b128 off, v[128:131], off offset:112
	s_wait_loadcnt 0x23
	scratch_store_b128 off, v[132:135], off offset:128
	s_set_vgpr_msb 0                        ;  msbs: dst=0 src0=0 src1=0 src2=0
	v_add_nc_u32_e32 v110, s11, v108
	s_delay_alu instid0(VALU_DEP_1)
	v_add_nc_u32_e32 v112, s11, v110
	s_clause 0x1
	global_load_b128 v[126:129], v104, s[4:5] scale_offset
	global_load_b128 v[130:133], v106, s[4:5] scale_offset
	s_wait_loadcnt 0x24
	scratch_store_b128 off, v[136:139], off offset:144
	s_wait_loadcnt 0x23
	scratch_store_b128 off, v[140:143], off offset:160
	;; [unrolled: 2-line block ×3, first 2 shown]
	s_clause 0x1
	global_load_b128 v[134:137], v108, s[4:5] scale_offset
	global_load_b128 v[138:141], v110, s[4:5] scale_offset
	v_add_nc_u32_e32 v114, s11, v112
	s_wait_loadcnt 0x23
	scratch_store_b128 off, v[148:151], off offset:192
	s_wait_loadcnt 0x22
	scratch_store_b128 off, v[152:155], off offset:208
	v_add_nc_u32_e32 v116, s11, v114
	s_delay_alu instid0(VALU_DEP_1) | instskip(NEXT) | instid1(VALU_DEP_1)
	v_add_nc_u32_e32 v118, s11, v116
	v_add_nc_u32_e32 v120, s11, v118
	s_clause 0x1
	global_load_b128 v[142:145], v112, s[4:5] scale_offset
	global_load_b128 v[146:149], v114, s[4:5] scale_offset
	s_wait_loadcnt 0x23
	scratch_store_b128 off, v[156:159], off offset:224
	s_wait_loadcnt 0x22
	scratch_store_b128 off, v[160:163], off offset:240
	s_clause 0x1
	global_load_b128 v[150:153], v116, s[4:5] scale_offset
	global_load_b128 v[154:157], v118, s[4:5] scale_offset
	s_mov_b32 s11, s81
	global_load_b128 v[158:161], v120, s[4:5] scale_offset
	s_wait_loadcnt 0x24
	scratch_store_b128 off, v[164:167], off offset:256
	s_wait_loadcnt 0x23
	scratch_store_b128 off, v[168:171], off offset:272
	s_wait_loadcnt 0x22
	scratch_store_b128 off, v[172:175], off offset:288
	s_wait_loadcnt 0x21
	scratch_store_b128 off, v[176:179], off offset:304
	s_wait_loadcnt 0x20
	scratch_store_b128 off, v[180:183], off offset:320
	s_wait_loadcnt 0x1f
	scratch_store_b128 off, v[184:187], off offset:336
	s_wait_loadcnt 0x1e
	scratch_store_b128 off, v[188:191], off offset:352
	s_wait_loadcnt 0x1d
	scratch_store_b128 off, v[192:195], off offset:368
	s_wait_loadcnt 0x1c
	scratch_store_b128 off, v[196:199], off offset:384
	s_wait_loadcnt 0x1b
	scratch_store_b128 off, v[200:203], off offset:400
	s_wait_loadcnt 0x1a
	scratch_store_b128 off, v[204:207], off offset:416
	s_wait_loadcnt 0x19
	scratch_store_b128 off, v[208:211], off offset:432
	s_wait_loadcnt 0x18
	scratch_store_b128 off, v[212:215], off offset:448
	s_wait_loadcnt 0x17
	scratch_store_b128 off, v[216:219], off offset:464
	s_wait_loadcnt 0x16
	scratch_store_b128 off, v[220:223], off offset:480
	s_wait_loadcnt 0x15
	scratch_store_b128 off, v[224:227], off offset:496
	s_wait_loadcnt 0x14
	scratch_store_b128 off, v[228:231], off offset:512
	s_wait_loadcnt 0x13
	scratch_store_b128 off, v[232:235], off offset:528
	s_wait_loadcnt 0x12
	scratch_store_b128 off, v[236:239], off offset:544
	s_wait_loadcnt 0x11
	scratch_store_b128 off, v[240:243], off offset:560
	s_wait_loadcnt 0x10
	scratch_store_b128 off, v[244:247], off offset:576
	s_wait_loadcnt 0xf
	scratch_store_b128 off, v[248:251], off offset:592
	s_wait_loadcnt 0xe
	scratch_store_b128 off, v[2:5], off offset:608
	s_wait_loadcnt 0xd
	scratch_store_b128 off, v[6:9], off offset:624
	s_wait_loadcnt 0xc
	scratch_store_b128 off, v[10:13], off offset:640
	s_wait_loadcnt 0xb
	scratch_store_b128 off, v[252:255], off offset:656
	s_wait_loadcnt 0xa
	scratch_store_b128 off, v[122:125], off offset:672
	s_wait_loadcnt 0x9
	s_set_vgpr_msb 4                        ;  msbs: dst=0 src0=0 src1=1 src2=0
	scratch_store_b128 off, v[0:3] /*v[256:259]*/, off offset:688
	s_wait_loadcnt 0x8
	s_set_vgpr_msb 0                        ;  msbs: dst=0 src0=0 src1=0 src2=0
	scratch_store_b128 off, v[126:129], off offset:704
	s_wait_loadcnt 0x7
	scratch_store_b128 off, v[130:133], off offset:720
	s_wait_loadcnt 0x6
	;; [unrolled: 2-line block ×8, first 2 shown]
	scratch_store_b128 off, v[158:161], off offset:832
	s_cbranch_scc1 .LBB52_224
; %bb.4:
	v_cmp_eq_u32_e64 s2, 0, v1
	s_wait_xcnt 0x0
	s_and_saveexec_b32 s3, s2
; %bb.5:
	v_mov_b32_e32 v2, 0
	ds_store_b32 v2, v2 offset:1696
; %bb.6:
	s_or_b32 exec_lo, exec_lo, s3
	s_wait_storecnt_dscnt 0x0
	s_barrier_signal -1
	s_barrier_wait -1
	scratch_load_b128 v[2:5], v1, off scale_offset
	s_wait_loadcnt 0x0
	v_cmp_eq_f64_e32 vcc_lo, 0, v[2:3]
	v_cmp_eq_f64_e64 s3, 0, v[4:5]
	s_and_b32 s3, vcc_lo, s3
	s_delay_alu instid0(SALU_CYCLE_1)
	s_and_saveexec_b32 s66, s3
	s_cbranch_execz .LBB52_10
; %bb.7:
	v_mov_b32_e32 v2, 0
	s_mov_b32 s67, 0
	ds_load_b32 v3, v2 offset:1696
	s_wait_dscnt 0x0
	v_readfirstlane_b32 s3, v3
	v_add_nc_u32_e32 v3, 1, v1
	s_cmp_eq_u32 s3, 0
	s_delay_alu instid0(VALU_DEP_1) | instskip(SKIP_1) | instid1(SALU_CYCLE_1)
	v_cmp_gt_i32_e32 vcc_lo, s3, v3
	s_cselect_b32 s68, -1, 0
	s_or_b32 s68, s68, vcc_lo
	s_delay_alu instid0(SALU_CYCLE_1)
	s_and_b32 exec_lo, exec_lo, s68
	s_cbranch_execz .LBB52_10
; %bb.8:
	v_mov_b32_e32 v4, s3
.LBB52_9:                               ; =>This Inner Loop Header: Depth=1
	ds_cmpstore_rtn_b32 v4, v2, v3, v4 offset:1696
	s_wait_dscnt 0x0
	v_cmp_ne_u32_e32 vcc_lo, 0, v4
	v_cmp_le_i32_e64 s3, v4, v3
	s_and_b32 s3, vcc_lo, s3
	s_delay_alu instid0(SALU_CYCLE_1) | instskip(NEXT) | instid1(SALU_CYCLE_1)
	s_and_b32 s3, exec_lo, s3
	s_or_b32 s67, s3, s67
	s_delay_alu instid0(SALU_CYCLE_1)
	s_and_not1_b32 exec_lo, exec_lo, s67
	s_cbranch_execnz .LBB52_9
.LBB52_10:
	s_or_b32 exec_lo, exec_lo, s66
	v_mov_b32_e32 v2, 0
	s_barrier_signal -1
	s_barrier_wait -1
	ds_load_b32 v3, v2 offset:1696
	s_and_saveexec_b32 s3, s2
	s_cbranch_execz .LBB52_12
; %bb.11:
	s_lshl_b64 s[66:67], s[18:19], 2
	s_delay_alu instid0(SALU_CYCLE_1)
	s_add_nc_u64 s[66:67], s[6:7], s[66:67]
	s_wait_dscnt 0x0
	global_store_b32 v2, v3, s[66:67]
.LBB52_12:
	s_wait_xcnt 0x0
	s_or_b32 exec_lo, exec_lo, s3
	s_wait_dscnt 0x0
	v_cmp_ne_u32_e32 vcc_lo, 0, v3
	s_mov_b32 s3, 0
	s_cbranch_vccnz .LBB52_224
; %bb.13:
	v_lshl_add_u32 v15, v1, 4, 0
                                        ; implicit-def: $vgpr6_vgpr7
                                        ; implicit-def: $vgpr10_vgpr11
	scratch_load_b128 v[2:5], v15, off
	s_wait_loadcnt 0x0
	v_cmp_ngt_f64_e64 s3, |v[2:3]|, |v[4:5]|
	s_wait_xcnt 0x0
	s_and_saveexec_b32 s66, s3
	s_delay_alu instid0(SALU_CYCLE_1)
	s_xor_b32 s3, exec_lo, s66
	s_cbranch_execz .LBB52_15
; %bb.14:
	v_div_scale_f64 v[6:7], null, v[4:5], v[4:5], v[2:3]
	v_div_scale_f64 v[12:13], vcc_lo, v[2:3], v[4:5], v[2:3]
	s_delay_alu instid0(VALU_DEP_2) | instskip(SKIP_1) | instid1(TRANS32_DEP_1)
	v_rcp_f64_e32 v[8:9], v[6:7]
	v_nop
	v_fma_f64 v[10:11], -v[6:7], v[8:9], 1.0
	s_delay_alu instid0(VALU_DEP_1) | instskip(NEXT) | instid1(VALU_DEP_1)
	v_fmac_f64_e32 v[8:9], v[8:9], v[10:11]
	v_fma_f64 v[10:11], -v[6:7], v[8:9], 1.0
	s_delay_alu instid0(VALU_DEP_1) | instskip(NEXT) | instid1(VALU_DEP_1)
	v_fmac_f64_e32 v[8:9], v[8:9], v[10:11]
	v_mul_f64_e32 v[10:11], v[12:13], v[8:9]
	s_delay_alu instid0(VALU_DEP_1) | instskip(NEXT) | instid1(VALU_DEP_1)
	v_fma_f64 v[6:7], -v[6:7], v[10:11], v[12:13]
	v_div_fmas_f64 v[6:7], v[6:7], v[8:9], v[10:11]
	s_delay_alu instid0(VALU_DEP_1) | instskip(NEXT) | instid1(VALU_DEP_1)
	v_div_fixup_f64 v[6:7], v[6:7], v[4:5], v[2:3]
	v_fmac_f64_e32 v[4:5], v[2:3], v[6:7]
	s_delay_alu instid0(VALU_DEP_1) | instskip(SKIP_1) | instid1(VALU_DEP_2)
	v_div_scale_f64 v[2:3], null, v[4:5], v[4:5], 1.0
	v_div_scale_f64 v[12:13], vcc_lo, 1.0, v[4:5], 1.0
	v_rcp_f64_e32 v[8:9], v[2:3]
	v_nop
	s_delay_alu instid0(TRANS32_DEP_1) | instskip(NEXT) | instid1(VALU_DEP_1)
	v_fma_f64 v[10:11], -v[2:3], v[8:9], 1.0
	v_fmac_f64_e32 v[8:9], v[8:9], v[10:11]
	s_delay_alu instid0(VALU_DEP_1) | instskip(NEXT) | instid1(VALU_DEP_1)
	v_fma_f64 v[10:11], -v[2:3], v[8:9], 1.0
	v_fmac_f64_e32 v[8:9], v[8:9], v[10:11]
	s_delay_alu instid0(VALU_DEP_1) | instskip(NEXT) | instid1(VALU_DEP_1)
	v_mul_f64_e32 v[10:11], v[12:13], v[8:9]
	v_fma_f64 v[2:3], -v[2:3], v[10:11], v[12:13]
	s_delay_alu instid0(VALU_DEP_1) | instskip(NEXT) | instid1(VALU_DEP_1)
	v_div_fmas_f64 v[2:3], v[2:3], v[8:9], v[10:11]
	v_div_fixup_f64 v[8:9], v[2:3], v[4:5], 1.0
                                        ; implicit-def: $vgpr2_vgpr3
	s_delay_alu instid0(VALU_DEP_1) | instskip(SKIP_1) | instid1(VALU_DEP_2)
	v_mul_f64_e32 v[6:7], v[6:7], v[8:9]
	v_xor_b32_e32 v9, 0x80000000, v9
	v_xor_b32_e32 v11, 0x80000000, v7
	s_delay_alu instid0(VALU_DEP_3)
	v_mov_b32_e32 v10, v6
.LBB52_15:
	s_and_not1_saveexec_b32 s3, s3
	s_cbranch_execz .LBB52_17
; %bb.16:
	v_div_scale_f64 v[6:7], null, v[2:3], v[2:3], v[4:5]
	v_div_scale_f64 v[12:13], vcc_lo, v[4:5], v[2:3], v[4:5]
	s_delay_alu instid0(VALU_DEP_2) | instskip(SKIP_1) | instid1(TRANS32_DEP_1)
	v_rcp_f64_e32 v[8:9], v[6:7]
	v_nop
	v_fma_f64 v[10:11], -v[6:7], v[8:9], 1.0
	s_delay_alu instid0(VALU_DEP_1) | instskip(NEXT) | instid1(VALU_DEP_1)
	v_fmac_f64_e32 v[8:9], v[8:9], v[10:11]
	v_fma_f64 v[10:11], -v[6:7], v[8:9], 1.0
	s_delay_alu instid0(VALU_DEP_1) | instskip(NEXT) | instid1(VALU_DEP_1)
	v_fmac_f64_e32 v[8:9], v[8:9], v[10:11]
	v_mul_f64_e32 v[10:11], v[12:13], v[8:9]
	s_delay_alu instid0(VALU_DEP_1) | instskip(NEXT) | instid1(VALU_DEP_1)
	v_fma_f64 v[6:7], -v[6:7], v[10:11], v[12:13]
	v_div_fmas_f64 v[6:7], v[6:7], v[8:9], v[10:11]
	s_delay_alu instid0(VALU_DEP_1) | instskip(NEXT) | instid1(VALU_DEP_1)
	v_div_fixup_f64 v[8:9], v[6:7], v[2:3], v[4:5]
	v_fmac_f64_e32 v[2:3], v[4:5], v[8:9]
	s_delay_alu instid0(VALU_DEP_1) | instskip(NEXT) | instid1(VALU_DEP_1)
	v_div_scale_f64 v[4:5], null, v[2:3], v[2:3], 1.0
	v_rcp_f64_e32 v[6:7], v[4:5]
	v_nop
	s_delay_alu instid0(TRANS32_DEP_1) | instskip(NEXT) | instid1(VALU_DEP_1)
	v_fma_f64 v[10:11], -v[4:5], v[6:7], 1.0
	v_fmac_f64_e32 v[6:7], v[6:7], v[10:11]
	s_delay_alu instid0(VALU_DEP_1) | instskip(NEXT) | instid1(VALU_DEP_1)
	v_fma_f64 v[10:11], -v[4:5], v[6:7], 1.0
	v_fmac_f64_e32 v[6:7], v[6:7], v[10:11]
	v_div_scale_f64 v[10:11], vcc_lo, 1.0, v[2:3], 1.0
	s_delay_alu instid0(VALU_DEP_1) | instskip(NEXT) | instid1(VALU_DEP_1)
	v_mul_f64_e32 v[12:13], v[10:11], v[6:7]
	v_fma_f64 v[4:5], -v[4:5], v[12:13], v[10:11]
	s_delay_alu instid0(VALU_DEP_1) | instskip(NEXT) | instid1(VALU_DEP_1)
	v_div_fmas_f64 v[4:5], v[4:5], v[6:7], v[12:13]
	v_div_fixup_f64 v[6:7], v[4:5], v[2:3], 1.0
	s_delay_alu instid0(VALU_DEP_1)
	v_mul_f64_e64 v[8:9], v[8:9], -v[6:7]
	v_xor_b32_e32 v11, 0x80000000, v7
	v_mov_b32_e32 v10, v6
.LBB52_17:
	s_or_b32 exec_lo, exec_lo, s3
	s_clause 0x1
	scratch_store_b128 v15, v[6:9], off
	scratch_load_b128 v[2:5], off, s38
	v_xor_b32_e32 v13, 0x80000000, v9
	v_mov_b32_e32 v12, v8
	s_wait_xcnt 0x1
	v_add_nc_u32_e32 v6, 0x350, v14
	ds_store_b128 v14, v[10:13]
	s_wait_loadcnt 0x0
	ds_store_b128 v14, v[2:5] offset:848
	s_wait_storecnt_dscnt 0x0
	s_barrier_signal -1
	s_barrier_wait -1
	s_wait_xcnt 0x0
	s_and_saveexec_b32 s3, s2
	s_cbranch_execz .LBB52_19
; %bb.18:
	scratch_load_b128 v[2:5], v15, off
	ds_load_b128 v[8:11], v6
	v_mov_b32_e32 v7, 0
	ds_load_b128 v[122:125], v7 offset:16
	s_wait_loadcnt_dscnt 0x1
	v_mul_f64_e32 v[12:13], v[8:9], v[4:5]
	v_mul_f64_e32 v[4:5], v[10:11], v[4:5]
	s_delay_alu instid0(VALU_DEP_2) | instskip(NEXT) | instid1(VALU_DEP_2)
	v_fmac_f64_e32 v[12:13], v[10:11], v[2:3]
	v_fma_f64 v[2:3], v[8:9], v[2:3], -v[4:5]
	s_delay_alu instid0(VALU_DEP_2) | instskip(NEXT) | instid1(VALU_DEP_2)
	v_add_f64_e32 v[8:9], 0, v[12:13]
	v_add_f64_e32 v[2:3], 0, v[2:3]
	s_wait_dscnt 0x0
	s_delay_alu instid0(VALU_DEP_2) | instskip(NEXT) | instid1(VALU_DEP_2)
	v_mul_f64_e32 v[10:11], v[8:9], v[124:125]
	v_mul_f64_e32 v[4:5], v[2:3], v[124:125]
	s_delay_alu instid0(VALU_DEP_2) | instskip(NEXT) | instid1(VALU_DEP_2)
	v_fma_f64 v[2:3], v[2:3], v[122:123], -v[10:11]
	v_fmac_f64_e32 v[4:5], v[8:9], v[122:123]
	scratch_store_b128 off, v[2:5], off offset:16
.LBB52_19:
	s_wait_xcnt 0x0
	s_or_b32 exec_lo, exec_lo, s3
	s_wait_storecnt 0x0
	s_barrier_signal -1
	s_barrier_wait -1
	scratch_load_b128 v[2:5], off, s35
	s_mov_b32 s3, exec_lo
	s_wait_loadcnt 0x0
	ds_store_b128 v6, v[2:5]
	s_wait_dscnt 0x0
	s_barrier_signal -1
	s_barrier_wait -1
	v_cmpx_gt_u32_e32 2, v1
	s_cbranch_execz .LBB52_23
; %bb.20:
	scratch_load_b128 v[2:5], v15, off
	ds_load_b128 v[8:11], v6
	s_wait_loadcnt_dscnt 0x0
	v_mul_f64_e32 v[12:13], v[10:11], v[4:5]
	v_mul_f64_e32 v[122:123], v[8:9], v[4:5]
	s_delay_alu instid0(VALU_DEP_2) | instskip(NEXT) | instid1(VALU_DEP_2)
	v_fma_f64 v[4:5], v[8:9], v[2:3], -v[12:13]
	v_fmac_f64_e32 v[122:123], v[10:11], v[2:3]
	s_delay_alu instid0(VALU_DEP_2) | instskip(NEXT) | instid1(VALU_DEP_2)
	v_add_f64_e32 v[4:5], 0, v[4:5]
	v_add_f64_e32 v[2:3], 0, v[122:123]
	s_and_saveexec_b32 s66, s2
	s_cbranch_execz .LBB52_22
; %bb.21:
	scratch_load_b128 v[8:11], off, off offset:16
	v_mov_b32_e32 v7, 0
	ds_load_b128 v[122:125], v7 offset:864
	s_wait_loadcnt_dscnt 0x0
	v_mul_f64_e32 v[12:13], v[122:123], v[10:11]
	v_mul_f64_e32 v[10:11], v[124:125], v[10:11]
	s_delay_alu instid0(VALU_DEP_2) | instskip(NEXT) | instid1(VALU_DEP_2)
	v_fmac_f64_e32 v[12:13], v[124:125], v[8:9]
	v_fma_f64 v[8:9], v[122:123], v[8:9], -v[10:11]
	s_delay_alu instid0(VALU_DEP_2) | instskip(NEXT) | instid1(VALU_DEP_2)
	v_add_f64_e32 v[2:3], v[2:3], v[12:13]
	v_add_f64_e32 v[4:5], v[4:5], v[8:9]
.LBB52_22:
	s_or_b32 exec_lo, exec_lo, s66
	v_mov_b32_e32 v7, 0
	ds_load_b128 v[8:11], v7 offset:32
	s_wait_dscnt 0x0
	v_mul_f64_e32 v[122:123], v[2:3], v[10:11]
	v_mul_f64_e32 v[12:13], v[4:5], v[10:11]
	s_delay_alu instid0(VALU_DEP_2) | instskip(NEXT) | instid1(VALU_DEP_2)
	v_fma_f64 v[10:11], v[4:5], v[8:9], -v[122:123]
	v_fmac_f64_e32 v[12:13], v[2:3], v[8:9]
	scratch_store_b128 off, v[10:13], off offset:32
.LBB52_23:
	s_wait_xcnt 0x0
	s_or_b32 exec_lo, exec_lo, s3
	s_wait_storecnt 0x0
	s_barrier_signal -1
	s_barrier_wait -1
	scratch_load_b128 v[2:5], off, s36
	v_add_nc_u32_e32 v7, -1, v1
	s_mov_b32 s2, exec_lo
	s_wait_loadcnt 0x0
	ds_store_b128 v6, v[2:5]
	s_wait_dscnt 0x0
	s_barrier_signal -1
	s_barrier_wait -1
	v_cmpx_gt_u32_e32 3, v1
	s_cbranch_execz .LBB52_27
; %bb.24:
	v_dual_mov_b32 v10, v14 :: v_dual_add_nc_u32 v8, -1, v1
	v_mov_b64_e32 v[2:3], 0
	v_mov_b64_e32 v[4:5], 0
	v_add_nc_u32_e32 v9, 0x350, v14
	s_delay_alu instid0(VALU_DEP_4)
	v_or_b32_e32 v10, 8, v10
	s_mov_b32 s3, 0
.LBB52_25:                              ; =>This Inner Loop Header: Depth=1
	scratch_load_b128 v[122:125], v10, off offset:-8
	ds_load_b128 v[126:129], v9
	s_wait_xcnt 0x0
	v_dual_add_nc_u32 v9, 16, v9 :: v_dual_add_nc_u32 v10, 16, v10
	v_add_nc_u32_e32 v8, 1, v8
	s_delay_alu instid0(VALU_DEP_1) | instskip(SKIP_4) | instid1(VALU_DEP_2)
	v_cmp_lt_u32_e32 vcc_lo, 1, v8
	s_or_b32 s3, vcc_lo, s3
	s_wait_loadcnt_dscnt 0x0
	v_mul_f64_e32 v[12:13], v[128:129], v[124:125]
	v_mul_f64_e32 v[124:125], v[126:127], v[124:125]
	v_fma_f64 v[12:13], v[126:127], v[122:123], -v[12:13]
	s_delay_alu instid0(VALU_DEP_2) | instskip(NEXT) | instid1(VALU_DEP_2)
	v_fmac_f64_e32 v[124:125], v[128:129], v[122:123]
	v_add_f64_e32 v[4:5], v[4:5], v[12:13]
	s_delay_alu instid0(VALU_DEP_2)
	v_add_f64_e32 v[2:3], v[2:3], v[124:125]
	s_and_not1_b32 exec_lo, exec_lo, s3
	s_cbranch_execnz .LBB52_25
; %bb.26:
	s_or_b32 exec_lo, exec_lo, s3
	v_mov_b32_e32 v8, 0
	ds_load_b128 v[8:11], v8 offset:48
	s_wait_dscnt 0x0
	v_mul_f64_e32 v[122:123], v[2:3], v[10:11]
	v_mul_f64_e32 v[12:13], v[4:5], v[10:11]
	s_delay_alu instid0(VALU_DEP_2) | instskip(NEXT) | instid1(VALU_DEP_2)
	v_fma_f64 v[10:11], v[4:5], v[8:9], -v[122:123]
	v_fmac_f64_e32 v[12:13], v[2:3], v[8:9]
	scratch_store_b128 off, v[10:13], off offset:48
.LBB52_27:
	s_wait_xcnt 0x0
	s_or_b32 exec_lo, exec_lo, s2
	s_wait_storecnt 0x0
	s_barrier_signal -1
	s_barrier_wait -1
	scratch_load_b128 v[2:5], off, s37
	s_mov_b32 s2, exec_lo
	s_wait_loadcnt 0x0
	ds_store_b128 v6, v[2:5]
	s_wait_dscnt 0x0
	s_barrier_signal -1
	s_barrier_wait -1
	v_cmpx_gt_u32_e32 4, v1
	s_cbranch_execz .LBB52_31
; %bb.28:
	v_dual_mov_b32 v10, v14 :: v_dual_add_nc_u32 v8, -1, v1
	v_mov_b64_e32 v[2:3], 0
	v_mov_b64_e32 v[4:5], 0
	v_add_nc_u32_e32 v9, 0x350, v14
	s_delay_alu instid0(VALU_DEP_4)
	v_or_b32_e32 v10, 8, v10
	s_mov_b32 s3, 0
.LBB52_29:                              ; =>This Inner Loop Header: Depth=1
	scratch_load_b128 v[122:125], v10, off offset:-8
	ds_load_b128 v[126:129], v9
	s_wait_xcnt 0x0
	v_dual_add_nc_u32 v9, 16, v9 :: v_dual_add_nc_u32 v10, 16, v10
	v_add_nc_u32_e32 v8, 1, v8
	s_delay_alu instid0(VALU_DEP_1) | instskip(SKIP_4) | instid1(VALU_DEP_2)
	v_cmp_lt_u32_e32 vcc_lo, 2, v8
	s_or_b32 s3, vcc_lo, s3
	s_wait_loadcnt_dscnt 0x0
	v_mul_f64_e32 v[12:13], v[128:129], v[124:125]
	v_mul_f64_e32 v[124:125], v[126:127], v[124:125]
	v_fma_f64 v[12:13], v[126:127], v[122:123], -v[12:13]
	s_delay_alu instid0(VALU_DEP_2) | instskip(NEXT) | instid1(VALU_DEP_2)
	v_fmac_f64_e32 v[124:125], v[128:129], v[122:123]
	v_add_f64_e32 v[4:5], v[4:5], v[12:13]
	s_delay_alu instid0(VALU_DEP_2)
	v_add_f64_e32 v[2:3], v[2:3], v[124:125]
	s_and_not1_b32 exec_lo, exec_lo, s3
	s_cbranch_execnz .LBB52_29
; %bb.30:
	s_or_b32 exec_lo, exec_lo, s3
	v_mov_b32_e32 v8, 0
	ds_load_b128 v[8:11], v8 offset:64
	s_wait_dscnt 0x0
	v_mul_f64_e32 v[122:123], v[2:3], v[10:11]
	v_mul_f64_e32 v[12:13], v[4:5], v[10:11]
	s_delay_alu instid0(VALU_DEP_2) | instskip(NEXT) | instid1(VALU_DEP_2)
	v_fma_f64 v[10:11], v[4:5], v[8:9], -v[122:123]
	v_fmac_f64_e32 v[12:13], v[2:3], v[8:9]
	scratch_store_b128 off, v[10:13], off offset:64
.LBB52_31:
	s_wait_xcnt 0x0
	s_or_b32 exec_lo, exec_lo, s2
	s_wait_storecnt 0x0
	s_barrier_signal -1
	s_barrier_wait -1
	scratch_load_b128 v[2:5], off, s56
	;; [unrolled: 54-line block ×19, first 2 shown]
	s_mov_b32 s2, exec_lo
	s_wait_loadcnt 0x0
	ds_store_b128 v6, v[2:5]
	s_wait_dscnt 0x0
	s_barrier_signal -1
	s_barrier_wait -1
	v_cmpx_gt_u32_e32 22, v1
	s_cbranch_execz .LBB52_103
; %bb.100:
	v_dual_mov_b32 v10, v14 :: v_dual_add_nc_u32 v8, -1, v1
	v_mov_b64_e32 v[2:3], 0
	v_mov_b64_e32 v[4:5], 0
	v_add_nc_u32_e32 v9, 0x350, v14
	s_delay_alu instid0(VALU_DEP_4)
	v_or_b32_e32 v10, 8, v10
	s_mov_b32 s3, 0
.LBB52_101:                             ; =>This Inner Loop Header: Depth=1
	scratch_load_b128 v[122:125], v10, off offset:-8
	ds_load_b128 v[126:129], v9
	s_wait_xcnt 0x0
	v_dual_add_nc_u32 v9, 16, v9 :: v_dual_add_nc_u32 v10, 16, v10
	v_add_nc_u32_e32 v8, 1, v8
	s_delay_alu instid0(VALU_DEP_1) | instskip(SKIP_4) | instid1(VALU_DEP_2)
	v_cmp_lt_u32_e32 vcc_lo, 20, v8
	s_or_b32 s3, vcc_lo, s3
	s_wait_loadcnt_dscnt 0x0
	v_mul_f64_e32 v[12:13], v[128:129], v[124:125]
	v_mul_f64_e32 v[124:125], v[126:127], v[124:125]
	v_fma_f64 v[12:13], v[126:127], v[122:123], -v[12:13]
	s_delay_alu instid0(VALU_DEP_2) | instskip(NEXT) | instid1(VALU_DEP_2)
	v_fmac_f64_e32 v[124:125], v[128:129], v[122:123]
	v_add_f64_e32 v[4:5], v[4:5], v[12:13]
	s_delay_alu instid0(VALU_DEP_2)
	v_add_f64_e32 v[2:3], v[2:3], v[124:125]
	s_and_not1_b32 exec_lo, exec_lo, s3
	s_cbranch_execnz .LBB52_101
; %bb.102:
	s_or_b32 exec_lo, exec_lo, s3
	v_mov_b32_e32 v8, 0
	ds_load_b128 v[8:11], v8 offset:352
	s_wait_dscnt 0x0
	v_mul_f64_e32 v[122:123], v[2:3], v[10:11]
	v_mul_f64_e32 v[12:13], v[4:5], v[10:11]
	s_delay_alu instid0(VALU_DEP_2) | instskip(NEXT) | instid1(VALU_DEP_2)
	v_fma_f64 v[10:11], v[4:5], v[8:9], -v[122:123]
	v_fmac_f64_e32 v[12:13], v[2:3], v[8:9]
	scratch_store_b128 off, v[10:13], off offset:352
.LBB52_103:
	s_wait_xcnt 0x0
	s_or_b32 exec_lo, exec_lo, s2
	s_wait_storecnt 0x0
	s_barrier_signal -1
	s_barrier_wait -1
	scratch_load_b128 v[2:5], off, s45
	s_mov_b32 s2, exec_lo
	s_wait_loadcnt 0x0
	ds_store_b128 v6, v[2:5]
	s_wait_dscnt 0x0
	s_barrier_signal -1
	s_barrier_wait -1
	v_cmpx_gt_u32_e32 23, v1
	s_cbranch_execz .LBB52_107
; %bb.104:
	v_dual_mov_b32 v10, v14 :: v_dual_add_nc_u32 v8, -1, v1
	v_mov_b64_e32 v[2:3], 0
	v_mov_b64_e32 v[4:5], 0
	v_add_nc_u32_e32 v9, 0x350, v14
	s_delay_alu instid0(VALU_DEP_4)
	v_or_b32_e32 v10, 8, v10
	s_mov_b32 s3, 0
.LBB52_105:                             ; =>This Inner Loop Header: Depth=1
	scratch_load_b128 v[122:125], v10, off offset:-8
	ds_load_b128 v[126:129], v9
	s_wait_xcnt 0x0
	v_dual_add_nc_u32 v9, 16, v9 :: v_dual_add_nc_u32 v10, 16, v10
	v_add_nc_u32_e32 v8, 1, v8
	s_delay_alu instid0(VALU_DEP_1) | instskip(SKIP_4) | instid1(VALU_DEP_2)
	v_cmp_lt_u32_e32 vcc_lo, 21, v8
	s_or_b32 s3, vcc_lo, s3
	s_wait_loadcnt_dscnt 0x0
	v_mul_f64_e32 v[12:13], v[128:129], v[124:125]
	v_mul_f64_e32 v[124:125], v[126:127], v[124:125]
	v_fma_f64 v[12:13], v[126:127], v[122:123], -v[12:13]
	s_delay_alu instid0(VALU_DEP_2) | instskip(NEXT) | instid1(VALU_DEP_2)
	v_fmac_f64_e32 v[124:125], v[128:129], v[122:123]
	v_add_f64_e32 v[4:5], v[4:5], v[12:13]
	s_delay_alu instid0(VALU_DEP_2)
	v_add_f64_e32 v[2:3], v[2:3], v[124:125]
	s_and_not1_b32 exec_lo, exec_lo, s3
	s_cbranch_execnz .LBB52_105
; %bb.106:
	s_or_b32 exec_lo, exec_lo, s3
	v_mov_b32_e32 v8, 0
	ds_load_b128 v[8:11], v8 offset:368
	s_wait_dscnt 0x0
	v_mul_f64_e32 v[122:123], v[2:3], v[10:11]
	v_mul_f64_e32 v[12:13], v[4:5], v[10:11]
	s_delay_alu instid0(VALU_DEP_2) | instskip(NEXT) | instid1(VALU_DEP_2)
	v_fma_f64 v[10:11], v[4:5], v[8:9], -v[122:123]
	v_fmac_f64_e32 v[12:13], v[2:3], v[8:9]
	scratch_store_b128 off, v[10:13], off offset:368
.LBB52_107:
	s_wait_xcnt 0x0
	s_or_b32 exec_lo, exec_lo, s2
	s_wait_storecnt 0x0
	s_barrier_signal -1
	s_barrier_wait -1
	scratch_load_b128 v[2:5], off, s48
	;; [unrolled: 54-line block ×30, first 2 shown]
	s_mov_b32 s2, exec_lo
	s_wait_loadcnt 0x0
	ds_store_b128 v6, v[2:5]
	s_wait_dscnt 0x0
	s_barrier_signal -1
	s_barrier_wait -1
	v_cmpx_ne_u32_e32 52, v1
	s_cbranch_execz .LBB52_223
; %bb.220:
	v_mov_b32_e32 v8, v14
	v_mov_b64_e32 v[2:3], 0
	v_mov_b64_e32 v[4:5], 0
	s_mov_b32 s3, 0
	s_delay_alu instid0(VALU_DEP_3)
	v_or_b32_e32 v8, 8, v8
.LBB52_221:                             ; =>This Inner Loop Header: Depth=1
	scratch_load_b128 v[10:13], v8, off offset:-8
	ds_load_b128 v[122:125], v6
	v_dual_add_nc_u32 v7, 1, v7 :: v_dual_add_nc_u32 v6, 16, v6
	s_wait_xcnt 0x0
	v_add_nc_u32_e32 v8, 16, v8
	s_delay_alu instid0(VALU_DEP_2) | instskip(SKIP_4) | instid1(VALU_DEP_2)
	v_cmp_lt_u32_e32 vcc_lo, 50, v7
	s_or_b32 s3, vcc_lo, s3
	s_wait_loadcnt_dscnt 0x0
	v_mul_f64_e32 v[14:15], v[124:125], v[12:13]
	v_mul_f64_e32 v[12:13], v[122:123], v[12:13]
	v_fma_f64 v[14:15], v[122:123], v[10:11], -v[14:15]
	s_delay_alu instid0(VALU_DEP_2) | instskip(NEXT) | instid1(VALU_DEP_2)
	v_fmac_f64_e32 v[12:13], v[124:125], v[10:11]
	v_add_f64_e32 v[4:5], v[4:5], v[14:15]
	s_delay_alu instid0(VALU_DEP_2)
	v_add_f64_e32 v[2:3], v[2:3], v[12:13]
	s_and_not1_b32 exec_lo, exec_lo, s3
	s_cbranch_execnz .LBB52_221
; %bb.222:
	s_or_b32 exec_lo, exec_lo, s3
	v_mov_b32_e32 v6, 0
	ds_load_b128 v[6:9], v6 offset:832
	s_wait_dscnt 0x0
	v_mul_f64_e32 v[12:13], v[2:3], v[8:9]
	v_mul_f64_e32 v[10:11], v[4:5], v[8:9]
	s_delay_alu instid0(VALU_DEP_2) | instskip(NEXT) | instid1(VALU_DEP_2)
	v_fma_f64 v[8:9], v[4:5], v[6:7], -v[12:13]
	v_fmac_f64_e32 v[10:11], v[2:3], v[6:7]
	scratch_store_b128 off, v[8:11], off offset:832
.LBB52_223:
	s_wait_xcnt 0x0
	s_or_b32 exec_lo, exec_lo, s2
	s_mov_b32 s3, -1
	s_wait_storecnt 0x0
	s_barrier_signal -1
	s_barrier_wait -1
.LBB52_224:
	s_and_b32 vcc_lo, exec_lo, s3
	s_cbranch_vccz .LBB52_226
; %bb.225:
	s_wait_xcnt 0xe
	v_mov_b32_e32 v2, 0
	s_lshl_b64 s[2:3], s[18:19], 2
	s_delay_alu instid0(SALU_CYCLE_1)
	s_add_nc_u64 s[2:3], s[6:7], s[2:3]
	global_load_b32 v2, v2, s[2:3]
	s_wait_loadcnt 0x0
	v_cmp_ne_u32_e32 vcc_lo, 0, v2
	s_cbranch_vccz .LBB52_227
.LBB52_226:
	s_sendmsg sendmsg(MSG_DEALLOC_VGPRS)
	s_endpgm
.LBB52_227:
	s_wait_xcnt 0xb
	v_lshl_add_u32 v122, v1, 4, 0x350
	s_wait_xcnt 0x0
	s_mov_b32 s2, exec_lo
	v_cmpx_eq_u32_e32 52, v1
	s_cbranch_execz .LBB52_229
; %bb.228:
	scratch_load_b128 v[2:5], off, s24
	v_mov_b32_e32 v6, 0
	s_delay_alu instid0(VALU_DEP_1)
	v_dual_mov_b32 v7, v6 :: v_dual_mov_b32 v8, v6
	v_mov_b32_e32 v9, v6
	scratch_store_b128 off, v[6:9], off offset:816
	s_wait_loadcnt 0x0
	ds_store_b128 v122, v[2:5]
.LBB52_229:
	s_wait_xcnt 0x0
	s_or_b32 exec_lo, exec_lo, s2
	s_wait_storecnt_dscnt 0x0
	s_barrier_signal -1
	s_barrier_wait -1
	s_clause 0x1
	scratch_load_b128 v[4:7], off, off offset:832
	scratch_load_b128 v[8:11], off, off offset:816
	v_mov_b32_e32 v2, 0
	s_mov_b32 s2, exec_lo
	ds_load_b128 v[12:15], v2 offset:1680
	s_wait_loadcnt_dscnt 0x100
	v_mul_f64_e32 v[124:125], v[14:15], v[6:7]
	v_mul_f64_e32 v[6:7], v[12:13], v[6:7]
	s_delay_alu instid0(VALU_DEP_2) | instskip(NEXT) | instid1(VALU_DEP_2)
	v_fma_f64 v[12:13], v[12:13], v[4:5], -v[124:125]
	v_fmac_f64_e32 v[6:7], v[14:15], v[4:5]
	s_delay_alu instid0(VALU_DEP_2) | instskip(NEXT) | instid1(VALU_DEP_2)
	v_add_f64_e32 v[4:5], 0, v[12:13]
	v_add_f64_e32 v[6:7], 0, v[6:7]
	s_wait_loadcnt 0x0
	s_delay_alu instid0(VALU_DEP_2) | instskip(NEXT) | instid1(VALU_DEP_2)
	v_add_f64_e64 v[4:5], v[8:9], -v[4:5]
	v_add_f64_e64 v[6:7], v[10:11], -v[6:7]
	scratch_store_b128 off, v[4:7], off offset:816
	s_wait_xcnt 0x0
	v_cmpx_lt_u32_e32 50, v1
	s_cbranch_execz .LBB52_231
; %bb.230:
	scratch_load_b128 v[6:9], off, s30
	v_dual_mov_b32 v3, v2 :: v_dual_mov_b32 v4, v2
	v_mov_b32_e32 v5, v2
	scratch_store_b128 off, v[2:5], off offset:800
	s_wait_loadcnt 0x0
	ds_store_b128 v122, v[6:9]
.LBB52_231:
	s_wait_xcnt 0x0
	s_or_b32 exec_lo, exec_lo, s2
	s_wait_storecnt_dscnt 0x0
	s_barrier_signal -1
	s_barrier_wait -1
	s_clause 0x2
	scratch_load_b128 v[4:7], off, off offset:816
	scratch_load_b128 v[8:11], off, off offset:832
	;; [unrolled: 1-line block ×3, first 2 shown]
	ds_load_b128 v[124:127], v2 offset:1664
	ds_load_b128 v[128:131], v2 offset:1680
	s_mov_b32 s2, exec_lo
	s_wait_loadcnt_dscnt 0x201
	v_mul_f64_e32 v[2:3], v[126:127], v[6:7]
	v_mul_f64_e32 v[6:7], v[124:125], v[6:7]
	s_wait_loadcnt_dscnt 0x100
	v_mul_f64_e32 v[132:133], v[128:129], v[10:11]
	v_mul_f64_e32 v[10:11], v[130:131], v[10:11]
	s_delay_alu instid0(VALU_DEP_4) | instskip(NEXT) | instid1(VALU_DEP_4)
	v_fma_f64 v[2:3], v[124:125], v[4:5], -v[2:3]
	v_fmac_f64_e32 v[6:7], v[126:127], v[4:5]
	s_delay_alu instid0(VALU_DEP_4) | instskip(NEXT) | instid1(VALU_DEP_4)
	v_fmac_f64_e32 v[132:133], v[130:131], v[8:9]
	v_fma_f64 v[4:5], v[128:129], v[8:9], -v[10:11]
	s_delay_alu instid0(VALU_DEP_4) | instskip(NEXT) | instid1(VALU_DEP_4)
	v_add_f64_e32 v[2:3], 0, v[2:3]
	v_add_f64_e32 v[6:7], 0, v[6:7]
	s_delay_alu instid0(VALU_DEP_2) | instskip(NEXT) | instid1(VALU_DEP_2)
	v_add_f64_e32 v[2:3], v[2:3], v[4:5]
	v_add_f64_e32 v[4:5], v[6:7], v[132:133]
	s_wait_loadcnt 0x0
	s_delay_alu instid0(VALU_DEP_2) | instskip(NEXT) | instid1(VALU_DEP_2)
	v_add_f64_e64 v[2:3], v[12:13], -v[2:3]
	v_add_f64_e64 v[4:5], v[14:15], -v[4:5]
	scratch_store_b128 off, v[2:5], off offset:800
	s_wait_xcnt 0x0
	v_cmpx_lt_u32_e32 49, v1
	s_cbranch_execz .LBB52_233
; %bb.232:
	scratch_load_b128 v[2:5], off, s8
	v_mov_b32_e32 v6, 0
	s_delay_alu instid0(VALU_DEP_1)
	v_dual_mov_b32 v7, v6 :: v_dual_mov_b32 v8, v6
	v_mov_b32_e32 v9, v6
	scratch_store_b128 off, v[6:9], off offset:784
	s_wait_loadcnt 0x0
	ds_store_b128 v122, v[2:5]
.LBB52_233:
	s_wait_xcnt 0x0
	s_or_b32 exec_lo, exec_lo, s2
	s_wait_storecnt_dscnt 0x0
	s_barrier_signal -1
	s_barrier_wait -1
	s_clause 0x3
	scratch_load_b128 v[4:7], off, off offset:800
	scratch_load_b128 v[8:11], off, off offset:816
	;; [unrolled: 1-line block ×4, first 2 shown]
	v_mov_b32_e32 v2, 0
	ds_load_b128 v[128:131], v2 offset:1648
	ds_load_b128 v[132:135], v2 offset:1664
	s_mov_b32 s2, exec_lo
	s_wait_loadcnt_dscnt 0x301
	v_mul_f64_e32 v[136:137], v[130:131], v[6:7]
	v_mul_f64_e32 v[138:139], v[128:129], v[6:7]
	s_wait_loadcnt_dscnt 0x200
	v_mul_f64_e32 v[140:141], v[132:133], v[10:11]
	v_mul_f64_e32 v[10:11], v[134:135], v[10:11]
	s_delay_alu instid0(VALU_DEP_4) | instskip(NEXT) | instid1(VALU_DEP_4)
	v_fma_f64 v[128:129], v[128:129], v[4:5], -v[136:137]
	v_fmac_f64_e32 v[138:139], v[130:131], v[4:5]
	ds_load_b128 v[4:7], v2 offset:1680
	v_fmac_f64_e32 v[140:141], v[134:135], v[8:9]
	v_fma_f64 v[8:9], v[132:133], v[8:9], -v[10:11]
	s_wait_loadcnt_dscnt 0x100
	v_mul_f64_e32 v[130:131], v[4:5], v[14:15]
	v_mul_f64_e32 v[14:15], v[6:7], v[14:15]
	v_add_f64_e32 v[10:11], 0, v[128:129]
	v_add_f64_e32 v[128:129], 0, v[138:139]
	s_delay_alu instid0(VALU_DEP_4) | instskip(NEXT) | instid1(VALU_DEP_4)
	v_fmac_f64_e32 v[130:131], v[6:7], v[12:13]
	v_fma_f64 v[4:5], v[4:5], v[12:13], -v[14:15]
	s_delay_alu instid0(VALU_DEP_4) | instskip(NEXT) | instid1(VALU_DEP_4)
	v_add_f64_e32 v[6:7], v[10:11], v[8:9]
	v_add_f64_e32 v[8:9], v[128:129], v[140:141]
	s_delay_alu instid0(VALU_DEP_2) | instskip(NEXT) | instid1(VALU_DEP_2)
	v_add_f64_e32 v[4:5], v[6:7], v[4:5]
	v_add_f64_e32 v[6:7], v[8:9], v[130:131]
	s_wait_loadcnt 0x0
	s_delay_alu instid0(VALU_DEP_2) | instskip(NEXT) | instid1(VALU_DEP_2)
	v_add_f64_e64 v[4:5], v[124:125], -v[4:5]
	v_add_f64_e64 v[6:7], v[126:127], -v[6:7]
	scratch_store_b128 off, v[4:7], off offset:784
	s_wait_xcnt 0x0
	v_cmpx_lt_u32_e32 48, v1
	s_cbranch_execz .LBB52_235
; %bb.234:
	scratch_load_b128 v[6:9], off, s10
	v_dual_mov_b32 v3, v2 :: v_dual_mov_b32 v4, v2
	v_mov_b32_e32 v5, v2
	scratch_store_b128 off, v[2:5], off offset:768
	s_wait_loadcnt 0x0
	ds_store_b128 v122, v[6:9]
.LBB52_235:
	s_wait_xcnt 0x0
	s_or_b32 exec_lo, exec_lo, s2
	s_wait_storecnt_dscnt 0x0
	s_barrier_signal -1
	s_barrier_wait -1
	s_clause 0x4
	scratch_load_b128 v[4:7], off, off offset:784
	scratch_load_b128 v[8:11], off, off offset:800
	;; [unrolled: 1-line block ×5, first 2 shown]
	ds_load_b128 v[132:135], v2 offset:1632
	ds_load_b128 v[136:139], v2 offset:1648
	s_mov_b32 s2, exec_lo
	s_wait_loadcnt_dscnt 0x401
	v_mul_f64_e32 v[140:141], v[134:135], v[6:7]
	v_mul_f64_e32 v[142:143], v[132:133], v[6:7]
	s_wait_loadcnt_dscnt 0x300
	v_mul_f64_e32 v[144:145], v[136:137], v[10:11]
	v_mul_f64_e32 v[10:11], v[138:139], v[10:11]
	s_delay_alu instid0(VALU_DEP_4) | instskip(NEXT) | instid1(VALU_DEP_4)
	v_fma_f64 v[140:141], v[132:133], v[4:5], -v[140:141]
	v_fmac_f64_e32 v[142:143], v[134:135], v[4:5]
	ds_load_b128 v[4:7], v2 offset:1664
	ds_load_b128 v[132:135], v2 offset:1680
	v_fmac_f64_e32 v[144:145], v[138:139], v[8:9]
	v_fma_f64 v[8:9], v[136:137], v[8:9], -v[10:11]
	s_wait_loadcnt_dscnt 0x201
	v_mul_f64_e32 v[2:3], v[4:5], v[14:15]
	v_mul_f64_e32 v[14:15], v[6:7], v[14:15]
	s_wait_loadcnt_dscnt 0x100
	v_mul_f64_e32 v[138:139], v[132:133], v[126:127]
	v_mul_f64_e32 v[126:127], v[134:135], v[126:127]
	v_add_f64_e32 v[10:11], 0, v[140:141]
	v_add_f64_e32 v[136:137], 0, v[142:143]
	v_fmac_f64_e32 v[2:3], v[6:7], v[12:13]
	v_fma_f64 v[4:5], v[4:5], v[12:13], -v[14:15]
	v_fmac_f64_e32 v[138:139], v[134:135], v[124:125]
	v_add_f64_e32 v[6:7], v[10:11], v[8:9]
	v_add_f64_e32 v[8:9], v[136:137], v[144:145]
	v_fma_f64 v[10:11], v[132:133], v[124:125], -v[126:127]
	s_delay_alu instid0(VALU_DEP_3) | instskip(NEXT) | instid1(VALU_DEP_3)
	v_add_f64_e32 v[4:5], v[6:7], v[4:5]
	v_add_f64_e32 v[2:3], v[8:9], v[2:3]
	s_delay_alu instid0(VALU_DEP_2) | instskip(NEXT) | instid1(VALU_DEP_2)
	v_add_f64_e32 v[4:5], v[4:5], v[10:11]
	v_add_f64_e32 v[6:7], v[2:3], v[138:139]
	s_wait_loadcnt 0x0
	s_delay_alu instid0(VALU_DEP_2) | instskip(NEXT) | instid1(VALU_DEP_2)
	v_add_f64_e64 v[2:3], v[128:129], -v[4:5]
	v_add_f64_e64 v[4:5], v[130:131], -v[6:7]
	scratch_store_b128 off, v[2:5], off offset:768
	s_wait_xcnt 0x0
	v_cmpx_lt_u32_e32 47, v1
	s_cbranch_execz .LBB52_237
; %bb.236:
	scratch_load_b128 v[2:5], off, s9
	v_mov_b32_e32 v6, 0
	s_delay_alu instid0(VALU_DEP_1)
	v_dual_mov_b32 v7, v6 :: v_dual_mov_b32 v8, v6
	v_mov_b32_e32 v9, v6
	scratch_store_b128 off, v[6:9], off offset:752
	s_wait_loadcnt 0x0
	ds_store_b128 v122, v[2:5]
.LBB52_237:
	s_wait_xcnt 0x0
	s_or_b32 exec_lo, exec_lo, s2
	s_wait_storecnt_dscnt 0x0
	s_barrier_signal -1
	s_barrier_wait -1
	s_clause 0x5
	scratch_load_b128 v[4:7], off, off offset:768
	scratch_load_b128 v[8:11], off, off offset:784
	;; [unrolled: 1-line block ×6, first 2 shown]
	v_mov_b32_e32 v2, 0
	ds_load_b128 v[136:139], v2 offset:1616
	ds_load_b128 v[140:143], v2 offset:1632
	s_mov_b32 s2, exec_lo
	s_wait_loadcnt_dscnt 0x501
	v_mul_f64_e32 v[144:145], v[138:139], v[6:7]
	v_mul_f64_e32 v[146:147], v[136:137], v[6:7]
	s_wait_loadcnt_dscnt 0x400
	v_mul_f64_e32 v[148:149], v[140:141], v[10:11]
	v_mul_f64_e32 v[10:11], v[142:143], v[10:11]
	s_delay_alu instid0(VALU_DEP_4) | instskip(NEXT) | instid1(VALU_DEP_4)
	v_fma_f64 v[144:145], v[136:137], v[4:5], -v[144:145]
	v_fmac_f64_e32 v[146:147], v[138:139], v[4:5]
	ds_load_b128 v[4:7], v2 offset:1648
	ds_load_b128 v[136:139], v2 offset:1664
	v_fmac_f64_e32 v[148:149], v[142:143], v[8:9]
	v_fma_f64 v[8:9], v[140:141], v[8:9], -v[10:11]
	s_wait_loadcnt_dscnt 0x301
	v_mul_f64_e32 v[150:151], v[4:5], v[14:15]
	v_mul_f64_e32 v[14:15], v[6:7], v[14:15]
	s_wait_loadcnt_dscnt 0x200
	v_mul_f64_e32 v[142:143], v[136:137], v[126:127]
	v_mul_f64_e32 v[126:127], v[138:139], v[126:127]
	v_add_f64_e32 v[10:11], 0, v[144:145]
	v_add_f64_e32 v[140:141], 0, v[146:147]
	v_fmac_f64_e32 v[150:151], v[6:7], v[12:13]
	v_fma_f64 v[12:13], v[4:5], v[12:13], -v[14:15]
	ds_load_b128 v[4:7], v2 offset:1680
	v_fmac_f64_e32 v[142:143], v[138:139], v[124:125]
	v_fma_f64 v[124:125], v[136:137], v[124:125], -v[126:127]
	v_add_f64_e32 v[8:9], v[10:11], v[8:9]
	v_add_f64_e32 v[10:11], v[140:141], v[148:149]
	s_wait_loadcnt_dscnt 0x100
	v_mul_f64_e32 v[14:15], v[4:5], v[130:131]
	v_mul_f64_e32 v[130:131], v[6:7], v[130:131]
	s_delay_alu instid0(VALU_DEP_4) | instskip(NEXT) | instid1(VALU_DEP_4)
	v_add_f64_e32 v[8:9], v[8:9], v[12:13]
	v_add_f64_e32 v[10:11], v[10:11], v[150:151]
	s_delay_alu instid0(VALU_DEP_4) | instskip(NEXT) | instid1(VALU_DEP_4)
	v_fmac_f64_e32 v[14:15], v[6:7], v[128:129]
	v_fma_f64 v[4:5], v[4:5], v[128:129], -v[130:131]
	s_delay_alu instid0(VALU_DEP_4) | instskip(NEXT) | instid1(VALU_DEP_4)
	v_add_f64_e32 v[6:7], v[8:9], v[124:125]
	v_add_f64_e32 v[8:9], v[10:11], v[142:143]
	s_delay_alu instid0(VALU_DEP_2) | instskip(NEXT) | instid1(VALU_DEP_2)
	v_add_f64_e32 v[4:5], v[6:7], v[4:5]
	v_add_f64_e32 v[6:7], v[8:9], v[14:15]
	s_wait_loadcnt 0x0
	s_delay_alu instid0(VALU_DEP_2) | instskip(NEXT) | instid1(VALU_DEP_2)
	v_add_f64_e64 v[4:5], v[132:133], -v[4:5]
	v_add_f64_e64 v[6:7], v[134:135], -v[6:7]
	scratch_store_b128 off, v[4:7], off offset:752
	s_wait_xcnt 0x0
	v_cmpx_lt_u32_e32 46, v1
	s_cbranch_execz .LBB52_239
; %bb.238:
	scratch_load_b128 v[6:9], off, s12
	v_dual_mov_b32 v3, v2 :: v_dual_mov_b32 v4, v2
	v_mov_b32_e32 v5, v2
	scratch_store_b128 off, v[2:5], off offset:736
	s_wait_loadcnt 0x0
	ds_store_b128 v122, v[6:9]
.LBB52_239:
	s_wait_xcnt 0x0
	s_or_b32 exec_lo, exec_lo, s2
	s_wait_storecnt_dscnt 0x0
	s_barrier_signal -1
	s_barrier_wait -1
	s_clause 0x6
	scratch_load_b128 v[4:7], off, off offset:752
	scratch_load_b128 v[8:11], off, off offset:768
	;; [unrolled: 1-line block ×7, first 2 shown]
	ds_load_b128 v[140:143], v2 offset:1600
	ds_load_b128 v[144:147], v2 offset:1616
	s_mov_b32 s2, exec_lo
	s_wait_loadcnt_dscnt 0x601
	v_mul_f64_e32 v[148:149], v[142:143], v[6:7]
	v_mul_f64_e32 v[150:151], v[140:141], v[6:7]
	s_wait_loadcnt_dscnt 0x500
	v_mul_f64_e32 v[152:153], v[144:145], v[10:11]
	v_mul_f64_e32 v[10:11], v[146:147], v[10:11]
	s_delay_alu instid0(VALU_DEP_4) | instskip(NEXT) | instid1(VALU_DEP_4)
	v_fma_f64 v[148:149], v[140:141], v[4:5], -v[148:149]
	v_fmac_f64_e32 v[150:151], v[142:143], v[4:5]
	ds_load_b128 v[4:7], v2 offset:1632
	ds_load_b128 v[140:143], v2 offset:1648
	v_fmac_f64_e32 v[152:153], v[146:147], v[8:9]
	v_fma_f64 v[8:9], v[144:145], v[8:9], -v[10:11]
	s_wait_loadcnt_dscnt 0x401
	v_mul_f64_e32 v[154:155], v[4:5], v[14:15]
	v_mul_f64_e32 v[14:15], v[6:7], v[14:15]
	s_wait_loadcnt_dscnt 0x300
	v_mul_f64_e32 v[146:147], v[140:141], v[126:127]
	v_mul_f64_e32 v[126:127], v[142:143], v[126:127]
	v_add_f64_e32 v[10:11], 0, v[148:149]
	v_add_f64_e32 v[144:145], 0, v[150:151]
	v_fmac_f64_e32 v[154:155], v[6:7], v[12:13]
	v_fma_f64 v[12:13], v[4:5], v[12:13], -v[14:15]
	v_fmac_f64_e32 v[146:147], v[142:143], v[124:125]
	v_fma_f64 v[124:125], v[140:141], v[124:125], -v[126:127]
	v_add_f64_e32 v[14:15], v[10:11], v[8:9]
	v_add_f64_e32 v[144:145], v[144:145], v[152:153]
	ds_load_b128 v[4:7], v2 offset:1664
	ds_load_b128 v[8:11], v2 offset:1680
	s_wait_loadcnt_dscnt 0x201
	v_mul_f64_e32 v[2:3], v[4:5], v[130:131]
	v_mul_f64_e32 v[130:131], v[6:7], v[130:131]
	s_wait_loadcnt_dscnt 0x100
	v_mul_f64_e32 v[126:127], v[8:9], v[134:135]
	v_mul_f64_e32 v[134:135], v[10:11], v[134:135]
	v_add_f64_e32 v[12:13], v[14:15], v[12:13]
	v_add_f64_e32 v[14:15], v[144:145], v[154:155]
	v_fmac_f64_e32 v[2:3], v[6:7], v[128:129]
	v_fma_f64 v[4:5], v[4:5], v[128:129], -v[130:131]
	v_fmac_f64_e32 v[126:127], v[10:11], v[132:133]
	v_fma_f64 v[8:9], v[8:9], v[132:133], -v[134:135]
	v_add_f64_e32 v[6:7], v[12:13], v[124:125]
	v_add_f64_e32 v[12:13], v[14:15], v[146:147]
	s_delay_alu instid0(VALU_DEP_2) | instskip(NEXT) | instid1(VALU_DEP_2)
	v_add_f64_e32 v[4:5], v[6:7], v[4:5]
	v_add_f64_e32 v[2:3], v[12:13], v[2:3]
	s_delay_alu instid0(VALU_DEP_2) | instskip(NEXT) | instid1(VALU_DEP_2)
	v_add_f64_e32 v[4:5], v[4:5], v[8:9]
	v_add_f64_e32 v[6:7], v[2:3], v[126:127]
	s_wait_loadcnt 0x0
	s_delay_alu instid0(VALU_DEP_2) | instskip(NEXT) | instid1(VALU_DEP_2)
	v_add_f64_e64 v[2:3], v[136:137], -v[4:5]
	v_add_f64_e64 v[4:5], v[138:139], -v[6:7]
	scratch_store_b128 off, v[2:5], off offset:736
	s_wait_xcnt 0x0
	v_cmpx_lt_u32_e32 45, v1
	s_cbranch_execz .LBB52_241
; %bb.240:
	scratch_load_b128 v[2:5], off, s11
	v_mov_b32_e32 v6, 0
	s_delay_alu instid0(VALU_DEP_1)
	v_dual_mov_b32 v7, v6 :: v_dual_mov_b32 v8, v6
	v_mov_b32_e32 v9, v6
	scratch_store_b128 off, v[6:9], off offset:720
	s_wait_loadcnt 0x0
	ds_store_b128 v122, v[2:5]
.LBB52_241:
	s_wait_xcnt 0x0
	s_or_b32 exec_lo, exec_lo, s2
	s_wait_storecnt_dscnt 0x0
	s_barrier_signal -1
	s_barrier_wait -1
	s_clause 0x7
	scratch_load_b128 v[4:7], off, off offset:736
	scratch_load_b128 v[8:11], off, off offset:752
	;; [unrolled: 1-line block ×8, first 2 shown]
	v_mov_b32_e32 v2, 0
	ds_load_b128 v[144:147], v2 offset:1584
	ds_load_b128 v[148:151], v2 offset:1600
	s_mov_b32 s2, exec_lo
	s_wait_loadcnt_dscnt 0x701
	v_mul_f64_e32 v[152:153], v[146:147], v[6:7]
	v_mul_f64_e32 v[154:155], v[144:145], v[6:7]
	s_wait_loadcnt_dscnt 0x600
	v_mul_f64_e32 v[156:157], v[148:149], v[10:11]
	v_mul_f64_e32 v[10:11], v[150:151], v[10:11]
	s_delay_alu instid0(VALU_DEP_4) | instskip(NEXT) | instid1(VALU_DEP_4)
	v_fma_f64 v[152:153], v[144:145], v[4:5], -v[152:153]
	v_fmac_f64_e32 v[154:155], v[146:147], v[4:5]
	ds_load_b128 v[4:7], v2 offset:1616
	ds_load_b128 v[144:147], v2 offset:1632
	v_fmac_f64_e32 v[156:157], v[150:151], v[8:9]
	v_fma_f64 v[8:9], v[148:149], v[8:9], -v[10:11]
	s_wait_loadcnt_dscnt 0x501
	v_mul_f64_e32 v[158:159], v[4:5], v[14:15]
	v_mul_f64_e32 v[14:15], v[6:7], v[14:15]
	s_wait_loadcnt_dscnt 0x400
	v_mul_f64_e32 v[150:151], v[144:145], v[126:127]
	v_mul_f64_e32 v[126:127], v[146:147], v[126:127]
	v_add_f64_e32 v[10:11], 0, v[152:153]
	v_add_f64_e32 v[148:149], 0, v[154:155]
	v_fmac_f64_e32 v[158:159], v[6:7], v[12:13]
	v_fma_f64 v[12:13], v[4:5], v[12:13], -v[14:15]
	v_fmac_f64_e32 v[150:151], v[146:147], v[124:125]
	v_fma_f64 v[124:125], v[144:145], v[124:125], -v[126:127]
	v_add_f64_e32 v[14:15], v[10:11], v[8:9]
	v_add_f64_e32 v[148:149], v[148:149], v[156:157]
	ds_load_b128 v[4:7], v2 offset:1648
	ds_load_b128 v[8:11], v2 offset:1664
	s_wait_loadcnt_dscnt 0x301
	v_mul_f64_e32 v[152:153], v[4:5], v[130:131]
	v_mul_f64_e32 v[130:131], v[6:7], v[130:131]
	s_wait_loadcnt_dscnt 0x200
	v_mul_f64_e32 v[126:127], v[8:9], v[134:135]
	v_mul_f64_e32 v[134:135], v[10:11], v[134:135]
	v_add_f64_e32 v[12:13], v[14:15], v[12:13]
	v_add_f64_e32 v[14:15], v[148:149], v[158:159]
	v_fmac_f64_e32 v[152:153], v[6:7], v[128:129]
	v_fma_f64 v[128:129], v[4:5], v[128:129], -v[130:131]
	ds_load_b128 v[4:7], v2 offset:1680
	v_fmac_f64_e32 v[126:127], v[10:11], v[132:133]
	v_fma_f64 v[8:9], v[8:9], v[132:133], -v[134:135]
	v_add_f64_e32 v[12:13], v[12:13], v[124:125]
	v_add_f64_e32 v[14:15], v[14:15], v[150:151]
	s_wait_loadcnt_dscnt 0x100
	v_mul_f64_e32 v[124:125], v[4:5], v[138:139]
	v_mul_f64_e32 v[130:131], v[6:7], v[138:139]
	s_delay_alu instid0(VALU_DEP_4) | instskip(NEXT) | instid1(VALU_DEP_4)
	v_add_f64_e32 v[10:11], v[12:13], v[128:129]
	v_add_f64_e32 v[12:13], v[14:15], v[152:153]
	s_delay_alu instid0(VALU_DEP_4) | instskip(NEXT) | instid1(VALU_DEP_4)
	v_fmac_f64_e32 v[124:125], v[6:7], v[136:137]
	v_fma_f64 v[4:5], v[4:5], v[136:137], -v[130:131]
	s_delay_alu instid0(VALU_DEP_4) | instskip(NEXT) | instid1(VALU_DEP_4)
	v_add_f64_e32 v[6:7], v[10:11], v[8:9]
	v_add_f64_e32 v[8:9], v[12:13], v[126:127]
	s_delay_alu instid0(VALU_DEP_2) | instskip(NEXT) | instid1(VALU_DEP_2)
	v_add_f64_e32 v[4:5], v[6:7], v[4:5]
	v_add_f64_e32 v[6:7], v[8:9], v[124:125]
	s_wait_loadcnt 0x0
	s_delay_alu instid0(VALU_DEP_2) | instskip(NEXT) | instid1(VALU_DEP_2)
	v_add_f64_e64 v[4:5], v[140:141], -v[4:5]
	v_add_f64_e64 v[6:7], v[142:143], -v[6:7]
	scratch_store_b128 off, v[4:7], off offset:720
	s_wait_xcnt 0x0
	v_cmpx_lt_u32_e32 44, v1
	s_cbranch_execz .LBB52_243
; %bb.242:
	scratch_load_b128 v[6:9], off, s14
	v_dual_mov_b32 v3, v2 :: v_dual_mov_b32 v4, v2
	v_mov_b32_e32 v5, v2
	scratch_store_b128 off, v[2:5], off offset:704
	s_wait_loadcnt 0x0
	ds_store_b128 v122, v[6:9]
.LBB52_243:
	s_wait_xcnt 0x0
	s_or_b32 exec_lo, exec_lo, s2
	s_wait_storecnt_dscnt 0x0
	s_barrier_signal -1
	s_barrier_wait -1
	s_clause 0x7
	scratch_load_b128 v[4:7], off, off offset:720
	scratch_load_b128 v[8:11], off, off offset:736
	scratch_load_b128 v[12:15], off, off offset:752
	scratch_load_b128 v[124:127], off, off offset:768
	scratch_load_b128 v[128:131], off, off offset:784
	scratch_load_b128 v[132:135], off, off offset:800
	scratch_load_b128 v[136:139], off, off offset:816
	scratch_load_b128 v[140:143], off, off offset:832
	ds_load_b128 v[144:147], v2 offset:1568
	ds_load_b128 v[148:151], v2 offset:1584
	scratch_load_b128 v[152:155], off, off offset:704
	s_mov_b32 s2, exec_lo
	s_wait_loadcnt_dscnt 0x801
	v_mul_f64_e32 v[156:157], v[146:147], v[6:7]
	v_mul_f64_e32 v[158:159], v[144:145], v[6:7]
	s_wait_loadcnt_dscnt 0x700
	v_mul_f64_e32 v[160:161], v[148:149], v[10:11]
	v_mul_f64_e32 v[10:11], v[150:151], v[10:11]
	s_delay_alu instid0(VALU_DEP_4) | instskip(NEXT) | instid1(VALU_DEP_4)
	v_fma_f64 v[156:157], v[144:145], v[4:5], -v[156:157]
	v_fmac_f64_e32 v[158:159], v[146:147], v[4:5]
	ds_load_b128 v[4:7], v2 offset:1600
	ds_load_b128 v[144:147], v2 offset:1616
	v_fmac_f64_e32 v[160:161], v[150:151], v[8:9]
	v_fma_f64 v[8:9], v[148:149], v[8:9], -v[10:11]
	s_wait_loadcnt_dscnt 0x601
	v_mul_f64_e32 v[162:163], v[4:5], v[14:15]
	v_mul_f64_e32 v[14:15], v[6:7], v[14:15]
	s_wait_loadcnt_dscnt 0x500
	v_mul_f64_e32 v[150:151], v[144:145], v[126:127]
	v_mul_f64_e32 v[126:127], v[146:147], v[126:127]
	v_add_f64_e32 v[10:11], 0, v[156:157]
	v_add_f64_e32 v[148:149], 0, v[158:159]
	v_fmac_f64_e32 v[162:163], v[6:7], v[12:13]
	v_fma_f64 v[12:13], v[4:5], v[12:13], -v[14:15]
	v_fmac_f64_e32 v[150:151], v[146:147], v[124:125]
	v_fma_f64 v[124:125], v[144:145], v[124:125], -v[126:127]
	v_add_f64_e32 v[14:15], v[10:11], v[8:9]
	v_add_f64_e32 v[148:149], v[148:149], v[160:161]
	ds_load_b128 v[4:7], v2 offset:1632
	ds_load_b128 v[8:11], v2 offset:1648
	s_wait_loadcnt_dscnt 0x401
	v_mul_f64_e32 v[156:157], v[4:5], v[130:131]
	v_mul_f64_e32 v[130:131], v[6:7], v[130:131]
	s_wait_loadcnt_dscnt 0x300
	v_mul_f64_e32 v[126:127], v[8:9], v[134:135]
	v_mul_f64_e32 v[134:135], v[10:11], v[134:135]
	v_add_f64_e32 v[12:13], v[14:15], v[12:13]
	v_add_f64_e32 v[14:15], v[148:149], v[162:163]
	v_fmac_f64_e32 v[156:157], v[6:7], v[128:129]
	v_fma_f64 v[128:129], v[4:5], v[128:129], -v[130:131]
	v_fmac_f64_e32 v[126:127], v[10:11], v[132:133]
	v_fma_f64 v[8:9], v[8:9], v[132:133], -v[134:135]
	v_add_f64_e32 v[124:125], v[12:13], v[124:125]
	v_add_f64_e32 v[130:131], v[14:15], v[150:151]
	ds_load_b128 v[4:7], v2 offset:1664
	ds_load_b128 v[12:15], v2 offset:1680
	s_wait_loadcnt_dscnt 0x201
	v_mul_f64_e32 v[2:3], v[4:5], v[138:139]
	v_mul_f64_e32 v[138:139], v[6:7], v[138:139]
	v_add_f64_e32 v[10:11], v[124:125], v[128:129]
	v_add_f64_e32 v[124:125], v[130:131], v[156:157]
	s_wait_loadcnt_dscnt 0x100
	v_mul_f64_e32 v[128:129], v[12:13], v[142:143]
	v_mul_f64_e32 v[130:131], v[14:15], v[142:143]
	v_fmac_f64_e32 v[2:3], v[6:7], v[136:137]
	v_fma_f64 v[4:5], v[4:5], v[136:137], -v[138:139]
	v_add_f64_e32 v[6:7], v[10:11], v[8:9]
	v_add_f64_e32 v[8:9], v[124:125], v[126:127]
	v_fmac_f64_e32 v[128:129], v[14:15], v[140:141]
	v_fma_f64 v[10:11], v[12:13], v[140:141], -v[130:131]
	s_delay_alu instid0(VALU_DEP_4) | instskip(NEXT) | instid1(VALU_DEP_4)
	v_add_f64_e32 v[4:5], v[6:7], v[4:5]
	v_add_f64_e32 v[2:3], v[8:9], v[2:3]
	s_delay_alu instid0(VALU_DEP_2) | instskip(NEXT) | instid1(VALU_DEP_2)
	v_add_f64_e32 v[4:5], v[4:5], v[10:11]
	v_add_f64_e32 v[6:7], v[2:3], v[128:129]
	s_wait_loadcnt 0x0
	s_delay_alu instid0(VALU_DEP_2) | instskip(NEXT) | instid1(VALU_DEP_2)
	v_add_f64_e64 v[2:3], v[152:153], -v[4:5]
	v_add_f64_e64 v[4:5], v[154:155], -v[6:7]
	scratch_store_b128 off, v[2:5], off offset:704
	s_wait_xcnt 0x0
	v_cmpx_lt_u32_e32 43, v1
	s_cbranch_execz .LBB52_245
; %bb.244:
	scratch_load_b128 v[2:5], off, s13
	v_mov_b32_e32 v6, 0
	s_delay_alu instid0(VALU_DEP_1)
	v_dual_mov_b32 v7, v6 :: v_dual_mov_b32 v8, v6
	v_mov_b32_e32 v9, v6
	scratch_store_b128 off, v[6:9], off offset:688
	s_wait_loadcnt 0x0
	ds_store_b128 v122, v[2:5]
.LBB52_245:
	s_wait_xcnt 0x0
	s_or_b32 exec_lo, exec_lo, s2
	s_wait_storecnt_dscnt 0x0
	s_barrier_signal -1
	s_barrier_wait -1
	s_clause 0x8
	scratch_load_b128 v[4:7], off, off offset:704
	scratch_load_b128 v[8:11], off, off offset:720
	;; [unrolled: 1-line block ×9, first 2 shown]
	v_mov_b32_e32 v2, 0
	scratch_load_b128 v[152:155], off, off offset:688
	s_mov_b32 s2, exec_lo
	ds_load_b128 v[148:151], v2 offset:1552
	ds_load_b128 v[156:159], v2 offset:1568
	s_wait_loadcnt_dscnt 0x901
	v_mul_f64_e32 v[160:161], v[150:151], v[6:7]
	v_mul_f64_e32 v[162:163], v[148:149], v[6:7]
	s_wait_loadcnt_dscnt 0x800
	v_mul_f64_e32 v[164:165], v[156:157], v[10:11]
	v_mul_f64_e32 v[10:11], v[158:159], v[10:11]
	s_delay_alu instid0(VALU_DEP_4) | instskip(NEXT) | instid1(VALU_DEP_4)
	v_fma_f64 v[160:161], v[148:149], v[4:5], -v[160:161]
	v_fmac_f64_e32 v[162:163], v[150:151], v[4:5]
	ds_load_b128 v[4:7], v2 offset:1584
	ds_load_b128 v[148:151], v2 offset:1600
	v_fmac_f64_e32 v[164:165], v[158:159], v[8:9]
	v_fma_f64 v[8:9], v[156:157], v[8:9], -v[10:11]
	s_wait_loadcnt_dscnt 0x701
	v_mul_f64_e32 v[166:167], v[4:5], v[14:15]
	v_mul_f64_e32 v[14:15], v[6:7], v[14:15]
	s_wait_loadcnt_dscnt 0x600
	v_mul_f64_e32 v[158:159], v[148:149], v[126:127]
	v_mul_f64_e32 v[126:127], v[150:151], v[126:127]
	v_add_f64_e32 v[10:11], 0, v[160:161]
	v_add_f64_e32 v[156:157], 0, v[162:163]
	v_fmac_f64_e32 v[166:167], v[6:7], v[12:13]
	v_fma_f64 v[12:13], v[4:5], v[12:13], -v[14:15]
	v_fmac_f64_e32 v[158:159], v[150:151], v[124:125]
	v_fma_f64 v[124:125], v[148:149], v[124:125], -v[126:127]
	v_add_f64_e32 v[14:15], v[10:11], v[8:9]
	v_add_f64_e32 v[156:157], v[156:157], v[164:165]
	ds_load_b128 v[4:7], v2 offset:1616
	ds_load_b128 v[8:11], v2 offset:1632
	s_wait_loadcnt_dscnt 0x501
	v_mul_f64_e32 v[160:161], v[4:5], v[130:131]
	v_mul_f64_e32 v[130:131], v[6:7], v[130:131]
	s_wait_loadcnt_dscnt 0x400
	v_mul_f64_e32 v[126:127], v[8:9], v[134:135]
	v_mul_f64_e32 v[134:135], v[10:11], v[134:135]
	v_add_f64_e32 v[12:13], v[14:15], v[12:13]
	v_add_f64_e32 v[14:15], v[156:157], v[166:167]
	v_fmac_f64_e32 v[160:161], v[6:7], v[128:129]
	v_fma_f64 v[128:129], v[4:5], v[128:129], -v[130:131]
	v_fmac_f64_e32 v[126:127], v[10:11], v[132:133]
	v_fma_f64 v[8:9], v[8:9], v[132:133], -v[134:135]
	v_add_f64_e32 v[124:125], v[12:13], v[124:125]
	v_add_f64_e32 v[130:131], v[14:15], v[158:159]
	ds_load_b128 v[4:7], v2 offset:1648
	ds_load_b128 v[12:15], v2 offset:1664
	s_wait_loadcnt_dscnt 0x301
	v_mul_f64_e32 v[148:149], v[4:5], v[138:139]
	v_mul_f64_e32 v[138:139], v[6:7], v[138:139]
	v_add_f64_e32 v[10:11], v[124:125], v[128:129]
	v_add_f64_e32 v[124:125], v[130:131], v[160:161]
	s_wait_loadcnt_dscnt 0x200
	v_mul_f64_e32 v[128:129], v[12:13], v[142:143]
	v_mul_f64_e32 v[130:131], v[14:15], v[142:143]
	v_fmac_f64_e32 v[148:149], v[6:7], v[136:137]
	v_fma_f64 v[132:133], v[4:5], v[136:137], -v[138:139]
	ds_load_b128 v[4:7], v2 offset:1680
	v_add_f64_e32 v[8:9], v[10:11], v[8:9]
	v_add_f64_e32 v[10:11], v[124:125], v[126:127]
	v_fmac_f64_e32 v[128:129], v[14:15], v[140:141]
	v_fma_f64 v[12:13], v[12:13], v[140:141], -v[130:131]
	s_wait_loadcnt_dscnt 0x100
	v_mul_f64_e32 v[124:125], v[4:5], v[146:147]
	v_mul_f64_e32 v[126:127], v[6:7], v[146:147]
	v_add_f64_e32 v[8:9], v[8:9], v[132:133]
	v_add_f64_e32 v[10:11], v[10:11], v[148:149]
	s_delay_alu instid0(VALU_DEP_4) | instskip(NEXT) | instid1(VALU_DEP_4)
	v_fmac_f64_e32 v[124:125], v[6:7], v[144:145]
	v_fma_f64 v[4:5], v[4:5], v[144:145], -v[126:127]
	s_delay_alu instid0(VALU_DEP_4) | instskip(NEXT) | instid1(VALU_DEP_4)
	v_add_f64_e32 v[6:7], v[8:9], v[12:13]
	v_add_f64_e32 v[8:9], v[10:11], v[128:129]
	s_delay_alu instid0(VALU_DEP_2) | instskip(NEXT) | instid1(VALU_DEP_2)
	v_add_f64_e32 v[4:5], v[6:7], v[4:5]
	v_add_f64_e32 v[6:7], v[8:9], v[124:125]
	s_wait_loadcnt 0x0
	s_delay_alu instid0(VALU_DEP_2) | instskip(NEXT) | instid1(VALU_DEP_2)
	v_add_f64_e64 v[4:5], v[152:153], -v[4:5]
	v_add_f64_e64 v[6:7], v[154:155], -v[6:7]
	scratch_store_b128 off, v[4:7], off offset:688
	s_wait_xcnt 0x0
	v_cmpx_lt_u32_e32 42, v1
	s_cbranch_execz .LBB52_247
; %bb.246:
	scratch_load_b128 v[6:9], off, s20
	v_dual_mov_b32 v3, v2 :: v_dual_mov_b32 v4, v2
	v_mov_b32_e32 v5, v2
	scratch_store_b128 off, v[2:5], off offset:672
	s_wait_loadcnt 0x0
	ds_store_b128 v122, v[6:9]
.LBB52_247:
	s_wait_xcnt 0x0
	s_or_b32 exec_lo, exec_lo, s2
	s_wait_storecnt_dscnt 0x0
	s_barrier_signal -1
	s_barrier_wait -1
	s_clause 0x9
	scratch_load_b128 v[4:7], off, off offset:688
	scratch_load_b128 v[8:11], off, off offset:704
	;; [unrolled: 1-line block ×10, first 2 shown]
	ds_load_b128 v[152:155], v2 offset:1536
	ds_load_b128 v[156:159], v2 offset:1552
	scratch_load_b128 v[160:163], off, off offset:672
	s_mov_b32 s2, exec_lo
	s_wait_loadcnt_dscnt 0xa01
	v_mul_f64_e32 v[164:165], v[154:155], v[6:7]
	v_mul_f64_e32 v[166:167], v[152:153], v[6:7]
	s_wait_loadcnt_dscnt 0x900
	v_mul_f64_e32 v[168:169], v[156:157], v[10:11]
	v_mul_f64_e32 v[10:11], v[158:159], v[10:11]
	s_delay_alu instid0(VALU_DEP_4) | instskip(NEXT) | instid1(VALU_DEP_4)
	v_fma_f64 v[164:165], v[152:153], v[4:5], -v[164:165]
	v_fmac_f64_e32 v[166:167], v[154:155], v[4:5]
	ds_load_b128 v[4:7], v2 offset:1568
	ds_load_b128 v[152:155], v2 offset:1584
	v_fmac_f64_e32 v[168:169], v[158:159], v[8:9]
	v_fma_f64 v[8:9], v[156:157], v[8:9], -v[10:11]
	s_wait_loadcnt_dscnt 0x801
	v_mul_f64_e32 v[170:171], v[4:5], v[14:15]
	v_mul_f64_e32 v[14:15], v[6:7], v[14:15]
	s_wait_loadcnt_dscnt 0x700
	v_mul_f64_e32 v[158:159], v[152:153], v[126:127]
	v_mul_f64_e32 v[126:127], v[154:155], v[126:127]
	v_add_f64_e32 v[10:11], 0, v[164:165]
	v_add_f64_e32 v[156:157], 0, v[166:167]
	v_fmac_f64_e32 v[170:171], v[6:7], v[12:13]
	v_fma_f64 v[12:13], v[4:5], v[12:13], -v[14:15]
	v_fmac_f64_e32 v[158:159], v[154:155], v[124:125]
	v_fma_f64 v[124:125], v[152:153], v[124:125], -v[126:127]
	v_add_f64_e32 v[14:15], v[10:11], v[8:9]
	v_add_f64_e32 v[156:157], v[156:157], v[168:169]
	ds_load_b128 v[4:7], v2 offset:1600
	ds_load_b128 v[8:11], v2 offset:1616
	s_wait_loadcnt_dscnt 0x601
	v_mul_f64_e32 v[164:165], v[4:5], v[130:131]
	v_mul_f64_e32 v[130:131], v[6:7], v[130:131]
	s_wait_loadcnt_dscnt 0x500
	v_mul_f64_e32 v[126:127], v[8:9], v[134:135]
	v_mul_f64_e32 v[134:135], v[10:11], v[134:135]
	v_add_f64_e32 v[12:13], v[14:15], v[12:13]
	v_add_f64_e32 v[14:15], v[156:157], v[170:171]
	v_fmac_f64_e32 v[164:165], v[6:7], v[128:129]
	v_fma_f64 v[128:129], v[4:5], v[128:129], -v[130:131]
	v_fmac_f64_e32 v[126:127], v[10:11], v[132:133]
	v_fma_f64 v[8:9], v[8:9], v[132:133], -v[134:135]
	v_add_f64_e32 v[124:125], v[12:13], v[124:125]
	v_add_f64_e32 v[130:131], v[14:15], v[158:159]
	ds_load_b128 v[4:7], v2 offset:1632
	ds_load_b128 v[12:15], v2 offset:1648
	s_wait_loadcnt_dscnt 0x401
	v_mul_f64_e32 v[152:153], v[4:5], v[138:139]
	v_mul_f64_e32 v[138:139], v[6:7], v[138:139]
	v_add_f64_e32 v[10:11], v[124:125], v[128:129]
	v_add_f64_e32 v[124:125], v[130:131], v[164:165]
	s_wait_loadcnt_dscnt 0x300
	v_mul_f64_e32 v[128:129], v[12:13], v[142:143]
	v_mul_f64_e32 v[130:131], v[14:15], v[142:143]
	v_fmac_f64_e32 v[152:153], v[6:7], v[136:137]
	v_fma_f64 v[132:133], v[4:5], v[136:137], -v[138:139]
	v_add_f64_e32 v[134:135], v[10:11], v[8:9]
	v_add_f64_e32 v[124:125], v[124:125], v[126:127]
	ds_load_b128 v[4:7], v2 offset:1664
	ds_load_b128 v[8:11], v2 offset:1680
	v_fmac_f64_e32 v[128:129], v[14:15], v[140:141]
	v_fma_f64 v[12:13], v[12:13], v[140:141], -v[130:131]
	s_wait_loadcnt_dscnt 0x201
	v_mul_f64_e32 v[2:3], v[4:5], v[146:147]
	v_mul_f64_e32 v[126:127], v[6:7], v[146:147]
	s_wait_loadcnt_dscnt 0x100
	v_mul_f64_e32 v[130:131], v[8:9], v[150:151]
	v_add_f64_e32 v[14:15], v[134:135], v[132:133]
	v_add_f64_e32 v[124:125], v[124:125], v[152:153]
	v_mul_f64_e32 v[132:133], v[10:11], v[150:151]
	v_fmac_f64_e32 v[2:3], v[6:7], v[144:145]
	v_fma_f64 v[4:5], v[4:5], v[144:145], -v[126:127]
	v_fmac_f64_e32 v[130:131], v[10:11], v[148:149]
	v_add_f64_e32 v[6:7], v[14:15], v[12:13]
	v_add_f64_e32 v[12:13], v[124:125], v[128:129]
	v_fma_f64 v[8:9], v[8:9], v[148:149], -v[132:133]
	s_delay_alu instid0(VALU_DEP_3) | instskip(NEXT) | instid1(VALU_DEP_3)
	v_add_f64_e32 v[4:5], v[6:7], v[4:5]
	v_add_f64_e32 v[2:3], v[12:13], v[2:3]
	s_delay_alu instid0(VALU_DEP_2) | instskip(NEXT) | instid1(VALU_DEP_2)
	v_add_f64_e32 v[4:5], v[4:5], v[8:9]
	v_add_f64_e32 v[6:7], v[2:3], v[130:131]
	s_wait_loadcnt 0x0
	s_delay_alu instid0(VALU_DEP_2) | instskip(NEXT) | instid1(VALU_DEP_2)
	v_add_f64_e64 v[2:3], v[160:161], -v[4:5]
	v_add_f64_e64 v[4:5], v[162:163], -v[6:7]
	scratch_store_b128 off, v[2:5], off offset:672
	s_wait_xcnt 0x0
	v_cmpx_lt_u32_e32 41, v1
	s_cbranch_execz .LBB52_249
; %bb.248:
	scratch_load_b128 v[2:5], off, s15
	v_mov_b32_e32 v6, 0
	s_delay_alu instid0(VALU_DEP_1)
	v_dual_mov_b32 v7, v6 :: v_dual_mov_b32 v8, v6
	v_mov_b32_e32 v9, v6
	scratch_store_b128 off, v[6:9], off offset:656
	s_wait_loadcnt 0x0
	ds_store_b128 v122, v[2:5]
.LBB52_249:
	s_wait_xcnt 0x0
	s_or_b32 exec_lo, exec_lo, s2
	s_wait_storecnt_dscnt 0x0
	s_barrier_signal -1
	s_barrier_wait -1
	s_clause 0x9
	scratch_load_b128 v[4:7], off, off offset:672
	scratch_load_b128 v[8:11], off, off offset:688
	;; [unrolled: 1-line block ×10, first 2 shown]
	v_mov_b32_e32 v2, 0
	s_mov_b32 s2, exec_lo
	ds_load_b128 v[152:155], v2 offset:1520
	s_clause 0x1
	scratch_load_b128 v[156:159], off, off offset:832
	scratch_load_b128 v[160:163], off, off offset:656
	s_wait_loadcnt_dscnt 0xb00
	v_mul_f64_e32 v[168:169], v[154:155], v[6:7]
	v_mul_f64_e32 v[170:171], v[152:153], v[6:7]
	ds_load_b128 v[164:167], v2 offset:1536
	s_wait_loadcnt_dscnt 0xa00
	v_mul_f64_e32 v[172:173], v[164:165], v[10:11]
	v_mul_f64_e32 v[10:11], v[166:167], v[10:11]
	v_fma_f64 v[168:169], v[152:153], v[4:5], -v[168:169]
	v_fmac_f64_e32 v[170:171], v[154:155], v[4:5]
	ds_load_b128 v[4:7], v2 offset:1552
	ds_load_b128 v[152:155], v2 offset:1568
	s_wait_loadcnt_dscnt 0x901
	v_mul_f64_e32 v[174:175], v[4:5], v[14:15]
	v_mul_f64_e32 v[14:15], v[6:7], v[14:15]
	v_fmac_f64_e32 v[172:173], v[166:167], v[8:9]
	v_fma_f64 v[8:9], v[164:165], v[8:9], -v[10:11]
	s_wait_loadcnt_dscnt 0x800
	v_mul_f64_e32 v[166:167], v[152:153], v[126:127]
	v_mul_f64_e32 v[126:127], v[154:155], v[126:127]
	v_add_f64_e32 v[10:11], 0, v[168:169]
	v_add_f64_e32 v[164:165], 0, v[170:171]
	v_fmac_f64_e32 v[174:175], v[6:7], v[12:13]
	v_fma_f64 v[12:13], v[4:5], v[12:13], -v[14:15]
	v_fmac_f64_e32 v[166:167], v[154:155], v[124:125]
	v_fma_f64 v[124:125], v[152:153], v[124:125], -v[126:127]
	v_add_f64_e32 v[14:15], v[10:11], v[8:9]
	v_add_f64_e32 v[164:165], v[164:165], v[172:173]
	ds_load_b128 v[4:7], v2 offset:1584
	ds_load_b128 v[8:11], v2 offset:1600
	s_wait_loadcnt_dscnt 0x701
	v_mul_f64_e32 v[168:169], v[4:5], v[130:131]
	v_mul_f64_e32 v[130:131], v[6:7], v[130:131]
	s_wait_loadcnt_dscnt 0x600
	v_mul_f64_e32 v[126:127], v[8:9], v[134:135]
	v_mul_f64_e32 v[134:135], v[10:11], v[134:135]
	v_add_f64_e32 v[12:13], v[14:15], v[12:13]
	v_add_f64_e32 v[14:15], v[164:165], v[174:175]
	v_fmac_f64_e32 v[168:169], v[6:7], v[128:129]
	v_fma_f64 v[128:129], v[4:5], v[128:129], -v[130:131]
	v_fmac_f64_e32 v[126:127], v[10:11], v[132:133]
	v_fma_f64 v[8:9], v[8:9], v[132:133], -v[134:135]
	v_add_f64_e32 v[124:125], v[12:13], v[124:125]
	v_add_f64_e32 v[130:131], v[14:15], v[166:167]
	ds_load_b128 v[4:7], v2 offset:1616
	ds_load_b128 v[12:15], v2 offset:1632
	s_wait_loadcnt_dscnt 0x501
	v_mul_f64_e32 v[152:153], v[4:5], v[138:139]
	v_mul_f64_e32 v[138:139], v[6:7], v[138:139]
	v_add_f64_e32 v[10:11], v[124:125], v[128:129]
	v_add_f64_e32 v[124:125], v[130:131], v[168:169]
	s_wait_loadcnt_dscnt 0x400
	v_mul_f64_e32 v[128:129], v[12:13], v[142:143]
	v_mul_f64_e32 v[130:131], v[14:15], v[142:143]
	v_fmac_f64_e32 v[152:153], v[6:7], v[136:137]
	v_fma_f64 v[132:133], v[4:5], v[136:137], -v[138:139]
	v_add_f64_e32 v[134:135], v[10:11], v[8:9]
	v_add_f64_e32 v[124:125], v[124:125], v[126:127]
	ds_load_b128 v[4:7], v2 offset:1648
	ds_load_b128 v[8:11], v2 offset:1664
	v_fmac_f64_e32 v[128:129], v[14:15], v[140:141]
	v_fma_f64 v[12:13], v[12:13], v[140:141], -v[130:131]
	s_wait_loadcnt_dscnt 0x301
	v_mul_f64_e32 v[126:127], v[4:5], v[146:147]
	v_mul_f64_e32 v[136:137], v[6:7], v[146:147]
	s_wait_loadcnt_dscnt 0x200
	v_mul_f64_e32 v[130:131], v[8:9], v[150:151]
	v_add_f64_e32 v[14:15], v[134:135], v[132:133]
	v_add_f64_e32 v[124:125], v[124:125], v[152:153]
	v_mul_f64_e32 v[132:133], v[10:11], v[150:151]
	v_fmac_f64_e32 v[126:127], v[6:7], v[144:145]
	v_fma_f64 v[134:135], v[4:5], v[144:145], -v[136:137]
	ds_load_b128 v[4:7], v2 offset:1680
	v_fmac_f64_e32 v[130:131], v[10:11], v[148:149]
	v_add_f64_e32 v[12:13], v[14:15], v[12:13]
	v_add_f64_e32 v[14:15], v[124:125], v[128:129]
	v_fma_f64 v[8:9], v[8:9], v[148:149], -v[132:133]
	s_wait_loadcnt_dscnt 0x100
	v_mul_f64_e32 v[124:125], v[4:5], v[158:159]
	v_mul_f64_e32 v[128:129], v[6:7], v[158:159]
	v_add_f64_e32 v[10:11], v[12:13], v[134:135]
	v_add_f64_e32 v[12:13], v[14:15], v[126:127]
	s_delay_alu instid0(VALU_DEP_4) | instskip(NEXT) | instid1(VALU_DEP_4)
	v_fmac_f64_e32 v[124:125], v[6:7], v[156:157]
	v_fma_f64 v[4:5], v[4:5], v[156:157], -v[128:129]
	s_delay_alu instid0(VALU_DEP_4) | instskip(NEXT) | instid1(VALU_DEP_4)
	v_add_f64_e32 v[6:7], v[10:11], v[8:9]
	v_add_f64_e32 v[8:9], v[12:13], v[130:131]
	s_delay_alu instid0(VALU_DEP_2) | instskip(NEXT) | instid1(VALU_DEP_2)
	v_add_f64_e32 v[4:5], v[6:7], v[4:5]
	v_add_f64_e32 v[6:7], v[8:9], v[124:125]
	s_wait_loadcnt 0x0
	s_delay_alu instid0(VALU_DEP_2) | instskip(NEXT) | instid1(VALU_DEP_2)
	v_add_f64_e64 v[4:5], v[160:161], -v[4:5]
	v_add_f64_e64 v[6:7], v[162:163], -v[6:7]
	scratch_store_b128 off, v[4:7], off offset:656
	s_wait_xcnt 0x0
	v_cmpx_lt_u32_e32 40, v1
	s_cbranch_execz .LBB52_251
; %bb.250:
	scratch_load_b128 v[6:9], off, s22
	v_dual_mov_b32 v3, v2 :: v_dual_mov_b32 v4, v2
	v_mov_b32_e32 v5, v2
	scratch_store_b128 off, v[2:5], off offset:640
	s_wait_loadcnt 0x0
	ds_store_b128 v122, v[6:9]
.LBB52_251:
	s_wait_xcnt 0x0
	s_or_b32 exec_lo, exec_lo, s2
	s_wait_storecnt_dscnt 0x0
	s_barrier_signal -1
	s_barrier_wait -1
	s_clause 0x9
	scratch_load_b128 v[4:7], off, off offset:656
	scratch_load_b128 v[8:11], off, off offset:672
	;; [unrolled: 1-line block ×10, first 2 shown]
	ds_load_b128 v[152:155], v2 offset:1504
	ds_load_b128 v[160:163], v2 offset:1520
	s_clause 0x2
	scratch_load_b128 v[156:159], off, off offset:816
	scratch_load_b128 v[164:167], off, off offset:640
	scratch_load_b128 v[168:171], off, off offset:832
	s_mov_b32 s2, exec_lo
	s_wait_loadcnt_dscnt 0xc01
	v_mul_f64_e32 v[172:173], v[154:155], v[6:7]
	v_mul_f64_e32 v[174:175], v[152:153], v[6:7]
	s_wait_loadcnt_dscnt 0xb00
	v_mul_f64_e32 v[176:177], v[160:161], v[10:11]
	v_mul_f64_e32 v[10:11], v[162:163], v[10:11]
	s_delay_alu instid0(VALU_DEP_4) | instskip(NEXT) | instid1(VALU_DEP_4)
	v_fma_f64 v[172:173], v[152:153], v[4:5], -v[172:173]
	v_fmac_f64_e32 v[174:175], v[154:155], v[4:5]
	ds_load_b128 v[4:7], v2 offset:1536
	ds_load_b128 v[152:155], v2 offset:1552
	v_fmac_f64_e32 v[176:177], v[162:163], v[8:9]
	v_fma_f64 v[8:9], v[160:161], v[8:9], -v[10:11]
	s_wait_loadcnt_dscnt 0xa01
	v_mul_f64_e32 v[178:179], v[4:5], v[14:15]
	v_mul_f64_e32 v[14:15], v[6:7], v[14:15]
	s_wait_loadcnt_dscnt 0x900
	v_mul_f64_e32 v[162:163], v[152:153], v[126:127]
	v_mul_f64_e32 v[126:127], v[154:155], v[126:127]
	v_add_f64_e32 v[10:11], 0, v[172:173]
	v_add_f64_e32 v[160:161], 0, v[174:175]
	v_fmac_f64_e32 v[178:179], v[6:7], v[12:13]
	v_fma_f64 v[12:13], v[4:5], v[12:13], -v[14:15]
	v_fmac_f64_e32 v[162:163], v[154:155], v[124:125]
	v_fma_f64 v[124:125], v[152:153], v[124:125], -v[126:127]
	v_add_f64_e32 v[14:15], v[10:11], v[8:9]
	v_add_f64_e32 v[160:161], v[160:161], v[176:177]
	ds_load_b128 v[4:7], v2 offset:1568
	ds_load_b128 v[8:11], v2 offset:1584
	s_wait_loadcnt_dscnt 0x801
	v_mul_f64_e32 v[172:173], v[4:5], v[130:131]
	v_mul_f64_e32 v[130:131], v[6:7], v[130:131]
	s_wait_loadcnt_dscnt 0x700
	v_mul_f64_e32 v[126:127], v[8:9], v[134:135]
	v_mul_f64_e32 v[134:135], v[10:11], v[134:135]
	v_add_f64_e32 v[12:13], v[14:15], v[12:13]
	v_add_f64_e32 v[14:15], v[160:161], v[178:179]
	v_fmac_f64_e32 v[172:173], v[6:7], v[128:129]
	v_fma_f64 v[128:129], v[4:5], v[128:129], -v[130:131]
	v_fmac_f64_e32 v[126:127], v[10:11], v[132:133]
	v_fma_f64 v[8:9], v[8:9], v[132:133], -v[134:135]
	v_add_f64_e32 v[124:125], v[12:13], v[124:125]
	v_add_f64_e32 v[130:131], v[14:15], v[162:163]
	ds_load_b128 v[4:7], v2 offset:1600
	ds_load_b128 v[12:15], v2 offset:1616
	s_wait_loadcnt_dscnt 0x601
	v_mul_f64_e32 v[152:153], v[4:5], v[138:139]
	v_mul_f64_e32 v[138:139], v[6:7], v[138:139]
	v_add_f64_e32 v[10:11], v[124:125], v[128:129]
	v_add_f64_e32 v[124:125], v[130:131], v[172:173]
	s_wait_loadcnt_dscnt 0x500
	v_mul_f64_e32 v[128:129], v[12:13], v[142:143]
	v_mul_f64_e32 v[130:131], v[14:15], v[142:143]
	v_fmac_f64_e32 v[152:153], v[6:7], v[136:137]
	v_fma_f64 v[132:133], v[4:5], v[136:137], -v[138:139]
	v_add_f64_e32 v[134:135], v[10:11], v[8:9]
	v_add_f64_e32 v[124:125], v[124:125], v[126:127]
	ds_load_b128 v[4:7], v2 offset:1632
	ds_load_b128 v[8:11], v2 offset:1648
	v_fmac_f64_e32 v[128:129], v[14:15], v[140:141]
	v_fma_f64 v[12:13], v[12:13], v[140:141], -v[130:131]
	s_wait_loadcnt_dscnt 0x401
	v_mul_f64_e32 v[126:127], v[4:5], v[146:147]
	v_mul_f64_e32 v[136:137], v[6:7], v[146:147]
	s_wait_loadcnt_dscnt 0x300
	v_mul_f64_e32 v[130:131], v[8:9], v[150:151]
	v_add_f64_e32 v[14:15], v[134:135], v[132:133]
	v_add_f64_e32 v[124:125], v[124:125], v[152:153]
	v_mul_f64_e32 v[132:133], v[10:11], v[150:151]
	v_fmac_f64_e32 v[126:127], v[6:7], v[144:145]
	v_fma_f64 v[134:135], v[4:5], v[144:145], -v[136:137]
	v_fmac_f64_e32 v[130:131], v[10:11], v[148:149]
	v_add_f64_e32 v[136:137], v[14:15], v[12:13]
	v_add_f64_e32 v[124:125], v[124:125], v[128:129]
	ds_load_b128 v[4:7], v2 offset:1664
	ds_load_b128 v[12:15], v2 offset:1680
	v_fma_f64 v[8:9], v[8:9], v[148:149], -v[132:133]
	s_wait_loadcnt_dscnt 0x201
	v_mul_f64_e32 v[2:3], v[4:5], v[158:159]
	v_mul_f64_e32 v[128:129], v[6:7], v[158:159]
	s_wait_loadcnt_dscnt 0x0
	v_mul_f64_e32 v[132:133], v[14:15], v[170:171]
	v_add_f64_e32 v[10:11], v[136:137], v[134:135]
	v_add_f64_e32 v[124:125], v[124:125], v[126:127]
	v_mul_f64_e32 v[126:127], v[12:13], v[170:171]
	v_fmac_f64_e32 v[2:3], v[6:7], v[156:157]
	v_fma_f64 v[4:5], v[4:5], v[156:157], -v[128:129]
	v_add_f64_e32 v[6:7], v[10:11], v[8:9]
	v_add_f64_e32 v[8:9], v[124:125], v[130:131]
	v_fmac_f64_e32 v[126:127], v[14:15], v[168:169]
	v_fma_f64 v[10:11], v[12:13], v[168:169], -v[132:133]
	s_delay_alu instid0(VALU_DEP_4) | instskip(NEXT) | instid1(VALU_DEP_4)
	v_add_f64_e32 v[4:5], v[6:7], v[4:5]
	v_add_f64_e32 v[2:3], v[8:9], v[2:3]
	s_delay_alu instid0(VALU_DEP_2) | instskip(NEXT) | instid1(VALU_DEP_2)
	v_add_f64_e32 v[4:5], v[4:5], v[10:11]
	v_add_f64_e32 v[6:7], v[2:3], v[126:127]
	s_delay_alu instid0(VALU_DEP_2) | instskip(NEXT) | instid1(VALU_DEP_2)
	v_add_f64_e64 v[2:3], v[164:165], -v[4:5]
	v_add_f64_e64 v[4:5], v[166:167], -v[6:7]
	scratch_store_b128 off, v[2:5], off offset:640
	s_wait_xcnt 0x0
	v_cmpx_lt_u32_e32 39, v1
	s_cbranch_execz .LBB52_253
; %bb.252:
	scratch_load_b128 v[2:5], off, s21
	v_mov_b32_e32 v6, 0
	s_delay_alu instid0(VALU_DEP_1)
	v_dual_mov_b32 v7, v6 :: v_dual_mov_b32 v8, v6
	v_mov_b32_e32 v9, v6
	scratch_store_b128 off, v[6:9], off offset:624
	s_wait_loadcnt 0x0
	ds_store_b128 v122, v[2:5]
.LBB52_253:
	s_wait_xcnt 0x0
	s_or_b32 exec_lo, exec_lo, s2
	s_wait_storecnt_dscnt 0x0
	s_barrier_signal -1
	s_barrier_wait -1
	s_clause 0x9
	scratch_load_b128 v[4:7], off, off offset:640
	scratch_load_b128 v[8:11], off, off offset:656
	;; [unrolled: 1-line block ×10, first 2 shown]
	v_mov_b32_e32 v2, 0
	s_mov_b32 s2, exec_lo
	ds_load_b128 v[152:155], v2 offset:1488
	s_clause 0x2
	scratch_load_b128 v[156:159], off, off offset:800
	scratch_load_b128 v[160:163], off, off offset:624
	;; [unrolled: 1-line block ×3, first 2 shown]
	s_wait_loadcnt_dscnt 0xc00
	v_mul_f64_e32 v[172:173], v[154:155], v[6:7]
	v_mul_f64_e32 v[176:177], v[152:153], v[6:7]
	ds_load_b128 v[164:167], v2 offset:1504
	v_fma_f64 v[180:181], v[152:153], v[4:5], -v[172:173]
	v_fmac_f64_e32 v[176:177], v[154:155], v[4:5]
	ds_load_b128 v[4:7], v2 offset:1520
	s_wait_loadcnt_dscnt 0xb01
	v_mul_f64_e32 v[178:179], v[164:165], v[10:11]
	v_mul_f64_e32 v[10:11], v[166:167], v[10:11]
	scratch_load_b128 v[152:155], off, off offset:832
	ds_load_b128 v[172:175], v2 offset:1536
	s_wait_loadcnt_dscnt 0xb01
	v_mul_f64_e32 v[182:183], v[4:5], v[14:15]
	v_mul_f64_e32 v[14:15], v[6:7], v[14:15]
	v_fmac_f64_e32 v[178:179], v[166:167], v[8:9]
	v_fma_f64 v[8:9], v[164:165], v[8:9], -v[10:11]
	v_add_f64_e32 v[10:11], 0, v[180:181]
	v_add_f64_e32 v[164:165], 0, v[176:177]
	s_wait_loadcnt_dscnt 0xa00
	v_mul_f64_e32 v[166:167], v[172:173], v[126:127]
	v_mul_f64_e32 v[126:127], v[174:175], v[126:127]
	v_fmac_f64_e32 v[182:183], v[6:7], v[12:13]
	v_fma_f64 v[12:13], v[4:5], v[12:13], -v[14:15]
	v_add_f64_e32 v[14:15], v[10:11], v[8:9]
	v_add_f64_e32 v[164:165], v[164:165], v[178:179]
	ds_load_b128 v[4:7], v2 offset:1552
	ds_load_b128 v[8:11], v2 offset:1568
	v_fmac_f64_e32 v[166:167], v[174:175], v[124:125]
	v_fma_f64 v[124:125], v[172:173], v[124:125], -v[126:127]
	s_wait_loadcnt_dscnt 0x901
	v_mul_f64_e32 v[176:177], v[4:5], v[130:131]
	v_mul_f64_e32 v[130:131], v[6:7], v[130:131]
	s_wait_loadcnt_dscnt 0x800
	v_mul_f64_e32 v[126:127], v[8:9], v[134:135]
	v_mul_f64_e32 v[134:135], v[10:11], v[134:135]
	v_add_f64_e32 v[12:13], v[14:15], v[12:13]
	v_add_f64_e32 v[14:15], v[164:165], v[182:183]
	v_fmac_f64_e32 v[176:177], v[6:7], v[128:129]
	v_fma_f64 v[128:129], v[4:5], v[128:129], -v[130:131]
	v_fmac_f64_e32 v[126:127], v[10:11], v[132:133]
	v_fma_f64 v[8:9], v[8:9], v[132:133], -v[134:135]
	v_add_f64_e32 v[124:125], v[12:13], v[124:125]
	v_add_f64_e32 v[130:131], v[14:15], v[166:167]
	ds_load_b128 v[4:7], v2 offset:1584
	ds_load_b128 v[12:15], v2 offset:1600
	s_wait_loadcnt_dscnt 0x701
	v_mul_f64_e32 v[164:165], v[4:5], v[138:139]
	v_mul_f64_e32 v[138:139], v[6:7], v[138:139]
	v_add_f64_e32 v[10:11], v[124:125], v[128:129]
	v_add_f64_e32 v[124:125], v[130:131], v[176:177]
	s_wait_loadcnt_dscnt 0x600
	v_mul_f64_e32 v[128:129], v[12:13], v[142:143]
	v_mul_f64_e32 v[130:131], v[14:15], v[142:143]
	v_fmac_f64_e32 v[164:165], v[6:7], v[136:137]
	v_fma_f64 v[132:133], v[4:5], v[136:137], -v[138:139]
	v_add_f64_e32 v[134:135], v[10:11], v[8:9]
	v_add_f64_e32 v[124:125], v[124:125], v[126:127]
	ds_load_b128 v[4:7], v2 offset:1616
	ds_load_b128 v[8:11], v2 offset:1632
	v_fmac_f64_e32 v[128:129], v[14:15], v[140:141]
	v_fma_f64 v[12:13], v[12:13], v[140:141], -v[130:131]
	s_wait_loadcnt_dscnt 0x501
	v_mul_f64_e32 v[126:127], v[4:5], v[146:147]
	v_mul_f64_e32 v[136:137], v[6:7], v[146:147]
	s_wait_loadcnt_dscnt 0x400
	v_mul_f64_e32 v[130:131], v[8:9], v[150:151]
	v_add_f64_e32 v[14:15], v[134:135], v[132:133]
	v_add_f64_e32 v[124:125], v[124:125], v[164:165]
	v_mul_f64_e32 v[132:133], v[10:11], v[150:151]
	v_fmac_f64_e32 v[126:127], v[6:7], v[144:145]
	v_fma_f64 v[134:135], v[4:5], v[144:145], -v[136:137]
	v_fmac_f64_e32 v[130:131], v[10:11], v[148:149]
	v_add_f64_e32 v[136:137], v[14:15], v[12:13]
	v_add_f64_e32 v[124:125], v[124:125], v[128:129]
	ds_load_b128 v[4:7], v2 offset:1648
	ds_load_b128 v[12:15], v2 offset:1664
	v_fma_f64 v[8:9], v[8:9], v[148:149], -v[132:133]
	s_wait_loadcnt_dscnt 0x301
	v_mul_f64_e32 v[128:129], v[4:5], v[158:159]
	v_mul_f64_e32 v[138:139], v[6:7], v[158:159]
	s_wait_loadcnt_dscnt 0x100
	v_mul_f64_e32 v[132:133], v[14:15], v[170:171]
	v_add_f64_e32 v[10:11], v[136:137], v[134:135]
	v_add_f64_e32 v[124:125], v[124:125], v[126:127]
	v_mul_f64_e32 v[126:127], v[12:13], v[170:171]
	v_fmac_f64_e32 v[128:129], v[6:7], v[156:157]
	v_fma_f64 v[134:135], v[4:5], v[156:157], -v[138:139]
	ds_load_b128 v[4:7], v2 offset:1680
	v_fma_f64 v[12:13], v[12:13], v[168:169], -v[132:133]
	v_add_f64_e32 v[8:9], v[10:11], v[8:9]
	v_add_f64_e32 v[10:11], v[124:125], v[130:131]
	v_fmac_f64_e32 v[126:127], v[14:15], v[168:169]
	s_wait_loadcnt_dscnt 0x0
	v_mul_f64_e32 v[124:125], v[4:5], v[154:155]
	v_mul_f64_e32 v[130:131], v[6:7], v[154:155]
	v_add_f64_e32 v[8:9], v[8:9], v[134:135]
	v_add_f64_e32 v[10:11], v[10:11], v[128:129]
	s_delay_alu instid0(VALU_DEP_4) | instskip(NEXT) | instid1(VALU_DEP_4)
	v_fmac_f64_e32 v[124:125], v[6:7], v[152:153]
	v_fma_f64 v[4:5], v[4:5], v[152:153], -v[130:131]
	s_delay_alu instid0(VALU_DEP_4) | instskip(NEXT) | instid1(VALU_DEP_4)
	v_add_f64_e32 v[6:7], v[8:9], v[12:13]
	v_add_f64_e32 v[8:9], v[10:11], v[126:127]
	s_delay_alu instid0(VALU_DEP_2) | instskip(NEXT) | instid1(VALU_DEP_2)
	v_add_f64_e32 v[4:5], v[6:7], v[4:5]
	v_add_f64_e32 v[6:7], v[8:9], v[124:125]
	s_delay_alu instid0(VALU_DEP_2) | instskip(NEXT) | instid1(VALU_DEP_2)
	v_add_f64_e64 v[4:5], v[160:161], -v[4:5]
	v_add_f64_e64 v[6:7], v[162:163], -v[6:7]
	scratch_store_b128 off, v[4:7], off offset:624
	s_wait_xcnt 0x0
	v_cmpx_lt_u32_e32 38, v1
	s_cbranch_execz .LBB52_255
; %bb.254:
	scratch_load_b128 v[6:9], off, s25
	v_dual_mov_b32 v3, v2 :: v_dual_mov_b32 v4, v2
	v_mov_b32_e32 v5, v2
	scratch_store_b128 off, v[2:5], off offset:608
	s_wait_loadcnt 0x0
	ds_store_b128 v122, v[6:9]
.LBB52_255:
	s_wait_xcnt 0x0
	s_or_b32 exec_lo, exec_lo, s2
	s_wait_storecnt_dscnt 0x0
	s_barrier_signal -1
	s_barrier_wait -1
	s_clause 0x9
	scratch_load_b128 v[4:7], off, off offset:624
	scratch_load_b128 v[8:11], off, off offset:640
	;; [unrolled: 1-line block ×10, first 2 shown]
	ds_load_b128 v[152:155], v2 offset:1472
	ds_load_b128 v[160:163], v2 offset:1488
	s_clause 0x2
	scratch_load_b128 v[156:159], off, off offset:784
	scratch_load_b128 v[164:167], off, off offset:608
	;; [unrolled: 1-line block ×3, first 2 shown]
	s_mov_b32 s2, exec_lo
	s_wait_loadcnt_dscnt 0xc01
	v_mul_f64_e32 v[172:173], v[154:155], v[6:7]
	v_mul_f64_e32 v[176:177], v[152:153], v[6:7]
	s_wait_loadcnt_dscnt 0xb00
	v_mul_f64_e32 v[178:179], v[160:161], v[10:11]
	v_mul_f64_e32 v[10:11], v[162:163], v[10:11]
	s_delay_alu instid0(VALU_DEP_4) | instskip(NEXT) | instid1(VALU_DEP_4)
	v_fma_f64 v[180:181], v[152:153], v[4:5], -v[172:173]
	v_fmac_f64_e32 v[176:177], v[154:155], v[4:5]
	ds_load_b128 v[4:7], v2 offset:1504
	ds_load_b128 v[152:155], v2 offset:1520
	scratch_load_b128 v[172:175], off, off offset:816
	v_fmac_f64_e32 v[178:179], v[162:163], v[8:9]
	v_fma_f64 v[160:161], v[160:161], v[8:9], -v[10:11]
	scratch_load_b128 v[8:11], off, off offset:832
	s_wait_loadcnt_dscnt 0xc01
	v_mul_f64_e32 v[182:183], v[4:5], v[14:15]
	v_mul_f64_e32 v[14:15], v[6:7], v[14:15]
	v_add_f64_e32 v[162:163], 0, v[180:181]
	v_add_f64_e32 v[176:177], 0, v[176:177]
	s_wait_loadcnt_dscnt 0xb00
	v_mul_f64_e32 v[180:181], v[152:153], v[126:127]
	v_mul_f64_e32 v[126:127], v[154:155], v[126:127]
	v_fmac_f64_e32 v[182:183], v[6:7], v[12:13]
	v_fma_f64 v[184:185], v[4:5], v[12:13], -v[14:15]
	ds_load_b128 v[4:7], v2 offset:1536
	ds_load_b128 v[12:15], v2 offset:1552
	v_add_f64_e32 v[160:161], v[162:163], v[160:161]
	v_add_f64_e32 v[162:163], v[176:177], v[178:179]
	v_fmac_f64_e32 v[180:181], v[154:155], v[124:125]
	v_fma_f64 v[124:125], v[152:153], v[124:125], -v[126:127]
	s_wait_loadcnt_dscnt 0xa01
	v_mul_f64_e32 v[176:177], v[4:5], v[130:131]
	v_mul_f64_e32 v[130:131], v[6:7], v[130:131]
	s_wait_loadcnt_dscnt 0x900
	v_mul_f64_e32 v[154:155], v[12:13], v[134:135]
	v_mul_f64_e32 v[134:135], v[14:15], v[134:135]
	v_add_f64_e32 v[126:127], v[160:161], v[184:185]
	v_add_f64_e32 v[152:153], v[162:163], v[182:183]
	v_fmac_f64_e32 v[176:177], v[6:7], v[128:129]
	v_fma_f64 v[128:129], v[4:5], v[128:129], -v[130:131]
	v_fmac_f64_e32 v[154:155], v[14:15], v[132:133]
	v_fma_f64 v[12:13], v[12:13], v[132:133], -v[134:135]
	v_add_f64_e32 v[130:131], v[126:127], v[124:125]
	v_add_f64_e32 v[152:153], v[152:153], v[180:181]
	ds_load_b128 v[4:7], v2 offset:1568
	ds_load_b128 v[124:127], v2 offset:1584
	s_wait_loadcnt_dscnt 0x801
	v_mul_f64_e32 v[160:161], v[4:5], v[138:139]
	v_mul_f64_e32 v[138:139], v[6:7], v[138:139]
	s_wait_loadcnt_dscnt 0x700
	v_mul_f64_e32 v[132:133], v[126:127], v[142:143]
	v_add_f64_e32 v[14:15], v[130:131], v[128:129]
	v_add_f64_e32 v[128:129], v[152:153], v[176:177]
	v_mul_f64_e32 v[130:131], v[124:125], v[142:143]
	v_fmac_f64_e32 v[160:161], v[6:7], v[136:137]
	v_fma_f64 v[134:135], v[4:5], v[136:137], -v[138:139]
	v_fma_f64 v[124:125], v[124:125], v[140:141], -v[132:133]
	v_add_f64_e32 v[136:137], v[14:15], v[12:13]
	v_add_f64_e32 v[128:129], v[128:129], v[154:155]
	ds_load_b128 v[4:7], v2 offset:1600
	ds_load_b128 v[12:15], v2 offset:1616
	v_fmac_f64_e32 v[130:131], v[126:127], v[140:141]
	s_wait_loadcnt_dscnt 0x601
	v_mul_f64_e32 v[138:139], v[4:5], v[146:147]
	v_mul_f64_e32 v[142:143], v[6:7], v[146:147]
	s_wait_loadcnt_dscnt 0x500
	v_mul_f64_e32 v[132:133], v[12:13], v[150:151]
	v_add_f64_e32 v[126:127], v[136:137], v[134:135]
	v_add_f64_e32 v[128:129], v[128:129], v[160:161]
	v_mul_f64_e32 v[134:135], v[14:15], v[150:151]
	v_fmac_f64_e32 v[138:139], v[6:7], v[144:145]
	v_fma_f64 v[136:137], v[4:5], v[144:145], -v[142:143]
	v_fmac_f64_e32 v[132:133], v[14:15], v[148:149]
	v_add_f64_e32 v[140:141], v[126:127], v[124:125]
	v_add_f64_e32 v[128:129], v[128:129], v[130:131]
	ds_load_b128 v[4:7], v2 offset:1632
	ds_load_b128 v[124:127], v2 offset:1648
	v_fma_f64 v[12:13], v[12:13], v[148:149], -v[134:135]
	s_wait_loadcnt_dscnt 0x401
	v_mul_f64_e32 v[130:131], v[4:5], v[158:159]
	v_mul_f64_e32 v[142:143], v[6:7], v[158:159]
	s_wait_loadcnt_dscnt 0x200
	v_mul_f64_e32 v[134:135], v[124:125], v[170:171]
	v_add_f64_e32 v[14:15], v[140:141], v[136:137]
	v_add_f64_e32 v[128:129], v[128:129], v[138:139]
	v_mul_f64_e32 v[136:137], v[126:127], v[170:171]
	v_fmac_f64_e32 v[130:131], v[6:7], v[156:157]
	v_fma_f64 v[138:139], v[4:5], v[156:157], -v[142:143]
	v_fmac_f64_e32 v[134:135], v[126:127], v[168:169]
	v_add_f64_e32 v[140:141], v[14:15], v[12:13]
	v_add_f64_e32 v[128:129], v[128:129], v[132:133]
	ds_load_b128 v[4:7], v2 offset:1664
	ds_load_b128 v[12:15], v2 offset:1680
	v_fma_f64 v[124:125], v[124:125], v[168:169], -v[136:137]
	s_wait_loadcnt_dscnt 0x101
	v_mul_f64_e32 v[2:3], v[4:5], v[174:175]
	v_mul_f64_e32 v[132:133], v[6:7], v[174:175]
	v_add_f64_e32 v[126:127], v[140:141], v[138:139]
	v_add_f64_e32 v[128:129], v[128:129], v[130:131]
	s_wait_loadcnt_dscnt 0x0
	v_mul_f64_e32 v[130:131], v[12:13], v[10:11]
	v_mul_f64_e32 v[10:11], v[14:15], v[10:11]
	v_fmac_f64_e32 v[2:3], v[6:7], v[172:173]
	v_fma_f64 v[4:5], v[4:5], v[172:173], -v[132:133]
	v_add_f64_e32 v[6:7], v[126:127], v[124:125]
	v_add_f64_e32 v[124:125], v[128:129], v[134:135]
	v_fmac_f64_e32 v[130:131], v[14:15], v[8:9]
	v_fma_f64 v[8:9], v[12:13], v[8:9], -v[10:11]
	s_delay_alu instid0(VALU_DEP_4) | instskip(NEXT) | instid1(VALU_DEP_4)
	v_add_f64_e32 v[4:5], v[6:7], v[4:5]
	v_add_f64_e32 v[2:3], v[124:125], v[2:3]
	s_delay_alu instid0(VALU_DEP_2) | instskip(NEXT) | instid1(VALU_DEP_2)
	v_add_f64_e32 v[4:5], v[4:5], v[8:9]
	v_add_f64_e32 v[6:7], v[2:3], v[130:131]
	s_delay_alu instid0(VALU_DEP_2) | instskip(NEXT) | instid1(VALU_DEP_2)
	v_add_f64_e64 v[2:3], v[164:165], -v[4:5]
	v_add_f64_e64 v[4:5], v[166:167], -v[6:7]
	scratch_store_b128 off, v[2:5], off offset:608
	s_wait_xcnt 0x0
	v_cmpx_lt_u32_e32 37, v1
	s_cbranch_execz .LBB52_257
; %bb.256:
	scratch_load_b128 v[2:5], off, s23
	v_mov_b32_e32 v6, 0
	s_delay_alu instid0(VALU_DEP_1)
	v_dual_mov_b32 v7, v6 :: v_dual_mov_b32 v8, v6
	v_mov_b32_e32 v9, v6
	scratch_store_b128 off, v[6:9], off offset:592
	s_wait_loadcnt 0x0
	ds_store_b128 v122, v[2:5]
.LBB52_257:
	s_wait_xcnt 0x0
	s_or_b32 exec_lo, exec_lo, s2
	s_wait_storecnt_dscnt 0x0
	s_barrier_signal -1
	s_barrier_wait -1
	s_clause 0x9
	scratch_load_b128 v[4:7], off, off offset:608
	scratch_load_b128 v[8:11], off, off offset:624
	;; [unrolled: 1-line block ×10, first 2 shown]
	v_mov_b32_e32 v2, 0
	s_mov_b32 s2, exec_lo
	ds_load_b128 v[152:155], v2 offset:1456
	s_clause 0x2
	scratch_load_b128 v[156:159], off, off offset:768
	scratch_load_b128 v[160:163], off, off offset:592
	;; [unrolled: 1-line block ×3, first 2 shown]
	s_wait_loadcnt_dscnt 0xc00
	v_mul_f64_e32 v[172:173], v[154:155], v[6:7]
	v_mul_f64_e32 v[176:177], v[152:153], v[6:7]
	ds_load_b128 v[164:167], v2 offset:1472
	v_fma_f64 v[180:181], v[152:153], v[4:5], -v[172:173]
	v_fmac_f64_e32 v[176:177], v[154:155], v[4:5]
	ds_load_b128 v[4:7], v2 offset:1488
	s_wait_loadcnt_dscnt 0xb01
	v_mul_f64_e32 v[178:179], v[164:165], v[10:11]
	v_mul_f64_e32 v[10:11], v[166:167], v[10:11]
	scratch_load_b128 v[152:155], off, off offset:800
	ds_load_b128 v[172:175], v2 offset:1504
	s_wait_loadcnt_dscnt 0xb01
	v_mul_f64_e32 v[182:183], v[4:5], v[14:15]
	v_mul_f64_e32 v[14:15], v[6:7], v[14:15]
	v_add_f64_e32 v[176:177], 0, v[176:177]
	v_fmac_f64_e32 v[178:179], v[166:167], v[8:9]
	v_fma_f64 v[164:165], v[164:165], v[8:9], -v[10:11]
	v_add_f64_e32 v[166:167], 0, v[180:181]
	scratch_load_b128 v[8:11], off, off offset:816
	v_fmac_f64_e32 v[182:183], v[6:7], v[12:13]
	v_fma_f64 v[184:185], v[4:5], v[12:13], -v[14:15]
	ds_load_b128 v[4:7], v2 offset:1520
	s_wait_loadcnt_dscnt 0xb01
	v_mul_f64_e32 v[180:181], v[172:173], v[126:127]
	v_mul_f64_e32 v[126:127], v[174:175], v[126:127]
	scratch_load_b128 v[12:15], off, off offset:832
	v_add_f64_e32 v[176:177], v[176:177], v[178:179]
	v_add_f64_e32 v[186:187], v[166:167], v[164:165]
	ds_load_b128 v[164:167], v2 offset:1536
	s_wait_loadcnt_dscnt 0xb01
	v_mul_f64_e32 v[178:179], v[4:5], v[130:131]
	v_mul_f64_e32 v[130:131], v[6:7], v[130:131]
	v_fmac_f64_e32 v[180:181], v[174:175], v[124:125]
	v_fma_f64 v[124:125], v[172:173], v[124:125], -v[126:127]
	s_wait_loadcnt_dscnt 0xa00
	v_mul_f64_e32 v[174:175], v[164:165], v[134:135]
	v_mul_f64_e32 v[134:135], v[166:167], v[134:135]
	v_add_f64_e32 v[172:173], v[176:177], v[182:183]
	v_add_f64_e32 v[126:127], v[186:187], v[184:185]
	v_fmac_f64_e32 v[178:179], v[6:7], v[128:129]
	v_fma_f64 v[128:129], v[4:5], v[128:129], -v[130:131]
	v_fmac_f64_e32 v[174:175], v[166:167], v[132:133]
	v_fma_f64 v[132:133], v[164:165], v[132:133], -v[134:135]
	v_add_f64_e32 v[172:173], v[172:173], v[180:181]
	v_add_f64_e32 v[130:131], v[126:127], v[124:125]
	ds_load_b128 v[4:7], v2 offset:1552
	ds_load_b128 v[124:127], v2 offset:1568
	s_wait_loadcnt_dscnt 0x901
	v_mul_f64_e32 v[176:177], v[4:5], v[138:139]
	v_mul_f64_e32 v[138:139], v[6:7], v[138:139]
	s_wait_loadcnt_dscnt 0x800
	v_mul_f64_e32 v[134:135], v[124:125], v[142:143]
	v_mul_f64_e32 v[142:143], v[126:127], v[142:143]
	v_add_f64_e32 v[128:129], v[130:131], v[128:129]
	v_add_f64_e32 v[130:131], v[172:173], v[178:179]
	v_fmac_f64_e32 v[176:177], v[6:7], v[136:137]
	v_fma_f64 v[136:137], v[4:5], v[136:137], -v[138:139]
	v_fmac_f64_e32 v[134:135], v[126:127], v[140:141]
	v_fma_f64 v[124:125], v[124:125], v[140:141], -v[142:143]
	v_add_f64_e32 v[132:133], v[128:129], v[132:133]
	v_add_f64_e32 v[138:139], v[130:131], v[174:175]
	ds_load_b128 v[4:7], v2 offset:1584
	ds_load_b128 v[128:131], v2 offset:1600
	s_wait_loadcnt_dscnt 0x701
	v_mul_f64_e32 v[164:165], v[4:5], v[146:147]
	v_mul_f64_e32 v[146:147], v[6:7], v[146:147]
	v_add_f64_e32 v[126:127], v[132:133], v[136:137]
	v_add_f64_e32 v[132:133], v[138:139], v[176:177]
	s_wait_loadcnt_dscnt 0x600
	v_mul_f64_e32 v[136:137], v[128:129], v[150:151]
	v_mul_f64_e32 v[138:139], v[130:131], v[150:151]
	v_fmac_f64_e32 v[164:165], v[6:7], v[144:145]
	v_fma_f64 v[140:141], v[4:5], v[144:145], -v[146:147]
	v_add_f64_e32 v[142:143], v[126:127], v[124:125]
	v_add_f64_e32 v[132:133], v[132:133], v[134:135]
	ds_load_b128 v[4:7], v2 offset:1616
	ds_load_b128 v[124:127], v2 offset:1632
	v_fmac_f64_e32 v[136:137], v[130:131], v[148:149]
	v_fma_f64 v[128:129], v[128:129], v[148:149], -v[138:139]
	s_wait_loadcnt_dscnt 0x501
	v_mul_f64_e32 v[134:135], v[4:5], v[158:159]
	v_mul_f64_e32 v[144:145], v[6:7], v[158:159]
	s_wait_loadcnt_dscnt 0x300
	v_mul_f64_e32 v[138:139], v[124:125], v[170:171]
	v_add_f64_e32 v[130:131], v[142:143], v[140:141]
	v_add_f64_e32 v[132:133], v[132:133], v[164:165]
	v_mul_f64_e32 v[140:141], v[126:127], v[170:171]
	v_fmac_f64_e32 v[134:135], v[6:7], v[156:157]
	v_fma_f64 v[142:143], v[4:5], v[156:157], -v[144:145]
	v_fmac_f64_e32 v[138:139], v[126:127], v[168:169]
	v_add_f64_e32 v[144:145], v[130:131], v[128:129]
	v_add_f64_e32 v[132:133], v[132:133], v[136:137]
	ds_load_b128 v[4:7], v2 offset:1648
	ds_load_b128 v[128:131], v2 offset:1664
	v_fma_f64 v[124:125], v[124:125], v[168:169], -v[140:141]
	s_wait_loadcnt_dscnt 0x201
	v_mul_f64_e32 v[136:137], v[4:5], v[154:155]
	v_mul_f64_e32 v[146:147], v[6:7], v[154:155]
	v_add_f64_e32 v[126:127], v[144:145], v[142:143]
	v_add_f64_e32 v[132:133], v[132:133], v[134:135]
	s_wait_loadcnt_dscnt 0x100
	v_mul_f64_e32 v[134:135], v[128:129], v[10:11]
	v_mul_f64_e32 v[10:11], v[130:131], v[10:11]
	v_fmac_f64_e32 v[136:137], v[6:7], v[152:153]
	v_fma_f64 v[140:141], v[4:5], v[152:153], -v[146:147]
	ds_load_b128 v[4:7], v2 offset:1680
	v_add_f64_e32 v[124:125], v[126:127], v[124:125]
	v_add_f64_e32 v[126:127], v[132:133], v[138:139]
	v_fmac_f64_e32 v[134:135], v[130:131], v[8:9]
	v_fma_f64 v[8:9], v[128:129], v[8:9], -v[10:11]
	s_wait_loadcnt_dscnt 0x0
	v_mul_f64_e32 v[132:133], v[4:5], v[14:15]
	v_mul_f64_e32 v[14:15], v[6:7], v[14:15]
	v_add_f64_e32 v[10:11], v[124:125], v[140:141]
	v_add_f64_e32 v[124:125], v[126:127], v[136:137]
	s_delay_alu instid0(VALU_DEP_4) | instskip(NEXT) | instid1(VALU_DEP_4)
	v_fmac_f64_e32 v[132:133], v[6:7], v[12:13]
	v_fma_f64 v[4:5], v[4:5], v[12:13], -v[14:15]
	s_delay_alu instid0(VALU_DEP_4) | instskip(NEXT) | instid1(VALU_DEP_4)
	v_add_f64_e32 v[6:7], v[10:11], v[8:9]
	v_add_f64_e32 v[8:9], v[124:125], v[134:135]
	s_delay_alu instid0(VALU_DEP_2) | instskip(NEXT) | instid1(VALU_DEP_2)
	v_add_f64_e32 v[4:5], v[6:7], v[4:5]
	v_add_f64_e32 v[6:7], v[8:9], v[132:133]
	s_delay_alu instid0(VALU_DEP_2) | instskip(NEXT) | instid1(VALU_DEP_2)
	v_add_f64_e64 v[4:5], v[160:161], -v[4:5]
	v_add_f64_e64 v[6:7], v[162:163], -v[6:7]
	scratch_store_b128 off, v[4:7], off offset:592
	s_wait_xcnt 0x0
	v_cmpx_lt_u32_e32 36, v1
	s_cbranch_execz .LBB52_259
; %bb.258:
	scratch_load_b128 v[6:9], off, s28
	v_dual_mov_b32 v3, v2 :: v_dual_mov_b32 v4, v2
	v_mov_b32_e32 v5, v2
	scratch_store_b128 off, v[2:5], off offset:576
	s_wait_loadcnt 0x0
	ds_store_b128 v122, v[6:9]
.LBB52_259:
	s_wait_xcnt 0x0
	s_or_b32 exec_lo, exec_lo, s2
	s_wait_storecnt_dscnt 0x0
	s_barrier_signal -1
	s_barrier_wait -1
	s_clause 0x9
	scratch_load_b128 v[4:7], off, off offset:592
	scratch_load_b128 v[8:11], off, off offset:608
	;; [unrolled: 1-line block ×10, first 2 shown]
	ds_load_b128 v[152:155], v2 offset:1440
	ds_load_b128 v[160:163], v2 offset:1456
	s_clause 0x2
	scratch_load_b128 v[156:159], off, off offset:752
	scratch_load_b128 v[164:167], off, off offset:576
	;; [unrolled: 1-line block ×3, first 2 shown]
	s_mov_b32 s2, exec_lo
	s_wait_loadcnt_dscnt 0xc01
	v_mul_f64_e32 v[172:173], v[154:155], v[6:7]
	v_mul_f64_e32 v[176:177], v[152:153], v[6:7]
	s_wait_loadcnt_dscnt 0xb00
	v_mul_f64_e32 v[178:179], v[160:161], v[10:11]
	v_mul_f64_e32 v[10:11], v[162:163], v[10:11]
	s_delay_alu instid0(VALU_DEP_4) | instskip(NEXT) | instid1(VALU_DEP_4)
	v_fma_f64 v[180:181], v[152:153], v[4:5], -v[172:173]
	v_fmac_f64_e32 v[176:177], v[154:155], v[4:5]
	ds_load_b128 v[4:7], v2 offset:1472
	ds_load_b128 v[152:155], v2 offset:1488
	scratch_load_b128 v[172:175], off, off offset:784
	v_fmac_f64_e32 v[178:179], v[162:163], v[8:9]
	v_fma_f64 v[160:161], v[160:161], v[8:9], -v[10:11]
	scratch_load_b128 v[8:11], off, off offset:800
	s_wait_loadcnt_dscnt 0xc01
	v_mul_f64_e32 v[182:183], v[4:5], v[14:15]
	v_mul_f64_e32 v[14:15], v[6:7], v[14:15]
	v_add_f64_e32 v[162:163], 0, v[180:181]
	v_add_f64_e32 v[176:177], 0, v[176:177]
	s_wait_loadcnt_dscnt 0xb00
	v_mul_f64_e32 v[180:181], v[152:153], v[126:127]
	v_mul_f64_e32 v[126:127], v[154:155], v[126:127]
	v_fmac_f64_e32 v[182:183], v[6:7], v[12:13]
	v_fma_f64 v[184:185], v[4:5], v[12:13], -v[14:15]
	ds_load_b128 v[4:7], v2 offset:1504
	ds_load_b128 v[12:15], v2 offset:1520
	v_add_f64_e32 v[186:187], v[162:163], v[160:161]
	v_add_f64_e32 v[176:177], v[176:177], v[178:179]
	scratch_load_b128 v[160:163], off, off offset:816
	v_fmac_f64_e32 v[180:181], v[154:155], v[124:125]
	v_fma_f64 v[152:153], v[152:153], v[124:125], -v[126:127]
	scratch_load_b128 v[124:127], off, off offset:832
	s_wait_loadcnt_dscnt 0xc01
	v_mul_f64_e32 v[178:179], v[4:5], v[130:131]
	v_mul_f64_e32 v[130:131], v[6:7], v[130:131]
	v_add_f64_e32 v[154:155], v[186:187], v[184:185]
	v_add_f64_e32 v[176:177], v[176:177], v[182:183]
	s_wait_loadcnt_dscnt 0xb00
	v_mul_f64_e32 v[182:183], v[12:13], v[134:135]
	v_mul_f64_e32 v[134:135], v[14:15], v[134:135]
	v_fmac_f64_e32 v[178:179], v[6:7], v[128:129]
	v_fma_f64 v[184:185], v[4:5], v[128:129], -v[130:131]
	ds_load_b128 v[4:7], v2 offset:1536
	ds_load_b128 v[128:131], v2 offset:1552
	v_add_f64_e32 v[152:153], v[154:155], v[152:153]
	v_add_f64_e32 v[154:155], v[176:177], v[180:181]
	s_wait_loadcnt_dscnt 0xa01
	v_mul_f64_e32 v[176:177], v[4:5], v[138:139]
	v_mul_f64_e32 v[138:139], v[6:7], v[138:139]
	v_fmac_f64_e32 v[182:183], v[14:15], v[132:133]
	v_fma_f64 v[12:13], v[12:13], v[132:133], -v[134:135]
	s_wait_loadcnt_dscnt 0x900
	v_mul_f64_e32 v[134:135], v[128:129], v[142:143]
	v_mul_f64_e32 v[142:143], v[130:131], v[142:143]
	v_add_f64_e32 v[14:15], v[152:153], v[184:185]
	v_add_f64_e32 v[132:133], v[154:155], v[178:179]
	v_fmac_f64_e32 v[176:177], v[6:7], v[136:137]
	v_fma_f64 v[136:137], v[4:5], v[136:137], -v[138:139]
	v_fmac_f64_e32 v[134:135], v[130:131], v[140:141]
	v_fma_f64 v[128:129], v[128:129], v[140:141], -v[142:143]
	v_add_f64_e32 v[138:139], v[14:15], v[12:13]
	v_add_f64_e32 v[132:133], v[132:133], v[182:183]
	ds_load_b128 v[4:7], v2 offset:1568
	ds_load_b128 v[12:15], v2 offset:1584
	s_wait_loadcnt_dscnt 0x801
	v_mul_f64_e32 v[152:153], v[4:5], v[146:147]
	v_mul_f64_e32 v[146:147], v[6:7], v[146:147]
	v_add_f64_e32 v[130:131], v[138:139], v[136:137]
	v_add_f64_e32 v[132:133], v[132:133], v[176:177]
	s_wait_loadcnt_dscnt 0x700
	v_mul_f64_e32 v[136:137], v[12:13], v[150:151]
	v_mul_f64_e32 v[138:139], v[14:15], v[150:151]
	v_fmac_f64_e32 v[152:153], v[6:7], v[144:145]
	v_fma_f64 v[140:141], v[4:5], v[144:145], -v[146:147]
	v_add_f64_e32 v[142:143], v[130:131], v[128:129]
	v_add_f64_e32 v[132:133], v[132:133], v[134:135]
	ds_load_b128 v[4:7], v2 offset:1600
	ds_load_b128 v[128:131], v2 offset:1616
	v_fmac_f64_e32 v[136:137], v[14:15], v[148:149]
	v_fma_f64 v[12:13], v[12:13], v[148:149], -v[138:139]
	s_wait_loadcnt_dscnt 0x601
	v_mul_f64_e32 v[134:135], v[4:5], v[158:159]
	v_mul_f64_e32 v[144:145], v[6:7], v[158:159]
	s_wait_loadcnt_dscnt 0x400
	v_mul_f64_e32 v[138:139], v[128:129], v[170:171]
	v_add_f64_e32 v[14:15], v[142:143], v[140:141]
	v_add_f64_e32 v[132:133], v[132:133], v[152:153]
	v_mul_f64_e32 v[140:141], v[130:131], v[170:171]
	v_fmac_f64_e32 v[134:135], v[6:7], v[156:157]
	v_fma_f64 v[142:143], v[4:5], v[156:157], -v[144:145]
	v_fmac_f64_e32 v[138:139], v[130:131], v[168:169]
	v_add_f64_e32 v[144:145], v[14:15], v[12:13]
	v_add_f64_e32 v[132:133], v[132:133], v[136:137]
	ds_load_b128 v[4:7], v2 offset:1632
	ds_load_b128 v[12:15], v2 offset:1648
	v_fma_f64 v[128:129], v[128:129], v[168:169], -v[140:141]
	s_wait_loadcnt_dscnt 0x301
	v_mul_f64_e32 v[136:137], v[4:5], v[174:175]
	v_mul_f64_e32 v[146:147], v[6:7], v[174:175]
	v_add_f64_e32 v[130:131], v[144:145], v[142:143]
	v_add_f64_e32 v[132:133], v[132:133], v[134:135]
	s_wait_loadcnt_dscnt 0x200
	v_mul_f64_e32 v[134:135], v[12:13], v[10:11]
	v_mul_f64_e32 v[10:11], v[14:15], v[10:11]
	v_fmac_f64_e32 v[136:137], v[6:7], v[172:173]
	v_fma_f64 v[140:141], v[4:5], v[172:173], -v[146:147]
	v_add_f64_e32 v[142:143], v[130:131], v[128:129]
	v_add_f64_e32 v[132:133], v[132:133], v[138:139]
	ds_load_b128 v[4:7], v2 offset:1664
	ds_load_b128 v[128:131], v2 offset:1680
	v_fmac_f64_e32 v[134:135], v[14:15], v[8:9]
	v_fma_f64 v[8:9], v[12:13], v[8:9], -v[10:11]
	s_wait_loadcnt_dscnt 0x101
	v_mul_f64_e32 v[2:3], v[4:5], v[162:163]
	v_mul_f64_e32 v[138:139], v[6:7], v[162:163]
	s_wait_loadcnt_dscnt 0x0
	v_mul_f64_e32 v[14:15], v[128:129], v[126:127]
	v_mul_f64_e32 v[126:127], v[130:131], v[126:127]
	v_add_f64_e32 v[10:11], v[142:143], v[140:141]
	v_add_f64_e32 v[12:13], v[132:133], v[136:137]
	v_fmac_f64_e32 v[2:3], v[6:7], v[160:161]
	v_fma_f64 v[4:5], v[4:5], v[160:161], -v[138:139]
	v_fmac_f64_e32 v[14:15], v[130:131], v[124:125]
	v_add_f64_e32 v[6:7], v[10:11], v[8:9]
	v_add_f64_e32 v[8:9], v[12:13], v[134:135]
	v_fma_f64 v[10:11], v[128:129], v[124:125], -v[126:127]
	s_delay_alu instid0(VALU_DEP_3) | instskip(NEXT) | instid1(VALU_DEP_3)
	v_add_f64_e32 v[4:5], v[6:7], v[4:5]
	v_add_f64_e32 v[2:3], v[8:9], v[2:3]
	s_delay_alu instid0(VALU_DEP_2) | instskip(NEXT) | instid1(VALU_DEP_2)
	v_add_f64_e32 v[4:5], v[4:5], v[10:11]
	v_add_f64_e32 v[6:7], v[2:3], v[14:15]
	s_delay_alu instid0(VALU_DEP_2) | instskip(NEXT) | instid1(VALU_DEP_2)
	v_add_f64_e64 v[2:3], v[164:165], -v[4:5]
	v_add_f64_e64 v[4:5], v[166:167], -v[6:7]
	scratch_store_b128 off, v[2:5], off offset:576
	s_wait_xcnt 0x0
	v_cmpx_lt_u32_e32 35, v1
	s_cbranch_execz .LBB52_261
; %bb.260:
	scratch_load_b128 v[2:5], off, s27
	v_mov_b32_e32 v6, 0
	s_delay_alu instid0(VALU_DEP_1)
	v_dual_mov_b32 v7, v6 :: v_dual_mov_b32 v8, v6
	v_mov_b32_e32 v9, v6
	scratch_store_b128 off, v[6:9], off offset:560
	s_wait_loadcnt 0x0
	ds_store_b128 v122, v[2:5]
.LBB52_261:
	s_wait_xcnt 0x0
	s_or_b32 exec_lo, exec_lo, s2
	s_wait_storecnt_dscnt 0x0
	s_barrier_signal -1
	s_barrier_wait -1
	s_clause 0x9
	scratch_load_b128 v[4:7], off, off offset:576
	scratch_load_b128 v[8:11], off, off offset:592
	;; [unrolled: 1-line block ×10, first 2 shown]
	v_mov_b32_e32 v2, 0
	s_mov_b32 s2, exec_lo
	ds_load_b128 v[152:155], v2 offset:1424
	s_clause 0x2
	scratch_load_b128 v[156:159], off, off offset:736
	scratch_load_b128 v[160:163], off, off offset:560
	;; [unrolled: 1-line block ×3, first 2 shown]
	s_wait_loadcnt_dscnt 0xc00
	v_mul_f64_e32 v[172:173], v[154:155], v[6:7]
	v_mul_f64_e32 v[176:177], v[152:153], v[6:7]
	ds_load_b128 v[164:167], v2 offset:1440
	v_fma_f64 v[180:181], v[152:153], v[4:5], -v[172:173]
	v_fmac_f64_e32 v[176:177], v[154:155], v[4:5]
	ds_load_b128 v[4:7], v2 offset:1456
	s_wait_loadcnt_dscnt 0xb01
	v_mul_f64_e32 v[178:179], v[164:165], v[10:11]
	v_mul_f64_e32 v[10:11], v[166:167], v[10:11]
	scratch_load_b128 v[152:155], off, off offset:768
	ds_load_b128 v[172:175], v2 offset:1472
	s_wait_loadcnt_dscnt 0xb01
	v_mul_f64_e32 v[182:183], v[4:5], v[14:15]
	v_mul_f64_e32 v[14:15], v[6:7], v[14:15]
	v_add_f64_e32 v[176:177], 0, v[176:177]
	v_fmac_f64_e32 v[178:179], v[166:167], v[8:9]
	v_fma_f64 v[164:165], v[164:165], v[8:9], -v[10:11]
	v_add_f64_e32 v[166:167], 0, v[180:181]
	scratch_load_b128 v[8:11], off, off offset:784
	v_fmac_f64_e32 v[182:183], v[6:7], v[12:13]
	v_fma_f64 v[184:185], v[4:5], v[12:13], -v[14:15]
	ds_load_b128 v[4:7], v2 offset:1488
	s_wait_loadcnt_dscnt 0xb01
	v_mul_f64_e32 v[180:181], v[172:173], v[126:127]
	v_mul_f64_e32 v[126:127], v[174:175], v[126:127]
	scratch_load_b128 v[12:15], off, off offset:800
	v_add_f64_e32 v[176:177], v[176:177], v[178:179]
	v_add_f64_e32 v[186:187], v[166:167], v[164:165]
	ds_load_b128 v[164:167], v2 offset:1504
	s_wait_loadcnt_dscnt 0xb01
	v_mul_f64_e32 v[178:179], v[4:5], v[130:131]
	v_mul_f64_e32 v[130:131], v[6:7], v[130:131]
	v_fmac_f64_e32 v[180:181], v[174:175], v[124:125]
	v_fma_f64 v[172:173], v[172:173], v[124:125], -v[126:127]
	scratch_load_b128 v[124:127], off, off offset:816
	v_add_f64_e32 v[176:177], v[176:177], v[182:183]
	v_add_f64_e32 v[174:175], v[186:187], v[184:185]
	v_fmac_f64_e32 v[178:179], v[6:7], v[128:129]
	v_fma_f64 v[184:185], v[4:5], v[128:129], -v[130:131]
	ds_load_b128 v[4:7], v2 offset:1520
	s_wait_loadcnt_dscnt 0xb01
	v_mul_f64_e32 v[182:183], v[164:165], v[134:135]
	v_mul_f64_e32 v[134:135], v[166:167], v[134:135]
	scratch_load_b128 v[128:131], off, off offset:832
	v_add_f64_e32 v[176:177], v[176:177], v[180:181]
	s_wait_loadcnt_dscnt 0xb00
	v_mul_f64_e32 v[180:181], v[4:5], v[138:139]
	v_add_f64_e32 v[186:187], v[174:175], v[172:173]
	v_mul_f64_e32 v[138:139], v[6:7], v[138:139]
	ds_load_b128 v[172:175], v2 offset:1536
	v_fmac_f64_e32 v[182:183], v[166:167], v[132:133]
	v_fma_f64 v[132:133], v[164:165], v[132:133], -v[134:135]
	s_wait_loadcnt_dscnt 0xa00
	v_mul_f64_e32 v[166:167], v[172:173], v[142:143]
	v_mul_f64_e32 v[142:143], v[174:175], v[142:143]
	v_add_f64_e32 v[164:165], v[176:177], v[178:179]
	v_fmac_f64_e32 v[180:181], v[6:7], v[136:137]
	v_add_f64_e32 v[134:135], v[186:187], v[184:185]
	v_fma_f64 v[136:137], v[4:5], v[136:137], -v[138:139]
	v_fmac_f64_e32 v[166:167], v[174:175], v[140:141]
	v_fma_f64 v[140:141], v[172:173], v[140:141], -v[142:143]
	v_add_f64_e32 v[164:165], v[164:165], v[182:183]
	v_add_f64_e32 v[138:139], v[134:135], v[132:133]
	ds_load_b128 v[4:7], v2 offset:1552
	ds_load_b128 v[132:135], v2 offset:1568
	s_wait_loadcnt_dscnt 0x901
	v_mul_f64_e32 v[176:177], v[4:5], v[146:147]
	v_mul_f64_e32 v[146:147], v[6:7], v[146:147]
	s_wait_loadcnt_dscnt 0x800
	v_mul_f64_e32 v[142:143], v[132:133], v[150:151]
	v_mul_f64_e32 v[150:151], v[134:135], v[150:151]
	v_add_f64_e32 v[136:137], v[138:139], v[136:137]
	v_add_f64_e32 v[138:139], v[164:165], v[180:181]
	v_fmac_f64_e32 v[176:177], v[6:7], v[144:145]
	v_fma_f64 v[144:145], v[4:5], v[144:145], -v[146:147]
	v_fmac_f64_e32 v[142:143], v[134:135], v[148:149]
	v_fma_f64 v[132:133], v[132:133], v[148:149], -v[150:151]
	v_add_f64_e32 v[140:141], v[136:137], v[140:141]
	v_add_f64_e32 v[146:147], v[138:139], v[166:167]
	ds_load_b128 v[4:7], v2 offset:1584
	ds_load_b128 v[136:139], v2 offset:1600
	s_wait_loadcnt_dscnt 0x701
	v_mul_f64_e32 v[164:165], v[4:5], v[158:159]
	v_mul_f64_e32 v[158:159], v[6:7], v[158:159]
	v_add_f64_e32 v[134:135], v[140:141], v[144:145]
	v_add_f64_e32 v[140:141], v[146:147], v[176:177]
	s_wait_loadcnt_dscnt 0x500
	v_mul_f64_e32 v[144:145], v[136:137], v[170:171]
	v_mul_f64_e32 v[146:147], v[138:139], v[170:171]
	v_fmac_f64_e32 v[164:165], v[6:7], v[156:157]
	v_fma_f64 v[148:149], v[4:5], v[156:157], -v[158:159]
	v_add_f64_e32 v[150:151], v[134:135], v[132:133]
	v_add_f64_e32 v[140:141], v[140:141], v[142:143]
	ds_load_b128 v[4:7], v2 offset:1616
	ds_load_b128 v[132:135], v2 offset:1632
	v_fmac_f64_e32 v[144:145], v[138:139], v[168:169]
	v_fma_f64 v[136:137], v[136:137], v[168:169], -v[146:147]
	s_wait_loadcnt_dscnt 0x401
	v_mul_f64_e32 v[142:143], v[4:5], v[154:155]
	v_mul_f64_e32 v[154:155], v[6:7], v[154:155]
	v_add_f64_e32 v[138:139], v[150:151], v[148:149]
	v_add_f64_e32 v[140:141], v[140:141], v[164:165]
	s_wait_loadcnt_dscnt 0x300
	v_mul_f64_e32 v[146:147], v[132:133], v[10:11]
	v_mul_f64_e32 v[10:11], v[134:135], v[10:11]
	v_fmac_f64_e32 v[142:143], v[6:7], v[152:153]
	v_fma_f64 v[148:149], v[4:5], v[152:153], -v[154:155]
	v_add_f64_e32 v[150:151], v[138:139], v[136:137]
	v_add_f64_e32 v[140:141], v[140:141], v[144:145]
	ds_load_b128 v[4:7], v2 offset:1648
	ds_load_b128 v[136:139], v2 offset:1664
	v_fmac_f64_e32 v[146:147], v[134:135], v[8:9]
	v_fma_f64 v[8:9], v[132:133], v[8:9], -v[10:11]
	s_wait_loadcnt_dscnt 0x201
	v_mul_f64_e32 v[144:145], v[4:5], v[14:15]
	v_mul_f64_e32 v[14:15], v[6:7], v[14:15]
	s_wait_loadcnt_dscnt 0x100
	v_mul_f64_e32 v[134:135], v[136:137], v[126:127]
	v_mul_f64_e32 v[126:127], v[138:139], v[126:127]
	v_add_f64_e32 v[10:11], v[150:151], v[148:149]
	v_add_f64_e32 v[132:133], v[140:141], v[142:143]
	v_fmac_f64_e32 v[144:145], v[6:7], v[12:13]
	v_fma_f64 v[12:13], v[4:5], v[12:13], -v[14:15]
	ds_load_b128 v[4:7], v2 offset:1680
	v_fmac_f64_e32 v[134:135], v[138:139], v[124:125]
	v_fma_f64 v[124:125], v[136:137], v[124:125], -v[126:127]
	v_add_f64_e32 v[8:9], v[10:11], v[8:9]
	v_add_f64_e32 v[10:11], v[132:133], v[146:147]
	s_wait_loadcnt_dscnt 0x0
	v_mul_f64_e32 v[14:15], v[4:5], v[130:131]
	v_mul_f64_e32 v[130:131], v[6:7], v[130:131]
	s_delay_alu instid0(VALU_DEP_4) | instskip(NEXT) | instid1(VALU_DEP_4)
	v_add_f64_e32 v[8:9], v[8:9], v[12:13]
	v_add_f64_e32 v[10:11], v[10:11], v[144:145]
	s_delay_alu instid0(VALU_DEP_4) | instskip(NEXT) | instid1(VALU_DEP_4)
	v_fmac_f64_e32 v[14:15], v[6:7], v[128:129]
	v_fma_f64 v[4:5], v[4:5], v[128:129], -v[130:131]
	s_delay_alu instid0(VALU_DEP_4) | instskip(NEXT) | instid1(VALU_DEP_4)
	v_add_f64_e32 v[6:7], v[8:9], v[124:125]
	v_add_f64_e32 v[8:9], v[10:11], v[134:135]
	s_delay_alu instid0(VALU_DEP_2) | instskip(NEXT) | instid1(VALU_DEP_2)
	v_add_f64_e32 v[4:5], v[6:7], v[4:5]
	v_add_f64_e32 v[6:7], v[8:9], v[14:15]
	s_delay_alu instid0(VALU_DEP_2) | instskip(NEXT) | instid1(VALU_DEP_2)
	v_add_f64_e64 v[4:5], v[160:161], -v[4:5]
	v_add_f64_e64 v[6:7], v[162:163], -v[6:7]
	scratch_store_b128 off, v[4:7], off offset:560
	s_wait_xcnt 0x0
	v_cmpx_lt_u32_e32 34, v1
	s_cbranch_execz .LBB52_263
; %bb.262:
	scratch_load_b128 v[6:9], off, s33
	v_dual_mov_b32 v3, v2 :: v_dual_mov_b32 v4, v2
	v_mov_b32_e32 v5, v2
	scratch_store_b128 off, v[2:5], off offset:544
	s_wait_loadcnt 0x0
	ds_store_b128 v122, v[6:9]
.LBB52_263:
	s_wait_xcnt 0x0
	s_or_b32 exec_lo, exec_lo, s2
	s_wait_storecnt_dscnt 0x0
	s_barrier_signal -1
	s_barrier_wait -1
	s_clause 0x9
	scratch_load_b128 v[4:7], off, off offset:560
	scratch_load_b128 v[8:11], off, off offset:576
	;; [unrolled: 1-line block ×10, first 2 shown]
	ds_load_b128 v[152:155], v2 offset:1408
	ds_load_b128 v[160:163], v2 offset:1424
	s_clause 0x2
	scratch_load_b128 v[156:159], off, off offset:720
	scratch_load_b128 v[164:167], off, off offset:544
	;; [unrolled: 1-line block ×3, first 2 shown]
	s_mov_b32 s2, exec_lo
	s_wait_loadcnt_dscnt 0xc01
	v_mul_f64_e32 v[172:173], v[154:155], v[6:7]
	v_mul_f64_e32 v[176:177], v[152:153], v[6:7]
	s_wait_loadcnt_dscnt 0xb00
	v_mul_f64_e32 v[178:179], v[160:161], v[10:11]
	v_mul_f64_e32 v[10:11], v[162:163], v[10:11]
	s_delay_alu instid0(VALU_DEP_4) | instskip(NEXT) | instid1(VALU_DEP_4)
	v_fma_f64 v[180:181], v[152:153], v[4:5], -v[172:173]
	v_fmac_f64_e32 v[176:177], v[154:155], v[4:5]
	ds_load_b128 v[4:7], v2 offset:1440
	ds_load_b128 v[152:155], v2 offset:1456
	scratch_load_b128 v[172:175], off, off offset:752
	v_fmac_f64_e32 v[178:179], v[162:163], v[8:9]
	v_fma_f64 v[160:161], v[160:161], v[8:9], -v[10:11]
	scratch_load_b128 v[8:11], off, off offset:768
	s_wait_loadcnt_dscnt 0xc01
	v_mul_f64_e32 v[182:183], v[4:5], v[14:15]
	v_mul_f64_e32 v[14:15], v[6:7], v[14:15]
	v_add_f64_e32 v[162:163], 0, v[180:181]
	v_add_f64_e32 v[176:177], 0, v[176:177]
	s_wait_loadcnt_dscnt 0xb00
	v_mul_f64_e32 v[180:181], v[152:153], v[126:127]
	v_mul_f64_e32 v[126:127], v[154:155], v[126:127]
	v_fmac_f64_e32 v[182:183], v[6:7], v[12:13]
	v_fma_f64 v[184:185], v[4:5], v[12:13], -v[14:15]
	ds_load_b128 v[4:7], v2 offset:1472
	ds_load_b128 v[12:15], v2 offset:1488
	v_add_f64_e32 v[186:187], v[162:163], v[160:161]
	v_add_f64_e32 v[176:177], v[176:177], v[178:179]
	scratch_load_b128 v[160:163], off, off offset:784
	v_fmac_f64_e32 v[180:181], v[154:155], v[124:125]
	v_fma_f64 v[152:153], v[152:153], v[124:125], -v[126:127]
	scratch_load_b128 v[124:127], off, off offset:800
	s_wait_loadcnt_dscnt 0xc01
	v_mul_f64_e32 v[178:179], v[4:5], v[130:131]
	v_mul_f64_e32 v[130:131], v[6:7], v[130:131]
	v_add_f64_e32 v[154:155], v[186:187], v[184:185]
	v_add_f64_e32 v[176:177], v[176:177], v[182:183]
	s_wait_loadcnt_dscnt 0xb00
	v_mul_f64_e32 v[182:183], v[12:13], v[134:135]
	v_mul_f64_e32 v[134:135], v[14:15], v[134:135]
	v_fmac_f64_e32 v[178:179], v[6:7], v[128:129]
	v_fma_f64 v[184:185], v[4:5], v[128:129], -v[130:131]
	ds_load_b128 v[4:7], v2 offset:1504
	ds_load_b128 v[128:131], v2 offset:1520
	v_add_f64_e32 v[186:187], v[154:155], v[152:153]
	v_add_f64_e32 v[176:177], v[176:177], v[180:181]
	scratch_load_b128 v[152:155], off, off offset:816
	s_wait_loadcnt_dscnt 0xb01
	v_mul_f64_e32 v[180:181], v[4:5], v[138:139]
	v_mul_f64_e32 v[138:139], v[6:7], v[138:139]
	v_fmac_f64_e32 v[182:183], v[14:15], v[132:133]
	v_fma_f64 v[132:133], v[12:13], v[132:133], -v[134:135]
	scratch_load_b128 v[12:15], off, off offset:832
	v_add_f64_e32 v[134:135], v[186:187], v[184:185]
	v_add_f64_e32 v[176:177], v[176:177], v[178:179]
	s_wait_loadcnt_dscnt 0xb00
	v_mul_f64_e32 v[178:179], v[128:129], v[142:143]
	v_mul_f64_e32 v[142:143], v[130:131], v[142:143]
	v_fmac_f64_e32 v[180:181], v[6:7], v[136:137]
	v_fma_f64 v[136:137], v[4:5], v[136:137], -v[138:139]
	v_add_f64_e32 v[138:139], v[134:135], v[132:133]
	v_add_f64_e32 v[176:177], v[176:177], v[182:183]
	ds_load_b128 v[4:7], v2 offset:1536
	ds_load_b128 v[132:135], v2 offset:1552
	v_fmac_f64_e32 v[178:179], v[130:131], v[140:141]
	v_fma_f64 v[128:129], v[128:129], v[140:141], -v[142:143]
	s_wait_loadcnt_dscnt 0xa01
	v_mul_f64_e32 v[182:183], v[4:5], v[146:147]
	v_mul_f64_e32 v[146:147], v[6:7], v[146:147]
	s_wait_loadcnt_dscnt 0x900
	v_mul_f64_e32 v[140:141], v[134:135], v[150:151]
	v_add_f64_e32 v[130:131], v[138:139], v[136:137]
	v_add_f64_e32 v[136:137], v[176:177], v[180:181]
	v_mul_f64_e32 v[138:139], v[132:133], v[150:151]
	v_fmac_f64_e32 v[182:183], v[6:7], v[144:145]
	v_fma_f64 v[142:143], v[4:5], v[144:145], -v[146:147]
	v_fma_f64 v[132:133], v[132:133], v[148:149], -v[140:141]
	v_add_f64_e32 v[144:145], v[130:131], v[128:129]
	v_add_f64_e32 v[136:137], v[136:137], v[178:179]
	ds_load_b128 v[4:7], v2 offset:1568
	ds_load_b128 v[128:131], v2 offset:1584
	v_fmac_f64_e32 v[138:139], v[134:135], v[148:149]
	s_wait_loadcnt_dscnt 0x801
	v_mul_f64_e32 v[146:147], v[4:5], v[158:159]
	v_mul_f64_e32 v[150:151], v[6:7], v[158:159]
	s_wait_loadcnt_dscnt 0x600
	v_mul_f64_e32 v[140:141], v[128:129], v[170:171]
	v_add_f64_e32 v[134:135], v[144:145], v[142:143]
	v_add_f64_e32 v[136:137], v[136:137], v[182:183]
	v_mul_f64_e32 v[142:143], v[130:131], v[170:171]
	v_fmac_f64_e32 v[146:147], v[6:7], v[156:157]
	v_fma_f64 v[144:145], v[4:5], v[156:157], -v[150:151]
	v_fmac_f64_e32 v[140:141], v[130:131], v[168:169]
	v_add_f64_e32 v[148:149], v[134:135], v[132:133]
	v_add_f64_e32 v[136:137], v[136:137], v[138:139]
	ds_load_b128 v[4:7], v2 offset:1600
	ds_load_b128 v[132:135], v2 offset:1616
	v_fma_f64 v[128:129], v[128:129], v[168:169], -v[142:143]
	s_wait_loadcnt_dscnt 0x501
	v_mul_f64_e32 v[138:139], v[4:5], v[174:175]
	v_mul_f64_e32 v[150:151], v[6:7], v[174:175]
	s_wait_loadcnt_dscnt 0x400
	v_mul_f64_e32 v[142:143], v[132:133], v[10:11]
	v_mul_f64_e32 v[10:11], v[134:135], v[10:11]
	v_add_f64_e32 v[130:131], v[148:149], v[144:145]
	v_add_f64_e32 v[136:137], v[136:137], v[146:147]
	v_fmac_f64_e32 v[138:139], v[6:7], v[172:173]
	v_fma_f64 v[144:145], v[4:5], v[172:173], -v[150:151]
	v_fmac_f64_e32 v[142:143], v[134:135], v[8:9]
	v_fma_f64 v[8:9], v[132:133], v[8:9], -v[10:11]
	v_add_f64_e32 v[146:147], v[130:131], v[128:129]
	v_add_f64_e32 v[136:137], v[136:137], v[140:141]
	ds_load_b128 v[4:7], v2 offset:1632
	ds_load_b128 v[128:131], v2 offset:1648
	s_wait_loadcnt_dscnt 0x301
	v_mul_f64_e32 v[140:141], v[4:5], v[162:163]
	v_mul_f64_e32 v[148:149], v[6:7], v[162:163]
	s_wait_loadcnt_dscnt 0x200
	v_mul_f64_e32 v[134:135], v[128:129], v[126:127]
	v_mul_f64_e32 v[126:127], v[130:131], v[126:127]
	v_add_f64_e32 v[10:11], v[146:147], v[144:145]
	v_add_f64_e32 v[132:133], v[136:137], v[138:139]
	v_fmac_f64_e32 v[140:141], v[6:7], v[160:161]
	v_fma_f64 v[136:137], v[4:5], v[160:161], -v[148:149]
	v_fmac_f64_e32 v[134:135], v[130:131], v[124:125]
	v_fma_f64 v[124:125], v[128:129], v[124:125], -v[126:127]
	v_add_f64_e32 v[138:139], v[10:11], v[8:9]
	v_add_f64_e32 v[132:133], v[132:133], v[142:143]
	ds_load_b128 v[4:7], v2 offset:1664
	ds_load_b128 v[8:11], v2 offset:1680
	s_wait_loadcnt_dscnt 0x101
	v_mul_f64_e32 v[2:3], v[4:5], v[154:155]
	v_mul_f64_e32 v[142:143], v[6:7], v[154:155]
	s_wait_loadcnt_dscnt 0x0
	v_mul_f64_e32 v[130:131], v[8:9], v[14:15]
	v_mul_f64_e32 v[14:15], v[10:11], v[14:15]
	v_add_f64_e32 v[126:127], v[138:139], v[136:137]
	v_add_f64_e32 v[128:129], v[132:133], v[140:141]
	v_fmac_f64_e32 v[2:3], v[6:7], v[152:153]
	v_fma_f64 v[4:5], v[4:5], v[152:153], -v[142:143]
	v_fmac_f64_e32 v[130:131], v[10:11], v[12:13]
	v_fma_f64 v[8:9], v[8:9], v[12:13], -v[14:15]
	v_add_f64_e32 v[6:7], v[126:127], v[124:125]
	v_add_f64_e32 v[124:125], v[128:129], v[134:135]
	s_delay_alu instid0(VALU_DEP_2) | instskip(NEXT) | instid1(VALU_DEP_2)
	v_add_f64_e32 v[4:5], v[6:7], v[4:5]
	v_add_f64_e32 v[2:3], v[124:125], v[2:3]
	s_delay_alu instid0(VALU_DEP_2) | instskip(NEXT) | instid1(VALU_DEP_2)
	;; [unrolled: 3-line block ×3, first 2 shown]
	v_add_f64_e64 v[2:3], v[164:165], -v[4:5]
	v_add_f64_e64 v[4:5], v[166:167], -v[6:7]
	scratch_store_b128 off, v[2:5], off offset:544
	s_wait_xcnt 0x0
	v_cmpx_lt_u32_e32 33, v1
	s_cbranch_execz .LBB52_265
; %bb.264:
	scratch_load_b128 v[2:5], off, s34
	v_mov_b32_e32 v6, 0
	s_delay_alu instid0(VALU_DEP_1)
	v_dual_mov_b32 v7, v6 :: v_dual_mov_b32 v8, v6
	v_mov_b32_e32 v9, v6
	scratch_store_b128 off, v[6:9], off offset:528
	s_wait_loadcnt 0x0
	ds_store_b128 v122, v[2:5]
.LBB52_265:
	s_wait_xcnt 0x0
	s_or_b32 exec_lo, exec_lo, s2
	s_wait_storecnt_dscnt 0x0
	s_barrier_signal -1
	s_barrier_wait -1
	s_clause 0x9
	scratch_load_b128 v[4:7], off, off offset:544
	scratch_load_b128 v[8:11], off, off offset:560
	;; [unrolled: 1-line block ×10, first 2 shown]
	v_mov_b32_e32 v2, 0
	s_mov_b32 s2, exec_lo
	ds_load_b128 v[152:155], v2 offset:1392
	s_clause 0x2
	scratch_load_b128 v[156:159], off, off offset:704
	scratch_load_b128 v[160:163], off, off offset:528
	scratch_load_b128 v[168:171], off, off offset:720
	s_wait_loadcnt_dscnt 0xc00
	v_mul_f64_e32 v[172:173], v[154:155], v[6:7]
	v_mul_f64_e32 v[176:177], v[152:153], v[6:7]
	ds_load_b128 v[164:167], v2 offset:1408
	v_fma_f64 v[180:181], v[152:153], v[4:5], -v[172:173]
	v_fmac_f64_e32 v[176:177], v[154:155], v[4:5]
	ds_load_b128 v[4:7], v2 offset:1424
	s_wait_loadcnt_dscnt 0xb01
	v_mul_f64_e32 v[178:179], v[164:165], v[10:11]
	v_mul_f64_e32 v[10:11], v[166:167], v[10:11]
	scratch_load_b128 v[152:155], off, off offset:736
	ds_load_b128 v[172:175], v2 offset:1440
	s_wait_loadcnt_dscnt 0xb01
	v_mul_f64_e32 v[182:183], v[4:5], v[14:15]
	v_mul_f64_e32 v[14:15], v[6:7], v[14:15]
	v_add_f64_e32 v[176:177], 0, v[176:177]
	v_fmac_f64_e32 v[178:179], v[166:167], v[8:9]
	v_fma_f64 v[164:165], v[164:165], v[8:9], -v[10:11]
	v_add_f64_e32 v[166:167], 0, v[180:181]
	scratch_load_b128 v[8:11], off, off offset:752
	v_fmac_f64_e32 v[182:183], v[6:7], v[12:13]
	v_fma_f64 v[184:185], v[4:5], v[12:13], -v[14:15]
	ds_load_b128 v[4:7], v2 offset:1456
	s_wait_loadcnt_dscnt 0xb01
	v_mul_f64_e32 v[180:181], v[172:173], v[126:127]
	v_mul_f64_e32 v[126:127], v[174:175], v[126:127]
	scratch_load_b128 v[12:15], off, off offset:768
	v_add_f64_e32 v[176:177], v[176:177], v[178:179]
	v_add_f64_e32 v[186:187], v[166:167], v[164:165]
	ds_load_b128 v[164:167], v2 offset:1472
	s_wait_loadcnt_dscnt 0xb01
	v_mul_f64_e32 v[178:179], v[4:5], v[130:131]
	v_mul_f64_e32 v[130:131], v[6:7], v[130:131]
	v_fmac_f64_e32 v[180:181], v[174:175], v[124:125]
	v_fma_f64 v[172:173], v[172:173], v[124:125], -v[126:127]
	scratch_load_b128 v[124:127], off, off offset:784
	v_add_f64_e32 v[176:177], v[176:177], v[182:183]
	v_add_f64_e32 v[174:175], v[186:187], v[184:185]
	v_fmac_f64_e32 v[178:179], v[6:7], v[128:129]
	v_fma_f64 v[184:185], v[4:5], v[128:129], -v[130:131]
	ds_load_b128 v[4:7], v2 offset:1488
	s_wait_loadcnt_dscnt 0xb01
	v_mul_f64_e32 v[182:183], v[164:165], v[134:135]
	v_mul_f64_e32 v[134:135], v[166:167], v[134:135]
	scratch_load_b128 v[128:131], off, off offset:800
	v_add_f64_e32 v[176:177], v[176:177], v[180:181]
	s_wait_loadcnt_dscnt 0xb00
	v_mul_f64_e32 v[180:181], v[4:5], v[138:139]
	v_add_f64_e32 v[186:187], v[174:175], v[172:173]
	v_mul_f64_e32 v[138:139], v[6:7], v[138:139]
	ds_load_b128 v[172:175], v2 offset:1504
	v_fmac_f64_e32 v[182:183], v[166:167], v[132:133]
	v_fma_f64 v[164:165], v[164:165], v[132:133], -v[134:135]
	scratch_load_b128 v[132:135], off, off offset:816
	v_add_f64_e32 v[176:177], v[176:177], v[178:179]
	v_fmac_f64_e32 v[180:181], v[6:7], v[136:137]
	v_add_f64_e32 v[166:167], v[186:187], v[184:185]
	v_fma_f64 v[184:185], v[4:5], v[136:137], -v[138:139]
	ds_load_b128 v[4:7], v2 offset:1520
	s_wait_loadcnt_dscnt 0xb01
	v_mul_f64_e32 v[178:179], v[172:173], v[142:143]
	v_mul_f64_e32 v[142:143], v[174:175], v[142:143]
	scratch_load_b128 v[136:139], off, off offset:832
	v_add_f64_e32 v[176:177], v[176:177], v[182:183]
	s_wait_loadcnt_dscnt 0xb00
	v_mul_f64_e32 v[182:183], v[4:5], v[146:147]
	v_add_f64_e32 v[186:187], v[166:167], v[164:165]
	v_mul_f64_e32 v[146:147], v[6:7], v[146:147]
	ds_load_b128 v[164:167], v2 offset:1536
	v_fmac_f64_e32 v[178:179], v[174:175], v[140:141]
	v_fma_f64 v[140:141], v[172:173], v[140:141], -v[142:143]
	s_wait_loadcnt_dscnt 0xa00
	v_mul_f64_e32 v[174:175], v[164:165], v[150:151]
	v_mul_f64_e32 v[150:151], v[166:167], v[150:151]
	v_add_f64_e32 v[172:173], v[176:177], v[180:181]
	v_fmac_f64_e32 v[182:183], v[6:7], v[144:145]
	v_add_f64_e32 v[142:143], v[186:187], v[184:185]
	v_fma_f64 v[144:145], v[4:5], v[144:145], -v[146:147]
	v_fmac_f64_e32 v[174:175], v[166:167], v[148:149]
	v_fma_f64 v[148:149], v[164:165], v[148:149], -v[150:151]
	v_add_f64_e32 v[172:173], v[172:173], v[178:179]
	v_add_f64_e32 v[146:147], v[142:143], v[140:141]
	ds_load_b128 v[4:7], v2 offset:1552
	ds_load_b128 v[140:143], v2 offset:1568
	s_wait_loadcnt_dscnt 0x901
	v_mul_f64_e32 v[176:177], v[4:5], v[158:159]
	v_mul_f64_e32 v[158:159], v[6:7], v[158:159]
	s_wait_loadcnt_dscnt 0x700
	v_mul_f64_e32 v[150:151], v[140:141], v[170:171]
	v_mul_f64_e32 v[164:165], v[142:143], v[170:171]
	v_add_f64_e32 v[144:145], v[146:147], v[144:145]
	v_add_f64_e32 v[146:147], v[172:173], v[182:183]
	v_fmac_f64_e32 v[176:177], v[6:7], v[156:157]
	v_fma_f64 v[156:157], v[4:5], v[156:157], -v[158:159]
	v_fmac_f64_e32 v[150:151], v[142:143], v[168:169]
	v_fma_f64 v[140:141], v[140:141], v[168:169], -v[164:165]
	v_add_f64_e32 v[148:149], v[144:145], v[148:149]
	v_add_f64_e32 v[158:159], v[146:147], v[174:175]
	ds_load_b128 v[4:7], v2 offset:1584
	ds_load_b128 v[144:147], v2 offset:1600
	s_wait_loadcnt_dscnt 0x601
	v_mul_f64_e32 v[166:167], v[4:5], v[154:155]
	v_mul_f64_e32 v[154:155], v[6:7], v[154:155]
	v_add_f64_e32 v[142:143], v[148:149], v[156:157]
	v_add_f64_e32 v[148:149], v[158:159], v[176:177]
	s_wait_loadcnt_dscnt 0x500
	v_mul_f64_e32 v[156:157], v[144:145], v[10:11]
	v_mul_f64_e32 v[10:11], v[146:147], v[10:11]
	v_fmac_f64_e32 v[166:167], v[6:7], v[152:153]
	v_fma_f64 v[152:153], v[4:5], v[152:153], -v[154:155]
	v_add_f64_e32 v[154:155], v[142:143], v[140:141]
	v_add_f64_e32 v[148:149], v[148:149], v[150:151]
	ds_load_b128 v[4:7], v2 offset:1616
	ds_load_b128 v[140:143], v2 offset:1632
	v_fmac_f64_e32 v[156:157], v[146:147], v[8:9]
	v_fma_f64 v[8:9], v[144:145], v[8:9], -v[10:11]
	s_wait_loadcnt_dscnt 0x401
	v_mul_f64_e32 v[150:151], v[4:5], v[14:15]
	v_mul_f64_e32 v[14:15], v[6:7], v[14:15]
	s_wait_loadcnt_dscnt 0x300
	v_mul_f64_e32 v[146:147], v[140:141], v[126:127]
	v_mul_f64_e32 v[126:127], v[142:143], v[126:127]
	v_add_f64_e32 v[10:11], v[154:155], v[152:153]
	v_add_f64_e32 v[144:145], v[148:149], v[166:167]
	v_fmac_f64_e32 v[150:151], v[6:7], v[12:13]
	v_fma_f64 v[12:13], v[4:5], v[12:13], -v[14:15]
	v_fmac_f64_e32 v[146:147], v[142:143], v[124:125]
	v_fma_f64 v[124:125], v[140:141], v[124:125], -v[126:127]
	v_add_f64_e32 v[14:15], v[10:11], v[8:9]
	v_add_f64_e32 v[144:145], v[144:145], v[156:157]
	ds_load_b128 v[4:7], v2 offset:1648
	ds_load_b128 v[8:11], v2 offset:1664
	s_wait_loadcnt_dscnt 0x201
	v_mul_f64_e32 v[148:149], v[4:5], v[130:131]
	v_mul_f64_e32 v[130:131], v[6:7], v[130:131]
	s_wait_loadcnt_dscnt 0x100
	v_mul_f64_e32 v[126:127], v[8:9], v[134:135]
	v_mul_f64_e32 v[134:135], v[10:11], v[134:135]
	v_add_f64_e32 v[12:13], v[14:15], v[12:13]
	v_add_f64_e32 v[14:15], v[144:145], v[150:151]
	v_fmac_f64_e32 v[148:149], v[6:7], v[128:129]
	v_fma_f64 v[128:129], v[4:5], v[128:129], -v[130:131]
	ds_load_b128 v[4:7], v2 offset:1680
	v_fmac_f64_e32 v[126:127], v[10:11], v[132:133]
	v_fma_f64 v[8:9], v[8:9], v[132:133], -v[134:135]
	v_add_f64_e32 v[12:13], v[12:13], v[124:125]
	v_add_f64_e32 v[14:15], v[14:15], v[146:147]
	s_wait_loadcnt_dscnt 0x0
	v_mul_f64_e32 v[124:125], v[4:5], v[138:139]
	v_mul_f64_e32 v[130:131], v[6:7], v[138:139]
	s_delay_alu instid0(VALU_DEP_4) | instskip(NEXT) | instid1(VALU_DEP_4)
	v_add_f64_e32 v[10:11], v[12:13], v[128:129]
	v_add_f64_e32 v[12:13], v[14:15], v[148:149]
	s_delay_alu instid0(VALU_DEP_4) | instskip(NEXT) | instid1(VALU_DEP_4)
	v_fmac_f64_e32 v[124:125], v[6:7], v[136:137]
	v_fma_f64 v[4:5], v[4:5], v[136:137], -v[130:131]
	s_delay_alu instid0(VALU_DEP_4) | instskip(NEXT) | instid1(VALU_DEP_4)
	v_add_f64_e32 v[6:7], v[10:11], v[8:9]
	v_add_f64_e32 v[8:9], v[12:13], v[126:127]
	s_delay_alu instid0(VALU_DEP_2) | instskip(NEXT) | instid1(VALU_DEP_2)
	v_add_f64_e32 v[4:5], v[6:7], v[4:5]
	v_add_f64_e32 v[6:7], v[8:9], v[124:125]
	s_delay_alu instid0(VALU_DEP_2) | instskip(NEXT) | instid1(VALU_DEP_2)
	v_add_f64_e64 v[4:5], v[160:161], -v[4:5]
	v_add_f64_e64 v[6:7], v[162:163], -v[6:7]
	scratch_store_b128 off, v[4:7], off offset:528
	s_wait_xcnt 0x0
	v_cmpx_lt_u32_e32 32, v1
	s_cbranch_execz .LBB52_267
; %bb.266:
	scratch_load_b128 v[6:9], off, s31
	v_dual_mov_b32 v3, v2 :: v_dual_mov_b32 v4, v2
	v_mov_b32_e32 v5, v2
	scratch_store_b128 off, v[2:5], off offset:512
	s_wait_loadcnt 0x0
	ds_store_b128 v122, v[6:9]
.LBB52_267:
	s_wait_xcnt 0x0
	s_or_b32 exec_lo, exec_lo, s2
	s_wait_storecnt_dscnt 0x0
	s_barrier_signal -1
	s_barrier_wait -1
	s_clause 0x9
	scratch_load_b128 v[4:7], off, off offset:528
	scratch_load_b128 v[8:11], off, off offset:544
	;; [unrolled: 1-line block ×10, first 2 shown]
	ds_load_b128 v[152:155], v2 offset:1376
	ds_load_b128 v[160:163], v2 offset:1392
	s_clause 0x2
	scratch_load_b128 v[156:159], off, off offset:688
	scratch_load_b128 v[164:167], off, off offset:512
	;; [unrolled: 1-line block ×3, first 2 shown]
	s_mov_b32 s2, exec_lo
	s_wait_loadcnt_dscnt 0xc01
	v_mul_f64_e32 v[172:173], v[154:155], v[6:7]
	v_mul_f64_e32 v[176:177], v[152:153], v[6:7]
	s_wait_loadcnt_dscnt 0xb00
	v_mul_f64_e32 v[178:179], v[160:161], v[10:11]
	v_mul_f64_e32 v[10:11], v[162:163], v[10:11]
	s_delay_alu instid0(VALU_DEP_4) | instskip(NEXT) | instid1(VALU_DEP_4)
	v_fma_f64 v[180:181], v[152:153], v[4:5], -v[172:173]
	v_fmac_f64_e32 v[176:177], v[154:155], v[4:5]
	ds_load_b128 v[4:7], v2 offset:1408
	ds_load_b128 v[152:155], v2 offset:1424
	scratch_load_b128 v[172:175], off, off offset:720
	v_fmac_f64_e32 v[178:179], v[162:163], v[8:9]
	v_fma_f64 v[160:161], v[160:161], v[8:9], -v[10:11]
	scratch_load_b128 v[8:11], off, off offset:736
	s_wait_loadcnt_dscnt 0xc01
	v_mul_f64_e32 v[182:183], v[4:5], v[14:15]
	v_mul_f64_e32 v[14:15], v[6:7], v[14:15]
	v_add_f64_e32 v[162:163], 0, v[180:181]
	v_add_f64_e32 v[176:177], 0, v[176:177]
	s_wait_loadcnt_dscnt 0xb00
	v_mul_f64_e32 v[180:181], v[152:153], v[126:127]
	v_mul_f64_e32 v[126:127], v[154:155], v[126:127]
	v_fmac_f64_e32 v[182:183], v[6:7], v[12:13]
	v_fma_f64 v[184:185], v[4:5], v[12:13], -v[14:15]
	ds_load_b128 v[4:7], v2 offset:1440
	ds_load_b128 v[12:15], v2 offset:1456
	v_add_f64_e32 v[186:187], v[162:163], v[160:161]
	v_add_f64_e32 v[176:177], v[176:177], v[178:179]
	scratch_load_b128 v[160:163], off, off offset:752
	v_fmac_f64_e32 v[180:181], v[154:155], v[124:125]
	v_fma_f64 v[152:153], v[152:153], v[124:125], -v[126:127]
	scratch_load_b128 v[124:127], off, off offset:768
	s_wait_loadcnt_dscnt 0xc01
	v_mul_f64_e32 v[178:179], v[4:5], v[130:131]
	v_mul_f64_e32 v[130:131], v[6:7], v[130:131]
	v_add_f64_e32 v[154:155], v[186:187], v[184:185]
	v_add_f64_e32 v[176:177], v[176:177], v[182:183]
	s_wait_loadcnt_dscnt 0xb00
	v_mul_f64_e32 v[182:183], v[12:13], v[134:135]
	v_mul_f64_e32 v[134:135], v[14:15], v[134:135]
	v_fmac_f64_e32 v[178:179], v[6:7], v[128:129]
	v_fma_f64 v[184:185], v[4:5], v[128:129], -v[130:131]
	ds_load_b128 v[4:7], v2 offset:1472
	ds_load_b128 v[128:131], v2 offset:1488
	v_add_f64_e32 v[186:187], v[154:155], v[152:153]
	v_add_f64_e32 v[176:177], v[176:177], v[180:181]
	scratch_load_b128 v[152:155], off, off offset:784
	s_wait_loadcnt_dscnt 0xb01
	v_mul_f64_e32 v[180:181], v[4:5], v[138:139]
	v_mul_f64_e32 v[138:139], v[6:7], v[138:139]
	v_fmac_f64_e32 v[182:183], v[14:15], v[132:133]
	v_fma_f64 v[132:133], v[12:13], v[132:133], -v[134:135]
	scratch_load_b128 v[12:15], off, off offset:800
	v_add_f64_e32 v[134:135], v[186:187], v[184:185]
	v_add_f64_e32 v[176:177], v[176:177], v[178:179]
	s_wait_loadcnt_dscnt 0xb00
	v_mul_f64_e32 v[178:179], v[128:129], v[142:143]
	v_mul_f64_e32 v[142:143], v[130:131], v[142:143]
	v_fmac_f64_e32 v[180:181], v[6:7], v[136:137]
	v_fma_f64 v[184:185], v[4:5], v[136:137], -v[138:139]
	v_add_f64_e32 v[186:187], v[134:135], v[132:133]
	v_add_f64_e32 v[176:177], v[176:177], v[182:183]
	ds_load_b128 v[4:7], v2 offset:1504
	ds_load_b128 v[132:135], v2 offset:1520
	scratch_load_b128 v[136:139], off, off offset:816
	v_fmac_f64_e32 v[178:179], v[130:131], v[140:141]
	v_fma_f64 v[140:141], v[128:129], v[140:141], -v[142:143]
	scratch_load_b128 v[128:131], off, off offset:832
	s_wait_loadcnt_dscnt 0xc01
	v_mul_f64_e32 v[182:183], v[4:5], v[146:147]
	v_mul_f64_e32 v[146:147], v[6:7], v[146:147]
	v_add_f64_e32 v[142:143], v[186:187], v[184:185]
	v_add_f64_e32 v[176:177], v[176:177], v[180:181]
	s_wait_loadcnt_dscnt 0xb00
	v_mul_f64_e32 v[180:181], v[132:133], v[150:151]
	v_mul_f64_e32 v[150:151], v[134:135], v[150:151]
	v_fmac_f64_e32 v[182:183], v[6:7], v[144:145]
	v_fma_f64 v[144:145], v[4:5], v[144:145], -v[146:147]
	v_add_f64_e32 v[146:147], v[142:143], v[140:141]
	v_add_f64_e32 v[176:177], v[176:177], v[178:179]
	ds_load_b128 v[4:7], v2 offset:1536
	ds_load_b128 v[140:143], v2 offset:1552
	v_fmac_f64_e32 v[180:181], v[134:135], v[148:149]
	v_fma_f64 v[132:133], v[132:133], v[148:149], -v[150:151]
	s_wait_loadcnt_dscnt 0xa01
	v_mul_f64_e32 v[178:179], v[4:5], v[158:159]
	v_mul_f64_e32 v[158:159], v[6:7], v[158:159]
	s_wait_loadcnt_dscnt 0x800
	v_mul_f64_e32 v[148:149], v[142:143], v[170:171]
	v_add_f64_e32 v[134:135], v[146:147], v[144:145]
	v_add_f64_e32 v[144:145], v[176:177], v[182:183]
	v_mul_f64_e32 v[146:147], v[140:141], v[170:171]
	v_fmac_f64_e32 v[178:179], v[6:7], v[156:157]
	v_fma_f64 v[150:151], v[4:5], v[156:157], -v[158:159]
	v_fma_f64 v[140:141], v[140:141], v[168:169], -v[148:149]
	v_add_f64_e32 v[156:157], v[134:135], v[132:133]
	v_add_f64_e32 v[144:145], v[144:145], v[180:181]
	ds_load_b128 v[4:7], v2 offset:1568
	ds_load_b128 v[132:135], v2 offset:1584
	v_fmac_f64_e32 v[146:147], v[142:143], v[168:169]
	s_wait_loadcnt_dscnt 0x701
	v_mul_f64_e32 v[158:159], v[4:5], v[174:175]
	v_mul_f64_e32 v[170:171], v[6:7], v[174:175]
	s_wait_loadcnt_dscnt 0x600
	v_mul_f64_e32 v[148:149], v[132:133], v[10:11]
	v_mul_f64_e32 v[10:11], v[134:135], v[10:11]
	v_add_f64_e32 v[142:143], v[156:157], v[150:151]
	v_add_f64_e32 v[144:145], v[144:145], v[178:179]
	v_fmac_f64_e32 v[158:159], v[6:7], v[172:173]
	v_fma_f64 v[150:151], v[4:5], v[172:173], -v[170:171]
	v_fmac_f64_e32 v[148:149], v[134:135], v[8:9]
	v_fma_f64 v[8:9], v[132:133], v[8:9], -v[10:11]
	v_add_f64_e32 v[156:157], v[142:143], v[140:141]
	v_add_f64_e32 v[144:145], v[144:145], v[146:147]
	ds_load_b128 v[4:7], v2 offset:1600
	ds_load_b128 v[140:143], v2 offset:1616
	s_wait_loadcnt_dscnt 0x501
	v_mul_f64_e32 v[146:147], v[4:5], v[162:163]
	v_mul_f64_e32 v[162:163], v[6:7], v[162:163]
	s_wait_loadcnt_dscnt 0x400
	v_mul_f64_e32 v[134:135], v[140:141], v[126:127]
	v_mul_f64_e32 v[126:127], v[142:143], v[126:127]
	v_add_f64_e32 v[10:11], v[156:157], v[150:151]
	v_add_f64_e32 v[132:133], v[144:145], v[158:159]
	v_fmac_f64_e32 v[146:147], v[6:7], v[160:161]
	v_fma_f64 v[144:145], v[4:5], v[160:161], -v[162:163]
	v_fmac_f64_e32 v[134:135], v[142:143], v[124:125]
	v_fma_f64 v[124:125], v[140:141], v[124:125], -v[126:127]
	v_add_f64_e32 v[150:151], v[10:11], v[8:9]
	v_add_f64_e32 v[132:133], v[132:133], v[148:149]
	ds_load_b128 v[4:7], v2 offset:1632
	ds_load_b128 v[8:11], v2 offset:1648
	;; [unrolled: 16-line block ×3, first 2 shown]
	s_wait_loadcnt_dscnt 0x101
	v_mul_f64_e32 v[2:3], v[4:5], v[138:139]
	v_mul_f64_e32 v[134:135], v[6:7], v[138:139]
	s_wait_loadcnt_dscnt 0x0
	v_mul_f64_e32 v[14:15], v[124:125], v[130:131]
	v_mul_f64_e32 v[130:131], v[126:127], v[130:131]
	v_add_f64_e32 v[10:11], v[144:145], v[142:143]
	v_add_f64_e32 v[12:13], v[132:133], v[148:149]
	v_fmac_f64_e32 v[2:3], v[6:7], v[136:137]
	v_fma_f64 v[4:5], v[4:5], v[136:137], -v[134:135]
	v_fmac_f64_e32 v[14:15], v[126:127], v[128:129]
	v_add_f64_e32 v[6:7], v[10:11], v[8:9]
	v_add_f64_e32 v[8:9], v[12:13], v[140:141]
	v_fma_f64 v[10:11], v[124:125], v[128:129], -v[130:131]
	s_delay_alu instid0(VALU_DEP_3) | instskip(NEXT) | instid1(VALU_DEP_3)
	v_add_f64_e32 v[4:5], v[6:7], v[4:5]
	v_add_f64_e32 v[2:3], v[8:9], v[2:3]
	s_delay_alu instid0(VALU_DEP_2) | instskip(NEXT) | instid1(VALU_DEP_2)
	v_add_f64_e32 v[4:5], v[4:5], v[10:11]
	v_add_f64_e32 v[6:7], v[2:3], v[14:15]
	s_delay_alu instid0(VALU_DEP_2) | instskip(NEXT) | instid1(VALU_DEP_2)
	v_add_f64_e64 v[2:3], v[164:165], -v[4:5]
	v_add_f64_e64 v[4:5], v[166:167], -v[6:7]
	scratch_store_b128 off, v[2:5], off offset:512
	s_wait_xcnt 0x0
	v_cmpx_lt_u32_e32 31, v1
	s_cbranch_execz .LBB52_269
; %bb.268:
	scratch_load_b128 v[2:5], off, s29
	v_mov_b32_e32 v6, 0
	s_delay_alu instid0(VALU_DEP_1)
	v_dual_mov_b32 v7, v6 :: v_dual_mov_b32 v8, v6
	v_mov_b32_e32 v9, v6
	scratch_store_b128 off, v[6:9], off offset:496
	s_wait_loadcnt 0x0
	ds_store_b128 v122, v[2:5]
.LBB52_269:
	s_wait_xcnt 0x0
	s_or_b32 exec_lo, exec_lo, s2
	s_wait_storecnt_dscnt 0x0
	s_barrier_signal -1
	s_barrier_wait -1
	s_clause 0x9
	scratch_load_b128 v[4:7], off, off offset:512
	scratch_load_b128 v[8:11], off, off offset:528
	;; [unrolled: 1-line block ×10, first 2 shown]
	v_mov_b32_e32 v2, 0
	s_mov_b32 s2, exec_lo
	ds_load_b128 v[152:155], v2 offset:1360
	s_clause 0x2
	scratch_load_b128 v[156:159], off, off offset:672
	scratch_load_b128 v[160:163], off, off offset:496
	;; [unrolled: 1-line block ×3, first 2 shown]
	s_wait_loadcnt_dscnt 0xc00
	v_mul_f64_e32 v[172:173], v[154:155], v[6:7]
	v_mul_f64_e32 v[176:177], v[152:153], v[6:7]
	ds_load_b128 v[164:167], v2 offset:1376
	v_fma_f64 v[180:181], v[152:153], v[4:5], -v[172:173]
	v_fmac_f64_e32 v[176:177], v[154:155], v[4:5]
	ds_load_b128 v[4:7], v2 offset:1392
	s_wait_loadcnt_dscnt 0xb01
	v_mul_f64_e32 v[178:179], v[164:165], v[10:11]
	v_mul_f64_e32 v[10:11], v[166:167], v[10:11]
	scratch_load_b128 v[152:155], off, off offset:704
	ds_load_b128 v[172:175], v2 offset:1408
	s_wait_loadcnt_dscnt 0xb01
	v_mul_f64_e32 v[182:183], v[4:5], v[14:15]
	v_mul_f64_e32 v[14:15], v[6:7], v[14:15]
	v_add_f64_e32 v[176:177], 0, v[176:177]
	v_fmac_f64_e32 v[178:179], v[166:167], v[8:9]
	v_fma_f64 v[164:165], v[164:165], v[8:9], -v[10:11]
	v_add_f64_e32 v[166:167], 0, v[180:181]
	scratch_load_b128 v[8:11], off, off offset:720
	v_fmac_f64_e32 v[182:183], v[6:7], v[12:13]
	v_fma_f64 v[184:185], v[4:5], v[12:13], -v[14:15]
	ds_load_b128 v[4:7], v2 offset:1424
	s_wait_loadcnt_dscnt 0xb01
	v_mul_f64_e32 v[180:181], v[172:173], v[126:127]
	v_mul_f64_e32 v[126:127], v[174:175], v[126:127]
	scratch_load_b128 v[12:15], off, off offset:736
	v_add_f64_e32 v[176:177], v[176:177], v[178:179]
	v_add_f64_e32 v[186:187], v[166:167], v[164:165]
	ds_load_b128 v[164:167], v2 offset:1440
	s_wait_loadcnt_dscnt 0xb01
	v_mul_f64_e32 v[178:179], v[4:5], v[130:131]
	v_mul_f64_e32 v[130:131], v[6:7], v[130:131]
	v_fmac_f64_e32 v[180:181], v[174:175], v[124:125]
	v_fma_f64 v[172:173], v[172:173], v[124:125], -v[126:127]
	scratch_load_b128 v[124:127], off, off offset:752
	v_add_f64_e32 v[176:177], v[176:177], v[182:183]
	v_add_f64_e32 v[174:175], v[186:187], v[184:185]
	v_fmac_f64_e32 v[178:179], v[6:7], v[128:129]
	v_fma_f64 v[184:185], v[4:5], v[128:129], -v[130:131]
	ds_load_b128 v[4:7], v2 offset:1456
	s_wait_loadcnt_dscnt 0xb01
	v_mul_f64_e32 v[182:183], v[164:165], v[134:135]
	v_mul_f64_e32 v[134:135], v[166:167], v[134:135]
	scratch_load_b128 v[128:131], off, off offset:768
	v_add_f64_e32 v[176:177], v[176:177], v[180:181]
	s_wait_loadcnt_dscnt 0xb00
	v_mul_f64_e32 v[180:181], v[4:5], v[138:139]
	v_add_f64_e32 v[186:187], v[174:175], v[172:173]
	v_mul_f64_e32 v[138:139], v[6:7], v[138:139]
	ds_load_b128 v[172:175], v2 offset:1472
	v_fmac_f64_e32 v[182:183], v[166:167], v[132:133]
	v_fma_f64 v[164:165], v[164:165], v[132:133], -v[134:135]
	scratch_load_b128 v[132:135], off, off offset:784
	v_add_f64_e32 v[176:177], v[176:177], v[178:179]
	v_fmac_f64_e32 v[180:181], v[6:7], v[136:137]
	v_add_f64_e32 v[166:167], v[186:187], v[184:185]
	v_fma_f64 v[184:185], v[4:5], v[136:137], -v[138:139]
	ds_load_b128 v[4:7], v2 offset:1488
	s_wait_loadcnt_dscnt 0xb01
	v_mul_f64_e32 v[178:179], v[172:173], v[142:143]
	v_mul_f64_e32 v[142:143], v[174:175], v[142:143]
	scratch_load_b128 v[136:139], off, off offset:800
	v_add_f64_e32 v[176:177], v[176:177], v[182:183]
	s_wait_loadcnt_dscnt 0xb00
	v_mul_f64_e32 v[182:183], v[4:5], v[146:147]
	v_add_f64_e32 v[186:187], v[166:167], v[164:165]
	v_mul_f64_e32 v[146:147], v[6:7], v[146:147]
	ds_load_b128 v[164:167], v2 offset:1504
	v_fmac_f64_e32 v[178:179], v[174:175], v[140:141]
	v_fma_f64 v[172:173], v[172:173], v[140:141], -v[142:143]
	scratch_load_b128 v[140:143], off, off offset:816
	v_add_f64_e32 v[176:177], v[176:177], v[180:181]
	v_fmac_f64_e32 v[182:183], v[6:7], v[144:145]
	v_add_f64_e32 v[174:175], v[186:187], v[184:185]
	v_fma_f64 v[184:185], v[4:5], v[144:145], -v[146:147]
	ds_load_b128 v[4:7], v2 offset:1520
	s_wait_loadcnt_dscnt 0xb01
	v_mul_f64_e32 v[180:181], v[164:165], v[150:151]
	v_mul_f64_e32 v[150:151], v[166:167], v[150:151]
	scratch_load_b128 v[144:147], off, off offset:832
	v_add_f64_e32 v[176:177], v[176:177], v[178:179]
	s_wait_loadcnt_dscnt 0xb00
	v_mul_f64_e32 v[178:179], v[4:5], v[158:159]
	v_add_f64_e32 v[186:187], v[174:175], v[172:173]
	v_mul_f64_e32 v[158:159], v[6:7], v[158:159]
	ds_load_b128 v[172:175], v2 offset:1536
	v_fmac_f64_e32 v[180:181], v[166:167], v[148:149]
	v_fma_f64 v[148:149], v[164:165], v[148:149], -v[150:151]
	s_wait_loadcnt_dscnt 0x900
	v_mul_f64_e32 v[166:167], v[172:173], v[170:171]
	v_mul_f64_e32 v[170:171], v[174:175], v[170:171]
	v_add_f64_e32 v[164:165], v[176:177], v[182:183]
	v_fmac_f64_e32 v[178:179], v[6:7], v[156:157]
	v_add_f64_e32 v[150:151], v[186:187], v[184:185]
	v_fma_f64 v[156:157], v[4:5], v[156:157], -v[158:159]
	v_fmac_f64_e32 v[166:167], v[174:175], v[168:169]
	v_fma_f64 v[168:169], v[172:173], v[168:169], -v[170:171]
	v_add_f64_e32 v[164:165], v[164:165], v[180:181]
	v_add_f64_e32 v[158:159], v[150:151], v[148:149]
	ds_load_b128 v[4:7], v2 offset:1552
	ds_load_b128 v[148:151], v2 offset:1568
	s_wait_loadcnt_dscnt 0x801
	v_mul_f64_e32 v[176:177], v[4:5], v[154:155]
	v_mul_f64_e32 v[154:155], v[6:7], v[154:155]
	v_add_f64_e32 v[156:157], v[158:159], v[156:157]
	v_add_f64_e32 v[158:159], v[164:165], v[178:179]
	s_wait_loadcnt_dscnt 0x700
	v_mul_f64_e32 v[164:165], v[148:149], v[10:11]
	v_mul_f64_e32 v[10:11], v[150:151], v[10:11]
	v_fmac_f64_e32 v[176:177], v[6:7], v[152:153]
	v_fma_f64 v[170:171], v[4:5], v[152:153], -v[154:155]
	ds_load_b128 v[4:7], v2 offset:1584
	ds_load_b128 v[152:155], v2 offset:1600
	v_add_f64_e32 v[156:157], v[156:157], v[168:169]
	v_add_f64_e32 v[158:159], v[158:159], v[166:167]
	v_fmac_f64_e32 v[164:165], v[150:151], v[8:9]
	v_fma_f64 v[8:9], v[148:149], v[8:9], -v[10:11]
	s_wait_loadcnt_dscnt 0x601
	v_mul_f64_e32 v[166:167], v[4:5], v[14:15]
	v_mul_f64_e32 v[14:15], v[6:7], v[14:15]
	s_wait_loadcnt_dscnt 0x500
	v_mul_f64_e32 v[150:151], v[152:153], v[126:127]
	v_mul_f64_e32 v[126:127], v[154:155], v[126:127]
	v_add_f64_e32 v[10:11], v[156:157], v[170:171]
	v_add_f64_e32 v[148:149], v[158:159], v[176:177]
	v_fmac_f64_e32 v[166:167], v[6:7], v[12:13]
	v_fma_f64 v[12:13], v[4:5], v[12:13], -v[14:15]
	v_fmac_f64_e32 v[150:151], v[154:155], v[124:125]
	v_fma_f64 v[124:125], v[152:153], v[124:125], -v[126:127]
	v_add_f64_e32 v[14:15], v[10:11], v[8:9]
	v_add_f64_e32 v[148:149], v[148:149], v[164:165]
	ds_load_b128 v[4:7], v2 offset:1616
	ds_load_b128 v[8:11], v2 offset:1632
	s_wait_loadcnt_dscnt 0x401
	v_mul_f64_e32 v[156:157], v[4:5], v[130:131]
	v_mul_f64_e32 v[130:131], v[6:7], v[130:131]
	s_wait_loadcnt_dscnt 0x300
	v_mul_f64_e32 v[126:127], v[8:9], v[134:135]
	v_mul_f64_e32 v[134:135], v[10:11], v[134:135]
	v_add_f64_e32 v[12:13], v[14:15], v[12:13]
	v_add_f64_e32 v[14:15], v[148:149], v[166:167]
	v_fmac_f64_e32 v[156:157], v[6:7], v[128:129]
	v_fma_f64 v[128:129], v[4:5], v[128:129], -v[130:131]
	v_fmac_f64_e32 v[126:127], v[10:11], v[132:133]
	v_fma_f64 v[8:9], v[8:9], v[132:133], -v[134:135]
	v_add_f64_e32 v[124:125], v[12:13], v[124:125]
	v_add_f64_e32 v[130:131], v[14:15], v[150:151]
	ds_load_b128 v[4:7], v2 offset:1648
	ds_load_b128 v[12:15], v2 offset:1664
	s_wait_loadcnt_dscnt 0x201
	v_mul_f64_e32 v[148:149], v[4:5], v[138:139]
	v_mul_f64_e32 v[138:139], v[6:7], v[138:139]
	v_add_f64_e32 v[10:11], v[124:125], v[128:129]
	v_add_f64_e32 v[124:125], v[130:131], v[156:157]
	s_wait_loadcnt_dscnt 0x100
	v_mul_f64_e32 v[128:129], v[12:13], v[142:143]
	v_mul_f64_e32 v[130:131], v[14:15], v[142:143]
	v_fmac_f64_e32 v[148:149], v[6:7], v[136:137]
	v_fma_f64 v[132:133], v[4:5], v[136:137], -v[138:139]
	ds_load_b128 v[4:7], v2 offset:1680
	v_add_f64_e32 v[8:9], v[10:11], v[8:9]
	v_add_f64_e32 v[10:11], v[124:125], v[126:127]
	v_fmac_f64_e32 v[128:129], v[14:15], v[140:141]
	v_fma_f64 v[12:13], v[12:13], v[140:141], -v[130:131]
	s_wait_loadcnt_dscnt 0x0
	v_mul_f64_e32 v[124:125], v[4:5], v[146:147]
	v_mul_f64_e32 v[126:127], v[6:7], v[146:147]
	v_add_f64_e32 v[8:9], v[8:9], v[132:133]
	v_add_f64_e32 v[10:11], v[10:11], v[148:149]
	s_delay_alu instid0(VALU_DEP_4) | instskip(NEXT) | instid1(VALU_DEP_4)
	v_fmac_f64_e32 v[124:125], v[6:7], v[144:145]
	v_fma_f64 v[4:5], v[4:5], v[144:145], -v[126:127]
	s_delay_alu instid0(VALU_DEP_4) | instskip(NEXT) | instid1(VALU_DEP_4)
	v_add_f64_e32 v[6:7], v[8:9], v[12:13]
	v_add_f64_e32 v[8:9], v[10:11], v[128:129]
	s_delay_alu instid0(VALU_DEP_2) | instskip(NEXT) | instid1(VALU_DEP_2)
	v_add_f64_e32 v[4:5], v[6:7], v[4:5]
	v_add_f64_e32 v[6:7], v[8:9], v[124:125]
	s_delay_alu instid0(VALU_DEP_2) | instskip(NEXT) | instid1(VALU_DEP_2)
	v_add_f64_e64 v[4:5], v[160:161], -v[4:5]
	v_add_f64_e64 v[6:7], v[162:163], -v[6:7]
	scratch_store_b128 off, v[4:7], off offset:496
	s_wait_xcnt 0x0
	v_cmpx_lt_u32_e32 30, v1
	s_cbranch_execz .LBB52_271
; %bb.270:
	scratch_load_b128 v[6:9], off, s52
	v_dual_mov_b32 v3, v2 :: v_dual_mov_b32 v4, v2
	v_mov_b32_e32 v5, v2
	scratch_store_b128 off, v[2:5], off offset:480
	s_wait_loadcnt 0x0
	ds_store_b128 v122, v[6:9]
.LBB52_271:
	s_wait_xcnt 0x0
	s_or_b32 exec_lo, exec_lo, s2
	s_wait_storecnt_dscnt 0x0
	s_barrier_signal -1
	s_barrier_wait -1
	s_clause 0x9
	scratch_load_b128 v[4:7], off, off offset:496
	scratch_load_b128 v[8:11], off, off offset:512
	;; [unrolled: 1-line block ×10, first 2 shown]
	ds_load_b128 v[152:155], v2 offset:1344
	ds_load_b128 v[160:163], v2 offset:1360
	s_clause 0x2
	scratch_load_b128 v[156:159], off, off offset:656
	scratch_load_b128 v[164:167], off, off offset:480
	;; [unrolled: 1-line block ×3, first 2 shown]
	s_mov_b32 s2, exec_lo
	s_wait_loadcnt_dscnt 0xc01
	v_mul_f64_e32 v[172:173], v[154:155], v[6:7]
	v_mul_f64_e32 v[176:177], v[152:153], v[6:7]
	s_wait_loadcnt_dscnt 0xb00
	v_mul_f64_e32 v[178:179], v[160:161], v[10:11]
	v_mul_f64_e32 v[10:11], v[162:163], v[10:11]
	s_delay_alu instid0(VALU_DEP_4) | instskip(NEXT) | instid1(VALU_DEP_4)
	v_fma_f64 v[180:181], v[152:153], v[4:5], -v[172:173]
	v_fmac_f64_e32 v[176:177], v[154:155], v[4:5]
	ds_load_b128 v[4:7], v2 offset:1376
	ds_load_b128 v[152:155], v2 offset:1392
	scratch_load_b128 v[172:175], off, off offset:688
	v_fmac_f64_e32 v[178:179], v[162:163], v[8:9]
	v_fma_f64 v[160:161], v[160:161], v[8:9], -v[10:11]
	scratch_load_b128 v[8:11], off, off offset:704
	s_wait_loadcnt_dscnt 0xc01
	v_mul_f64_e32 v[182:183], v[4:5], v[14:15]
	v_mul_f64_e32 v[14:15], v[6:7], v[14:15]
	v_add_f64_e32 v[162:163], 0, v[180:181]
	v_add_f64_e32 v[176:177], 0, v[176:177]
	s_wait_loadcnt_dscnt 0xb00
	v_mul_f64_e32 v[180:181], v[152:153], v[126:127]
	v_mul_f64_e32 v[126:127], v[154:155], v[126:127]
	v_fmac_f64_e32 v[182:183], v[6:7], v[12:13]
	v_fma_f64 v[184:185], v[4:5], v[12:13], -v[14:15]
	ds_load_b128 v[4:7], v2 offset:1408
	ds_load_b128 v[12:15], v2 offset:1424
	v_add_f64_e32 v[186:187], v[162:163], v[160:161]
	v_add_f64_e32 v[176:177], v[176:177], v[178:179]
	scratch_load_b128 v[160:163], off, off offset:720
	v_fmac_f64_e32 v[180:181], v[154:155], v[124:125]
	v_fma_f64 v[152:153], v[152:153], v[124:125], -v[126:127]
	scratch_load_b128 v[124:127], off, off offset:736
	s_wait_loadcnt_dscnt 0xc01
	v_mul_f64_e32 v[178:179], v[4:5], v[130:131]
	v_mul_f64_e32 v[130:131], v[6:7], v[130:131]
	v_add_f64_e32 v[154:155], v[186:187], v[184:185]
	v_add_f64_e32 v[176:177], v[176:177], v[182:183]
	s_wait_loadcnt_dscnt 0xb00
	v_mul_f64_e32 v[182:183], v[12:13], v[134:135]
	v_mul_f64_e32 v[134:135], v[14:15], v[134:135]
	v_fmac_f64_e32 v[178:179], v[6:7], v[128:129]
	v_fma_f64 v[184:185], v[4:5], v[128:129], -v[130:131]
	ds_load_b128 v[4:7], v2 offset:1440
	ds_load_b128 v[128:131], v2 offset:1456
	v_add_f64_e32 v[186:187], v[154:155], v[152:153]
	v_add_f64_e32 v[176:177], v[176:177], v[180:181]
	scratch_load_b128 v[152:155], off, off offset:752
	s_wait_loadcnt_dscnt 0xb01
	v_mul_f64_e32 v[180:181], v[4:5], v[138:139]
	v_mul_f64_e32 v[138:139], v[6:7], v[138:139]
	v_fmac_f64_e32 v[182:183], v[14:15], v[132:133]
	v_fma_f64 v[132:133], v[12:13], v[132:133], -v[134:135]
	scratch_load_b128 v[12:15], off, off offset:768
	v_add_f64_e32 v[134:135], v[186:187], v[184:185]
	v_add_f64_e32 v[176:177], v[176:177], v[178:179]
	s_wait_loadcnt_dscnt 0xb00
	v_mul_f64_e32 v[178:179], v[128:129], v[142:143]
	v_mul_f64_e32 v[142:143], v[130:131], v[142:143]
	v_fmac_f64_e32 v[180:181], v[6:7], v[136:137]
	v_fma_f64 v[184:185], v[4:5], v[136:137], -v[138:139]
	v_add_f64_e32 v[186:187], v[134:135], v[132:133]
	v_add_f64_e32 v[176:177], v[176:177], v[182:183]
	ds_load_b128 v[4:7], v2 offset:1472
	ds_load_b128 v[132:135], v2 offset:1488
	scratch_load_b128 v[136:139], off, off offset:784
	v_fmac_f64_e32 v[178:179], v[130:131], v[140:141]
	v_fma_f64 v[140:141], v[128:129], v[140:141], -v[142:143]
	scratch_load_b128 v[128:131], off, off offset:800
	s_wait_loadcnt_dscnt 0xc01
	v_mul_f64_e32 v[182:183], v[4:5], v[146:147]
	v_mul_f64_e32 v[146:147], v[6:7], v[146:147]
	v_add_f64_e32 v[142:143], v[186:187], v[184:185]
	v_add_f64_e32 v[176:177], v[176:177], v[180:181]
	s_wait_loadcnt_dscnt 0xb00
	v_mul_f64_e32 v[180:181], v[132:133], v[150:151]
	v_mul_f64_e32 v[150:151], v[134:135], v[150:151]
	v_fmac_f64_e32 v[182:183], v[6:7], v[144:145]
	v_fma_f64 v[184:185], v[4:5], v[144:145], -v[146:147]
	v_add_f64_e32 v[186:187], v[142:143], v[140:141]
	v_add_f64_e32 v[176:177], v[176:177], v[178:179]
	ds_load_b128 v[4:7], v2 offset:1504
	ds_load_b128 v[140:143], v2 offset:1520
	scratch_load_b128 v[144:147], off, off offset:816
	v_fmac_f64_e32 v[180:181], v[134:135], v[148:149]
	v_fma_f64 v[148:149], v[132:133], v[148:149], -v[150:151]
	scratch_load_b128 v[132:135], off, off offset:832
	s_wait_loadcnt_dscnt 0xc01
	v_mul_f64_e32 v[178:179], v[4:5], v[158:159]
	v_mul_f64_e32 v[158:159], v[6:7], v[158:159]
	v_add_f64_e32 v[150:151], v[186:187], v[184:185]
	v_add_f64_e32 v[176:177], v[176:177], v[182:183]
	s_wait_loadcnt_dscnt 0xa00
	v_mul_f64_e32 v[182:183], v[140:141], v[170:171]
	v_mul_f64_e32 v[170:171], v[142:143], v[170:171]
	v_fmac_f64_e32 v[178:179], v[6:7], v[156:157]
	v_fma_f64 v[156:157], v[4:5], v[156:157], -v[158:159]
	v_add_f64_e32 v[158:159], v[150:151], v[148:149]
	v_add_f64_e32 v[176:177], v[176:177], v[180:181]
	ds_load_b128 v[4:7], v2 offset:1536
	ds_load_b128 v[148:151], v2 offset:1552
	v_fmac_f64_e32 v[182:183], v[142:143], v[168:169]
	v_fma_f64 v[140:141], v[140:141], v[168:169], -v[170:171]
	s_wait_loadcnt_dscnt 0x901
	v_mul_f64_e32 v[180:181], v[4:5], v[174:175]
	v_mul_f64_e32 v[174:175], v[6:7], v[174:175]
	v_add_f64_e32 v[142:143], v[158:159], v[156:157]
	v_add_f64_e32 v[156:157], v[176:177], v[178:179]
	s_wait_loadcnt_dscnt 0x800
	v_mul_f64_e32 v[158:159], v[148:149], v[10:11]
	v_mul_f64_e32 v[10:11], v[150:151], v[10:11]
	v_fmac_f64_e32 v[180:181], v[6:7], v[172:173]
	v_fma_f64 v[168:169], v[4:5], v[172:173], -v[174:175]
	v_add_f64_e32 v[170:171], v[142:143], v[140:141]
	v_add_f64_e32 v[156:157], v[156:157], v[182:183]
	ds_load_b128 v[4:7], v2 offset:1568
	ds_load_b128 v[140:143], v2 offset:1584
	v_fmac_f64_e32 v[158:159], v[150:151], v[8:9]
	v_fma_f64 v[8:9], v[148:149], v[8:9], -v[10:11]
	s_wait_loadcnt_dscnt 0x701
	v_mul_f64_e32 v[172:173], v[4:5], v[162:163]
	v_mul_f64_e32 v[162:163], v[6:7], v[162:163]
	s_wait_loadcnt_dscnt 0x600
	v_mul_f64_e32 v[150:151], v[140:141], v[126:127]
	v_mul_f64_e32 v[126:127], v[142:143], v[126:127]
	v_add_f64_e32 v[10:11], v[170:171], v[168:169]
	v_add_f64_e32 v[148:149], v[156:157], v[180:181]
	v_fmac_f64_e32 v[172:173], v[6:7], v[160:161]
	v_fma_f64 v[156:157], v[4:5], v[160:161], -v[162:163]
	v_fmac_f64_e32 v[150:151], v[142:143], v[124:125]
	v_fma_f64 v[124:125], v[140:141], v[124:125], -v[126:127]
	v_add_f64_e32 v[160:161], v[10:11], v[8:9]
	v_add_f64_e32 v[148:149], v[148:149], v[158:159]
	ds_load_b128 v[4:7], v2 offset:1600
	ds_load_b128 v[8:11], v2 offset:1616
	s_wait_loadcnt_dscnt 0x501
	v_mul_f64_e32 v[158:159], v[4:5], v[154:155]
	v_mul_f64_e32 v[154:155], v[6:7], v[154:155]
	s_wait_loadcnt_dscnt 0x400
	v_mul_f64_e32 v[142:143], v[8:9], v[14:15]
	v_mul_f64_e32 v[14:15], v[10:11], v[14:15]
	v_add_f64_e32 v[126:127], v[160:161], v[156:157]
	v_add_f64_e32 v[140:141], v[148:149], v[172:173]
	v_fmac_f64_e32 v[158:159], v[6:7], v[152:153]
	v_fma_f64 v[148:149], v[4:5], v[152:153], -v[154:155]
	v_fmac_f64_e32 v[142:143], v[10:11], v[12:13]
	v_fma_f64 v[8:9], v[8:9], v[12:13], -v[14:15]
	v_add_f64_e32 v[152:153], v[126:127], v[124:125]
	v_add_f64_e32 v[140:141], v[140:141], v[150:151]
	ds_load_b128 v[4:7], v2 offset:1632
	ds_load_b128 v[124:127], v2 offset:1648
	;; [unrolled: 16-line block ×3, first 2 shown]
	s_wait_loadcnt_dscnt 0x101
	v_mul_f64_e32 v[2:3], v[4:5], v[146:147]
	v_mul_f64_e32 v[140:141], v[6:7], v[146:147]
	s_wait_loadcnt_dscnt 0x0
	v_mul_f64_e32 v[128:129], v[8:9], v[134:135]
	v_mul_f64_e32 v[130:131], v[10:11], v[134:135]
	v_add_f64_e32 v[126:127], v[138:139], v[136:137]
	v_add_f64_e32 v[12:13], v[12:13], v[150:151]
	v_fmac_f64_e32 v[2:3], v[6:7], v[144:145]
	v_fma_f64 v[4:5], v[4:5], v[144:145], -v[140:141]
	v_fmac_f64_e32 v[128:129], v[10:11], v[132:133]
	v_fma_f64 v[8:9], v[8:9], v[132:133], -v[130:131]
	v_add_f64_e32 v[6:7], v[126:127], v[124:125]
	v_add_f64_e32 v[12:13], v[12:13], v[14:15]
	s_delay_alu instid0(VALU_DEP_2) | instskip(NEXT) | instid1(VALU_DEP_2)
	v_add_f64_e32 v[4:5], v[6:7], v[4:5]
	v_add_f64_e32 v[2:3], v[12:13], v[2:3]
	s_delay_alu instid0(VALU_DEP_2) | instskip(NEXT) | instid1(VALU_DEP_2)
	;; [unrolled: 3-line block ×3, first 2 shown]
	v_add_f64_e64 v[2:3], v[164:165], -v[4:5]
	v_add_f64_e64 v[4:5], v[166:167], -v[6:7]
	scratch_store_b128 off, v[2:5], off offset:480
	s_wait_xcnt 0x0
	v_cmpx_lt_u32_e32 29, v1
	s_cbranch_execz .LBB52_273
; %bb.272:
	scratch_load_b128 v[2:5], off, s50
	v_mov_b32_e32 v6, 0
	s_delay_alu instid0(VALU_DEP_1)
	v_dual_mov_b32 v7, v6 :: v_dual_mov_b32 v8, v6
	v_mov_b32_e32 v9, v6
	scratch_store_b128 off, v[6:9], off offset:464
	s_wait_loadcnt 0x0
	ds_store_b128 v122, v[2:5]
.LBB52_273:
	s_wait_xcnt 0x0
	s_or_b32 exec_lo, exec_lo, s2
	s_wait_storecnt_dscnt 0x0
	s_barrier_signal -1
	s_barrier_wait -1
	s_clause 0x9
	scratch_load_b128 v[4:7], off, off offset:480
	scratch_load_b128 v[8:11], off, off offset:496
	;; [unrolled: 1-line block ×10, first 2 shown]
	v_mov_b32_e32 v2, 0
	s_mov_b32 s2, exec_lo
	ds_load_b128 v[152:155], v2 offset:1328
	s_clause 0x2
	scratch_load_b128 v[156:159], off, off offset:640
	scratch_load_b128 v[160:163], off, off offset:464
	;; [unrolled: 1-line block ×3, first 2 shown]
	s_wait_loadcnt_dscnt 0xc00
	v_mul_f64_e32 v[172:173], v[154:155], v[6:7]
	v_mul_f64_e32 v[176:177], v[152:153], v[6:7]
	ds_load_b128 v[164:167], v2 offset:1344
	v_fma_f64 v[180:181], v[152:153], v[4:5], -v[172:173]
	v_fmac_f64_e32 v[176:177], v[154:155], v[4:5]
	ds_load_b128 v[4:7], v2 offset:1360
	s_wait_loadcnt_dscnt 0xb01
	v_mul_f64_e32 v[178:179], v[164:165], v[10:11]
	v_mul_f64_e32 v[10:11], v[166:167], v[10:11]
	scratch_load_b128 v[152:155], off, off offset:672
	ds_load_b128 v[172:175], v2 offset:1376
	s_wait_loadcnt_dscnt 0xb01
	v_mul_f64_e32 v[182:183], v[4:5], v[14:15]
	v_mul_f64_e32 v[14:15], v[6:7], v[14:15]
	v_add_f64_e32 v[176:177], 0, v[176:177]
	v_fmac_f64_e32 v[178:179], v[166:167], v[8:9]
	v_fma_f64 v[164:165], v[164:165], v[8:9], -v[10:11]
	v_add_f64_e32 v[166:167], 0, v[180:181]
	scratch_load_b128 v[8:11], off, off offset:688
	v_fmac_f64_e32 v[182:183], v[6:7], v[12:13]
	v_fma_f64 v[184:185], v[4:5], v[12:13], -v[14:15]
	ds_load_b128 v[4:7], v2 offset:1392
	s_wait_loadcnt_dscnt 0xb01
	v_mul_f64_e32 v[180:181], v[172:173], v[126:127]
	v_mul_f64_e32 v[126:127], v[174:175], v[126:127]
	scratch_load_b128 v[12:15], off, off offset:704
	v_add_f64_e32 v[176:177], v[176:177], v[178:179]
	v_add_f64_e32 v[186:187], v[166:167], v[164:165]
	ds_load_b128 v[164:167], v2 offset:1408
	s_wait_loadcnt_dscnt 0xb01
	v_mul_f64_e32 v[178:179], v[4:5], v[130:131]
	v_mul_f64_e32 v[130:131], v[6:7], v[130:131]
	v_fmac_f64_e32 v[180:181], v[174:175], v[124:125]
	v_fma_f64 v[172:173], v[172:173], v[124:125], -v[126:127]
	scratch_load_b128 v[124:127], off, off offset:720
	v_add_f64_e32 v[176:177], v[176:177], v[182:183]
	v_add_f64_e32 v[174:175], v[186:187], v[184:185]
	v_fmac_f64_e32 v[178:179], v[6:7], v[128:129]
	v_fma_f64 v[184:185], v[4:5], v[128:129], -v[130:131]
	ds_load_b128 v[4:7], v2 offset:1424
	s_wait_loadcnt_dscnt 0xb01
	v_mul_f64_e32 v[182:183], v[164:165], v[134:135]
	v_mul_f64_e32 v[134:135], v[166:167], v[134:135]
	scratch_load_b128 v[128:131], off, off offset:736
	v_add_f64_e32 v[176:177], v[176:177], v[180:181]
	s_wait_loadcnt_dscnt 0xb00
	v_mul_f64_e32 v[180:181], v[4:5], v[138:139]
	v_add_f64_e32 v[186:187], v[174:175], v[172:173]
	v_mul_f64_e32 v[138:139], v[6:7], v[138:139]
	ds_load_b128 v[172:175], v2 offset:1440
	v_fmac_f64_e32 v[182:183], v[166:167], v[132:133]
	v_fma_f64 v[164:165], v[164:165], v[132:133], -v[134:135]
	scratch_load_b128 v[132:135], off, off offset:752
	v_add_f64_e32 v[176:177], v[176:177], v[178:179]
	v_fmac_f64_e32 v[180:181], v[6:7], v[136:137]
	v_add_f64_e32 v[166:167], v[186:187], v[184:185]
	v_fma_f64 v[184:185], v[4:5], v[136:137], -v[138:139]
	ds_load_b128 v[4:7], v2 offset:1456
	s_wait_loadcnt_dscnt 0xb01
	v_mul_f64_e32 v[178:179], v[172:173], v[142:143]
	v_mul_f64_e32 v[142:143], v[174:175], v[142:143]
	scratch_load_b128 v[136:139], off, off offset:768
	v_add_f64_e32 v[176:177], v[176:177], v[182:183]
	s_wait_loadcnt_dscnt 0xb00
	v_mul_f64_e32 v[182:183], v[4:5], v[146:147]
	v_add_f64_e32 v[186:187], v[166:167], v[164:165]
	v_mul_f64_e32 v[146:147], v[6:7], v[146:147]
	ds_load_b128 v[164:167], v2 offset:1472
	v_fmac_f64_e32 v[178:179], v[174:175], v[140:141]
	v_fma_f64 v[172:173], v[172:173], v[140:141], -v[142:143]
	scratch_load_b128 v[140:143], off, off offset:784
	v_add_f64_e32 v[176:177], v[176:177], v[180:181]
	v_fmac_f64_e32 v[182:183], v[6:7], v[144:145]
	v_add_f64_e32 v[174:175], v[186:187], v[184:185]
	;; [unrolled: 18-line block ×3, first 2 shown]
	v_fma_f64 v[184:185], v[4:5], v[156:157], -v[158:159]
	ds_load_b128 v[4:7], v2 offset:1520
	s_wait_loadcnt_dscnt 0xa01
	v_mul_f64_e32 v[182:183], v[172:173], v[170:171]
	v_mul_f64_e32 v[170:171], v[174:175], v[170:171]
	scratch_load_b128 v[156:159], off, off offset:832
	v_add_f64_e32 v[176:177], v[176:177], v[180:181]
	v_add_f64_e32 v[186:187], v[166:167], v[164:165]
	s_wait_loadcnt_dscnt 0xa00
	v_mul_f64_e32 v[180:181], v[4:5], v[154:155]
	v_mul_f64_e32 v[154:155], v[6:7], v[154:155]
	v_fmac_f64_e32 v[182:183], v[174:175], v[168:169]
	v_fma_f64 v[168:169], v[172:173], v[168:169], -v[170:171]
	ds_load_b128 v[164:167], v2 offset:1536
	v_add_f64_e32 v[172:173], v[176:177], v[178:179]
	v_add_f64_e32 v[170:171], v[186:187], v[184:185]
	s_wait_loadcnt_dscnt 0x900
	v_mul_f64_e32 v[174:175], v[164:165], v[10:11]
	v_mul_f64_e32 v[10:11], v[166:167], v[10:11]
	v_fmac_f64_e32 v[180:181], v[6:7], v[152:153]
	v_fma_f64 v[176:177], v[4:5], v[152:153], -v[154:155]
	ds_load_b128 v[4:7], v2 offset:1552
	ds_load_b128 v[152:155], v2 offset:1568
	v_add_f64_e32 v[168:169], v[170:171], v[168:169]
	v_add_f64_e32 v[170:171], v[172:173], v[182:183]
	s_wait_loadcnt_dscnt 0x801
	v_mul_f64_e32 v[172:173], v[4:5], v[14:15]
	v_mul_f64_e32 v[14:15], v[6:7], v[14:15]
	v_fmac_f64_e32 v[174:175], v[166:167], v[8:9]
	v_fma_f64 v[8:9], v[164:165], v[8:9], -v[10:11]
	s_wait_loadcnt_dscnt 0x700
	v_mul_f64_e32 v[166:167], v[152:153], v[126:127]
	v_mul_f64_e32 v[126:127], v[154:155], v[126:127]
	v_add_f64_e32 v[10:11], v[168:169], v[176:177]
	v_add_f64_e32 v[164:165], v[170:171], v[180:181]
	v_fmac_f64_e32 v[172:173], v[6:7], v[12:13]
	v_fma_f64 v[12:13], v[4:5], v[12:13], -v[14:15]
	v_fmac_f64_e32 v[166:167], v[154:155], v[124:125]
	v_fma_f64 v[124:125], v[152:153], v[124:125], -v[126:127]
	v_add_f64_e32 v[14:15], v[10:11], v[8:9]
	v_add_f64_e32 v[164:165], v[164:165], v[174:175]
	ds_load_b128 v[4:7], v2 offset:1584
	ds_load_b128 v[8:11], v2 offset:1600
	s_wait_loadcnt_dscnt 0x601
	v_mul_f64_e32 v[168:169], v[4:5], v[130:131]
	v_mul_f64_e32 v[130:131], v[6:7], v[130:131]
	s_wait_loadcnt_dscnt 0x500
	v_mul_f64_e32 v[126:127], v[8:9], v[134:135]
	v_mul_f64_e32 v[134:135], v[10:11], v[134:135]
	v_add_f64_e32 v[12:13], v[14:15], v[12:13]
	v_add_f64_e32 v[14:15], v[164:165], v[172:173]
	v_fmac_f64_e32 v[168:169], v[6:7], v[128:129]
	v_fma_f64 v[128:129], v[4:5], v[128:129], -v[130:131]
	v_fmac_f64_e32 v[126:127], v[10:11], v[132:133]
	v_fma_f64 v[8:9], v[8:9], v[132:133], -v[134:135]
	v_add_f64_e32 v[124:125], v[12:13], v[124:125]
	v_add_f64_e32 v[130:131], v[14:15], v[166:167]
	ds_load_b128 v[4:7], v2 offset:1616
	ds_load_b128 v[12:15], v2 offset:1632
	s_wait_loadcnt_dscnt 0x401
	v_mul_f64_e32 v[152:153], v[4:5], v[138:139]
	v_mul_f64_e32 v[138:139], v[6:7], v[138:139]
	v_add_f64_e32 v[10:11], v[124:125], v[128:129]
	v_add_f64_e32 v[124:125], v[130:131], v[168:169]
	s_wait_loadcnt_dscnt 0x300
	v_mul_f64_e32 v[128:129], v[12:13], v[142:143]
	v_mul_f64_e32 v[130:131], v[14:15], v[142:143]
	v_fmac_f64_e32 v[152:153], v[6:7], v[136:137]
	v_fma_f64 v[132:133], v[4:5], v[136:137], -v[138:139]
	v_add_f64_e32 v[134:135], v[10:11], v[8:9]
	v_add_f64_e32 v[124:125], v[124:125], v[126:127]
	ds_load_b128 v[4:7], v2 offset:1648
	ds_load_b128 v[8:11], v2 offset:1664
	v_fmac_f64_e32 v[128:129], v[14:15], v[140:141]
	v_fma_f64 v[12:13], v[12:13], v[140:141], -v[130:131]
	s_wait_loadcnt_dscnt 0x201
	v_mul_f64_e32 v[126:127], v[4:5], v[146:147]
	v_mul_f64_e32 v[136:137], v[6:7], v[146:147]
	s_wait_loadcnt_dscnt 0x100
	v_mul_f64_e32 v[130:131], v[8:9], v[150:151]
	v_add_f64_e32 v[14:15], v[134:135], v[132:133]
	v_add_f64_e32 v[124:125], v[124:125], v[152:153]
	v_mul_f64_e32 v[132:133], v[10:11], v[150:151]
	v_fmac_f64_e32 v[126:127], v[6:7], v[144:145]
	v_fma_f64 v[134:135], v[4:5], v[144:145], -v[136:137]
	ds_load_b128 v[4:7], v2 offset:1680
	v_fmac_f64_e32 v[130:131], v[10:11], v[148:149]
	v_add_f64_e32 v[12:13], v[14:15], v[12:13]
	v_add_f64_e32 v[14:15], v[124:125], v[128:129]
	v_fma_f64 v[8:9], v[8:9], v[148:149], -v[132:133]
	s_wait_loadcnt_dscnt 0x0
	v_mul_f64_e32 v[124:125], v[4:5], v[158:159]
	v_mul_f64_e32 v[128:129], v[6:7], v[158:159]
	v_add_f64_e32 v[10:11], v[12:13], v[134:135]
	v_add_f64_e32 v[12:13], v[14:15], v[126:127]
	s_delay_alu instid0(VALU_DEP_4) | instskip(NEXT) | instid1(VALU_DEP_4)
	v_fmac_f64_e32 v[124:125], v[6:7], v[156:157]
	v_fma_f64 v[4:5], v[4:5], v[156:157], -v[128:129]
	s_delay_alu instid0(VALU_DEP_4) | instskip(NEXT) | instid1(VALU_DEP_4)
	v_add_f64_e32 v[6:7], v[10:11], v[8:9]
	v_add_f64_e32 v[8:9], v[12:13], v[130:131]
	s_delay_alu instid0(VALU_DEP_2) | instskip(NEXT) | instid1(VALU_DEP_2)
	v_add_f64_e32 v[4:5], v[6:7], v[4:5]
	v_add_f64_e32 v[6:7], v[8:9], v[124:125]
	s_delay_alu instid0(VALU_DEP_2) | instskip(NEXT) | instid1(VALU_DEP_2)
	v_add_f64_e64 v[4:5], v[160:161], -v[4:5]
	v_add_f64_e64 v[6:7], v[162:163], -v[6:7]
	scratch_store_b128 off, v[4:7], off offset:464
	s_wait_xcnt 0x0
	v_cmpx_lt_u32_e32 28, v1
	s_cbranch_execz .LBB52_275
; %bb.274:
	scratch_load_b128 v[6:9], off, s46
	v_dual_mov_b32 v3, v2 :: v_dual_mov_b32 v4, v2
	v_mov_b32_e32 v5, v2
	scratch_store_b128 off, v[2:5], off offset:448
	s_wait_loadcnt 0x0
	ds_store_b128 v122, v[6:9]
.LBB52_275:
	s_wait_xcnt 0x0
	s_or_b32 exec_lo, exec_lo, s2
	s_wait_storecnt_dscnt 0x0
	s_barrier_signal -1
	s_barrier_wait -1
	s_clause 0x9
	scratch_load_b128 v[4:7], off, off offset:464
	scratch_load_b128 v[8:11], off, off offset:480
	scratch_load_b128 v[12:15], off, off offset:496
	scratch_load_b128 v[124:127], off, off offset:512
	scratch_load_b128 v[128:131], off, off offset:528
	scratch_load_b128 v[132:135], off, off offset:544
	scratch_load_b128 v[136:139], off, off offset:560
	scratch_load_b128 v[140:143], off, off offset:576
	scratch_load_b128 v[144:147], off, off offset:592
	scratch_load_b128 v[148:151], off, off offset:608
	ds_load_b128 v[152:155], v2 offset:1312
	ds_load_b128 v[160:163], v2 offset:1328
	s_clause 0x2
	scratch_load_b128 v[156:159], off, off offset:624
	scratch_load_b128 v[164:167], off, off offset:448
	;; [unrolled: 1-line block ×3, first 2 shown]
	s_mov_b32 s2, exec_lo
	s_wait_loadcnt_dscnt 0xc01
	v_mul_f64_e32 v[172:173], v[154:155], v[6:7]
	v_mul_f64_e32 v[176:177], v[152:153], v[6:7]
	s_wait_loadcnt_dscnt 0xb00
	v_mul_f64_e32 v[178:179], v[160:161], v[10:11]
	v_mul_f64_e32 v[10:11], v[162:163], v[10:11]
	s_delay_alu instid0(VALU_DEP_4) | instskip(NEXT) | instid1(VALU_DEP_4)
	v_fma_f64 v[180:181], v[152:153], v[4:5], -v[172:173]
	v_fmac_f64_e32 v[176:177], v[154:155], v[4:5]
	ds_load_b128 v[4:7], v2 offset:1344
	ds_load_b128 v[152:155], v2 offset:1360
	scratch_load_b128 v[172:175], off, off offset:656
	v_fmac_f64_e32 v[178:179], v[162:163], v[8:9]
	v_fma_f64 v[160:161], v[160:161], v[8:9], -v[10:11]
	scratch_load_b128 v[8:11], off, off offset:672
	s_wait_loadcnt_dscnt 0xc01
	v_mul_f64_e32 v[182:183], v[4:5], v[14:15]
	v_mul_f64_e32 v[14:15], v[6:7], v[14:15]
	v_add_f64_e32 v[162:163], 0, v[180:181]
	v_add_f64_e32 v[176:177], 0, v[176:177]
	s_wait_loadcnt_dscnt 0xb00
	v_mul_f64_e32 v[180:181], v[152:153], v[126:127]
	v_mul_f64_e32 v[126:127], v[154:155], v[126:127]
	v_fmac_f64_e32 v[182:183], v[6:7], v[12:13]
	v_fma_f64 v[184:185], v[4:5], v[12:13], -v[14:15]
	ds_load_b128 v[4:7], v2 offset:1376
	ds_load_b128 v[12:15], v2 offset:1392
	v_add_f64_e32 v[186:187], v[162:163], v[160:161]
	v_add_f64_e32 v[176:177], v[176:177], v[178:179]
	scratch_load_b128 v[160:163], off, off offset:688
	v_fmac_f64_e32 v[180:181], v[154:155], v[124:125]
	v_fma_f64 v[152:153], v[152:153], v[124:125], -v[126:127]
	scratch_load_b128 v[124:127], off, off offset:704
	s_wait_loadcnt_dscnt 0xc01
	v_mul_f64_e32 v[178:179], v[4:5], v[130:131]
	v_mul_f64_e32 v[130:131], v[6:7], v[130:131]
	v_add_f64_e32 v[154:155], v[186:187], v[184:185]
	v_add_f64_e32 v[176:177], v[176:177], v[182:183]
	s_wait_loadcnt_dscnt 0xb00
	v_mul_f64_e32 v[182:183], v[12:13], v[134:135]
	v_mul_f64_e32 v[134:135], v[14:15], v[134:135]
	v_fmac_f64_e32 v[178:179], v[6:7], v[128:129]
	v_fma_f64 v[184:185], v[4:5], v[128:129], -v[130:131]
	ds_load_b128 v[4:7], v2 offset:1408
	ds_load_b128 v[128:131], v2 offset:1424
	v_add_f64_e32 v[186:187], v[154:155], v[152:153]
	v_add_f64_e32 v[176:177], v[176:177], v[180:181]
	scratch_load_b128 v[152:155], off, off offset:720
	s_wait_loadcnt_dscnt 0xb01
	v_mul_f64_e32 v[180:181], v[4:5], v[138:139]
	v_mul_f64_e32 v[138:139], v[6:7], v[138:139]
	v_fmac_f64_e32 v[182:183], v[14:15], v[132:133]
	v_fma_f64 v[132:133], v[12:13], v[132:133], -v[134:135]
	scratch_load_b128 v[12:15], off, off offset:736
	v_add_f64_e32 v[134:135], v[186:187], v[184:185]
	v_add_f64_e32 v[176:177], v[176:177], v[178:179]
	s_wait_loadcnt_dscnt 0xb00
	v_mul_f64_e32 v[178:179], v[128:129], v[142:143]
	v_mul_f64_e32 v[142:143], v[130:131], v[142:143]
	v_fmac_f64_e32 v[180:181], v[6:7], v[136:137]
	v_fma_f64 v[184:185], v[4:5], v[136:137], -v[138:139]
	v_add_f64_e32 v[186:187], v[134:135], v[132:133]
	v_add_f64_e32 v[176:177], v[176:177], v[182:183]
	ds_load_b128 v[4:7], v2 offset:1440
	ds_load_b128 v[132:135], v2 offset:1456
	scratch_load_b128 v[136:139], off, off offset:752
	v_fmac_f64_e32 v[178:179], v[130:131], v[140:141]
	v_fma_f64 v[140:141], v[128:129], v[140:141], -v[142:143]
	scratch_load_b128 v[128:131], off, off offset:768
	s_wait_loadcnt_dscnt 0xc01
	v_mul_f64_e32 v[182:183], v[4:5], v[146:147]
	v_mul_f64_e32 v[146:147], v[6:7], v[146:147]
	v_add_f64_e32 v[142:143], v[186:187], v[184:185]
	v_add_f64_e32 v[176:177], v[176:177], v[180:181]
	s_wait_loadcnt_dscnt 0xb00
	v_mul_f64_e32 v[180:181], v[132:133], v[150:151]
	v_mul_f64_e32 v[150:151], v[134:135], v[150:151]
	v_fmac_f64_e32 v[182:183], v[6:7], v[144:145]
	v_fma_f64 v[184:185], v[4:5], v[144:145], -v[146:147]
	v_add_f64_e32 v[186:187], v[142:143], v[140:141]
	v_add_f64_e32 v[176:177], v[176:177], v[178:179]
	ds_load_b128 v[4:7], v2 offset:1472
	ds_load_b128 v[140:143], v2 offset:1488
	scratch_load_b128 v[144:147], off, off offset:784
	v_fmac_f64_e32 v[180:181], v[134:135], v[148:149]
	v_fma_f64 v[148:149], v[132:133], v[148:149], -v[150:151]
	scratch_load_b128 v[132:135], off, off offset:800
	s_wait_loadcnt_dscnt 0xc01
	v_mul_f64_e32 v[178:179], v[4:5], v[158:159]
	v_mul_f64_e32 v[158:159], v[6:7], v[158:159]
	;; [unrolled: 18-line block ×3, first 2 shown]
	v_add_f64_e32 v[170:171], v[186:187], v[184:185]
	v_add_f64_e32 v[176:177], v[176:177], v[178:179]
	s_wait_loadcnt_dscnt 0xa00
	v_mul_f64_e32 v[178:179], v[148:149], v[10:11]
	v_mul_f64_e32 v[10:11], v[150:151], v[10:11]
	v_fmac_f64_e32 v[180:181], v[6:7], v[172:173]
	v_fma_f64 v[172:173], v[4:5], v[172:173], -v[174:175]
	v_add_f64_e32 v[174:175], v[170:171], v[168:169]
	v_add_f64_e32 v[176:177], v[176:177], v[182:183]
	ds_load_b128 v[4:7], v2 offset:1536
	ds_load_b128 v[168:171], v2 offset:1552
	v_fmac_f64_e32 v[178:179], v[150:151], v[8:9]
	v_fma_f64 v[8:9], v[148:149], v[8:9], -v[10:11]
	s_wait_loadcnt_dscnt 0x901
	v_mul_f64_e32 v[182:183], v[4:5], v[162:163]
	v_mul_f64_e32 v[162:163], v[6:7], v[162:163]
	s_wait_loadcnt_dscnt 0x800
	v_mul_f64_e32 v[150:151], v[168:169], v[126:127]
	v_mul_f64_e32 v[126:127], v[170:171], v[126:127]
	v_add_f64_e32 v[10:11], v[174:175], v[172:173]
	v_add_f64_e32 v[148:149], v[176:177], v[180:181]
	v_fmac_f64_e32 v[182:183], v[6:7], v[160:161]
	v_fma_f64 v[160:161], v[4:5], v[160:161], -v[162:163]
	v_fmac_f64_e32 v[150:151], v[170:171], v[124:125]
	v_fma_f64 v[124:125], v[168:169], v[124:125], -v[126:127]
	v_add_f64_e32 v[162:163], v[10:11], v[8:9]
	v_add_f64_e32 v[148:149], v[148:149], v[178:179]
	ds_load_b128 v[4:7], v2 offset:1568
	ds_load_b128 v[8:11], v2 offset:1584
	s_wait_loadcnt_dscnt 0x701
	v_mul_f64_e32 v[172:173], v[4:5], v[154:155]
	v_mul_f64_e32 v[154:155], v[6:7], v[154:155]
	v_add_f64_e32 v[126:127], v[162:163], v[160:161]
	v_add_f64_e32 v[148:149], v[148:149], v[182:183]
	s_wait_loadcnt_dscnt 0x600
	v_mul_f64_e32 v[160:161], v[8:9], v[14:15]
	v_mul_f64_e32 v[14:15], v[10:11], v[14:15]
	v_fmac_f64_e32 v[172:173], v[6:7], v[152:153]
	v_fma_f64 v[152:153], v[4:5], v[152:153], -v[154:155]
	v_add_f64_e32 v[154:155], v[126:127], v[124:125]
	v_add_f64_e32 v[148:149], v[148:149], v[150:151]
	ds_load_b128 v[4:7], v2 offset:1600
	ds_load_b128 v[124:127], v2 offset:1616
	v_fmac_f64_e32 v[160:161], v[10:11], v[12:13]
	v_fma_f64 v[8:9], v[8:9], v[12:13], -v[14:15]
	s_wait_loadcnt_dscnt 0x501
	v_mul_f64_e32 v[150:151], v[4:5], v[138:139]
	v_mul_f64_e32 v[138:139], v[6:7], v[138:139]
	s_wait_loadcnt_dscnt 0x400
	v_mul_f64_e32 v[14:15], v[124:125], v[130:131]
	v_mul_f64_e32 v[130:131], v[126:127], v[130:131]
	v_add_f64_e32 v[10:11], v[154:155], v[152:153]
	v_add_f64_e32 v[12:13], v[148:149], v[172:173]
	v_fmac_f64_e32 v[150:151], v[6:7], v[136:137]
	v_fma_f64 v[136:137], v[4:5], v[136:137], -v[138:139]
	v_fmac_f64_e32 v[14:15], v[126:127], v[128:129]
	v_fma_f64 v[124:125], v[124:125], v[128:129], -v[130:131]
	v_add_f64_e32 v[138:139], v[10:11], v[8:9]
	v_add_f64_e32 v[12:13], v[12:13], v[160:161]
	ds_load_b128 v[4:7], v2 offset:1632
	ds_load_b128 v[8:11], v2 offset:1648
	s_wait_loadcnt_dscnt 0x301
	v_mul_f64_e32 v[148:149], v[4:5], v[146:147]
	v_mul_f64_e32 v[146:147], v[6:7], v[146:147]
	s_wait_loadcnt_dscnt 0x200
	v_mul_f64_e32 v[128:129], v[8:9], v[134:135]
	v_mul_f64_e32 v[130:131], v[10:11], v[134:135]
	v_add_f64_e32 v[126:127], v[138:139], v[136:137]
	v_add_f64_e32 v[12:13], v[12:13], v[150:151]
	v_fmac_f64_e32 v[148:149], v[6:7], v[144:145]
	v_fma_f64 v[134:135], v[4:5], v[144:145], -v[146:147]
	v_fmac_f64_e32 v[128:129], v[10:11], v[132:133]
	v_fma_f64 v[8:9], v[8:9], v[132:133], -v[130:131]
	v_add_f64_e32 v[124:125], v[126:127], v[124:125]
	v_add_f64_e32 v[126:127], v[12:13], v[14:15]
	ds_load_b128 v[4:7], v2 offset:1664
	ds_load_b128 v[12:15], v2 offset:1680
	s_wait_loadcnt_dscnt 0x101
	v_mul_f64_e32 v[2:3], v[4:5], v[158:159]
	v_mul_f64_e32 v[136:137], v[6:7], v[158:159]
	s_wait_loadcnt_dscnt 0x0
	v_mul_f64_e32 v[130:131], v[14:15], v[142:143]
	v_add_f64_e32 v[10:11], v[124:125], v[134:135]
	v_add_f64_e32 v[124:125], v[126:127], v[148:149]
	v_mul_f64_e32 v[126:127], v[12:13], v[142:143]
	v_fmac_f64_e32 v[2:3], v[6:7], v[156:157]
	v_fma_f64 v[4:5], v[4:5], v[156:157], -v[136:137]
	v_add_f64_e32 v[6:7], v[10:11], v[8:9]
	v_add_f64_e32 v[8:9], v[124:125], v[128:129]
	v_fmac_f64_e32 v[126:127], v[14:15], v[140:141]
	v_fma_f64 v[10:11], v[12:13], v[140:141], -v[130:131]
	s_delay_alu instid0(VALU_DEP_4) | instskip(NEXT) | instid1(VALU_DEP_4)
	v_add_f64_e32 v[4:5], v[6:7], v[4:5]
	v_add_f64_e32 v[2:3], v[8:9], v[2:3]
	s_delay_alu instid0(VALU_DEP_2) | instskip(NEXT) | instid1(VALU_DEP_2)
	v_add_f64_e32 v[4:5], v[4:5], v[10:11]
	v_add_f64_e32 v[6:7], v[2:3], v[126:127]
	s_delay_alu instid0(VALU_DEP_2) | instskip(NEXT) | instid1(VALU_DEP_2)
	v_add_f64_e64 v[2:3], v[164:165], -v[4:5]
	v_add_f64_e64 v[4:5], v[166:167], -v[6:7]
	scratch_store_b128 off, v[2:5], off offset:448
	s_wait_xcnt 0x0
	v_cmpx_lt_u32_e32 27, v1
	s_cbranch_execz .LBB52_277
; %bb.276:
	scratch_load_b128 v[2:5], off, s43
	v_mov_b32_e32 v6, 0
	s_delay_alu instid0(VALU_DEP_1)
	v_dual_mov_b32 v7, v6 :: v_dual_mov_b32 v8, v6
	v_mov_b32_e32 v9, v6
	scratch_store_b128 off, v[6:9], off offset:432
	s_wait_loadcnt 0x0
	ds_store_b128 v122, v[2:5]
.LBB52_277:
	s_wait_xcnt 0x0
	s_or_b32 exec_lo, exec_lo, s2
	s_wait_storecnt_dscnt 0x0
	s_barrier_signal -1
	s_barrier_wait -1
	s_clause 0x9
	scratch_load_b128 v[4:7], off, off offset:448
	scratch_load_b128 v[8:11], off, off offset:464
	;; [unrolled: 1-line block ×10, first 2 shown]
	v_mov_b32_e32 v2, 0
	s_mov_b32 s2, exec_lo
	ds_load_b128 v[152:155], v2 offset:1296
	s_clause 0x2
	scratch_load_b128 v[156:159], off, off offset:608
	scratch_load_b128 v[160:163], off, off offset:432
	;; [unrolled: 1-line block ×3, first 2 shown]
	s_wait_loadcnt_dscnt 0xc00
	v_mul_f64_e32 v[172:173], v[154:155], v[6:7]
	v_mul_f64_e32 v[176:177], v[152:153], v[6:7]
	ds_load_b128 v[164:167], v2 offset:1312
	v_fma_f64 v[180:181], v[152:153], v[4:5], -v[172:173]
	v_fmac_f64_e32 v[176:177], v[154:155], v[4:5]
	ds_load_b128 v[4:7], v2 offset:1328
	s_wait_loadcnt_dscnt 0xb01
	v_mul_f64_e32 v[178:179], v[164:165], v[10:11]
	v_mul_f64_e32 v[10:11], v[166:167], v[10:11]
	scratch_load_b128 v[152:155], off, off offset:640
	ds_load_b128 v[172:175], v2 offset:1344
	s_wait_loadcnt_dscnt 0xb01
	v_mul_f64_e32 v[182:183], v[4:5], v[14:15]
	v_mul_f64_e32 v[14:15], v[6:7], v[14:15]
	v_add_f64_e32 v[176:177], 0, v[176:177]
	v_fmac_f64_e32 v[178:179], v[166:167], v[8:9]
	v_fma_f64 v[164:165], v[164:165], v[8:9], -v[10:11]
	v_add_f64_e32 v[166:167], 0, v[180:181]
	scratch_load_b128 v[8:11], off, off offset:656
	v_fmac_f64_e32 v[182:183], v[6:7], v[12:13]
	v_fma_f64 v[184:185], v[4:5], v[12:13], -v[14:15]
	ds_load_b128 v[4:7], v2 offset:1360
	s_wait_loadcnt_dscnt 0xb01
	v_mul_f64_e32 v[180:181], v[172:173], v[126:127]
	v_mul_f64_e32 v[126:127], v[174:175], v[126:127]
	scratch_load_b128 v[12:15], off, off offset:672
	v_add_f64_e32 v[176:177], v[176:177], v[178:179]
	v_add_f64_e32 v[186:187], v[166:167], v[164:165]
	ds_load_b128 v[164:167], v2 offset:1376
	s_wait_loadcnt_dscnt 0xb01
	v_mul_f64_e32 v[178:179], v[4:5], v[130:131]
	v_mul_f64_e32 v[130:131], v[6:7], v[130:131]
	v_fmac_f64_e32 v[180:181], v[174:175], v[124:125]
	v_fma_f64 v[172:173], v[172:173], v[124:125], -v[126:127]
	scratch_load_b128 v[124:127], off, off offset:688
	v_add_f64_e32 v[176:177], v[176:177], v[182:183]
	v_add_f64_e32 v[174:175], v[186:187], v[184:185]
	v_fmac_f64_e32 v[178:179], v[6:7], v[128:129]
	v_fma_f64 v[184:185], v[4:5], v[128:129], -v[130:131]
	ds_load_b128 v[4:7], v2 offset:1392
	s_wait_loadcnt_dscnt 0xb01
	v_mul_f64_e32 v[182:183], v[164:165], v[134:135]
	v_mul_f64_e32 v[134:135], v[166:167], v[134:135]
	scratch_load_b128 v[128:131], off, off offset:704
	v_add_f64_e32 v[176:177], v[176:177], v[180:181]
	s_wait_loadcnt_dscnt 0xb00
	v_mul_f64_e32 v[180:181], v[4:5], v[138:139]
	v_add_f64_e32 v[186:187], v[174:175], v[172:173]
	v_mul_f64_e32 v[138:139], v[6:7], v[138:139]
	ds_load_b128 v[172:175], v2 offset:1408
	v_fmac_f64_e32 v[182:183], v[166:167], v[132:133]
	v_fma_f64 v[164:165], v[164:165], v[132:133], -v[134:135]
	scratch_load_b128 v[132:135], off, off offset:720
	v_add_f64_e32 v[176:177], v[176:177], v[178:179]
	v_fmac_f64_e32 v[180:181], v[6:7], v[136:137]
	v_add_f64_e32 v[166:167], v[186:187], v[184:185]
	v_fma_f64 v[184:185], v[4:5], v[136:137], -v[138:139]
	ds_load_b128 v[4:7], v2 offset:1424
	s_wait_loadcnt_dscnt 0xb01
	v_mul_f64_e32 v[178:179], v[172:173], v[142:143]
	v_mul_f64_e32 v[142:143], v[174:175], v[142:143]
	scratch_load_b128 v[136:139], off, off offset:736
	v_add_f64_e32 v[176:177], v[176:177], v[182:183]
	s_wait_loadcnt_dscnt 0xb00
	v_mul_f64_e32 v[182:183], v[4:5], v[146:147]
	v_add_f64_e32 v[186:187], v[166:167], v[164:165]
	v_mul_f64_e32 v[146:147], v[6:7], v[146:147]
	ds_load_b128 v[164:167], v2 offset:1440
	v_fmac_f64_e32 v[178:179], v[174:175], v[140:141]
	v_fma_f64 v[172:173], v[172:173], v[140:141], -v[142:143]
	scratch_load_b128 v[140:143], off, off offset:752
	v_add_f64_e32 v[176:177], v[176:177], v[180:181]
	v_fmac_f64_e32 v[182:183], v[6:7], v[144:145]
	v_add_f64_e32 v[174:175], v[186:187], v[184:185]
	;; [unrolled: 18-line block ×3, first 2 shown]
	v_fma_f64 v[184:185], v[4:5], v[156:157], -v[158:159]
	ds_load_b128 v[4:7], v2 offset:1488
	s_wait_loadcnt_dscnt 0xa01
	v_mul_f64_e32 v[182:183], v[172:173], v[170:171]
	v_mul_f64_e32 v[170:171], v[174:175], v[170:171]
	scratch_load_b128 v[156:159], off, off offset:800
	v_add_f64_e32 v[176:177], v[176:177], v[180:181]
	v_add_f64_e32 v[186:187], v[166:167], v[164:165]
	s_wait_loadcnt_dscnt 0xa00
	v_mul_f64_e32 v[180:181], v[4:5], v[154:155]
	v_mul_f64_e32 v[154:155], v[6:7], v[154:155]
	v_fmac_f64_e32 v[182:183], v[174:175], v[168:169]
	v_fma_f64 v[172:173], v[172:173], v[168:169], -v[170:171]
	ds_load_b128 v[164:167], v2 offset:1504
	scratch_load_b128 v[168:171], off, off offset:816
	v_add_f64_e32 v[176:177], v[176:177], v[178:179]
	v_add_f64_e32 v[174:175], v[186:187], v[184:185]
	v_fmac_f64_e32 v[180:181], v[6:7], v[152:153]
	v_fma_f64 v[184:185], v[4:5], v[152:153], -v[154:155]
	ds_load_b128 v[4:7], v2 offset:1520
	s_wait_loadcnt_dscnt 0xa01
	v_mul_f64_e32 v[178:179], v[164:165], v[10:11]
	v_mul_f64_e32 v[10:11], v[166:167], v[10:11]
	scratch_load_b128 v[152:155], off, off offset:832
	v_add_f64_e32 v[176:177], v[176:177], v[182:183]
	s_wait_loadcnt_dscnt 0xa00
	v_mul_f64_e32 v[182:183], v[4:5], v[14:15]
	v_add_f64_e32 v[186:187], v[174:175], v[172:173]
	v_mul_f64_e32 v[14:15], v[6:7], v[14:15]
	ds_load_b128 v[172:175], v2 offset:1536
	v_fmac_f64_e32 v[178:179], v[166:167], v[8:9]
	v_fma_f64 v[8:9], v[164:165], v[8:9], -v[10:11]
	s_wait_loadcnt_dscnt 0x900
	v_mul_f64_e32 v[166:167], v[172:173], v[126:127]
	v_mul_f64_e32 v[126:127], v[174:175], v[126:127]
	v_add_f64_e32 v[164:165], v[176:177], v[180:181]
	v_fmac_f64_e32 v[182:183], v[6:7], v[12:13]
	v_add_f64_e32 v[10:11], v[186:187], v[184:185]
	v_fma_f64 v[12:13], v[4:5], v[12:13], -v[14:15]
	v_fmac_f64_e32 v[166:167], v[174:175], v[124:125]
	v_fma_f64 v[124:125], v[172:173], v[124:125], -v[126:127]
	v_add_f64_e32 v[164:165], v[164:165], v[178:179]
	v_add_f64_e32 v[14:15], v[10:11], v[8:9]
	ds_load_b128 v[4:7], v2 offset:1552
	ds_load_b128 v[8:11], v2 offset:1568
	s_wait_loadcnt_dscnt 0x801
	v_mul_f64_e32 v[176:177], v[4:5], v[130:131]
	v_mul_f64_e32 v[130:131], v[6:7], v[130:131]
	s_wait_loadcnt_dscnt 0x700
	v_mul_f64_e32 v[126:127], v[8:9], v[134:135]
	v_mul_f64_e32 v[134:135], v[10:11], v[134:135]
	v_add_f64_e32 v[12:13], v[14:15], v[12:13]
	v_add_f64_e32 v[14:15], v[164:165], v[182:183]
	v_fmac_f64_e32 v[176:177], v[6:7], v[128:129]
	v_fma_f64 v[128:129], v[4:5], v[128:129], -v[130:131]
	v_fmac_f64_e32 v[126:127], v[10:11], v[132:133]
	v_fma_f64 v[8:9], v[8:9], v[132:133], -v[134:135]
	v_add_f64_e32 v[124:125], v[12:13], v[124:125]
	v_add_f64_e32 v[130:131], v[14:15], v[166:167]
	ds_load_b128 v[4:7], v2 offset:1584
	ds_load_b128 v[12:15], v2 offset:1600
	s_wait_loadcnt_dscnt 0x601
	v_mul_f64_e32 v[164:165], v[4:5], v[138:139]
	v_mul_f64_e32 v[138:139], v[6:7], v[138:139]
	v_add_f64_e32 v[10:11], v[124:125], v[128:129]
	v_add_f64_e32 v[124:125], v[130:131], v[176:177]
	s_wait_loadcnt_dscnt 0x500
	v_mul_f64_e32 v[128:129], v[12:13], v[142:143]
	v_mul_f64_e32 v[130:131], v[14:15], v[142:143]
	v_fmac_f64_e32 v[164:165], v[6:7], v[136:137]
	v_fma_f64 v[132:133], v[4:5], v[136:137], -v[138:139]
	v_add_f64_e32 v[134:135], v[10:11], v[8:9]
	v_add_f64_e32 v[124:125], v[124:125], v[126:127]
	ds_load_b128 v[4:7], v2 offset:1616
	ds_load_b128 v[8:11], v2 offset:1632
	v_fmac_f64_e32 v[128:129], v[14:15], v[140:141]
	v_fma_f64 v[12:13], v[12:13], v[140:141], -v[130:131]
	s_wait_loadcnt_dscnt 0x401
	v_mul_f64_e32 v[126:127], v[4:5], v[146:147]
	v_mul_f64_e32 v[136:137], v[6:7], v[146:147]
	s_wait_loadcnt_dscnt 0x300
	v_mul_f64_e32 v[130:131], v[8:9], v[150:151]
	v_add_f64_e32 v[14:15], v[134:135], v[132:133]
	v_add_f64_e32 v[124:125], v[124:125], v[164:165]
	v_mul_f64_e32 v[132:133], v[10:11], v[150:151]
	v_fmac_f64_e32 v[126:127], v[6:7], v[144:145]
	v_fma_f64 v[134:135], v[4:5], v[144:145], -v[136:137]
	v_fmac_f64_e32 v[130:131], v[10:11], v[148:149]
	v_add_f64_e32 v[136:137], v[14:15], v[12:13]
	v_add_f64_e32 v[124:125], v[124:125], v[128:129]
	ds_load_b128 v[4:7], v2 offset:1648
	ds_load_b128 v[12:15], v2 offset:1664
	v_fma_f64 v[8:9], v[8:9], v[148:149], -v[132:133]
	s_wait_loadcnt_dscnt 0x201
	v_mul_f64_e32 v[128:129], v[4:5], v[158:159]
	v_mul_f64_e32 v[138:139], v[6:7], v[158:159]
	s_wait_loadcnt_dscnt 0x100
	v_mul_f64_e32 v[132:133], v[14:15], v[170:171]
	v_add_f64_e32 v[10:11], v[136:137], v[134:135]
	v_add_f64_e32 v[124:125], v[124:125], v[126:127]
	v_mul_f64_e32 v[126:127], v[12:13], v[170:171]
	v_fmac_f64_e32 v[128:129], v[6:7], v[156:157]
	v_fma_f64 v[134:135], v[4:5], v[156:157], -v[138:139]
	ds_load_b128 v[4:7], v2 offset:1680
	v_fma_f64 v[12:13], v[12:13], v[168:169], -v[132:133]
	v_add_f64_e32 v[8:9], v[10:11], v[8:9]
	v_add_f64_e32 v[10:11], v[124:125], v[130:131]
	v_fmac_f64_e32 v[126:127], v[14:15], v[168:169]
	s_wait_loadcnt_dscnt 0x0
	v_mul_f64_e32 v[124:125], v[4:5], v[154:155]
	v_mul_f64_e32 v[130:131], v[6:7], v[154:155]
	v_add_f64_e32 v[8:9], v[8:9], v[134:135]
	v_add_f64_e32 v[10:11], v[10:11], v[128:129]
	s_delay_alu instid0(VALU_DEP_4) | instskip(NEXT) | instid1(VALU_DEP_4)
	v_fmac_f64_e32 v[124:125], v[6:7], v[152:153]
	v_fma_f64 v[4:5], v[4:5], v[152:153], -v[130:131]
	s_delay_alu instid0(VALU_DEP_4) | instskip(NEXT) | instid1(VALU_DEP_4)
	v_add_f64_e32 v[6:7], v[8:9], v[12:13]
	v_add_f64_e32 v[8:9], v[10:11], v[126:127]
	s_delay_alu instid0(VALU_DEP_2) | instskip(NEXT) | instid1(VALU_DEP_2)
	v_add_f64_e32 v[4:5], v[6:7], v[4:5]
	v_add_f64_e32 v[6:7], v[8:9], v[124:125]
	s_delay_alu instid0(VALU_DEP_2) | instskip(NEXT) | instid1(VALU_DEP_2)
	v_add_f64_e64 v[4:5], v[160:161], -v[4:5]
	v_add_f64_e64 v[6:7], v[162:163], -v[6:7]
	scratch_store_b128 off, v[4:7], off offset:432
	s_wait_xcnt 0x0
	v_cmpx_lt_u32_e32 26, v1
	s_cbranch_execz .LBB52_279
; %bb.278:
	scratch_load_b128 v[6:9], off, s53
	v_dual_mov_b32 v3, v2 :: v_dual_mov_b32 v4, v2
	v_mov_b32_e32 v5, v2
	scratch_store_b128 off, v[2:5], off offset:416
	s_wait_loadcnt 0x0
	ds_store_b128 v122, v[6:9]
.LBB52_279:
	s_wait_xcnt 0x0
	s_or_b32 exec_lo, exec_lo, s2
	s_wait_storecnt_dscnt 0x0
	s_barrier_signal -1
	s_barrier_wait -1
	s_clause 0x9
	scratch_load_b128 v[4:7], off, off offset:432
	scratch_load_b128 v[8:11], off, off offset:448
	scratch_load_b128 v[12:15], off, off offset:464
	scratch_load_b128 v[124:127], off, off offset:480
	scratch_load_b128 v[128:131], off, off offset:496
	scratch_load_b128 v[132:135], off, off offset:512
	scratch_load_b128 v[136:139], off, off offset:528
	scratch_load_b128 v[140:143], off, off offset:544
	scratch_load_b128 v[144:147], off, off offset:560
	scratch_load_b128 v[148:151], off, off offset:576
	ds_load_b128 v[152:155], v2 offset:1280
	ds_load_b128 v[160:163], v2 offset:1296
	s_clause 0x2
	scratch_load_b128 v[156:159], off, off offset:592
	scratch_load_b128 v[164:167], off, off offset:416
	;; [unrolled: 1-line block ×3, first 2 shown]
	s_mov_b32 s2, exec_lo
	s_wait_loadcnt_dscnt 0xc01
	v_mul_f64_e32 v[172:173], v[154:155], v[6:7]
	v_mul_f64_e32 v[176:177], v[152:153], v[6:7]
	s_wait_loadcnt_dscnt 0xb00
	v_mul_f64_e32 v[178:179], v[160:161], v[10:11]
	v_mul_f64_e32 v[10:11], v[162:163], v[10:11]
	s_delay_alu instid0(VALU_DEP_4) | instskip(NEXT) | instid1(VALU_DEP_4)
	v_fma_f64 v[180:181], v[152:153], v[4:5], -v[172:173]
	v_fmac_f64_e32 v[176:177], v[154:155], v[4:5]
	ds_load_b128 v[4:7], v2 offset:1312
	ds_load_b128 v[152:155], v2 offset:1328
	scratch_load_b128 v[172:175], off, off offset:624
	v_fmac_f64_e32 v[178:179], v[162:163], v[8:9]
	v_fma_f64 v[160:161], v[160:161], v[8:9], -v[10:11]
	scratch_load_b128 v[8:11], off, off offset:640
	s_wait_loadcnt_dscnt 0xc01
	v_mul_f64_e32 v[182:183], v[4:5], v[14:15]
	v_mul_f64_e32 v[14:15], v[6:7], v[14:15]
	v_add_f64_e32 v[162:163], 0, v[180:181]
	v_add_f64_e32 v[176:177], 0, v[176:177]
	s_wait_loadcnt_dscnt 0xb00
	v_mul_f64_e32 v[180:181], v[152:153], v[126:127]
	v_mul_f64_e32 v[126:127], v[154:155], v[126:127]
	v_fmac_f64_e32 v[182:183], v[6:7], v[12:13]
	v_fma_f64 v[184:185], v[4:5], v[12:13], -v[14:15]
	ds_load_b128 v[4:7], v2 offset:1344
	ds_load_b128 v[12:15], v2 offset:1360
	v_add_f64_e32 v[186:187], v[162:163], v[160:161]
	v_add_f64_e32 v[176:177], v[176:177], v[178:179]
	scratch_load_b128 v[160:163], off, off offset:656
	v_fmac_f64_e32 v[180:181], v[154:155], v[124:125]
	v_fma_f64 v[152:153], v[152:153], v[124:125], -v[126:127]
	scratch_load_b128 v[124:127], off, off offset:672
	s_wait_loadcnt_dscnt 0xc01
	v_mul_f64_e32 v[178:179], v[4:5], v[130:131]
	v_mul_f64_e32 v[130:131], v[6:7], v[130:131]
	v_add_f64_e32 v[154:155], v[186:187], v[184:185]
	v_add_f64_e32 v[176:177], v[176:177], v[182:183]
	s_wait_loadcnt_dscnt 0xb00
	v_mul_f64_e32 v[182:183], v[12:13], v[134:135]
	v_mul_f64_e32 v[134:135], v[14:15], v[134:135]
	v_fmac_f64_e32 v[178:179], v[6:7], v[128:129]
	v_fma_f64 v[184:185], v[4:5], v[128:129], -v[130:131]
	ds_load_b128 v[4:7], v2 offset:1376
	ds_load_b128 v[128:131], v2 offset:1392
	v_add_f64_e32 v[186:187], v[154:155], v[152:153]
	v_add_f64_e32 v[176:177], v[176:177], v[180:181]
	scratch_load_b128 v[152:155], off, off offset:688
	s_wait_loadcnt_dscnt 0xb01
	v_mul_f64_e32 v[180:181], v[4:5], v[138:139]
	v_mul_f64_e32 v[138:139], v[6:7], v[138:139]
	v_fmac_f64_e32 v[182:183], v[14:15], v[132:133]
	v_fma_f64 v[132:133], v[12:13], v[132:133], -v[134:135]
	scratch_load_b128 v[12:15], off, off offset:704
	v_add_f64_e32 v[134:135], v[186:187], v[184:185]
	v_add_f64_e32 v[176:177], v[176:177], v[178:179]
	s_wait_loadcnt_dscnt 0xb00
	v_mul_f64_e32 v[178:179], v[128:129], v[142:143]
	v_mul_f64_e32 v[142:143], v[130:131], v[142:143]
	v_fmac_f64_e32 v[180:181], v[6:7], v[136:137]
	v_fma_f64 v[184:185], v[4:5], v[136:137], -v[138:139]
	v_add_f64_e32 v[186:187], v[134:135], v[132:133]
	v_add_f64_e32 v[176:177], v[176:177], v[182:183]
	ds_load_b128 v[4:7], v2 offset:1408
	ds_load_b128 v[132:135], v2 offset:1424
	scratch_load_b128 v[136:139], off, off offset:720
	v_fmac_f64_e32 v[178:179], v[130:131], v[140:141]
	v_fma_f64 v[140:141], v[128:129], v[140:141], -v[142:143]
	scratch_load_b128 v[128:131], off, off offset:736
	s_wait_loadcnt_dscnt 0xc01
	v_mul_f64_e32 v[182:183], v[4:5], v[146:147]
	v_mul_f64_e32 v[146:147], v[6:7], v[146:147]
	v_add_f64_e32 v[142:143], v[186:187], v[184:185]
	v_add_f64_e32 v[176:177], v[176:177], v[180:181]
	s_wait_loadcnt_dscnt 0xb00
	v_mul_f64_e32 v[180:181], v[132:133], v[150:151]
	v_mul_f64_e32 v[150:151], v[134:135], v[150:151]
	v_fmac_f64_e32 v[182:183], v[6:7], v[144:145]
	v_fma_f64 v[184:185], v[4:5], v[144:145], -v[146:147]
	v_add_f64_e32 v[186:187], v[142:143], v[140:141]
	v_add_f64_e32 v[176:177], v[176:177], v[178:179]
	ds_load_b128 v[4:7], v2 offset:1440
	ds_load_b128 v[140:143], v2 offset:1456
	scratch_load_b128 v[144:147], off, off offset:752
	v_fmac_f64_e32 v[180:181], v[134:135], v[148:149]
	v_fma_f64 v[148:149], v[132:133], v[148:149], -v[150:151]
	scratch_load_b128 v[132:135], off, off offset:768
	s_wait_loadcnt_dscnt 0xc01
	v_mul_f64_e32 v[178:179], v[4:5], v[158:159]
	v_mul_f64_e32 v[158:159], v[6:7], v[158:159]
	;; [unrolled: 18-line block ×4, first 2 shown]
	v_add_f64_e32 v[150:151], v[186:187], v[184:185]
	v_add_f64_e32 v[176:177], v[176:177], v[180:181]
	s_wait_loadcnt_dscnt 0xa00
	v_mul_f64_e32 v[180:181], v[168:169], v[126:127]
	v_mul_f64_e32 v[126:127], v[170:171], v[126:127]
	v_fmac_f64_e32 v[182:183], v[6:7], v[160:161]
	v_fma_f64 v[160:161], v[4:5], v[160:161], -v[162:163]
	v_add_f64_e32 v[162:163], v[150:151], v[148:149]
	v_add_f64_e32 v[176:177], v[176:177], v[178:179]
	ds_load_b128 v[4:7], v2 offset:1536
	ds_load_b128 v[148:151], v2 offset:1552
	v_fmac_f64_e32 v[180:181], v[170:171], v[124:125]
	v_fma_f64 v[124:125], v[168:169], v[124:125], -v[126:127]
	s_wait_loadcnt_dscnt 0x901
	v_mul_f64_e32 v[178:179], v[4:5], v[154:155]
	v_mul_f64_e32 v[154:155], v[6:7], v[154:155]
	v_add_f64_e32 v[126:127], v[162:163], v[160:161]
	v_add_f64_e32 v[160:161], v[176:177], v[182:183]
	s_wait_loadcnt_dscnt 0x800
	v_mul_f64_e32 v[162:163], v[148:149], v[14:15]
	v_mul_f64_e32 v[14:15], v[150:151], v[14:15]
	v_fmac_f64_e32 v[178:179], v[6:7], v[152:153]
	v_fma_f64 v[152:153], v[4:5], v[152:153], -v[154:155]
	v_add_f64_e32 v[154:155], v[126:127], v[124:125]
	v_add_f64_e32 v[160:161], v[160:161], v[180:181]
	ds_load_b128 v[4:7], v2 offset:1568
	ds_load_b128 v[124:127], v2 offset:1584
	v_fmac_f64_e32 v[162:163], v[150:151], v[12:13]
	v_fma_f64 v[12:13], v[148:149], v[12:13], -v[14:15]
	s_wait_loadcnt_dscnt 0x701
	v_mul_f64_e32 v[168:169], v[4:5], v[138:139]
	v_mul_f64_e32 v[138:139], v[6:7], v[138:139]
	s_wait_loadcnt_dscnt 0x600
	v_mul_f64_e32 v[150:151], v[124:125], v[130:131]
	v_mul_f64_e32 v[130:131], v[126:127], v[130:131]
	v_add_f64_e32 v[14:15], v[154:155], v[152:153]
	v_add_f64_e32 v[148:149], v[160:161], v[178:179]
	v_fmac_f64_e32 v[168:169], v[6:7], v[136:137]
	v_fma_f64 v[136:137], v[4:5], v[136:137], -v[138:139]
	v_fmac_f64_e32 v[150:151], v[126:127], v[128:129]
	v_fma_f64 v[124:125], v[124:125], v[128:129], -v[130:131]
	v_add_f64_e32 v[138:139], v[14:15], v[12:13]
	v_add_f64_e32 v[148:149], v[148:149], v[162:163]
	ds_load_b128 v[4:7], v2 offset:1600
	ds_load_b128 v[12:15], v2 offset:1616
	s_wait_loadcnt_dscnt 0x501
	v_mul_f64_e32 v[152:153], v[4:5], v[146:147]
	v_mul_f64_e32 v[146:147], v[6:7], v[146:147]
	s_wait_loadcnt_dscnt 0x400
	v_mul_f64_e32 v[130:131], v[12:13], v[134:135]
	v_mul_f64_e32 v[134:135], v[14:15], v[134:135]
	v_add_f64_e32 v[126:127], v[138:139], v[136:137]
	v_add_f64_e32 v[128:129], v[148:149], v[168:169]
	v_fmac_f64_e32 v[152:153], v[6:7], v[144:145]
	v_fma_f64 v[136:137], v[4:5], v[144:145], -v[146:147]
	v_fmac_f64_e32 v[130:131], v[14:15], v[132:133]
	v_fma_f64 v[12:13], v[12:13], v[132:133], -v[134:135]
	v_add_f64_e32 v[138:139], v[126:127], v[124:125]
	v_add_f64_e32 v[128:129], v[128:129], v[150:151]
	ds_load_b128 v[4:7], v2 offset:1632
	ds_load_b128 v[124:127], v2 offset:1648
	;; [unrolled: 16-line block ×3, first 2 shown]
	s_wait_loadcnt_dscnt 0x101
	v_mul_f64_e32 v[2:3], v[4:5], v[174:175]
	v_mul_f64_e32 v[130:131], v[6:7], v[174:175]
	s_wait_loadcnt_dscnt 0x0
	v_mul_f64_e32 v[134:135], v[12:13], v[10:11]
	v_mul_f64_e32 v[10:11], v[14:15], v[10:11]
	v_add_f64_e32 v[126:127], v[138:139], v[136:137]
	v_add_f64_e32 v[128:129], v[128:129], v[144:145]
	v_fmac_f64_e32 v[2:3], v[6:7], v[172:173]
	v_fma_f64 v[4:5], v[4:5], v[172:173], -v[130:131]
	v_fmac_f64_e32 v[134:135], v[14:15], v[8:9]
	v_fma_f64 v[8:9], v[12:13], v[8:9], -v[10:11]
	v_add_f64_e32 v[6:7], v[126:127], v[124:125]
	v_add_f64_e32 v[124:125], v[128:129], v[132:133]
	s_delay_alu instid0(VALU_DEP_2) | instskip(NEXT) | instid1(VALU_DEP_2)
	v_add_f64_e32 v[4:5], v[6:7], v[4:5]
	v_add_f64_e32 v[2:3], v[124:125], v[2:3]
	s_delay_alu instid0(VALU_DEP_2) | instskip(NEXT) | instid1(VALU_DEP_2)
	;; [unrolled: 3-line block ×3, first 2 shown]
	v_add_f64_e64 v[2:3], v[164:165], -v[4:5]
	v_add_f64_e64 v[4:5], v[166:167], -v[6:7]
	scratch_store_b128 off, v[2:5], off offset:416
	s_wait_xcnt 0x0
	v_cmpx_lt_u32_e32 25, v1
	s_cbranch_execz .LBB52_281
; %bb.280:
	scratch_load_b128 v[2:5], off, s51
	v_mov_b32_e32 v6, 0
	s_delay_alu instid0(VALU_DEP_1)
	v_dual_mov_b32 v7, v6 :: v_dual_mov_b32 v8, v6
	v_mov_b32_e32 v9, v6
	scratch_store_b128 off, v[6:9], off offset:400
	s_wait_loadcnt 0x0
	ds_store_b128 v122, v[2:5]
.LBB52_281:
	s_wait_xcnt 0x0
	s_or_b32 exec_lo, exec_lo, s2
	s_wait_storecnt_dscnt 0x0
	s_barrier_signal -1
	s_barrier_wait -1
	s_clause 0x9
	scratch_load_b128 v[4:7], off, off offset:416
	scratch_load_b128 v[8:11], off, off offset:432
	;; [unrolled: 1-line block ×10, first 2 shown]
	v_mov_b32_e32 v2, 0
	s_mov_b32 s2, exec_lo
	ds_load_b128 v[152:155], v2 offset:1264
	s_clause 0x2
	scratch_load_b128 v[156:159], off, off offset:576
	scratch_load_b128 v[160:163], off, off offset:400
	scratch_load_b128 v[168:171], off, off offset:592
	s_wait_loadcnt_dscnt 0xc00
	v_mul_f64_e32 v[172:173], v[154:155], v[6:7]
	v_mul_f64_e32 v[176:177], v[152:153], v[6:7]
	ds_load_b128 v[164:167], v2 offset:1280
	v_fma_f64 v[180:181], v[152:153], v[4:5], -v[172:173]
	v_fmac_f64_e32 v[176:177], v[154:155], v[4:5]
	ds_load_b128 v[4:7], v2 offset:1296
	s_wait_loadcnt_dscnt 0xb01
	v_mul_f64_e32 v[178:179], v[164:165], v[10:11]
	v_mul_f64_e32 v[10:11], v[166:167], v[10:11]
	scratch_load_b128 v[152:155], off, off offset:608
	ds_load_b128 v[172:175], v2 offset:1312
	s_wait_loadcnt_dscnt 0xb01
	v_mul_f64_e32 v[182:183], v[4:5], v[14:15]
	v_mul_f64_e32 v[14:15], v[6:7], v[14:15]
	v_add_f64_e32 v[176:177], 0, v[176:177]
	v_fmac_f64_e32 v[178:179], v[166:167], v[8:9]
	v_fma_f64 v[164:165], v[164:165], v[8:9], -v[10:11]
	v_add_f64_e32 v[166:167], 0, v[180:181]
	scratch_load_b128 v[8:11], off, off offset:624
	v_fmac_f64_e32 v[182:183], v[6:7], v[12:13]
	v_fma_f64 v[184:185], v[4:5], v[12:13], -v[14:15]
	ds_load_b128 v[4:7], v2 offset:1328
	s_wait_loadcnt_dscnt 0xb01
	v_mul_f64_e32 v[180:181], v[172:173], v[126:127]
	v_mul_f64_e32 v[126:127], v[174:175], v[126:127]
	scratch_load_b128 v[12:15], off, off offset:640
	v_add_f64_e32 v[176:177], v[176:177], v[178:179]
	v_add_f64_e32 v[186:187], v[166:167], v[164:165]
	ds_load_b128 v[164:167], v2 offset:1344
	s_wait_loadcnt_dscnt 0xb01
	v_mul_f64_e32 v[178:179], v[4:5], v[130:131]
	v_mul_f64_e32 v[130:131], v[6:7], v[130:131]
	v_fmac_f64_e32 v[180:181], v[174:175], v[124:125]
	v_fma_f64 v[172:173], v[172:173], v[124:125], -v[126:127]
	scratch_load_b128 v[124:127], off, off offset:656
	v_add_f64_e32 v[176:177], v[176:177], v[182:183]
	v_add_f64_e32 v[174:175], v[186:187], v[184:185]
	v_fmac_f64_e32 v[178:179], v[6:7], v[128:129]
	v_fma_f64 v[184:185], v[4:5], v[128:129], -v[130:131]
	ds_load_b128 v[4:7], v2 offset:1360
	s_wait_loadcnt_dscnt 0xb01
	v_mul_f64_e32 v[182:183], v[164:165], v[134:135]
	v_mul_f64_e32 v[134:135], v[166:167], v[134:135]
	scratch_load_b128 v[128:131], off, off offset:672
	v_add_f64_e32 v[176:177], v[176:177], v[180:181]
	s_wait_loadcnt_dscnt 0xb00
	v_mul_f64_e32 v[180:181], v[4:5], v[138:139]
	v_add_f64_e32 v[186:187], v[174:175], v[172:173]
	v_mul_f64_e32 v[138:139], v[6:7], v[138:139]
	ds_load_b128 v[172:175], v2 offset:1376
	v_fmac_f64_e32 v[182:183], v[166:167], v[132:133]
	v_fma_f64 v[164:165], v[164:165], v[132:133], -v[134:135]
	scratch_load_b128 v[132:135], off, off offset:688
	v_add_f64_e32 v[176:177], v[176:177], v[178:179]
	v_fmac_f64_e32 v[180:181], v[6:7], v[136:137]
	v_add_f64_e32 v[166:167], v[186:187], v[184:185]
	v_fma_f64 v[184:185], v[4:5], v[136:137], -v[138:139]
	ds_load_b128 v[4:7], v2 offset:1392
	s_wait_loadcnt_dscnt 0xb01
	v_mul_f64_e32 v[178:179], v[172:173], v[142:143]
	v_mul_f64_e32 v[142:143], v[174:175], v[142:143]
	scratch_load_b128 v[136:139], off, off offset:704
	v_add_f64_e32 v[176:177], v[176:177], v[182:183]
	s_wait_loadcnt_dscnt 0xb00
	v_mul_f64_e32 v[182:183], v[4:5], v[146:147]
	v_add_f64_e32 v[186:187], v[166:167], v[164:165]
	v_mul_f64_e32 v[146:147], v[6:7], v[146:147]
	ds_load_b128 v[164:167], v2 offset:1408
	v_fmac_f64_e32 v[178:179], v[174:175], v[140:141]
	v_fma_f64 v[172:173], v[172:173], v[140:141], -v[142:143]
	scratch_load_b128 v[140:143], off, off offset:720
	v_add_f64_e32 v[176:177], v[176:177], v[180:181]
	v_fmac_f64_e32 v[182:183], v[6:7], v[144:145]
	v_add_f64_e32 v[174:175], v[186:187], v[184:185]
	;; [unrolled: 18-line block ×3, first 2 shown]
	v_fma_f64 v[184:185], v[4:5], v[156:157], -v[158:159]
	ds_load_b128 v[4:7], v2 offset:1456
	s_wait_loadcnt_dscnt 0xa01
	v_mul_f64_e32 v[182:183], v[172:173], v[170:171]
	v_mul_f64_e32 v[170:171], v[174:175], v[170:171]
	scratch_load_b128 v[156:159], off, off offset:768
	v_add_f64_e32 v[176:177], v[176:177], v[180:181]
	v_add_f64_e32 v[186:187], v[166:167], v[164:165]
	s_wait_loadcnt_dscnt 0xa00
	v_mul_f64_e32 v[180:181], v[4:5], v[154:155]
	v_mul_f64_e32 v[154:155], v[6:7], v[154:155]
	v_fmac_f64_e32 v[182:183], v[174:175], v[168:169]
	v_fma_f64 v[172:173], v[172:173], v[168:169], -v[170:171]
	ds_load_b128 v[164:167], v2 offset:1472
	scratch_load_b128 v[168:171], off, off offset:784
	v_add_f64_e32 v[176:177], v[176:177], v[178:179]
	v_add_f64_e32 v[174:175], v[186:187], v[184:185]
	v_fmac_f64_e32 v[180:181], v[6:7], v[152:153]
	v_fma_f64 v[184:185], v[4:5], v[152:153], -v[154:155]
	ds_load_b128 v[4:7], v2 offset:1488
	s_wait_loadcnt_dscnt 0xa01
	v_mul_f64_e32 v[178:179], v[164:165], v[10:11]
	v_mul_f64_e32 v[10:11], v[166:167], v[10:11]
	scratch_load_b128 v[152:155], off, off offset:800
	v_add_f64_e32 v[176:177], v[176:177], v[182:183]
	s_wait_loadcnt_dscnt 0xa00
	v_mul_f64_e32 v[182:183], v[4:5], v[14:15]
	v_add_f64_e32 v[186:187], v[174:175], v[172:173]
	v_mul_f64_e32 v[14:15], v[6:7], v[14:15]
	ds_load_b128 v[172:175], v2 offset:1504
	v_fmac_f64_e32 v[178:179], v[166:167], v[8:9]
	v_fma_f64 v[164:165], v[164:165], v[8:9], -v[10:11]
	scratch_load_b128 v[8:11], off, off offset:816
	v_add_f64_e32 v[176:177], v[176:177], v[180:181]
	v_fmac_f64_e32 v[182:183], v[6:7], v[12:13]
	v_add_f64_e32 v[166:167], v[186:187], v[184:185]
	v_fma_f64 v[184:185], v[4:5], v[12:13], -v[14:15]
	ds_load_b128 v[4:7], v2 offset:1520
	s_wait_loadcnt_dscnt 0xa01
	v_mul_f64_e32 v[180:181], v[172:173], v[126:127]
	v_mul_f64_e32 v[126:127], v[174:175], v[126:127]
	scratch_load_b128 v[12:15], off, off offset:832
	v_add_f64_e32 v[176:177], v[176:177], v[178:179]
	s_wait_loadcnt_dscnt 0xa00
	v_mul_f64_e32 v[178:179], v[4:5], v[130:131]
	v_add_f64_e32 v[186:187], v[166:167], v[164:165]
	v_mul_f64_e32 v[130:131], v[6:7], v[130:131]
	ds_load_b128 v[164:167], v2 offset:1536
	v_fmac_f64_e32 v[180:181], v[174:175], v[124:125]
	v_fma_f64 v[124:125], v[172:173], v[124:125], -v[126:127]
	s_wait_loadcnt_dscnt 0x900
	v_mul_f64_e32 v[174:175], v[164:165], v[134:135]
	v_mul_f64_e32 v[134:135], v[166:167], v[134:135]
	v_add_f64_e32 v[172:173], v[176:177], v[182:183]
	v_fmac_f64_e32 v[178:179], v[6:7], v[128:129]
	v_add_f64_e32 v[126:127], v[186:187], v[184:185]
	v_fma_f64 v[128:129], v[4:5], v[128:129], -v[130:131]
	v_fmac_f64_e32 v[174:175], v[166:167], v[132:133]
	v_fma_f64 v[132:133], v[164:165], v[132:133], -v[134:135]
	v_add_f64_e32 v[172:173], v[172:173], v[180:181]
	v_add_f64_e32 v[130:131], v[126:127], v[124:125]
	ds_load_b128 v[4:7], v2 offset:1552
	ds_load_b128 v[124:127], v2 offset:1568
	s_wait_loadcnt_dscnt 0x801
	v_mul_f64_e32 v[176:177], v[4:5], v[138:139]
	v_mul_f64_e32 v[138:139], v[6:7], v[138:139]
	s_wait_loadcnt_dscnt 0x700
	v_mul_f64_e32 v[134:135], v[124:125], v[142:143]
	v_mul_f64_e32 v[142:143], v[126:127], v[142:143]
	v_add_f64_e32 v[128:129], v[130:131], v[128:129]
	v_add_f64_e32 v[130:131], v[172:173], v[178:179]
	v_fmac_f64_e32 v[176:177], v[6:7], v[136:137]
	v_fma_f64 v[136:137], v[4:5], v[136:137], -v[138:139]
	v_fmac_f64_e32 v[134:135], v[126:127], v[140:141]
	v_fma_f64 v[124:125], v[124:125], v[140:141], -v[142:143]
	v_add_f64_e32 v[132:133], v[128:129], v[132:133]
	v_add_f64_e32 v[138:139], v[130:131], v[174:175]
	ds_load_b128 v[4:7], v2 offset:1584
	ds_load_b128 v[128:131], v2 offset:1600
	s_wait_loadcnt_dscnt 0x601
	v_mul_f64_e32 v[164:165], v[4:5], v[146:147]
	v_mul_f64_e32 v[146:147], v[6:7], v[146:147]
	v_add_f64_e32 v[126:127], v[132:133], v[136:137]
	v_add_f64_e32 v[132:133], v[138:139], v[176:177]
	s_wait_loadcnt_dscnt 0x500
	v_mul_f64_e32 v[136:137], v[128:129], v[150:151]
	v_mul_f64_e32 v[138:139], v[130:131], v[150:151]
	v_fmac_f64_e32 v[164:165], v[6:7], v[144:145]
	v_fma_f64 v[140:141], v[4:5], v[144:145], -v[146:147]
	v_add_f64_e32 v[142:143], v[126:127], v[124:125]
	v_add_f64_e32 v[132:133], v[132:133], v[134:135]
	ds_load_b128 v[4:7], v2 offset:1616
	ds_load_b128 v[124:127], v2 offset:1632
	v_fmac_f64_e32 v[136:137], v[130:131], v[148:149]
	v_fma_f64 v[128:129], v[128:129], v[148:149], -v[138:139]
	s_wait_loadcnt_dscnt 0x401
	v_mul_f64_e32 v[134:135], v[4:5], v[158:159]
	v_mul_f64_e32 v[144:145], v[6:7], v[158:159]
	s_wait_loadcnt_dscnt 0x300
	v_mul_f64_e32 v[138:139], v[124:125], v[170:171]
	v_add_f64_e32 v[130:131], v[142:143], v[140:141]
	v_add_f64_e32 v[132:133], v[132:133], v[164:165]
	v_mul_f64_e32 v[140:141], v[126:127], v[170:171]
	v_fmac_f64_e32 v[134:135], v[6:7], v[156:157]
	v_fma_f64 v[142:143], v[4:5], v[156:157], -v[144:145]
	v_fmac_f64_e32 v[138:139], v[126:127], v[168:169]
	v_add_f64_e32 v[144:145], v[130:131], v[128:129]
	v_add_f64_e32 v[132:133], v[132:133], v[136:137]
	ds_load_b128 v[4:7], v2 offset:1648
	ds_load_b128 v[128:131], v2 offset:1664
	v_fma_f64 v[124:125], v[124:125], v[168:169], -v[140:141]
	s_wait_loadcnt_dscnt 0x201
	v_mul_f64_e32 v[136:137], v[4:5], v[154:155]
	v_mul_f64_e32 v[146:147], v[6:7], v[154:155]
	v_add_f64_e32 v[126:127], v[144:145], v[142:143]
	v_add_f64_e32 v[132:133], v[132:133], v[134:135]
	s_wait_loadcnt_dscnt 0x100
	v_mul_f64_e32 v[134:135], v[128:129], v[10:11]
	v_mul_f64_e32 v[10:11], v[130:131], v[10:11]
	v_fmac_f64_e32 v[136:137], v[6:7], v[152:153]
	v_fma_f64 v[140:141], v[4:5], v[152:153], -v[146:147]
	ds_load_b128 v[4:7], v2 offset:1680
	v_add_f64_e32 v[124:125], v[126:127], v[124:125]
	v_add_f64_e32 v[126:127], v[132:133], v[138:139]
	v_fmac_f64_e32 v[134:135], v[130:131], v[8:9]
	v_fma_f64 v[8:9], v[128:129], v[8:9], -v[10:11]
	s_wait_loadcnt_dscnt 0x0
	v_mul_f64_e32 v[132:133], v[4:5], v[14:15]
	v_mul_f64_e32 v[14:15], v[6:7], v[14:15]
	v_add_f64_e32 v[10:11], v[124:125], v[140:141]
	v_add_f64_e32 v[124:125], v[126:127], v[136:137]
	s_delay_alu instid0(VALU_DEP_4) | instskip(NEXT) | instid1(VALU_DEP_4)
	v_fmac_f64_e32 v[132:133], v[6:7], v[12:13]
	v_fma_f64 v[4:5], v[4:5], v[12:13], -v[14:15]
	s_delay_alu instid0(VALU_DEP_4) | instskip(NEXT) | instid1(VALU_DEP_4)
	v_add_f64_e32 v[6:7], v[10:11], v[8:9]
	v_add_f64_e32 v[8:9], v[124:125], v[134:135]
	s_delay_alu instid0(VALU_DEP_2) | instskip(NEXT) | instid1(VALU_DEP_2)
	v_add_f64_e32 v[4:5], v[6:7], v[4:5]
	v_add_f64_e32 v[6:7], v[8:9], v[132:133]
	s_delay_alu instid0(VALU_DEP_2) | instskip(NEXT) | instid1(VALU_DEP_2)
	v_add_f64_e64 v[4:5], v[160:161], -v[4:5]
	v_add_f64_e64 v[6:7], v[162:163], -v[6:7]
	scratch_store_b128 off, v[4:7], off offset:400
	s_wait_xcnt 0x0
	v_cmpx_lt_u32_e32 24, v1
	s_cbranch_execz .LBB52_283
; %bb.282:
	scratch_load_b128 v[6:9], off, s48
	v_dual_mov_b32 v3, v2 :: v_dual_mov_b32 v4, v2
	v_mov_b32_e32 v5, v2
	scratch_store_b128 off, v[2:5], off offset:384
	s_wait_loadcnt 0x0
	ds_store_b128 v122, v[6:9]
.LBB52_283:
	s_wait_xcnt 0x0
	s_or_b32 exec_lo, exec_lo, s2
	s_wait_storecnt_dscnt 0x0
	s_barrier_signal -1
	s_barrier_wait -1
	s_clause 0x9
	scratch_load_b128 v[4:7], off, off offset:400
	scratch_load_b128 v[8:11], off, off offset:416
	;; [unrolled: 1-line block ×10, first 2 shown]
	ds_load_b128 v[152:155], v2 offset:1248
	ds_load_b128 v[160:163], v2 offset:1264
	s_clause 0x2
	scratch_load_b128 v[156:159], off, off offset:560
	scratch_load_b128 v[164:167], off, off offset:384
	;; [unrolled: 1-line block ×3, first 2 shown]
	s_mov_b32 s2, exec_lo
	s_wait_loadcnt_dscnt 0xc01
	v_mul_f64_e32 v[172:173], v[154:155], v[6:7]
	v_mul_f64_e32 v[176:177], v[152:153], v[6:7]
	s_wait_loadcnt_dscnt 0xb00
	v_mul_f64_e32 v[178:179], v[160:161], v[10:11]
	v_mul_f64_e32 v[10:11], v[162:163], v[10:11]
	s_delay_alu instid0(VALU_DEP_4) | instskip(NEXT) | instid1(VALU_DEP_4)
	v_fma_f64 v[180:181], v[152:153], v[4:5], -v[172:173]
	v_fmac_f64_e32 v[176:177], v[154:155], v[4:5]
	ds_load_b128 v[4:7], v2 offset:1280
	ds_load_b128 v[152:155], v2 offset:1296
	scratch_load_b128 v[172:175], off, off offset:592
	v_fmac_f64_e32 v[178:179], v[162:163], v[8:9]
	v_fma_f64 v[160:161], v[160:161], v[8:9], -v[10:11]
	scratch_load_b128 v[8:11], off, off offset:608
	s_wait_loadcnt_dscnt 0xc01
	v_mul_f64_e32 v[182:183], v[4:5], v[14:15]
	v_mul_f64_e32 v[14:15], v[6:7], v[14:15]
	v_add_f64_e32 v[162:163], 0, v[180:181]
	v_add_f64_e32 v[176:177], 0, v[176:177]
	s_wait_loadcnt_dscnt 0xb00
	v_mul_f64_e32 v[180:181], v[152:153], v[126:127]
	v_mul_f64_e32 v[126:127], v[154:155], v[126:127]
	v_fmac_f64_e32 v[182:183], v[6:7], v[12:13]
	v_fma_f64 v[184:185], v[4:5], v[12:13], -v[14:15]
	ds_load_b128 v[4:7], v2 offset:1312
	ds_load_b128 v[12:15], v2 offset:1328
	v_add_f64_e32 v[186:187], v[162:163], v[160:161]
	v_add_f64_e32 v[176:177], v[176:177], v[178:179]
	scratch_load_b128 v[160:163], off, off offset:624
	v_fmac_f64_e32 v[180:181], v[154:155], v[124:125]
	v_fma_f64 v[152:153], v[152:153], v[124:125], -v[126:127]
	scratch_load_b128 v[124:127], off, off offset:640
	s_wait_loadcnt_dscnt 0xc01
	v_mul_f64_e32 v[178:179], v[4:5], v[130:131]
	v_mul_f64_e32 v[130:131], v[6:7], v[130:131]
	v_add_f64_e32 v[154:155], v[186:187], v[184:185]
	v_add_f64_e32 v[176:177], v[176:177], v[182:183]
	s_wait_loadcnt_dscnt 0xb00
	v_mul_f64_e32 v[182:183], v[12:13], v[134:135]
	v_mul_f64_e32 v[134:135], v[14:15], v[134:135]
	v_fmac_f64_e32 v[178:179], v[6:7], v[128:129]
	v_fma_f64 v[184:185], v[4:5], v[128:129], -v[130:131]
	ds_load_b128 v[4:7], v2 offset:1344
	ds_load_b128 v[128:131], v2 offset:1360
	v_add_f64_e32 v[186:187], v[154:155], v[152:153]
	v_add_f64_e32 v[176:177], v[176:177], v[180:181]
	scratch_load_b128 v[152:155], off, off offset:656
	s_wait_loadcnt_dscnt 0xb01
	v_mul_f64_e32 v[180:181], v[4:5], v[138:139]
	v_mul_f64_e32 v[138:139], v[6:7], v[138:139]
	v_fmac_f64_e32 v[182:183], v[14:15], v[132:133]
	v_fma_f64 v[132:133], v[12:13], v[132:133], -v[134:135]
	scratch_load_b128 v[12:15], off, off offset:672
	v_add_f64_e32 v[134:135], v[186:187], v[184:185]
	v_add_f64_e32 v[176:177], v[176:177], v[178:179]
	s_wait_loadcnt_dscnt 0xb00
	v_mul_f64_e32 v[178:179], v[128:129], v[142:143]
	v_mul_f64_e32 v[142:143], v[130:131], v[142:143]
	v_fmac_f64_e32 v[180:181], v[6:7], v[136:137]
	v_fma_f64 v[184:185], v[4:5], v[136:137], -v[138:139]
	v_add_f64_e32 v[186:187], v[134:135], v[132:133]
	v_add_f64_e32 v[176:177], v[176:177], v[182:183]
	ds_load_b128 v[4:7], v2 offset:1376
	ds_load_b128 v[132:135], v2 offset:1392
	scratch_load_b128 v[136:139], off, off offset:688
	v_fmac_f64_e32 v[178:179], v[130:131], v[140:141]
	v_fma_f64 v[140:141], v[128:129], v[140:141], -v[142:143]
	scratch_load_b128 v[128:131], off, off offset:704
	s_wait_loadcnt_dscnt 0xc01
	v_mul_f64_e32 v[182:183], v[4:5], v[146:147]
	v_mul_f64_e32 v[146:147], v[6:7], v[146:147]
	v_add_f64_e32 v[142:143], v[186:187], v[184:185]
	v_add_f64_e32 v[176:177], v[176:177], v[180:181]
	s_wait_loadcnt_dscnt 0xb00
	v_mul_f64_e32 v[180:181], v[132:133], v[150:151]
	v_mul_f64_e32 v[150:151], v[134:135], v[150:151]
	v_fmac_f64_e32 v[182:183], v[6:7], v[144:145]
	v_fma_f64 v[184:185], v[4:5], v[144:145], -v[146:147]
	v_add_f64_e32 v[186:187], v[142:143], v[140:141]
	v_add_f64_e32 v[176:177], v[176:177], v[178:179]
	ds_load_b128 v[4:7], v2 offset:1408
	ds_load_b128 v[140:143], v2 offset:1424
	scratch_load_b128 v[144:147], off, off offset:720
	v_fmac_f64_e32 v[180:181], v[134:135], v[148:149]
	v_fma_f64 v[148:149], v[132:133], v[148:149], -v[150:151]
	scratch_load_b128 v[132:135], off, off offset:736
	s_wait_loadcnt_dscnt 0xc01
	v_mul_f64_e32 v[178:179], v[4:5], v[158:159]
	v_mul_f64_e32 v[158:159], v[6:7], v[158:159]
	;; [unrolled: 18-line block ×5, first 2 shown]
	v_add_f64_e32 v[170:171], v[186:187], v[184:185]
	v_add_f64_e32 v[176:177], v[176:177], v[182:183]
	s_wait_loadcnt_dscnt 0xa00
	v_mul_f64_e32 v[182:183], v[148:149], v[14:15]
	v_mul_f64_e32 v[14:15], v[150:151], v[14:15]
	v_fmac_f64_e32 v[178:179], v[6:7], v[152:153]
	v_fma_f64 v[184:185], v[4:5], v[152:153], -v[154:155]
	ds_load_b128 v[4:7], v2 offset:1536
	ds_load_b128 v[152:155], v2 offset:1552
	v_add_f64_e32 v[168:169], v[170:171], v[168:169]
	v_add_f64_e32 v[170:171], v[176:177], v[180:181]
	v_fmac_f64_e32 v[182:183], v[150:151], v[12:13]
	v_fma_f64 v[12:13], v[148:149], v[12:13], -v[14:15]
	s_wait_loadcnt_dscnt 0x901
	v_mul_f64_e32 v[176:177], v[4:5], v[138:139]
	v_mul_f64_e32 v[138:139], v[6:7], v[138:139]
	s_wait_loadcnt_dscnt 0x800
	v_mul_f64_e32 v[150:151], v[152:153], v[130:131]
	v_mul_f64_e32 v[130:131], v[154:155], v[130:131]
	v_add_f64_e32 v[14:15], v[168:169], v[184:185]
	v_add_f64_e32 v[148:149], v[170:171], v[178:179]
	v_fmac_f64_e32 v[176:177], v[6:7], v[136:137]
	v_fma_f64 v[136:137], v[4:5], v[136:137], -v[138:139]
	v_fmac_f64_e32 v[150:151], v[154:155], v[128:129]
	v_fma_f64 v[128:129], v[152:153], v[128:129], -v[130:131]
	v_add_f64_e32 v[138:139], v[14:15], v[12:13]
	v_add_f64_e32 v[148:149], v[148:149], v[182:183]
	ds_load_b128 v[4:7], v2 offset:1568
	ds_load_b128 v[12:15], v2 offset:1584
	s_wait_loadcnt_dscnt 0x701
	v_mul_f64_e32 v[168:169], v[4:5], v[146:147]
	v_mul_f64_e32 v[146:147], v[6:7], v[146:147]
	v_add_f64_e32 v[130:131], v[138:139], v[136:137]
	v_add_f64_e32 v[136:137], v[148:149], v[176:177]
	s_wait_loadcnt_dscnt 0x600
	v_mul_f64_e32 v[138:139], v[12:13], v[134:135]
	v_mul_f64_e32 v[134:135], v[14:15], v[134:135]
	v_fmac_f64_e32 v[168:169], v[6:7], v[144:145]
	v_fma_f64 v[144:145], v[4:5], v[144:145], -v[146:147]
	v_add_f64_e32 v[146:147], v[130:131], v[128:129]
	v_add_f64_e32 v[136:137], v[136:137], v[150:151]
	ds_load_b128 v[4:7], v2 offset:1600
	ds_load_b128 v[128:131], v2 offset:1616
	v_fmac_f64_e32 v[138:139], v[14:15], v[132:133]
	v_fma_f64 v[12:13], v[12:13], v[132:133], -v[134:135]
	s_wait_loadcnt_dscnt 0x501
	v_mul_f64_e32 v[148:149], v[4:5], v[158:159]
	v_mul_f64_e32 v[150:151], v[6:7], v[158:159]
	s_wait_loadcnt_dscnt 0x400
	v_mul_f64_e32 v[134:135], v[128:129], v[142:143]
	v_add_f64_e32 v[14:15], v[146:147], v[144:145]
	v_add_f64_e32 v[132:133], v[136:137], v[168:169]
	v_mul_f64_e32 v[136:137], v[130:131], v[142:143]
	v_fmac_f64_e32 v[148:149], v[6:7], v[156:157]
	v_fma_f64 v[142:143], v[4:5], v[156:157], -v[150:151]
	v_fmac_f64_e32 v[134:135], v[130:131], v[140:141]
	v_add_f64_e32 v[144:145], v[14:15], v[12:13]
	v_add_f64_e32 v[132:133], v[132:133], v[138:139]
	ds_load_b128 v[4:7], v2 offset:1632
	ds_load_b128 v[12:15], v2 offset:1648
	v_fma_f64 v[128:129], v[128:129], v[140:141], -v[136:137]
	s_wait_loadcnt_dscnt 0x301
	v_mul_f64_e32 v[138:139], v[4:5], v[174:175]
	v_mul_f64_e32 v[146:147], v[6:7], v[174:175]
	s_wait_loadcnt_dscnt 0x200
	v_mul_f64_e32 v[136:137], v[12:13], v[10:11]
	v_mul_f64_e32 v[10:11], v[14:15], v[10:11]
	v_add_f64_e32 v[130:131], v[144:145], v[142:143]
	v_add_f64_e32 v[132:133], v[132:133], v[148:149]
	v_fmac_f64_e32 v[138:139], v[6:7], v[172:173]
	v_fma_f64 v[140:141], v[4:5], v[172:173], -v[146:147]
	v_fmac_f64_e32 v[136:137], v[14:15], v[8:9]
	v_fma_f64 v[8:9], v[12:13], v[8:9], -v[10:11]
	v_add_f64_e32 v[142:143], v[130:131], v[128:129]
	v_add_f64_e32 v[132:133], v[132:133], v[134:135]
	ds_load_b128 v[4:7], v2 offset:1664
	ds_load_b128 v[128:131], v2 offset:1680
	s_wait_loadcnt_dscnt 0x101
	v_mul_f64_e32 v[2:3], v[4:5], v[162:163]
	v_mul_f64_e32 v[134:135], v[6:7], v[162:163]
	s_wait_loadcnt_dscnt 0x0
	v_mul_f64_e32 v[14:15], v[128:129], v[126:127]
	v_mul_f64_e32 v[126:127], v[130:131], v[126:127]
	v_add_f64_e32 v[10:11], v[142:143], v[140:141]
	v_add_f64_e32 v[12:13], v[132:133], v[138:139]
	v_fmac_f64_e32 v[2:3], v[6:7], v[160:161]
	v_fma_f64 v[4:5], v[4:5], v[160:161], -v[134:135]
	v_fmac_f64_e32 v[14:15], v[130:131], v[124:125]
	v_add_f64_e32 v[6:7], v[10:11], v[8:9]
	v_add_f64_e32 v[8:9], v[12:13], v[136:137]
	v_fma_f64 v[10:11], v[128:129], v[124:125], -v[126:127]
	s_delay_alu instid0(VALU_DEP_3) | instskip(NEXT) | instid1(VALU_DEP_3)
	v_add_f64_e32 v[4:5], v[6:7], v[4:5]
	v_add_f64_e32 v[2:3], v[8:9], v[2:3]
	s_delay_alu instid0(VALU_DEP_2) | instskip(NEXT) | instid1(VALU_DEP_2)
	v_add_f64_e32 v[4:5], v[4:5], v[10:11]
	v_add_f64_e32 v[6:7], v[2:3], v[14:15]
	s_delay_alu instid0(VALU_DEP_2) | instskip(NEXT) | instid1(VALU_DEP_2)
	v_add_f64_e64 v[2:3], v[164:165], -v[4:5]
	v_add_f64_e64 v[4:5], v[166:167], -v[6:7]
	scratch_store_b128 off, v[2:5], off offset:384
	s_wait_xcnt 0x0
	v_cmpx_lt_u32_e32 23, v1
	s_cbranch_execz .LBB52_285
; %bb.284:
	scratch_load_b128 v[2:5], off, s45
	v_mov_b32_e32 v6, 0
	s_delay_alu instid0(VALU_DEP_1)
	v_dual_mov_b32 v7, v6 :: v_dual_mov_b32 v8, v6
	v_mov_b32_e32 v9, v6
	scratch_store_b128 off, v[6:9], off offset:368
	s_wait_loadcnt 0x0
	ds_store_b128 v122, v[2:5]
.LBB52_285:
	s_wait_xcnt 0x0
	s_or_b32 exec_lo, exec_lo, s2
	s_wait_storecnt_dscnt 0x0
	s_barrier_signal -1
	s_barrier_wait -1
	s_clause 0x9
	scratch_load_b128 v[4:7], off, off offset:384
	scratch_load_b128 v[8:11], off, off offset:400
	;; [unrolled: 1-line block ×10, first 2 shown]
	v_mov_b32_e32 v2, 0
	s_mov_b32 s2, exec_lo
	ds_load_b128 v[152:155], v2 offset:1232
	s_clause 0x2
	scratch_load_b128 v[156:159], off, off offset:544
	scratch_load_b128 v[160:163], off, off offset:368
	;; [unrolled: 1-line block ×3, first 2 shown]
	s_wait_loadcnt_dscnt 0xc00
	v_mul_f64_e32 v[172:173], v[154:155], v[6:7]
	v_mul_f64_e32 v[176:177], v[152:153], v[6:7]
	ds_load_b128 v[164:167], v2 offset:1248
	v_fma_f64 v[180:181], v[152:153], v[4:5], -v[172:173]
	v_fmac_f64_e32 v[176:177], v[154:155], v[4:5]
	ds_load_b128 v[4:7], v2 offset:1264
	s_wait_loadcnt_dscnt 0xb01
	v_mul_f64_e32 v[178:179], v[164:165], v[10:11]
	v_mul_f64_e32 v[10:11], v[166:167], v[10:11]
	scratch_load_b128 v[152:155], off, off offset:576
	ds_load_b128 v[172:175], v2 offset:1280
	s_wait_loadcnt_dscnt 0xb01
	v_mul_f64_e32 v[182:183], v[4:5], v[14:15]
	v_mul_f64_e32 v[14:15], v[6:7], v[14:15]
	v_add_f64_e32 v[176:177], 0, v[176:177]
	v_fmac_f64_e32 v[178:179], v[166:167], v[8:9]
	v_fma_f64 v[164:165], v[164:165], v[8:9], -v[10:11]
	v_add_f64_e32 v[166:167], 0, v[180:181]
	scratch_load_b128 v[8:11], off, off offset:592
	v_fmac_f64_e32 v[182:183], v[6:7], v[12:13]
	v_fma_f64 v[184:185], v[4:5], v[12:13], -v[14:15]
	ds_load_b128 v[4:7], v2 offset:1296
	s_wait_loadcnt_dscnt 0xb01
	v_mul_f64_e32 v[180:181], v[172:173], v[126:127]
	v_mul_f64_e32 v[126:127], v[174:175], v[126:127]
	scratch_load_b128 v[12:15], off, off offset:608
	v_add_f64_e32 v[176:177], v[176:177], v[178:179]
	v_add_f64_e32 v[186:187], v[166:167], v[164:165]
	ds_load_b128 v[164:167], v2 offset:1312
	s_wait_loadcnt_dscnt 0xb01
	v_mul_f64_e32 v[178:179], v[4:5], v[130:131]
	v_mul_f64_e32 v[130:131], v[6:7], v[130:131]
	v_fmac_f64_e32 v[180:181], v[174:175], v[124:125]
	v_fma_f64 v[172:173], v[172:173], v[124:125], -v[126:127]
	scratch_load_b128 v[124:127], off, off offset:624
	v_add_f64_e32 v[176:177], v[176:177], v[182:183]
	v_add_f64_e32 v[174:175], v[186:187], v[184:185]
	v_fmac_f64_e32 v[178:179], v[6:7], v[128:129]
	v_fma_f64 v[184:185], v[4:5], v[128:129], -v[130:131]
	ds_load_b128 v[4:7], v2 offset:1328
	s_wait_loadcnt_dscnt 0xb01
	v_mul_f64_e32 v[182:183], v[164:165], v[134:135]
	v_mul_f64_e32 v[134:135], v[166:167], v[134:135]
	scratch_load_b128 v[128:131], off, off offset:640
	v_add_f64_e32 v[176:177], v[176:177], v[180:181]
	s_wait_loadcnt_dscnt 0xb00
	v_mul_f64_e32 v[180:181], v[4:5], v[138:139]
	v_add_f64_e32 v[186:187], v[174:175], v[172:173]
	v_mul_f64_e32 v[138:139], v[6:7], v[138:139]
	ds_load_b128 v[172:175], v2 offset:1344
	v_fmac_f64_e32 v[182:183], v[166:167], v[132:133]
	v_fma_f64 v[164:165], v[164:165], v[132:133], -v[134:135]
	scratch_load_b128 v[132:135], off, off offset:656
	v_add_f64_e32 v[176:177], v[176:177], v[178:179]
	v_fmac_f64_e32 v[180:181], v[6:7], v[136:137]
	v_add_f64_e32 v[166:167], v[186:187], v[184:185]
	v_fma_f64 v[184:185], v[4:5], v[136:137], -v[138:139]
	ds_load_b128 v[4:7], v2 offset:1360
	s_wait_loadcnt_dscnt 0xb01
	v_mul_f64_e32 v[178:179], v[172:173], v[142:143]
	v_mul_f64_e32 v[142:143], v[174:175], v[142:143]
	scratch_load_b128 v[136:139], off, off offset:672
	v_add_f64_e32 v[176:177], v[176:177], v[182:183]
	s_wait_loadcnt_dscnt 0xb00
	v_mul_f64_e32 v[182:183], v[4:5], v[146:147]
	v_add_f64_e32 v[186:187], v[166:167], v[164:165]
	v_mul_f64_e32 v[146:147], v[6:7], v[146:147]
	ds_load_b128 v[164:167], v2 offset:1376
	v_fmac_f64_e32 v[178:179], v[174:175], v[140:141]
	v_fma_f64 v[172:173], v[172:173], v[140:141], -v[142:143]
	scratch_load_b128 v[140:143], off, off offset:688
	v_add_f64_e32 v[176:177], v[176:177], v[180:181]
	v_fmac_f64_e32 v[182:183], v[6:7], v[144:145]
	v_add_f64_e32 v[174:175], v[186:187], v[184:185]
	;; [unrolled: 18-line block ×3, first 2 shown]
	v_fma_f64 v[184:185], v[4:5], v[156:157], -v[158:159]
	ds_load_b128 v[4:7], v2 offset:1424
	s_wait_loadcnt_dscnt 0xa01
	v_mul_f64_e32 v[182:183], v[172:173], v[170:171]
	v_mul_f64_e32 v[170:171], v[174:175], v[170:171]
	scratch_load_b128 v[156:159], off, off offset:736
	v_add_f64_e32 v[176:177], v[176:177], v[180:181]
	v_add_f64_e32 v[186:187], v[166:167], v[164:165]
	s_wait_loadcnt_dscnt 0xa00
	v_mul_f64_e32 v[180:181], v[4:5], v[154:155]
	v_mul_f64_e32 v[154:155], v[6:7], v[154:155]
	v_fmac_f64_e32 v[182:183], v[174:175], v[168:169]
	v_fma_f64 v[172:173], v[172:173], v[168:169], -v[170:171]
	ds_load_b128 v[164:167], v2 offset:1440
	scratch_load_b128 v[168:171], off, off offset:752
	v_add_f64_e32 v[176:177], v[176:177], v[178:179]
	v_add_f64_e32 v[174:175], v[186:187], v[184:185]
	v_fmac_f64_e32 v[180:181], v[6:7], v[152:153]
	v_fma_f64 v[184:185], v[4:5], v[152:153], -v[154:155]
	ds_load_b128 v[4:7], v2 offset:1456
	s_wait_loadcnt_dscnt 0xa01
	v_mul_f64_e32 v[178:179], v[164:165], v[10:11]
	v_mul_f64_e32 v[10:11], v[166:167], v[10:11]
	scratch_load_b128 v[152:155], off, off offset:768
	v_add_f64_e32 v[176:177], v[176:177], v[182:183]
	s_wait_loadcnt_dscnt 0xa00
	v_mul_f64_e32 v[182:183], v[4:5], v[14:15]
	v_add_f64_e32 v[186:187], v[174:175], v[172:173]
	v_mul_f64_e32 v[14:15], v[6:7], v[14:15]
	ds_load_b128 v[172:175], v2 offset:1472
	v_fmac_f64_e32 v[178:179], v[166:167], v[8:9]
	v_fma_f64 v[164:165], v[164:165], v[8:9], -v[10:11]
	scratch_load_b128 v[8:11], off, off offset:784
	v_add_f64_e32 v[176:177], v[176:177], v[180:181]
	v_fmac_f64_e32 v[182:183], v[6:7], v[12:13]
	v_add_f64_e32 v[166:167], v[186:187], v[184:185]
	v_fma_f64 v[184:185], v[4:5], v[12:13], -v[14:15]
	ds_load_b128 v[4:7], v2 offset:1488
	s_wait_loadcnt_dscnt 0xa01
	v_mul_f64_e32 v[180:181], v[172:173], v[126:127]
	v_mul_f64_e32 v[126:127], v[174:175], v[126:127]
	scratch_load_b128 v[12:15], off, off offset:800
	v_add_f64_e32 v[176:177], v[176:177], v[178:179]
	s_wait_loadcnt_dscnt 0xa00
	v_mul_f64_e32 v[178:179], v[4:5], v[130:131]
	v_add_f64_e32 v[186:187], v[166:167], v[164:165]
	v_mul_f64_e32 v[130:131], v[6:7], v[130:131]
	ds_load_b128 v[164:167], v2 offset:1504
	v_fmac_f64_e32 v[180:181], v[174:175], v[124:125]
	v_fma_f64 v[172:173], v[172:173], v[124:125], -v[126:127]
	scratch_load_b128 v[124:127], off, off offset:816
	v_add_f64_e32 v[176:177], v[176:177], v[182:183]
	v_fmac_f64_e32 v[178:179], v[6:7], v[128:129]
	v_add_f64_e32 v[174:175], v[186:187], v[184:185]
	v_fma_f64 v[184:185], v[4:5], v[128:129], -v[130:131]
	ds_load_b128 v[4:7], v2 offset:1520
	s_wait_loadcnt_dscnt 0xa01
	v_mul_f64_e32 v[182:183], v[164:165], v[134:135]
	v_mul_f64_e32 v[134:135], v[166:167], v[134:135]
	scratch_load_b128 v[128:131], off, off offset:832
	v_add_f64_e32 v[176:177], v[176:177], v[180:181]
	s_wait_loadcnt_dscnt 0xa00
	v_mul_f64_e32 v[180:181], v[4:5], v[138:139]
	v_add_f64_e32 v[186:187], v[174:175], v[172:173]
	v_mul_f64_e32 v[138:139], v[6:7], v[138:139]
	ds_load_b128 v[172:175], v2 offset:1536
	v_fmac_f64_e32 v[182:183], v[166:167], v[132:133]
	v_fma_f64 v[132:133], v[164:165], v[132:133], -v[134:135]
	s_wait_loadcnt_dscnt 0x900
	v_mul_f64_e32 v[166:167], v[172:173], v[142:143]
	v_mul_f64_e32 v[142:143], v[174:175], v[142:143]
	v_add_f64_e32 v[164:165], v[176:177], v[178:179]
	v_fmac_f64_e32 v[180:181], v[6:7], v[136:137]
	v_add_f64_e32 v[134:135], v[186:187], v[184:185]
	v_fma_f64 v[136:137], v[4:5], v[136:137], -v[138:139]
	v_fmac_f64_e32 v[166:167], v[174:175], v[140:141]
	v_fma_f64 v[140:141], v[172:173], v[140:141], -v[142:143]
	v_add_f64_e32 v[164:165], v[164:165], v[182:183]
	v_add_f64_e32 v[138:139], v[134:135], v[132:133]
	ds_load_b128 v[4:7], v2 offset:1552
	ds_load_b128 v[132:135], v2 offset:1568
	s_wait_loadcnt_dscnt 0x801
	v_mul_f64_e32 v[176:177], v[4:5], v[146:147]
	v_mul_f64_e32 v[146:147], v[6:7], v[146:147]
	s_wait_loadcnt_dscnt 0x700
	v_mul_f64_e32 v[142:143], v[132:133], v[150:151]
	v_mul_f64_e32 v[150:151], v[134:135], v[150:151]
	v_add_f64_e32 v[136:137], v[138:139], v[136:137]
	v_add_f64_e32 v[138:139], v[164:165], v[180:181]
	v_fmac_f64_e32 v[176:177], v[6:7], v[144:145]
	v_fma_f64 v[144:145], v[4:5], v[144:145], -v[146:147]
	v_fmac_f64_e32 v[142:143], v[134:135], v[148:149]
	v_fma_f64 v[132:133], v[132:133], v[148:149], -v[150:151]
	v_add_f64_e32 v[140:141], v[136:137], v[140:141]
	v_add_f64_e32 v[146:147], v[138:139], v[166:167]
	ds_load_b128 v[4:7], v2 offset:1584
	ds_load_b128 v[136:139], v2 offset:1600
	s_wait_loadcnt_dscnt 0x601
	v_mul_f64_e32 v[164:165], v[4:5], v[158:159]
	v_mul_f64_e32 v[158:159], v[6:7], v[158:159]
	v_add_f64_e32 v[134:135], v[140:141], v[144:145]
	v_add_f64_e32 v[140:141], v[146:147], v[176:177]
	s_wait_loadcnt_dscnt 0x500
	v_mul_f64_e32 v[144:145], v[136:137], v[170:171]
	v_mul_f64_e32 v[146:147], v[138:139], v[170:171]
	v_fmac_f64_e32 v[164:165], v[6:7], v[156:157]
	v_fma_f64 v[148:149], v[4:5], v[156:157], -v[158:159]
	v_add_f64_e32 v[150:151], v[134:135], v[132:133]
	v_add_f64_e32 v[140:141], v[140:141], v[142:143]
	ds_load_b128 v[4:7], v2 offset:1616
	ds_load_b128 v[132:135], v2 offset:1632
	v_fmac_f64_e32 v[144:145], v[138:139], v[168:169]
	v_fma_f64 v[136:137], v[136:137], v[168:169], -v[146:147]
	s_wait_loadcnt_dscnt 0x401
	v_mul_f64_e32 v[142:143], v[4:5], v[154:155]
	v_mul_f64_e32 v[154:155], v[6:7], v[154:155]
	s_wait_loadcnt_dscnt 0x300
	v_mul_f64_e32 v[146:147], v[132:133], v[10:11]
	v_mul_f64_e32 v[10:11], v[134:135], v[10:11]
	v_add_f64_e32 v[138:139], v[150:151], v[148:149]
	v_add_f64_e32 v[140:141], v[140:141], v[164:165]
	v_fmac_f64_e32 v[142:143], v[6:7], v[152:153]
	v_fma_f64 v[148:149], v[4:5], v[152:153], -v[154:155]
	v_fmac_f64_e32 v[146:147], v[134:135], v[8:9]
	v_fma_f64 v[8:9], v[132:133], v[8:9], -v[10:11]
	v_add_f64_e32 v[150:151], v[138:139], v[136:137]
	v_add_f64_e32 v[140:141], v[140:141], v[144:145]
	ds_load_b128 v[4:7], v2 offset:1648
	ds_load_b128 v[136:139], v2 offset:1664
	s_wait_loadcnt_dscnt 0x201
	v_mul_f64_e32 v[144:145], v[4:5], v[14:15]
	v_mul_f64_e32 v[14:15], v[6:7], v[14:15]
	s_wait_loadcnt_dscnt 0x100
	v_mul_f64_e32 v[134:135], v[136:137], v[126:127]
	v_mul_f64_e32 v[126:127], v[138:139], v[126:127]
	v_add_f64_e32 v[10:11], v[150:151], v[148:149]
	v_add_f64_e32 v[132:133], v[140:141], v[142:143]
	v_fmac_f64_e32 v[144:145], v[6:7], v[12:13]
	v_fma_f64 v[12:13], v[4:5], v[12:13], -v[14:15]
	ds_load_b128 v[4:7], v2 offset:1680
	v_fmac_f64_e32 v[134:135], v[138:139], v[124:125]
	v_fma_f64 v[124:125], v[136:137], v[124:125], -v[126:127]
	v_add_f64_e32 v[8:9], v[10:11], v[8:9]
	v_add_f64_e32 v[10:11], v[132:133], v[146:147]
	s_wait_loadcnt_dscnt 0x0
	v_mul_f64_e32 v[14:15], v[4:5], v[130:131]
	v_mul_f64_e32 v[130:131], v[6:7], v[130:131]
	s_delay_alu instid0(VALU_DEP_4) | instskip(NEXT) | instid1(VALU_DEP_4)
	v_add_f64_e32 v[8:9], v[8:9], v[12:13]
	v_add_f64_e32 v[10:11], v[10:11], v[144:145]
	s_delay_alu instid0(VALU_DEP_4) | instskip(NEXT) | instid1(VALU_DEP_4)
	v_fmac_f64_e32 v[14:15], v[6:7], v[128:129]
	v_fma_f64 v[4:5], v[4:5], v[128:129], -v[130:131]
	s_delay_alu instid0(VALU_DEP_4) | instskip(NEXT) | instid1(VALU_DEP_4)
	v_add_f64_e32 v[6:7], v[8:9], v[124:125]
	v_add_f64_e32 v[8:9], v[10:11], v[134:135]
	s_delay_alu instid0(VALU_DEP_2) | instskip(NEXT) | instid1(VALU_DEP_2)
	v_add_f64_e32 v[4:5], v[6:7], v[4:5]
	v_add_f64_e32 v[6:7], v[8:9], v[14:15]
	s_delay_alu instid0(VALU_DEP_2) | instskip(NEXT) | instid1(VALU_DEP_2)
	v_add_f64_e64 v[4:5], v[160:161], -v[4:5]
	v_add_f64_e64 v[6:7], v[162:163], -v[6:7]
	scratch_store_b128 off, v[4:7], off offset:368
	s_wait_xcnt 0x0
	v_cmpx_lt_u32_e32 22, v1
	s_cbranch_execz .LBB52_287
; %bb.286:
	scratch_load_b128 v[6:9], off, s42
	v_dual_mov_b32 v3, v2 :: v_dual_mov_b32 v4, v2
	v_mov_b32_e32 v5, v2
	scratch_store_b128 off, v[2:5], off offset:352
	s_wait_loadcnt 0x0
	ds_store_b128 v122, v[6:9]
.LBB52_287:
	s_wait_xcnt 0x0
	s_or_b32 exec_lo, exec_lo, s2
	s_wait_storecnt_dscnt 0x0
	s_barrier_signal -1
	s_barrier_wait -1
	s_clause 0x9
	scratch_load_b128 v[4:7], off, off offset:368
	scratch_load_b128 v[8:11], off, off offset:384
	;; [unrolled: 1-line block ×10, first 2 shown]
	ds_load_b128 v[152:155], v2 offset:1216
	ds_load_b128 v[160:163], v2 offset:1232
	s_clause 0x2
	scratch_load_b128 v[156:159], off, off offset:528
	scratch_load_b128 v[164:167], off, off offset:352
	;; [unrolled: 1-line block ×3, first 2 shown]
	s_mov_b32 s2, exec_lo
	s_wait_loadcnt_dscnt 0xc01
	v_mul_f64_e32 v[172:173], v[154:155], v[6:7]
	v_mul_f64_e32 v[176:177], v[152:153], v[6:7]
	s_wait_loadcnt_dscnt 0xb00
	v_mul_f64_e32 v[178:179], v[160:161], v[10:11]
	v_mul_f64_e32 v[10:11], v[162:163], v[10:11]
	s_delay_alu instid0(VALU_DEP_4) | instskip(NEXT) | instid1(VALU_DEP_4)
	v_fma_f64 v[180:181], v[152:153], v[4:5], -v[172:173]
	v_fmac_f64_e32 v[176:177], v[154:155], v[4:5]
	ds_load_b128 v[4:7], v2 offset:1248
	ds_load_b128 v[152:155], v2 offset:1264
	scratch_load_b128 v[172:175], off, off offset:560
	v_fmac_f64_e32 v[178:179], v[162:163], v[8:9]
	v_fma_f64 v[160:161], v[160:161], v[8:9], -v[10:11]
	scratch_load_b128 v[8:11], off, off offset:576
	s_wait_loadcnt_dscnt 0xc01
	v_mul_f64_e32 v[182:183], v[4:5], v[14:15]
	v_mul_f64_e32 v[14:15], v[6:7], v[14:15]
	v_add_f64_e32 v[162:163], 0, v[180:181]
	v_add_f64_e32 v[176:177], 0, v[176:177]
	s_wait_loadcnt_dscnt 0xb00
	v_mul_f64_e32 v[180:181], v[152:153], v[126:127]
	v_mul_f64_e32 v[126:127], v[154:155], v[126:127]
	v_fmac_f64_e32 v[182:183], v[6:7], v[12:13]
	v_fma_f64 v[184:185], v[4:5], v[12:13], -v[14:15]
	ds_load_b128 v[4:7], v2 offset:1280
	ds_load_b128 v[12:15], v2 offset:1296
	v_add_f64_e32 v[186:187], v[162:163], v[160:161]
	v_add_f64_e32 v[176:177], v[176:177], v[178:179]
	scratch_load_b128 v[160:163], off, off offset:592
	v_fmac_f64_e32 v[180:181], v[154:155], v[124:125]
	v_fma_f64 v[152:153], v[152:153], v[124:125], -v[126:127]
	scratch_load_b128 v[124:127], off, off offset:608
	s_wait_loadcnt_dscnt 0xc01
	v_mul_f64_e32 v[178:179], v[4:5], v[130:131]
	v_mul_f64_e32 v[130:131], v[6:7], v[130:131]
	v_add_f64_e32 v[154:155], v[186:187], v[184:185]
	v_add_f64_e32 v[176:177], v[176:177], v[182:183]
	s_wait_loadcnt_dscnt 0xb00
	v_mul_f64_e32 v[182:183], v[12:13], v[134:135]
	v_mul_f64_e32 v[134:135], v[14:15], v[134:135]
	v_fmac_f64_e32 v[178:179], v[6:7], v[128:129]
	v_fma_f64 v[184:185], v[4:5], v[128:129], -v[130:131]
	ds_load_b128 v[4:7], v2 offset:1312
	ds_load_b128 v[128:131], v2 offset:1328
	v_add_f64_e32 v[186:187], v[154:155], v[152:153]
	v_add_f64_e32 v[176:177], v[176:177], v[180:181]
	scratch_load_b128 v[152:155], off, off offset:624
	s_wait_loadcnt_dscnt 0xb01
	v_mul_f64_e32 v[180:181], v[4:5], v[138:139]
	v_mul_f64_e32 v[138:139], v[6:7], v[138:139]
	v_fmac_f64_e32 v[182:183], v[14:15], v[132:133]
	v_fma_f64 v[132:133], v[12:13], v[132:133], -v[134:135]
	scratch_load_b128 v[12:15], off, off offset:640
	v_add_f64_e32 v[134:135], v[186:187], v[184:185]
	v_add_f64_e32 v[176:177], v[176:177], v[178:179]
	s_wait_loadcnt_dscnt 0xb00
	v_mul_f64_e32 v[178:179], v[128:129], v[142:143]
	v_mul_f64_e32 v[142:143], v[130:131], v[142:143]
	v_fmac_f64_e32 v[180:181], v[6:7], v[136:137]
	v_fma_f64 v[184:185], v[4:5], v[136:137], -v[138:139]
	v_add_f64_e32 v[186:187], v[134:135], v[132:133]
	v_add_f64_e32 v[176:177], v[176:177], v[182:183]
	ds_load_b128 v[4:7], v2 offset:1344
	ds_load_b128 v[132:135], v2 offset:1360
	scratch_load_b128 v[136:139], off, off offset:656
	v_fmac_f64_e32 v[178:179], v[130:131], v[140:141]
	v_fma_f64 v[140:141], v[128:129], v[140:141], -v[142:143]
	scratch_load_b128 v[128:131], off, off offset:672
	s_wait_loadcnt_dscnt 0xc01
	v_mul_f64_e32 v[182:183], v[4:5], v[146:147]
	v_mul_f64_e32 v[146:147], v[6:7], v[146:147]
	v_add_f64_e32 v[142:143], v[186:187], v[184:185]
	v_add_f64_e32 v[176:177], v[176:177], v[180:181]
	s_wait_loadcnt_dscnt 0xb00
	v_mul_f64_e32 v[180:181], v[132:133], v[150:151]
	v_mul_f64_e32 v[150:151], v[134:135], v[150:151]
	v_fmac_f64_e32 v[182:183], v[6:7], v[144:145]
	v_fma_f64 v[184:185], v[4:5], v[144:145], -v[146:147]
	v_add_f64_e32 v[186:187], v[142:143], v[140:141]
	v_add_f64_e32 v[176:177], v[176:177], v[178:179]
	ds_load_b128 v[4:7], v2 offset:1376
	ds_load_b128 v[140:143], v2 offset:1392
	scratch_load_b128 v[144:147], off, off offset:688
	v_fmac_f64_e32 v[180:181], v[134:135], v[148:149]
	v_fma_f64 v[148:149], v[132:133], v[148:149], -v[150:151]
	scratch_load_b128 v[132:135], off, off offset:704
	s_wait_loadcnt_dscnt 0xc01
	v_mul_f64_e32 v[178:179], v[4:5], v[158:159]
	v_mul_f64_e32 v[158:159], v[6:7], v[158:159]
	;; [unrolled: 18-line block ×5, first 2 shown]
	v_add_f64_e32 v[170:171], v[186:187], v[184:185]
	v_add_f64_e32 v[176:177], v[176:177], v[182:183]
	s_wait_loadcnt_dscnt 0xa00
	v_mul_f64_e32 v[182:183], v[148:149], v[14:15]
	v_mul_f64_e32 v[14:15], v[150:151], v[14:15]
	v_fmac_f64_e32 v[178:179], v[6:7], v[152:153]
	v_fma_f64 v[184:185], v[4:5], v[152:153], -v[154:155]
	ds_load_b128 v[4:7], v2 offset:1504
	ds_load_b128 v[152:155], v2 offset:1520
	v_add_f64_e32 v[186:187], v[170:171], v[168:169]
	v_add_f64_e32 v[176:177], v[176:177], v[180:181]
	scratch_load_b128 v[168:171], off, off offset:816
	v_fmac_f64_e32 v[182:183], v[150:151], v[12:13]
	v_fma_f64 v[148:149], v[148:149], v[12:13], -v[14:15]
	scratch_load_b128 v[12:15], off, off offset:832
	s_wait_loadcnt_dscnt 0xb01
	v_mul_f64_e32 v[180:181], v[4:5], v[138:139]
	v_mul_f64_e32 v[138:139], v[6:7], v[138:139]
	v_add_f64_e32 v[150:151], v[186:187], v[184:185]
	v_add_f64_e32 v[176:177], v[176:177], v[178:179]
	s_wait_loadcnt_dscnt 0xa00
	v_mul_f64_e32 v[178:179], v[152:153], v[130:131]
	v_mul_f64_e32 v[130:131], v[154:155], v[130:131]
	v_fmac_f64_e32 v[180:181], v[6:7], v[136:137]
	v_fma_f64 v[184:185], v[4:5], v[136:137], -v[138:139]
	ds_load_b128 v[4:7], v2 offset:1536
	ds_load_b128 v[136:139], v2 offset:1552
	v_add_f64_e32 v[148:149], v[150:151], v[148:149]
	v_add_f64_e32 v[150:151], v[176:177], v[182:183]
	v_fmac_f64_e32 v[178:179], v[154:155], v[128:129]
	s_wait_loadcnt_dscnt 0x901
	v_mul_f64_e32 v[176:177], v[4:5], v[146:147]
	v_mul_f64_e32 v[146:147], v[6:7], v[146:147]
	v_fma_f64 v[128:129], v[152:153], v[128:129], -v[130:131]
	v_add_f64_e32 v[130:131], v[148:149], v[184:185]
	v_add_f64_e32 v[148:149], v[150:151], v[180:181]
	s_wait_loadcnt_dscnt 0x800
	v_mul_f64_e32 v[150:151], v[136:137], v[134:135]
	v_mul_f64_e32 v[134:135], v[138:139], v[134:135]
	v_fmac_f64_e32 v[176:177], v[6:7], v[144:145]
	v_fma_f64 v[144:145], v[4:5], v[144:145], -v[146:147]
	v_add_f64_e32 v[146:147], v[130:131], v[128:129]
	v_add_f64_e32 v[148:149], v[148:149], v[178:179]
	ds_load_b128 v[4:7], v2 offset:1568
	ds_load_b128 v[128:131], v2 offset:1584
	v_fmac_f64_e32 v[150:151], v[138:139], v[132:133]
	v_fma_f64 v[132:133], v[136:137], v[132:133], -v[134:135]
	s_wait_loadcnt_dscnt 0x701
	v_mul_f64_e32 v[152:153], v[4:5], v[158:159]
	v_mul_f64_e32 v[154:155], v[6:7], v[158:159]
	s_wait_loadcnt_dscnt 0x600
	v_mul_f64_e32 v[138:139], v[128:129], v[142:143]
	v_mul_f64_e32 v[142:143], v[130:131], v[142:143]
	v_add_f64_e32 v[134:135], v[146:147], v[144:145]
	v_add_f64_e32 v[136:137], v[148:149], v[176:177]
	v_fmac_f64_e32 v[152:153], v[6:7], v[156:157]
	v_fma_f64 v[144:145], v[4:5], v[156:157], -v[154:155]
	v_fmac_f64_e32 v[138:139], v[130:131], v[140:141]
	v_fma_f64 v[128:129], v[128:129], v[140:141], -v[142:143]
	v_add_f64_e32 v[146:147], v[134:135], v[132:133]
	v_add_f64_e32 v[136:137], v[136:137], v[150:151]
	ds_load_b128 v[4:7], v2 offset:1600
	ds_load_b128 v[132:135], v2 offset:1616
	s_wait_loadcnt_dscnt 0x501
	v_mul_f64_e32 v[148:149], v[4:5], v[174:175]
	v_mul_f64_e32 v[150:151], v[6:7], v[174:175]
	s_wait_loadcnt_dscnt 0x400
	v_mul_f64_e32 v[140:141], v[132:133], v[10:11]
	v_mul_f64_e32 v[10:11], v[134:135], v[10:11]
	v_add_f64_e32 v[130:131], v[146:147], v[144:145]
	v_add_f64_e32 v[136:137], v[136:137], v[152:153]
	v_fmac_f64_e32 v[148:149], v[6:7], v[172:173]
	v_fma_f64 v[142:143], v[4:5], v[172:173], -v[150:151]
	v_fmac_f64_e32 v[140:141], v[134:135], v[8:9]
	v_fma_f64 v[8:9], v[132:133], v[8:9], -v[10:11]
	v_add_f64_e32 v[144:145], v[130:131], v[128:129]
	v_add_f64_e32 v[136:137], v[136:137], v[138:139]
	ds_load_b128 v[4:7], v2 offset:1632
	ds_load_b128 v[128:131], v2 offset:1648
	;; [unrolled: 16-line block ×3, first 2 shown]
	s_wait_loadcnt_dscnt 0x101
	v_mul_f64_e32 v[2:3], v[4:5], v[170:171]
	v_mul_f64_e32 v[140:141], v[6:7], v[170:171]
	s_wait_loadcnt_dscnt 0x0
	v_mul_f64_e32 v[130:131], v[8:9], v[14:15]
	v_mul_f64_e32 v[14:15], v[10:11], v[14:15]
	v_add_f64_e32 v[126:127], v[142:143], v[136:137]
	v_add_f64_e32 v[128:129], v[132:133], v[138:139]
	v_fmac_f64_e32 v[2:3], v[6:7], v[168:169]
	v_fma_f64 v[4:5], v[4:5], v[168:169], -v[140:141]
	v_fmac_f64_e32 v[130:131], v[10:11], v[12:13]
	v_fma_f64 v[8:9], v[8:9], v[12:13], -v[14:15]
	v_add_f64_e32 v[6:7], v[126:127], v[124:125]
	v_add_f64_e32 v[124:125], v[128:129], v[134:135]
	s_delay_alu instid0(VALU_DEP_2) | instskip(NEXT) | instid1(VALU_DEP_2)
	v_add_f64_e32 v[4:5], v[6:7], v[4:5]
	v_add_f64_e32 v[2:3], v[124:125], v[2:3]
	s_delay_alu instid0(VALU_DEP_2) | instskip(NEXT) | instid1(VALU_DEP_2)
	;; [unrolled: 3-line block ×3, first 2 shown]
	v_add_f64_e64 v[2:3], v[164:165], -v[4:5]
	v_add_f64_e64 v[4:5], v[166:167], -v[6:7]
	scratch_store_b128 off, v[2:5], off offset:352
	s_wait_xcnt 0x0
	v_cmpx_lt_u32_e32 21, v1
	s_cbranch_execz .LBB52_289
; %bb.288:
	scratch_load_b128 v[2:5], off, s40
	v_mov_b32_e32 v6, 0
	s_delay_alu instid0(VALU_DEP_1)
	v_dual_mov_b32 v7, v6 :: v_dual_mov_b32 v8, v6
	v_mov_b32_e32 v9, v6
	scratch_store_b128 off, v[6:9], off offset:336
	s_wait_loadcnt 0x0
	ds_store_b128 v122, v[2:5]
.LBB52_289:
	s_wait_xcnt 0x0
	s_or_b32 exec_lo, exec_lo, s2
	s_wait_storecnt_dscnt 0x0
	s_barrier_signal -1
	s_barrier_wait -1
	s_clause 0x9
	scratch_load_b128 v[4:7], off, off offset:352
	scratch_load_b128 v[8:11], off, off offset:368
	;; [unrolled: 1-line block ×10, first 2 shown]
	v_mov_b32_e32 v2, 0
	s_mov_b32 s2, exec_lo
	ds_load_b128 v[152:155], v2 offset:1200
	s_clause 0x2
	scratch_load_b128 v[156:159], off, off offset:512
	scratch_load_b128 v[160:163], off, off offset:336
	;; [unrolled: 1-line block ×3, first 2 shown]
	s_wait_loadcnt_dscnt 0xc00
	v_mul_f64_e32 v[172:173], v[154:155], v[6:7]
	v_mul_f64_e32 v[176:177], v[152:153], v[6:7]
	ds_load_b128 v[164:167], v2 offset:1216
	v_fma_f64 v[180:181], v[152:153], v[4:5], -v[172:173]
	v_fmac_f64_e32 v[176:177], v[154:155], v[4:5]
	ds_load_b128 v[4:7], v2 offset:1232
	s_wait_loadcnt_dscnt 0xb01
	v_mul_f64_e32 v[178:179], v[164:165], v[10:11]
	v_mul_f64_e32 v[10:11], v[166:167], v[10:11]
	scratch_load_b128 v[152:155], off, off offset:544
	ds_load_b128 v[172:175], v2 offset:1248
	s_wait_loadcnt_dscnt 0xb01
	v_mul_f64_e32 v[182:183], v[4:5], v[14:15]
	v_mul_f64_e32 v[14:15], v[6:7], v[14:15]
	v_add_f64_e32 v[176:177], 0, v[176:177]
	v_fmac_f64_e32 v[178:179], v[166:167], v[8:9]
	v_fma_f64 v[164:165], v[164:165], v[8:9], -v[10:11]
	v_add_f64_e32 v[166:167], 0, v[180:181]
	scratch_load_b128 v[8:11], off, off offset:560
	v_fmac_f64_e32 v[182:183], v[6:7], v[12:13]
	v_fma_f64 v[184:185], v[4:5], v[12:13], -v[14:15]
	ds_load_b128 v[4:7], v2 offset:1264
	s_wait_loadcnt_dscnt 0xb01
	v_mul_f64_e32 v[180:181], v[172:173], v[126:127]
	v_mul_f64_e32 v[126:127], v[174:175], v[126:127]
	scratch_load_b128 v[12:15], off, off offset:576
	v_add_f64_e32 v[176:177], v[176:177], v[178:179]
	v_add_f64_e32 v[186:187], v[166:167], v[164:165]
	ds_load_b128 v[164:167], v2 offset:1280
	s_wait_loadcnt_dscnt 0xb01
	v_mul_f64_e32 v[178:179], v[4:5], v[130:131]
	v_mul_f64_e32 v[130:131], v[6:7], v[130:131]
	v_fmac_f64_e32 v[180:181], v[174:175], v[124:125]
	v_fma_f64 v[172:173], v[172:173], v[124:125], -v[126:127]
	scratch_load_b128 v[124:127], off, off offset:592
	v_add_f64_e32 v[176:177], v[176:177], v[182:183]
	v_add_f64_e32 v[174:175], v[186:187], v[184:185]
	v_fmac_f64_e32 v[178:179], v[6:7], v[128:129]
	v_fma_f64 v[184:185], v[4:5], v[128:129], -v[130:131]
	ds_load_b128 v[4:7], v2 offset:1296
	s_wait_loadcnt_dscnt 0xb01
	v_mul_f64_e32 v[182:183], v[164:165], v[134:135]
	v_mul_f64_e32 v[134:135], v[166:167], v[134:135]
	scratch_load_b128 v[128:131], off, off offset:608
	v_add_f64_e32 v[176:177], v[176:177], v[180:181]
	s_wait_loadcnt_dscnt 0xb00
	v_mul_f64_e32 v[180:181], v[4:5], v[138:139]
	v_add_f64_e32 v[186:187], v[174:175], v[172:173]
	v_mul_f64_e32 v[138:139], v[6:7], v[138:139]
	ds_load_b128 v[172:175], v2 offset:1312
	v_fmac_f64_e32 v[182:183], v[166:167], v[132:133]
	v_fma_f64 v[164:165], v[164:165], v[132:133], -v[134:135]
	scratch_load_b128 v[132:135], off, off offset:624
	v_add_f64_e32 v[176:177], v[176:177], v[178:179]
	v_fmac_f64_e32 v[180:181], v[6:7], v[136:137]
	v_add_f64_e32 v[166:167], v[186:187], v[184:185]
	v_fma_f64 v[184:185], v[4:5], v[136:137], -v[138:139]
	ds_load_b128 v[4:7], v2 offset:1328
	s_wait_loadcnt_dscnt 0xb01
	v_mul_f64_e32 v[178:179], v[172:173], v[142:143]
	v_mul_f64_e32 v[142:143], v[174:175], v[142:143]
	scratch_load_b128 v[136:139], off, off offset:640
	v_add_f64_e32 v[176:177], v[176:177], v[182:183]
	s_wait_loadcnt_dscnt 0xb00
	v_mul_f64_e32 v[182:183], v[4:5], v[146:147]
	v_add_f64_e32 v[186:187], v[166:167], v[164:165]
	v_mul_f64_e32 v[146:147], v[6:7], v[146:147]
	ds_load_b128 v[164:167], v2 offset:1344
	v_fmac_f64_e32 v[178:179], v[174:175], v[140:141]
	v_fma_f64 v[172:173], v[172:173], v[140:141], -v[142:143]
	scratch_load_b128 v[140:143], off, off offset:656
	v_add_f64_e32 v[176:177], v[176:177], v[180:181]
	v_fmac_f64_e32 v[182:183], v[6:7], v[144:145]
	v_add_f64_e32 v[174:175], v[186:187], v[184:185]
	;; [unrolled: 18-line block ×3, first 2 shown]
	v_fma_f64 v[184:185], v[4:5], v[156:157], -v[158:159]
	ds_load_b128 v[4:7], v2 offset:1392
	s_wait_loadcnt_dscnt 0xa01
	v_mul_f64_e32 v[182:183], v[172:173], v[170:171]
	v_mul_f64_e32 v[170:171], v[174:175], v[170:171]
	scratch_load_b128 v[156:159], off, off offset:704
	v_add_f64_e32 v[176:177], v[176:177], v[180:181]
	v_add_f64_e32 v[186:187], v[166:167], v[164:165]
	s_wait_loadcnt_dscnt 0xa00
	v_mul_f64_e32 v[180:181], v[4:5], v[154:155]
	v_mul_f64_e32 v[154:155], v[6:7], v[154:155]
	v_fmac_f64_e32 v[182:183], v[174:175], v[168:169]
	v_fma_f64 v[172:173], v[172:173], v[168:169], -v[170:171]
	ds_load_b128 v[164:167], v2 offset:1408
	scratch_load_b128 v[168:171], off, off offset:720
	v_add_f64_e32 v[176:177], v[176:177], v[178:179]
	v_add_f64_e32 v[174:175], v[186:187], v[184:185]
	v_fmac_f64_e32 v[180:181], v[6:7], v[152:153]
	v_fma_f64 v[184:185], v[4:5], v[152:153], -v[154:155]
	ds_load_b128 v[4:7], v2 offset:1424
	s_wait_loadcnt_dscnt 0xa01
	v_mul_f64_e32 v[178:179], v[164:165], v[10:11]
	v_mul_f64_e32 v[10:11], v[166:167], v[10:11]
	scratch_load_b128 v[152:155], off, off offset:736
	v_add_f64_e32 v[176:177], v[176:177], v[182:183]
	s_wait_loadcnt_dscnt 0xa00
	v_mul_f64_e32 v[182:183], v[4:5], v[14:15]
	v_add_f64_e32 v[186:187], v[174:175], v[172:173]
	v_mul_f64_e32 v[14:15], v[6:7], v[14:15]
	ds_load_b128 v[172:175], v2 offset:1440
	v_fmac_f64_e32 v[178:179], v[166:167], v[8:9]
	v_fma_f64 v[164:165], v[164:165], v[8:9], -v[10:11]
	scratch_load_b128 v[8:11], off, off offset:752
	v_add_f64_e32 v[176:177], v[176:177], v[180:181]
	v_fmac_f64_e32 v[182:183], v[6:7], v[12:13]
	v_add_f64_e32 v[166:167], v[186:187], v[184:185]
	v_fma_f64 v[184:185], v[4:5], v[12:13], -v[14:15]
	ds_load_b128 v[4:7], v2 offset:1456
	s_wait_loadcnt_dscnt 0xa01
	v_mul_f64_e32 v[180:181], v[172:173], v[126:127]
	v_mul_f64_e32 v[126:127], v[174:175], v[126:127]
	scratch_load_b128 v[12:15], off, off offset:768
	v_add_f64_e32 v[176:177], v[176:177], v[178:179]
	s_wait_loadcnt_dscnt 0xa00
	v_mul_f64_e32 v[178:179], v[4:5], v[130:131]
	v_add_f64_e32 v[186:187], v[166:167], v[164:165]
	v_mul_f64_e32 v[130:131], v[6:7], v[130:131]
	ds_load_b128 v[164:167], v2 offset:1472
	v_fmac_f64_e32 v[180:181], v[174:175], v[124:125]
	v_fma_f64 v[172:173], v[172:173], v[124:125], -v[126:127]
	scratch_load_b128 v[124:127], off, off offset:784
	v_add_f64_e32 v[176:177], v[176:177], v[182:183]
	v_fmac_f64_e32 v[178:179], v[6:7], v[128:129]
	v_add_f64_e32 v[174:175], v[186:187], v[184:185]
	;; [unrolled: 18-line block ×3, first 2 shown]
	v_fma_f64 v[184:185], v[4:5], v[136:137], -v[138:139]
	ds_load_b128 v[4:7], v2 offset:1520
	s_wait_loadcnt_dscnt 0xa01
	v_mul_f64_e32 v[178:179], v[172:173], v[142:143]
	v_mul_f64_e32 v[142:143], v[174:175], v[142:143]
	scratch_load_b128 v[136:139], off, off offset:832
	v_add_f64_e32 v[176:177], v[176:177], v[182:183]
	s_wait_loadcnt_dscnt 0xa00
	v_mul_f64_e32 v[182:183], v[4:5], v[146:147]
	v_add_f64_e32 v[186:187], v[166:167], v[164:165]
	v_mul_f64_e32 v[146:147], v[6:7], v[146:147]
	ds_load_b128 v[164:167], v2 offset:1536
	v_fmac_f64_e32 v[178:179], v[174:175], v[140:141]
	v_fma_f64 v[140:141], v[172:173], v[140:141], -v[142:143]
	s_wait_loadcnt_dscnt 0x900
	v_mul_f64_e32 v[174:175], v[164:165], v[150:151]
	v_mul_f64_e32 v[150:151], v[166:167], v[150:151]
	v_add_f64_e32 v[172:173], v[176:177], v[180:181]
	v_fmac_f64_e32 v[182:183], v[6:7], v[144:145]
	v_add_f64_e32 v[142:143], v[186:187], v[184:185]
	v_fma_f64 v[144:145], v[4:5], v[144:145], -v[146:147]
	v_fmac_f64_e32 v[174:175], v[166:167], v[148:149]
	v_fma_f64 v[148:149], v[164:165], v[148:149], -v[150:151]
	v_add_f64_e32 v[172:173], v[172:173], v[178:179]
	v_add_f64_e32 v[146:147], v[142:143], v[140:141]
	ds_load_b128 v[4:7], v2 offset:1552
	ds_load_b128 v[140:143], v2 offset:1568
	s_wait_loadcnt_dscnt 0x801
	v_mul_f64_e32 v[176:177], v[4:5], v[158:159]
	v_mul_f64_e32 v[158:159], v[6:7], v[158:159]
	s_wait_loadcnt_dscnt 0x700
	v_mul_f64_e32 v[150:151], v[140:141], v[170:171]
	v_mul_f64_e32 v[164:165], v[142:143], v[170:171]
	v_add_f64_e32 v[144:145], v[146:147], v[144:145]
	v_add_f64_e32 v[146:147], v[172:173], v[182:183]
	v_fmac_f64_e32 v[176:177], v[6:7], v[156:157]
	v_fma_f64 v[156:157], v[4:5], v[156:157], -v[158:159]
	v_fmac_f64_e32 v[150:151], v[142:143], v[168:169]
	v_fma_f64 v[140:141], v[140:141], v[168:169], -v[164:165]
	v_add_f64_e32 v[148:149], v[144:145], v[148:149]
	v_add_f64_e32 v[158:159], v[146:147], v[174:175]
	ds_load_b128 v[4:7], v2 offset:1584
	ds_load_b128 v[144:147], v2 offset:1600
	s_wait_loadcnt_dscnt 0x601
	v_mul_f64_e32 v[166:167], v[4:5], v[154:155]
	v_mul_f64_e32 v[154:155], v[6:7], v[154:155]
	v_add_f64_e32 v[142:143], v[148:149], v[156:157]
	v_add_f64_e32 v[148:149], v[158:159], v[176:177]
	s_wait_loadcnt_dscnt 0x500
	v_mul_f64_e32 v[156:157], v[144:145], v[10:11]
	v_mul_f64_e32 v[10:11], v[146:147], v[10:11]
	v_fmac_f64_e32 v[166:167], v[6:7], v[152:153]
	v_fma_f64 v[152:153], v[4:5], v[152:153], -v[154:155]
	v_add_f64_e32 v[154:155], v[142:143], v[140:141]
	v_add_f64_e32 v[148:149], v[148:149], v[150:151]
	ds_load_b128 v[4:7], v2 offset:1616
	ds_load_b128 v[140:143], v2 offset:1632
	v_fmac_f64_e32 v[156:157], v[146:147], v[8:9]
	v_fma_f64 v[8:9], v[144:145], v[8:9], -v[10:11]
	s_wait_loadcnt_dscnt 0x401
	v_mul_f64_e32 v[150:151], v[4:5], v[14:15]
	v_mul_f64_e32 v[14:15], v[6:7], v[14:15]
	s_wait_loadcnt_dscnt 0x300
	v_mul_f64_e32 v[146:147], v[140:141], v[126:127]
	v_mul_f64_e32 v[126:127], v[142:143], v[126:127]
	v_add_f64_e32 v[10:11], v[154:155], v[152:153]
	v_add_f64_e32 v[144:145], v[148:149], v[166:167]
	v_fmac_f64_e32 v[150:151], v[6:7], v[12:13]
	v_fma_f64 v[12:13], v[4:5], v[12:13], -v[14:15]
	v_fmac_f64_e32 v[146:147], v[142:143], v[124:125]
	v_fma_f64 v[124:125], v[140:141], v[124:125], -v[126:127]
	v_add_f64_e32 v[14:15], v[10:11], v[8:9]
	v_add_f64_e32 v[144:145], v[144:145], v[156:157]
	ds_load_b128 v[4:7], v2 offset:1648
	ds_load_b128 v[8:11], v2 offset:1664
	s_wait_loadcnt_dscnt 0x201
	v_mul_f64_e32 v[148:149], v[4:5], v[130:131]
	v_mul_f64_e32 v[130:131], v[6:7], v[130:131]
	s_wait_loadcnt_dscnt 0x100
	v_mul_f64_e32 v[126:127], v[8:9], v[134:135]
	v_mul_f64_e32 v[134:135], v[10:11], v[134:135]
	v_add_f64_e32 v[12:13], v[14:15], v[12:13]
	v_add_f64_e32 v[14:15], v[144:145], v[150:151]
	v_fmac_f64_e32 v[148:149], v[6:7], v[128:129]
	v_fma_f64 v[128:129], v[4:5], v[128:129], -v[130:131]
	ds_load_b128 v[4:7], v2 offset:1680
	v_fmac_f64_e32 v[126:127], v[10:11], v[132:133]
	v_fma_f64 v[8:9], v[8:9], v[132:133], -v[134:135]
	v_add_f64_e32 v[12:13], v[12:13], v[124:125]
	v_add_f64_e32 v[14:15], v[14:15], v[146:147]
	s_wait_loadcnt_dscnt 0x0
	v_mul_f64_e32 v[124:125], v[4:5], v[138:139]
	v_mul_f64_e32 v[130:131], v[6:7], v[138:139]
	s_delay_alu instid0(VALU_DEP_4) | instskip(NEXT) | instid1(VALU_DEP_4)
	v_add_f64_e32 v[10:11], v[12:13], v[128:129]
	v_add_f64_e32 v[12:13], v[14:15], v[148:149]
	s_delay_alu instid0(VALU_DEP_4) | instskip(NEXT) | instid1(VALU_DEP_4)
	v_fmac_f64_e32 v[124:125], v[6:7], v[136:137]
	v_fma_f64 v[4:5], v[4:5], v[136:137], -v[130:131]
	s_delay_alu instid0(VALU_DEP_4) | instskip(NEXT) | instid1(VALU_DEP_4)
	v_add_f64_e32 v[6:7], v[10:11], v[8:9]
	v_add_f64_e32 v[8:9], v[12:13], v[126:127]
	s_delay_alu instid0(VALU_DEP_2) | instskip(NEXT) | instid1(VALU_DEP_2)
	v_add_f64_e32 v[4:5], v[6:7], v[4:5]
	v_add_f64_e32 v[6:7], v[8:9], v[124:125]
	s_delay_alu instid0(VALU_DEP_2) | instskip(NEXT) | instid1(VALU_DEP_2)
	v_add_f64_e64 v[4:5], v[160:161], -v[4:5]
	v_add_f64_e64 v[6:7], v[162:163], -v[6:7]
	scratch_store_b128 off, v[4:7], off offset:336
	s_wait_xcnt 0x0
	v_cmpx_lt_u32_e32 20, v1
	s_cbranch_execz .LBB52_291
; %bb.290:
	scratch_load_b128 v[6:9], off, s49
	v_dual_mov_b32 v3, v2 :: v_dual_mov_b32 v4, v2
	v_mov_b32_e32 v5, v2
	scratch_store_b128 off, v[2:5], off offset:320
	s_wait_loadcnt 0x0
	ds_store_b128 v122, v[6:9]
.LBB52_291:
	s_wait_xcnt 0x0
	s_or_b32 exec_lo, exec_lo, s2
	s_wait_storecnt_dscnt 0x0
	s_barrier_signal -1
	s_barrier_wait -1
	s_clause 0x9
	scratch_load_b128 v[4:7], off, off offset:336
	scratch_load_b128 v[8:11], off, off offset:352
	;; [unrolled: 1-line block ×10, first 2 shown]
	ds_load_b128 v[152:155], v2 offset:1184
	ds_load_b128 v[160:163], v2 offset:1200
	s_clause 0x2
	scratch_load_b128 v[156:159], off, off offset:496
	scratch_load_b128 v[164:167], off, off offset:320
	;; [unrolled: 1-line block ×3, first 2 shown]
	s_mov_b32 s2, exec_lo
	s_wait_loadcnt_dscnt 0xc01
	v_mul_f64_e32 v[172:173], v[154:155], v[6:7]
	v_mul_f64_e32 v[176:177], v[152:153], v[6:7]
	s_wait_loadcnt_dscnt 0xb00
	v_mul_f64_e32 v[178:179], v[160:161], v[10:11]
	v_mul_f64_e32 v[10:11], v[162:163], v[10:11]
	s_delay_alu instid0(VALU_DEP_4) | instskip(NEXT) | instid1(VALU_DEP_4)
	v_fma_f64 v[180:181], v[152:153], v[4:5], -v[172:173]
	v_fmac_f64_e32 v[176:177], v[154:155], v[4:5]
	ds_load_b128 v[4:7], v2 offset:1216
	ds_load_b128 v[152:155], v2 offset:1232
	scratch_load_b128 v[172:175], off, off offset:528
	v_fmac_f64_e32 v[178:179], v[162:163], v[8:9]
	v_fma_f64 v[160:161], v[160:161], v[8:9], -v[10:11]
	scratch_load_b128 v[8:11], off, off offset:544
	s_wait_loadcnt_dscnt 0xc01
	v_mul_f64_e32 v[182:183], v[4:5], v[14:15]
	v_mul_f64_e32 v[14:15], v[6:7], v[14:15]
	v_add_f64_e32 v[162:163], 0, v[180:181]
	v_add_f64_e32 v[176:177], 0, v[176:177]
	s_wait_loadcnt_dscnt 0xb00
	v_mul_f64_e32 v[180:181], v[152:153], v[126:127]
	v_mul_f64_e32 v[126:127], v[154:155], v[126:127]
	v_fmac_f64_e32 v[182:183], v[6:7], v[12:13]
	v_fma_f64 v[184:185], v[4:5], v[12:13], -v[14:15]
	ds_load_b128 v[4:7], v2 offset:1248
	ds_load_b128 v[12:15], v2 offset:1264
	v_add_f64_e32 v[186:187], v[162:163], v[160:161]
	v_add_f64_e32 v[176:177], v[176:177], v[178:179]
	scratch_load_b128 v[160:163], off, off offset:560
	v_fmac_f64_e32 v[180:181], v[154:155], v[124:125]
	v_fma_f64 v[152:153], v[152:153], v[124:125], -v[126:127]
	scratch_load_b128 v[124:127], off, off offset:576
	s_wait_loadcnt_dscnt 0xc01
	v_mul_f64_e32 v[178:179], v[4:5], v[130:131]
	v_mul_f64_e32 v[130:131], v[6:7], v[130:131]
	v_add_f64_e32 v[154:155], v[186:187], v[184:185]
	v_add_f64_e32 v[176:177], v[176:177], v[182:183]
	s_wait_loadcnt_dscnt 0xb00
	v_mul_f64_e32 v[182:183], v[12:13], v[134:135]
	v_mul_f64_e32 v[134:135], v[14:15], v[134:135]
	v_fmac_f64_e32 v[178:179], v[6:7], v[128:129]
	v_fma_f64 v[184:185], v[4:5], v[128:129], -v[130:131]
	ds_load_b128 v[4:7], v2 offset:1280
	ds_load_b128 v[128:131], v2 offset:1296
	v_add_f64_e32 v[186:187], v[154:155], v[152:153]
	v_add_f64_e32 v[176:177], v[176:177], v[180:181]
	scratch_load_b128 v[152:155], off, off offset:592
	s_wait_loadcnt_dscnt 0xb01
	v_mul_f64_e32 v[180:181], v[4:5], v[138:139]
	v_mul_f64_e32 v[138:139], v[6:7], v[138:139]
	v_fmac_f64_e32 v[182:183], v[14:15], v[132:133]
	v_fma_f64 v[132:133], v[12:13], v[132:133], -v[134:135]
	scratch_load_b128 v[12:15], off, off offset:608
	v_add_f64_e32 v[134:135], v[186:187], v[184:185]
	v_add_f64_e32 v[176:177], v[176:177], v[178:179]
	s_wait_loadcnt_dscnt 0xb00
	v_mul_f64_e32 v[178:179], v[128:129], v[142:143]
	v_mul_f64_e32 v[142:143], v[130:131], v[142:143]
	v_fmac_f64_e32 v[180:181], v[6:7], v[136:137]
	v_fma_f64 v[184:185], v[4:5], v[136:137], -v[138:139]
	v_add_f64_e32 v[186:187], v[134:135], v[132:133]
	v_add_f64_e32 v[176:177], v[176:177], v[182:183]
	ds_load_b128 v[4:7], v2 offset:1312
	ds_load_b128 v[132:135], v2 offset:1328
	scratch_load_b128 v[136:139], off, off offset:624
	v_fmac_f64_e32 v[178:179], v[130:131], v[140:141]
	v_fma_f64 v[140:141], v[128:129], v[140:141], -v[142:143]
	scratch_load_b128 v[128:131], off, off offset:640
	s_wait_loadcnt_dscnt 0xc01
	v_mul_f64_e32 v[182:183], v[4:5], v[146:147]
	v_mul_f64_e32 v[146:147], v[6:7], v[146:147]
	v_add_f64_e32 v[142:143], v[186:187], v[184:185]
	v_add_f64_e32 v[176:177], v[176:177], v[180:181]
	s_wait_loadcnt_dscnt 0xb00
	v_mul_f64_e32 v[180:181], v[132:133], v[150:151]
	v_mul_f64_e32 v[150:151], v[134:135], v[150:151]
	v_fmac_f64_e32 v[182:183], v[6:7], v[144:145]
	v_fma_f64 v[184:185], v[4:5], v[144:145], -v[146:147]
	v_add_f64_e32 v[186:187], v[142:143], v[140:141]
	v_add_f64_e32 v[176:177], v[176:177], v[178:179]
	ds_load_b128 v[4:7], v2 offset:1344
	ds_load_b128 v[140:143], v2 offset:1360
	scratch_load_b128 v[144:147], off, off offset:656
	v_fmac_f64_e32 v[180:181], v[134:135], v[148:149]
	v_fma_f64 v[148:149], v[132:133], v[148:149], -v[150:151]
	scratch_load_b128 v[132:135], off, off offset:672
	s_wait_loadcnt_dscnt 0xc01
	v_mul_f64_e32 v[178:179], v[4:5], v[158:159]
	v_mul_f64_e32 v[158:159], v[6:7], v[158:159]
	;; [unrolled: 18-line block ×5, first 2 shown]
	v_add_f64_e32 v[170:171], v[186:187], v[184:185]
	v_add_f64_e32 v[176:177], v[176:177], v[182:183]
	s_wait_loadcnt_dscnt 0xa00
	v_mul_f64_e32 v[182:183], v[148:149], v[14:15]
	v_mul_f64_e32 v[14:15], v[150:151], v[14:15]
	v_fmac_f64_e32 v[178:179], v[6:7], v[152:153]
	v_fma_f64 v[184:185], v[4:5], v[152:153], -v[154:155]
	ds_load_b128 v[4:7], v2 offset:1472
	ds_load_b128 v[152:155], v2 offset:1488
	v_add_f64_e32 v[186:187], v[170:171], v[168:169]
	v_add_f64_e32 v[176:177], v[176:177], v[180:181]
	scratch_load_b128 v[168:171], off, off offset:784
	v_fmac_f64_e32 v[182:183], v[150:151], v[12:13]
	v_fma_f64 v[148:149], v[148:149], v[12:13], -v[14:15]
	scratch_load_b128 v[12:15], off, off offset:800
	s_wait_loadcnt_dscnt 0xb01
	v_mul_f64_e32 v[180:181], v[4:5], v[138:139]
	v_mul_f64_e32 v[138:139], v[6:7], v[138:139]
	v_add_f64_e32 v[150:151], v[186:187], v[184:185]
	v_add_f64_e32 v[176:177], v[176:177], v[178:179]
	s_wait_loadcnt_dscnt 0xa00
	v_mul_f64_e32 v[178:179], v[152:153], v[130:131]
	v_mul_f64_e32 v[130:131], v[154:155], v[130:131]
	v_fmac_f64_e32 v[180:181], v[6:7], v[136:137]
	v_fma_f64 v[184:185], v[4:5], v[136:137], -v[138:139]
	ds_load_b128 v[4:7], v2 offset:1504
	ds_load_b128 v[136:139], v2 offset:1520
	v_add_f64_e32 v[186:187], v[150:151], v[148:149]
	v_add_f64_e32 v[176:177], v[176:177], v[182:183]
	scratch_load_b128 v[148:151], off, off offset:816
	s_wait_loadcnt_dscnt 0xa01
	v_mul_f64_e32 v[182:183], v[4:5], v[146:147]
	v_mul_f64_e32 v[146:147], v[6:7], v[146:147]
	v_fmac_f64_e32 v[178:179], v[154:155], v[128:129]
	v_fma_f64 v[152:153], v[152:153], v[128:129], -v[130:131]
	scratch_load_b128 v[128:131], off, off offset:832
	v_add_f64_e32 v[154:155], v[186:187], v[184:185]
	v_add_f64_e32 v[176:177], v[176:177], v[180:181]
	s_wait_loadcnt_dscnt 0xa00
	v_mul_f64_e32 v[180:181], v[136:137], v[134:135]
	v_mul_f64_e32 v[134:135], v[138:139], v[134:135]
	v_fmac_f64_e32 v[182:183], v[6:7], v[144:145]
	v_fma_f64 v[184:185], v[4:5], v[144:145], -v[146:147]
	ds_load_b128 v[4:7], v2 offset:1536
	ds_load_b128 v[144:147], v2 offset:1552
	v_add_f64_e32 v[152:153], v[154:155], v[152:153]
	v_add_f64_e32 v[154:155], v[176:177], v[178:179]
	v_fmac_f64_e32 v[180:181], v[138:139], v[132:133]
	s_wait_loadcnt_dscnt 0x901
	v_mul_f64_e32 v[176:177], v[4:5], v[158:159]
	v_mul_f64_e32 v[158:159], v[6:7], v[158:159]
	v_fma_f64 v[132:133], v[136:137], v[132:133], -v[134:135]
	s_wait_loadcnt_dscnt 0x800
	v_mul_f64_e32 v[138:139], v[144:145], v[142:143]
	v_mul_f64_e32 v[142:143], v[146:147], v[142:143]
	v_add_f64_e32 v[134:135], v[152:153], v[184:185]
	v_add_f64_e32 v[136:137], v[154:155], v[182:183]
	v_fmac_f64_e32 v[176:177], v[6:7], v[156:157]
	v_fma_f64 v[152:153], v[4:5], v[156:157], -v[158:159]
	v_fmac_f64_e32 v[138:139], v[146:147], v[140:141]
	v_fma_f64 v[140:141], v[144:145], v[140:141], -v[142:143]
	v_add_f64_e32 v[154:155], v[134:135], v[132:133]
	v_add_f64_e32 v[136:137], v[136:137], v[180:181]
	ds_load_b128 v[4:7], v2 offset:1568
	ds_load_b128 v[132:135], v2 offset:1584
	s_wait_loadcnt_dscnt 0x701
	v_mul_f64_e32 v[156:157], v[4:5], v[174:175]
	v_mul_f64_e32 v[158:159], v[6:7], v[174:175]
	s_wait_loadcnt_dscnt 0x600
	v_mul_f64_e32 v[144:145], v[132:133], v[10:11]
	v_mul_f64_e32 v[10:11], v[134:135], v[10:11]
	v_add_f64_e32 v[142:143], v[154:155], v[152:153]
	v_add_f64_e32 v[136:137], v[136:137], v[176:177]
	v_fmac_f64_e32 v[156:157], v[6:7], v[172:173]
	v_fma_f64 v[146:147], v[4:5], v[172:173], -v[158:159]
	v_fmac_f64_e32 v[144:145], v[134:135], v[8:9]
	v_fma_f64 v[8:9], v[132:133], v[8:9], -v[10:11]
	v_add_f64_e32 v[140:141], v[142:143], v[140:141]
	v_add_f64_e32 v[142:143], v[136:137], v[138:139]
	ds_load_b128 v[4:7], v2 offset:1600
	ds_load_b128 v[136:139], v2 offset:1616
	s_wait_loadcnt_dscnt 0x501
	v_mul_f64_e32 v[152:153], v[4:5], v[162:163]
	v_mul_f64_e32 v[154:155], v[6:7], v[162:163]
	;; [unrolled: 16-line block ×4, first 2 shown]
	s_wait_loadcnt_dscnt 0x0
	v_mul_f64_e32 v[14:15], v[124:125], v[130:131]
	v_mul_f64_e32 v[130:131], v[126:127], v[130:131]
	v_add_f64_e32 v[10:11], v[140:141], v[138:139]
	v_add_f64_e32 v[12:13], v[132:133], v[144:145]
	v_fmac_f64_e32 v[2:3], v[6:7], v[148:149]
	v_fma_f64 v[4:5], v[4:5], v[148:149], -v[134:135]
	v_fmac_f64_e32 v[14:15], v[126:127], v[128:129]
	v_add_f64_e32 v[6:7], v[10:11], v[8:9]
	v_add_f64_e32 v[8:9], v[12:13], v[136:137]
	v_fma_f64 v[10:11], v[124:125], v[128:129], -v[130:131]
	s_delay_alu instid0(VALU_DEP_3) | instskip(NEXT) | instid1(VALU_DEP_3)
	v_add_f64_e32 v[4:5], v[6:7], v[4:5]
	v_add_f64_e32 v[2:3], v[8:9], v[2:3]
	s_delay_alu instid0(VALU_DEP_2) | instskip(NEXT) | instid1(VALU_DEP_2)
	v_add_f64_e32 v[4:5], v[4:5], v[10:11]
	v_add_f64_e32 v[6:7], v[2:3], v[14:15]
	s_delay_alu instid0(VALU_DEP_2) | instskip(NEXT) | instid1(VALU_DEP_2)
	v_add_f64_e64 v[2:3], v[164:165], -v[4:5]
	v_add_f64_e64 v[4:5], v[166:167], -v[6:7]
	scratch_store_b128 off, v[2:5], off offset:320
	s_wait_xcnt 0x0
	v_cmpx_lt_u32_e32 19, v1
	s_cbranch_execz .LBB52_293
; %bb.292:
	scratch_load_b128 v[2:5], off, s47
	v_mov_b32_e32 v6, 0
	s_delay_alu instid0(VALU_DEP_1)
	v_dual_mov_b32 v7, v6 :: v_dual_mov_b32 v8, v6
	v_mov_b32_e32 v9, v6
	scratch_store_b128 off, v[6:9], off offset:304
	s_wait_loadcnt 0x0
	ds_store_b128 v122, v[2:5]
.LBB52_293:
	s_wait_xcnt 0x0
	s_or_b32 exec_lo, exec_lo, s2
	s_wait_storecnt_dscnt 0x0
	s_barrier_signal -1
	s_barrier_wait -1
	s_clause 0x9
	scratch_load_b128 v[4:7], off, off offset:320
	scratch_load_b128 v[8:11], off, off offset:336
	;; [unrolled: 1-line block ×10, first 2 shown]
	v_mov_b32_e32 v2, 0
	s_mov_b32 s2, exec_lo
	ds_load_b128 v[152:155], v2 offset:1168
	s_clause 0x2
	scratch_load_b128 v[156:159], off, off offset:480
	scratch_load_b128 v[160:163], off, off offset:304
	;; [unrolled: 1-line block ×3, first 2 shown]
	s_wait_loadcnt_dscnt 0xc00
	v_mul_f64_e32 v[172:173], v[154:155], v[6:7]
	v_mul_f64_e32 v[176:177], v[152:153], v[6:7]
	ds_load_b128 v[164:167], v2 offset:1184
	v_fma_f64 v[180:181], v[152:153], v[4:5], -v[172:173]
	v_fmac_f64_e32 v[176:177], v[154:155], v[4:5]
	ds_load_b128 v[4:7], v2 offset:1200
	s_wait_loadcnt_dscnt 0xb01
	v_mul_f64_e32 v[178:179], v[164:165], v[10:11]
	v_mul_f64_e32 v[10:11], v[166:167], v[10:11]
	scratch_load_b128 v[152:155], off, off offset:512
	ds_load_b128 v[172:175], v2 offset:1216
	s_wait_loadcnt_dscnt 0xb01
	v_mul_f64_e32 v[182:183], v[4:5], v[14:15]
	v_mul_f64_e32 v[14:15], v[6:7], v[14:15]
	v_add_f64_e32 v[176:177], 0, v[176:177]
	v_fmac_f64_e32 v[178:179], v[166:167], v[8:9]
	v_fma_f64 v[164:165], v[164:165], v[8:9], -v[10:11]
	v_add_f64_e32 v[166:167], 0, v[180:181]
	scratch_load_b128 v[8:11], off, off offset:528
	v_fmac_f64_e32 v[182:183], v[6:7], v[12:13]
	v_fma_f64 v[184:185], v[4:5], v[12:13], -v[14:15]
	ds_load_b128 v[4:7], v2 offset:1232
	s_wait_loadcnt_dscnt 0xb01
	v_mul_f64_e32 v[180:181], v[172:173], v[126:127]
	v_mul_f64_e32 v[126:127], v[174:175], v[126:127]
	scratch_load_b128 v[12:15], off, off offset:544
	v_add_f64_e32 v[176:177], v[176:177], v[178:179]
	v_add_f64_e32 v[186:187], v[166:167], v[164:165]
	ds_load_b128 v[164:167], v2 offset:1248
	s_wait_loadcnt_dscnt 0xb01
	v_mul_f64_e32 v[178:179], v[4:5], v[130:131]
	v_mul_f64_e32 v[130:131], v[6:7], v[130:131]
	v_fmac_f64_e32 v[180:181], v[174:175], v[124:125]
	v_fma_f64 v[172:173], v[172:173], v[124:125], -v[126:127]
	scratch_load_b128 v[124:127], off, off offset:560
	v_add_f64_e32 v[176:177], v[176:177], v[182:183]
	v_add_f64_e32 v[174:175], v[186:187], v[184:185]
	v_fmac_f64_e32 v[178:179], v[6:7], v[128:129]
	v_fma_f64 v[184:185], v[4:5], v[128:129], -v[130:131]
	ds_load_b128 v[4:7], v2 offset:1264
	s_wait_loadcnt_dscnt 0xb01
	v_mul_f64_e32 v[182:183], v[164:165], v[134:135]
	v_mul_f64_e32 v[134:135], v[166:167], v[134:135]
	scratch_load_b128 v[128:131], off, off offset:576
	v_add_f64_e32 v[176:177], v[176:177], v[180:181]
	s_wait_loadcnt_dscnt 0xb00
	v_mul_f64_e32 v[180:181], v[4:5], v[138:139]
	v_add_f64_e32 v[186:187], v[174:175], v[172:173]
	v_mul_f64_e32 v[138:139], v[6:7], v[138:139]
	ds_load_b128 v[172:175], v2 offset:1280
	v_fmac_f64_e32 v[182:183], v[166:167], v[132:133]
	v_fma_f64 v[164:165], v[164:165], v[132:133], -v[134:135]
	scratch_load_b128 v[132:135], off, off offset:592
	v_add_f64_e32 v[176:177], v[176:177], v[178:179]
	v_fmac_f64_e32 v[180:181], v[6:7], v[136:137]
	v_add_f64_e32 v[166:167], v[186:187], v[184:185]
	v_fma_f64 v[184:185], v[4:5], v[136:137], -v[138:139]
	ds_load_b128 v[4:7], v2 offset:1296
	s_wait_loadcnt_dscnt 0xb01
	v_mul_f64_e32 v[178:179], v[172:173], v[142:143]
	v_mul_f64_e32 v[142:143], v[174:175], v[142:143]
	scratch_load_b128 v[136:139], off, off offset:608
	v_add_f64_e32 v[176:177], v[176:177], v[182:183]
	s_wait_loadcnt_dscnt 0xb00
	v_mul_f64_e32 v[182:183], v[4:5], v[146:147]
	v_add_f64_e32 v[186:187], v[166:167], v[164:165]
	v_mul_f64_e32 v[146:147], v[6:7], v[146:147]
	ds_load_b128 v[164:167], v2 offset:1312
	v_fmac_f64_e32 v[178:179], v[174:175], v[140:141]
	v_fma_f64 v[172:173], v[172:173], v[140:141], -v[142:143]
	scratch_load_b128 v[140:143], off, off offset:624
	v_add_f64_e32 v[176:177], v[176:177], v[180:181]
	v_fmac_f64_e32 v[182:183], v[6:7], v[144:145]
	v_add_f64_e32 v[174:175], v[186:187], v[184:185]
	;; [unrolled: 18-line block ×3, first 2 shown]
	v_fma_f64 v[184:185], v[4:5], v[156:157], -v[158:159]
	ds_load_b128 v[4:7], v2 offset:1360
	s_wait_loadcnt_dscnt 0xa01
	v_mul_f64_e32 v[182:183], v[172:173], v[170:171]
	v_mul_f64_e32 v[170:171], v[174:175], v[170:171]
	scratch_load_b128 v[156:159], off, off offset:672
	v_add_f64_e32 v[176:177], v[176:177], v[180:181]
	v_add_f64_e32 v[186:187], v[166:167], v[164:165]
	s_wait_loadcnt_dscnt 0xa00
	v_mul_f64_e32 v[180:181], v[4:5], v[154:155]
	v_mul_f64_e32 v[154:155], v[6:7], v[154:155]
	v_fmac_f64_e32 v[182:183], v[174:175], v[168:169]
	v_fma_f64 v[172:173], v[172:173], v[168:169], -v[170:171]
	ds_load_b128 v[164:167], v2 offset:1376
	scratch_load_b128 v[168:171], off, off offset:688
	v_add_f64_e32 v[176:177], v[176:177], v[178:179]
	v_add_f64_e32 v[174:175], v[186:187], v[184:185]
	v_fmac_f64_e32 v[180:181], v[6:7], v[152:153]
	v_fma_f64 v[184:185], v[4:5], v[152:153], -v[154:155]
	ds_load_b128 v[4:7], v2 offset:1392
	s_wait_loadcnt_dscnt 0xa01
	v_mul_f64_e32 v[178:179], v[164:165], v[10:11]
	v_mul_f64_e32 v[10:11], v[166:167], v[10:11]
	scratch_load_b128 v[152:155], off, off offset:704
	v_add_f64_e32 v[176:177], v[176:177], v[182:183]
	s_wait_loadcnt_dscnt 0xa00
	v_mul_f64_e32 v[182:183], v[4:5], v[14:15]
	v_add_f64_e32 v[186:187], v[174:175], v[172:173]
	v_mul_f64_e32 v[14:15], v[6:7], v[14:15]
	ds_load_b128 v[172:175], v2 offset:1408
	v_fmac_f64_e32 v[178:179], v[166:167], v[8:9]
	v_fma_f64 v[164:165], v[164:165], v[8:9], -v[10:11]
	scratch_load_b128 v[8:11], off, off offset:720
	v_add_f64_e32 v[176:177], v[176:177], v[180:181]
	v_fmac_f64_e32 v[182:183], v[6:7], v[12:13]
	v_add_f64_e32 v[166:167], v[186:187], v[184:185]
	v_fma_f64 v[184:185], v[4:5], v[12:13], -v[14:15]
	ds_load_b128 v[4:7], v2 offset:1424
	s_wait_loadcnt_dscnt 0xa01
	v_mul_f64_e32 v[180:181], v[172:173], v[126:127]
	v_mul_f64_e32 v[126:127], v[174:175], v[126:127]
	scratch_load_b128 v[12:15], off, off offset:736
	v_add_f64_e32 v[176:177], v[176:177], v[178:179]
	s_wait_loadcnt_dscnt 0xa00
	v_mul_f64_e32 v[178:179], v[4:5], v[130:131]
	v_add_f64_e32 v[186:187], v[166:167], v[164:165]
	v_mul_f64_e32 v[130:131], v[6:7], v[130:131]
	ds_load_b128 v[164:167], v2 offset:1440
	v_fmac_f64_e32 v[180:181], v[174:175], v[124:125]
	v_fma_f64 v[172:173], v[172:173], v[124:125], -v[126:127]
	scratch_load_b128 v[124:127], off, off offset:752
	v_add_f64_e32 v[176:177], v[176:177], v[182:183]
	v_fmac_f64_e32 v[178:179], v[6:7], v[128:129]
	v_add_f64_e32 v[174:175], v[186:187], v[184:185]
	;; [unrolled: 18-line block ×4, first 2 shown]
	v_fma_f64 v[184:185], v[4:5], v[144:145], -v[146:147]
	ds_load_b128 v[4:7], v2 offset:1520
	s_wait_loadcnt_dscnt 0xa01
	v_mul_f64_e32 v[180:181], v[164:165], v[150:151]
	v_mul_f64_e32 v[150:151], v[166:167], v[150:151]
	scratch_load_b128 v[144:147], off, off offset:832
	v_add_f64_e32 v[176:177], v[176:177], v[178:179]
	s_wait_loadcnt_dscnt 0xa00
	v_mul_f64_e32 v[178:179], v[4:5], v[158:159]
	v_add_f64_e32 v[186:187], v[174:175], v[172:173]
	v_mul_f64_e32 v[158:159], v[6:7], v[158:159]
	ds_load_b128 v[172:175], v2 offset:1536
	v_fmac_f64_e32 v[180:181], v[166:167], v[148:149]
	v_fma_f64 v[148:149], v[164:165], v[148:149], -v[150:151]
	s_wait_loadcnt_dscnt 0x900
	v_mul_f64_e32 v[166:167], v[172:173], v[170:171]
	v_mul_f64_e32 v[170:171], v[174:175], v[170:171]
	v_add_f64_e32 v[164:165], v[176:177], v[182:183]
	v_fmac_f64_e32 v[178:179], v[6:7], v[156:157]
	v_add_f64_e32 v[150:151], v[186:187], v[184:185]
	v_fma_f64 v[156:157], v[4:5], v[156:157], -v[158:159]
	v_fmac_f64_e32 v[166:167], v[174:175], v[168:169]
	v_fma_f64 v[168:169], v[172:173], v[168:169], -v[170:171]
	v_add_f64_e32 v[164:165], v[164:165], v[180:181]
	v_add_f64_e32 v[158:159], v[150:151], v[148:149]
	ds_load_b128 v[4:7], v2 offset:1552
	ds_load_b128 v[148:151], v2 offset:1568
	s_wait_loadcnt_dscnt 0x801
	v_mul_f64_e32 v[176:177], v[4:5], v[154:155]
	v_mul_f64_e32 v[154:155], v[6:7], v[154:155]
	v_add_f64_e32 v[156:157], v[158:159], v[156:157]
	v_add_f64_e32 v[158:159], v[164:165], v[178:179]
	s_wait_loadcnt_dscnt 0x700
	v_mul_f64_e32 v[164:165], v[148:149], v[10:11]
	v_mul_f64_e32 v[10:11], v[150:151], v[10:11]
	v_fmac_f64_e32 v[176:177], v[6:7], v[152:153]
	v_fma_f64 v[170:171], v[4:5], v[152:153], -v[154:155]
	ds_load_b128 v[4:7], v2 offset:1584
	ds_load_b128 v[152:155], v2 offset:1600
	v_add_f64_e32 v[156:157], v[156:157], v[168:169]
	v_add_f64_e32 v[158:159], v[158:159], v[166:167]
	v_fmac_f64_e32 v[164:165], v[150:151], v[8:9]
	v_fma_f64 v[8:9], v[148:149], v[8:9], -v[10:11]
	s_wait_loadcnt_dscnt 0x601
	v_mul_f64_e32 v[166:167], v[4:5], v[14:15]
	v_mul_f64_e32 v[14:15], v[6:7], v[14:15]
	s_wait_loadcnt_dscnt 0x500
	v_mul_f64_e32 v[150:151], v[152:153], v[126:127]
	v_mul_f64_e32 v[126:127], v[154:155], v[126:127]
	v_add_f64_e32 v[10:11], v[156:157], v[170:171]
	v_add_f64_e32 v[148:149], v[158:159], v[176:177]
	v_fmac_f64_e32 v[166:167], v[6:7], v[12:13]
	v_fma_f64 v[12:13], v[4:5], v[12:13], -v[14:15]
	v_fmac_f64_e32 v[150:151], v[154:155], v[124:125]
	v_fma_f64 v[124:125], v[152:153], v[124:125], -v[126:127]
	v_add_f64_e32 v[14:15], v[10:11], v[8:9]
	v_add_f64_e32 v[148:149], v[148:149], v[164:165]
	ds_load_b128 v[4:7], v2 offset:1616
	ds_load_b128 v[8:11], v2 offset:1632
	s_wait_loadcnt_dscnt 0x401
	v_mul_f64_e32 v[156:157], v[4:5], v[130:131]
	v_mul_f64_e32 v[130:131], v[6:7], v[130:131]
	s_wait_loadcnt_dscnt 0x300
	v_mul_f64_e32 v[126:127], v[8:9], v[134:135]
	v_mul_f64_e32 v[134:135], v[10:11], v[134:135]
	v_add_f64_e32 v[12:13], v[14:15], v[12:13]
	v_add_f64_e32 v[14:15], v[148:149], v[166:167]
	v_fmac_f64_e32 v[156:157], v[6:7], v[128:129]
	v_fma_f64 v[128:129], v[4:5], v[128:129], -v[130:131]
	v_fmac_f64_e32 v[126:127], v[10:11], v[132:133]
	v_fma_f64 v[8:9], v[8:9], v[132:133], -v[134:135]
	v_add_f64_e32 v[124:125], v[12:13], v[124:125]
	v_add_f64_e32 v[130:131], v[14:15], v[150:151]
	ds_load_b128 v[4:7], v2 offset:1648
	ds_load_b128 v[12:15], v2 offset:1664
	s_wait_loadcnt_dscnt 0x201
	v_mul_f64_e32 v[148:149], v[4:5], v[138:139]
	v_mul_f64_e32 v[138:139], v[6:7], v[138:139]
	v_add_f64_e32 v[10:11], v[124:125], v[128:129]
	v_add_f64_e32 v[124:125], v[130:131], v[156:157]
	s_wait_loadcnt_dscnt 0x100
	v_mul_f64_e32 v[128:129], v[12:13], v[142:143]
	v_mul_f64_e32 v[130:131], v[14:15], v[142:143]
	v_fmac_f64_e32 v[148:149], v[6:7], v[136:137]
	v_fma_f64 v[132:133], v[4:5], v[136:137], -v[138:139]
	ds_load_b128 v[4:7], v2 offset:1680
	v_add_f64_e32 v[8:9], v[10:11], v[8:9]
	v_add_f64_e32 v[10:11], v[124:125], v[126:127]
	v_fmac_f64_e32 v[128:129], v[14:15], v[140:141]
	v_fma_f64 v[12:13], v[12:13], v[140:141], -v[130:131]
	s_wait_loadcnt_dscnt 0x0
	v_mul_f64_e32 v[124:125], v[4:5], v[146:147]
	v_mul_f64_e32 v[126:127], v[6:7], v[146:147]
	v_add_f64_e32 v[8:9], v[8:9], v[132:133]
	v_add_f64_e32 v[10:11], v[10:11], v[148:149]
	s_delay_alu instid0(VALU_DEP_4) | instskip(NEXT) | instid1(VALU_DEP_4)
	v_fmac_f64_e32 v[124:125], v[6:7], v[144:145]
	v_fma_f64 v[4:5], v[4:5], v[144:145], -v[126:127]
	s_delay_alu instid0(VALU_DEP_4) | instskip(NEXT) | instid1(VALU_DEP_4)
	v_add_f64_e32 v[6:7], v[8:9], v[12:13]
	v_add_f64_e32 v[8:9], v[10:11], v[128:129]
	s_delay_alu instid0(VALU_DEP_2) | instskip(NEXT) | instid1(VALU_DEP_2)
	v_add_f64_e32 v[4:5], v[6:7], v[4:5]
	v_add_f64_e32 v[6:7], v[8:9], v[124:125]
	s_delay_alu instid0(VALU_DEP_2) | instskip(NEXT) | instid1(VALU_DEP_2)
	v_add_f64_e64 v[4:5], v[160:161], -v[4:5]
	v_add_f64_e64 v[6:7], v[162:163], -v[6:7]
	scratch_store_b128 off, v[4:7], off offset:304
	s_wait_xcnt 0x0
	v_cmpx_lt_u32_e32 18, v1
	s_cbranch_execz .LBB52_295
; %bb.294:
	scratch_load_b128 v[6:9], off, s44
	v_dual_mov_b32 v3, v2 :: v_dual_mov_b32 v4, v2
	v_mov_b32_e32 v5, v2
	scratch_store_b128 off, v[2:5], off offset:288
	s_wait_loadcnt 0x0
	ds_store_b128 v122, v[6:9]
.LBB52_295:
	s_wait_xcnt 0x0
	s_or_b32 exec_lo, exec_lo, s2
	s_wait_storecnt_dscnt 0x0
	s_barrier_signal -1
	s_barrier_wait -1
	s_clause 0x9
	scratch_load_b128 v[4:7], off, off offset:304
	scratch_load_b128 v[8:11], off, off offset:320
	scratch_load_b128 v[12:15], off, off offset:336
	scratch_load_b128 v[124:127], off, off offset:352
	scratch_load_b128 v[128:131], off, off offset:368
	scratch_load_b128 v[132:135], off, off offset:384
	scratch_load_b128 v[136:139], off, off offset:400
	scratch_load_b128 v[140:143], off, off offset:416
	scratch_load_b128 v[144:147], off, off offset:432
	scratch_load_b128 v[148:151], off, off offset:448
	ds_load_b128 v[152:155], v2 offset:1152
	ds_load_b128 v[160:163], v2 offset:1168
	s_clause 0x2
	scratch_load_b128 v[156:159], off, off offset:464
	scratch_load_b128 v[164:167], off, off offset:288
	;; [unrolled: 1-line block ×3, first 2 shown]
	s_mov_b32 s2, exec_lo
	s_wait_loadcnt_dscnt 0xc01
	v_mul_f64_e32 v[172:173], v[154:155], v[6:7]
	v_mul_f64_e32 v[176:177], v[152:153], v[6:7]
	s_wait_loadcnt_dscnt 0xb00
	v_mul_f64_e32 v[178:179], v[160:161], v[10:11]
	v_mul_f64_e32 v[10:11], v[162:163], v[10:11]
	s_delay_alu instid0(VALU_DEP_4) | instskip(NEXT) | instid1(VALU_DEP_4)
	v_fma_f64 v[180:181], v[152:153], v[4:5], -v[172:173]
	v_fmac_f64_e32 v[176:177], v[154:155], v[4:5]
	ds_load_b128 v[4:7], v2 offset:1184
	ds_load_b128 v[152:155], v2 offset:1200
	scratch_load_b128 v[172:175], off, off offset:496
	v_fmac_f64_e32 v[178:179], v[162:163], v[8:9]
	v_fma_f64 v[160:161], v[160:161], v[8:9], -v[10:11]
	scratch_load_b128 v[8:11], off, off offset:512
	s_wait_loadcnt_dscnt 0xc01
	v_mul_f64_e32 v[182:183], v[4:5], v[14:15]
	v_mul_f64_e32 v[14:15], v[6:7], v[14:15]
	v_add_f64_e32 v[162:163], 0, v[180:181]
	v_add_f64_e32 v[176:177], 0, v[176:177]
	s_wait_loadcnt_dscnt 0xb00
	v_mul_f64_e32 v[180:181], v[152:153], v[126:127]
	v_mul_f64_e32 v[126:127], v[154:155], v[126:127]
	v_fmac_f64_e32 v[182:183], v[6:7], v[12:13]
	v_fma_f64 v[184:185], v[4:5], v[12:13], -v[14:15]
	ds_load_b128 v[4:7], v2 offset:1216
	ds_load_b128 v[12:15], v2 offset:1232
	v_add_f64_e32 v[186:187], v[162:163], v[160:161]
	v_add_f64_e32 v[176:177], v[176:177], v[178:179]
	scratch_load_b128 v[160:163], off, off offset:528
	v_fmac_f64_e32 v[180:181], v[154:155], v[124:125]
	v_fma_f64 v[152:153], v[152:153], v[124:125], -v[126:127]
	scratch_load_b128 v[124:127], off, off offset:544
	s_wait_loadcnt_dscnt 0xc01
	v_mul_f64_e32 v[178:179], v[4:5], v[130:131]
	v_mul_f64_e32 v[130:131], v[6:7], v[130:131]
	v_add_f64_e32 v[154:155], v[186:187], v[184:185]
	v_add_f64_e32 v[176:177], v[176:177], v[182:183]
	s_wait_loadcnt_dscnt 0xb00
	v_mul_f64_e32 v[182:183], v[12:13], v[134:135]
	v_mul_f64_e32 v[134:135], v[14:15], v[134:135]
	v_fmac_f64_e32 v[178:179], v[6:7], v[128:129]
	v_fma_f64 v[184:185], v[4:5], v[128:129], -v[130:131]
	ds_load_b128 v[4:7], v2 offset:1248
	ds_load_b128 v[128:131], v2 offset:1264
	v_add_f64_e32 v[186:187], v[154:155], v[152:153]
	v_add_f64_e32 v[176:177], v[176:177], v[180:181]
	scratch_load_b128 v[152:155], off, off offset:560
	s_wait_loadcnt_dscnt 0xb01
	v_mul_f64_e32 v[180:181], v[4:5], v[138:139]
	v_mul_f64_e32 v[138:139], v[6:7], v[138:139]
	v_fmac_f64_e32 v[182:183], v[14:15], v[132:133]
	v_fma_f64 v[132:133], v[12:13], v[132:133], -v[134:135]
	scratch_load_b128 v[12:15], off, off offset:576
	v_add_f64_e32 v[134:135], v[186:187], v[184:185]
	v_add_f64_e32 v[176:177], v[176:177], v[178:179]
	s_wait_loadcnt_dscnt 0xb00
	v_mul_f64_e32 v[178:179], v[128:129], v[142:143]
	v_mul_f64_e32 v[142:143], v[130:131], v[142:143]
	v_fmac_f64_e32 v[180:181], v[6:7], v[136:137]
	v_fma_f64 v[184:185], v[4:5], v[136:137], -v[138:139]
	v_add_f64_e32 v[186:187], v[134:135], v[132:133]
	v_add_f64_e32 v[176:177], v[176:177], v[182:183]
	ds_load_b128 v[4:7], v2 offset:1280
	ds_load_b128 v[132:135], v2 offset:1296
	scratch_load_b128 v[136:139], off, off offset:592
	v_fmac_f64_e32 v[178:179], v[130:131], v[140:141]
	v_fma_f64 v[140:141], v[128:129], v[140:141], -v[142:143]
	scratch_load_b128 v[128:131], off, off offset:608
	s_wait_loadcnt_dscnt 0xc01
	v_mul_f64_e32 v[182:183], v[4:5], v[146:147]
	v_mul_f64_e32 v[146:147], v[6:7], v[146:147]
	v_add_f64_e32 v[142:143], v[186:187], v[184:185]
	v_add_f64_e32 v[176:177], v[176:177], v[180:181]
	s_wait_loadcnt_dscnt 0xb00
	v_mul_f64_e32 v[180:181], v[132:133], v[150:151]
	v_mul_f64_e32 v[150:151], v[134:135], v[150:151]
	v_fmac_f64_e32 v[182:183], v[6:7], v[144:145]
	v_fma_f64 v[184:185], v[4:5], v[144:145], -v[146:147]
	v_add_f64_e32 v[186:187], v[142:143], v[140:141]
	v_add_f64_e32 v[176:177], v[176:177], v[178:179]
	ds_load_b128 v[4:7], v2 offset:1312
	ds_load_b128 v[140:143], v2 offset:1328
	scratch_load_b128 v[144:147], off, off offset:624
	v_fmac_f64_e32 v[180:181], v[134:135], v[148:149]
	v_fma_f64 v[148:149], v[132:133], v[148:149], -v[150:151]
	scratch_load_b128 v[132:135], off, off offset:640
	s_wait_loadcnt_dscnt 0xc01
	v_mul_f64_e32 v[178:179], v[4:5], v[158:159]
	v_mul_f64_e32 v[158:159], v[6:7], v[158:159]
	;; [unrolled: 18-line block ×5, first 2 shown]
	v_add_f64_e32 v[170:171], v[186:187], v[184:185]
	v_add_f64_e32 v[176:177], v[176:177], v[182:183]
	s_wait_loadcnt_dscnt 0xa00
	v_mul_f64_e32 v[182:183], v[148:149], v[14:15]
	v_mul_f64_e32 v[14:15], v[150:151], v[14:15]
	v_fmac_f64_e32 v[178:179], v[6:7], v[152:153]
	v_fma_f64 v[184:185], v[4:5], v[152:153], -v[154:155]
	ds_load_b128 v[4:7], v2 offset:1440
	ds_load_b128 v[152:155], v2 offset:1456
	v_add_f64_e32 v[186:187], v[170:171], v[168:169]
	v_add_f64_e32 v[176:177], v[176:177], v[180:181]
	scratch_load_b128 v[168:171], off, off offset:752
	v_fmac_f64_e32 v[182:183], v[150:151], v[12:13]
	v_fma_f64 v[148:149], v[148:149], v[12:13], -v[14:15]
	scratch_load_b128 v[12:15], off, off offset:768
	s_wait_loadcnt_dscnt 0xb01
	v_mul_f64_e32 v[180:181], v[4:5], v[138:139]
	v_mul_f64_e32 v[138:139], v[6:7], v[138:139]
	v_add_f64_e32 v[150:151], v[186:187], v[184:185]
	v_add_f64_e32 v[176:177], v[176:177], v[178:179]
	s_wait_loadcnt_dscnt 0xa00
	v_mul_f64_e32 v[178:179], v[152:153], v[130:131]
	v_mul_f64_e32 v[130:131], v[154:155], v[130:131]
	v_fmac_f64_e32 v[180:181], v[6:7], v[136:137]
	v_fma_f64 v[184:185], v[4:5], v[136:137], -v[138:139]
	ds_load_b128 v[4:7], v2 offset:1472
	ds_load_b128 v[136:139], v2 offset:1488
	v_add_f64_e32 v[186:187], v[150:151], v[148:149]
	v_add_f64_e32 v[176:177], v[176:177], v[182:183]
	scratch_load_b128 v[148:151], off, off offset:784
	s_wait_loadcnt_dscnt 0xa01
	v_mul_f64_e32 v[182:183], v[4:5], v[146:147]
	v_mul_f64_e32 v[146:147], v[6:7], v[146:147]
	v_fmac_f64_e32 v[178:179], v[154:155], v[128:129]
	v_fma_f64 v[152:153], v[152:153], v[128:129], -v[130:131]
	scratch_load_b128 v[128:131], off, off offset:800
	v_add_f64_e32 v[154:155], v[186:187], v[184:185]
	v_add_f64_e32 v[176:177], v[176:177], v[180:181]
	s_wait_loadcnt_dscnt 0xa00
	v_mul_f64_e32 v[180:181], v[136:137], v[134:135]
	v_mul_f64_e32 v[134:135], v[138:139], v[134:135]
	v_fmac_f64_e32 v[182:183], v[6:7], v[144:145]
	v_fma_f64 v[184:185], v[4:5], v[144:145], -v[146:147]
	ds_load_b128 v[4:7], v2 offset:1504
	ds_load_b128 v[144:147], v2 offset:1520
	v_add_f64_e32 v[186:187], v[154:155], v[152:153]
	v_add_f64_e32 v[176:177], v[176:177], v[178:179]
	scratch_load_b128 v[152:155], off, off offset:816
	s_wait_loadcnt_dscnt 0xa01
	v_mul_f64_e32 v[178:179], v[4:5], v[158:159]
	v_mul_f64_e32 v[158:159], v[6:7], v[158:159]
	v_fmac_f64_e32 v[180:181], v[138:139], v[132:133]
	v_fma_f64 v[136:137], v[136:137], v[132:133], -v[134:135]
	scratch_load_b128 v[132:135], off, off offset:832
	v_add_f64_e32 v[138:139], v[186:187], v[184:185]
	v_add_f64_e32 v[176:177], v[176:177], v[182:183]
	s_wait_loadcnt_dscnt 0xa00
	v_mul_f64_e32 v[182:183], v[144:145], v[142:143]
	v_mul_f64_e32 v[142:143], v[146:147], v[142:143]
	v_fmac_f64_e32 v[178:179], v[6:7], v[156:157]
	v_fma_f64 v[156:157], v[4:5], v[156:157], -v[158:159]
	v_add_f64_e32 v[158:159], v[138:139], v[136:137]
	v_add_f64_e32 v[176:177], v[176:177], v[180:181]
	ds_load_b128 v[4:7], v2 offset:1536
	ds_load_b128 v[136:139], v2 offset:1552
	v_fmac_f64_e32 v[182:183], v[146:147], v[140:141]
	v_fma_f64 v[140:141], v[144:145], v[140:141], -v[142:143]
	s_wait_loadcnt_dscnt 0x901
	v_mul_f64_e32 v[180:181], v[4:5], v[174:175]
	v_mul_f64_e32 v[174:175], v[6:7], v[174:175]
	s_wait_loadcnt_dscnt 0x800
	v_mul_f64_e32 v[146:147], v[136:137], v[10:11]
	v_mul_f64_e32 v[10:11], v[138:139], v[10:11]
	v_add_f64_e32 v[142:143], v[158:159], v[156:157]
	v_add_f64_e32 v[144:145], v[176:177], v[178:179]
	v_fmac_f64_e32 v[180:181], v[6:7], v[172:173]
	v_fma_f64 v[156:157], v[4:5], v[172:173], -v[174:175]
	v_fmac_f64_e32 v[146:147], v[138:139], v[8:9]
	v_fma_f64 v[8:9], v[136:137], v[8:9], -v[10:11]
	v_add_f64_e32 v[158:159], v[142:143], v[140:141]
	v_add_f64_e32 v[144:145], v[144:145], v[182:183]
	ds_load_b128 v[4:7], v2 offset:1568
	ds_load_b128 v[140:143], v2 offset:1584
	s_wait_loadcnt_dscnt 0x701
	v_mul_f64_e32 v[172:173], v[4:5], v[162:163]
	v_mul_f64_e32 v[162:163], v[6:7], v[162:163]
	s_wait_loadcnt_dscnt 0x600
	v_mul_f64_e32 v[138:139], v[140:141], v[126:127]
	v_mul_f64_e32 v[126:127], v[142:143], v[126:127]
	v_add_f64_e32 v[10:11], v[158:159], v[156:157]
	v_add_f64_e32 v[136:137], v[144:145], v[180:181]
	v_fmac_f64_e32 v[172:173], v[6:7], v[160:161]
	v_fma_f64 v[144:145], v[4:5], v[160:161], -v[162:163]
	v_fmac_f64_e32 v[138:139], v[142:143], v[124:125]
	v_fma_f64 v[124:125], v[140:141], v[124:125], -v[126:127]
	v_add_f64_e32 v[156:157], v[10:11], v[8:9]
	v_add_f64_e32 v[136:137], v[136:137], v[146:147]
	ds_load_b128 v[4:7], v2 offset:1600
	ds_load_b128 v[8:11], v2 offset:1616
	;; [unrolled: 16-line block ×4, first 2 shown]
	s_wait_loadcnt_dscnt 0x101
	v_mul_f64_e32 v[2:3], v[4:5], v[154:155]
	v_mul_f64_e32 v[140:141], v[6:7], v[154:155]
	s_wait_loadcnt_dscnt 0x0
	v_mul_f64_e32 v[128:129], v[8:9], v[134:135]
	v_mul_f64_e32 v[130:131], v[10:11], v[134:135]
	v_add_f64_e32 v[126:127], v[142:143], v[136:137]
	v_add_f64_e32 v[12:13], v[12:13], v[138:139]
	v_fmac_f64_e32 v[2:3], v[6:7], v[152:153]
	v_fma_f64 v[4:5], v[4:5], v[152:153], -v[140:141]
	v_fmac_f64_e32 v[128:129], v[10:11], v[132:133]
	v_fma_f64 v[8:9], v[8:9], v[132:133], -v[130:131]
	v_add_f64_e32 v[6:7], v[126:127], v[124:125]
	v_add_f64_e32 v[12:13], v[12:13], v[14:15]
	s_delay_alu instid0(VALU_DEP_2) | instskip(NEXT) | instid1(VALU_DEP_2)
	v_add_f64_e32 v[4:5], v[6:7], v[4:5]
	v_add_f64_e32 v[2:3], v[12:13], v[2:3]
	s_delay_alu instid0(VALU_DEP_2) | instskip(NEXT) | instid1(VALU_DEP_2)
	;; [unrolled: 3-line block ×3, first 2 shown]
	v_add_f64_e64 v[2:3], v[164:165], -v[4:5]
	v_add_f64_e64 v[4:5], v[166:167], -v[6:7]
	scratch_store_b128 off, v[2:5], off offset:288
	s_wait_xcnt 0x0
	v_cmpx_lt_u32_e32 17, v1
	s_cbranch_execz .LBB52_297
; %bb.296:
	scratch_load_b128 v[2:5], off, s41
	v_mov_b32_e32 v6, 0
	s_delay_alu instid0(VALU_DEP_1)
	v_dual_mov_b32 v7, v6 :: v_dual_mov_b32 v8, v6
	v_mov_b32_e32 v9, v6
	scratch_store_b128 off, v[6:9], off offset:272
	s_wait_loadcnt 0x0
	ds_store_b128 v122, v[2:5]
.LBB52_297:
	s_wait_xcnt 0x0
	s_or_b32 exec_lo, exec_lo, s2
	s_wait_storecnt_dscnt 0x0
	s_barrier_signal -1
	s_barrier_wait -1
	s_clause 0x9
	scratch_load_b128 v[4:7], off, off offset:288
	scratch_load_b128 v[8:11], off, off offset:304
	;; [unrolled: 1-line block ×10, first 2 shown]
	v_mov_b32_e32 v2, 0
	s_mov_b32 s2, exec_lo
	ds_load_b128 v[152:155], v2 offset:1136
	s_clause 0x2
	scratch_load_b128 v[156:159], off, off offset:448
	scratch_load_b128 v[160:163], off, off offset:272
	;; [unrolled: 1-line block ×3, first 2 shown]
	s_wait_loadcnt_dscnt 0xc00
	v_mul_f64_e32 v[172:173], v[154:155], v[6:7]
	v_mul_f64_e32 v[176:177], v[152:153], v[6:7]
	ds_load_b128 v[164:167], v2 offset:1152
	v_fma_f64 v[180:181], v[152:153], v[4:5], -v[172:173]
	v_fmac_f64_e32 v[176:177], v[154:155], v[4:5]
	ds_load_b128 v[4:7], v2 offset:1168
	s_wait_loadcnt_dscnt 0xb01
	v_mul_f64_e32 v[178:179], v[164:165], v[10:11]
	v_mul_f64_e32 v[10:11], v[166:167], v[10:11]
	scratch_load_b128 v[152:155], off, off offset:480
	ds_load_b128 v[172:175], v2 offset:1184
	s_wait_loadcnt_dscnt 0xb01
	v_mul_f64_e32 v[182:183], v[4:5], v[14:15]
	v_mul_f64_e32 v[14:15], v[6:7], v[14:15]
	v_add_f64_e32 v[176:177], 0, v[176:177]
	v_fmac_f64_e32 v[178:179], v[166:167], v[8:9]
	v_fma_f64 v[164:165], v[164:165], v[8:9], -v[10:11]
	v_add_f64_e32 v[166:167], 0, v[180:181]
	scratch_load_b128 v[8:11], off, off offset:496
	v_fmac_f64_e32 v[182:183], v[6:7], v[12:13]
	v_fma_f64 v[184:185], v[4:5], v[12:13], -v[14:15]
	ds_load_b128 v[4:7], v2 offset:1200
	s_wait_loadcnt_dscnt 0xb01
	v_mul_f64_e32 v[180:181], v[172:173], v[126:127]
	v_mul_f64_e32 v[126:127], v[174:175], v[126:127]
	scratch_load_b128 v[12:15], off, off offset:512
	v_add_f64_e32 v[176:177], v[176:177], v[178:179]
	v_add_f64_e32 v[186:187], v[166:167], v[164:165]
	ds_load_b128 v[164:167], v2 offset:1216
	s_wait_loadcnt_dscnt 0xb01
	v_mul_f64_e32 v[178:179], v[4:5], v[130:131]
	v_mul_f64_e32 v[130:131], v[6:7], v[130:131]
	v_fmac_f64_e32 v[180:181], v[174:175], v[124:125]
	v_fma_f64 v[172:173], v[172:173], v[124:125], -v[126:127]
	scratch_load_b128 v[124:127], off, off offset:528
	v_add_f64_e32 v[176:177], v[176:177], v[182:183]
	v_add_f64_e32 v[174:175], v[186:187], v[184:185]
	v_fmac_f64_e32 v[178:179], v[6:7], v[128:129]
	v_fma_f64 v[184:185], v[4:5], v[128:129], -v[130:131]
	ds_load_b128 v[4:7], v2 offset:1232
	s_wait_loadcnt_dscnt 0xb01
	v_mul_f64_e32 v[182:183], v[164:165], v[134:135]
	v_mul_f64_e32 v[134:135], v[166:167], v[134:135]
	scratch_load_b128 v[128:131], off, off offset:544
	v_add_f64_e32 v[176:177], v[176:177], v[180:181]
	s_wait_loadcnt_dscnt 0xb00
	v_mul_f64_e32 v[180:181], v[4:5], v[138:139]
	v_add_f64_e32 v[186:187], v[174:175], v[172:173]
	v_mul_f64_e32 v[138:139], v[6:7], v[138:139]
	ds_load_b128 v[172:175], v2 offset:1248
	v_fmac_f64_e32 v[182:183], v[166:167], v[132:133]
	v_fma_f64 v[164:165], v[164:165], v[132:133], -v[134:135]
	scratch_load_b128 v[132:135], off, off offset:560
	v_add_f64_e32 v[176:177], v[176:177], v[178:179]
	v_fmac_f64_e32 v[180:181], v[6:7], v[136:137]
	v_add_f64_e32 v[166:167], v[186:187], v[184:185]
	v_fma_f64 v[184:185], v[4:5], v[136:137], -v[138:139]
	ds_load_b128 v[4:7], v2 offset:1264
	s_wait_loadcnt_dscnt 0xb01
	v_mul_f64_e32 v[178:179], v[172:173], v[142:143]
	v_mul_f64_e32 v[142:143], v[174:175], v[142:143]
	scratch_load_b128 v[136:139], off, off offset:576
	v_add_f64_e32 v[176:177], v[176:177], v[182:183]
	s_wait_loadcnt_dscnt 0xb00
	v_mul_f64_e32 v[182:183], v[4:5], v[146:147]
	v_add_f64_e32 v[186:187], v[166:167], v[164:165]
	v_mul_f64_e32 v[146:147], v[6:7], v[146:147]
	ds_load_b128 v[164:167], v2 offset:1280
	v_fmac_f64_e32 v[178:179], v[174:175], v[140:141]
	v_fma_f64 v[172:173], v[172:173], v[140:141], -v[142:143]
	scratch_load_b128 v[140:143], off, off offset:592
	v_add_f64_e32 v[176:177], v[176:177], v[180:181]
	v_fmac_f64_e32 v[182:183], v[6:7], v[144:145]
	v_add_f64_e32 v[174:175], v[186:187], v[184:185]
	;; [unrolled: 18-line block ×3, first 2 shown]
	v_fma_f64 v[184:185], v[4:5], v[156:157], -v[158:159]
	ds_load_b128 v[4:7], v2 offset:1328
	s_wait_loadcnt_dscnt 0xa01
	v_mul_f64_e32 v[182:183], v[172:173], v[170:171]
	v_mul_f64_e32 v[170:171], v[174:175], v[170:171]
	scratch_load_b128 v[156:159], off, off offset:640
	v_add_f64_e32 v[176:177], v[176:177], v[180:181]
	v_add_f64_e32 v[186:187], v[166:167], v[164:165]
	s_wait_loadcnt_dscnt 0xa00
	v_mul_f64_e32 v[180:181], v[4:5], v[154:155]
	v_mul_f64_e32 v[154:155], v[6:7], v[154:155]
	v_fmac_f64_e32 v[182:183], v[174:175], v[168:169]
	v_fma_f64 v[172:173], v[172:173], v[168:169], -v[170:171]
	ds_load_b128 v[164:167], v2 offset:1344
	scratch_load_b128 v[168:171], off, off offset:656
	v_add_f64_e32 v[176:177], v[176:177], v[178:179]
	v_add_f64_e32 v[174:175], v[186:187], v[184:185]
	v_fmac_f64_e32 v[180:181], v[6:7], v[152:153]
	v_fma_f64 v[184:185], v[4:5], v[152:153], -v[154:155]
	ds_load_b128 v[4:7], v2 offset:1360
	s_wait_loadcnt_dscnt 0xa01
	v_mul_f64_e32 v[178:179], v[164:165], v[10:11]
	v_mul_f64_e32 v[10:11], v[166:167], v[10:11]
	scratch_load_b128 v[152:155], off, off offset:672
	v_add_f64_e32 v[176:177], v[176:177], v[182:183]
	s_wait_loadcnt_dscnt 0xa00
	v_mul_f64_e32 v[182:183], v[4:5], v[14:15]
	v_add_f64_e32 v[186:187], v[174:175], v[172:173]
	v_mul_f64_e32 v[14:15], v[6:7], v[14:15]
	ds_load_b128 v[172:175], v2 offset:1376
	v_fmac_f64_e32 v[178:179], v[166:167], v[8:9]
	v_fma_f64 v[164:165], v[164:165], v[8:9], -v[10:11]
	scratch_load_b128 v[8:11], off, off offset:688
	v_add_f64_e32 v[176:177], v[176:177], v[180:181]
	v_fmac_f64_e32 v[182:183], v[6:7], v[12:13]
	v_add_f64_e32 v[166:167], v[186:187], v[184:185]
	v_fma_f64 v[184:185], v[4:5], v[12:13], -v[14:15]
	ds_load_b128 v[4:7], v2 offset:1392
	s_wait_loadcnt_dscnt 0xa01
	v_mul_f64_e32 v[180:181], v[172:173], v[126:127]
	v_mul_f64_e32 v[126:127], v[174:175], v[126:127]
	scratch_load_b128 v[12:15], off, off offset:704
	v_add_f64_e32 v[176:177], v[176:177], v[178:179]
	s_wait_loadcnt_dscnt 0xa00
	v_mul_f64_e32 v[178:179], v[4:5], v[130:131]
	v_add_f64_e32 v[186:187], v[166:167], v[164:165]
	v_mul_f64_e32 v[130:131], v[6:7], v[130:131]
	ds_load_b128 v[164:167], v2 offset:1408
	v_fmac_f64_e32 v[180:181], v[174:175], v[124:125]
	v_fma_f64 v[172:173], v[172:173], v[124:125], -v[126:127]
	scratch_load_b128 v[124:127], off, off offset:720
	v_add_f64_e32 v[176:177], v[176:177], v[182:183]
	v_fmac_f64_e32 v[178:179], v[6:7], v[128:129]
	v_add_f64_e32 v[174:175], v[186:187], v[184:185]
	;; [unrolled: 18-line block ×5, first 2 shown]
	v_fma_f64 v[184:185], v[4:5], v[156:157], -v[158:159]
	ds_load_b128 v[4:7], v2 offset:1520
	s_wait_loadcnt_dscnt 0xa01
	v_mul_f64_e32 v[182:183], v[172:173], v[170:171]
	v_mul_f64_e32 v[170:171], v[174:175], v[170:171]
	scratch_load_b128 v[156:159], off, off offset:832
	v_add_f64_e32 v[176:177], v[176:177], v[180:181]
	s_wait_loadcnt_dscnt 0xa00
	v_mul_f64_e32 v[180:181], v[4:5], v[154:155]
	v_add_f64_e32 v[186:187], v[166:167], v[164:165]
	v_mul_f64_e32 v[154:155], v[6:7], v[154:155]
	ds_load_b128 v[164:167], v2 offset:1536
	v_fmac_f64_e32 v[182:183], v[174:175], v[168:169]
	v_fma_f64 v[168:169], v[172:173], v[168:169], -v[170:171]
	s_wait_loadcnt_dscnt 0x900
	v_mul_f64_e32 v[174:175], v[164:165], v[10:11]
	v_mul_f64_e32 v[10:11], v[166:167], v[10:11]
	v_add_f64_e32 v[172:173], v[176:177], v[178:179]
	v_fmac_f64_e32 v[180:181], v[6:7], v[152:153]
	v_add_f64_e32 v[170:171], v[186:187], v[184:185]
	v_fma_f64 v[176:177], v[4:5], v[152:153], -v[154:155]
	ds_load_b128 v[4:7], v2 offset:1552
	ds_load_b128 v[152:155], v2 offset:1568
	v_fmac_f64_e32 v[174:175], v[166:167], v[8:9]
	v_fma_f64 v[8:9], v[164:165], v[8:9], -v[10:11]
	v_add_f64_e32 v[168:169], v[170:171], v[168:169]
	v_add_f64_e32 v[170:171], v[172:173], v[182:183]
	s_wait_loadcnt_dscnt 0x801
	v_mul_f64_e32 v[172:173], v[4:5], v[14:15]
	v_mul_f64_e32 v[14:15], v[6:7], v[14:15]
	s_wait_loadcnt_dscnt 0x700
	v_mul_f64_e32 v[166:167], v[152:153], v[126:127]
	v_mul_f64_e32 v[126:127], v[154:155], v[126:127]
	v_add_f64_e32 v[10:11], v[168:169], v[176:177]
	v_add_f64_e32 v[164:165], v[170:171], v[180:181]
	v_fmac_f64_e32 v[172:173], v[6:7], v[12:13]
	v_fma_f64 v[12:13], v[4:5], v[12:13], -v[14:15]
	v_fmac_f64_e32 v[166:167], v[154:155], v[124:125]
	v_fma_f64 v[124:125], v[152:153], v[124:125], -v[126:127]
	v_add_f64_e32 v[14:15], v[10:11], v[8:9]
	v_add_f64_e32 v[164:165], v[164:165], v[174:175]
	ds_load_b128 v[4:7], v2 offset:1584
	ds_load_b128 v[8:11], v2 offset:1600
	s_wait_loadcnt_dscnt 0x601
	v_mul_f64_e32 v[168:169], v[4:5], v[130:131]
	v_mul_f64_e32 v[130:131], v[6:7], v[130:131]
	s_wait_loadcnt_dscnt 0x500
	v_mul_f64_e32 v[126:127], v[8:9], v[134:135]
	v_mul_f64_e32 v[134:135], v[10:11], v[134:135]
	v_add_f64_e32 v[12:13], v[14:15], v[12:13]
	v_add_f64_e32 v[14:15], v[164:165], v[172:173]
	v_fmac_f64_e32 v[168:169], v[6:7], v[128:129]
	v_fma_f64 v[128:129], v[4:5], v[128:129], -v[130:131]
	v_fmac_f64_e32 v[126:127], v[10:11], v[132:133]
	v_fma_f64 v[8:9], v[8:9], v[132:133], -v[134:135]
	v_add_f64_e32 v[124:125], v[12:13], v[124:125]
	v_add_f64_e32 v[130:131], v[14:15], v[166:167]
	ds_load_b128 v[4:7], v2 offset:1616
	ds_load_b128 v[12:15], v2 offset:1632
	s_wait_loadcnt_dscnt 0x401
	v_mul_f64_e32 v[152:153], v[4:5], v[138:139]
	v_mul_f64_e32 v[138:139], v[6:7], v[138:139]
	v_add_f64_e32 v[10:11], v[124:125], v[128:129]
	v_add_f64_e32 v[124:125], v[130:131], v[168:169]
	s_wait_loadcnt_dscnt 0x300
	v_mul_f64_e32 v[128:129], v[12:13], v[142:143]
	v_mul_f64_e32 v[130:131], v[14:15], v[142:143]
	v_fmac_f64_e32 v[152:153], v[6:7], v[136:137]
	v_fma_f64 v[132:133], v[4:5], v[136:137], -v[138:139]
	v_add_f64_e32 v[134:135], v[10:11], v[8:9]
	v_add_f64_e32 v[124:125], v[124:125], v[126:127]
	ds_load_b128 v[4:7], v2 offset:1648
	ds_load_b128 v[8:11], v2 offset:1664
	v_fmac_f64_e32 v[128:129], v[14:15], v[140:141]
	v_fma_f64 v[12:13], v[12:13], v[140:141], -v[130:131]
	s_wait_loadcnt_dscnt 0x201
	v_mul_f64_e32 v[126:127], v[4:5], v[146:147]
	v_mul_f64_e32 v[136:137], v[6:7], v[146:147]
	s_wait_loadcnt_dscnt 0x100
	v_mul_f64_e32 v[130:131], v[8:9], v[150:151]
	v_add_f64_e32 v[14:15], v[134:135], v[132:133]
	v_add_f64_e32 v[124:125], v[124:125], v[152:153]
	v_mul_f64_e32 v[132:133], v[10:11], v[150:151]
	v_fmac_f64_e32 v[126:127], v[6:7], v[144:145]
	v_fma_f64 v[134:135], v[4:5], v[144:145], -v[136:137]
	ds_load_b128 v[4:7], v2 offset:1680
	v_fmac_f64_e32 v[130:131], v[10:11], v[148:149]
	v_add_f64_e32 v[12:13], v[14:15], v[12:13]
	v_add_f64_e32 v[14:15], v[124:125], v[128:129]
	v_fma_f64 v[8:9], v[8:9], v[148:149], -v[132:133]
	s_wait_loadcnt_dscnt 0x0
	v_mul_f64_e32 v[124:125], v[4:5], v[158:159]
	v_mul_f64_e32 v[128:129], v[6:7], v[158:159]
	v_add_f64_e32 v[10:11], v[12:13], v[134:135]
	v_add_f64_e32 v[12:13], v[14:15], v[126:127]
	s_delay_alu instid0(VALU_DEP_4) | instskip(NEXT) | instid1(VALU_DEP_4)
	v_fmac_f64_e32 v[124:125], v[6:7], v[156:157]
	v_fma_f64 v[4:5], v[4:5], v[156:157], -v[128:129]
	s_delay_alu instid0(VALU_DEP_4) | instskip(NEXT) | instid1(VALU_DEP_4)
	v_add_f64_e32 v[6:7], v[10:11], v[8:9]
	v_add_f64_e32 v[8:9], v[12:13], v[130:131]
	s_delay_alu instid0(VALU_DEP_2) | instskip(NEXT) | instid1(VALU_DEP_2)
	v_add_f64_e32 v[4:5], v[6:7], v[4:5]
	v_add_f64_e32 v[6:7], v[8:9], v[124:125]
	s_delay_alu instid0(VALU_DEP_2) | instskip(NEXT) | instid1(VALU_DEP_2)
	v_add_f64_e64 v[4:5], v[160:161], -v[4:5]
	v_add_f64_e64 v[6:7], v[162:163], -v[6:7]
	scratch_store_b128 off, v[4:7], off offset:272
	s_wait_xcnt 0x0
	v_cmpx_lt_u32_e32 16, v1
	s_cbranch_execz .LBB52_299
; %bb.298:
	scratch_load_b128 v[6:9], off, s39
	v_dual_mov_b32 v3, v2 :: v_dual_mov_b32 v4, v2
	v_mov_b32_e32 v5, v2
	scratch_store_b128 off, v[2:5], off offset:256
	s_wait_loadcnt 0x0
	ds_store_b128 v122, v[6:9]
.LBB52_299:
	s_wait_xcnt 0x0
	s_or_b32 exec_lo, exec_lo, s2
	s_wait_storecnt_dscnt 0x0
	s_barrier_signal -1
	s_barrier_wait -1
	s_clause 0x9
	scratch_load_b128 v[4:7], off, off offset:272
	scratch_load_b128 v[8:11], off, off offset:288
	;; [unrolled: 1-line block ×10, first 2 shown]
	ds_load_b128 v[152:155], v2 offset:1120
	ds_load_b128 v[160:163], v2 offset:1136
	s_clause 0x2
	scratch_load_b128 v[156:159], off, off offset:432
	scratch_load_b128 v[164:167], off, off offset:256
	;; [unrolled: 1-line block ×3, first 2 shown]
	s_mov_b32 s2, exec_lo
	s_wait_loadcnt_dscnt 0xc01
	v_mul_f64_e32 v[172:173], v[154:155], v[6:7]
	v_mul_f64_e32 v[176:177], v[152:153], v[6:7]
	s_wait_loadcnt_dscnt 0xb00
	v_mul_f64_e32 v[178:179], v[160:161], v[10:11]
	v_mul_f64_e32 v[10:11], v[162:163], v[10:11]
	s_delay_alu instid0(VALU_DEP_4) | instskip(NEXT) | instid1(VALU_DEP_4)
	v_fma_f64 v[180:181], v[152:153], v[4:5], -v[172:173]
	v_fmac_f64_e32 v[176:177], v[154:155], v[4:5]
	ds_load_b128 v[4:7], v2 offset:1152
	ds_load_b128 v[152:155], v2 offset:1168
	scratch_load_b128 v[172:175], off, off offset:464
	v_fmac_f64_e32 v[178:179], v[162:163], v[8:9]
	v_fma_f64 v[160:161], v[160:161], v[8:9], -v[10:11]
	scratch_load_b128 v[8:11], off, off offset:480
	s_wait_loadcnt_dscnt 0xc01
	v_mul_f64_e32 v[182:183], v[4:5], v[14:15]
	v_mul_f64_e32 v[14:15], v[6:7], v[14:15]
	v_add_f64_e32 v[162:163], 0, v[180:181]
	v_add_f64_e32 v[176:177], 0, v[176:177]
	s_wait_loadcnt_dscnt 0xb00
	v_mul_f64_e32 v[180:181], v[152:153], v[126:127]
	v_mul_f64_e32 v[126:127], v[154:155], v[126:127]
	v_fmac_f64_e32 v[182:183], v[6:7], v[12:13]
	v_fma_f64 v[184:185], v[4:5], v[12:13], -v[14:15]
	ds_load_b128 v[4:7], v2 offset:1184
	ds_load_b128 v[12:15], v2 offset:1200
	v_add_f64_e32 v[186:187], v[162:163], v[160:161]
	v_add_f64_e32 v[176:177], v[176:177], v[178:179]
	scratch_load_b128 v[160:163], off, off offset:496
	v_fmac_f64_e32 v[180:181], v[154:155], v[124:125]
	v_fma_f64 v[152:153], v[152:153], v[124:125], -v[126:127]
	scratch_load_b128 v[124:127], off, off offset:512
	s_wait_loadcnt_dscnt 0xc01
	v_mul_f64_e32 v[178:179], v[4:5], v[130:131]
	v_mul_f64_e32 v[130:131], v[6:7], v[130:131]
	v_add_f64_e32 v[154:155], v[186:187], v[184:185]
	v_add_f64_e32 v[176:177], v[176:177], v[182:183]
	s_wait_loadcnt_dscnt 0xb00
	v_mul_f64_e32 v[182:183], v[12:13], v[134:135]
	v_mul_f64_e32 v[134:135], v[14:15], v[134:135]
	v_fmac_f64_e32 v[178:179], v[6:7], v[128:129]
	v_fma_f64 v[184:185], v[4:5], v[128:129], -v[130:131]
	ds_load_b128 v[4:7], v2 offset:1216
	ds_load_b128 v[128:131], v2 offset:1232
	v_add_f64_e32 v[186:187], v[154:155], v[152:153]
	v_add_f64_e32 v[176:177], v[176:177], v[180:181]
	scratch_load_b128 v[152:155], off, off offset:528
	s_wait_loadcnt_dscnt 0xb01
	v_mul_f64_e32 v[180:181], v[4:5], v[138:139]
	v_mul_f64_e32 v[138:139], v[6:7], v[138:139]
	v_fmac_f64_e32 v[182:183], v[14:15], v[132:133]
	v_fma_f64 v[132:133], v[12:13], v[132:133], -v[134:135]
	scratch_load_b128 v[12:15], off, off offset:544
	v_add_f64_e32 v[134:135], v[186:187], v[184:185]
	v_add_f64_e32 v[176:177], v[176:177], v[178:179]
	s_wait_loadcnt_dscnt 0xb00
	v_mul_f64_e32 v[178:179], v[128:129], v[142:143]
	v_mul_f64_e32 v[142:143], v[130:131], v[142:143]
	v_fmac_f64_e32 v[180:181], v[6:7], v[136:137]
	v_fma_f64 v[184:185], v[4:5], v[136:137], -v[138:139]
	v_add_f64_e32 v[186:187], v[134:135], v[132:133]
	v_add_f64_e32 v[176:177], v[176:177], v[182:183]
	ds_load_b128 v[4:7], v2 offset:1248
	ds_load_b128 v[132:135], v2 offset:1264
	scratch_load_b128 v[136:139], off, off offset:560
	v_fmac_f64_e32 v[178:179], v[130:131], v[140:141]
	v_fma_f64 v[140:141], v[128:129], v[140:141], -v[142:143]
	scratch_load_b128 v[128:131], off, off offset:576
	s_wait_loadcnt_dscnt 0xc01
	v_mul_f64_e32 v[182:183], v[4:5], v[146:147]
	v_mul_f64_e32 v[146:147], v[6:7], v[146:147]
	v_add_f64_e32 v[142:143], v[186:187], v[184:185]
	v_add_f64_e32 v[176:177], v[176:177], v[180:181]
	s_wait_loadcnt_dscnt 0xb00
	v_mul_f64_e32 v[180:181], v[132:133], v[150:151]
	v_mul_f64_e32 v[150:151], v[134:135], v[150:151]
	v_fmac_f64_e32 v[182:183], v[6:7], v[144:145]
	v_fma_f64 v[184:185], v[4:5], v[144:145], -v[146:147]
	v_add_f64_e32 v[186:187], v[142:143], v[140:141]
	v_add_f64_e32 v[176:177], v[176:177], v[178:179]
	ds_load_b128 v[4:7], v2 offset:1280
	ds_load_b128 v[140:143], v2 offset:1296
	scratch_load_b128 v[144:147], off, off offset:592
	v_fmac_f64_e32 v[180:181], v[134:135], v[148:149]
	v_fma_f64 v[148:149], v[132:133], v[148:149], -v[150:151]
	scratch_load_b128 v[132:135], off, off offset:608
	s_wait_loadcnt_dscnt 0xc01
	v_mul_f64_e32 v[178:179], v[4:5], v[158:159]
	v_mul_f64_e32 v[158:159], v[6:7], v[158:159]
	;; [unrolled: 18-line block ×5, first 2 shown]
	v_add_f64_e32 v[170:171], v[186:187], v[184:185]
	v_add_f64_e32 v[176:177], v[176:177], v[182:183]
	s_wait_loadcnt_dscnt 0xa00
	v_mul_f64_e32 v[182:183], v[148:149], v[14:15]
	v_mul_f64_e32 v[14:15], v[150:151], v[14:15]
	v_fmac_f64_e32 v[178:179], v[6:7], v[152:153]
	v_fma_f64 v[184:185], v[4:5], v[152:153], -v[154:155]
	ds_load_b128 v[4:7], v2 offset:1408
	ds_load_b128 v[152:155], v2 offset:1424
	v_add_f64_e32 v[186:187], v[170:171], v[168:169]
	v_add_f64_e32 v[176:177], v[176:177], v[180:181]
	scratch_load_b128 v[168:171], off, off offset:720
	v_fmac_f64_e32 v[182:183], v[150:151], v[12:13]
	v_fma_f64 v[148:149], v[148:149], v[12:13], -v[14:15]
	scratch_load_b128 v[12:15], off, off offset:736
	s_wait_loadcnt_dscnt 0xb01
	v_mul_f64_e32 v[180:181], v[4:5], v[138:139]
	v_mul_f64_e32 v[138:139], v[6:7], v[138:139]
	v_add_f64_e32 v[150:151], v[186:187], v[184:185]
	v_add_f64_e32 v[176:177], v[176:177], v[178:179]
	s_wait_loadcnt_dscnt 0xa00
	v_mul_f64_e32 v[178:179], v[152:153], v[130:131]
	v_mul_f64_e32 v[130:131], v[154:155], v[130:131]
	v_fmac_f64_e32 v[180:181], v[6:7], v[136:137]
	v_fma_f64 v[184:185], v[4:5], v[136:137], -v[138:139]
	ds_load_b128 v[4:7], v2 offset:1440
	ds_load_b128 v[136:139], v2 offset:1456
	v_add_f64_e32 v[186:187], v[150:151], v[148:149]
	v_add_f64_e32 v[176:177], v[176:177], v[182:183]
	scratch_load_b128 v[148:151], off, off offset:752
	s_wait_loadcnt_dscnt 0xa01
	v_mul_f64_e32 v[182:183], v[4:5], v[146:147]
	v_mul_f64_e32 v[146:147], v[6:7], v[146:147]
	v_fmac_f64_e32 v[178:179], v[154:155], v[128:129]
	v_fma_f64 v[152:153], v[152:153], v[128:129], -v[130:131]
	scratch_load_b128 v[128:131], off, off offset:768
	v_add_f64_e32 v[154:155], v[186:187], v[184:185]
	v_add_f64_e32 v[176:177], v[176:177], v[180:181]
	s_wait_loadcnt_dscnt 0xa00
	v_mul_f64_e32 v[180:181], v[136:137], v[134:135]
	v_mul_f64_e32 v[134:135], v[138:139], v[134:135]
	v_fmac_f64_e32 v[182:183], v[6:7], v[144:145]
	v_fma_f64 v[184:185], v[4:5], v[144:145], -v[146:147]
	ds_load_b128 v[4:7], v2 offset:1472
	ds_load_b128 v[144:147], v2 offset:1488
	v_add_f64_e32 v[186:187], v[154:155], v[152:153]
	v_add_f64_e32 v[176:177], v[176:177], v[178:179]
	scratch_load_b128 v[152:155], off, off offset:784
	s_wait_loadcnt_dscnt 0xa01
	v_mul_f64_e32 v[178:179], v[4:5], v[158:159]
	v_mul_f64_e32 v[158:159], v[6:7], v[158:159]
	v_fmac_f64_e32 v[180:181], v[138:139], v[132:133]
	v_fma_f64 v[136:137], v[136:137], v[132:133], -v[134:135]
	scratch_load_b128 v[132:135], off, off offset:800
	v_add_f64_e32 v[138:139], v[186:187], v[184:185]
	v_add_f64_e32 v[176:177], v[176:177], v[182:183]
	s_wait_loadcnt_dscnt 0xa00
	v_mul_f64_e32 v[182:183], v[144:145], v[142:143]
	v_mul_f64_e32 v[142:143], v[146:147], v[142:143]
	v_fmac_f64_e32 v[178:179], v[6:7], v[156:157]
	v_fma_f64 v[184:185], v[4:5], v[156:157], -v[158:159]
	v_add_f64_e32 v[186:187], v[138:139], v[136:137]
	v_add_f64_e32 v[176:177], v[176:177], v[180:181]
	ds_load_b128 v[4:7], v2 offset:1504
	ds_load_b128 v[136:139], v2 offset:1520
	scratch_load_b128 v[156:159], off, off offset:816
	v_fmac_f64_e32 v[182:183], v[146:147], v[140:141]
	v_fma_f64 v[144:145], v[144:145], v[140:141], -v[142:143]
	scratch_load_b128 v[140:143], off, off offset:832
	s_wait_loadcnt_dscnt 0xb01
	v_mul_f64_e32 v[180:181], v[4:5], v[174:175]
	v_mul_f64_e32 v[174:175], v[6:7], v[174:175]
	v_add_f64_e32 v[146:147], v[186:187], v[184:185]
	v_add_f64_e32 v[176:177], v[176:177], v[178:179]
	s_wait_loadcnt_dscnt 0xa00
	v_mul_f64_e32 v[178:179], v[136:137], v[10:11]
	v_mul_f64_e32 v[10:11], v[138:139], v[10:11]
	v_fmac_f64_e32 v[180:181], v[6:7], v[172:173]
	v_fma_f64 v[172:173], v[4:5], v[172:173], -v[174:175]
	v_add_f64_e32 v[174:175], v[146:147], v[144:145]
	v_add_f64_e32 v[176:177], v[176:177], v[182:183]
	ds_load_b128 v[4:7], v2 offset:1536
	ds_load_b128 v[144:147], v2 offset:1552
	v_fmac_f64_e32 v[178:179], v[138:139], v[8:9]
	v_fma_f64 v[8:9], v[136:137], v[8:9], -v[10:11]
	s_wait_loadcnt_dscnt 0x901
	v_mul_f64_e32 v[182:183], v[4:5], v[162:163]
	v_mul_f64_e32 v[162:163], v[6:7], v[162:163]
	s_wait_loadcnt_dscnt 0x800
	v_mul_f64_e32 v[138:139], v[144:145], v[126:127]
	v_mul_f64_e32 v[126:127], v[146:147], v[126:127]
	v_add_f64_e32 v[10:11], v[174:175], v[172:173]
	v_add_f64_e32 v[136:137], v[176:177], v[180:181]
	v_fmac_f64_e32 v[182:183], v[6:7], v[160:161]
	v_fma_f64 v[160:161], v[4:5], v[160:161], -v[162:163]
	v_fmac_f64_e32 v[138:139], v[146:147], v[124:125]
	v_fma_f64 v[124:125], v[144:145], v[124:125], -v[126:127]
	v_add_f64_e32 v[162:163], v[10:11], v[8:9]
	v_add_f64_e32 v[136:137], v[136:137], v[178:179]
	ds_load_b128 v[4:7], v2 offset:1568
	ds_load_b128 v[8:11], v2 offset:1584
	s_wait_loadcnt_dscnt 0x701
	v_mul_f64_e32 v[172:173], v[4:5], v[170:171]
	v_mul_f64_e32 v[170:171], v[6:7], v[170:171]
	s_wait_loadcnt_dscnt 0x600
	v_mul_f64_e32 v[144:145], v[8:9], v[14:15]
	v_mul_f64_e32 v[14:15], v[10:11], v[14:15]
	v_add_f64_e32 v[126:127], v[162:163], v[160:161]
	v_add_f64_e32 v[136:137], v[136:137], v[182:183]
	v_fmac_f64_e32 v[172:173], v[6:7], v[168:169]
	v_fma_f64 v[146:147], v[4:5], v[168:169], -v[170:171]
	v_fmac_f64_e32 v[144:145], v[10:11], v[12:13]
	v_fma_f64 v[8:9], v[8:9], v[12:13], -v[14:15]
	v_add_f64_e32 v[160:161], v[126:127], v[124:125]
	v_add_f64_e32 v[136:137], v[136:137], v[138:139]
	ds_load_b128 v[4:7], v2 offset:1600
	ds_load_b128 v[124:127], v2 offset:1616
	;; [unrolled: 16-line block ×4, first 2 shown]
	s_wait_loadcnt_dscnt 0x101
	v_mul_f64_e32 v[2:3], v[4:5], v[158:159]
	v_mul_f64_e32 v[136:137], v[6:7], v[158:159]
	s_wait_loadcnt_dscnt 0x0
	v_mul_f64_e32 v[130:131], v[14:15], v[142:143]
	v_add_f64_e32 v[10:11], v[124:125], v[134:135]
	v_add_f64_e32 v[124:125], v[126:127], v[144:145]
	v_mul_f64_e32 v[126:127], v[12:13], v[142:143]
	v_fmac_f64_e32 v[2:3], v[6:7], v[156:157]
	v_fma_f64 v[4:5], v[4:5], v[156:157], -v[136:137]
	v_add_f64_e32 v[6:7], v[10:11], v[8:9]
	v_add_f64_e32 v[8:9], v[124:125], v[128:129]
	v_fmac_f64_e32 v[126:127], v[14:15], v[140:141]
	v_fma_f64 v[10:11], v[12:13], v[140:141], -v[130:131]
	s_delay_alu instid0(VALU_DEP_4) | instskip(NEXT) | instid1(VALU_DEP_4)
	v_add_f64_e32 v[4:5], v[6:7], v[4:5]
	v_add_f64_e32 v[2:3], v[8:9], v[2:3]
	s_delay_alu instid0(VALU_DEP_2) | instskip(NEXT) | instid1(VALU_DEP_2)
	v_add_f64_e32 v[4:5], v[4:5], v[10:11]
	v_add_f64_e32 v[6:7], v[2:3], v[126:127]
	s_delay_alu instid0(VALU_DEP_2) | instskip(NEXT) | instid1(VALU_DEP_2)
	v_add_f64_e64 v[2:3], v[164:165], -v[4:5]
	v_add_f64_e64 v[4:5], v[166:167], -v[6:7]
	scratch_store_b128 off, v[2:5], off offset:256
	s_wait_xcnt 0x0
	v_cmpx_lt_u32_e32 15, v1
	s_cbranch_execz .LBB52_301
; %bb.300:
	scratch_load_b128 v[2:5], off, s59
	v_mov_b32_e32 v6, 0
	s_delay_alu instid0(VALU_DEP_1)
	v_dual_mov_b32 v7, v6 :: v_dual_mov_b32 v8, v6
	v_mov_b32_e32 v9, v6
	scratch_store_b128 off, v[6:9], off offset:240
	s_wait_loadcnt 0x0
	ds_store_b128 v122, v[2:5]
.LBB52_301:
	s_wait_xcnt 0x0
	s_or_b32 exec_lo, exec_lo, s2
	s_wait_storecnt_dscnt 0x0
	s_barrier_signal -1
	s_barrier_wait -1
	s_clause 0x9
	scratch_load_b128 v[4:7], off, off offset:256
	scratch_load_b128 v[8:11], off, off offset:272
	;; [unrolled: 1-line block ×10, first 2 shown]
	v_mov_b32_e32 v2, 0
	s_mov_b32 s2, exec_lo
	ds_load_b128 v[152:155], v2 offset:1104
	s_clause 0x2
	scratch_load_b128 v[156:159], off, off offset:416
	scratch_load_b128 v[160:163], off, off offset:240
	scratch_load_b128 v[168:171], off, off offset:432
	s_wait_loadcnt_dscnt 0xc00
	v_mul_f64_e32 v[172:173], v[154:155], v[6:7]
	v_mul_f64_e32 v[176:177], v[152:153], v[6:7]
	ds_load_b128 v[164:167], v2 offset:1120
	v_fma_f64 v[180:181], v[152:153], v[4:5], -v[172:173]
	v_fmac_f64_e32 v[176:177], v[154:155], v[4:5]
	ds_load_b128 v[4:7], v2 offset:1136
	s_wait_loadcnt_dscnt 0xb01
	v_mul_f64_e32 v[178:179], v[164:165], v[10:11]
	v_mul_f64_e32 v[10:11], v[166:167], v[10:11]
	scratch_load_b128 v[152:155], off, off offset:448
	ds_load_b128 v[172:175], v2 offset:1152
	s_wait_loadcnt_dscnt 0xb01
	v_mul_f64_e32 v[182:183], v[4:5], v[14:15]
	v_mul_f64_e32 v[14:15], v[6:7], v[14:15]
	v_add_f64_e32 v[176:177], 0, v[176:177]
	v_fmac_f64_e32 v[178:179], v[166:167], v[8:9]
	v_fma_f64 v[164:165], v[164:165], v[8:9], -v[10:11]
	v_add_f64_e32 v[166:167], 0, v[180:181]
	scratch_load_b128 v[8:11], off, off offset:464
	v_fmac_f64_e32 v[182:183], v[6:7], v[12:13]
	v_fma_f64 v[184:185], v[4:5], v[12:13], -v[14:15]
	ds_load_b128 v[4:7], v2 offset:1168
	s_wait_loadcnt_dscnt 0xb01
	v_mul_f64_e32 v[180:181], v[172:173], v[126:127]
	v_mul_f64_e32 v[126:127], v[174:175], v[126:127]
	scratch_load_b128 v[12:15], off, off offset:480
	v_add_f64_e32 v[176:177], v[176:177], v[178:179]
	v_add_f64_e32 v[186:187], v[166:167], v[164:165]
	ds_load_b128 v[164:167], v2 offset:1184
	s_wait_loadcnt_dscnt 0xb01
	v_mul_f64_e32 v[178:179], v[4:5], v[130:131]
	v_mul_f64_e32 v[130:131], v[6:7], v[130:131]
	v_fmac_f64_e32 v[180:181], v[174:175], v[124:125]
	v_fma_f64 v[172:173], v[172:173], v[124:125], -v[126:127]
	scratch_load_b128 v[124:127], off, off offset:496
	v_add_f64_e32 v[176:177], v[176:177], v[182:183]
	v_add_f64_e32 v[174:175], v[186:187], v[184:185]
	v_fmac_f64_e32 v[178:179], v[6:7], v[128:129]
	v_fma_f64 v[184:185], v[4:5], v[128:129], -v[130:131]
	ds_load_b128 v[4:7], v2 offset:1200
	s_wait_loadcnt_dscnt 0xb01
	v_mul_f64_e32 v[182:183], v[164:165], v[134:135]
	v_mul_f64_e32 v[134:135], v[166:167], v[134:135]
	scratch_load_b128 v[128:131], off, off offset:512
	v_add_f64_e32 v[176:177], v[176:177], v[180:181]
	s_wait_loadcnt_dscnt 0xb00
	v_mul_f64_e32 v[180:181], v[4:5], v[138:139]
	v_add_f64_e32 v[186:187], v[174:175], v[172:173]
	v_mul_f64_e32 v[138:139], v[6:7], v[138:139]
	ds_load_b128 v[172:175], v2 offset:1216
	v_fmac_f64_e32 v[182:183], v[166:167], v[132:133]
	v_fma_f64 v[164:165], v[164:165], v[132:133], -v[134:135]
	scratch_load_b128 v[132:135], off, off offset:528
	v_add_f64_e32 v[176:177], v[176:177], v[178:179]
	v_fmac_f64_e32 v[180:181], v[6:7], v[136:137]
	v_add_f64_e32 v[166:167], v[186:187], v[184:185]
	v_fma_f64 v[184:185], v[4:5], v[136:137], -v[138:139]
	ds_load_b128 v[4:7], v2 offset:1232
	s_wait_loadcnt_dscnt 0xb01
	v_mul_f64_e32 v[178:179], v[172:173], v[142:143]
	v_mul_f64_e32 v[142:143], v[174:175], v[142:143]
	scratch_load_b128 v[136:139], off, off offset:544
	v_add_f64_e32 v[176:177], v[176:177], v[182:183]
	s_wait_loadcnt_dscnt 0xb00
	v_mul_f64_e32 v[182:183], v[4:5], v[146:147]
	v_add_f64_e32 v[186:187], v[166:167], v[164:165]
	v_mul_f64_e32 v[146:147], v[6:7], v[146:147]
	ds_load_b128 v[164:167], v2 offset:1248
	v_fmac_f64_e32 v[178:179], v[174:175], v[140:141]
	v_fma_f64 v[172:173], v[172:173], v[140:141], -v[142:143]
	scratch_load_b128 v[140:143], off, off offset:560
	v_add_f64_e32 v[176:177], v[176:177], v[180:181]
	v_fmac_f64_e32 v[182:183], v[6:7], v[144:145]
	v_add_f64_e32 v[174:175], v[186:187], v[184:185]
	;; [unrolled: 18-line block ×3, first 2 shown]
	v_fma_f64 v[184:185], v[4:5], v[156:157], -v[158:159]
	ds_load_b128 v[4:7], v2 offset:1296
	s_wait_loadcnt_dscnt 0xa01
	v_mul_f64_e32 v[182:183], v[172:173], v[170:171]
	v_mul_f64_e32 v[170:171], v[174:175], v[170:171]
	scratch_load_b128 v[156:159], off, off offset:608
	v_add_f64_e32 v[176:177], v[176:177], v[180:181]
	v_add_f64_e32 v[186:187], v[166:167], v[164:165]
	s_wait_loadcnt_dscnt 0xa00
	v_mul_f64_e32 v[180:181], v[4:5], v[154:155]
	v_mul_f64_e32 v[154:155], v[6:7], v[154:155]
	v_fmac_f64_e32 v[182:183], v[174:175], v[168:169]
	v_fma_f64 v[172:173], v[172:173], v[168:169], -v[170:171]
	ds_load_b128 v[164:167], v2 offset:1312
	scratch_load_b128 v[168:171], off, off offset:624
	v_add_f64_e32 v[176:177], v[176:177], v[178:179]
	v_add_f64_e32 v[174:175], v[186:187], v[184:185]
	v_fmac_f64_e32 v[180:181], v[6:7], v[152:153]
	v_fma_f64 v[184:185], v[4:5], v[152:153], -v[154:155]
	ds_load_b128 v[4:7], v2 offset:1328
	s_wait_loadcnt_dscnt 0xa01
	v_mul_f64_e32 v[178:179], v[164:165], v[10:11]
	v_mul_f64_e32 v[10:11], v[166:167], v[10:11]
	scratch_load_b128 v[152:155], off, off offset:640
	v_add_f64_e32 v[176:177], v[176:177], v[182:183]
	s_wait_loadcnt_dscnt 0xa00
	v_mul_f64_e32 v[182:183], v[4:5], v[14:15]
	v_add_f64_e32 v[186:187], v[174:175], v[172:173]
	v_mul_f64_e32 v[14:15], v[6:7], v[14:15]
	ds_load_b128 v[172:175], v2 offset:1344
	v_fmac_f64_e32 v[178:179], v[166:167], v[8:9]
	v_fma_f64 v[164:165], v[164:165], v[8:9], -v[10:11]
	scratch_load_b128 v[8:11], off, off offset:656
	v_add_f64_e32 v[176:177], v[176:177], v[180:181]
	v_fmac_f64_e32 v[182:183], v[6:7], v[12:13]
	v_add_f64_e32 v[166:167], v[186:187], v[184:185]
	v_fma_f64 v[184:185], v[4:5], v[12:13], -v[14:15]
	ds_load_b128 v[4:7], v2 offset:1360
	s_wait_loadcnt_dscnt 0xa01
	v_mul_f64_e32 v[180:181], v[172:173], v[126:127]
	v_mul_f64_e32 v[126:127], v[174:175], v[126:127]
	scratch_load_b128 v[12:15], off, off offset:672
	v_add_f64_e32 v[176:177], v[176:177], v[178:179]
	s_wait_loadcnt_dscnt 0xa00
	v_mul_f64_e32 v[178:179], v[4:5], v[130:131]
	v_add_f64_e32 v[186:187], v[166:167], v[164:165]
	v_mul_f64_e32 v[130:131], v[6:7], v[130:131]
	ds_load_b128 v[164:167], v2 offset:1376
	v_fmac_f64_e32 v[180:181], v[174:175], v[124:125]
	v_fma_f64 v[172:173], v[172:173], v[124:125], -v[126:127]
	scratch_load_b128 v[124:127], off, off offset:688
	v_add_f64_e32 v[176:177], v[176:177], v[182:183]
	v_fmac_f64_e32 v[178:179], v[6:7], v[128:129]
	v_add_f64_e32 v[174:175], v[186:187], v[184:185]
	;; [unrolled: 18-line block ×6, first 2 shown]
	v_fma_f64 v[184:185], v[4:5], v[152:153], -v[154:155]
	ds_load_b128 v[4:7], v2 offset:1520
	s_wait_loadcnt_dscnt 0xa01
	v_mul_f64_e32 v[178:179], v[164:165], v[10:11]
	v_mul_f64_e32 v[10:11], v[166:167], v[10:11]
	scratch_load_b128 v[152:155], off, off offset:832
	v_add_f64_e32 v[176:177], v[176:177], v[182:183]
	s_wait_loadcnt_dscnt 0xa00
	v_mul_f64_e32 v[182:183], v[4:5], v[14:15]
	v_add_f64_e32 v[186:187], v[174:175], v[172:173]
	v_mul_f64_e32 v[14:15], v[6:7], v[14:15]
	ds_load_b128 v[172:175], v2 offset:1536
	v_fmac_f64_e32 v[178:179], v[166:167], v[8:9]
	v_fma_f64 v[8:9], v[164:165], v[8:9], -v[10:11]
	s_wait_loadcnt_dscnt 0x900
	v_mul_f64_e32 v[166:167], v[172:173], v[126:127]
	v_mul_f64_e32 v[126:127], v[174:175], v[126:127]
	v_add_f64_e32 v[164:165], v[176:177], v[180:181]
	v_fmac_f64_e32 v[182:183], v[6:7], v[12:13]
	v_add_f64_e32 v[10:11], v[186:187], v[184:185]
	v_fma_f64 v[12:13], v[4:5], v[12:13], -v[14:15]
	v_fmac_f64_e32 v[166:167], v[174:175], v[124:125]
	v_fma_f64 v[124:125], v[172:173], v[124:125], -v[126:127]
	v_add_f64_e32 v[164:165], v[164:165], v[178:179]
	v_add_f64_e32 v[14:15], v[10:11], v[8:9]
	ds_load_b128 v[4:7], v2 offset:1552
	ds_load_b128 v[8:11], v2 offset:1568
	s_wait_loadcnt_dscnt 0x801
	v_mul_f64_e32 v[176:177], v[4:5], v[130:131]
	v_mul_f64_e32 v[130:131], v[6:7], v[130:131]
	s_wait_loadcnt_dscnt 0x700
	v_mul_f64_e32 v[126:127], v[8:9], v[134:135]
	v_mul_f64_e32 v[134:135], v[10:11], v[134:135]
	v_add_f64_e32 v[12:13], v[14:15], v[12:13]
	v_add_f64_e32 v[14:15], v[164:165], v[182:183]
	v_fmac_f64_e32 v[176:177], v[6:7], v[128:129]
	v_fma_f64 v[128:129], v[4:5], v[128:129], -v[130:131]
	v_fmac_f64_e32 v[126:127], v[10:11], v[132:133]
	v_fma_f64 v[8:9], v[8:9], v[132:133], -v[134:135]
	v_add_f64_e32 v[124:125], v[12:13], v[124:125]
	v_add_f64_e32 v[130:131], v[14:15], v[166:167]
	ds_load_b128 v[4:7], v2 offset:1584
	ds_load_b128 v[12:15], v2 offset:1600
	s_wait_loadcnt_dscnt 0x601
	v_mul_f64_e32 v[164:165], v[4:5], v[138:139]
	v_mul_f64_e32 v[138:139], v[6:7], v[138:139]
	v_add_f64_e32 v[10:11], v[124:125], v[128:129]
	v_add_f64_e32 v[124:125], v[130:131], v[176:177]
	s_wait_loadcnt_dscnt 0x500
	v_mul_f64_e32 v[128:129], v[12:13], v[142:143]
	v_mul_f64_e32 v[130:131], v[14:15], v[142:143]
	v_fmac_f64_e32 v[164:165], v[6:7], v[136:137]
	v_fma_f64 v[132:133], v[4:5], v[136:137], -v[138:139]
	v_add_f64_e32 v[134:135], v[10:11], v[8:9]
	v_add_f64_e32 v[124:125], v[124:125], v[126:127]
	ds_load_b128 v[4:7], v2 offset:1616
	ds_load_b128 v[8:11], v2 offset:1632
	v_fmac_f64_e32 v[128:129], v[14:15], v[140:141]
	v_fma_f64 v[12:13], v[12:13], v[140:141], -v[130:131]
	s_wait_loadcnt_dscnt 0x401
	v_mul_f64_e32 v[126:127], v[4:5], v[146:147]
	v_mul_f64_e32 v[136:137], v[6:7], v[146:147]
	s_wait_loadcnt_dscnt 0x300
	v_mul_f64_e32 v[130:131], v[8:9], v[150:151]
	v_add_f64_e32 v[14:15], v[134:135], v[132:133]
	v_add_f64_e32 v[124:125], v[124:125], v[164:165]
	v_mul_f64_e32 v[132:133], v[10:11], v[150:151]
	v_fmac_f64_e32 v[126:127], v[6:7], v[144:145]
	v_fma_f64 v[134:135], v[4:5], v[144:145], -v[136:137]
	v_fmac_f64_e32 v[130:131], v[10:11], v[148:149]
	v_add_f64_e32 v[136:137], v[14:15], v[12:13]
	v_add_f64_e32 v[124:125], v[124:125], v[128:129]
	ds_load_b128 v[4:7], v2 offset:1648
	ds_load_b128 v[12:15], v2 offset:1664
	v_fma_f64 v[8:9], v[8:9], v[148:149], -v[132:133]
	s_wait_loadcnt_dscnt 0x201
	v_mul_f64_e32 v[128:129], v[4:5], v[158:159]
	v_mul_f64_e32 v[138:139], v[6:7], v[158:159]
	s_wait_loadcnt_dscnt 0x100
	v_mul_f64_e32 v[132:133], v[14:15], v[170:171]
	v_add_f64_e32 v[10:11], v[136:137], v[134:135]
	v_add_f64_e32 v[124:125], v[124:125], v[126:127]
	v_mul_f64_e32 v[126:127], v[12:13], v[170:171]
	v_fmac_f64_e32 v[128:129], v[6:7], v[156:157]
	v_fma_f64 v[134:135], v[4:5], v[156:157], -v[138:139]
	ds_load_b128 v[4:7], v2 offset:1680
	v_fma_f64 v[12:13], v[12:13], v[168:169], -v[132:133]
	v_add_f64_e32 v[8:9], v[10:11], v[8:9]
	v_add_f64_e32 v[10:11], v[124:125], v[130:131]
	v_fmac_f64_e32 v[126:127], v[14:15], v[168:169]
	s_wait_loadcnt_dscnt 0x0
	v_mul_f64_e32 v[124:125], v[4:5], v[154:155]
	v_mul_f64_e32 v[130:131], v[6:7], v[154:155]
	v_add_f64_e32 v[8:9], v[8:9], v[134:135]
	v_add_f64_e32 v[10:11], v[10:11], v[128:129]
	s_delay_alu instid0(VALU_DEP_4) | instskip(NEXT) | instid1(VALU_DEP_4)
	v_fmac_f64_e32 v[124:125], v[6:7], v[152:153]
	v_fma_f64 v[4:5], v[4:5], v[152:153], -v[130:131]
	s_delay_alu instid0(VALU_DEP_4) | instskip(NEXT) | instid1(VALU_DEP_4)
	v_add_f64_e32 v[6:7], v[8:9], v[12:13]
	v_add_f64_e32 v[8:9], v[10:11], v[126:127]
	s_delay_alu instid0(VALU_DEP_2) | instskip(NEXT) | instid1(VALU_DEP_2)
	v_add_f64_e32 v[4:5], v[6:7], v[4:5]
	v_add_f64_e32 v[6:7], v[8:9], v[124:125]
	s_delay_alu instid0(VALU_DEP_2) | instskip(NEXT) | instid1(VALU_DEP_2)
	v_add_f64_e64 v[4:5], v[160:161], -v[4:5]
	v_add_f64_e64 v[6:7], v[162:163], -v[6:7]
	scratch_store_b128 off, v[4:7], off offset:240
	s_wait_xcnt 0x0
	v_cmpx_lt_u32_e32 14, v1
	s_cbranch_execz .LBB52_303
; %bb.302:
	scratch_load_b128 v[6:9], off, s64
	v_dual_mov_b32 v3, v2 :: v_dual_mov_b32 v4, v2
	v_mov_b32_e32 v5, v2
	scratch_store_b128 off, v[2:5], off offset:224
	s_wait_loadcnt 0x0
	ds_store_b128 v122, v[6:9]
.LBB52_303:
	s_wait_xcnt 0x0
	s_or_b32 exec_lo, exec_lo, s2
	s_wait_storecnt_dscnt 0x0
	s_barrier_signal -1
	s_barrier_wait -1
	s_clause 0x9
	scratch_load_b128 v[4:7], off, off offset:240
	scratch_load_b128 v[8:11], off, off offset:256
	scratch_load_b128 v[12:15], off, off offset:272
	scratch_load_b128 v[124:127], off, off offset:288
	scratch_load_b128 v[128:131], off, off offset:304
	scratch_load_b128 v[132:135], off, off offset:320
	scratch_load_b128 v[136:139], off, off offset:336
	scratch_load_b128 v[140:143], off, off offset:352
	scratch_load_b128 v[144:147], off, off offset:368
	scratch_load_b128 v[148:151], off, off offset:384
	ds_load_b128 v[152:155], v2 offset:1088
	ds_load_b128 v[160:163], v2 offset:1104
	s_clause 0x2
	scratch_load_b128 v[156:159], off, off offset:400
	scratch_load_b128 v[164:167], off, off offset:224
	;; [unrolled: 1-line block ×3, first 2 shown]
	s_mov_b32 s2, exec_lo
	s_wait_loadcnt_dscnt 0xc01
	v_mul_f64_e32 v[172:173], v[154:155], v[6:7]
	v_mul_f64_e32 v[176:177], v[152:153], v[6:7]
	s_wait_loadcnt_dscnt 0xb00
	v_mul_f64_e32 v[178:179], v[160:161], v[10:11]
	v_mul_f64_e32 v[10:11], v[162:163], v[10:11]
	s_delay_alu instid0(VALU_DEP_4) | instskip(NEXT) | instid1(VALU_DEP_4)
	v_fma_f64 v[180:181], v[152:153], v[4:5], -v[172:173]
	v_fmac_f64_e32 v[176:177], v[154:155], v[4:5]
	ds_load_b128 v[4:7], v2 offset:1120
	ds_load_b128 v[152:155], v2 offset:1136
	scratch_load_b128 v[172:175], off, off offset:432
	v_fmac_f64_e32 v[178:179], v[162:163], v[8:9]
	v_fma_f64 v[160:161], v[160:161], v[8:9], -v[10:11]
	scratch_load_b128 v[8:11], off, off offset:448
	s_wait_loadcnt_dscnt 0xc01
	v_mul_f64_e32 v[182:183], v[4:5], v[14:15]
	v_mul_f64_e32 v[14:15], v[6:7], v[14:15]
	v_add_f64_e32 v[162:163], 0, v[180:181]
	v_add_f64_e32 v[176:177], 0, v[176:177]
	s_wait_loadcnt_dscnt 0xb00
	v_mul_f64_e32 v[180:181], v[152:153], v[126:127]
	v_mul_f64_e32 v[126:127], v[154:155], v[126:127]
	v_fmac_f64_e32 v[182:183], v[6:7], v[12:13]
	v_fma_f64 v[184:185], v[4:5], v[12:13], -v[14:15]
	ds_load_b128 v[4:7], v2 offset:1152
	ds_load_b128 v[12:15], v2 offset:1168
	v_add_f64_e32 v[186:187], v[162:163], v[160:161]
	v_add_f64_e32 v[176:177], v[176:177], v[178:179]
	scratch_load_b128 v[160:163], off, off offset:464
	v_fmac_f64_e32 v[180:181], v[154:155], v[124:125]
	v_fma_f64 v[152:153], v[152:153], v[124:125], -v[126:127]
	scratch_load_b128 v[124:127], off, off offset:480
	s_wait_loadcnt_dscnt 0xc01
	v_mul_f64_e32 v[178:179], v[4:5], v[130:131]
	v_mul_f64_e32 v[130:131], v[6:7], v[130:131]
	v_add_f64_e32 v[154:155], v[186:187], v[184:185]
	v_add_f64_e32 v[176:177], v[176:177], v[182:183]
	s_wait_loadcnt_dscnt 0xb00
	v_mul_f64_e32 v[182:183], v[12:13], v[134:135]
	v_mul_f64_e32 v[134:135], v[14:15], v[134:135]
	v_fmac_f64_e32 v[178:179], v[6:7], v[128:129]
	v_fma_f64 v[184:185], v[4:5], v[128:129], -v[130:131]
	ds_load_b128 v[4:7], v2 offset:1184
	ds_load_b128 v[128:131], v2 offset:1200
	v_add_f64_e32 v[186:187], v[154:155], v[152:153]
	v_add_f64_e32 v[176:177], v[176:177], v[180:181]
	scratch_load_b128 v[152:155], off, off offset:496
	s_wait_loadcnt_dscnt 0xb01
	v_mul_f64_e32 v[180:181], v[4:5], v[138:139]
	v_mul_f64_e32 v[138:139], v[6:7], v[138:139]
	v_fmac_f64_e32 v[182:183], v[14:15], v[132:133]
	v_fma_f64 v[132:133], v[12:13], v[132:133], -v[134:135]
	scratch_load_b128 v[12:15], off, off offset:512
	v_add_f64_e32 v[134:135], v[186:187], v[184:185]
	v_add_f64_e32 v[176:177], v[176:177], v[178:179]
	s_wait_loadcnt_dscnt 0xb00
	v_mul_f64_e32 v[178:179], v[128:129], v[142:143]
	v_mul_f64_e32 v[142:143], v[130:131], v[142:143]
	v_fmac_f64_e32 v[180:181], v[6:7], v[136:137]
	v_fma_f64 v[184:185], v[4:5], v[136:137], -v[138:139]
	v_add_f64_e32 v[186:187], v[134:135], v[132:133]
	v_add_f64_e32 v[176:177], v[176:177], v[182:183]
	ds_load_b128 v[4:7], v2 offset:1216
	ds_load_b128 v[132:135], v2 offset:1232
	scratch_load_b128 v[136:139], off, off offset:528
	v_fmac_f64_e32 v[178:179], v[130:131], v[140:141]
	v_fma_f64 v[140:141], v[128:129], v[140:141], -v[142:143]
	scratch_load_b128 v[128:131], off, off offset:544
	s_wait_loadcnt_dscnt 0xc01
	v_mul_f64_e32 v[182:183], v[4:5], v[146:147]
	v_mul_f64_e32 v[146:147], v[6:7], v[146:147]
	v_add_f64_e32 v[142:143], v[186:187], v[184:185]
	v_add_f64_e32 v[176:177], v[176:177], v[180:181]
	s_wait_loadcnt_dscnt 0xb00
	v_mul_f64_e32 v[180:181], v[132:133], v[150:151]
	v_mul_f64_e32 v[150:151], v[134:135], v[150:151]
	v_fmac_f64_e32 v[182:183], v[6:7], v[144:145]
	v_fma_f64 v[184:185], v[4:5], v[144:145], -v[146:147]
	v_add_f64_e32 v[186:187], v[142:143], v[140:141]
	v_add_f64_e32 v[176:177], v[176:177], v[178:179]
	ds_load_b128 v[4:7], v2 offset:1248
	ds_load_b128 v[140:143], v2 offset:1264
	scratch_load_b128 v[144:147], off, off offset:560
	v_fmac_f64_e32 v[180:181], v[134:135], v[148:149]
	v_fma_f64 v[148:149], v[132:133], v[148:149], -v[150:151]
	scratch_load_b128 v[132:135], off, off offset:576
	s_wait_loadcnt_dscnt 0xc01
	v_mul_f64_e32 v[178:179], v[4:5], v[158:159]
	v_mul_f64_e32 v[158:159], v[6:7], v[158:159]
	;; [unrolled: 18-line block ×5, first 2 shown]
	v_add_f64_e32 v[170:171], v[186:187], v[184:185]
	v_add_f64_e32 v[176:177], v[176:177], v[182:183]
	s_wait_loadcnt_dscnt 0xa00
	v_mul_f64_e32 v[182:183], v[148:149], v[14:15]
	v_mul_f64_e32 v[14:15], v[150:151], v[14:15]
	v_fmac_f64_e32 v[178:179], v[6:7], v[152:153]
	v_fma_f64 v[184:185], v[4:5], v[152:153], -v[154:155]
	ds_load_b128 v[4:7], v2 offset:1376
	ds_load_b128 v[152:155], v2 offset:1392
	v_add_f64_e32 v[186:187], v[170:171], v[168:169]
	v_add_f64_e32 v[176:177], v[176:177], v[180:181]
	scratch_load_b128 v[168:171], off, off offset:688
	v_fmac_f64_e32 v[182:183], v[150:151], v[12:13]
	v_fma_f64 v[148:149], v[148:149], v[12:13], -v[14:15]
	scratch_load_b128 v[12:15], off, off offset:704
	s_wait_loadcnt_dscnt 0xb01
	v_mul_f64_e32 v[180:181], v[4:5], v[138:139]
	v_mul_f64_e32 v[138:139], v[6:7], v[138:139]
	v_add_f64_e32 v[150:151], v[186:187], v[184:185]
	v_add_f64_e32 v[176:177], v[176:177], v[178:179]
	s_wait_loadcnt_dscnt 0xa00
	v_mul_f64_e32 v[178:179], v[152:153], v[130:131]
	v_mul_f64_e32 v[130:131], v[154:155], v[130:131]
	v_fmac_f64_e32 v[180:181], v[6:7], v[136:137]
	v_fma_f64 v[184:185], v[4:5], v[136:137], -v[138:139]
	ds_load_b128 v[4:7], v2 offset:1408
	ds_load_b128 v[136:139], v2 offset:1424
	v_add_f64_e32 v[186:187], v[150:151], v[148:149]
	v_add_f64_e32 v[176:177], v[176:177], v[182:183]
	scratch_load_b128 v[148:151], off, off offset:720
	s_wait_loadcnt_dscnt 0xa01
	v_mul_f64_e32 v[182:183], v[4:5], v[146:147]
	v_mul_f64_e32 v[146:147], v[6:7], v[146:147]
	v_fmac_f64_e32 v[178:179], v[154:155], v[128:129]
	v_fma_f64 v[152:153], v[152:153], v[128:129], -v[130:131]
	scratch_load_b128 v[128:131], off, off offset:736
	v_add_f64_e32 v[154:155], v[186:187], v[184:185]
	v_add_f64_e32 v[176:177], v[176:177], v[180:181]
	s_wait_loadcnt_dscnt 0xa00
	v_mul_f64_e32 v[180:181], v[136:137], v[134:135]
	v_mul_f64_e32 v[134:135], v[138:139], v[134:135]
	v_fmac_f64_e32 v[182:183], v[6:7], v[144:145]
	v_fma_f64 v[184:185], v[4:5], v[144:145], -v[146:147]
	ds_load_b128 v[4:7], v2 offset:1440
	ds_load_b128 v[144:147], v2 offset:1456
	v_add_f64_e32 v[186:187], v[154:155], v[152:153]
	v_add_f64_e32 v[176:177], v[176:177], v[178:179]
	scratch_load_b128 v[152:155], off, off offset:752
	s_wait_loadcnt_dscnt 0xa01
	v_mul_f64_e32 v[178:179], v[4:5], v[158:159]
	v_mul_f64_e32 v[158:159], v[6:7], v[158:159]
	v_fmac_f64_e32 v[180:181], v[138:139], v[132:133]
	v_fma_f64 v[136:137], v[136:137], v[132:133], -v[134:135]
	scratch_load_b128 v[132:135], off, off offset:768
	v_add_f64_e32 v[138:139], v[186:187], v[184:185]
	v_add_f64_e32 v[176:177], v[176:177], v[182:183]
	s_wait_loadcnt_dscnt 0xa00
	v_mul_f64_e32 v[182:183], v[144:145], v[142:143]
	v_mul_f64_e32 v[142:143], v[146:147], v[142:143]
	v_fmac_f64_e32 v[178:179], v[6:7], v[156:157]
	v_fma_f64 v[184:185], v[4:5], v[156:157], -v[158:159]
	v_add_f64_e32 v[186:187], v[138:139], v[136:137]
	v_add_f64_e32 v[176:177], v[176:177], v[180:181]
	ds_load_b128 v[4:7], v2 offset:1472
	ds_load_b128 v[136:139], v2 offset:1488
	scratch_load_b128 v[156:159], off, off offset:784
	v_fmac_f64_e32 v[182:183], v[146:147], v[140:141]
	v_fma_f64 v[144:145], v[144:145], v[140:141], -v[142:143]
	scratch_load_b128 v[140:143], off, off offset:800
	s_wait_loadcnt_dscnt 0xb01
	v_mul_f64_e32 v[180:181], v[4:5], v[174:175]
	v_mul_f64_e32 v[174:175], v[6:7], v[174:175]
	v_add_f64_e32 v[146:147], v[186:187], v[184:185]
	v_add_f64_e32 v[176:177], v[176:177], v[178:179]
	s_wait_loadcnt_dscnt 0xa00
	v_mul_f64_e32 v[178:179], v[136:137], v[10:11]
	v_mul_f64_e32 v[10:11], v[138:139], v[10:11]
	v_fmac_f64_e32 v[180:181], v[6:7], v[172:173]
	v_fma_f64 v[184:185], v[4:5], v[172:173], -v[174:175]
	v_add_f64_e32 v[186:187], v[146:147], v[144:145]
	v_add_f64_e32 v[176:177], v[176:177], v[182:183]
	ds_load_b128 v[4:7], v2 offset:1504
	ds_load_b128 v[144:147], v2 offset:1520
	scratch_load_b128 v[172:175], off, off offset:816
	v_fmac_f64_e32 v[178:179], v[138:139], v[8:9]
	v_fma_f64 v[136:137], v[136:137], v[8:9], -v[10:11]
	scratch_load_b128 v[8:11], off, off offset:832
	s_wait_loadcnt_dscnt 0xb01
	v_mul_f64_e32 v[182:183], v[4:5], v[162:163]
	v_mul_f64_e32 v[162:163], v[6:7], v[162:163]
	v_add_f64_e32 v[138:139], v[186:187], v[184:185]
	v_add_f64_e32 v[176:177], v[176:177], v[180:181]
	s_wait_loadcnt_dscnt 0xa00
	v_mul_f64_e32 v[180:181], v[144:145], v[126:127]
	v_mul_f64_e32 v[126:127], v[146:147], v[126:127]
	v_fmac_f64_e32 v[182:183], v[6:7], v[160:161]
	v_fma_f64 v[160:161], v[4:5], v[160:161], -v[162:163]
	v_add_f64_e32 v[162:163], v[138:139], v[136:137]
	v_add_f64_e32 v[176:177], v[176:177], v[178:179]
	ds_load_b128 v[4:7], v2 offset:1536
	ds_load_b128 v[136:139], v2 offset:1552
	v_fmac_f64_e32 v[180:181], v[146:147], v[124:125]
	v_fma_f64 v[124:125], v[144:145], v[124:125], -v[126:127]
	s_wait_loadcnt_dscnt 0x901
	v_mul_f64_e32 v[178:179], v[4:5], v[170:171]
	v_mul_f64_e32 v[170:171], v[6:7], v[170:171]
	s_wait_loadcnt_dscnt 0x800
	v_mul_f64_e32 v[146:147], v[136:137], v[14:15]
	v_mul_f64_e32 v[14:15], v[138:139], v[14:15]
	v_add_f64_e32 v[126:127], v[162:163], v[160:161]
	v_add_f64_e32 v[144:145], v[176:177], v[182:183]
	v_fmac_f64_e32 v[178:179], v[6:7], v[168:169]
	v_fma_f64 v[160:161], v[4:5], v[168:169], -v[170:171]
	v_fmac_f64_e32 v[146:147], v[138:139], v[12:13]
	v_fma_f64 v[12:13], v[136:137], v[12:13], -v[14:15]
	v_add_f64_e32 v[162:163], v[126:127], v[124:125]
	v_add_f64_e32 v[144:145], v[144:145], v[180:181]
	ds_load_b128 v[4:7], v2 offset:1568
	ds_load_b128 v[124:127], v2 offset:1584
	s_wait_loadcnt_dscnt 0x701
	v_mul_f64_e32 v[168:169], v[4:5], v[150:151]
	v_mul_f64_e32 v[150:151], v[6:7], v[150:151]
	s_wait_loadcnt_dscnt 0x600
	v_mul_f64_e32 v[138:139], v[124:125], v[130:131]
	v_mul_f64_e32 v[130:131], v[126:127], v[130:131]
	v_add_f64_e32 v[14:15], v[162:163], v[160:161]
	v_add_f64_e32 v[136:137], v[144:145], v[178:179]
	v_fmac_f64_e32 v[168:169], v[6:7], v[148:149]
	v_fma_f64 v[144:145], v[4:5], v[148:149], -v[150:151]
	v_fmac_f64_e32 v[138:139], v[126:127], v[128:129]
	v_fma_f64 v[124:125], v[124:125], v[128:129], -v[130:131]
	v_add_f64_e32 v[148:149], v[14:15], v[12:13]
	v_add_f64_e32 v[136:137], v[136:137], v[146:147]
	ds_load_b128 v[4:7], v2 offset:1600
	ds_load_b128 v[12:15], v2 offset:1616
	;; [unrolled: 16-line block ×4, first 2 shown]
	s_wait_loadcnt_dscnt 0x101
	v_mul_f64_e32 v[2:3], v[4:5], v[174:175]
	v_mul_f64_e32 v[130:131], v[6:7], v[174:175]
	s_wait_loadcnt_dscnt 0x0
	v_mul_f64_e32 v[134:135], v[12:13], v[10:11]
	v_mul_f64_e32 v[10:11], v[14:15], v[10:11]
	v_add_f64_e32 v[126:127], v[142:143], v[136:137]
	v_add_f64_e32 v[128:129], v[128:129], v[138:139]
	v_fmac_f64_e32 v[2:3], v[6:7], v[172:173]
	v_fma_f64 v[4:5], v[4:5], v[172:173], -v[130:131]
	v_fmac_f64_e32 v[134:135], v[14:15], v[8:9]
	v_fma_f64 v[8:9], v[12:13], v[8:9], -v[10:11]
	v_add_f64_e32 v[6:7], v[126:127], v[124:125]
	v_add_f64_e32 v[124:125], v[128:129], v[132:133]
	s_delay_alu instid0(VALU_DEP_2) | instskip(NEXT) | instid1(VALU_DEP_2)
	v_add_f64_e32 v[4:5], v[6:7], v[4:5]
	v_add_f64_e32 v[2:3], v[124:125], v[2:3]
	s_delay_alu instid0(VALU_DEP_2) | instskip(NEXT) | instid1(VALU_DEP_2)
	v_add_f64_e32 v[4:5], v[4:5], v[8:9]
	v_add_f64_e32 v[6:7], v[2:3], v[134:135]
	s_delay_alu instid0(VALU_DEP_2) | instskip(NEXT) | instid1(VALU_DEP_2)
	v_add_f64_e64 v[2:3], v[164:165], -v[4:5]
	v_add_f64_e64 v[4:5], v[166:167], -v[6:7]
	scratch_store_b128 off, v[2:5], off offset:224
	s_wait_xcnt 0x0
	v_cmpx_lt_u32_e32 13, v1
	s_cbranch_execz .LBB52_305
; %bb.304:
	scratch_load_b128 v[2:5], off, s63
	v_mov_b32_e32 v6, 0
	s_delay_alu instid0(VALU_DEP_1)
	v_dual_mov_b32 v7, v6 :: v_dual_mov_b32 v8, v6
	v_mov_b32_e32 v9, v6
	scratch_store_b128 off, v[6:9], off offset:208
	s_wait_loadcnt 0x0
	ds_store_b128 v122, v[2:5]
.LBB52_305:
	s_wait_xcnt 0x0
	s_or_b32 exec_lo, exec_lo, s2
	s_wait_storecnt_dscnt 0x0
	s_barrier_signal -1
	s_barrier_wait -1
	s_clause 0x9
	scratch_load_b128 v[4:7], off, off offset:224
	scratch_load_b128 v[8:11], off, off offset:240
	scratch_load_b128 v[12:15], off, off offset:256
	scratch_load_b128 v[124:127], off, off offset:272
	scratch_load_b128 v[128:131], off, off offset:288
	scratch_load_b128 v[132:135], off, off offset:304
	scratch_load_b128 v[136:139], off, off offset:320
	scratch_load_b128 v[140:143], off, off offset:336
	scratch_load_b128 v[144:147], off, off offset:352
	scratch_load_b128 v[148:151], off, off offset:368
	v_mov_b32_e32 v2, 0
	s_mov_b32 s2, exec_lo
	ds_load_b128 v[152:155], v2 offset:1072
	s_clause 0x2
	scratch_load_b128 v[156:159], off, off offset:384
	scratch_load_b128 v[160:163], off, off offset:208
	;; [unrolled: 1-line block ×3, first 2 shown]
	s_wait_loadcnt_dscnt 0xc00
	v_mul_f64_e32 v[172:173], v[154:155], v[6:7]
	v_mul_f64_e32 v[176:177], v[152:153], v[6:7]
	ds_load_b128 v[164:167], v2 offset:1088
	v_fma_f64 v[180:181], v[152:153], v[4:5], -v[172:173]
	v_fmac_f64_e32 v[176:177], v[154:155], v[4:5]
	ds_load_b128 v[4:7], v2 offset:1104
	s_wait_loadcnt_dscnt 0xb01
	v_mul_f64_e32 v[178:179], v[164:165], v[10:11]
	v_mul_f64_e32 v[10:11], v[166:167], v[10:11]
	scratch_load_b128 v[152:155], off, off offset:416
	ds_load_b128 v[172:175], v2 offset:1120
	s_wait_loadcnt_dscnt 0xb01
	v_mul_f64_e32 v[182:183], v[4:5], v[14:15]
	v_mul_f64_e32 v[14:15], v[6:7], v[14:15]
	v_add_f64_e32 v[176:177], 0, v[176:177]
	v_fmac_f64_e32 v[178:179], v[166:167], v[8:9]
	v_fma_f64 v[164:165], v[164:165], v[8:9], -v[10:11]
	v_add_f64_e32 v[166:167], 0, v[180:181]
	scratch_load_b128 v[8:11], off, off offset:432
	v_fmac_f64_e32 v[182:183], v[6:7], v[12:13]
	v_fma_f64 v[184:185], v[4:5], v[12:13], -v[14:15]
	ds_load_b128 v[4:7], v2 offset:1136
	s_wait_loadcnt_dscnt 0xb01
	v_mul_f64_e32 v[180:181], v[172:173], v[126:127]
	v_mul_f64_e32 v[126:127], v[174:175], v[126:127]
	scratch_load_b128 v[12:15], off, off offset:448
	v_add_f64_e32 v[176:177], v[176:177], v[178:179]
	v_add_f64_e32 v[186:187], v[166:167], v[164:165]
	ds_load_b128 v[164:167], v2 offset:1152
	s_wait_loadcnt_dscnt 0xb01
	v_mul_f64_e32 v[178:179], v[4:5], v[130:131]
	v_mul_f64_e32 v[130:131], v[6:7], v[130:131]
	v_fmac_f64_e32 v[180:181], v[174:175], v[124:125]
	v_fma_f64 v[172:173], v[172:173], v[124:125], -v[126:127]
	scratch_load_b128 v[124:127], off, off offset:464
	v_add_f64_e32 v[176:177], v[176:177], v[182:183]
	v_add_f64_e32 v[174:175], v[186:187], v[184:185]
	v_fmac_f64_e32 v[178:179], v[6:7], v[128:129]
	v_fma_f64 v[184:185], v[4:5], v[128:129], -v[130:131]
	ds_load_b128 v[4:7], v2 offset:1168
	s_wait_loadcnt_dscnt 0xb01
	v_mul_f64_e32 v[182:183], v[164:165], v[134:135]
	v_mul_f64_e32 v[134:135], v[166:167], v[134:135]
	scratch_load_b128 v[128:131], off, off offset:480
	v_add_f64_e32 v[176:177], v[176:177], v[180:181]
	s_wait_loadcnt_dscnt 0xb00
	v_mul_f64_e32 v[180:181], v[4:5], v[138:139]
	v_add_f64_e32 v[186:187], v[174:175], v[172:173]
	v_mul_f64_e32 v[138:139], v[6:7], v[138:139]
	ds_load_b128 v[172:175], v2 offset:1184
	v_fmac_f64_e32 v[182:183], v[166:167], v[132:133]
	v_fma_f64 v[164:165], v[164:165], v[132:133], -v[134:135]
	scratch_load_b128 v[132:135], off, off offset:496
	v_add_f64_e32 v[176:177], v[176:177], v[178:179]
	v_fmac_f64_e32 v[180:181], v[6:7], v[136:137]
	v_add_f64_e32 v[166:167], v[186:187], v[184:185]
	v_fma_f64 v[184:185], v[4:5], v[136:137], -v[138:139]
	ds_load_b128 v[4:7], v2 offset:1200
	s_wait_loadcnt_dscnt 0xb01
	v_mul_f64_e32 v[178:179], v[172:173], v[142:143]
	v_mul_f64_e32 v[142:143], v[174:175], v[142:143]
	scratch_load_b128 v[136:139], off, off offset:512
	v_add_f64_e32 v[176:177], v[176:177], v[182:183]
	s_wait_loadcnt_dscnt 0xb00
	v_mul_f64_e32 v[182:183], v[4:5], v[146:147]
	v_add_f64_e32 v[186:187], v[166:167], v[164:165]
	v_mul_f64_e32 v[146:147], v[6:7], v[146:147]
	ds_load_b128 v[164:167], v2 offset:1216
	v_fmac_f64_e32 v[178:179], v[174:175], v[140:141]
	v_fma_f64 v[172:173], v[172:173], v[140:141], -v[142:143]
	scratch_load_b128 v[140:143], off, off offset:528
	v_add_f64_e32 v[176:177], v[176:177], v[180:181]
	v_fmac_f64_e32 v[182:183], v[6:7], v[144:145]
	v_add_f64_e32 v[174:175], v[186:187], v[184:185]
	v_fma_f64 v[184:185], v[4:5], v[144:145], -v[146:147]
	ds_load_b128 v[4:7], v2 offset:1232
	s_wait_loadcnt_dscnt 0xb01
	v_mul_f64_e32 v[180:181], v[164:165], v[150:151]
	v_mul_f64_e32 v[150:151], v[166:167], v[150:151]
	scratch_load_b128 v[144:147], off, off offset:544
	v_add_f64_e32 v[176:177], v[176:177], v[178:179]
	s_wait_loadcnt_dscnt 0xb00
	v_mul_f64_e32 v[178:179], v[4:5], v[158:159]
	v_add_f64_e32 v[186:187], v[174:175], v[172:173]
	v_mul_f64_e32 v[158:159], v[6:7], v[158:159]
	ds_load_b128 v[172:175], v2 offset:1248
	v_fmac_f64_e32 v[180:181], v[166:167], v[148:149]
	v_fma_f64 v[164:165], v[164:165], v[148:149], -v[150:151]
	scratch_load_b128 v[148:151], off, off offset:560
	v_add_f64_e32 v[176:177], v[176:177], v[182:183]
	v_fmac_f64_e32 v[178:179], v[6:7], v[156:157]
	v_add_f64_e32 v[166:167], v[186:187], v[184:185]
	v_fma_f64 v[184:185], v[4:5], v[156:157], -v[158:159]
	ds_load_b128 v[4:7], v2 offset:1264
	s_wait_loadcnt_dscnt 0xa01
	v_mul_f64_e32 v[182:183], v[172:173], v[170:171]
	v_mul_f64_e32 v[170:171], v[174:175], v[170:171]
	scratch_load_b128 v[156:159], off, off offset:576
	v_add_f64_e32 v[176:177], v[176:177], v[180:181]
	v_add_f64_e32 v[186:187], v[166:167], v[164:165]
	s_wait_loadcnt_dscnt 0xa00
	v_mul_f64_e32 v[180:181], v[4:5], v[154:155]
	v_mul_f64_e32 v[154:155], v[6:7], v[154:155]
	v_fmac_f64_e32 v[182:183], v[174:175], v[168:169]
	v_fma_f64 v[172:173], v[172:173], v[168:169], -v[170:171]
	ds_load_b128 v[164:167], v2 offset:1280
	scratch_load_b128 v[168:171], off, off offset:592
	v_add_f64_e32 v[176:177], v[176:177], v[178:179]
	v_add_f64_e32 v[174:175], v[186:187], v[184:185]
	v_fmac_f64_e32 v[180:181], v[6:7], v[152:153]
	v_fma_f64 v[184:185], v[4:5], v[152:153], -v[154:155]
	ds_load_b128 v[4:7], v2 offset:1296
	s_wait_loadcnt_dscnt 0xa01
	v_mul_f64_e32 v[178:179], v[164:165], v[10:11]
	v_mul_f64_e32 v[10:11], v[166:167], v[10:11]
	scratch_load_b128 v[152:155], off, off offset:608
	v_add_f64_e32 v[176:177], v[176:177], v[182:183]
	s_wait_loadcnt_dscnt 0xa00
	v_mul_f64_e32 v[182:183], v[4:5], v[14:15]
	v_add_f64_e32 v[186:187], v[174:175], v[172:173]
	v_mul_f64_e32 v[14:15], v[6:7], v[14:15]
	ds_load_b128 v[172:175], v2 offset:1312
	v_fmac_f64_e32 v[178:179], v[166:167], v[8:9]
	v_fma_f64 v[164:165], v[164:165], v[8:9], -v[10:11]
	scratch_load_b128 v[8:11], off, off offset:624
	v_add_f64_e32 v[176:177], v[176:177], v[180:181]
	v_fmac_f64_e32 v[182:183], v[6:7], v[12:13]
	v_add_f64_e32 v[166:167], v[186:187], v[184:185]
	v_fma_f64 v[184:185], v[4:5], v[12:13], -v[14:15]
	ds_load_b128 v[4:7], v2 offset:1328
	s_wait_loadcnt_dscnt 0xa01
	v_mul_f64_e32 v[180:181], v[172:173], v[126:127]
	v_mul_f64_e32 v[126:127], v[174:175], v[126:127]
	scratch_load_b128 v[12:15], off, off offset:640
	v_add_f64_e32 v[176:177], v[176:177], v[178:179]
	s_wait_loadcnt_dscnt 0xa00
	v_mul_f64_e32 v[178:179], v[4:5], v[130:131]
	v_add_f64_e32 v[186:187], v[166:167], v[164:165]
	v_mul_f64_e32 v[130:131], v[6:7], v[130:131]
	ds_load_b128 v[164:167], v2 offset:1344
	v_fmac_f64_e32 v[180:181], v[174:175], v[124:125]
	v_fma_f64 v[172:173], v[172:173], v[124:125], -v[126:127]
	scratch_load_b128 v[124:127], off, off offset:656
	v_add_f64_e32 v[176:177], v[176:177], v[182:183]
	v_fmac_f64_e32 v[178:179], v[6:7], v[128:129]
	v_add_f64_e32 v[174:175], v[186:187], v[184:185]
	;; [unrolled: 18-line block ×7, first 2 shown]
	v_fma_f64 v[184:185], v[4:5], v[12:13], -v[14:15]
	ds_load_b128 v[4:7], v2 offset:1520
	s_wait_loadcnt_dscnt 0xa01
	v_mul_f64_e32 v[180:181], v[172:173], v[126:127]
	v_mul_f64_e32 v[126:127], v[174:175], v[126:127]
	scratch_load_b128 v[12:15], off, off offset:832
	v_add_f64_e32 v[176:177], v[176:177], v[178:179]
	s_wait_loadcnt_dscnt 0xa00
	v_mul_f64_e32 v[178:179], v[4:5], v[130:131]
	v_add_f64_e32 v[186:187], v[166:167], v[164:165]
	v_mul_f64_e32 v[130:131], v[6:7], v[130:131]
	ds_load_b128 v[164:167], v2 offset:1536
	v_fmac_f64_e32 v[180:181], v[174:175], v[124:125]
	v_fma_f64 v[124:125], v[172:173], v[124:125], -v[126:127]
	s_wait_loadcnt_dscnt 0x900
	v_mul_f64_e32 v[174:175], v[164:165], v[134:135]
	v_mul_f64_e32 v[134:135], v[166:167], v[134:135]
	v_add_f64_e32 v[172:173], v[176:177], v[182:183]
	v_fmac_f64_e32 v[178:179], v[6:7], v[128:129]
	v_add_f64_e32 v[126:127], v[186:187], v[184:185]
	v_fma_f64 v[128:129], v[4:5], v[128:129], -v[130:131]
	v_fmac_f64_e32 v[174:175], v[166:167], v[132:133]
	v_fma_f64 v[132:133], v[164:165], v[132:133], -v[134:135]
	v_add_f64_e32 v[172:173], v[172:173], v[180:181]
	v_add_f64_e32 v[130:131], v[126:127], v[124:125]
	ds_load_b128 v[4:7], v2 offset:1552
	ds_load_b128 v[124:127], v2 offset:1568
	s_wait_loadcnt_dscnt 0x801
	v_mul_f64_e32 v[176:177], v[4:5], v[138:139]
	v_mul_f64_e32 v[138:139], v[6:7], v[138:139]
	s_wait_loadcnt_dscnt 0x700
	v_mul_f64_e32 v[134:135], v[124:125], v[142:143]
	v_mul_f64_e32 v[142:143], v[126:127], v[142:143]
	v_add_f64_e32 v[128:129], v[130:131], v[128:129]
	v_add_f64_e32 v[130:131], v[172:173], v[178:179]
	v_fmac_f64_e32 v[176:177], v[6:7], v[136:137]
	v_fma_f64 v[136:137], v[4:5], v[136:137], -v[138:139]
	v_fmac_f64_e32 v[134:135], v[126:127], v[140:141]
	v_fma_f64 v[124:125], v[124:125], v[140:141], -v[142:143]
	v_add_f64_e32 v[132:133], v[128:129], v[132:133]
	v_add_f64_e32 v[138:139], v[130:131], v[174:175]
	ds_load_b128 v[4:7], v2 offset:1584
	ds_load_b128 v[128:131], v2 offset:1600
	s_wait_loadcnt_dscnt 0x601
	v_mul_f64_e32 v[164:165], v[4:5], v[146:147]
	v_mul_f64_e32 v[146:147], v[6:7], v[146:147]
	v_add_f64_e32 v[126:127], v[132:133], v[136:137]
	v_add_f64_e32 v[132:133], v[138:139], v[176:177]
	s_wait_loadcnt_dscnt 0x500
	v_mul_f64_e32 v[136:137], v[128:129], v[150:151]
	v_mul_f64_e32 v[138:139], v[130:131], v[150:151]
	v_fmac_f64_e32 v[164:165], v[6:7], v[144:145]
	v_fma_f64 v[140:141], v[4:5], v[144:145], -v[146:147]
	v_add_f64_e32 v[142:143], v[126:127], v[124:125]
	v_add_f64_e32 v[132:133], v[132:133], v[134:135]
	ds_load_b128 v[4:7], v2 offset:1616
	ds_load_b128 v[124:127], v2 offset:1632
	v_fmac_f64_e32 v[136:137], v[130:131], v[148:149]
	v_fma_f64 v[128:129], v[128:129], v[148:149], -v[138:139]
	s_wait_loadcnt_dscnt 0x401
	v_mul_f64_e32 v[134:135], v[4:5], v[158:159]
	v_mul_f64_e32 v[144:145], v[6:7], v[158:159]
	s_wait_loadcnt_dscnt 0x300
	v_mul_f64_e32 v[138:139], v[124:125], v[170:171]
	v_add_f64_e32 v[130:131], v[142:143], v[140:141]
	v_add_f64_e32 v[132:133], v[132:133], v[164:165]
	v_mul_f64_e32 v[140:141], v[126:127], v[170:171]
	v_fmac_f64_e32 v[134:135], v[6:7], v[156:157]
	v_fma_f64 v[142:143], v[4:5], v[156:157], -v[144:145]
	v_fmac_f64_e32 v[138:139], v[126:127], v[168:169]
	v_add_f64_e32 v[144:145], v[130:131], v[128:129]
	v_add_f64_e32 v[132:133], v[132:133], v[136:137]
	ds_load_b128 v[4:7], v2 offset:1648
	ds_load_b128 v[128:131], v2 offset:1664
	v_fma_f64 v[124:125], v[124:125], v[168:169], -v[140:141]
	s_wait_loadcnt_dscnt 0x201
	v_mul_f64_e32 v[136:137], v[4:5], v[154:155]
	v_mul_f64_e32 v[146:147], v[6:7], v[154:155]
	v_add_f64_e32 v[126:127], v[144:145], v[142:143]
	v_add_f64_e32 v[132:133], v[132:133], v[134:135]
	s_wait_loadcnt_dscnt 0x100
	v_mul_f64_e32 v[134:135], v[128:129], v[10:11]
	v_mul_f64_e32 v[10:11], v[130:131], v[10:11]
	v_fmac_f64_e32 v[136:137], v[6:7], v[152:153]
	v_fma_f64 v[140:141], v[4:5], v[152:153], -v[146:147]
	ds_load_b128 v[4:7], v2 offset:1680
	v_add_f64_e32 v[124:125], v[126:127], v[124:125]
	v_add_f64_e32 v[126:127], v[132:133], v[138:139]
	v_fmac_f64_e32 v[134:135], v[130:131], v[8:9]
	v_fma_f64 v[8:9], v[128:129], v[8:9], -v[10:11]
	s_wait_loadcnt_dscnt 0x0
	v_mul_f64_e32 v[132:133], v[4:5], v[14:15]
	v_mul_f64_e32 v[14:15], v[6:7], v[14:15]
	v_add_f64_e32 v[10:11], v[124:125], v[140:141]
	v_add_f64_e32 v[124:125], v[126:127], v[136:137]
	s_delay_alu instid0(VALU_DEP_4) | instskip(NEXT) | instid1(VALU_DEP_4)
	v_fmac_f64_e32 v[132:133], v[6:7], v[12:13]
	v_fma_f64 v[4:5], v[4:5], v[12:13], -v[14:15]
	s_delay_alu instid0(VALU_DEP_4) | instskip(NEXT) | instid1(VALU_DEP_4)
	v_add_f64_e32 v[6:7], v[10:11], v[8:9]
	v_add_f64_e32 v[8:9], v[124:125], v[134:135]
	s_delay_alu instid0(VALU_DEP_2) | instskip(NEXT) | instid1(VALU_DEP_2)
	v_add_f64_e32 v[4:5], v[6:7], v[4:5]
	v_add_f64_e32 v[6:7], v[8:9], v[132:133]
	s_delay_alu instid0(VALU_DEP_2) | instskip(NEXT) | instid1(VALU_DEP_2)
	v_add_f64_e64 v[4:5], v[160:161], -v[4:5]
	v_add_f64_e64 v[6:7], v[162:163], -v[6:7]
	scratch_store_b128 off, v[4:7], off offset:208
	s_wait_xcnt 0x0
	v_cmpx_lt_u32_e32 12, v1
	s_cbranch_execz .LBB52_307
; %bb.306:
	scratch_load_b128 v[6:9], off, s62
	v_dual_mov_b32 v3, v2 :: v_dual_mov_b32 v4, v2
	v_mov_b32_e32 v5, v2
	scratch_store_b128 off, v[2:5], off offset:192
	s_wait_loadcnt 0x0
	ds_store_b128 v122, v[6:9]
.LBB52_307:
	s_wait_xcnt 0x0
	s_or_b32 exec_lo, exec_lo, s2
	s_wait_storecnt_dscnt 0x0
	s_barrier_signal -1
	s_barrier_wait -1
	s_clause 0x9
	scratch_load_b128 v[4:7], off, off offset:208
	scratch_load_b128 v[8:11], off, off offset:224
	;; [unrolled: 1-line block ×10, first 2 shown]
	ds_load_b128 v[152:155], v2 offset:1056
	ds_load_b128 v[160:163], v2 offset:1072
	s_clause 0x2
	scratch_load_b128 v[156:159], off, off offset:368
	scratch_load_b128 v[164:167], off, off offset:192
	;; [unrolled: 1-line block ×3, first 2 shown]
	s_mov_b32 s2, exec_lo
	s_wait_loadcnt_dscnt 0xc01
	v_mul_f64_e32 v[172:173], v[154:155], v[6:7]
	v_mul_f64_e32 v[176:177], v[152:153], v[6:7]
	s_wait_loadcnt_dscnt 0xb00
	v_mul_f64_e32 v[178:179], v[160:161], v[10:11]
	v_mul_f64_e32 v[10:11], v[162:163], v[10:11]
	s_delay_alu instid0(VALU_DEP_4) | instskip(NEXT) | instid1(VALU_DEP_4)
	v_fma_f64 v[180:181], v[152:153], v[4:5], -v[172:173]
	v_fmac_f64_e32 v[176:177], v[154:155], v[4:5]
	ds_load_b128 v[4:7], v2 offset:1088
	ds_load_b128 v[152:155], v2 offset:1104
	scratch_load_b128 v[172:175], off, off offset:400
	v_fmac_f64_e32 v[178:179], v[162:163], v[8:9]
	v_fma_f64 v[160:161], v[160:161], v[8:9], -v[10:11]
	scratch_load_b128 v[8:11], off, off offset:416
	s_wait_loadcnt_dscnt 0xc01
	v_mul_f64_e32 v[182:183], v[4:5], v[14:15]
	v_mul_f64_e32 v[14:15], v[6:7], v[14:15]
	v_add_f64_e32 v[162:163], 0, v[180:181]
	v_add_f64_e32 v[176:177], 0, v[176:177]
	s_wait_loadcnt_dscnt 0xb00
	v_mul_f64_e32 v[180:181], v[152:153], v[126:127]
	v_mul_f64_e32 v[126:127], v[154:155], v[126:127]
	v_fmac_f64_e32 v[182:183], v[6:7], v[12:13]
	v_fma_f64 v[184:185], v[4:5], v[12:13], -v[14:15]
	ds_load_b128 v[4:7], v2 offset:1120
	ds_load_b128 v[12:15], v2 offset:1136
	v_add_f64_e32 v[186:187], v[162:163], v[160:161]
	v_add_f64_e32 v[176:177], v[176:177], v[178:179]
	scratch_load_b128 v[160:163], off, off offset:432
	v_fmac_f64_e32 v[180:181], v[154:155], v[124:125]
	v_fma_f64 v[152:153], v[152:153], v[124:125], -v[126:127]
	scratch_load_b128 v[124:127], off, off offset:448
	s_wait_loadcnt_dscnt 0xc01
	v_mul_f64_e32 v[178:179], v[4:5], v[130:131]
	v_mul_f64_e32 v[130:131], v[6:7], v[130:131]
	v_add_f64_e32 v[154:155], v[186:187], v[184:185]
	v_add_f64_e32 v[176:177], v[176:177], v[182:183]
	s_wait_loadcnt_dscnt 0xb00
	v_mul_f64_e32 v[182:183], v[12:13], v[134:135]
	v_mul_f64_e32 v[134:135], v[14:15], v[134:135]
	v_fmac_f64_e32 v[178:179], v[6:7], v[128:129]
	v_fma_f64 v[184:185], v[4:5], v[128:129], -v[130:131]
	ds_load_b128 v[4:7], v2 offset:1152
	ds_load_b128 v[128:131], v2 offset:1168
	v_add_f64_e32 v[186:187], v[154:155], v[152:153]
	v_add_f64_e32 v[176:177], v[176:177], v[180:181]
	scratch_load_b128 v[152:155], off, off offset:464
	s_wait_loadcnt_dscnt 0xb01
	v_mul_f64_e32 v[180:181], v[4:5], v[138:139]
	v_mul_f64_e32 v[138:139], v[6:7], v[138:139]
	v_fmac_f64_e32 v[182:183], v[14:15], v[132:133]
	v_fma_f64 v[132:133], v[12:13], v[132:133], -v[134:135]
	scratch_load_b128 v[12:15], off, off offset:480
	v_add_f64_e32 v[134:135], v[186:187], v[184:185]
	v_add_f64_e32 v[176:177], v[176:177], v[178:179]
	s_wait_loadcnt_dscnt 0xb00
	v_mul_f64_e32 v[178:179], v[128:129], v[142:143]
	v_mul_f64_e32 v[142:143], v[130:131], v[142:143]
	v_fmac_f64_e32 v[180:181], v[6:7], v[136:137]
	v_fma_f64 v[184:185], v[4:5], v[136:137], -v[138:139]
	v_add_f64_e32 v[186:187], v[134:135], v[132:133]
	v_add_f64_e32 v[176:177], v[176:177], v[182:183]
	ds_load_b128 v[4:7], v2 offset:1184
	ds_load_b128 v[132:135], v2 offset:1200
	scratch_load_b128 v[136:139], off, off offset:496
	v_fmac_f64_e32 v[178:179], v[130:131], v[140:141]
	v_fma_f64 v[140:141], v[128:129], v[140:141], -v[142:143]
	scratch_load_b128 v[128:131], off, off offset:512
	s_wait_loadcnt_dscnt 0xc01
	v_mul_f64_e32 v[182:183], v[4:5], v[146:147]
	v_mul_f64_e32 v[146:147], v[6:7], v[146:147]
	v_add_f64_e32 v[142:143], v[186:187], v[184:185]
	v_add_f64_e32 v[176:177], v[176:177], v[180:181]
	s_wait_loadcnt_dscnt 0xb00
	v_mul_f64_e32 v[180:181], v[132:133], v[150:151]
	v_mul_f64_e32 v[150:151], v[134:135], v[150:151]
	v_fmac_f64_e32 v[182:183], v[6:7], v[144:145]
	v_fma_f64 v[184:185], v[4:5], v[144:145], -v[146:147]
	v_add_f64_e32 v[186:187], v[142:143], v[140:141]
	v_add_f64_e32 v[176:177], v[176:177], v[178:179]
	ds_load_b128 v[4:7], v2 offset:1216
	ds_load_b128 v[140:143], v2 offset:1232
	scratch_load_b128 v[144:147], off, off offset:528
	v_fmac_f64_e32 v[180:181], v[134:135], v[148:149]
	v_fma_f64 v[148:149], v[132:133], v[148:149], -v[150:151]
	scratch_load_b128 v[132:135], off, off offset:544
	s_wait_loadcnt_dscnt 0xc01
	v_mul_f64_e32 v[178:179], v[4:5], v[158:159]
	v_mul_f64_e32 v[158:159], v[6:7], v[158:159]
	;; [unrolled: 18-line block ×5, first 2 shown]
	v_add_f64_e32 v[170:171], v[186:187], v[184:185]
	v_add_f64_e32 v[176:177], v[176:177], v[182:183]
	s_wait_loadcnt_dscnt 0xa00
	v_mul_f64_e32 v[182:183], v[148:149], v[14:15]
	v_mul_f64_e32 v[14:15], v[150:151], v[14:15]
	v_fmac_f64_e32 v[178:179], v[6:7], v[152:153]
	v_fma_f64 v[184:185], v[4:5], v[152:153], -v[154:155]
	ds_load_b128 v[4:7], v2 offset:1344
	ds_load_b128 v[152:155], v2 offset:1360
	v_add_f64_e32 v[186:187], v[170:171], v[168:169]
	v_add_f64_e32 v[176:177], v[176:177], v[180:181]
	scratch_load_b128 v[168:171], off, off offset:656
	v_fmac_f64_e32 v[182:183], v[150:151], v[12:13]
	v_fma_f64 v[148:149], v[148:149], v[12:13], -v[14:15]
	scratch_load_b128 v[12:15], off, off offset:672
	s_wait_loadcnt_dscnt 0xb01
	v_mul_f64_e32 v[180:181], v[4:5], v[138:139]
	v_mul_f64_e32 v[138:139], v[6:7], v[138:139]
	v_add_f64_e32 v[150:151], v[186:187], v[184:185]
	v_add_f64_e32 v[176:177], v[176:177], v[178:179]
	s_wait_loadcnt_dscnt 0xa00
	v_mul_f64_e32 v[178:179], v[152:153], v[130:131]
	v_mul_f64_e32 v[130:131], v[154:155], v[130:131]
	v_fmac_f64_e32 v[180:181], v[6:7], v[136:137]
	v_fma_f64 v[184:185], v[4:5], v[136:137], -v[138:139]
	ds_load_b128 v[4:7], v2 offset:1376
	ds_load_b128 v[136:139], v2 offset:1392
	v_add_f64_e32 v[186:187], v[150:151], v[148:149]
	v_add_f64_e32 v[176:177], v[176:177], v[182:183]
	scratch_load_b128 v[148:151], off, off offset:688
	s_wait_loadcnt_dscnt 0xa01
	v_mul_f64_e32 v[182:183], v[4:5], v[146:147]
	v_mul_f64_e32 v[146:147], v[6:7], v[146:147]
	v_fmac_f64_e32 v[178:179], v[154:155], v[128:129]
	v_fma_f64 v[152:153], v[152:153], v[128:129], -v[130:131]
	scratch_load_b128 v[128:131], off, off offset:704
	v_add_f64_e32 v[154:155], v[186:187], v[184:185]
	v_add_f64_e32 v[176:177], v[176:177], v[180:181]
	s_wait_loadcnt_dscnt 0xa00
	v_mul_f64_e32 v[180:181], v[136:137], v[134:135]
	v_mul_f64_e32 v[134:135], v[138:139], v[134:135]
	v_fmac_f64_e32 v[182:183], v[6:7], v[144:145]
	v_fma_f64 v[184:185], v[4:5], v[144:145], -v[146:147]
	ds_load_b128 v[4:7], v2 offset:1408
	ds_load_b128 v[144:147], v2 offset:1424
	v_add_f64_e32 v[186:187], v[154:155], v[152:153]
	v_add_f64_e32 v[176:177], v[176:177], v[178:179]
	scratch_load_b128 v[152:155], off, off offset:720
	s_wait_loadcnt_dscnt 0xa01
	v_mul_f64_e32 v[178:179], v[4:5], v[158:159]
	v_mul_f64_e32 v[158:159], v[6:7], v[158:159]
	v_fmac_f64_e32 v[180:181], v[138:139], v[132:133]
	v_fma_f64 v[136:137], v[136:137], v[132:133], -v[134:135]
	scratch_load_b128 v[132:135], off, off offset:736
	v_add_f64_e32 v[138:139], v[186:187], v[184:185]
	v_add_f64_e32 v[176:177], v[176:177], v[182:183]
	s_wait_loadcnt_dscnt 0xa00
	v_mul_f64_e32 v[182:183], v[144:145], v[142:143]
	v_mul_f64_e32 v[142:143], v[146:147], v[142:143]
	v_fmac_f64_e32 v[178:179], v[6:7], v[156:157]
	v_fma_f64 v[184:185], v[4:5], v[156:157], -v[158:159]
	v_add_f64_e32 v[186:187], v[138:139], v[136:137]
	v_add_f64_e32 v[176:177], v[176:177], v[180:181]
	ds_load_b128 v[4:7], v2 offset:1440
	ds_load_b128 v[136:139], v2 offset:1456
	scratch_load_b128 v[156:159], off, off offset:752
	v_fmac_f64_e32 v[182:183], v[146:147], v[140:141]
	v_fma_f64 v[144:145], v[144:145], v[140:141], -v[142:143]
	scratch_load_b128 v[140:143], off, off offset:768
	s_wait_loadcnt_dscnt 0xb01
	v_mul_f64_e32 v[180:181], v[4:5], v[174:175]
	v_mul_f64_e32 v[174:175], v[6:7], v[174:175]
	v_add_f64_e32 v[146:147], v[186:187], v[184:185]
	v_add_f64_e32 v[176:177], v[176:177], v[178:179]
	s_wait_loadcnt_dscnt 0xa00
	v_mul_f64_e32 v[178:179], v[136:137], v[10:11]
	v_mul_f64_e32 v[10:11], v[138:139], v[10:11]
	v_fmac_f64_e32 v[180:181], v[6:7], v[172:173]
	v_fma_f64 v[184:185], v[4:5], v[172:173], -v[174:175]
	v_add_f64_e32 v[186:187], v[146:147], v[144:145]
	v_add_f64_e32 v[176:177], v[176:177], v[182:183]
	ds_load_b128 v[4:7], v2 offset:1472
	ds_load_b128 v[144:147], v2 offset:1488
	scratch_load_b128 v[172:175], off, off offset:784
	v_fmac_f64_e32 v[178:179], v[138:139], v[8:9]
	v_fma_f64 v[136:137], v[136:137], v[8:9], -v[10:11]
	scratch_load_b128 v[8:11], off, off offset:800
	s_wait_loadcnt_dscnt 0xb01
	v_mul_f64_e32 v[182:183], v[4:5], v[162:163]
	v_mul_f64_e32 v[162:163], v[6:7], v[162:163]
	;; [unrolled: 18-line block ×3, first 2 shown]
	v_add_f64_e32 v[146:147], v[186:187], v[184:185]
	v_add_f64_e32 v[176:177], v[176:177], v[182:183]
	s_wait_loadcnt_dscnt 0xa00
	v_mul_f64_e32 v[182:183], v[136:137], v[14:15]
	v_mul_f64_e32 v[14:15], v[138:139], v[14:15]
	v_fmac_f64_e32 v[178:179], v[6:7], v[168:169]
	v_fma_f64 v[168:169], v[4:5], v[168:169], -v[170:171]
	v_add_f64_e32 v[170:171], v[146:147], v[144:145]
	v_add_f64_e32 v[176:177], v[176:177], v[180:181]
	ds_load_b128 v[4:7], v2 offset:1536
	ds_load_b128 v[144:147], v2 offset:1552
	v_fmac_f64_e32 v[182:183], v[138:139], v[12:13]
	v_fma_f64 v[12:13], v[136:137], v[12:13], -v[14:15]
	s_wait_loadcnt_dscnt 0x901
	v_mul_f64_e32 v[180:181], v[4:5], v[150:151]
	v_mul_f64_e32 v[150:151], v[6:7], v[150:151]
	s_wait_loadcnt_dscnt 0x800
	v_mul_f64_e32 v[138:139], v[144:145], v[130:131]
	v_mul_f64_e32 v[130:131], v[146:147], v[130:131]
	v_add_f64_e32 v[14:15], v[170:171], v[168:169]
	v_add_f64_e32 v[136:137], v[176:177], v[178:179]
	v_fmac_f64_e32 v[180:181], v[6:7], v[148:149]
	v_fma_f64 v[148:149], v[4:5], v[148:149], -v[150:151]
	v_fmac_f64_e32 v[138:139], v[146:147], v[128:129]
	v_fma_f64 v[128:129], v[144:145], v[128:129], -v[130:131]
	v_add_f64_e32 v[150:151], v[14:15], v[12:13]
	v_add_f64_e32 v[136:137], v[136:137], v[182:183]
	ds_load_b128 v[4:7], v2 offset:1568
	ds_load_b128 v[12:15], v2 offset:1584
	s_wait_loadcnt_dscnt 0x701
	v_mul_f64_e32 v[168:169], v[4:5], v[154:155]
	v_mul_f64_e32 v[154:155], v[6:7], v[154:155]
	s_wait_loadcnt_dscnt 0x600
	v_mul_f64_e32 v[144:145], v[12:13], v[134:135]
	v_mul_f64_e32 v[134:135], v[14:15], v[134:135]
	v_add_f64_e32 v[130:131], v[150:151], v[148:149]
	v_add_f64_e32 v[136:137], v[136:137], v[180:181]
	v_fmac_f64_e32 v[168:169], v[6:7], v[152:153]
	v_fma_f64 v[146:147], v[4:5], v[152:153], -v[154:155]
	v_fmac_f64_e32 v[144:145], v[14:15], v[132:133]
	v_fma_f64 v[12:13], v[12:13], v[132:133], -v[134:135]
	v_add_f64_e32 v[148:149], v[130:131], v[128:129]
	v_add_f64_e32 v[136:137], v[136:137], v[138:139]
	ds_load_b128 v[4:7], v2 offset:1600
	ds_load_b128 v[128:131], v2 offset:1616
	s_wait_loadcnt_dscnt 0x501
	v_mul_f64_e32 v[138:139], v[4:5], v[158:159]
	v_mul_f64_e32 v[150:151], v[6:7], v[158:159]
	s_wait_loadcnt_dscnt 0x400
	v_mul_f64_e32 v[134:135], v[128:129], v[142:143]
	v_add_f64_e32 v[14:15], v[148:149], v[146:147]
	v_add_f64_e32 v[132:133], v[136:137], v[168:169]
	v_mul_f64_e32 v[136:137], v[130:131], v[142:143]
	v_fmac_f64_e32 v[138:139], v[6:7], v[156:157]
	v_fma_f64 v[142:143], v[4:5], v[156:157], -v[150:151]
	v_fmac_f64_e32 v[134:135], v[130:131], v[140:141]
	v_add_f64_e32 v[146:147], v[14:15], v[12:13]
	v_add_f64_e32 v[132:133], v[132:133], v[144:145]
	ds_load_b128 v[4:7], v2 offset:1632
	ds_load_b128 v[12:15], v2 offset:1648
	v_fma_f64 v[128:129], v[128:129], v[140:141], -v[136:137]
	s_wait_loadcnt_dscnt 0x301
	v_mul_f64_e32 v[144:145], v[4:5], v[174:175]
	v_mul_f64_e32 v[148:149], v[6:7], v[174:175]
	s_wait_loadcnt_dscnt 0x200
	v_mul_f64_e32 v[136:137], v[12:13], v[10:11]
	v_mul_f64_e32 v[10:11], v[14:15], v[10:11]
	v_add_f64_e32 v[130:131], v[146:147], v[142:143]
	v_add_f64_e32 v[132:133], v[132:133], v[138:139]
	v_fmac_f64_e32 v[144:145], v[6:7], v[172:173]
	v_fma_f64 v[138:139], v[4:5], v[172:173], -v[148:149]
	v_fmac_f64_e32 v[136:137], v[14:15], v[8:9]
	v_fma_f64 v[8:9], v[12:13], v[8:9], -v[10:11]
	v_add_f64_e32 v[140:141], v[130:131], v[128:129]
	v_add_f64_e32 v[132:133], v[132:133], v[134:135]
	ds_load_b128 v[4:7], v2 offset:1664
	ds_load_b128 v[128:131], v2 offset:1680
	s_wait_loadcnt_dscnt 0x101
	v_mul_f64_e32 v[2:3], v[4:5], v[162:163]
	v_mul_f64_e32 v[134:135], v[6:7], v[162:163]
	s_wait_loadcnt_dscnt 0x0
	v_mul_f64_e32 v[14:15], v[128:129], v[126:127]
	v_mul_f64_e32 v[126:127], v[130:131], v[126:127]
	v_add_f64_e32 v[10:11], v[140:141], v[138:139]
	v_add_f64_e32 v[12:13], v[132:133], v[144:145]
	v_fmac_f64_e32 v[2:3], v[6:7], v[160:161]
	v_fma_f64 v[4:5], v[4:5], v[160:161], -v[134:135]
	v_fmac_f64_e32 v[14:15], v[130:131], v[124:125]
	v_add_f64_e32 v[6:7], v[10:11], v[8:9]
	v_add_f64_e32 v[8:9], v[12:13], v[136:137]
	v_fma_f64 v[10:11], v[128:129], v[124:125], -v[126:127]
	s_delay_alu instid0(VALU_DEP_3) | instskip(NEXT) | instid1(VALU_DEP_3)
	v_add_f64_e32 v[4:5], v[6:7], v[4:5]
	v_add_f64_e32 v[2:3], v[8:9], v[2:3]
	s_delay_alu instid0(VALU_DEP_2) | instskip(NEXT) | instid1(VALU_DEP_2)
	v_add_f64_e32 v[4:5], v[4:5], v[10:11]
	v_add_f64_e32 v[6:7], v[2:3], v[14:15]
	s_delay_alu instid0(VALU_DEP_2) | instskip(NEXT) | instid1(VALU_DEP_2)
	v_add_f64_e64 v[2:3], v[164:165], -v[4:5]
	v_add_f64_e64 v[4:5], v[166:167], -v[6:7]
	scratch_store_b128 off, v[2:5], off offset:192
	s_wait_xcnt 0x0
	v_cmpx_lt_u32_e32 11, v1
	s_cbranch_execz .LBB52_309
; %bb.308:
	scratch_load_b128 v[2:5], off, s60
	v_mov_b32_e32 v6, 0
	s_delay_alu instid0(VALU_DEP_1)
	v_dual_mov_b32 v7, v6 :: v_dual_mov_b32 v8, v6
	v_mov_b32_e32 v9, v6
	scratch_store_b128 off, v[6:9], off offset:176
	s_wait_loadcnt 0x0
	ds_store_b128 v122, v[2:5]
.LBB52_309:
	s_wait_xcnt 0x0
	s_or_b32 exec_lo, exec_lo, s2
	s_wait_storecnt_dscnt 0x0
	s_barrier_signal -1
	s_barrier_wait -1
	s_clause 0x9
	scratch_load_b128 v[4:7], off, off offset:192
	scratch_load_b128 v[8:11], off, off offset:208
	;; [unrolled: 1-line block ×10, first 2 shown]
	v_mov_b32_e32 v2, 0
	s_mov_b32 s2, exec_lo
	ds_load_b128 v[152:155], v2 offset:1040
	s_clause 0x2
	scratch_load_b128 v[156:159], off, off offset:352
	scratch_load_b128 v[160:163], off, off offset:176
	;; [unrolled: 1-line block ×3, first 2 shown]
	s_wait_loadcnt_dscnt 0xc00
	v_mul_f64_e32 v[172:173], v[154:155], v[6:7]
	v_mul_f64_e32 v[176:177], v[152:153], v[6:7]
	ds_load_b128 v[164:167], v2 offset:1056
	v_fma_f64 v[180:181], v[152:153], v[4:5], -v[172:173]
	v_fmac_f64_e32 v[176:177], v[154:155], v[4:5]
	ds_load_b128 v[4:7], v2 offset:1072
	s_wait_loadcnt_dscnt 0xb01
	v_mul_f64_e32 v[178:179], v[164:165], v[10:11]
	v_mul_f64_e32 v[10:11], v[166:167], v[10:11]
	scratch_load_b128 v[152:155], off, off offset:384
	ds_load_b128 v[172:175], v2 offset:1088
	s_wait_loadcnt_dscnt 0xb01
	v_mul_f64_e32 v[182:183], v[4:5], v[14:15]
	v_mul_f64_e32 v[14:15], v[6:7], v[14:15]
	v_add_f64_e32 v[176:177], 0, v[176:177]
	v_fmac_f64_e32 v[178:179], v[166:167], v[8:9]
	v_fma_f64 v[164:165], v[164:165], v[8:9], -v[10:11]
	v_add_f64_e32 v[166:167], 0, v[180:181]
	scratch_load_b128 v[8:11], off, off offset:400
	v_fmac_f64_e32 v[182:183], v[6:7], v[12:13]
	v_fma_f64 v[184:185], v[4:5], v[12:13], -v[14:15]
	ds_load_b128 v[4:7], v2 offset:1104
	s_wait_loadcnt_dscnt 0xb01
	v_mul_f64_e32 v[180:181], v[172:173], v[126:127]
	v_mul_f64_e32 v[126:127], v[174:175], v[126:127]
	scratch_load_b128 v[12:15], off, off offset:416
	v_add_f64_e32 v[176:177], v[176:177], v[178:179]
	v_add_f64_e32 v[186:187], v[166:167], v[164:165]
	ds_load_b128 v[164:167], v2 offset:1120
	s_wait_loadcnt_dscnt 0xb01
	v_mul_f64_e32 v[178:179], v[4:5], v[130:131]
	v_mul_f64_e32 v[130:131], v[6:7], v[130:131]
	v_fmac_f64_e32 v[180:181], v[174:175], v[124:125]
	v_fma_f64 v[172:173], v[172:173], v[124:125], -v[126:127]
	scratch_load_b128 v[124:127], off, off offset:432
	v_add_f64_e32 v[176:177], v[176:177], v[182:183]
	v_add_f64_e32 v[174:175], v[186:187], v[184:185]
	v_fmac_f64_e32 v[178:179], v[6:7], v[128:129]
	v_fma_f64 v[184:185], v[4:5], v[128:129], -v[130:131]
	ds_load_b128 v[4:7], v2 offset:1136
	s_wait_loadcnt_dscnt 0xb01
	v_mul_f64_e32 v[182:183], v[164:165], v[134:135]
	v_mul_f64_e32 v[134:135], v[166:167], v[134:135]
	scratch_load_b128 v[128:131], off, off offset:448
	v_add_f64_e32 v[176:177], v[176:177], v[180:181]
	s_wait_loadcnt_dscnt 0xb00
	v_mul_f64_e32 v[180:181], v[4:5], v[138:139]
	v_add_f64_e32 v[186:187], v[174:175], v[172:173]
	v_mul_f64_e32 v[138:139], v[6:7], v[138:139]
	ds_load_b128 v[172:175], v2 offset:1152
	v_fmac_f64_e32 v[182:183], v[166:167], v[132:133]
	v_fma_f64 v[164:165], v[164:165], v[132:133], -v[134:135]
	scratch_load_b128 v[132:135], off, off offset:464
	v_add_f64_e32 v[176:177], v[176:177], v[178:179]
	v_fmac_f64_e32 v[180:181], v[6:7], v[136:137]
	v_add_f64_e32 v[166:167], v[186:187], v[184:185]
	v_fma_f64 v[184:185], v[4:5], v[136:137], -v[138:139]
	ds_load_b128 v[4:7], v2 offset:1168
	s_wait_loadcnt_dscnt 0xb01
	v_mul_f64_e32 v[178:179], v[172:173], v[142:143]
	v_mul_f64_e32 v[142:143], v[174:175], v[142:143]
	scratch_load_b128 v[136:139], off, off offset:480
	v_add_f64_e32 v[176:177], v[176:177], v[182:183]
	s_wait_loadcnt_dscnt 0xb00
	v_mul_f64_e32 v[182:183], v[4:5], v[146:147]
	v_add_f64_e32 v[186:187], v[166:167], v[164:165]
	v_mul_f64_e32 v[146:147], v[6:7], v[146:147]
	ds_load_b128 v[164:167], v2 offset:1184
	v_fmac_f64_e32 v[178:179], v[174:175], v[140:141]
	v_fma_f64 v[172:173], v[172:173], v[140:141], -v[142:143]
	scratch_load_b128 v[140:143], off, off offset:496
	v_add_f64_e32 v[176:177], v[176:177], v[180:181]
	v_fmac_f64_e32 v[182:183], v[6:7], v[144:145]
	v_add_f64_e32 v[174:175], v[186:187], v[184:185]
	;; [unrolled: 18-line block ×3, first 2 shown]
	v_fma_f64 v[184:185], v[4:5], v[156:157], -v[158:159]
	ds_load_b128 v[4:7], v2 offset:1232
	s_wait_loadcnt_dscnt 0xa01
	v_mul_f64_e32 v[182:183], v[172:173], v[170:171]
	v_mul_f64_e32 v[170:171], v[174:175], v[170:171]
	scratch_load_b128 v[156:159], off, off offset:544
	v_add_f64_e32 v[176:177], v[176:177], v[180:181]
	v_add_f64_e32 v[186:187], v[166:167], v[164:165]
	s_wait_loadcnt_dscnt 0xa00
	v_mul_f64_e32 v[180:181], v[4:5], v[154:155]
	v_mul_f64_e32 v[154:155], v[6:7], v[154:155]
	v_fmac_f64_e32 v[182:183], v[174:175], v[168:169]
	v_fma_f64 v[172:173], v[172:173], v[168:169], -v[170:171]
	ds_load_b128 v[164:167], v2 offset:1248
	scratch_load_b128 v[168:171], off, off offset:560
	v_add_f64_e32 v[176:177], v[176:177], v[178:179]
	v_add_f64_e32 v[174:175], v[186:187], v[184:185]
	v_fmac_f64_e32 v[180:181], v[6:7], v[152:153]
	v_fma_f64 v[184:185], v[4:5], v[152:153], -v[154:155]
	ds_load_b128 v[4:7], v2 offset:1264
	s_wait_loadcnt_dscnt 0xa01
	v_mul_f64_e32 v[178:179], v[164:165], v[10:11]
	v_mul_f64_e32 v[10:11], v[166:167], v[10:11]
	scratch_load_b128 v[152:155], off, off offset:576
	v_add_f64_e32 v[176:177], v[176:177], v[182:183]
	s_wait_loadcnt_dscnt 0xa00
	v_mul_f64_e32 v[182:183], v[4:5], v[14:15]
	v_add_f64_e32 v[186:187], v[174:175], v[172:173]
	v_mul_f64_e32 v[14:15], v[6:7], v[14:15]
	ds_load_b128 v[172:175], v2 offset:1280
	v_fmac_f64_e32 v[178:179], v[166:167], v[8:9]
	v_fma_f64 v[164:165], v[164:165], v[8:9], -v[10:11]
	scratch_load_b128 v[8:11], off, off offset:592
	v_add_f64_e32 v[176:177], v[176:177], v[180:181]
	v_fmac_f64_e32 v[182:183], v[6:7], v[12:13]
	v_add_f64_e32 v[166:167], v[186:187], v[184:185]
	v_fma_f64 v[184:185], v[4:5], v[12:13], -v[14:15]
	ds_load_b128 v[4:7], v2 offset:1296
	s_wait_loadcnt_dscnt 0xa01
	v_mul_f64_e32 v[180:181], v[172:173], v[126:127]
	v_mul_f64_e32 v[126:127], v[174:175], v[126:127]
	scratch_load_b128 v[12:15], off, off offset:608
	v_add_f64_e32 v[176:177], v[176:177], v[178:179]
	s_wait_loadcnt_dscnt 0xa00
	v_mul_f64_e32 v[178:179], v[4:5], v[130:131]
	v_add_f64_e32 v[186:187], v[166:167], v[164:165]
	v_mul_f64_e32 v[130:131], v[6:7], v[130:131]
	ds_load_b128 v[164:167], v2 offset:1312
	v_fmac_f64_e32 v[180:181], v[174:175], v[124:125]
	v_fma_f64 v[172:173], v[172:173], v[124:125], -v[126:127]
	scratch_load_b128 v[124:127], off, off offset:624
	v_add_f64_e32 v[176:177], v[176:177], v[182:183]
	v_fmac_f64_e32 v[178:179], v[6:7], v[128:129]
	v_add_f64_e32 v[174:175], v[186:187], v[184:185]
	;; [unrolled: 18-line block ×8, first 2 shown]
	v_fma_f64 v[184:185], v[4:5], v[128:129], -v[130:131]
	ds_load_b128 v[4:7], v2 offset:1520
	s_wait_loadcnt_dscnt 0xa01
	v_mul_f64_e32 v[182:183], v[164:165], v[134:135]
	v_mul_f64_e32 v[134:135], v[166:167], v[134:135]
	scratch_load_b128 v[128:131], off, off offset:832
	v_add_f64_e32 v[176:177], v[176:177], v[180:181]
	s_wait_loadcnt_dscnt 0xa00
	v_mul_f64_e32 v[180:181], v[4:5], v[138:139]
	v_add_f64_e32 v[186:187], v[174:175], v[172:173]
	v_mul_f64_e32 v[138:139], v[6:7], v[138:139]
	ds_load_b128 v[172:175], v2 offset:1536
	v_fmac_f64_e32 v[182:183], v[166:167], v[132:133]
	v_fma_f64 v[132:133], v[164:165], v[132:133], -v[134:135]
	s_wait_loadcnt_dscnt 0x900
	v_mul_f64_e32 v[166:167], v[172:173], v[142:143]
	v_mul_f64_e32 v[142:143], v[174:175], v[142:143]
	v_add_f64_e32 v[164:165], v[176:177], v[178:179]
	v_fmac_f64_e32 v[180:181], v[6:7], v[136:137]
	v_add_f64_e32 v[134:135], v[186:187], v[184:185]
	v_fma_f64 v[136:137], v[4:5], v[136:137], -v[138:139]
	v_fmac_f64_e32 v[166:167], v[174:175], v[140:141]
	v_fma_f64 v[140:141], v[172:173], v[140:141], -v[142:143]
	v_add_f64_e32 v[164:165], v[164:165], v[182:183]
	v_add_f64_e32 v[138:139], v[134:135], v[132:133]
	ds_load_b128 v[4:7], v2 offset:1552
	ds_load_b128 v[132:135], v2 offset:1568
	s_wait_loadcnt_dscnt 0x801
	v_mul_f64_e32 v[176:177], v[4:5], v[146:147]
	v_mul_f64_e32 v[146:147], v[6:7], v[146:147]
	s_wait_loadcnt_dscnt 0x700
	v_mul_f64_e32 v[142:143], v[132:133], v[150:151]
	v_mul_f64_e32 v[150:151], v[134:135], v[150:151]
	v_add_f64_e32 v[136:137], v[138:139], v[136:137]
	v_add_f64_e32 v[138:139], v[164:165], v[180:181]
	v_fmac_f64_e32 v[176:177], v[6:7], v[144:145]
	v_fma_f64 v[144:145], v[4:5], v[144:145], -v[146:147]
	v_fmac_f64_e32 v[142:143], v[134:135], v[148:149]
	v_fma_f64 v[132:133], v[132:133], v[148:149], -v[150:151]
	v_add_f64_e32 v[140:141], v[136:137], v[140:141]
	v_add_f64_e32 v[146:147], v[138:139], v[166:167]
	ds_load_b128 v[4:7], v2 offset:1584
	ds_load_b128 v[136:139], v2 offset:1600
	s_wait_loadcnt_dscnt 0x601
	v_mul_f64_e32 v[164:165], v[4:5], v[158:159]
	v_mul_f64_e32 v[158:159], v[6:7], v[158:159]
	v_add_f64_e32 v[134:135], v[140:141], v[144:145]
	v_add_f64_e32 v[140:141], v[146:147], v[176:177]
	s_wait_loadcnt_dscnt 0x500
	v_mul_f64_e32 v[144:145], v[136:137], v[170:171]
	v_mul_f64_e32 v[146:147], v[138:139], v[170:171]
	v_fmac_f64_e32 v[164:165], v[6:7], v[156:157]
	v_fma_f64 v[148:149], v[4:5], v[156:157], -v[158:159]
	v_add_f64_e32 v[150:151], v[134:135], v[132:133]
	v_add_f64_e32 v[140:141], v[140:141], v[142:143]
	ds_load_b128 v[4:7], v2 offset:1616
	ds_load_b128 v[132:135], v2 offset:1632
	v_fmac_f64_e32 v[144:145], v[138:139], v[168:169]
	v_fma_f64 v[136:137], v[136:137], v[168:169], -v[146:147]
	s_wait_loadcnt_dscnt 0x401
	v_mul_f64_e32 v[142:143], v[4:5], v[154:155]
	v_mul_f64_e32 v[154:155], v[6:7], v[154:155]
	s_wait_loadcnt_dscnt 0x300
	v_mul_f64_e32 v[146:147], v[132:133], v[10:11]
	v_mul_f64_e32 v[10:11], v[134:135], v[10:11]
	v_add_f64_e32 v[138:139], v[150:151], v[148:149]
	v_add_f64_e32 v[140:141], v[140:141], v[164:165]
	v_fmac_f64_e32 v[142:143], v[6:7], v[152:153]
	v_fma_f64 v[148:149], v[4:5], v[152:153], -v[154:155]
	v_fmac_f64_e32 v[146:147], v[134:135], v[8:9]
	v_fma_f64 v[8:9], v[132:133], v[8:9], -v[10:11]
	v_add_f64_e32 v[150:151], v[138:139], v[136:137]
	v_add_f64_e32 v[140:141], v[140:141], v[144:145]
	ds_load_b128 v[4:7], v2 offset:1648
	ds_load_b128 v[136:139], v2 offset:1664
	s_wait_loadcnt_dscnt 0x201
	v_mul_f64_e32 v[144:145], v[4:5], v[14:15]
	v_mul_f64_e32 v[14:15], v[6:7], v[14:15]
	s_wait_loadcnt_dscnt 0x100
	v_mul_f64_e32 v[134:135], v[136:137], v[126:127]
	v_mul_f64_e32 v[126:127], v[138:139], v[126:127]
	v_add_f64_e32 v[10:11], v[150:151], v[148:149]
	v_add_f64_e32 v[132:133], v[140:141], v[142:143]
	v_fmac_f64_e32 v[144:145], v[6:7], v[12:13]
	v_fma_f64 v[12:13], v[4:5], v[12:13], -v[14:15]
	ds_load_b128 v[4:7], v2 offset:1680
	v_fmac_f64_e32 v[134:135], v[138:139], v[124:125]
	v_fma_f64 v[124:125], v[136:137], v[124:125], -v[126:127]
	v_add_f64_e32 v[8:9], v[10:11], v[8:9]
	v_add_f64_e32 v[10:11], v[132:133], v[146:147]
	s_wait_loadcnt_dscnt 0x0
	v_mul_f64_e32 v[14:15], v[4:5], v[130:131]
	v_mul_f64_e32 v[130:131], v[6:7], v[130:131]
	s_delay_alu instid0(VALU_DEP_4) | instskip(NEXT) | instid1(VALU_DEP_4)
	v_add_f64_e32 v[8:9], v[8:9], v[12:13]
	v_add_f64_e32 v[10:11], v[10:11], v[144:145]
	s_delay_alu instid0(VALU_DEP_4) | instskip(NEXT) | instid1(VALU_DEP_4)
	v_fmac_f64_e32 v[14:15], v[6:7], v[128:129]
	v_fma_f64 v[4:5], v[4:5], v[128:129], -v[130:131]
	s_delay_alu instid0(VALU_DEP_4) | instskip(NEXT) | instid1(VALU_DEP_4)
	v_add_f64_e32 v[6:7], v[8:9], v[124:125]
	v_add_f64_e32 v[8:9], v[10:11], v[134:135]
	s_delay_alu instid0(VALU_DEP_2) | instskip(NEXT) | instid1(VALU_DEP_2)
	v_add_f64_e32 v[4:5], v[6:7], v[4:5]
	v_add_f64_e32 v[6:7], v[8:9], v[14:15]
	s_delay_alu instid0(VALU_DEP_2) | instskip(NEXT) | instid1(VALU_DEP_2)
	v_add_f64_e64 v[4:5], v[160:161], -v[4:5]
	v_add_f64_e64 v[6:7], v[162:163], -v[6:7]
	scratch_store_b128 off, v[4:7], off offset:176
	s_wait_xcnt 0x0
	v_cmpx_lt_u32_e32 10, v1
	s_cbranch_execz .LBB52_311
; %bb.310:
	scratch_load_b128 v[6:9], off, s57
	v_dual_mov_b32 v3, v2 :: v_dual_mov_b32 v4, v2
	v_mov_b32_e32 v5, v2
	scratch_store_b128 off, v[2:5], off offset:160
	s_wait_loadcnt 0x0
	ds_store_b128 v122, v[6:9]
.LBB52_311:
	s_wait_xcnt 0x0
	s_or_b32 exec_lo, exec_lo, s2
	s_wait_storecnt_dscnt 0x0
	s_barrier_signal -1
	s_barrier_wait -1
	s_clause 0x9
	scratch_load_b128 v[4:7], off, off offset:176
	scratch_load_b128 v[8:11], off, off offset:192
	;; [unrolled: 1-line block ×10, first 2 shown]
	ds_load_b128 v[152:155], v2 offset:1024
	ds_load_b128 v[160:163], v2 offset:1040
	s_clause 0x2
	scratch_load_b128 v[156:159], off, off offset:336
	scratch_load_b128 v[164:167], off, off offset:160
	;; [unrolled: 1-line block ×3, first 2 shown]
	s_mov_b32 s2, exec_lo
	s_wait_loadcnt_dscnt 0xc01
	v_mul_f64_e32 v[172:173], v[154:155], v[6:7]
	v_mul_f64_e32 v[176:177], v[152:153], v[6:7]
	s_wait_loadcnt_dscnt 0xb00
	v_mul_f64_e32 v[178:179], v[160:161], v[10:11]
	v_mul_f64_e32 v[10:11], v[162:163], v[10:11]
	s_delay_alu instid0(VALU_DEP_4) | instskip(NEXT) | instid1(VALU_DEP_4)
	v_fma_f64 v[180:181], v[152:153], v[4:5], -v[172:173]
	v_fmac_f64_e32 v[176:177], v[154:155], v[4:5]
	ds_load_b128 v[4:7], v2 offset:1056
	ds_load_b128 v[152:155], v2 offset:1072
	scratch_load_b128 v[172:175], off, off offset:368
	v_fmac_f64_e32 v[178:179], v[162:163], v[8:9]
	v_fma_f64 v[160:161], v[160:161], v[8:9], -v[10:11]
	scratch_load_b128 v[8:11], off, off offset:384
	s_wait_loadcnt_dscnt 0xc01
	v_mul_f64_e32 v[182:183], v[4:5], v[14:15]
	v_mul_f64_e32 v[14:15], v[6:7], v[14:15]
	v_add_f64_e32 v[162:163], 0, v[180:181]
	v_add_f64_e32 v[176:177], 0, v[176:177]
	s_wait_loadcnt_dscnt 0xb00
	v_mul_f64_e32 v[180:181], v[152:153], v[126:127]
	v_mul_f64_e32 v[126:127], v[154:155], v[126:127]
	v_fmac_f64_e32 v[182:183], v[6:7], v[12:13]
	v_fma_f64 v[184:185], v[4:5], v[12:13], -v[14:15]
	ds_load_b128 v[4:7], v2 offset:1088
	ds_load_b128 v[12:15], v2 offset:1104
	v_add_f64_e32 v[186:187], v[162:163], v[160:161]
	v_add_f64_e32 v[176:177], v[176:177], v[178:179]
	scratch_load_b128 v[160:163], off, off offset:400
	v_fmac_f64_e32 v[180:181], v[154:155], v[124:125]
	v_fma_f64 v[152:153], v[152:153], v[124:125], -v[126:127]
	scratch_load_b128 v[124:127], off, off offset:416
	s_wait_loadcnt_dscnt 0xc01
	v_mul_f64_e32 v[178:179], v[4:5], v[130:131]
	v_mul_f64_e32 v[130:131], v[6:7], v[130:131]
	v_add_f64_e32 v[154:155], v[186:187], v[184:185]
	v_add_f64_e32 v[176:177], v[176:177], v[182:183]
	s_wait_loadcnt_dscnt 0xb00
	v_mul_f64_e32 v[182:183], v[12:13], v[134:135]
	v_mul_f64_e32 v[134:135], v[14:15], v[134:135]
	v_fmac_f64_e32 v[178:179], v[6:7], v[128:129]
	v_fma_f64 v[184:185], v[4:5], v[128:129], -v[130:131]
	ds_load_b128 v[4:7], v2 offset:1120
	ds_load_b128 v[128:131], v2 offset:1136
	v_add_f64_e32 v[186:187], v[154:155], v[152:153]
	v_add_f64_e32 v[176:177], v[176:177], v[180:181]
	scratch_load_b128 v[152:155], off, off offset:432
	s_wait_loadcnt_dscnt 0xb01
	v_mul_f64_e32 v[180:181], v[4:5], v[138:139]
	v_mul_f64_e32 v[138:139], v[6:7], v[138:139]
	v_fmac_f64_e32 v[182:183], v[14:15], v[132:133]
	v_fma_f64 v[132:133], v[12:13], v[132:133], -v[134:135]
	scratch_load_b128 v[12:15], off, off offset:448
	v_add_f64_e32 v[134:135], v[186:187], v[184:185]
	v_add_f64_e32 v[176:177], v[176:177], v[178:179]
	s_wait_loadcnt_dscnt 0xb00
	v_mul_f64_e32 v[178:179], v[128:129], v[142:143]
	v_mul_f64_e32 v[142:143], v[130:131], v[142:143]
	v_fmac_f64_e32 v[180:181], v[6:7], v[136:137]
	v_fma_f64 v[184:185], v[4:5], v[136:137], -v[138:139]
	v_add_f64_e32 v[186:187], v[134:135], v[132:133]
	v_add_f64_e32 v[176:177], v[176:177], v[182:183]
	ds_load_b128 v[4:7], v2 offset:1152
	ds_load_b128 v[132:135], v2 offset:1168
	scratch_load_b128 v[136:139], off, off offset:464
	v_fmac_f64_e32 v[178:179], v[130:131], v[140:141]
	v_fma_f64 v[140:141], v[128:129], v[140:141], -v[142:143]
	scratch_load_b128 v[128:131], off, off offset:480
	s_wait_loadcnt_dscnt 0xc01
	v_mul_f64_e32 v[182:183], v[4:5], v[146:147]
	v_mul_f64_e32 v[146:147], v[6:7], v[146:147]
	v_add_f64_e32 v[142:143], v[186:187], v[184:185]
	v_add_f64_e32 v[176:177], v[176:177], v[180:181]
	s_wait_loadcnt_dscnt 0xb00
	v_mul_f64_e32 v[180:181], v[132:133], v[150:151]
	v_mul_f64_e32 v[150:151], v[134:135], v[150:151]
	v_fmac_f64_e32 v[182:183], v[6:7], v[144:145]
	v_fma_f64 v[184:185], v[4:5], v[144:145], -v[146:147]
	v_add_f64_e32 v[186:187], v[142:143], v[140:141]
	v_add_f64_e32 v[176:177], v[176:177], v[178:179]
	ds_load_b128 v[4:7], v2 offset:1184
	ds_load_b128 v[140:143], v2 offset:1200
	scratch_load_b128 v[144:147], off, off offset:496
	v_fmac_f64_e32 v[180:181], v[134:135], v[148:149]
	v_fma_f64 v[148:149], v[132:133], v[148:149], -v[150:151]
	scratch_load_b128 v[132:135], off, off offset:512
	s_wait_loadcnt_dscnt 0xc01
	v_mul_f64_e32 v[178:179], v[4:5], v[158:159]
	v_mul_f64_e32 v[158:159], v[6:7], v[158:159]
	;; [unrolled: 18-line block ×5, first 2 shown]
	v_add_f64_e32 v[170:171], v[186:187], v[184:185]
	v_add_f64_e32 v[176:177], v[176:177], v[182:183]
	s_wait_loadcnt_dscnt 0xa00
	v_mul_f64_e32 v[182:183], v[148:149], v[14:15]
	v_mul_f64_e32 v[14:15], v[150:151], v[14:15]
	v_fmac_f64_e32 v[178:179], v[6:7], v[152:153]
	v_fma_f64 v[184:185], v[4:5], v[152:153], -v[154:155]
	ds_load_b128 v[4:7], v2 offset:1312
	ds_load_b128 v[152:155], v2 offset:1328
	v_add_f64_e32 v[186:187], v[170:171], v[168:169]
	v_add_f64_e32 v[176:177], v[176:177], v[180:181]
	scratch_load_b128 v[168:171], off, off offset:624
	v_fmac_f64_e32 v[182:183], v[150:151], v[12:13]
	v_fma_f64 v[148:149], v[148:149], v[12:13], -v[14:15]
	scratch_load_b128 v[12:15], off, off offset:640
	s_wait_loadcnt_dscnt 0xb01
	v_mul_f64_e32 v[180:181], v[4:5], v[138:139]
	v_mul_f64_e32 v[138:139], v[6:7], v[138:139]
	v_add_f64_e32 v[150:151], v[186:187], v[184:185]
	v_add_f64_e32 v[176:177], v[176:177], v[178:179]
	s_wait_loadcnt_dscnt 0xa00
	v_mul_f64_e32 v[178:179], v[152:153], v[130:131]
	v_mul_f64_e32 v[130:131], v[154:155], v[130:131]
	v_fmac_f64_e32 v[180:181], v[6:7], v[136:137]
	v_fma_f64 v[184:185], v[4:5], v[136:137], -v[138:139]
	ds_load_b128 v[4:7], v2 offset:1344
	ds_load_b128 v[136:139], v2 offset:1360
	v_add_f64_e32 v[186:187], v[150:151], v[148:149]
	v_add_f64_e32 v[176:177], v[176:177], v[182:183]
	scratch_load_b128 v[148:151], off, off offset:656
	s_wait_loadcnt_dscnt 0xa01
	v_mul_f64_e32 v[182:183], v[4:5], v[146:147]
	v_mul_f64_e32 v[146:147], v[6:7], v[146:147]
	v_fmac_f64_e32 v[178:179], v[154:155], v[128:129]
	v_fma_f64 v[152:153], v[152:153], v[128:129], -v[130:131]
	scratch_load_b128 v[128:131], off, off offset:672
	v_add_f64_e32 v[154:155], v[186:187], v[184:185]
	v_add_f64_e32 v[176:177], v[176:177], v[180:181]
	s_wait_loadcnt_dscnt 0xa00
	v_mul_f64_e32 v[180:181], v[136:137], v[134:135]
	v_mul_f64_e32 v[134:135], v[138:139], v[134:135]
	v_fmac_f64_e32 v[182:183], v[6:7], v[144:145]
	v_fma_f64 v[184:185], v[4:5], v[144:145], -v[146:147]
	ds_load_b128 v[4:7], v2 offset:1376
	ds_load_b128 v[144:147], v2 offset:1392
	v_add_f64_e32 v[186:187], v[154:155], v[152:153]
	v_add_f64_e32 v[176:177], v[176:177], v[178:179]
	scratch_load_b128 v[152:155], off, off offset:688
	s_wait_loadcnt_dscnt 0xa01
	v_mul_f64_e32 v[178:179], v[4:5], v[158:159]
	v_mul_f64_e32 v[158:159], v[6:7], v[158:159]
	v_fmac_f64_e32 v[180:181], v[138:139], v[132:133]
	v_fma_f64 v[136:137], v[136:137], v[132:133], -v[134:135]
	scratch_load_b128 v[132:135], off, off offset:704
	v_add_f64_e32 v[138:139], v[186:187], v[184:185]
	v_add_f64_e32 v[176:177], v[176:177], v[182:183]
	s_wait_loadcnt_dscnt 0xa00
	v_mul_f64_e32 v[182:183], v[144:145], v[142:143]
	v_mul_f64_e32 v[142:143], v[146:147], v[142:143]
	v_fmac_f64_e32 v[178:179], v[6:7], v[156:157]
	v_fma_f64 v[184:185], v[4:5], v[156:157], -v[158:159]
	v_add_f64_e32 v[186:187], v[138:139], v[136:137]
	v_add_f64_e32 v[176:177], v[176:177], v[180:181]
	ds_load_b128 v[4:7], v2 offset:1408
	ds_load_b128 v[136:139], v2 offset:1424
	scratch_load_b128 v[156:159], off, off offset:720
	v_fmac_f64_e32 v[182:183], v[146:147], v[140:141]
	v_fma_f64 v[144:145], v[144:145], v[140:141], -v[142:143]
	scratch_load_b128 v[140:143], off, off offset:736
	s_wait_loadcnt_dscnt 0xb01
	v_mul_f64_e32 v[180:181], v[4:5], v[174:175]
	v_mul_f64_e32 v[174:175], v[6:7], v[174:175]
	v_add_f64_e32 v[146:147], v[186:187], v[184:185]
	v_add_f64_e32 v[176:177], v[176:177], v[178:179]
	s_wait_loadcnt_dscnt 0xa00
	v_mul_f64_e32 v[178:179], v[136:137], v[10:11]
	v_mul_f64_e32 v[10:11], v[138:139], v[10:11]
	v_fmac_f64_e32 v[180:181], v[6:7], v[172:173]
	v_fma_f64 v[184:185], v[4:5], v[172:173], -v[174:175]
	v_add_f64_e32 v[186:187], v[146:147], v[144:145]
	v_add_f64_e32 v[176:177], v[176:177], v[182:183]
	ds_load_b128 v[4:7], v2 offset:1440
	ds_load_b128 v[144:147], v2 offset:1456
	scratch_load_b128 v[172:175], off, off offset:752
	v_fmac_f64_e32 v[178:179], v[138:139], v[8:9]
	v_fma_f64 v[136:137], v[136:137], v[8:9], -v[10:11]
	scratch_load_b128 v[8:11], off, off offset:768
	s_wait_loadcnt_dscnt 0xb01
	v_mul_f64_e32 v[182:183], v[4:5], v[162:163]
	v_mul_f64_e32 v[162:163], v[6:7], v[162:163]
	;; [unrolled: 18-line block ×4, first 2 shown]
	v_add_f64_e32 v[138:139], v[186:187], v[184:185]
	v_add_f64_e32 v[176:177], v[176:177], v[178:179]
	s_wait_loadcnt_dscnt 0xa00
	v_mul_f64_e32 v[178:179], v[144:145], v[130:131]
	v_mul_f64_e32 v[130:131], v[146:147], v[130:131]
	v_fmac_f64_e32 v[180:181], v[6:7], v[148:149]
	v_fma_f64 v[148:149], v[4:5], v[148:149], -v[150:151]
	v_add_f64_e32 v[150:151], v[138:139], v[136:137]
	v_add_f64_e32 v[176:177], v[176:177], v[182:183]
	ds_load_b128 v[4:7], v2 offset:1536
	ds_load_b128 v[136:139], v2 offset:1552
	v_fmac_f64_e32 v[178:179], v[146:147], v[128:129]
	v_fma_f64 v[128:129], v[144:145], v[128:129], -v[130:131]
	s_wait_loadcnt_dscnt 0x901
	v_mul_f64_e32 v[182:183], v[4:5], v[154:155]
	v_mul_f64_e32 v[154:155], v[6:7], v[154:155]
	s_wait_loadcnt_dscnt 0x800
	v_mul_f64_e32 v[146:147], v[136:137], v[134:135]
	v_mul_f64_e32 v[134:135], v[138:139], v[134:135]
	v_add_f64_e32 v[130:131], v[150:151], v[148:149]
	v_add_f64_e32 v[144:145], v[176:177], v[180:181]
	v_fmac_f64_e32 v[182:183], v[6:7], v[152:153]
	v_fma_f64 v[148:149], v[4:5], v[152:153], -v[154:155]
	v_fmac_f64_e32 v[146:147], v[138:139], v[132:133]
	v_fma_f64 v[132:133], v[136:137], v[132:133], -v[134:135]
	v_add_f64_e32 v[150:151], v[130:131], v[128:129]
	v_add_f64_e32 v[144:145], v[144:145], v[178:179]
	ds_load_b128 v[4:7], v2 offset:1568
	ds_load_b128 v[128:131], v2 offset:1584
	s_wait_loadcnt_dscnt 0x701
	v_mul_f64_e32 v[152:153], v[4:5], v[158:159]
	v_mul_f64_e32 v[154:155], v[6:7], v[158:159]
	s_wait_loadcnt_dscnt 0x600
	v_mul_f64_e32 v[138:139], v[128:129], v[142:143]
	v_mul_f64_e32 v[142:143], v[130:131], v[142:143]
	v_add_f64_e32 v[134:135], v[150:151], v[148:149]
	v_add_f64_e32 v[136:137], v[144:145], v[182:183]
	v_fmac_f64_e32 v[152:153], v[6:7], v[156:157]
	v_fma_f64 v[144:145], v[4:5], v[156:157], -v[154:155]
	v_fmac_f64_e32 v[138:139], v[130:131], v[140:141]
	v_fma_f64 v[128:129], v[128:129], v[140:141], -v[142:143]
	v_add_f64_e32 v[148:149], v[134:135], v[132:133]
	v_add_f64_e32 v[136:137], v[136:137], v[146:147]
	ds_load_b128 v[4:7], v2 offset:1600
	ds_load_b128 v[132:135], v2 offset:1616
	s_wait_loadcnt_dscnt 0x501
	v_mul_f64_e32 v[146:147], v[4:5], v[174:175]
	v_mul_f64_e32 v[150:151], v[6:7], v[174:175]
	s_wait_loadcnt_dscnt 0x400
	v_mul_f64_e32 v[140:141], v[132:133], v[10:11]
	v_mul_f64_e32 v[10:11], v[134:135], v[10:11]
	v_add_f64_e32 v[130:131], v[148:149], v[144:145]
	v_add_f64_e32 v[136:137], v[136:137], v[152:153]
	v_fmac_f64_e32 v[146:147], v[6:7], v[172:173]
	v_fma_f64 v[142:143], v[4:5], v[172:173], -v[150:151]
	v_fmac_f64_e32 v[140:141], v[134:135], v[8:9]
	v_fma_f64 v[8:9], v[132:133], v[8:9], -v[10:11]
	v_add_f64_e32 v[144:145], v[130:131], v[128:129]
	v_add_f64_e32 v[136:137], v[136:137], v[138:139]
	ds_load_b128 v[4:7], v2 offset:1632
	ds_load_b128 v[128:131], v2 offset:1648
	s_wait_loadcnt_dscnt 0x301
	v_mul_f64_e32 v[138:139], v[4:5], v[162:163]
	v_mul_f64_e32 v[148:149], v[6:7], v[162:163]
	s_wait_loadcnt_dscnt 0x200
	v_mul_f64_e32 v[134:135], v[128:129], v[126:127]
	v_mul_f64_e32 v[126:127], v[130:131], v[126:127]
	v_add_f64_e32 v[10:11], v[144:145], v[142:143]
	v_add_f64_e32 v[132:133], v[136:137], v[146:147]
	v_fmac_f64_e32 v[138:139], v[6:7], v[160:161]
	v_fma_f64 v[136:137], v[4:5], v[160:161], -v[148:149]
	v_fmac_f64_e32 v[134:135], v[130:131], v[124:125]
	v_fma_f64 v[124:125], v[128:129], v[124:125], -v[126:127]
	v_add_f64_e32 v[142:143], v[10:11], v[8:9]
	v_add_f64_e32 v[132:133], v[132:133], v[140:141]
	ds_load_b128 v[4:7], v2 offset:1664
	ds_load_b128 v[8:11], v2 offset:1680
	s_wait_loadcnt_dscnt 0x101
	v_mul_f64_e32 v[2:3], v[4:5], v[170:171]
	v_mul_f64_e32 v[140:141], v[6:7], v[170:171]
	s_wait_loadcnt_dscnt 0x0
	v_mul_f64_e32 v[130:131], v[8:9], v[14:15]
	v_mul_f64_e32 v[14:15], v[10:11], v[14:15]
	v_add_f64_e32 v[126:127], v[142:143], v[136:137]
	v_add_f64_e32 v[128:129], v[132:133], v[138:139]
	v_fmac_f64_e32 v[2:3], v[6:7], v[168:169]
	v_fma_f64 v[4:5], v[4:5], v[168:169], -v[140:141]
	v_fmac_f64_e32 v[130:131], v[10:11], v[12:13]
	v_fma_f64 v[8:9], v[8:9], v[12:13], -v[14:15]
	v_add_f64_e32 v[6:7], v[126:127], v[124:125]
	v_add_f64_e32 v[124:125], v[128:129], v[134:135]
	s_delay_alu instid0(VALU_DEP_2) | instskip(NEXT) | instid1(VALU_DEP_2)
	v_add_f64_e32 v[4:5], v[6:7], v[4:5]
	v_add_f64_e32 v[2:3], v[124:125], v[2:3]
	s_delay_alu instid0(VALU_DEP_2) | instskip(NEXT) | instid1(VALU_DEP_2)
	;; [unrolled: 3-line block ×3, first 2 shown]
	v_add_f64_e64 v[2:3], v[164:165], -v[4:5]
	v_add_f64_e64 v[4:5], v[166:167], -v[6:7]
	scratch_store_b128 off, v[2:5], off offset:160
	s_wait_xcnt 0x0
	v_cmpx_lt_u32_e32 9, v1
	s_cbranch_execz .LBB52_313
; %bb.312:
	scratch_load_b128 v[2:5], off, s55
	v_mov_b32_e32 v6, 0
	s_delay_alu instid0(VALU_DEP_1)
	v_dual_mov_b32 v7, v6 :: v_dual_mov_b32 v8, v6
	v_mov_b32_e32 v9, v6
	scratch_store_b128 off, v[6:9], off offset:144
	s_wait_loadcnt 0x0
	ds_store_b128 v122, v[2:5]
.LBB52_313:
	s_wait_xcnt 0x0
	s_or_b32 exec_lo, exec_lo, s2
	s_wait_storecnt_dscnt 0x0
	s_barrier_signal -1
	s_barrier_wait -1
	s_clause 0x9
	scratch_load_b128 v[4:7], off, off offset:160
	scratch_load_b128 v[8:11], off, off offset:176
	;; [unrolled: 1-line block ×10, first 2 shown]
	v_mov_b32_e32 v2, 0
	s_mov_b32 s2, exec_lo
	ds_load_b128 v[152:155], v2 offset:1008
	s_clause 0x2
	scratch_load_b128 v[156:159], off, off offset:320
	scratch_load_b128 v[160:163], off, off offset:144
	;; [unrolled: 1-line block ×3, first 2 shown]
	s_wait_loadcnt_dscnt 0xc00
	v_mul_f64_e32 v[172:173], v[154:155], v[6:7]
	v_mul_f64_e32 v[176:177], v[152:153], v[6:7]
	ds_load_b128 v[164:167], v2 offset:1024
	v_fma_f64 v[180:181], v[152:153], v[4:5], -v[172:173]
	v_fmac_f64_e32 v[176:177], v[154:155], v[4:5]
	ds_load_b128 v[4:7], v2 offset:1040
	s_wait_loadcnt_dscnt 0xb01
	v_mul_f64_e32 v[178:179], v[164:165], v[10:11]
	v_mul_f64_e32 v[10:11], v[166:167], v[10:11]
	scratch_load_b128 v[152:155], off, off offset:352
	ds_load_b128 v[172:175], v2 offset:1056
	s_wait_loadcnt_dscnt 0xb01
	v_mul_f64_e32 v[182:183], v[4:5], v[14:15]
	v_mul_f64_e32 v[14:15], v[6:7], v[14:15]
	v_add_f64_e32 v[176:177], 0, v[176:177]
	v_fmac_f64_e32 v[178:179], v[166:167], v[8:9]
	v_fma_f64 v[164:165], v[164:165], v[8:9], -v[10:11]
	v_add_f64_e32 v[166:167], 0, v[180:181]
	scratch_load_b128 v[8:11], off, off offset:368
	v_fmac_f64_e32 v[182:183], v[6:7], v[12:13]
	v_fma_f64 v[184:185], v[4:5], v[12:13], -v[14:15]
	ds_load_b128 v[4:7], v2 offset:1072
	s_wait_loadcnt_dscnt 0xb01
	v_mul_f64_e32 v[180:181], v[172:173], v[126:127]
	v_mul_f64_e32 v[126:127], v[174:175], v[126:127]
	scratch_load_b128 v[12:15], off, off offset:384
	v_add_f64_e32 v[176:177], v[176:177], v[178:179]
	v_add_f64_e32 v[186:187], v[166:167], v[164:165]
	ds_load_b128 v[164:167], v2 offset:1088
	s_wait_loadcnt_dscnt 0xb01
	v_mul_f64_e32 v[178:179], v[4:5], v[130:131]
	v_mul_f64_e32 v[130:131], v[6:7], v[130:131]
	v_fmac_f64_e32 v[180:181], v[174:175], v[124:125]
	v_fma_f64 v[172:173], v[172:173], v[124:125], -v[126:127]
	scratch_load_b128 v[124:127], off, off offset:400
	v_add_f64_e32 v[176:177], v[176:177], v[182:183]
	v_add_f64_e32 v[174:175], v[186:187], v[184:185]
	v_fmac_f64_e32 v[178:179], v[6:7], v[128:129]
	v_fma_f64 v[184:185], v[4:5], v[128:129], -v[130:131]
	ds_load_b128 v[4:7], v2 offset:1104
	s_wait_loadcnt_dscnt 0xb01
	v_mul_f64_e32 v[182:183], v[164:165], v[134:135]
	v_mul_f64_e32 v[134:135], v[166:167], v[134:135]
	scratch_load_b128 v[128:131], off, off offset:416
	v_add_f64_e32 v[176:177], v[176:177], v[180:181]
	s_wait_loadcnt_dscnt 0xb00
	v_mul_f64_e32 v[180:181], v[4:5], v[138:139]
	v_add_f64_e32 v[186:187], v[174:175], v[172:173]
	v_mul_f64_e32 v[138:139], v[6:7], v[138:139]
	ds_load_b128 v[172:175], v2 offset:1120
	v_fmac_f64_e32 v[182:183], v[166:167], v[132:133]
	v_fma_f64 v[164:165], v[164:165], v[132:133], -v[134:135]
	scratch_load_b128 v[132:135], off, off offset:432
	v_add_f64_e32 v[176:177], v[176:177], v[178:179]
	v_fmac_f64_e32 v[180:181], v[6:7], v[136:137]
	v_add_f64_e32 v[166:167], v[186:187], v[184:185]
	v_fma_f64 v[184:185], v[4:5], v[136:137], -v[138:139]
	ds_load_b128 v[4:7], v2 offset:1136
	s_wait_loadcnt_dscnt 0xb01
	v_mul_f64_e32 v[178:179], v[172:173], v[142:143]
	v_mul_f64_e32 v[142:143], v[174:175], v[142:143]
	scratch_load_b128 v[136:139], off, off offset:448
	v_add_f64_e32 v[176:177], v[176:177], v[182:183]
	s_wait_loadcnt_dscnt 0xb00
	v_mul_f64_e32 v[182:183], v[4:5], v[146:147]
	v_add_f64_e32 v[186:187], v[166:167], v[164:165]
	v_mul_f64_e32 v[146:147], v[6:7], v[146:147]
	ds_load_b128 v[164:167], v2 offset:1152
	v_fmac_f64_e32 v[178:179], v[174:175], v[140:141]
	v_fma_f64 v[172:173], v[172:173], v[140:141], -v[142:143]
	scratch_load_b128 v[140:143], off, off offset:464
	v_add_f64_e32 v[176:177], v[176:177], v[180:181]
	v_fmac_f64_e32 v[182:183], v[6:7], v[144:145]
	v_add_f64_e32 v[174:175], v[186:187], v[184:185]
	;; [unrolled: 18-line block ×3, first 2 shown]
	v_fma_f64 v[184:185], v[4:5], v[156:157], -v[158:159]
	ds_load_b128 v[4:7], v2 offset:1200
	s_wait_loadcnt_dscnt 0xa01
	v_mul_f64_e32 v[182:183], v[172:173], v[170:171]
	v_mul_f64_e32 v[170:171], v[174:175], v[170:171]
	scratch_load_b128 v[156:159], off, off offset:512
	v_add_f64_e32 v[176:177], v[176:177], v[180:181]
	v_add_f64_e32 v[186:187], v[166:167], v[164:165]
	s_wait_loadcnt_dscnt 0xa00
	v_mul_f64_e32 v[180:181], v[4:5], v[154:155]
	v_mul_f64_e32 v[154:155], v[6:7], v[154:155]
	v_fmac_f64_e32 v[182:183], v[174:175], v[168:169]
	v_fma_f64 v[172:173], v[172:173], v[168:169], -v[170:171]
	ds_load_b128 v[164:167], v2 offset:1216
	scratch_load_b128 v[168:171], off, off offset:528
	v_add_f64_e32 v[176:177], v[176:177], v[178:179]
	v_add_f64_e32 v[174:175], v[186:187], v[184:185]
	v_fmac_f64_e32 v[180:181], v[6:7], v[152:153]
	v_fma_f64 v[184:185], v[4:5], v[152:153], -v[154:155]
	ds_load_b128 v[4:7], v2 offset:1232
	s_wait_loadcnt_dscnt 0xa01
	v_mul_f64_e32 v[178:179], v[164:165], v[10:11]
	v_mul_f64_e32 v[10:11], v[166:167], v[10:11]
	scratch_load_b128 v[152:155], off, off offset:544
	v_add_f64_e32 v[176:177], v[176:177], v[182:183]
	s_wait_loadcnt_dscnt 0xa00
	v_mul_f64_e32 v[182:183], v[4:5], v[14:15]
	v_add_f64_e32 v[186:187], v[174:175], v[172:173]
	v_mul_f64_e32 v[14:15], v[6:7], v[14:15]
	ds_load_b128 v[172:175], v2 offset:1248
	v_fmac_f64_e32 v[178:179], v[166:167], v[8:9]
	v_fma_f64 v[164:165], v[164:165], v[8:9], -v[10:11]
	scratch_load_b128 v[8:11], off, off offset:560
	v_add_f64_e32 v[176:177], v[176:177], v[180:181]
	v_fmac_f64_e32 v[182:183], v[6:7], v[12:13]
	v_add_f64_e32 v[166:167], v[186:187], v[184:185]
	v_fma_f64 v[184:185], v[4:5], v[12:13], -v[14:15]
	ds_load_b128 v[4:7], v2 offset:1264
	s_wait_loadcnt_dscnt 0xa01
	v_mul_f64_e32 v[180:181], v[172:173], v[126:127]
	v_mul_f64_e32 v[126:127], v[174:175], v[126:127]
	scratch_load_b128 v[12:15], off, off offset:576
	v_add_f64_e32 v[176:177], v[176:177], v[178:179]
	s_wait_loadcnt_dscnt 0xa00
	v_mul_f64_e32 v[178:179], v[4:5], v[130:131]
	v_add_f64_e32 v[186:187], v[166:167], v[164:165]
	v_mul_f64_e32 v[130:131], v[6:7], v[130:131]
	ds_load_b128 v[164:167], v2 offset:1280
	v_fmac_f64_e32 v[180:181], v[174:175], v[124:125]
	v_fma_f64 v[172:173], v[172:173], v[124:125], -v[126:127]
	scratch_load_b128 v[124:127], off, off offset:592
	v_add_f64_e32 v[176:177], v[176:177], v[182:183]
	v_fmac_f64_e32 v[178:179], v[6:7], v[128:129]
	v_add_f64_e32 v[174:175], v[186:187], v[184:185]
	;; [unrolled: 18-line block ×9, first 2 shown]
	v_fma_f64 v[184:185], v[4:5], v[136:137], -v[138:139]
	ds_load_b128 v[4:7], v2 offset:1520
	s_wait_loadcnt_dscnt 0xa01
	v_mul_f64_e32 v[178:179], v[172:173], v[142:143]
	v_mul_f64_e32 v[142:143], v[174:175], v[142:143]
	scratch_load_b128 v[136:139], off, off offset:832
	v_add_f64_e32 v[176:177], v[176:177], v[182:183]
	s_wait_loadcnt_dscnt 0xa00
	v_mul_f64_e32 v[182:183], v[4:5], v[146:147]
	v_add_f64_e32 v[186:187], v[166:167], v[164:165]
	v_mul_f64_e32 v[146:147], v[6:7], v[146:147]
	ds_load_b128 v[164:167], v2 offset:1536
	v_fmac_f64_e32 v[178:179], v[174:175], v[140:141]
	v_fma_f64 v[140:141], v[172:173], v[140:141], -v[142:143]
	s_wait_loadcnt_dscnt 0x900
	v_mul_f64_e32 v[174:175], v[164:165], v[150:151]
	v_mul_f64_e32 v[150:151], v[166:167], v[150:151]
	v_add_f64_e32 v[172:173], v[176:177], v[180:181]
	v_fmac_f64_e32 v[182:183], v[6:7], v[144:145]
	v_add_f64_e32 v[142:143], v[186:187], v[184:185]
	v_fma_f64 v[144:145], v[4:5], v[144:145], -v[146:147]
	v_fmac_f64_e32 v[174:175], v[166:167], v[148:149]
	v_fma_f64 v[148:149], v[164:165], v[148:149], -v[150:151]
	v_add_f64_e32 v[172:173], v[172:173], v[178:179]
	v_add_f64_e32 v[146:147], v[142:143], v[140:141]
	ds_load_b128 v[4:7], v2 offset:1552
	ds_load_b128 v[140:143], v2 offset:1568
	s_wait_loadcnt_dscnt 0x801
	v_mul_f64_e32 v[176:177], v[4:5], v[158:159]
	v_mul_f64_e32 v[158:159], v[6:7], v[158:159]
	s_wait_loadcnt_dscnt 0x700
	v_mul_f64_e32 v[150:151], v[140:141], v[170:171]
	v_mul_f64_e32 v[164:165], v[142:143], v[170:171]
	v_add_f64_e32 v[144:145], v[146:147], v[144:145]
	v_add_f64_e32 v[146:147], v[172:173], v[182:183]
	v_fmac_f64_e32 v[176:177], v[6:7], v[156:157]
	v_fma_f64 v[156:157], v[4:5], v[156:157], -v[158:159]
	v_fmac_f64_e32 v[150:151], v[142:143], v[168:169]
	v_fma_f64 v[140:141], v[140:141], v[168:169], -v[164:165]
	v_add_f64_e32 v[148:149], v[144:145], v[148:149]
	v_add_f64_e32 v[158:159], v[146:147], v[174:175]
	ds_load_b128 v[4:7], v2 offset:1584
	ds_load_b128 v[144:147], v2 offset:1600
	s_wait_loadcnt_dscnt 0x601
	v_mul_f64_e32 v[166:167], v[4:5], v[154:155]
	v_mul_f64_e32 v[154:155], v[6:7], v[154:155]
	v_add_f64_e32 v[142:143], v[148:149], v[156:157]
	v_add_f64_e32 v[148:149], v[158:159], v[176:177]
	s_wait_loadcnt_dscnt 0x500
	v_mul_f64_e32 v[156:157], v[144:145], v[10:11]
	v_mul_f64_e32 v[10:11], v[146:147], v[10:11]
	v_fmac_f64_e32 v[166:167], v[6:7], v[152:153]
	v_fma_f64 v[152:153], v[4:5], v[152:153], -v[154:155]
	v_add_f64_e32 v[154:155], v[142:143], v[140:141]
	v_add_f64_e32 v[148:149], v[148:149], v[150:151]
	ds_load_b128 v[4:7], v2 offset:1616
	ds_load_b128 v[140:143], v2 offset:1632
	v_fmac_f64_e32 v[156:157], v[146:147], v[8:9]
	v_fma_f64 v[8:9], v[144:145], v[8:9], -v[10:11]
	s_wait_loadcnt_dscnt 0x401
	v_mul_f64_e32 v[150:151], v[4:5], v[14:15]
	v_mul_f64_e32 v[14:15], v[6:7], v[14:15]
	s_wait_loadcnt_dscnt 0x300
	v_mul_f64_e32 v[146:147], v[140:141], v[126:127]
	v_mul_f64_e32 v[126:127], v[142:143], v[126:127]
	v_add_f64_e32 v[10:11], v[154:155], v[152:153]
	v_add_f64_e32 v[144:145], v[148:149], v[166:167]
	v_fmac_f64_e32 v[150:151], v[6:7], v[12:13]
	v_fma_f64 v[12:13], v[4:5], v[12:13], -v[14:15]
	v_fmac_f64_e32 v[146:147], v[142:143], v[124:125]
	v_fma_f64 v[124:125], v[140:141], v[124:125], -v[126:127]
	v_add_f64_e32 v[14:15], v[10:11], v[8:9]
	v_add_f64_e32 v[144:145], v[144:145], v[156:157]
	ds_load_b128 v[4:7], v2 offset:1648
	ds_load_b128 v[8:11], v2 offset:1664
	s_wait_loadcnt_dscnt 0x201
	v_mul_f64_e32 v[148:149], v[4:5], v[130:131]
	v_mul_f64_e32 v[130:131], v[6:7], v[130:131]
	s_wait_loadcnt_dscnt 0x100
	v_mul_f64_e32 v[126:127], v[8:9], v[134:135]
	v_mul_f64_e32 v[134:135], v[10:11], v[134:135]
	v_add_f64_e32 v[12:13], v[14:15], v[12:13]
	v_add_f64_e32 v[14:15], v[144:145], v[150:151]
	v_fmac_f64_e32 v[148:149], v[6:7], v[128:129]
	v_fma_f64 v[128:129], v[4:5], v[128:129], -v[130:131]
	ds_load_b128 v[4:7], v2 offset:1680
	v_fmac_f64_e32 v[126:127], v[10:11], v[132:133]
	v_fma_f64 v[8:9], v[8:9], v[132:133], -v[134:135]
	v_add_f64_e32 v[12:13], v[12:13], v[124:125]
	v_add_f64_e32 v[14:15], v[14:15], v[146:147]
	s_wait_loadcnt_dscnt 0x0
	v_mul_f64_e32 v[124:125], v[4:5], v[138:139]
	v_mul_f64_e32 v[130:131], v[6:7], v[138:139]
	s_delay_alu instid0(VALU_DEP_4) | instskip(NEXT) | instid1(VALU_DEP_4)
	v_add_f64_e32 v[10:11], v[12:13], v[128:129]
	v_add_f64_e32 v[12:13], v[14:15], v[148:149]
	s_delay_alu instid0(VALU_DEP_4) | instskip(NEXT) | instid1(VALU_DEP_4)
	v_fmac_f64_e32 v[124:125], v[6:7], v[136:137]
	v_fma_f64 v[4:5], v[4:5], v[136:137], -v[130:131]
	s_delay_alu instid0(VALU_DEP_4) | instskip(NEXT) | instid1(VALU_DEP_4)
	v_add_f64_e32 v[6:7], v[10:11], v[8:9]
	v_add_f64_e32 v[8:9], v[12:13], v[126:127]
	s_delay_alu instid0(VALU_DEP_2) | instskip(NEXT) | instid1(VALU_DEP_2)
	v_add_f64_e32 v[4:5], v[6:7], v[4:5]
	v_add_f64_e32 v[6:7], v[8:9], v[124:125]
	s_delay_alu instid0(VALU_DEP_2) | instskip(NEXT) | instid1(VALU_DEP_2)
	v_add_f64_e64 v[4:5], v[160:161], -v[4:5]
	v_add_f64_e64 v[6:7], v[162:163], -v[6:7]
	scratch_store_b128 off, v[4:7], off offset:144
	s_wait_xcnt 0x0
	v_cmpx_lt_u32_e32 8, v1
	s_cbranch_execz .LBB52_315
; %bb.314:
	scratch_load_b128 v[6:9], off, s54
	v_dual_mov_b32 v3, v2 :: v_dual_mov_b32 v4, v2
	v_mov_b32_e32 v5, v2
	scratch_store_b128 off, v[2:5], off offset:128
	s_wait_loadcnt 0x0
	ds_store_b128 v122, v[6:9]
.LBB52_315:
	s_wait_xcnt 0x0
	s_or_b32 exec_lo, exec_lo, s2
	s_wait_storecnt_dscnt 0x0
	s_barrier_signal -1
	s_barrier_wait -1
	s_clause 0x9
	scratch_load_b128 v[4:7], off, off offset:144
	scratch_load_b128 v[8:11], off, off offset:160
	;; [unrolled: 1-line block ×10, first 2 shown]
	ds_load_b128 v[152:155], v2 offset:992
	ds_load_b128 v[160:163], v2 offset:1008
	s_clause 0x2
	scratch_load_b128 v[156:159], off, off offset:304
	scratch_load_b128 v[164:167], off, off offset:128
	;; [unrolled: 1-line block ×3, first 2 shown]
	s_mov_b32 s2, exec_lo
	s_wait_loadcnt_dscnt 0xc01
	v_mul_f64_e32 v[172:173], v[154:155], v[6:7]
	v_mul_f64_e32 v[176:177], v[152:153], v[6:7]
	s_wait_loadcnt_dscnt 0xb00
	v_mul_f64_e32 v[178:179], v[160:161], v[10:11]
	v_mul_f64_e32 v[10:11], v[162:163], v[10:11]
	s_delay_alu instid0(VALU_DEP_4) | instskip(NEXT) | instid1(VALU_DEP_4)
	v_fma_f64 v[180:181], v[152:153], v[4:5], -v[172:173]
	v_fmac_f64_e32 v[176:177], v[154:155], v[4:5]
	ds_load_b128 v[4:7], v2 offset:1024
	ds_load_b128 v[152:155], v2 offset:1040
	scratch_load_b128 v[172:175], off, off offset:336
	v_fmac_f64_e32 v[178:179], v[162:163], v[8:9]
	v_fma_f64 v[160:161], v[160:161], v[8:9], -v[10:11]
	scratch_load_b128 v[8:11], off, off offset:352
	s_wait_loadcnt_dscnt 0xc01
	v_mul_f64_e32 v[182:183], v[4:5], v[14:15]
	v_mul_f64_e32 v[14:15], v[6:7], v[14:15]
	v_add_f64_e32 v[162:163], 0, v[180:181]
	v_add_f64_e32 v[176:177], 0, v[176:177]
	s_wait_loadcnt_dscnt 0xb00
	v_mul_f64_e32 v[180:181], v[152:153], v[126:127]
	v_mul_f64_e32 v[126:127], v[154:155], v[126:127]
	v_fmac_f64_e32 v[182:183], v[6:7], v[12:13]
	v_fma_f64 v[184:185], v[4:5], v[12:13], -v[14:15]
	ds_load_b128 v[4:7], v2 offset:1056
	ds_load_b128 v[12:15], v2 offset:1072
	v_add_f64_e32 v[186:187], v[162:163], v[160:161]
	v_add_f64_e32 v[176:177], v[176:177], v[178:179]
	scratch_load_b128 v[160:163], off, off offset:368
	v_fmac_f64_e32 v[180:181], v[154:155], v[124:125]
	v_fma_f64 v[152:153], v[152:153], v[124:125], -v[126:127]
	scratch_load_b128 v[124:127], off, off offset:384
	s_wait_loadcnt_dscnt 0xc01
	v_mul_f64_e32 v[178:179], v[4:5], v[130:131]
	v_mul_f64_e32 v[130:131], v[6:7], v[130:131]
	v_add_f64_e32 v[154:155], v[186:187], v[184:185]
	v_add_f64_e32 v[176:177], v[176:177], v[182:183]
	s_wait_loadcnt_dscnt 0xb00
	v_mul_f64_e32 v[182:183], v[12:13], v[134:135]
	v_mul_f64_e32 v[134:135], v[14:15], v[134:135]
	v_fmac_f64_e32 v[178:179], v[6:7], v[128:129]
	v_fma_f64 v[184:185], v[4:5], v[128:129], -v[130:131]
	ds_load_b128 v[4:7], v2 offset:1088
	ds_load_b128 v[128:131], v2 offset:1104
	v_add_f64_e32 v[186:187], v[154:155], v[152:153]
	v_add_f64_e32 v[176:177], v[176:177], v[180:181]
	scratch_load_b128 v[152:155], off, off offset:400
	s_wait_loadcnt_dscnt 0xb01
	v_mul_f64_e32 v[180:181], v[4:5], v[138:139]
	v_mul_f64_e32 v[138:139], v[6:7], v[138:139]
	v_fmac_f64_e32 v[182:183], v[14:15], v[132:133]
	v_fma_f64 v[132:133], v[12:13], v[132:133], -v[134:135]
	scratch_load_b128 v[12:15], off, off offset:416
	v_add_f64_e32 v[134:135], v[186:187], v[184:185]
	v_add_f64_e32 v[176:177], v[176:177], v[178:179]
	s_wait_loadcnt_dscnt 0xb00
	v_mul_f64_e32 v[178:179], v[128:129], v[142:143]
	v_mul_f64_e32 v[142:143], v[130:131], v[142:143]
	v_fmac_f64_e32 v[180:181], v[6:7], v[136:137]
	v_fma_f64 v[184:185], v[4:5], v[136:137], -v[138:139]
	v_add_f64_e32 v[186:187], v[134:135], v[132:133]
	v_add_f64_e32 v[176:177], v[176:177], v[182:183]
	ds_load_b128 v[4:7], v2 offset:1120
	ds_load_b128 v[132:135], v2 offset:1136
	scratch_load_b128 v[136:139], off, off offset:432
	v_fmac_f64_e32 v[178:179], v[130:131], v[140:141]
	v_fma_f64 v[140:141], v[128:129], v[140:141], -v[142:143]
	scratch_load_b128 v[128:131], off, off offset:448
	s_wait_loadcnt_dscnt 0xc01
	v_mul_f64_e32 v[182:183], v[4:5], v[146:147]
	v_mul_f64_e32 v[146:147], v[6:7], v[146:147]
	v_add_f64_e32 v[142:143], v[186:187], v[184:185]
	v_add_f64_e32 v[176:177], v[176:177], v[180:181]
	s_wait_loadcnt_dscnt 0xb00
	v_mul_f64_e32 v[180:181], v[132:133], v[150:151]
	v_mul_f64_e32 v[150:151], v[134:135], v[150:151]
	v_fmac_f64_e32 v[182:183], v[6:7], v[144:145]
	v_fma_f64 v[184:185], v[4:5], v[144:145], -v[146:147]
	v_add_f64_e32 v[186:187], v[142:143], v[140:141]
	v_add_f64_e32 v[176:177], v[176:177], v[178:179]
	ds_load_b128 v[4:7], v2 offset:1152
	ds_load_b128 v[140:143], v2 offset:1168
	scratch_load_b128 v[144:147], off, off offset:464
	v_fmac_f64_e32 v[180:181], v[134:135], v[148:149]
	v_fma_f64 v[148:149], v[132:133], v[148:149], -v[150:151]
	scratch_load_b128 v[132:135], off, off offset:480
	s_wait_loadcnt_dscnt 0xc01
	v_mul_f64_e32 v[178:179], v[4:5], v[158:159]
	v_mul_f64_e32 v[158:159], v[6:7], v[158:159]
	;; [unrolled: 18-line block ×5, first 2 shown]
	v_add_f64_e32 v[170:171], v[186:187], v[184:185]
	v_add_f64_e32 v[176:177], v[176:177], v[182:183]
	s_wait_loadcnt_dscnt 0xa00
	v_mul_f64_e32 v[182:183], v[148:149], v[14:15]
	v_mul_f64_e32 v[14:15], v[150:151], v[14:15]
	v_fmac_f64_e32 v[178:179], v[6:7], v[152:153]
	v_fma_f64 v[184:185], v[4:5], v[152:153], -v[154:155]
	ds_load_b128 v[4:7], v2 offset:1280
	ds_load_b128 v[152:155], v2 offset:1296
	v_add_f64_e32 v[186:187], v[170:171], v[168:169]
	v_add_f64_e32 v[176:177], v[176:177], v[180:181]
	scratch_load_b128 v[168:171], off, off offset:592
	v_fmac_f64_e32 v[182:183], v[150:151], v[12:13]
	v_fma_f64 v[148:149], v[148:149], v[12:13], -v[14:15]
	scratch_load_b128 v[12:15], off, off offset:608
	s_wait_loadcnt_dscnt 0xb01
	v_mul_f64_e32 v[180:181], v[4:5], v[138:139]
	v_mul_f64_e32 v[138:139], v[6:7], v[138:139]
	v_add_f64_e32 v[150:151], v[186:187], v[184:185]
	v_add_f64_e32 v[176:177], v[176:177], v[178:179]
	s_wait_loadcnt_dscnt 0xa00
	v_mul_f64_e32 v[178:179], v[152:153], v[130:131]
	v_mul_f64_e32 v[130:131], v[154:155], v[130:131]
	v_fmac_f64_e32 v[180:181], v[6:7], v[136:137]
	v_fma_f64 v[184:185], v[4:5], v[136:137], -v[138:139]
	ds_load_b128 v[4:7], v2 offset:1312
	ds_load_b128 v[136:139], v2 offset:1328
	v_add_f64_e32 v[186:187], v[150:151], v[148:149]
	v_add_f64_e32 v[176:177], v[176:177], v[182:183]
	scratch_load_b128 v[148:151], off, off offset:624
	s_wait_loadcnt_dscnt 0xa01
	v_mul_f64_e32 v[182:183], v[4:5], v[146:147]
	v_mul_f64_e32 v[146:147], v[6:7], v[146:147]
	v_fmac_f64_e32 v[178:179], v[154:155], v[128:129]
	v_fma_f64 v[152:153], v[152:153], v[128:129], -v[130:131]
	scratch_load_b128 v[128:131], off, off offset:640
	v_add_f64_e32 v[154:155], v[186:187], v[184:185]
	v_add_f64_e32 v[176:177], v[176:177], v[180:181]
	s_wait_loadcnt_dscnt 0xa00
	v_mul_f64_e32 v[180:181], v[136:137], v[134:135]
	v_mul_f64_e32 v[134:135], v[138:139], v[134:135]
	v_fmac_f64_e32 v[182:183], v[6:7], v[144:145]
	v_fma_f64 v[184:185], v[4:5], v[144:145], -v[146:147]
	ds_load_b128 v[4:7], v2 offset:1344
	ds_load_b128 v[144:147], v2 offset:1360
	v_add_f64_e32 v[186:187], v[154:155], v[152:153]
	v_add_f64_e32 v[176:177], v[176:177], v[178:179]
	scratch_load_b128 v[152:155], off, off offset:656
	s_wait_loadcnt_dscnt 0xa01
	v_mul_f64_e32 v[178:179], v[4:5], v[158:159]
	v_mul_f64_e32 v[158:159], v[6:7], v[158:159]
	v_fmac_f64_e32 v[180:181], v[138:139], v[132:133]
	v_fma_f64 v[136:137], v[136:137], v[132:133], -v[134:135]
	scratch_load_b128 v[132:135], off, off offset:672
	v_add_f64_e32 v[138:139], v[186:187], v[184:185]
	v_add_f64_e32 v[176:177], v[176:177], v[182:183]
	s_wait_loadcnt_dscnt 0xa00
	v_mul_f64_e32 v[182:183], v[144:145], v[142:143]
	v_mul_f64_e32 v[142:143], v[146:147], v[142:143]
	v_fmac_f64_e32 v[178:179], v[6:7], v[156:157]
	v_fma_f64 v[184:185], v[4:5], v[156:157], -v[158:159]
	v_add_f64_e32 v[186:187], v[138:139], v[136:137]
	v_add_f64_e32 v[176:177], v[176:177], v[180:181]
	ds_load_b128 v[4:7], v2 offset:1376
	ds_load_b128 v[136:139], v2 offset:1392
	scratch_load_b128 v[156:159], off, off offset:688
	v_fmac_f64_e32 v[182:183], v[146:147], v[140:141]
	v_fma_f64 v[144:145], v[144:145], v[140:141], -v[142:143]
	scratch_load_b128 v[140:143], off, off offset:704
	s_wait_loadcnt_dscnt 0xb01
	v_mul_f64_e32 v[180:181], v[4:5], v[174:175]
	v_mul_f64_e32 v[174:175], v[6:7], v[174:175]
	v_add_f64_e32 v[146:147], v[186:187], v[184:185]
	v_add_f64_e32 v[176:177], v[176:177], v[178:179]
	s_wait_loadcnt_dscnt 0xa00
	v_mul_f64_e32 v[178:179], v[136:137], v[10:11]
	v_mul_f64_e32 v[10:11], v[138:139], v[10:11]
	v_fmac_f64_e32 v[180:181], v[6:7], v[172:173]
	v_fma_f64 v[184:185], v[4:5], v[172:173], -v[174:175]
	v_add_f64_e32 v[186:187], v[146:147], v[144:145]
	v_add_f64_e32 v[176:177], v[176:177], v[182:183]
	ds_load_b128 v[4:7], v2 offset:1408
	ds_load_b128 v[144:147], v2 offset:1424
	scratch_load_b128 v[172:175], off, off offset:720
	v_fmac_f64_e32 v[178:179], v[138:139], v[8:9]
	v_fma_f64 v[136:137], v[136:137], v[8:9], -v[10:11]
	scratch_load_b128 v[8:11], off, off offset:736
	s_wait_loadcnt_dscnt 0xb01
	v_mul_f64_e32 v[182:183], v[4:5], v[162:163]
	v_mul_f64_e32 v[162:163], v[6:7], v[162:163]
	;; [unrolled: 18-line block ×5, first 2 shown]
	v_add_f64_e32 v[146:147], v[186:187], v[184:185]
	v_add_f64_e32 v[176:177], v[176:177], v[180:181]
	s_wait_loadcnt_dscnt 0xa00
	v_mul_f64_e32 v[180:181], v[136:137], v[134:135]
	v_mul_f64_e32 v[134:135], v[138:139], v[134:135]
	v_fmac_f64_e32 v[182:183], v[6:7], v[152:153]
	v_fma_f64 v[152:153], v[4:5], v[152:153], -v[154:155]
	v_add_f64_e32 v[154:155], v[146:147], v[144:145]
	v_add_f64_e32 v[176:177], v[176:177], v[178:179]
	ds_load_b128 v[4:7], v2 offset:1536
	ds_load_b128 v[144:147], v2 offset:1552
	v_fmac_f64_e32 v[180:181], v[138:139], v[132:133]
	v_fma_f64 v[132:133], v[136:137], v[132:133], -v[134:135]
	s_wait_loadcnt_dscnt 0x901
	v_mul_f64_e32 v[178:179], v[4:5], v[158:159]
	v_mul_f64_e32 v[158:159], v[6:7], v[158:159]
	s_wait_loadcnt_dscnt 0x800
	v_mul_f64_e32 v[138:139], v[144:145], v[142:143]
	v_mul_f64_e32 v[142:143], v[146:147], v[142:143]
	v_add_f64_e32 v[134:135], v[154:155], v[152:153]
	v_add_f64_e32 v[136:137], v[176:177], v[182:183]
	v_fmac_f64_e32 v[178:179], v[6:7], v[156:157]
	v_fma_f64 v[152:153], v[4:5], v[156:157], -v[158:159]
	v_fmac_f64_e32 v[138:139], v[146:147], v[140:141]
	v_fma_f64 v[140:141], v[144:145], v[140:141], -v[142:143]
	v_add_f64_e32 v[154:155], v[134:135], v[132:133]
	v_add_f64_e32 v[136:137], v[136:137], v[180:181]
	ds_load_b128 v[4:7], v2 offset:1568
	ds_load_b128 v[132:135], v2 offset:1584
	s_wait_loadcnt_dscnt 0x701
	v_mul_f64_e32 v[156:157], v[4:5], v[174:175]
	v_mul_f64_e32 v[158:159], v[6:7], v[174:175]
	s_wait_loadcnt_dscnt 0x600
	v_mul_f64_e32 v[144:145], v[132:133], v[10:11]
	v_mul_f64_e32 v[10:11], v[134:135], v[10:11]
	v_add_f64_e32 v[142:143], v[154:155], v[152:153]
	v_add_f64_e32 v[136:137], v[136:137], v[178:179]
	v_fmac_f64_e32 v[156:157], v[6:7], v[172:173]
	v_fma_f64 v[146:147], v[4:5], v[172:173], -v[158:159]
	v_fmac_f64_e32 v[144:145], v[134:135], v[8:9]
	v_fma_f64 v[8:9], v[132:133], v[8:9], -v[10:11]
	v_add_f64_e32 v[140:141], v[142:143], v[140:141]
	v_add_f64_e32 v[142:143], v[136:137], v[138:139]
	ds_load_b128 v[4:7], v2 offset:1600
	ds_load_b128 v[136:139], v2 offset:1616
	;; [unrolled: 16-line block ×4, first 2 shown]
	s_wait_loadcnt_dscnt 0x101
	v_mul_f64_e32 v[2:3], v[4:5], v[150:151]
	v_mul_f64_e32 v[134:135], v[6:7], v[150:151]
	s_wait_loadcnt_dscnt 0x0
	v_mul_f64_e32 v[14:15], v[124:125], v[130:131]
	v_mul_f64_e32 v[130:131], v[126:127], v[130:131]
	v_add_f64_e32 v[10:11], v[140:141], v[138:139]
	v_add_f64_e32 v[12:13], v[132:133], v[144:145]
	v_fmac_f64_e32 v[2:3], v[6:7], v[148:149]
	v_fma_f64 v[4:5], v[4:5], v[148:149], -v[134:135]
	v_fmac_f64_e32 v[14:15], v[126:127], v[128:129]
	v_add_f64_e32 v[6:7], v[10:11], v[8:9]
	v_add_f64_e32 v[8:9], v[12:13], v[136:137]
	v_fma_f64 v[10:11], v[124:125], v[128:129], -v[130:131]
	s_delay_alu instid0(VALU_DEP_3) | instskip(NEXT) | instid1(VALU_DEP_3)
	v_add_f64_e32 v[4:5], v[6:7], v[4:5]
	v_add_f64_e32 v[2:3], v[8:9], v[2:3]
	s_delay_alu instid0(VALU_DEP_2) | instskip(NEXT) | instid1(VALU_DEP_2)
	v_add_f64_e32 v[4:5], v[4:5], v[10:11]
	v_add_f64_e32 v[6:7], v[2:3], v[14:15]
	s_delay_alu instid0(VALU_DEP_2) | instskip(NEXT) | instid1(VALU_DEP_2)
	v_add_f64_e64 v[2:3], v[164:165], -v[4:5]
	v_add_f64_e64 v[4:5], v[166:167], -v[6:7]
	scratch_store_b128 off, v[2:5], off offset:128
	s_wait_xcnt 0x0
	v_cmpx_lt_u32_e32 7, v1
	s_cbranch_execz .LBB52_317
; %bb.316:
	scratch_load_b128 v[2:5], off, s61
	v_mov_b32_e32 v6, 0
	s_delay_alu instid0(VALU_DEP_1)
	v_dual_mov_b32 v7, v6 :: v_dual_mov_b32 v8, v6
	v_mov_b32_e32 v9, v6
	scratch_store_b128 off, v[6:9], off offset:112
	s_wait_loadcnt 0x0
	ds_store_b128 v122, v[2:5]
.LBB52_317:
	s_wait_xcnt 0x0
	s_or_b32 exec_lo, exec_lo, s2
	s_wait_storecnt_dscnt 0x0
	s_barrier_signal -1
	s_barrier_wait -1
	s_clause 0x9
	scratch_load_b128 v[4:7], off, off offset:128
	scratch_load_b128 v[8:11], off, off offset:144
	scratch_load_b128 v[12:15], off, off offset:160
	scratch_load_b128 v[124:127], off, off offset:176
	scratch_load_b128 v[128:131], off, off offset:192
	scratch_load_b128 v[132:135], off, off offset:208
	scratch_load_b128 v[136:139], off, off offset:224
	scratch_load_b128 v[140:143], off, off offset:240
	scratch_load_b128 v[144:147], off, off offset:256
	scratch_load_b128 v[148:151], off, off offset:272
	v_mov_b32_e32 v2, 0
	s_mov_b32 s2, exec_lo
	ds_load_b128 v[152:155], v2 offset:976
	s_clause 0x2
	scratch_load_b128 v[156:159], off, off offset:288
	scratch_load_b128 v[160:163], off, off offset:112
	;; [unrolled: 1-line block ×3, first 2 shown]
	s_wait_loadcnt_dscnt 0xc00
	v_mul_f64_e32 v[172:173], v[154:155], v[6:7]
	v_mul_f64_e32 v[176:177], v[152:153], v[6:7]
	ds_load_b128 v[164:167], v2 offset:992
	v_fma_f64 v[180:181], v[152:153], v[4:5], -v[172:173]
	v_fmac_f64_e32 v[176:177], v[154:155], v[4:5]
	ds_load_b128 v[4:7], v2 offset:1008
	s_wait_loadcnt_dscnt 0xb01
	v_mul_f64_e32 v[178:179], v[164:165], v[10:11]
	v_mul_f64_e32 v[10:11], v[166:167], v[10:11]
	scratch_load_b128 v[152:155], off, off offset:320
	ds_load_b128 v[172:175], v2 offset:1024
	s_wait_loadcnt_dscnt 0xb01
	v_mul_f64_e32 v[182:183], v[4:5], v[14:15]
	v_mul_f64_e32 v[14:15], v[6:7], v[14:15]
	v_add_f64_e32 v[176:177], 0, v[176:177]
	v_fmac_f64_e32 v[178:179], v[166:167], v[8:9]
	v_fma_f64 v[164:165], v[164:165], v[8:9], -v[10:11]
	v_add_f64_e32 v[166:167], 0, v[180:181]
	scratch_load_b128 v[8:11], off, off offset:336
	v_fmac_f64_e32 v[182:183], v[6:7], v[12:13]
	v_fma_f64 v[184:185], v[4:5], v[12:13], -v[14:15]
	ds_load_b128 v[4:7], v2 offset:1040
	s_wait_loadcnt_dscnt 0xb01
	v_mul_f64_e32 v[180:181], v[172:173], v[126:127]
	v_mul_f64_e32 v[126:127], v[174:175], v[126:127]
	scratch_load_b128 v[12:15], off, off offset:352
	v_add_f64_e32 v[176:177], v[176:177], v[178:179]
	v_add_f64_e32 v[186:187], v[166:167], v[164:165]
	ds_load_b128 v[164:167], v2 offset:1056
	s_wait_loadcnt_dscnt 0xb01
	v_mul_f64_e32 v[178:179], v[4:5], v[130:131]
	v_mul_f64_e32 v[130:131], v[6:7], v[130:131]
	v_fmac_f64_e32 v[180:181], v[174:175], v[124:125]
	v_fma_f64 v[172:173], v[172:173], v[124:125], -v[126:127]
	scratch_load_b128 v[124:127], off, off offset:368
	v_add_f64_e32 v[176:177], v[176:177], v[182:183]
	v_add_f64_e32 v[174:175], v[186:187], v[184:185]
	v_fmac_f64_e32 v[178:179], v[6:7], v[128:129]
	v_fma_f64 v[184:185], v[4:5], v[128:129], -v[130:131]
	ds_load_b128 v[4:7], v2 offset:1072
	s_wait_loadcnt_dscnt 0xb01
	v_mul_f64_e32 v[182:183], v[164:165], v[134:135]
	v_mul_f64_e32 v[134:135], v[166:167], v[134:135]
	scratch_load_b128 v[128:131], off, off offset:384
	v_add_f64_e32 v[176:177], v[176:177], v[180:181]
	s_wait_loadcnt_dscnt 0xb00
	v_mul_f64_e32 v[180:181], v[4:5], v[138:139]
	v_add_f64_e32 v[186:187], v[174:175], v[172:173]
	v_mul_f64_e32 v[138:139], v[6:7], v[138:139]
	ds_load_b128 v[172:175], v2 offset:1088
	v_fmac_f64_e32 v[182:183], v[166:167], v[132:133]
	v_fma_f64 v[164:165], v[164:165], v[132:133], -v[134:135]
	scratch_load_b128 v[132:135], off, off offset:400
	v_add_f64_e32 v[176:177], v[176:177], v[178:179]
	v_fmac_f64_e32 v[180:181], v[6:7], v[136:137]
	v_add_f64_e32 v[166:167], v[186:187], v[184:185]
	v_fma_f64 v[184:185], v[4:5], v[136:137], -v[138:139]
	ds_load_b128 v[4:7], v2 offset:1104
	s_wait_loadcnt_dscnt 0xb01
	v_mul_f64_e32 v[178:179], v[172:173], v[142:143]
	v_mul_f64_e32 v[142:143], v[174:175], v[142:143]
	scratch_load_b128 v[136:139], off, off offset:416
	v_add_f64_e32 v[176:177], v[176:177], v[182:183]
	s_wait_loadcnt_dscnt 0xb00
	v_mul_f64_e32 v[182:183], v[4:5], v[146:147]
	v_add_f64_e32 v[186:187], v[166:167], v[164:165]
	v_mul_f64_e32 v[146:147], v[6:7], v[146:147]
	ds_load_b128 v[164:167], v2 offset:1120
	v_fmac_f64_e32 v[178:179], v[174:175], v[140:141]
	v_fma_f64 v[172:173], v[172:173], v[140:141], -v[142:143]
	scratch_load_b128 v[140:143], off, off offset:432
	v_add_f64_e32 v[176:177], v[176:177], v[180:181]
	v_fmac_f64_e32 v[182:183], v[6:7], v[144:145]
	v_add_f64_e32 v[174:175], v[186:187], v[184:185]
	;; [unrolled: 18-line block ×3, first 2 shown]
	v_fma_f64 v[184:185], v[4:5], v[156:157], -v[158:159]
	ds_load_b128 v[4:7], v2 offset:1168
	s_wait_loadcnt_dscnt 0xa01
	v_mul_f64_e32 v[182:183], v[172:173], v[170:171]
	v_mul_f64_e32 v[170:171], v[174:175], v[170:171]
	scratch_load_b128 v[156:159], off, off offset:480
	v_add_f64_e32 v[176:177], v[176:177], v[180:181]
	v_add_f64_e32 v[186:187], v[166:167], v[164:165]
	s_wait_loadcnt_dscnt 0xa00
	v_mul_f64_e32 v[180:181], v[4:5], v[154:155]
	v_mul_f64_e32 v[154:155], v[6:7], v[154:155]
	v_fmac_f64_e32 v[182:183], v[174:175], v[168:169]
	v_fma_f64 v[172:173], v[172:173], v[168:169], -v[170:171]
	ds_load_b128 v[164:167], v2 offset:1184
	scratch_load_b128 v[168:171], off, off offset:496
	v_add_f64_e32 v[176:177], v[176:177], v[178:179]
	v_add_f64_e32 v[174:175], v[186:187], v[184:185]
	v_fmac_f64_e32 v[180:181], v[6:7], v[152:153]
	v_fma_f64 v[184:185], v[4:5], v[152:153], -v[154:155]
	ds_load_b128 v[4:7], v2 offset:1200
	s_wait_loadcnt_dscnt 0xa01
	v_mul_f64_e32 v[178:179], v[164:165], v[10:11]
	v_mul_f64_e32 v[10:11], v[166:167], v[10:11]
	scratch_load_b128 v[152:155], off, off offset:512
	v_add_f64_e32 v[176:177], v[176:177], v[182:183]
	s_wait_loadcnt_dscnt 0xa00
	v_mul_f64_e32 v[182:183], v[4:5], v[14:15]
	v_add_f64_e32 v[186:187], v[174:175], v[172:173]
	v_mul_f64_e32 v[14:15], v[6:7], v[14:15]
	ds_load_b128 v[172:175], v2 offset:1216
	v_fmac_f64_e32 v[178:179], v[166:167], v[8:9]
	v_fma_f64 v[164:165], v[164:165], v[8:9], -v[10:11]
	scratch_load_b128 v[8:11], off, off offset:528
	v_add_f64_e32 v[176:177], v[176:177], v[180:181]
	v_fmac_f64_e32 v[182:183], v[6:7], v[12:13]
	v_add_f64_e32 v[166:167], v[186:187], v[184:185]
	v_fma_f64 v[184:185], v[4:5], v[12:13], -v[14:15]
	ds_load_b128 v[4:7], v2 offset:1232
	s_wait_loadcnt_dscnt 0xa01
	v_mul_f64_e32 v[180:181], v[172:173], v[126:127]
	v_mul_f64_e32 v[126:127], v[174:175], v[126:127]
	scratch_load_b128 v[12:15], off, off offset:544
	v_add_f64_e32 v[176:177], v[176:177], v[178:179]
	s_wait_loadcnt_dscnt 0xa00
	v_mul_f64_e32 v[178:179], v[4:5], v[130:131]
	v_add_f64_e32 v[186:187], v[166:167], v[164:165]
	v_mul_f64_e32 v[130:131], v[6:7], v[130:131]
	ds_load_b128 v[164:167], v2 offset:1248
	v_fmac_f64_e32 v[180:181], v[174:175], v[124:125]
	v_fma_f64 v[172:173], v[172:173], v[124:125], -v[126:127]
	scratch_load_b128 v[124:127], off, off offset:560
	v_add_f64_e32 v[176:177], v[176:177], v[182:183]
	v_fmac_f64_e32 v[178:179], v[6:7], v[128:129]
	v_add_f64_e32 v[174:175], v[186:187], v[184:185]
	;; [unrolled: 18-line block ×10, first 2 shown]
	v_fma_f64 v[184:185], v[4:5], v[144:145], -v[146:147]
	ds_load_b128 v[4:7], v2 offset:1520
	s_wait_loadcnt_dscnt 0xa01
	v_mul_f64_e32 v[180:181], v[164:165], v[150:151]
	v_mul_f64_e32 v[150:151], v[166:167], v[150:151]
	scratch_load_b128 v[144:147], off, off offset:832
	v_add_f64_e32 v[176:177], v[176:177], v[178:179]
	s_wait_loadcnt_dscnt 0xa00
	v_mul_f64_e32 v[178:179], v[4:5], v[158:159]
	v_add_f64_e32 v[186:187], v[174:175], v[172:173]
	v_mul_f64_e32 v[158:159], v[6:7], v[158:159]
	ds_load_b128 v[172:175], v2 offset:1536
	v_fmac_f64_e32 v[180:181], v[166:167], v[148:149]
	v_fma_f64 v[148:149], v[164:165], v[148:149], -v[150:151]
	s_wait_loadcnt_dscnt 0x900
	v_mul_f64_e32 v[166:167], v[172:173], v[170:171]
	v_mul_f64_e32 v[170:171], v[174:175], v[170:171]
	v_add_f64_e32 v[164:165], v[176:177], v[182:183]
	v_fmac_f64_e32 v[178:179], v[6:7], v[156:157]
	v_add_f64_e32 v[150:151], v[186:187], v[184:185]
	v_fma_f64 v[156:157], v[4:5], v[156:157], -v[158:159]
	v_fmac_f64_e32 v[166:167], v[174:175], v[168:169]
	v_fma_f64 v[168:169], v[172:173], v[168:169], -v[170:171]
	v_add_f64_e32 v[164:165], v[164:165], v[180:181]
	v_add_f64_e32 v[158:159], v[150:151], v[148:149]
	ds_load_b128 v[4:7], v2 offset:1552
	ds_load_b128 v[148:151], v2 offset:1568
	s_wait_loadcnt_dscnt 0x801
	v_mul_f64_e32 v[176:177], v[4:5], v[154:155]
	v_mul_f64_e32 v[154:155], v[6:7], v[154:155]
	v_add_f64_e32 v[156:157], v[158:159], v[156:157]
	v_add_f64_e32 v[158:159], v[164:165], v[178:179]
	s_wait_loadcnt_dscnt 0x700
	v_mul_f64_e32 v[164:165], v[148:149], v[10:11]
	v_mul_f64_e32 v[10:11], v[150:151], v[10:11]
	v_fmac_f64_e32 v[176:177], v[6:7], v[152:153]
	v_fma_f64 v[170:171], v[4:5], v[152:153], -v[154:155]
	ds_load_b128 v[4:7], v2 offset:1584
	ds_load_b128 v[152:155], v2 offset:1600
	v_add_f64_e32 v[156:157], v[156:157], v[168:169]
	v_add_f64_e32 v[158:159], v[158:159], v[166:167]
	v_fmac_f64_e32 v[164:165], v[150:151], v[8:9]
	v_fma_f64 v[8:9], v[148:149], v[8:9], -v[10:11]
	s_wait_loadcnt_dscnt 0x601
	v_mul_f64_e32 v[166:167], v[4:5], v[14:15]
	v_mul_f64_e32 v[14:15], v[6:7], v[14:15]
	s_wait_loadcnt_dscnt 0x500
	v_mul_f64_e32 v[150:151], v[152:153], v[126:127]
	v_mul_f64_e32 v[126:127], v[154:155], v[126:127]
	v_add_f64_e32 v[10:11], v[156:157], v[170:171]
	v_add_f64_e32 v[148:149], v[158:159], v[176:177]
	v_fmac_f64_e32 v[166:167], v[6:7], v[12:13]
	v_fma_f64 v[12:13], v[4:5], v[12:13], -v[14:15]
	v_fmac_f64_e32 v[150:151], v[154:155], v[124:125]
	v_fma_f64 v[124:125], v[152:153], v[124:125], -v[126:127]
	v_add_f64_e32 v[14:15], v[10:11], v[8:9]
	v_add_f64_e32 v[148:149], v[148:149], v[164:165]
	ds_load_b128 v[4:7], v2 offset:1616
	ds_load_b128 v[8:11], v2 offset:1632
	s_wait_loadcnt_dscnt 0x401
	v_mul_f64_e32 v[156:157], v[4:5], v[130:131]
	v_mul_f64_e32 v[130:131], v[6:7], v[130:131]
	s_wait_loadcnt_dscnt 0x300
	v_mul_f64_e32 v[126:127], v[8:9], v[134:135]
	v_mul_f64_e32 v[134:135], v[10:11], v[134:135]
	v_add_f64_e32 v[12:13], v[14:15], v[12:13]
	v_add_f64_e32 v[14:15], v[148:149], v[166:167]
	v_fmac_f64_e32 v[156:157], v[6:7], v[128:129]
	v_fma_f64 v[128:129], v[4:5], v[128:129], -v[130:131]
	v_fmac_f64_e32 v[126:127], v[10:11], v[132:133]
	v_fma_f64 v[8:9], v[8:9], v[132:133], -v[134:135]
	v_add_f64_e32 v[124:125], v[12:13], v[124:125]
	v_add_f64_e32 v[130:131], v[14:15], v[150:151]
	ds_load_b128 v[4:7], v2 offset:1648
	ds_load_b128 v[12:15], v2 offset:1664
	s_wait_loadcnt_dscnt 0x201
	v_mul_f64_e32 v[148:149], v[4:5], v[138:139]
	v_mul_f64_e32 v[138:139], v[6:7], v[138:139]
	v_add_f64_e32 v[10:11], v[124:125], v[128:129]
	v_add_f64_e32 v[124:125], v[130:131], v[156:157]
	s_wait_loadcnt_dscnt 0x100
	v_mul_f64_e32 v[128:129], v[12:13], v[142:143]
	v_mul_f64_e32 v[130:131], v[14:15], v[142:143]
	v_fmac_f64_e32 v[148:149], v[6:7], v[136:137]
	v_fma_f64 v[132:133], v[4:5], v[136:137], -v[138:139]
	ds_load_b128 v[4:7], v2 offset:1680
	v_add_f64_e32 v[8:9], v[10:11], v[8:9]
	v_add_f64_e32 v[10:11], v[124:125], v[126:127]
	v_fmac_f64_e32 v[128:129], v[14:15], v[140:141]
	v_fma_f64 v[12:13], v[12:13], v[140:141], -v[130:131]
	s_wait_loadcnt_dscnt 0x0
	v_mul_f64_e32 v[124:125], v[4:5], v[146:147]
	v_mul_f64_e32 v[126:127], v[6:7], v[146:147]
	v_add_f64_e32 v[8:9], v[8:9], v[132:133]
	v_add_f64_e32 v[10:11], v[10:11], v[148:149]
	s_delay_alu instid0(VALU_DEP_4) | instskip(NEXT) | instid1(VALU_DEP_4)
	v_fmac_f64_e32 v[124:125], v[6:7], v[144:145]
	v_fma_f64 v[4:5], v[4:5], v[144:145], -v[126:127]
	s_delay_alu instid0(VALU_DEP_4) | instskip(NEXT) | instid1(VALU_DEP_4)
	v_add_f64_e32 v[6:7], v[8:9], v[12:13]
	v_add_f64_e32 v[8:9], v[10:11], v[128:129]
	s_delay_alu instid0(VALU_DEP_2) | instskip(NEXT) | instid1(VALU_DEP_2)
	v_add_f64_e32 v[4:5], v[6:7], v[4:5]
	v_add_f64_e32 v[6:7], v[8:9], v[124:125]
	s_delay_alu instid0(VALU_DEP_2) | instskip(NEXT) | instid1(VALU_DEP_2)
	v_add_f64_e64 v[4:5], v[160:161], -v[4:5]
	v_add_f64_e64 v[6:7], v[162:163], -v[6:7]
	scratch_store_b128 off, v[4:7], off offset:112
	s_wait_xcnt 0x0
	v_cmpx_lt_u32_e32 6, v1
	s_cbranch_execz .LBB52_319
; %bb.318:
	scratch_load_b128 v[6:9], off, s58
	v_dual_mov_b32 v3, v2 :: v_dual_mov_b32 v4, v2
	v_mov_b32_e32 v5, v2
	scratch_store_b128 off, v[2:5], off offset:96
	s_wait_loadcnt 0x0
	ds_store_b128 v122, v[6:9]
.LBB52_319:
	s_wait_xcnt 0x0
	s_or_b32 exec_lo, exec_lo, s2
	s_wait_storecnt_dscnt 0x0
	s_barrier_signal -1
	s_barrier_wait -1
	s_clause 0x9
	scratch_load_b128 v[4:7], off, off offset:112
	scratch_load_b128 v[8:11], off, off offset:128
	;; [unrolled: 1-line block ×10, first 2 shown]
	ds_load_b128 v[152:155], v2 offset:960
	ds_load_b128 v[160:163], v2 offset:976
	s_clause 0x2
	scratch_load_b128 v[156:159], off, off offset:272
	scratch_load_b128 v[164:167], off, off offset:96
	scratch_load_b128 v[168:171], off, off offset:288
	s_mov_b32 s2, exec_lo
	s_wait_loadcnt_dscnt 0xc01
	v_mul_f64_e32 v[172:173], v[154:155], v[6:7]
	v_mul_f64_e32 v[176:177], v[152:153], v[6:7]
	s_wait_loadcnt_dscnt 0xb00
	v_mul_f64_e32 v[178:179], v[160:161], v[10:11]
	v_mul_f64_e32 v[10:11], v[162:163], v[10:11]
	s_delay_alu instid0(VALU_DEP_4) | instskip(NEXT) | instid1(VALU_DEP_4)
	v_fma_f64 v[180:181], v[152:153], v[4:5], -v[172:173]
	v_fmac_f64_e32 v[176:177], v[154:155], v[4:5]
	ds_load_b128 v[4:7], v2 offset:992
	ds_load_b128 v[152:155], v2 offset:1008
	scratch_load_b128 v[172:175], off, off offset:304
	v_fmac_f64_e32 v[178:179], v[162:163], v[8:9]
	v_fma_f64 v[160:161], v[160:161], v[8:9], -v[10:11]
	scratch_load_b128 v[8:11], off, off offset:320
	s_wait_loadcnt_dscnt 0xc01
	v_mul_f64_e32 v[182:183], v[4:5], v[14:15]
	v_mul_f64_e32 v[14:15], v[6:7], v[14:15]
	v_add_f64_e32 v[162:163], 0, v[180:181]
	v_add_f64_e32 v[176:177], 0, v[176:177]
	s_wait_loadcnt_dscnt 0xb00
	v_mul_f64_e32 v[180:181], v[152:153], v[126:127]
	v_mul_f64_e32 v[126:127], v[154:155], v[126:127]
	v_fmac_f64_e32 v[182:183], v[6:7], v[12:13]
	v_fma_f64 v[184:185], v[4:5], v[12:13], -v[14:15]
	ds_load_b128 v[4:7], v2 offset:1024
	ds_load_b128 v[12:15], v2 offset:1040
	v_add_f64_e32 v[186:187], v[162:163], v[160:161]
	v_add_f64_e32 v[176:177], v[176:177], v[178:179]
	scratch_load_b128 v[160:163], off, off offset:336
	v_fmac_f64_e32 v[180:181], v[154:155], v[124:125]
	v_fma_f64 v[152:153], v[152:153], v[124:125], -v[126:127]
	scratch_load_b128 v[124:127], off, off offset:352
	s_wait_loadcnt_dscnt 0xc01
	v_mul_f64_e32 v[178:179], v[4:5], v[130:131]
	v_mul_f64_e32 v[130:131], v[6:7], v[130:131]
	v_add_f64_e32 v[154:155], v[186:187], v[184:185]
	v_add_f64_e32 v[176:177], v[176:177], v[182:183]
	s_wait_loadcnt_dscnt 0xb00
	v_mul_f64_e32 v[182:183], v[12:13], v[134:135]
	v_mul_f64_e32 v[134:135], v[14:15], v[134:135]
	v_fmac_f64_e32 v[178:179], v[6:7], v[128:129]
	v_fma_f64 v[184:185], v[4:5], v[128:129], -v[130:131]
	ds_load_b128 v[4:7], v2 offset:1056
	ds_load_b128 v[128:131], v2 offset:1072
	v_add_f64_e32 v[186:187], v[154:155], v[152:153]
	v_add_f64_e32 v[176:177], v[176:177], v[180:181]
	scratch_load_b128 v[152:155], off, off offset:368
	s_wait_loadcnt_dscnt 0xb01
	v_mul_f64_e32 v[180:181], v[4:5], v[138:139]
	v_mul_f64_e32 v[138:139], v[6:7], v[138:139]
	v_fmac_f64_e32 v[182:183], v[14:15], v[132:133]
	v_fma_f64 v[132:133], v[12:13], v[132:133], -v[134:135]
	scratch_load_b128 v[12:15], off, off offset:384
	v_add_f64_e32 v[134:135], v[186:187], v[184:185]
	v_add_f64_e32 v[176:177], v[176:177], v[178:179]
	s_wait_loadcnt_dscnt 0xb00
	v_mul_f64_e32 v[178:179], v[128:129], v[142:143]
	v_mul_f64_e32 v[142:143], v[130:131], v[142:143]
	v_fmac_f64_e32 v[180:181], v[6:7], v[136:137]
	v_fma_f64 v[184:185], v[4:5], v[136:137], -v[138:139]
	v_add_f64_e32 v[186:187], v[134:135], v[132:133]
	v_add_f64_e32 v[176:177], v[176:177], v[182:183]
	ds_load_b128 v[4:7], v2 offset:1088
	ds_load_b128 v[132:135], v2 offset:1104
	scratch_load_b128 v[136:139], off, off offset:400
	v_fmac_f64_e32 v[178:179], v[130:131], v[140:141]
	v_fma_f64 v[140:141], v[128:129], v[140:141], -v[142:143]
	scratch_load_b128 v[128:131], off, off offset:416
	s_wait_loadcnt_dscnt 0xc01
	v_mul_f64_e32 v[182:183], v[4:5], v[146:147]
	v_mul_f64_e32 v[146:147], v[6:7], v[146:147]
	v_add_f64_e32 v[142:143], v[186:187], v[184:185]
	v_add_f64_e32 v[176:177], v[176:177], v[180:181]
	s_wait_loadcnt_dscnt 0xb00
	v_mul_f64_e32 v[180:181], v[132:133], v[150:151]
	v_mul_f64_e32 v[150:151], v[134:135], v[150:151]
	v_fmac_f64_e32 v[182:183], v[6:7], v[144:145]
	v_fma_f64 v[184:185], v[4:5], v[144:145], -v[146:147]
	v_add_f64_e32 v[186:187], v[142:143], v[140:141]
	v_add_f64_e32 v[176:177], v[176:177], v[178:179]
	ds_load_b128 v[4:7], v2 offset:1120
	ds_load_b128 v[140:143], v2 offset:1136
	scratch_load_b128 v[144:147], off, off offset:432
	v_fmac_f64_e32 v[180:181], v[134:135], v[148:149]
	v_fma_f64 v[148:149], v[132:133], v[148:149], -v[150:151]
	scratch_load_b128 v[132:135], off, off offset:448
	s_wait_loadcnt_dscnt 0xc01
	v_mul_f64_e32 v[178:179], v[4:5], v[158:159]
	v_mul_f64_e32 v[158:159], v[6:7], v[158:159]
	;; [unrolled: 18-line block ×5, first 2 shown]
	v_add_f64_e32 v[170:171], v[186:187], v[184:185]
	v_add_f64_e32 v[176:177], v[176:177], v[182:183]
	s_wait_loadcnt_dscnt 0xa00
	v_mul_f64_e32 v[182:183], v[148:149], v[14:15]
	v_mul_f64_e32 v[14:15], v[150:151], v[14:15]
	v_fmac_f64_e32 v[178:179], v[6:7], v[152:153]
	v_fma_f64 v[184:185], v[4:5], v[152:153], -v[154:155]
	ds_load_b128 v[4:7], v2 offset:1248
	ds_load_b128 v[152:155], v2 offset:1264
	v_add_f64_e32 v[186:187], v[170:171], v[168:169]
	v_add_f64_e32 v[176:177], v[176:177], v[180:181]
	scratch_load_b128 v[168:171], off, off offset:560
	v_fmac_f64_e32 v[182:183], v[150:151], v[12:13]
	v_fma_f64 v[148:149], v[148:149], v[12:13], -v[14:15]
	scratch_load_b128 v[12:15], off, off offset:576
	s_wait_loadcnt_dscnt 0xb01
	v_mul_f64_e32 v[180:181], v[4:5], v[138:139]
	v_mul_f64_e32 v[138:139], v[6:7], v[138:139]
	v_add_f64_e32 v[150:151], v[186:187], v[184:185]
	v_add_f64_e32 v[176:177], v[176:177], v[178:179]
	s_wait_loadcnt_dscnt 0xa00
	v_mul_f64_e32 v[178:179], v[152:153], v[130:131]
	v_mul_f64_e32 v[130:131], v[154:155], v[130:131]
	v_fmac_f64_e32 v[180:181], v[6:7], v[136:137]
	v_fma_f64 v[184:185], v[4:5], v[136:137], -v[138:139]
	ds_load_b128 v[4:7], v2 offset:1280
	ds_load_b128 v[136:139], v2 offset:1296
	v_add_f64_e32 v[186:187], v[150:151], v[148:149]
	v_add_f64_e32 v[176:177], v[176:177], v[182:183]
	scratch_load_b128 v[148:151], off, off offset:592
	s_wait_loadcnt_dscnt 0xa01
	v_mul_f64_e32 v[182:183], v[4:5], v[146:147]
	v_mul_f64_e32 v[146:147], v[6:7], v[146:147]
	v_fmac_f64_e32 v[178:179], v[154:155], v[128:129]
	v_fma_f64 v[152:153], v[152:153], v[128:129], -v[130:131]
	scratch_load_b128 v[128:131], off, off offset:608
	v_add_f64_e32 v[154:155], v[186:187], v[184:185]
	v_add_f64_e32 v[176:177], v[176:177], v[180:181]
	s_wait_loadcnt_dscnt 0xa00
	v_mul_f64_e32 v[180:181], v[136:137], v[134:135]
	v_mul_f64_e32 v[134:135], v[138:139], v[134:135]
	v_fmac_f64_e32 v[182:183], v[6:7], v[144:145]
	v_fma_f64 v[184:185], v[4:5], v[144:145], -v[146:147]
	ds_load_b128 v[4:7], v2 offset:1312
	ds_load_b128 v[144:147], v2 offset:1328
	v_add_f64_e32 v[186:187], v[154:155], v[152:153]
	v_add_f64_e32 v[176:177], v[176:177], v[178:179]
	scratch_load_b128 v[152:155], off, off offset:624
	s_wait_loadcnt_dscnt 0xa01
	v_mul_f64_e32 v[178:179], v[4:5], v[158:159]
	v_mul_f64_e32 v[158:159], v[6:7], v[158:159]
	v_fmac_f64_e32 v[180:181], v[138:139], v[132:133]
	v_fma_f64 v[136:137], v[136:137], v[132:133], -v[134:135]
	scratch_load_b128 v[132:135], off, off offset:640
	v_add_f64_e32 v[138:139], v[186:187], v[184:185]
	v_add_f64_e32 v[176:177], v[176:177], v[182:183]
	s_wait_loadcnt_dscnt 0xa00
	v_mul_f64_e32 v[182:183], v[144:145], v[142:143]
	v_mul_f64_e32 v[142:143], v[146:147], v[142:143]
	v_fmac_f64_e32 v[178:179], v[6:7], v[156:157]
	v_fma_f64 v[184:185], v[4:5], v[156:157], -v[158:159]
	v_add_f64_e32 v[186:187], v[138:139], v[136:137]
	v_add_f64_e32 v[176:177], v[176:177], v[180:181]
	ds_load_b128 v[4:7], v2 offset:1344
	ds_load_b128 v[136:139], v2 offset:1360
	scratch_load_b128 v[156:159], off, off offset:656
	v_fmac_f64_e32 v[182:183], v[146:147], v[140:141]
	v_fma_f64 v[144:145], v[144:145], v[140:141], -v[142:143]
	scratch_load_b128 v[140:143], off, off offset:672
	s_wait_loadcnt_dscnt 0xb01
	v_mul_f64_e32 v[180:181], v[4:5], v[174:175]
	v_mul_f64_e32 v[174:175], v[6:7], v[174:175]
	v_add_f64_e32 v[146:147], v[186:187], v[184:185]
	v_add_f64_e32 v[176:177], v[176:177], v[178:179]
	s_wait_loadcnt_dscnt 0xa00
	v_mul_f64_e32 v[178:179], v[136:137], v[10:11]
	v_mul_f64_e32 v[10:11], v[138:139], v[10:11]
	v_fmac_f64_e32 v[180:181], v[6:7], v[172:173]
	v_fma_f64 v[184:185], v[4:5], v[172:173], -v[174:175]
	v_add_f64_e32 v[186:187], v[146:147], v[144:145]
	v_add_f64_e32 v[176:177], v[176:177], v[182:183]
	ds_load_b128 v[4:7], v2 offset:1376
	ds_load_b128 v[144:147], v2 offset:1392
	scratch_load_b128 v[172:175], off, off offset:688
	v_fmac_f64_e32 v[178:179], v[138:139], v[8:9]
	v_fma_f64 v[136:137], v[136:137], v[8:9], -v[10:11]
	scratch_load_b128 v[8:11], off, off offset:704
	s_wait_loadcnt_dscnt 0xb01
	v_mul_f64_e32 v[182:183], v[4:5], v[162:163]
	v_mul_f64_e32 v[162:163], v[6:7], v[162:163]
	;; [unrolled: 18-line block ×6, first 2 shown]
	v_add_f64_e32 v[138:139], v[186:187], v[184:185]
	v_add_f64_e32 v[176:177], v[176:177], v[182:183]
	s_wait_loadcnt_dscnt 0xa00
	v_mul_f64_e32 v[182:183], v[144:145], v[142:143]
	v_mul_f64_e32 v[142:143], v[146:147], v[142:143]
	v_fmac_f64_e32 v[178:179], v[6:7], v[156:157]
	v_fma_f64 v[156:157], v[4:5], v[156:157], -v[158:159]
	v_add_f64_e32 v[158:159], v[138:139], v[136:137]
	v_add_f64_e32 v[176:177], v[176:177], v[180:181]
	ds_load_b128 v[4:7], v2 offset:1536
	ds_load_b128 v[136:139], v2 offset:1552
	v_fmac_f64_e32 v[182:183], v[146:147], v[140:141]
	v_fma_f64 v[140:141], v[144:145], v[140:141], -v[142:143]
	s_wait_loadcnt_dscnt 0x901
	v_mul_f64_e32 v[180:181], v[4:5], v[174:175]
	v_mul_f64_e32 v[174:175], v[6:7], v[174:175]
	s_wait_loadcnt_dscnt 0x800
	v_mul_f64_e32 v[146:147], v[136:137], v[10:11]
	v_mul_f64_e32 v[10:11], v[138:139], v[10:11]
	v_add_f64_e32 v[142:143], v[158:159], v[156:157]
	v_add_f64_e32 v[144:145], v[176:177], v[178:179]
	v_fmac_f64_e32 v[180:181], v[6:7], v[172:173]
	v_fma_f64 v[156:157], v[4:5], v[172:173], -v[174:175]
	v_fmac_f64_e32 v[146:147], v[138:139], v[8:9]
	v_fma_f64 v[8:9], v[136:137], v[8:9], -v[10:11]
	v_add_f64_e32 v[158:159], v[142:143], v[140:141]
	v_add_f64_e32 v[144:145], v[144:145], v[182:183]
	ds_load_b128 v[4:7], v2 offset:1568
	ds_load_b128 v[140:143], v2 offset:1584
	s_wait_loadcnt_dscnt 0x701
	v_mul_f64_e32 v[172:173], v[4:5], v[162:163]
	v_mul_f64_e32 v[162:163], v[6:7], v[162:163]
	s_wait_loadcnt_dscnt 0x600
	v_mul_f64_e32 v[138:139], v[140:141], v[126:127]
	v_mul_f64_e32 v[126:127], v[142:143], v[126:127]
	v_add_f64_e32 v[10:11], v[158:159], v[156:157]
	v_add_f64_e32 v[136:137], v[144:145], v[180:181]
	v_fmac_f64_e32 v[172:173], v[6:7], v[160:161]
	v_fma_f64 v[144:145], v[4:5], v[160:161], -v[162:163]
	v_fmac_f64_e32 v[138:139], v[142:143], v[124:125]
	v_fma_f64 v[124:125], v[140:141], v[124:125], -v[126:127]
	v_add_f64_e32 v[156:157], v[10:11], v[8:9]
	v_add_f64_e32 v[136:137], v[136:137], v[146:147]
	ds_load_b128 v[4:7], v2 offset:1600
	ds_load_b128 v[8:11], v2 offset:1616
	;; [unrolled: 16-line block ×4, first 2 shown]
	s_wait_loadcnt_dscnt 0x101
	v_mul_f64_e32 v[2:3], v[4:5], v[154:155]
	v_mul_f64_e32 v[140:141], v[6:7], v[154:155]
	s_wait_loadcnt_dscnt 0x0
	v_mul_f64_e32 v[128:129], v[8:9], v[134:135]
	v_mul_f64_e32 v[130:131], v[10:11], v[134:135]
	v_add_f64_e32 v[126:127], v[142:143], v[136:137]
	v_add_f64_e32 v[12:13], v[12:13], v[138:139]
	v_fmac_f64_e32 v[2:3], v[6:7], v[152:153]
	v_fma_f64 v[4:5], v[4:5], v[152:153], -v[140:141]
	v_fmac_f64_e32 v[128:129], v[10:11], v[132:133]
	v_fma_f64 v[8:9], v[8:9], v[132:133], -v[130:131]
	v_add_f64_e32 v[6:7], v[126:127], v[124:125]
	v_add_f64_e32 v[12:13], v[12:13], v[14:15]
	s_delay_alu instid0(VALU_DEP_2) | instskip(NEXT) | instid1(VALU_DEP_2)
	v_add_f64_e32 v[4:5], v[6:7], v[4:5]
	v_add_f64_e32 v[2:3], v[12:13], v[2:3]
	s_delay_alu instid0(VALU_DEP_2) | instskip(NEXT) | instid1(VALU_DEP_2)
	;; [unrolled: 3-line block ×3, first 2 shown]
	v_add_f64_e64 v[2:3], v[164:165], -v[4:5]
	v_add_f64_e64 v[4:5], v[166:167], -v[6:7]
	scratch_store_b128 off, v[2:5], off offset:96
	s_wait_xcnt 0x0
	v_cmpx_lt_u32_e32 5, v1
	s_cbranch_execz .LBB52_321
; %bb.320:
	scratch_load_b128 v[2:5], off, s56
	v_mov_b32_e32 v6, 0
	s_delay_alu instid0(VALU_DEP_1)
	v_dual_mov_b32 v7, v6 :: v_dual_mov_b32 v8, v6
	v_mov_b32_e32 v9, v6
	scratch_store_b128 off, v[6:9], off offset:80
	s_wait_loadcnt 0x0
	ds_store_b128 v122, v[2:5]
.LBB52_321:
	s_wait_xcnt 0x0
	s_or_b32 exec_lo, exec_lo, s2
	s_wait_storecnt_dscnt 0x0
	s_barrier_signal -1
	s_barrier_wait -1
	s_clause 0x9
	scratch_load_b128 v[4:7], off, off offset:96
	scratch_load_b128 v[8:11], off, off offset:112
	;; [unrolled: 1-line block ×10, first 2 shown]
	v_mov_b32_e32 v2, 0
	s_mov_b32 s2, exec_lo
	ds_load_b128 v[152:155], v2 offset:944
	s_clause 0x2
	scratch_load_b128 v[156:159], off, off offset:256
	scratch_load_b128 v[160:163], off, off offset:80
	;; [unrolled: 1-line block ×3, first 2 shown]
	s_wait_loadcnt_dscnt 0xc00
	v_mul_f64_e32 v[172:173], v[154:155], v[6:7]
	v_mul_f64_e32 v[176:177], v[152:153], v[6:7]
	ds_load_b128 v[164:167], v2 offset:960
	v_fma_f64 v[180:181], v[152:153], v[4:5], -v[172:173]
	v_fmac_f64_e32 v[176:177], v[154:155], v[4:5]
	ds_load_b128 v[4:7], v2 offset:976
	s_wait_loadcnt_dscnt 0xb01
	v_mul_f64_e32 v[178:179], v[164:165], v[10:11]
	v_mul_f64_e32 v[10:11], v[166:167], v[10:11]
	scratch_load_b128 v[152:155], off, off offset:288
	ds_load_b128 v[172:175], v2 offset:992
	s_wait_loadcnt_dscnt 0xb01
	v_mul_f64_e32 v[182:183], v[4:5], v[14:15]
	v_mul_f64_e32 v[14:15], v[6:7], v[14:15]
	v_add_f64_e32 v[176:177], 0, v[176:177]
	v_fmac_f64_e32 v[178:179], v[166:167], v[8:9]
	v_fma_f64 v[164:165], v[164:165], v[8:9], -v[10:11]
	v_add_f64_e32 v[166:167], 0, v[180:181]
	scratch_load_b128 v[8:11], off, off offset:304
	v_fmac_f64_e32 v[182:183], v[6:7], v[12:13]
	v_fma_f64 v[184:185], v[4:5], v[12:13], -v[14:15]
	ds_load_b128 v[4:7], v2 offset:1008
	s_wait_loadcnt_dscnt 0xb01
	v_mul_f64_e32 v[180:181], v[172:173], v[126:127]
	v_mul_f64_e32 v[126:127], v[174:175], v[126:127]
	scratch_load_b128 v[12:15], off, off offset:320
	v_add_f64_e32 v[176:177], v[176:177], v[178:179]
	v_add_f64_e32 v[186:187], v[166:167], v[164:165]
	ds_load_b128 v[164:167], v2 offset:1024
	s_wait_loadcnt_dscnt 0xb01
	v_mul_f64_e32 v[178:179], v[4:5], v[130:131]
	v_mul_f64_e32 v[130:131], v[6:7], v[130:131]
	v_fmac_f64_e32 v[180:181], v[174:175], v[124:125]
	v_fma_f64 v[172:173], v[172:173], v[124:125], -v[126:127]
	scratch_load_b128 v[124:127], off, off offset:336
	v_add_f64_e32 v[176:177], v[176:177], v[182:183]
	v_add_f64_e32 v[174:175], v[186:187], v[184:185]
	v_fmac_f64_e32 v[178:179], v[6:7], v[128:129]
	v_fma_f64 v[184:185], v[4:5], v[128:129], -v[130:131]
	ds_load_b128 v[4:7], v2 offset:1040
	s_wait_loadcnt_dscnt 0xb01
	v_mul_f64_e32 v[182:183], v[164:165], v[134:135]
	v_mul_f64_e32 v[134:135], v[166:167], v[134:135]
	scratch_load_b128 v[128:131], off, off offset:352
	v_add_f64_e32 v[176:177], v[176:177], v[180:181]
	s_wait_loadcnt_dscnt 0xb00
	v_mul_f64_e32 v[180:181], v[4:5], v[138:139]
	v_add_f64_e32 v[186:187], v[174:175], v[172:173]
	v_mul_f64_e32 v[138:139], v[6:7], v[138:139]
	ds_load_b128 v[172:175], v2 offset:1056
	v_fmac_f64_e32 v[182:183], v[166:167], v[132:133]
	v_fma_f64 v[164:165], v[164:165], v[132:133], -v[134:135]
	scratch_load_b128 v[132:135], off, off offset:368
	v_add_f64_e32 v[176:177], v[176:177], v[178:179]
	v_fmac_f64_e32 v[180:181], v[6:7], v[136:137]
	v_add_f64_e32 v[166:167], v[186:187], v[184:185]
	v_fma_f64 v[184:185], v[4:5], v[136:137], -v[138:139]
	ds_load_b128 v[4:7], v2 offset:1072
	s_wait_loadcnt_dscnt 0xb01
	v_mul_f64_e32 v[178:179], v[172:173], v[142:143]
	v_mul_f64_e32 v[142:143], v[174:175], v[142:143]
	scratch_load_b128 v[136:139], off, off offset:384
	v_add_f64_e32 v[176:177], v[176:177], v[182:183]
	s_wait_loadcnt_dscnt 0xb00
	v_mul_f64_e32 v[182:183], v[4:5], v[146:147]
	v_add_f64_e32 v[186:187], v[166:167], v[164:165]
	v_mul_f64_e32 v[146:147], v[6:7], v[146:147]
	ds_load_b128 v[164:167], v2 offset:1088
	v_fmac_f64_e32 v[178:179], v[174:175], v[140:141]
	v_fma_f64 v[172:173], v[172:173], v[140:141], -v[142:143]
	scratch_load_b128 v[140:143], off, off offset:400
	v_add_f64_e32 v[176:177], v[176:177], v[180:181]
	v_fmac_f64_e32 v[182:183], v[6:7], v[144:145]
	v_add_f64_e32 v[174:175], v[186:187], v[184:185]
	;; [unrolled: 18-line block ×3, first 2 shown]
	v_fma_f64 v[184:185], v[4:5], v[156:157], -v[158:159]
	ds_load_b128 v[4:7], v2 offset:1136
	s_wait_loadcnt_dscnt 0xa01
	v_mul_f64_e32 v[182:183], v[172:173], v[170:171]
	v_mul_f64_e32 v[170:171], v[174:175], v[170:171]
	scratch_load_b128 v[156:159], off, off offset:448
	v_add_f64_e32 v[176:177], v[176:177], v[180:181]
	v_add_f64_e32 v[186:187], v[166:167], v[164:165]
	s_wait_loadcnt_dscnt 0xa00
	v_mul_f64_e32 v[180:181], v[4:5], v[154:155]
	v_mul_f64_e32 v[154:155], v[6:7], v[154:155]
	v_fmac_f64_e32 v[182:183], v[174:175], v[168:169]
	v_fma_f64 v[172:173], v[172:173], v[168:169], -v[170:171]
	ds_load_b128 v[164:167], v2 offset:1152
	scratch_load_b128 v[168:171], off, off offset:464
	v_add_f64_e32 v[176:177], v[176:177], v[178:179]
	v_add_f64_e32 v[174:175], v[186:187], v[184:185]
	v_fmac_f64_e32 v[180:181], v[6:7], v[152:153]
	v_fma_f64 v[184:185], v[4:5], v[152:153], -v[154:155]
	ds_load_b128 v[4:7], v2 offset:1168
	s_wait_loadcnt_dscnt 0xa01
	v_mul_f64_e32 v[178:179], v[164:165], v[10:11]
	v_mul_f64_e32 v[10:11], v[166:167], v[10:11]
	scratch_load_b128 v[152:155], off, off offset:480
	v_add_f64_e32 v[176:177], v[176:177], v[182:183]
	s_wait_loadcnt_dscnt 0xa00
	v_mul_f64_e32 v[182:183], v[4:5], v[14:15]
	v_add_f64_e32 v[186:187], v[174:175], v[172:173]
	v_mul_f64_e32 v[14:15], v[6:7], v[14:15]
	ds_load_b128 v[172:175], v2 offset:1184
	v_fmac_f64_e32 v[178:179], v[166:167], v[8:9]
	v_fma_f64 v[164:165], v[164:165], v[8:9], -v[10:11]
	scratch_load_b128 v[8:11], off, off offset:496
	v_add_f64_e32 v[176:177], v[176:177], v[180:181]
	v_fmac_f64_e32 v[182:183], v[6:7], v[12:13]
	v_add_f64_e32 v[166:167], v[186:187], v[184:185]
	v_fma_f64 v[184:185], v[4:5], v[12:13], -v[14:15]
	ds_load_b128 v[4:7], v2 offset:1200
	s_wait_loadcnt_dscnt 0xa01
	v_mul_f64_e32 v[180:181], v[172:173], v[126:127]
	v_mul_f64_e32 v[126:127], v[174:175], v[126:127]
	scratch_load_b128 v[12:15], off, off offset:512
	v_add_f64_e32 v[176:177], v[176:177], v[178:179]
	s_wait_loadcnt_dscnt 0xa00
	v_mul_f64_e32 v[178:179], v[4:5], v[130:131]
	v_add_f64_e32 v[186:187], v[166:167], v[164:165]
	v_mul_f64_e32 v[130:131], v[6:7], v[130:131]
	ds_load_b128 v[164:167], v2 offset:1216
	v_fmac_f64_e32 v[180:181], v[174:175], v[124:125]
	v_fma_f64 v[172:173], v[172:173], v[124:125], -v[126:127]
	scratch_load_b128 v[124:127], off, off offset:528
	v_add_f64_e32 v[176:177], v[176:177], v[182:183]
	v_fmac_f64_e32 v[178:179], v[6:7], v[128:129]
	v_add_f64_e32 v[174:175], v[186:187], v[184:185]
	;; [unrolled: 18-line block ×11, first 2 shown]
	v_fma_f64 v[184:185], v[4:5], v[156:157], -v[158:159]
	ds_load_b128 v[4:7], v2 offset:1520
	s_wait_loadcnt_dscnt 0xa01
	v_mul_f64_e32 v[182:183], v[172:173], v[170:171]
	v_mul_f64_e32 v[170:171], v[174:175], v[170:171]
	scratch_load_b128 v[156:159], off, off offset:832
	v_add_f64_e32 v[176:177], v[176:177], v[180:181]
	s_wait_loadcnt_dscnt 0xa00
	v_mul_f64_e32 v[180:181], v[4:5], v[154:155]
	v_add_f64_e32 v[186:187], v[166:167], v[164:165]
	v_mul_f64_e32 v[154:155], v[6:7], v[154:155]
	ds_load_b128 v[164:167], v2 offset:1536
	v_fmac_f64_e32 v[182:183], v[174:175], v[168:169]
	v_fma_f64 v[168:169], v[172:173], v[168:169], -v[170:171]
	s_wait_loadcnt_dscnt 0x900
	v_mul_f64_e32 v[174:175], v[164:165], v[10:11]
	v_mul_f64_e32 v[10:11], v[166:167], v[10:11]
	v_add_f64_e32 v[172:173], v[176:177], v[178:179]
	v_fmac_f64_e32 v[180:181], v[6:7], v[152:153]
	v_add_f64_e32 v[170:171], v[186:187], v[184:185]
	v_fma_f64 v[176:177], v[4:5], v[152:153], -v[154:155]
	ds_load_b128 v[4:7], v2 offset:1552
	ds_load_b128 v[152:155], v2 offset:1568
	v_fmac_f64_e32 v[174:175], v[166:167], v[8:9]
	v_fma_f64 v[8:9], v[164:165], v[8:9], -v[10:11]
	v_add_f64_e32 v[168:169], v[170:171], v[168:169]
	v_add_f64_e32 v[170:171], v[172:173], v[182:183]
	s_wait_loadcnt_dscnt 0x801
	v_mul_f64_e32 v[172:173], v[4:5], v[14:15]
	v_mul_f64_e32 v[14:15], v[6:7], v[14:15]
	s_wait_loadcnt_dscnt 0x700
	v_mul_f64_e32 v[166:167], v[152:153], v[126:127]
	v_mul_f64_e32 v[126:127], v[154:155], v[126:127]
	v_add_f64_e32 v[10:11], v[168:169], v[176:177]
	v_add_f64_e32 v[164:165], v[170:171], v[180:181]
	v_fmac_f64_e32 v[172:173], v[6:7], v[12:13]
	v_fma_f64 v[12:13], v[4:5], v[12:13], -v[14:15]
	v_fmac_f64_e32 v[166:167], v[154:155], v[124:125]
	v_fma_f64 v[124:125], v[152:153], v[124:125], -v[126:127]
	v_add_f64_e32 v[14:15], v[10:11], v[8:9]
	v_add_f64_e32 v[164:165], v[164:165], v[174:175]
	ds_load_b128 v[4:7], v2 offset:1584
	ds_load_b128 v[8:11], v2 offset:1600
	s_wait_loadcnt_dscnt 0x601
	v_mul_f64_e32 v[168:169], v[4:5], v[130:131]
	v_mul_f64_e32 v[130:131], v[6:7], v[130:131]
	s_wait_loadcnt_dscnt 0x500
	v_mul_f64_e32 v[126:127], v[8:9], v[134:135]
	v_mul_f64_e32 v[134:135], v[10:11], v[134:135]
	v_add_f64_e32 v[12:13], v[14:15], v[12:13]
	v_add_f64_e32 v[14:15], v[164:165], v[172:173]
	v_fmac_f64_e32 v[168:169], v[6:7], v[128:129]
	v_fma_f64 v[128:129], v[4:5], v[128:129], -v[130:131]
	v_fmac_f64_e32 v[126:127], v[10:11], v[132:133]
	v_fma_f64 v[8:9], v[8:9], v[132:133], -v[134:135]
	v_add_f64_e32 v[124:125], v[12:13], v[124:125]
	v_add_f64_e32 v[130:131], v[14:15], v[166:167]
	ds_load_b128 v[4:7], v2 offset:1616
	ds_load_b128 v[12:15], v2 offset:1632
	s_wait_loadcnt_dscnt 0x401
	v_mul_f64_e32 v[152:153], v[4:5], v[138:139]
	v_mul_f64_e32 v[138:139], v[6:7], v[138:139]
	v_add_f64_e32 v[10:11], v[124:125], v[128:129]
	v_add_f64_e32 v[124:125], v[130:131], v[168:169]
	s_wait_loadcnt_dscnt 0x300
	v_mul_f64_e32 v[128:129], v[12:13], v[142:143]
	v_mul_f64_e32 v[130:131], v[14:15], v[142:143]
	v_fmac_f64_e32 v[152:153], v[6:7], v[136:137]
	v_fma_f64 v[132:133], v[4:5], v[136:137], -v[138:139]
	v_add_f64_e32 v[134:135], v[10:11], v[8:9]
	v_add_f64_e32 v[124:125], v[124:125], v[126:127]
	ds_load_b128 v[4:7], v2 offset:1648
	ds_load_b128 v[8:11], v2 offset:1664
	v_fmac_f64_e32 v[128:129], v[14:15], v[140:141]
	v_fma_f64 v[12:13], v[12:13], v[140:141], -v[130:131]
	s_wait_loadcnt_dscnt 0x201
	v_mul_f64_e32 v[126:127], v[4:5], v[146:147]
	v_mul_f64_e32 v[136:137], v[6:7], v[146:147]
	s_wait_loadcnt_dscnt 0x100
	v_mul_f64_e32 v[130:131], v[8:9], v[150:151]
	v_add_f64_e32 v[14:15], v[134:135], v[132:133]
	v_add_f64_e32 v[124:125], v[124:125], v[152:153]
	v_mul_f64_e32 v[132:133], v[10:11], v[150:151]
	v_fmac_f64_e32 v[126:127], v[6:7], v[144:145]
	v_fma_f64 v[134:135], v[4:5], v[144:145], -v[136:137]
	ds_load_b128 v[4:7], v2 offset:1680
	v_fmac_f64_e32 v[130:131], v[10:11], v[148:149]
	v_add_f64_e32 v[12:13], v[14:15], v[12:13]
	v_add_f64_e32 v[14:15], v[124:125], v[128:129]
	v_fma_f64 v[8:9], v[8:9], v[148:149], -v[132:133]
	s_wait_loadcnt_dscnt 0x0
	v_mul_f64_e32 v[124:125], v[4:5], v[158:159]
	v_mul_f64_e32 v[128:129], v[6:7], v[158:159]
	v_add_f64_e32 v[10:11], v[12:13], v[134:135]
	v_add_f64_e32 v[12:13], v[14:15], v[126:127]
	s_delay_alu instid0(VALU_DEP_4) | instskip(NEXT) | instid1(VALU_DEP_4)
	v_fmac_f64_e32 v[124:125], v[6:7], v[156:157]
	v_fma_f64 v[4:5], v[4:5], v[156:157], -v[128:129]
	s_delay_alu instid0(VALU_DEP_4) | instskip(NEXT) | instid1(VALU_DEP_4)
	v_add_f64_e32 v[6:7], v[10:11], v[8:9]
	v_add_f64_e32 v[8:9], v[12:13], v[130:131]
	s_delay_alu instid0(VALU_DEP_2) | instskip(NEXT) | instid1(VALU_DEP_2)
	v_add_f64_e32 v[4:5], v[6:7], v[4:5]
	v_add_f64_e32 v[6:7], v[8:9], v[124:125]
	s_delay_alu instid0(VALU_DEP_2) | instskip(NEXT) | instid1(VALU_DEP_2)
	v_add_f64_e64 v[4:5], v[160:161], -v[4:5]
	v_add_f64_e64 v[6:7], v[162:163], -v[6:7]
	scratch_store_b128 off, v[4:7], off offset:80
	s_wait_xcnt 0x0
	v_cmpx_lt_u32_e32 4, v1
	s_cbranch_execz .LBB52_323
; %bb.322:
	scratch_load_b128 v[6:9], off, s37
	v_dual_mov_b32 v3, v2 :: v_dual_mov_b32 v4, v2
	v_mov_b32_e32 v5, v2
	scratch_store_b128 off, v[2:5], off offset:64
	s_wait_loadcnt 0x0
	ds_store_b128 v122, v[6:9]
.LBB52_323:
	s_wait_xcnt 0x0
	s_or_b32 exec_lo, exec_lo, s2
	s_wait_storecnt_dscnt 0x0
	s_barrier_signal -1
	s_barrier_wait -1
	s_clause 0x9
	scratch_load_b128 v[4:7], off, off offset:80
	scratch_load_b128 v[8:11], off, off offset:96
	;; [unrolled: 1-line block ×10, first 2 shown]
	ds_load_b128 v[152:155], v2 offset:928
	ds_load_b128 v[160:163], v2 offset:944
	s_clause 0x2
	scratch_load_b128 v[156:159], off, off offset:240
	scratch_load_b128 v[164:167], off, off offset:64
	;; [unrolled: 1-line block ×3, first 2 shown]
	s_mov_b32 s2, exec_lo
	s_wait_loadcnt_dscnt 0xc01
	v_mul_f64_e32 v[172:173], v[154:155], v[6:7]
	v_mul_f64_e32 v[176:177], v[152:153], v[6:7]
	s_wait_loadcnt_dscnt 0xb00
	v_mul_f64_e32 v[178:179], v[160:161], v[10:11]
	v_mul_f64_e32 v[10:11], v[162:163], v[10:11]
	s_delay_alu instid0(VALU_DEP_4) | instskip(NEXT) | instid1(VALU_DEP_4)
	v_fma_f64 v[180:181], v[152:153], v[4:5], -v[172:173]
	v_fmac_f64_e32 v[176:177], v[154:155], v[4:5]
	ds_load_b128 v[4:7], v2 offset:960
	ds_load_b128 v[152:155], v2 offset:976
	scratch_load_b128 v[172:175], off, off offset:272
	v_fmac_f64_e32 v[178:179], v[162:163], v[8:9]
	v_fma_f64 v[160:161], v[160:161], v[8:9], -v[10:11]
	scratch_load_b128 v[8:11], off, off offset:288
	s_wait_loadcnt_dscnt 0xc01
	v_mul_f64_e32 v[182:183], v[4:5], v[14:15]
	v_mul_f64_e32 v[14:15], v[6:7], v[14:15]
	v_add_f64_e32 v[162:163], 0, v[180:181]
	v_add_f64_e32 v[176:177], 0, v[176:177]
	s_wait_loadcnt_dscnt 0xb00
	v_mul_f64_e32 v[180:181], v[152:153], v[126:127]
	v_mul_f64_e32 v[126:127], v[154:155], v[126:127]
	v_fmac_f64_e32 v[182:183], v[6:7], v[12:13]
	v_fma_f64 v[184:185], v[4:5], v[12:13], -v[14:15]
	ds_load_b128 v[4:7], v2 offset:992
	ds_load_b128 v[12:15], v2 offset:1008
	v_add_f64_e32 v[186:187], v[162:163], v[160:161]
	v_add_f64_e32 v[176:177], v[176:177], v[178:179]
	scratch_load_b128 v[160:163], off, off offset:304
	v_fmac_f64_e32 v[180:181], v[154:155], v[124:125]
	v_fma_f64 v[152:153], v[152:153], v[124:125], -v[126:127]
	scratch_load_b128 v[124:127], off, off offset:320
	s_wait_loadcnt_dscnt 0xc01
	v_mul_f64_e32 v[178:179], v[4:5], v[130:131]
	v_mul_f64_e32 v[130:131], v[6:7], v[130:131]
	v_add_f64_e32 v[154:155], v[186:187], v[184:185]
	v_add_f64_e32 v[176:177], v[176:177], v[182:183]
	s_wait_loadcnt_dscnt 0xb00
	v_mul_f64_e32 v[182:183], v[12:13], v[134:135]
	v_mul_f64_e32 v[134:135], v[14:15], v[134:135]
	v_fmac_f64_e32 v[178:179], v[6:7], v[128:129]
	v_fma_f64 v[184:185], v[4:5], v[128:129], -v[130:131]
	ds_load_b128 v[4:7], v2 offset:1024
	ds_load_b128 v[128:131], v2 offset:1040
	v_add_f64_e32 v[186:187], v[154:155], v[152:153]
	v_add_f64_e32 v[176:177], v[176:177], v[180:181]
	scratch_load_b128 v[152:155], off, off offset:336
	s_wait_loadcnt_dscnt 0xb01
	v_mul_f64_e32 v[180:181], v[4:5], v[138:139]
	v_mul_f64_e32 v[138:139], v[6:7], v[138:139]
	v_fmac_f64_e32 v[182:183], v[14:15], v[132:133]
	v_fma_f64 v[132:133], v[12:13], v[132:133], -v[134:135]
	scratch_load_b128 v[12:15], off, off offset:352
	v_add_f64_e32 v[134:135], v[186:187], v[184:185]
	v_add_f64_e32 v[176:177], v[176:177], v[178:179]
	s_wait_loadcnt_dscnt 0xb00
	v_mul_f64_e32 v[178:179], v[128:129], v[142:143]
	v_mul_f64_e32 v[142:143], v[130:131], v[142:143]
	v_fmac_f64_e32 v[180:181], v[6:7], v[136:137]
	v_fma_f64 v[184:185], v[4:5], v[136:137], -v[138:139]
	v_add_f64_e32 v[186:187], v[134:135], v[132:133]
	v_add_f64_e32 v[176:177], v[176:177], v[182:183]
	ds_load_b128 v[4:7], v2 offset:1056
	ds_load_b128 v[132:135], v2 offset:1072
	scratch_load_b128 v[136:139], off, off offset:368
	v_fmac_f64_e32 v[178:179], v[130:131], v[140:141]
	v_fma_f64 v[140:141], v[128:129], v[140:141], -v[142:143]
	scratch_load_b128 v[128:131], off, off offset:384
	s_wait_loadcnt_dscnt 0xc01
	v_mul_f64_e32 v[182:183], v[4:5], v[146:147]
	v_mul_f64_e32 v[146:147], v[6:7], v[146:147]
	v_add_f64_e32 v[142:143], v[186:187], v[184:185]
	v_add_f64_e32 v[176:177], v[176:177], v[180:181]
	s_wait_loadcnt_dscnt 0xb00
	v_mul_f64_e32 v[180:181], v[132:133], v[150:151]
	v_mul_f64_e32 v[150:151], v[134:135], v[150:151]
	v_fmac_f64_e32 v[182:183], v[6:7], v[144:145]
	v_fma_f64 v[184:185], v[4:5], v[144:145], -v[146:147]
	v_add_f64_e32 v[186:187], v[142:143], v[140:141]
	v_add_f64_e32 v[176:177], v[176:177], v[178:179]
	ds_load_b128 v[4:7], v2 offset:1088
	ds_load_b128 v[140:143], v2 offset:1104
	scratch_load_b128 v[144:147], off, off offset:400
	v_fmac_f64_e32 v[180:181], v[134:135], v[148:149]
	v_fma_f64 v[148:149], v[132:133], v[148:149], -v[150:151]
	scratch_load_b128 v[132:135], off, off offset:416
	s_wait_loadcnt_dscnt 0xc01
	v_mul_f64_e32 v[178:179], v[4:5], v[158:159]
	v_mul_f64_e32 v[158:159], v[6:7], v[158:159]
	;; [unrolled: 18-line block ×5, first 2 shown]
	v_add_f64_e32 v[170:171], v[186:187], v[184:185]
	v_add_f64_e32 v[176:177], v[176:177], v[182:183]
	s_wait_loadcnt_dscnt 0xa00
	v_mul_f64_e32 v[182:183], v[148:149], v[14:15]
	v_mul_f64_e32 v[14:15], v[150:151], v[14:15]
	v_fmac_f64_e32 v[178:179], v[6:7], v[152:153]
	v_fma_f64 v[184:185], v[4:5], v[152:153], -v[154:155]
	ds_load_b128 v[4:7], v2 offset:1216
	ds_load_b128 v[152:155], v2 offset:1232
	v_add_f64_e32 v[186:187], v[170:171], v[168:169]
	v_add_f64_e32 v[176:177], v[176:177], v[180:181]
	scratch_load_b128 v[168:171], off, off offset:528
	v_fmac_f64_e32 v[182:183], v[150:151], v[12:13]
	v_fma_f64 v[148:149], v[148:149], v[12:13], -v[14:15]
	scratch_load_b128 v[12:15], off, off offset:544
	s_wait_loadcnt_dscnt 0xb01
	v_mul_f64_e32 v[180:181], v[4:5], v[138:139]
	v_mul_f64_e32 v[138:139], v[6:7], v[138:139]
	v_add_f64_e32 v[150:151], v[186:187], v[184:185]
	v_add_f64_e32 v[176:177], v[176:177], v[178:179]
	s_wait_loadcnt_dscnt 0xa00
	v_mul_f64_e32 v[178:179], v[152:153], v[130:131]
	v_mul_f64_e32 v[130:131], v[154:155], v[130:131]
	v_fmac_f64_e32 v[180:181], v[6:7], v[136:137]
	v_fma_f64 v[184:185], v[4:5], v[136:137], -v[138:139]
	ds_load_b128 v[4:7], v2 offset:1248
	ds_load_b128 v[136:139], v2 offset:1264
	v_add_f64_e32 v[186:187], v[150:151], v[148:149]
	v_add_f64_e32 v[176:177], v[176:177], v[182:183]
	scratch_load_b128 v[148:151], off, off offset:560
	s_wait_loadcnt_dscnt 0xa01
	v_mul_f64_e32 v[182:183], v[4:5], v[146:147]
	v_mul_f64_e32 v[146:147], v[6:7], v[146:147]
	v_fmac_f64_e32 v[178:179], v[154:155], v[128:129]
	v_fma_f64 v[152:153], v[152:153], v[128:129], -v[130:131]
	scratch_load_b128 v[128:131], off, off offset:576
	v_add_f64_e32 v[154:155], v[186:187], v[184:185]
	v_add_f64_e32 v[176:177], v[176:177], v[180:181]
	s_wait_loadcnt_dscnt 0xa00
	v_mul_f64_e32 v[180:181], v[136:137], v[134:135]
	v_mul_f64_e32 v[134:135], v[138:139], v[134:135]
	v_fmac_f64_e32 v[182:183], v[6:7], v[144:145]
	v_fma_f64 v[184:185], v[4:5], v[144:145], -v[146:147]
	ds_load_b128 v[4:7], v2 offset:1280
	ds_load_b128 v[144:147], v2 offset:1296
	v_add_f64_e32 v[186:187], v[154:155], v[152:153]
	v_add_f64_e32 v[176:177], v[176:177], v[178:179]
	scratch_load_b128 v[152:155], off, off offset:592
	s_wait_loadcnt_dscnt 0xa01
	v_mul_f64_e32 v[178:179], v[4:5], v[158:159]
	v_mul_f64_e32 v[158:159], v[6:7], v[158:159]
	v_fmac_f64_e32 v[180:181], v[138:139], v[132:133]
	v_fma_f64 v[136:137], v[136:137], v[132:133], -v[134:135]
	scratch_load_b128 v[132:135], off, off offset:608
	v_add_f64_e32 v[138:139], v[186:187], v[184:185]
	v_add_f64_e32 v[176:177], v[176:177], v[182:183]
	s_wait_loadcnt_dscnt 0xa00
	v_mul_f64_e32 v[182:183], v[144:145], v[142:143]
	v_mul_f64_e32 v[142:143], v[146:147], v[142:143]
	v_fmac_f64_e32 v[178:179], v[6:7], v[156:157]
	v_fma_f64 v[184:185], v[4:5], v[156:157], -v[158:159]
	v_add_f64_e32 v[186:187], v[138:139], v[136:137]
	v_add_f64_e32 v[176:177], v[176:177], v[180:181]
	ds_load_b128 v[4:7], v2 offset:1312
	ds_load_b128 v[136:139], v2 offset:1328
	scratch_load_b128 v[156:159], off, off offset:624
	v_fmac_f64_e32 v[182:183], v[146:147], v[140:141]
	v_fma_f64 v[144:145], v[144:145], v[140:141], -v[142:143]
	scratch_load_b128 v[140:143], off, off offset:640
	s_wait_loadcnt_dscnt 0xb01
	v_mul_f64_e32 v[180:181], v[4:5], v[174:175]
	v_mul_f64_e32 v[174:175], v[6:7], v[174:175]
	v_add_f64_e32 v[146:147], v[186:187], v[184:185]
	v_add_f64_e32 v[176:177], v[176:177], v[178:179]
	s_wait_loadcnt_dscnt 0xa00
	v_mul_f64_e32 v[178:179], v[136:137], v[10:11]
	v_mul_f64_e32 v[10:11], v[138:139], v[10:11]
	v_fmac_f64_e32 v[180:181], v[6:7], v[172:173]
	v_fma_f64 v[184:185], v[4:5], v[172:173], -v[174:175]
	v_add_f64_e32 v[186:187], v[146:147], v[144:145]
	v_add_f64_e32 v[176:177], v[176:177], v[182:183]
	ds_load_b128 v[4:7], v2 offset:1344
	ds_load_b128 v[144:147], v2 offset:1360
	scratch_load_b128 v[172:175], off, off offset:656
	v_fmac_f64_e32 v[178:179], v[138:139], v[8:9]
	v_fma_f64 v[136:137], v[136:137], v[8:9], -v[10:11]
	scratch_load_b128 v[8:11], off, off offset:672
	s_wait_loadcnt_dscnt 0xb01
	v_mul_f64_e32 v[182:183], v[4:5], v[162:163]
	v_mul_f64_e32 v[162:163], v[6:7], v[162:163]
	;; [unrolled: 18-line block ×7, first 2 shown]
	v_add_f64_e32 v[146:147], v[186:187], v[184:185]
	v_add_f64_e32 v[176:177], v[176:177], v[178:179]
	s_wait_loadcnt_dscnt 0xa00
	v_mul_f64_e32 v[178:179], v[136:137], v[10:11]
	v_mul_f64_e32 v[10:11], v[138:139], v[10:11]
	v_fmac_f64_e32 v[180:181], v[6:7], v[172:173]
	v_fma_f64 v[172:173], v[4:5], v[172:173], -v[174:175]
	v_add_f64_e32 v[174:175], v[146:147], v[144:145]
	v_add_f64_e32 v[176:177], v[176:177], v[182:183]
	ds_load_b128 v[4:7], v2 offset:1536
	ds_load_b128 v[144:147], v2 offset:1552
	v_fmac_f64_e32 v[178:179], v[138:139], v[8:9]
	v_fma_f64 v[8:9], v[136:137], v[8:9], -v[10:11]
	s_wait_loadcnt_dscnt 0x901
	v_mul_f64_e32 v[182:183], v[4:5], v[162:163]
	v_mul_f64_e32 v[162:163], v[6:7], v[162:163]
	s_wait_loadcnt_dscnt 0x800
	v_mul_f64_e32 v[138:139], v[144:145], v[126:127]
	v_mul_f64_e32 v[126:127], v[146:147], v[126:127]
	v_add_f64_e32 v[10:11], v[174:175], v[172:173]
	v_add_f64_e32 v[136:137], v[176:177], v[180:181]
	v_fmac_f64_e32 v[182:183], v[6:7], v[160:161]
	v_fma_f64 v[160:161], v[4:5], v[160:161], -v[162:163]
	v_fmac_f64_e32 v[138:139], v[146:147], v[124:125]
	v_fma_f64 v[124:125], v[144:145], v[124:125], -v[126:127]
	v_add_f64_e32 v[162:163], v[10:11], v[8:9]
	v_add_f64_e32 v[136:137], v[136:137], v[178:179]
	ds_load_b128 v[4:7], v2 offset:1568
	ds_load_b128 v[8:11], v2 offset:1584
	s_wait_loadcnt_dscnt 0x701
	v_mul_f64_e32 v[172:173], v[4:5], v[170:171]
	v_mul_f64_e32 v[170:171], v[6:7], v[170:171]
	s_wait_loadcnt_dscnt 0x600
	v_mul_f64_e32 v[144:145], v[8:9], v[14:15]
	v_mul_f64_e32 v[14:15], v[10:11], v[14:15]
	v_add_f64_e32 v[126:127], v[162:163], v[160:161]
	v_add_f64_e32 v[136:137], v[136:137], v[182:183]
	v_fmac_f64_e32 v[172:173], v[6:7], v[168:169]
	v_fma_f64 v[146:147], v[4:5], v[168:169], -v[170:171]
	v_fmac_f64_e32 v[144:145], v[10:11], v[12:13]
	v_fma_f64 v[8:9], v[8:9], v[12:13], -v[14:15]
	v_add_f64_e32 v[160:161], v[126:127], v[124:125]
	v_add_f64_e32 v[136:137], v[136:137], v[138:139]
	ds_load_b128 v[4:7], v2 offset:1600
	ds_load_b128 v[124:127], v2 offset:1616
	;; [unrolled: 16-line block ×4, first 2 shown]
	s_wait_loadcnt_dscnt 0x101
	v_mul_f64_e32 v[2:3], v[4:5], v[158:159]
	v_mul_f64_e32 v[136:137], v[6:7], v[158:159]
	s_wait_loadcnt_dscnt 0x0
	v_mul_f64_e32 v[130:131], v[14:15], v[142:143]
	v_add_f64_e32 v[10:11], v[124:125], v[134:135]
	v_add_f64_e32 v[124:125], v[126:127], v[144:145]
	v_mul_f64_e32 v[126:127], v[12:13], v[142:143]
	v_fmac_f64_e32 v[2:3], v[6:7], v[156:157]
	v_fma_f64 v[4:5], v[4:5], v[156:157], -v[136:137]
	v_add_f64_e32 v[6:7], v[10:11], v[8:9]
	v_add_f64_e32 v[8:9], v[124:125], v[128:129]
	v_fmac_f64_e32 v[126:127], v[14:15], v[140:141]
	v_fma_f64 v[10:11], v[12:13], v[140:141], -v[130:131]
	s_delay_alu instid0(VALU_DEP_4) | instskip(NEXT) | instid1(VALU_DEP_4)
	v_add_f64_e32 v[4:5], v[6:7], v[4:5]
	v_add_f64_e32 v[2:3], v[8:9], v[2:3]
	s_delay_alu instid0(VALU_DEP_2) | instskip(NEXT) | instid1(VALU_DEP_2)
	v_add_f64_e32 v[4:5], v[4:5], v[10:11]
	v_add_f64_e32 v[6:7], v[2:3], v[126:127]
	s_delay_alu instid0(VALU_DEP_2) | instskip(NEXT) | instid1(VALU_DEP_2)
	v_add_f64_e64 v[2:3], v[164:165], -v[4:5]
	v_add_f64_e64 v[4:5], v[166:167], -v[6:7]
	scratch_store_b128 off, v[2:5], off offset:64
	s_wait_xcnt 0x0
	v_cmpx_lt_u32_e32 3, v1
	s_cbranch_execz .LBB52_325
; %bb.324:
	scratch_load_b128 v[2:5], off, s36
	v_mov_b32_e32 v6, 0
	s_delay_alu instid0(VALU_DEP_1)
	v_dual_mov_b32 v7, v6 :: v_dual_mov_b32 v8, v6
	v_mov_b32_e32 v9, v6
	scratch_store_b128 off, v[6:9], off offset:48
	s_wait_loadcnt 0x0
	ds_store_b128 v122, v[2:5]
.LBB52_325:
	s_wait_xcnt 0x0
	s_or_b32 exec_lo, exec_lo, s2
	s_wait_storecnt_dscnt 0x0
	s_barrier_signal -1
	s_barrier_wait -1
	s_clause 0x9
	scratch_load_b128 v[4:7], off, off offset:64
	scratch_load_b128 v[8:11], off, off offset:80
	;; [unrolled: 1-line block ×10, first 2 shown]
	v_mov_b32_e32 v2, 0
	s_mov_b32 s2, exec_lo
	ds_load_b128 v[152:155], v2 offset:912
	s_clause 0x2
	scratch_load_b128 v[156:159], off, off offset:224
	scratch_load_b128 v[160:163], off, off offset:48
	;; [unrolled: 1-line block ×3, first 2 shown]
	s_wait_loadcnt_dscnt 0xc00
	v_mul_f64_e32 v[172:173], v[154:155], v[6:7]
	v_mul_f64_e32 v[176:177], v[152:153], v[6:7]
	ds_load_b128 v[164:167], v2 offset:928
	v_fma_f64 v[180:181], v[152:153], v[4:5], -v[172:173]
	v_fmac_f64_e32 v[176:177], v[154:155], v[4:5]
	ds_load_b128 v[4:7], v2 offset:944
	s_wait_loadcnt_dscnt 0xb01
	v_mul_f64_e32 v[178:179], v[164:165], v[10:11]
	v_mul_f64_e32 v[10:11], v[166:167], v[10:11]
	scratch_load_b128 v[152:155], off, off offset:256
	ds_load_b128 v[172:175], v2 offset:960
	s_wait_loadcnt_dscnt 0xb01
	v_mul_f64_e32 v[182:183], v[4:5], v[14:15]
	v_mul_f64_e32 v[14:15], v[6:7], v[14:15]
	v_add_f64_e32 v[176:177], 0, v[176:177]
	v_fmac_f64_e32 v[178:179], v[166:167], v[8:9]
	v_fma_f64 v[164:165], v[164:165], v[8:9], -v[10:11]
	v_add_f64_e32 v[166:167], 0, v[180:181]
	scratch_load_b128 v[8:11], off, off offset:272
	v_fmac_f64_e32 v[182:183], v[6:7], v[12:13]
	v_fma_f64 v[184:185], v[4:5], v[12:13], -v[14:15]
	ds_load_b128 v[4:7], v2 offset:976
	s_wait_loadcnt_dscnt 0xb01
	v_mul_f64_e32 v[180:181], v[172:173], v[126:127]
	v_mul_f64_e32 v[126:127], v[174:175], v[126:127]
	scratch_load_b128 v[12:15], off, off offset:288
	v_add_f64_e32 v[176:177], v[176:177], v[178:179]
	v_add_f64_e32 v[186:187], v[166:167], v[164:165]
	ds_load_b128 v[164:167], v2 offset:992
	s_wait_loadcnt_dscnt 0xb01
	v_mul_f64_e32 v[178:179], v[4:5], v[130:131]
	v_mul_f64_e32 v[130:131], v[6:7], v[130:131]
	v_fmac_f64_e32 v[180:181], v[174:175], v[124:125]
	v_fma_f64 v[172:173], v[172:173], v[124:125], -v[126:127]
	scratch_load_b128 v[124:127], off, off offset:304
	v_add_f64_e32 v[176:177], v[176:177], v[182:183]
	v_add_f64_e32 v[174:175], v[186:187], v[184:185]
	v_fmac_f64_e32 v[178:179], v[6:7], v[128:129]
	v_fma_f64 v[184:185], v[4:5], v[128:129], -v[130:131]
	ds_load_b128 v[4:7], v2 offset:1008
	s_wait_loadcnt_dscnt 0xb01
	v_mul_f64_e32 v[182:183], v[164:165], v[134:135]
	v_mul_f64_e32 v[134:135], v[166:167], v[134:135]
	scratch_load_b128 v[128:131], off, off offset:320
	v_add_f64_e32 v[176:177], v[176:177], v[180:181]
	s_wait_loadcnt_dscnt 0xb00
	v_mul_f64_e32 v[180:181], v[4:5], v[138:139]
	v_add_f64_e32 v[186:187], v[174:175], v[172:173]
	v_mul_f64_e32 v[138:139], v[6:7], v[138:139]
	ds_load_b128 v[172:175], v2 offset:1024
	v_fmac_f64_e32 v[182:183], v[166:167], v[132:133]
	v_fma_f64 v[164:165], v[164:165], v[132:133], -v[134:135]
	scratch_load_b128 v[132:135], off, off offset:336
	v_add_f64_e32 v[176:177], v[176:177], v[178:179]
	v_fmac_f64_e32 v[180:181], v[6:7], v[136:137]
	v_add_f64_e32 v[166:167], v[186:187], v[184:185]
	v_fma_f64 v[184:185], v[4:5], v[136:137], -v[138:139]
	ds_load_b128 v[4:7], v2 offset:1040
	s_wait_loadcnt_dscnt 0xb01
	v_mul_f64_e32 v[178:179], v[172:173], v[142:143]
	v_mul_f64_e32 v[142:143], v[174:175], v[142:143]
	scratch_load_b128 v[136:139], off, off offset:352
	v_add_f64_e32 v[176:177], v[176:177], v[182:183]
	s_wait_loadcnt_dscnt 0xb00
	v_mul_f64_e32 v[182:183], v[4:5], v[146:147]
	v_add_f64_e32 v[186:187], v[166:167], v[164:165]
	v_mul_f64_e32 v[146:147], v[6:7], v[146:147]
	ds_load_b128 v[164:167], v2 offset:1056
	v_fmac_f64_e32 v[178:179], v[174:175], v[140:141]
	v_fma_f64 v[172:173], v[172:173], v[140:141], -v[142:143]
	scratch_load_b128 v[140:143], off, off offset:368
	v_add_f64_e32 v[176:177], v[176:177], v[180:181]
	v_fmac_f64_e32 v[182:183], v[6:7], v[144:145]
	v_add_f64_e32 v[174:175], v[186:187], v[184:185]
	;; [unrolled: 18-line block ×3, first 2 shown]
	v_fma_f64 v[184:185], v[4:5], v[156:157], -v[158:159]
	ds_load_b128 v[4:7], v2 offset:1104
	s_wait_loadcnt_dscnt 0xa01
	v_mul_f64_e32 v[182:183], v[172:173], v[170:171]
	v_mul_f64_e32 v[170:171], v[174:175], v[170:171]
	scratch_load_b128 v[156:159], off, off offset:416
	v_add_f64_e32 v[176:177], v[176:177], v[180:181]
	v_add_f64_e32 v[186:187], v[166:167], v[164:165]
	s_wait_loadcnt_dscnt 0xa00
	v_mul_f64_e32 v[180:181], v[4:5], v[154:155]
	v_mul_f64_e32 v[154:155], v[6:7], v[154:155]
	v_fmac_f64_e32 v[182:183], v[174:175], v[168:169]
	v_fma_f64 v[172:173], v[172:173], v[168:169], -v[170:171]
	ds_load_b128 v[164:167], v2 offset:1120
	scratch_load_b128 v[168:171], off, off offset:432
	v_add_f64_e32 v[176:177], v[176:177], v[178:179]
	v_add_f64_e32 v[174:175], v[186:187], v[184:185]
	v_fmac_f64_e32 v[180:181], v[6:7], v[152:153]
	v_fma_f64 v[184:185], v[4:5], v[152:153], -v[154:155]
	ds_load_b128 v[4:7], v2 offset:1136
	s_wait_loadcnt_dscnt 0xa01
	v_mul_f64_e32 v[178:179], v[164:165], v[10:11]
	v_mul_f64_e32 v[10:11], v[166:167], v[10:11]
	scratch_load_b128 v[152:155], off, off offset:448
	v_add_f64_e32 v[176:177], v[176:177], v[182:183]
	s_wait_loadcnt_dscnt 0xa00
	v_mul_f64_e32 v[182:183], v[4:5], v[14:15]
	v_add_f64_e32 v[186:187], v[174:175], v[172:173]
	v_mul_f64_e32 v[14:15], v[6:7], v[14:15]
	ds_load_b128 v[172:175], v2 offset:1152
	v_fmac_f64_e32 v[178:179], v[166:167], v[8:9]
	v_fma_f64 v[164:165], v[164:165], v[8:9], -v[10:11]
	scratch_load_b128 v[8:11], off, off offset:464
	v_add_f64_e32 v[176:177], v[176:177], v[180:181]
	v_fmac_f64_e32 v[182:183], v[6:7], v[12:13]
	v_add_f64_e32 v[166:167], v[186:187], v[184:185]
	v_fma_f64 v[184:185], v[4:5], v[12:13], -v[14:15]
	ds_load_b128 v[4:7], v2 offset:1168
	s_wait_loadcnt_dscnt 0xa01
	v_mul_f64_e32 v[180:181], v[172:173], v[126:127]
	v_mul_f64_e32 v[126:127], v[174:175], v[126:127]
	scratch_load_b128 v[12:15], off, off offset:480
	v_add_f64_e32 v[176:177], v[176:177], v[178:179]
	s_wait_loadcnt_dscnt 0xa00
	v_mul_f64_e32 v[178:179], v[4:5], v[130:131]
	v_add_f64_e32 v[186:187], v[166:167], v[164:165]
	v_mul_f64_e32 v[130:131], v[6:7], v[130:131]
	ds_load_b128 v[164:167], v2 offset:1184
	v_fmac_f64_e32 v[180:181], v[174:175], v[124:125]
	v_fma_f64 v[172:173], v[172:173], v[124:125], -v[126:127]
	scratch_load_b128 v[124:127], off, off offset:496
	v_add_f64_e32 v[176:177], v[176:177], v[182:183]
	v_fmac_f64_e32 v[178:179], v[6:7], v[128:129]
	v_add_f64_e32 v[174:175], v[186:187], v[184:185]
	;; [unrolled: 18-line block ×12, first 2 shown]
	v_fma_f64 v[184:185], v[4:5], v[152:153], -v[154:155]
	ds_load_b128 v[4:7], v2 offset:1520
	s_wait_loadcnt_dscnt 0xa01
	v_mul_f64_e32 v[178:179], v[164:165], v[10:11]
	v_mul_f64_e32 v[10:11], v[166:167], v[10:11]
	scratch_load_b128 v[152:155], off, off offset:832
	v_add_f64_e32 v[176:177], v[176:177], v[182:183]
	s_wait_loadcnt_dscnt 0xa00
	v_mul_f64_e32 v[182:183], v[4:5], v[14:15]
	v_add_f64_e32 v[186:187], v[174:175], v[172:173]
	v_mul_f64_e32 v[14:15], v[6:7], v[14:15]
	ds_load_b128 v[172:175], v2 offset:1536
	v_fmac_f64_e32 v[178:179], v[166:167], v[8:9]
	v_fma_f64 v[8:9], v[164:165], v[8:9], -v[10:11]
	s_wait_loadcnt_dscnt 0x900
	v_mul_f64_e32 v[166:167], v[172:173], v[126:127]
	v_mul_f64_e32 v[126:127], v[174:175], v[126:127]
	v_add_f64_e32 v[164:165], v[176:177], v[180:181]
	v_fmac_f64_e32 v[182:183], v[6:7], v[12:13]
	v_add_f64_e32 v[10:11], v[186:187], v[184:185]
	v_fma_f64 v[12:13], v[4:5], v[12:13], -v[14:15]
	v_fmac_f64_e32 v[166:167], v[174:175], v[124:125]
	v_fma_f64 v[124:125], v[172:173], v[124:125], -v[126:127]
	v_add_f64_e32 v[164:165], v[164:165], v[178:179]
	v_add_f64_e32 v[14:15], v[10:11], v[8:9]
	ds_load_b128 v[4:7], v2 offset:1552
	ds_load_b128 v[8:11], v2 offset:1568
	s_wait_loadcnt_dscnt 0x801
	v_mul_f64_e32 v[176:177], v[4:5], v[130:131]
	v_mul_f64_e32 v[130:131], v[6:7], v[130:131]
	s_wait_loadcnt_dscnt 0x700
	v_mul_f64_e32 v[126:127], v[8:9], v[134:135]
	v_mul_f64_e32 v[134:135], v[10:11], v[134:135]
	v_add_f64_e32 v[12:13], v[14:15], v[12:13]
	v_add_f64_e32 v[14:15], v[164:165], v[182:183]
	v_fmac_f64_e32 v[176:177], v[6:7], v[128:129]
	v_fma_f64 v[128:129], v[4:5], v[128:129], -v[130:131]
	v_fmac_f64_e32 v[126:127], v[10:11], v[132:133]
	v_fma_f64 v[8:9], v[8:9], v[132:133], -v[134:135]
	v_add_f64_e32 v[124:125], v[12:13], v[124:125]
	v_add_f64_e32 v[130:131], v[14:15], v[166:167]
	ds_load_b128 v[4:7], v2 offset:1584
	ds_load_b128 v[12:15], v2 offset:1600
	s_wait_loadcnt_dscnt 0x601
	v_mul_f64_e32 v[164:165], v[4:5], v[138:139]
	v_mul_f64_e32 v[138:139], v[6:7], v[138:139]
	v_add_f64_e32 v[10:11], v[124:125], v[128:129]
	v_add_f64_e32 v[124:125], v[130:131], v[176:177]
	s_wait_loadcnt_dscnt 0x500
	v_mul_f64_e32 v[128:129], v[12:13], v[142:143]
	v_mul_f64_e32 v[130:131], v[14:15], v[142:143]
	v_fmac_f64_e32 v[164:165], v[6:7], v[136:137]
	v_fma_f64 v[132:133], v[4:5], v[136:137], -v[138:139]
	v_add_f64_e32 v[134:135], v[10:11], v[8:9]
	v_add_f64_e32 v[124:125], v[124:125], v[126:127]
	ds_load_b128 v[4:7], v2 offset:1616
	ds_load_b128 v[8:11], v2 offset:1632
	v_fmac_f64_e32 v[128:129], v[14:15], v[140:141]
	v_fma_f64 v[12:13], v[12:13], v[140:141], -v[130:131]
	s_wait_loadcnt_dscnt 0x401
	v_mul_f64_e32 v[126:127], v[4:5], v[146:147]
	v_mul_f64_e32 v[136:137], v[6:7], v[146:147]
	s_wait_loadcnt_dscnt 0x300
	v_mul_f64_e32 v[130:131], v[8:9], v[150:151]
	v_add_f64_e32 v[14:15], v[134:135], v[132:133]
	v_add_f64_e32 v[124:125], v[124:125], v[164:165]
	v_mul_f64_e32 v[132:133], v[10:11], v[150:151]
	v_fmac_f64_e32 v[126:127], v[6:7], v[144:145]
	v_fma_f64 v[134:135], v[4:5], v[144:145], -v[136:137]
	v_fmac_f64_e32 v[130:131], v[10:11], v[148:149]
	v_add_f64_e32 v[136:137], v[14:15], v[12:13]
	v_add_f64_e32 v[124:125], v[124:125], v[128:129]
	ds_load_b128 v[4:7], v2 offset:1648
	ds_load_b128 v[12:15], v2 offset:1664
	v_fma_f64 v[8:9], v[8:9], v[148:149], -v[132:133]
	s_wait_loadcnt_dscnt 0x201
	v_mul_f64_e32 v[128:129], v[4:5], v[158:159]
	v_mul_f64_e32 v[138:139], v[6:7], v[158:159]
	s_wait_loadcnt_dscnt 0x100
	v_mul_f64_e32 v[132:133], v[14:15], v[170:171]
	v_add_f64_e32 v[10:11], v[136:137], v[134:135]
	v_add_f64_e32 v[124:125], v[124:125], v[126:127]
	v_mul_f64_e32 v[126:127], v[12:13], v[170:171]
	v_fmac_f64_e32 v[128:129], v[6:7], v[156:157]
	v_fma_f64 v[134:135], v[4:5], v[156:157], -v[138:139]
	ds_load_b128 v[4:7], v2 offset:1680
	v_fma_f64 v[12:13], v[12:13], v[168:169], -v[132:133]
	v_add_f64_e32 v[8:9], v[10:11], v[8:9]
	v_add_f64_e32 v[10:11], v[124:125], v[130:131]
	v_fmac_f64_e32 v[126:127], v[14:15], v[168:169]
	s_wait_loadcnt_dscnt 0x0
	v_mul_f64_e32 v[124:125], v[4:5], v[154:155]
	v_mul_f64_e32 v[130:131], v[6:7], v[154:155]
	v_add_f64_e32 v[8:9], v[8:9], v[134:135]
	v_add_f64_e32 v[10:11], v[10:11], v[128:129]
	s_delay_alu instid0(VALU_DEP_4) | instskip(NEXT) | instid1(VALU_DEP_4)
	v_fmac_f64_e32 v[124:125], v[6:7], v[152:153]
	v_fma_f64 v[4:5], v[4:5], v[152:153], -v[130:131]
	s_delay_alu instid0(VALU_DEP_4) | instskip(NEXT) | instid1(VALU_DEP_4)
	v_add_f64_e32 v[6:7], v[8:9], v[12:13]
	v_add_f64_e32 v[8:9], v[10:11], v[126:127]
	s_delay_alu instid0(VALU_DEP_2) | instskip(NEXT) | instid1(VALU_DEP_2)
	v_add_f64_e32 v[4:5], v[6:7], v[4:5]
	v_add_f64_e32 v[6:7], v[8:9], v[124:125]
	s_delay_alu instid0(VALU_DEP_2) | instskip(NEXT) | instid1(VALU_DEP_2)
	v_add_f64_e64 v[4:5], v[160:161], -v[4:5]
	v_add_f64_e64 v[6:7], v[162:163], -v[6:7]
	scratch_store_b128 off, v[4:7], off offset:48
	s_wait_xcnt 0x0
	v_cmpx_lt_u32_e32 2, v1
	s_cbranch_execz .LBB52_327
; %bb.326:
	scratch_load_b128 v[6:9], off, s35
	v_dual_mov_b32 v3, v2 :: v_dual_mov_b32 v4, v2
	v_mov_b32_e32 v5, v2
	scratch_store_b128 off, v[2:5], off offset:32
	s_wait_loadcnt 0x0
	ds_store_b128 v122, v[6:9]
.LBB52_327:
	s_wait_xcnt 0x0
	s_or_b32 exec_lo, exec_lo, s2
	s_wait_storecnt_dscnt 0x0
	s_barrier_signal -1
	s_barrier_wait -1
	s_clause 0x9
	scratch_load_b128 v[4:7], off, off offset:48
	scratch_load_b128 v[8:11], off, off offset:64
	;; [unrolled: 1-line block ×10, first 2 shown]
	ds_load_b128 v[152:155], v2 offset:896
	ds_load_b128 v[160:163], v2 offset:912
	s_clause 0x2
	scratch_load_b128 v[156:159], off, off offset:208
	scratch_load_b128 v[164:167], off, off offset:32
	;; [unrolled: 1-line block ×3, first 2 shown]
	s_mov_b32 s2, exec_lo
	v_ashrrev_i32_e32 v21, 31, v20
	v_ashrrev_i32_e32 v25, 31, v24
	;; [unrolled: 1-line block ×3, first 2 shown]
	v_dual_ashrrev_i32 v33, 31, v32 :: v_dual_ashrrev_i32 v23, 31, v22
	v_dual_ashrrev_i32 v27, 31, v26 :: v_dual_ashrrev_i32 v37, 31, v36
	;; [unrolled: 1-line block ×8, first 2 shown]
	v_ashrrev_i32_e32 v65, 31, v64
	v_ashrrev_i32_e32 v69, 31, v68
	v_dual_ashrrev_i32 v73, 31, v72 :: v_dual_ashrrev_i32 v55, 31, v54
	v_ashrrev_i32_e32 v59, 31, v58
	v_ashrrev_i32_e32 v63, 31, v62
	v_dual_ashrrev_i32 v67, 31, v66 :: v_dual_ashrrev_i32 v77, 31, v76
	v_dual_ashrrev_i32 v81, 31, v80 :: v_dual_ashrrev_i32 v71, 31, v70
	;; [unrolled: 1-line block ×3, first 2 shown]
	v_ashrrev_i32_e32 v89, 31, v88
	v_dual_ashrrev_i32 v93, 31, v92 :: v_dual_ashrrev_i32 v79, 31, v78
	v_dual_ashrrev_i32 v97, 31, v96 :: v_dual_ashrrev_i32 v83, 31, v82
	v_ashrrev_i32_e32 v101, 31, v100
	v_dual_ashrrev_i32 v105, 31, v104 :: v_dual_ashrrev_i32 v87, 31, v86
	v_ashrrev_i32_e32 v91, 31, v90
	v_dual_ashrrev_i32 v95, 31, v94 :: v_dual_ashrrev_i32 v109, 31, v108
	v_dual_ashrrev_i32 v113, 31, v112 :: v_dual_ashrrev_i32 v99, 31, v98
	v_dual_ashrrev_i32 v117, 31, v116 :: v_dual_ashrrev_i32 v103, 31, v102
	v_dual_ashrrev_i32 v121, 31, v120 :: v_dual_ashrrev_i32 v107, 31, v106
	v_ashrrev_i32_e32 v111, 31, v110
	v_ashrrev_i32_e32 v115, 31, v114
	;; [unrolled: 1-line block ×3, first 2 shown]
	s_wait_loadcnt_dscnt 0xc01
	v_mul_f64_e32 v[172:173], v[154:155], v[6:7]
	v_mul_f64_e32 v[176:177], v[152:153], v[6:7]
	s_wait_loadcnt_dscnt 0xb00
	v_mul_f64_e32 v[178:179], v[160:161], v[10:11]
	v_mul_f64_e32 v[10:11], v[162:163], v[10:11]
	s_delay_alu instid0(VALU_DEP_4) | instskip(NEXT) | instid1(VALU_DEP_4)
	v_fma_f64 v[180:181], v[152:153], v[4:5], -v[172:173]
	v_fmac_f64_e32 v[176:177], v[154:155], v[4:5]
	ds_load_b128 v[4:7], v2 offset:928
	ds_load_b128 v[172:175], v2 offset:944
	scratch_load_b128 v[152:155], off, off offset:240
	v_fmac_f64_e32 v[178:179], v[162:163], v[8:9]
	v_fma_f64 v[160:161], v[160:161], v[8:9], -v[10:11]
	scratch_load_b128 v[8:11], off, off offset:256
	s_wait_loadcnt_dscnt 0xc01
	v_mul_f64_e32 v[182:183], v[4:5], v[14:15]
	v_mul_f64_e32 v[14:15], v[6:7], v[14:15]
	v_add_f64_e32 v[162:163], 0, v[180:181]
	v_add_f64_e32 v[176:177], 0, v[176:177]
	s_wait_loadcnt_dscnt 0xb00
	v_mul_f64_e32 v[180:181], v[172:173], v[126:127]
	v_mul_f64_e32 v[126:127], v[174:175], v[126:127]
	v_fmac_f64_e32 v[182:183], v[6:7], v[12:13]
	v_fma_f64 v[184:185], v[4:5], v[12:13], -v[14:15]
	ds_load_b128 v[4:7], v2 offset:960
	scratch_load_b128 v[12:15], off, off offset:272
	v_add_f64_e32 v[186:187], v[162:163], v[160:161]
	v_add_f64_e32 v[176:177], v[176:177], v[178:179]
	ds_load_b128 v[160:163], v2 offset:976
	v_fmac_f64_e32 v[180:181], v[174:175], v[124:125]
	v_fma_f64 v[172:173], v[172:173], v[124:125], -v[126:127]
	scratch_load_b128 v[124:127], off, off offset:288
	s_wait_loadcnt_dscnt 0xc01
	v_mul_f64_e32 v[178:179], v[4:5], v[130:131]
	v_mul_f64_e32 v[130:131], v[6:7], v[130:131]
	v_add_f64_e32 v[174:175], v[186:187], v[184:185]
	v_add_f64_e32 v[176:177], v[176:177], v[182:183]
	s_wait_loadcnt_dscnt 0xb00
	v_mul_f64_e32 v[182:183], v[160:161], v[134:135]
	v_mul_f64_e32 v[134:135], v[162:163], v[134:135]
	v_fmac_f64_e32 v[178:179], v[6:7], v[128:129]
	v_fma_f64 v[184:185], v[4:5], v[128:129], -v[130:131]
	ds_load_b128 v[4:7], v2 offset:992
	scratch_load_b128 v[128:131], off, off offset:304
	v_add_f64_e32 v[186:187], v[174:175], v[172:173]
	v_add_f64_e32 v[176:177], v[176:177], v[180:181]
	ds_load_b128 v[172:175], v2 offset:1008
	s_wait_loadcnt_dscnt 0xb01
	v_mul_f64_e32 v[180:181], v[4:5], v[138:139]
	v_mul_f64_e32 v[138:139], v[6:7], v[138:139]
	v_fmac_f64_e32 v[182:183], v[162:163], v[132:133]
	v_fma_f64 v[160:161], v[160:161], v[132:133], -v[134:135]
	scratch_load_b128 v[132:135], off, off offset:320
	v_add_f64_e32 v[162:163], v[186:187], v[184:185]
	v_add_f64_e32 v[176:177], v[176:177], v[178:179]
	s_wait_loadcnt_dscnt 0xb00
	v_mul_f64_e32 v[178:179], v[172:173], v[142:143]
	v_mul_f64_e32 v[142:143], v[174:175], v[142:143]
	v_fmac_f64_e32 v[180:181], v[6:7], v[136:137]
	v_fma_f64 v[184:185], v[4:5], v[136:137], -v[138:139]
	ds_load_b128 v[4:7], v2 offset:1024
	scratch_load_b128 v[136:139], off, off offset:336
	v_add_f64_e32 v[186:187], v[162:163], v[160:161]
	v_add_f64_e32 v[176:177], v[176:177], v[182:183]
	ds_load_b128 v[160:163], v2 offset:1040
	s_wait_loadcnt_dscnt 0xb01
	v_mul_f64_e32 v[182:183], v[4:5], v[146:147]
	v_mul_f64_e32 v[146:147], v[6:7], v[146:147]
	v_fmac_f64_e32 v[178:179], v[174:175], v[140:141]
	v_fma_f64 v[172:173], v[172:173], v[140:141], -v[142:143]
	scratch_load_b128 v[140:143], off, off offset:352
	;; [unrolled: 18-line block ×3, first 2 shown]
	v_add_f64_e32 v[162:163], v[186:187], v[184:185]
	v_add_f64_e32 v[176:177], v[176:177], v[182:183]
	s_wait_loadcnt_dscnt 0xa00
	v_mul_f64_e32 v[182:183], v[172:173], v[170:171]
	v_mul_f64_e32 v[170:171], v[174:175], v[170:171]
	v_fmac_f64_e32 v[178:179], v[6:7], v[156:157]
	v_fma_f64 v[184:185], v[4:5], v[156:157], -v[158:159]
	ds_load_b128 v[4:7], v2 offset:1088
	scratch_load_b128 v[156:159], off, off offset:400
	v_add_f64_e32 v[186:187], v[162:163], v[160:161]
	v_add_f64_e32 v[176:177], v[176:177], v[180:181]
	ds_load_b128 v[160:163], v2 offset:1104
	v_fmac_f64_e32 v[182:183], v[174:175], v[168:169]
	s_wait_loadcnt_dscnt 0xa01
	v_mul_f64_e32 v[180:181], v[4:5], v[154:155]
	v_mul_f64_e32 v[154:155], v[6:7], v[154:155]
	v_fma_f64 v[172:173], v[172:173], v[168:169], -v[170:171]
	scratch_load_b128 v[168:171], off, off offset:416
	v_add_f64_e32 v[174:175], v[186:187], v[184:185]
	v_add_f64_e32 v[176:177], v[176:177], v[178:179]
	s_wait_loadcnt_dscnt 0xa00
	v_mul_f64_e32 v[178:179], v[160:161], v[10:11]
	v_mul_f64_e32 v[10:11], v[162:163], v[10:11]
	v_fmac_f64_e32 v[180:181], v[6:7], v[152:153]
	v_fma_f64 v[184:185], v[4:5], v[152:153], -v[154:155]
	ds_load_b128 v[4:7], v2 offset:1120
	scratch_load_b128 v[152:155], off, off offset:432
	v_add_f64_e32 v[186:187], v[174:175], v[172:173]
	v_add_f64_e32 v[176:177], v[176:177], v[182:183]
	ds_load_b128 v[172:175], v2 offset:1136
	s_wait_loadcnt_dscnt 0xa01
	v_mul_f64_e32 v[182:183], v[4:5], v[14:15]
	v_mul_f64_e32 v[14:15], v[6:7], v[14:15]
	v_fmac_f64_e32 v[178:179], v[162:163], v[8:9]
	v_fma_f64 v[160:161], v[160:161], v[8:9], -v[10:11]
	scratch_load_b128 v[8:11], off, off offset:448
	v_add_f64_e32 v[162:163], v[186:187], v[184:185]
	v_add_f64_e32 v[176:177], v[176:177], v[180:181]
	s_wait_loadcnt_dscnt 0xa00
	v_mul_f64_e32 v[180:181], v[172:173], v[126:127]
	v_mul_f64_e32 v[126:127], v[174:175], v[126:127]
	v_fmac_f64_e32 v[182:183], v[6:7], v[12:13]
	v_fma_f64 v[184:185], v[4:5], v[12:13], -v[14:15]
	ds_load_b128 v[4:7], v2 offset:1152
	scratch_load_b128 v[12:15], off, off offset:464
	v_add_f64_e32 v[186:187], v[162:163], v[160:161]
	v_add_f64_e32 v[176:177], v[176:177], v[178:179]
	ds_load_b128 v[160:163], v2 offset:1168
	s_wait_loadcnt_dscnt 0xa01
	v_mul_f64_e32 v[178:179], v[4:5], v[130:131]
	v_mul_f64_e32 v[130:131], v[6:7], v[130:131]
	v_fmac_f64_e32 v[180:181], v[174:175], v[124:125]
	;; [unrolled: 18-line block ×13, first 2 shown]
	v_fma_f64 v[160:161], v[160:161], v[8:9], -v[10:11]
	scratch_load_b128 v[8:11], off, off offset:832
	v_add_f64_e32 v[162:163], v[186:187], v[184:185]
	v_add_f64_e32 v[176:177], v[176:177], v[180:181]
	s_wait_loadcnt_dscnt 0xa00
	v_mul_f64_e32 v[180:181], v[172:173], v[126:127]
	v_mul_f64_e32 v[126:127], v[174:175], v[126:127]
	v_fmac_f64_e32 v[182:183], v[6:7], v[12:13]
	v_fma_f64 v[184:185], v[4:5], v[12:13], -v[14:15]
	ds_load_b128 v[4:7], v2 offset:1536
	ds_load_b128 v[12:15], v2 offset:1552
	v_add_f64_e32 v[160:161], v[162:163], v[160:161]
	v_add_f64_e32 v[162:163], v[176:177], v[178:179]
	s_wait_loadcnt_dscnt 0x901
	v_mul_f64_e32 v[176:177], v[4:5], v[130:131]
	v_mul_f64_e32 v[130:131], v[6:7], v[130:131]
	v_fmac_f64_e32 v[180:181], v[174:175], v[124:125]
	v_fma_f64 v[124:125], v[172:173], v[124:125], -v[126:127]
	v_add_f64_e32 v[126:127], v[160:161], v[184:185]
	v_add_f64_e32 v[160:161], v[162:163], v[182:183]
	s_wait_loadcnt_dscnt 0x800
	v_mul_f64_e32 v[162:163], v[12:13], v[134:135]
	v_mul_f64_e32 v[134:135], v[14:15], v[134:135]
	v_fmac_f64_e32 v[176:177], v[6:7], v[128:129]
	v_fma_f64 v[128:129], v[4:5], v[128:129], -v[130:131]
	v_add_f64_e32 v[130:131], v[126:127], v[124:125]
	v_add_f64_e32 v[160:161], v[160:161], v[180:181]
	ds_load_b128 v[4:7], v2 offset:1568
	ds_load_b128 v[124:127], v2 offset:1584
	v_fmac_f64_e32 v[162:163], v[14:15], v[132:133]
	v_fma_f64 v[12:13], v[12:13], v[132:133], -v[134:135]
	s_wait_loadcnt_dscnt 0x701
	v_mul_f64_e32 v[172:173], v[4:5], v[138:139]
	v_mul_f64_e32 v[138:139], v[6:7], v[138:139]
	s_wait_loadcnt_dscnt 0x600
	v_mul_f64_e32 v[132:133], v[126:127], v[142:143]
	v_add_f64_e32 v[14:15], v[130:131], v[128:129]
	v_add_f64_e32 v[128:129], v[160:161], v[176:177]
	v_mul_f64_e32 v[130:131], v[124:125], v[142:143]
	v_fmac_f64_e32 v[172:173], v[6:7], v[136:137]
	v_fma_f64 v[134:135], v[4:5], v[136:137], -v[138:139]
	v_fma_f64 v[124:125], v[124:125], v[140:141], -v[132:133]
	v_add_f64_e32 v[136:137], v[14:15], v[12:13]
	v_add_f64_e32 v[128:129], v[128:129], v[162:163]
	ds_load_b128 v[4:7], v2 offset:1600
	ds_load_b128 v[12:15], v2 offset:1616
	v_fmac_f64_e32 v[130:131], v[126:127], v[140:141]
	s_wait_loadcnt_dscnt 0x501
	v_mul_f64_e32 v[138:139], v[4:5], v[146:147]
	v_mul_f64_e32 v[142:143], v[6:7], v[146:147]
	s_wait_loadcnt_dscnt 0x400
	v_mul_f64_e32 v[132:133], v[12:13], v[150:151]
	v_add_f64_e32 v[126:127], v[136:137], v[134:135]
	v_add_f64_e32 v[128:129], v[128:129], v[172:173]
	v_mul_f64_e32 v[134:135], v[14:15], v[150:151]
	v_fmac_f64_e32 v[138:139], v[6:7], v[144:145]
	v_fma_f64 v[136:137], v[4:5], v[144:145], -v[142:143]
	v_fmac_f64_e32 v[132:133], v[14:15], v[148:149]
	v_add_f64_e32 v[140:141], v[126:127], v[124:125]
	v_add_f64_e32 v[128:129], v[128:129], v[130:131]
	ds_load_b128 v[4:7], v2 offset:1632
	ds_load_b128 v[124:127], v2 offset:1648
	v_fma_f64 v[12:13], v[12:13], v[148:149], -v[134:135]
	s_wait_loadcnt_dscnt 0x301
	v_mul_f64_e32 v[130:131], v[4:5], v[158:159]
	v_mul_f64_e32 v[142:143], v[6:7], v[158:159]
	s_wait_loadcnt_dscnt 0x200
	v_mul_f64_e32 v[134:135], v[124:125], v[170:171]
	v_add_f64_e32 v[14:15], v[140:141], v[136:137]
	v_add_f64_e32 v[128:129], v[128:129], v[138:139]
	v_mul_f64_e32 v[136:137], v[126:127], v[170:171]
	v_fmac_f64_e32 v[130:131], v[6:7], v[156:157]
	v_fma_f64 v[138:139], v[4:5], v[156:157], -v[142:143]
	v_fmac_f64_e32 v[134:135], v[126:127], v[168:169]
	v_add_f64_e32 v[140:141], v[14:15], v[12:13]
	v_add_f64_e32 v[128:129], v[128:129], v[132:133]
	ds_load_b128 v[4:7], v2 offset:1664
	ds_load_b128 v[12:15], v2 offset:1680
	v_fma_f64 v[124:125], v[124:125], v[168:169], -v[136:137]
	s_wait_loadcnt_dscnt 0x101
	v_mul_f64_e32 v[2:3], v[4:5], v[154:155]
	v_mul_f64_e32 v[132:133], v[6:7], v[154:155]
	v_add_f64_e32 v[126:127], v[140:141], v[138:139]
	v_add_f64_e32 v[128:129], v[128:129], v[130:131]
	s_wait_loadcnt_dscnt 0x0
	v_mul_f64_e32 v[130:131], v[12:13], v[10:11]
	v_mul_f64_e32 v[10:11], v[14:15], v[10:11]
	v_fmac_f64_e32 v[2:3], v[6:7], v[152:153]
	v_fma_f64 v[4:5], v[4:5], v[152:153], -v[132:133]
	v_add_f64_e32 v[6:7], v[126:127], v[124:125]
	v_add_f64_e32 v[124:125], v[128:129], v[134:135]
	v_fmac_f64_e32 v[130:131], v[14:15], v[8:9]
	v_fma_f64 v[8:9], v[12:13], v[8:9], -v[10:11]
	s_delay_alu instid0(VALU_DEP_4) | instskip(NEXT) | instid1(VALU_DEP_4)
	v_add_f64_e32 v[4:5], v[6:7], v[4:5]
	v_add_f64_e32 v[2:3], v[124:125], v[2:3]
	s_delay_alu instid0(VALU_DEP_2) | instskip(NEXT) | instid1(VALU_DEP_2)
	v_add_f64_e32 v[4:5], v[4:5], v[8:9]
	v_add_f64_e32 v[6:7], v[2:3], v[130:131]
	s_delay_alu instid0(VALU_DEP_2) | instskip(NEXT) | instid1(VALU_DEP_2)
	v_add_f64_e64 v[2:3], v[164:165], -v[4:5]
	v_add_f64_e64 v[4:5], v[166:167], -v[6:7]
	scratch_store_b128 off, v[2:5], off offset:32
	s_wait_xcnt 0x0
	v_cmpx_lt_u32_e32 1, v1
	s_cbranch_execz .LBB52_329
; %bb.328:
	scratch_load_b128 v[2:5], off, s38
	v_mov_b32_e32 v6, 0
	s_delay_alu instid0(VALU_DEP_1)
	v_dual_mov_b32 v7, v6 :: v_dual_mov_b32 v8, v6
	v_mov_b32_e32 v9, v6
	scratch_store_b128 off, v[6:9], off offset:16
	s_wait_loadcnt 0x0
	ds_store_b128 v122, v[2:5]
.LBB52_329:
	s_wait_xcnt 0x0
	s_or_b32 exec_lo, exec_lo, s2
	s_wait_storecnt_dscnt 0x0
	s_barrier_signal -1
	s_barrier_wait -1
	s_clause 0x9
	scratch_load_b128 v[4:7], off, off offset:32
	scratch_load_b128 v[8:11], off, off offset:48
	;; [unrolled: 1-line block ×10, first 2 shown]
	v_mov_b32_e32 v2, 0
	s_mov_b32 s2, exec_lo
	ds_load_b128 v[152:155], v2 offset:880
	s_clause 0x2
	scratch_load_b128 v[156:159], off, off offset:192
	scratch_load_b128 v[160:163], off, off offset:16
	;; [unrolled: 1-line block ×3, first 2 shown]
	s_wait_loadcnt_dscnt 0xc00
	v_mul_f64_e32 v[172:173], v[154:155], v[6:7]
	v_mul_f64_e32 v[176:177], v[152:153], v[6:7]
	ds_load_b128 v[164:167], v2 offset:896
	v_fma_f64 v[180:181], v[152:153], v[4:5], -v[172:173]
	v_fmac_f64_e32 v[176:177], v[154:155], v[4:5]
	ds_load_b128 v[4:7], v2 offset:912
	s_wait_loadcnt_dscnt 0xb01
	v_mul_f64_e32 v[178:179], v[164:165], v[10:11]
	v_mul_f64_e32 v[10:11], v[166:167], v[10:11]
	scratch_load_b128 v[152:155], off, off offset:224
	ds_load_b128 v[172:175], v2 offset:928
	s_wait_loadcnt_dscnt 0xb01
	v_mul_f64_e32 v[182:183], v[4:5], v[14:15]
	v_mul_f64_e32 v[14:15], v[6:7], v[14:15]
	v_add_f64_e32 v[176:177], 0, v[176:177]
	v_fmac_f64_e32 v[178:179], v[166:167], v[8:9]
	v_fma_f64 v[164:165], v[164:165], v[8:9], -v[10:11]
	v_add_f64_e32 v[166:167], 0, v[180:181]
	scratch_load_b128 v[8:11], off, off offset:240
	v_fmac_f64_e32 v[182:183], v[6:7], v[12:13]
	v_fma_f64 v[184:185], v[4:5], v[12:13], -v[14:15]
	ds_load_b128 v[4:7], v2 offset:944
	s_wait_loadcnt_dscnt 0xb01
	v_mul_f64_e32 v[180:181], v[172:173], v[126:127]
	v_mul_f64_e32 v[126:127], v[174:175], v[126:127]
	scratch_load_b128 v[12:15], off, off offset:256
	v_add_f64_e32 v[176:177], v[176:177], v[178:179]
	v_add_f64_e32 v[186:187], v[166:167], v[164:165]
	ds_load_b128 v[164:167], v2 offset:960
	s_wait_loadcnt_dscnt 0xb01
	v_mul_f64_e32 v[178:179], v[4:5], v[130:131]
	v_mul_f64_e32 v[130:131], v[6:7], v[130:131]
	v_fmac_f64_e32 v[180:181], v[174:175], v[124:125]
	v_fma_f64 v[172:173], v[172:173], v[124:125], -v[126:127]
	scratch_load_b128 v[124:127], off, off offset:272
	v_add_f64_e32 v[176:177], v[176:177], v[182:183]
	v_add_f64_e32 v[174:175], v[186:187], v[184:185]
	v_fmac_f64_e32 v[178:179], v[6:7], v[128:129]
	v_fma_f64 v[184:185], v[4:5], v[128:129], -v[130:131]
	ds_load_b128 v[4:7], v2 offset:976
	s_wait_loadcnt_dscnt 0xb01
	v_mul_f64_e32 v[182:183], v[164:165], v[134:135]
	v_mul_f64_e32 v[134:135], v[166:167], v[134:135]
	scratch_load_b128 v[128:131], off, off offset:288
	v_add_f64_e32 v[176:177], v[176:177], v[180:181]
	s_wait_loadcnt_dscnt 0xb00
	v_mul_f64_e32 v[180:181], v[4:5], v[138:139]
	v_add_f64_e32 v[186:187], v[174:175], v[172:173]
	v_mul_f64_e32 v[138:139], v[6:7], v[138:139]
	ds_load_b128 v[172:175], v2 offset:992
	v_fmac_f64_e32 v[182:183], v[166:167], v[132:133]
	v_fma_f64 v[164:165], v[164:165], v[132:133], -v[134:135]
	scratch_load_b128 v[132:135], off, off offset:304
	v_add_f64_e32 v[176:177], v[176:177], v[178:179]
	v_fmac_f64_e32 v[180:181], v[6:7], v[136:137]
	v_add_f64_e32 v[166:167], v[186:187], v[184:185]
	v_fma_f64 v[184:185], v[4:5], v[136:137], -v[138:139]
	ds_load_b128 v[4:7], v2 offset:1008
	s_wait_loadcnt_dscnt 0xb01
	v_mul_f64_e32 v[178:179], v[172:173], v[142:143]
	v_mul_f64_e32 v[142:143], v[174:175], v[142:143]
	scratch_load_b128 v[136:139], off, off offset:320
	v_add_f64_e32 v[176:177], v[176:177], v[182:183]
	s_wait_loadcnt_dscnt 0xb00
	v_mul_f64_e32 v[182:183], v[4:5], v[146:147]
	v_add_f64_e32 v[186:187], v[166:167], v[164:165]
	v_mul_f64_e32 v[146:147], v[6:7], v[146:147]
	ds_load_b128 v[164:167], v2 offset:1024
	v_fmac_f64_e32 v[178:179], v[174:175], v[140:141]
	v_fma_f64 v[172:173], v[172:173], v[140:141], -v[142:143]
	scratch_load_b128 v[140:143], off, off offset:336
	v_add_f64_e32 v[176:177], v[176:177], v[180:181]
	v_fmac_f64_e32 v[182:183], v[6:7], v[144:145]
	v_add_f64_e32 v[174:175], v[186:187], v[184:185]
	;; [unrolled: 18-line block ×3, first 2 shown]
	v_fma_f64 v[184:185], v[4:5], v[156:157], -v[158:159]
	ds_load_b128 v[4:7], v2 offset:1072
	s_wait_loadcnt_dscnt 0xa01
	v_mul_f64_e32 v[182:183], v[172:173], v[170:171]
	v_mul_f64_e32 v[170:171], v[174:175], v[170:171]
	scratch_load_b128 v[156:159], off, off offset:384
	v_add_f64_e32 v[176:177], v[176:177], v[180:181]
	v_add_f64_e32 v[186:187], v[166:167], v[164:165]
	s_wait_loadcnt_dscnt 0xa00
	v_mul_f64_e32 v[180:181], v[4:5], v[154:155]
	v_mul_f64_e32 v[154:155], v[6:7], v[154:155]
	v_fmac_f64_e32 v[182:183], v[174:175], v[168:169]
	v_fma_f64 v[172:173], v[172:173], v[168:169], -v[170:171]
	ds_load_b128 v[164:167], v2 offset:1088
	scratch_load_b128 v[168:171], off, off offset:400
	v_add_f64_e32 v[176:177], v[176:177], v[178:179]
	v_add_f64_e32 v[174:175], v[186:187], v[184:185]
	v_fmac_f64_e32 v[180:181], v[6:7], v[152:153]
	v_fma_f64 v[184:185], v[4:5], v[152:153], -v[154:155]
	ds_load_b128 v[4:7], v2 offset:1104
	s_wait_loadcnt_dscnt 0xa01
	v_mul_f64_e32 v[178:179], v[164:165], v[10:11]
	v_mul_f64_e32 v[10:11], v[166:167], v[10:11]
	scratch_load_b128 v[152:155], off, off offset:416
	v_add_f64_e32 v[176:177], v[176:177], v[182:183]
	s_wait_loadcnt_dscnt 0xa00
	v_mul_f64_e32 v[182:183], v[4:5], v[14:15]
	v_add_f64_e32 v[186:187], v[174:175], v[172:173]
	v_mul_f64_e32 v[14:15], v[6:7], v[14:15]
	ds_load_b128 v[172:175], v2 offset:1120
	v_fmac_f64_e32 v[178:179], v[166:167], v[8:9]
	v_fma_f64 v[164:165], v[164:165], v[8:9], -v[10:11]
	scratch_load_b128 v[8:11], off, off offset:432
	v_add_f64_e32 v[176:177], v[176:177], v[180:181]
	v_fmac_f64_e32 v[182:183], v[6:7], v[12:13]
	v_add_f64_e32 v[166:167], v[186:187], v[184:185]
	v_fma_f64 v[184:185], v[4:5], v[12:13], -v[14:15]
	ds_load_b128 v[4:7], v2 offset:1136
	s_wait_loadcnt_dscnt 0xa01
	v_mul_f64_e32 v[180:181], v[172:173], v[126:127]
	v_mul_f64_e32 v[126:127], v[174:175], v[126:127]
	scratch_load_b128 v[12:15], off, off offset:448
	v_add_f64_e32 v[176:177], v[176:177], v[178:179]
	s_wait_loadcnt_dscnt 0xa00
	v_mul_f64_e32 v[178:179], v[4:5], v[130:131]
	v_add_f64_e32 v[186:187], v[166:167], v[164:165]
	v_mul_f64_e32 v[130:131], v[6:7], v[130:131]
	ds_load_b128 v[164:167], v2 offset:1152
	v_fmac_f64_e32 v[180:181], v[174:175], v[124:125]
	v_fma_f64 v[172:173], v[172:173], v[124:125], -v[126:127]
	scratch_load_b128 v[124:127], off, off offset:464
	v_add_f64_e32 v[176:177], v[176:177], v[182:183]
	v_fmac_f64_e32 v[178:179], v[6:7], v[128:129]
	v_add_f64_e32 v[174:175], v[186:187], v[184:185]
	;; [unrolled: 18-line block ×13, first 2 shown]
	v_fma_f64 v[184:185], v[4:5], v[12:13], -v[14:15]
	ds_load_b128 v[4:7], v2 offset:1520
	s_wait_loadcnt_dscnt 0xa01
	v_mul_f64_e32 v[180:181], v[172:173], v[126:127]
	v_mul_f64_e32 v[126:127], v[174:175], v[126:127]
	scratch_load_b128 v[12:15], off, off offset:832
	v_add_f64_e32 v[176:177], v[176:177], v[178:179]
	s_wait_loadcnt_dscnt 0xa00
	v_mul_f64_e32 v[178:179], v[4:5], v[130:131]
	v_add_f64_e32 v[186:187], v[166:167], v[164:165]
	v_mul_f64_e32 v[130:131], v[6:7], v[130:131]
	ds_load_b128 v[164:167], v2 offset:1536
	v_fmac_f64_e32 v[180:181], v[174:175], v[124:125]
	v_fma_f64 v[124:125], v[172:173], v[124:125], -v[126:127]
	s_wait_loadcnt_dscnt 0x900
	v_mul_f64_e32 v[174:175], v[164:165], v[134:135]
	v_mul_f64_e32 v[134:135], v[166:167], v[134:135]
	v_add_f64_e32 v[172:173], v[176:177], v[182:183]
	v_fmac_f64_e32 v[178:179], v[6:7], v[128:129]
	v_add_f64_e32 v[126:127], v[186:187], v[184:185]
	v_fma_f64 v[128:129], v[4:5], v[128:129], -v[130:131]
	v_fmac_f64_e32 v[174:175], v[166:167], v[132:133]
	v_fma_f64 v[132:133], v[164:165], v[132:133], -v[134:135]
	v_add_f64_e32 v[172:173], v[172:173], v[180:181]
	v_add_f64_e32 v[130:131], v[126:127], v[124:125]
	ds_load_b128 v[4:7], v2 offset:1552
	ds_load_b128 v[124:127], v2 offset:1568
	s_wait_loadcnt_dscnt 0x801
	v_mul_f64_e32 v[176:177], v[4:5], v[138:139]
	v_mul_f64_e32 v[138:139], v[6:7], v[138:139]
	s_wait_loadcnt_dscnt 0x700
	v_mul_f64_e32 v[134:135], v[124:125], v[142:143]
	v_mul_f64_e32 v[142:143], v[126:127], v[142:143]
	v_add_f64_e32 v[128:129], v[130:131], v[128:129]
	v_add_f64_e32 v[130:131], v[172:173], v[178:179]
	v_fmac_f64_e32 v[176:177], v[6:7], v[136:137]
	v_fma_f64 v[136:137], v[4:5], v[136:137], -v[138:139]
	v_fmac_f64_e32 v[134:135], v[126:127], v[140:141]
	v_fma_f64 v[124:125], v[124:125], v[140:141], -v[142:143]
	v_add_f64_e32 v[132:133], v[128:129], v[132:133]
	v_add_f64_e32 v[138:139], v[130:131], v[174:175]
	ds_load_b128 v[4:7], v2 offset:1584
	ds_load_b128 v[128:131], v2 offset:1600
	s_wait_loadcnt_dscnt 0x601
	v_mul_f64_e32 v[164:165], v[4:5], v[146:147]
	v_mul_f64_e32 v[146:147], v[6:7], v[146:147]
	v_add_f64_e32 v[126:127], v[132:133], v[136:137]
	v_add_f64_e32 v[132:133], v[138:139], v[176:177]
	s_wait_loadcnt_dscnt 0x500
	v_mul_f64_e32 v[136:137], v[128:129], v[150:151]
	v_mul_f64_e32 v[138:139], v[130:131], v[150:151]
	v_fmac_f64_e32 v[164:165], v[6:7], v[144:145]
	v_fma_f64 v[140:141], v[4:5], v[144:145], -v[146:147]
	v_add_f64_e32 v[142:143], v[126:127], v[124:125]
	v_add_f64_e32 v[132:133], v[132:133], v[134:135]
	ds_load_b128 v[4:7], v2 offset:1616
	ds_load_b128 v[124:127], v2 offset:1632
	v_fmac_f64_e32 v[136:137], v[130:131], v[148:149]
	v_fma_f64 v[128:129], v[128:129], v[148:149], -v[138:139]
	s_wait_loadcnt_dscnt 0x401
	v_mul_f64_e32 v[134:135], v[4:5], v[158:159]
	v_mul_f64_e32 v[144:145], v[6:7], v[158:159]
	s_wait_loadcnt_dscnt 0x300
	v_mul_f64_e32 v[138:139], v[124:125], v[170:171]
	v_add_f64_e32 v[130:131], v[142:143], v[140:141]
	v_add_f64_e32 v[132:133], v[132:133], v[164:165]
	v_mul_f64_e32 v[140:141], v[126:127], v[170:171]
	v_fmac_f64_e32 v[134:135], v[6:7], v[156:157]
	v_fma_f64 v[142:143], v[4:5], v[156:157], -v[144:145]
	v_fmac_f64_e32 v[138:139], v[126:127], v[168:169]
	v_add_f64_e32 v[144:145], v[130:131], v[128:129]
	v_add_f64_e32 v[132:133], v[132:133], v[136:137]
	ds_load_b128 v[4:7], v2 offset:1648
	ds_load_b128 v[128:131], v2 offset:1664
	v_fma_f64 v[124:125], v[124:125], v[168:169], -v[140:141]
	s_wait_loadcnt_dscnt 0x201
	v_mul_f64_e32 v[136:137], v[4:5], v[154:155]
	v_mul_f64_e32 v[146:147], v[6:7], v[154:155]
	v_add_f64_e32 v[126:127], v[144:145], v[142:143]
	v_add_f64_e32 v[132:133], v[132:133], v[134:135]
	s_wait_loadcnt_dscnt 0x100
	v_mul_f64_e32 v[134:135], v[128:129], v[10:11]
	v_mul_f64_e32 v[10:11], v[130:131], v[10:11]
	v_fmac_f64_e32 v[136:137], v[6:7], v[152:153]
	v_fma_f64 v[140:141], v[4:5], v[152:153], -v[146:147]
	ds_load_b128 v[4:7], v2 offset:1680
	v_add_f64_e32 v[124:125], v[126:127], v[124:125]
	v_add_f64_e32 v[126:127], v[132:133], v[138:139]
	v_fmac_f64_e32 v[134:135], v[130:131], v[8:9]
	v_fma_f64 v[8:9], v[128:129], v[8:9], -v[10:11]
	s_wait_loadcnt_dscnt 0x0
	v_mul_f64_e32 v[132:133], v[4:5], v[14:15]
	v_mul_f64_e32 v[14:15], v[6:7], v[14:15]
	v_add_f64_e32 v[10:11], v[124:125], v[140:141]
	v_add_f64_e32 v[124:125], v[126:127], v[136:137]
	s_delay_alu instid0(VALU_DEP_4) | instskip(NEXT) | instid1(VALU_DEP_4)
	v_fmac_f64_e32 v[132:133], v[6:7], v[12:13]
	v_fma_f64 v[4:5], v[4:5], v[12:13], -v[14:15]
	s_delay_alu instid0(VALU_DEP_4) | instskip(NEXT) | instid1(VALU_DEP_4)
	v_add_f64_e32 v[6:7], v[10:11], v[8:9]
	v_add_f64_e32 v[8:9], v[124:125], v[134:135]
	s_delay_alu instid0(VALU_DEP_2) | instskip(NEXT) | instid1(VALU_DEP_2)
	v_add_f64_e32 v[4:5], v[6:7], v[4:5]
	v_add_f64_e32 v[6:7], v[8:9], v[132:133]
	s_delay_alu instid0(VALU_DEP_2) | instskip(NEXT) | instid1(VALU_DEP_2)
	v_add_f64_e64 v[4:5], v[160:161], -v[4:5]
	v_add_f64_e64 v[6:7], v[162:163], -v[6:7]
	scratch_store_b128 off, v[4:7], off offset:16
	s_wait_xcnt 0x0
	v_cmpx_ne_u32_e32 0, v1
	s_cbranch_execz .LBB52_331
; %bb.330:
	scratch_load_b128 v[6:9], off, off
	v_dual_mov_b32 v3, v2 :: v_dual_mov_b32 v4, v2
	v_mov_b32_e32 v5, v2
	scratch_store_b128 off, v[2:5], off
	s_wait_loadcnt 0x0
	ds_store_b128 v122, v[6:9]
.LBB52_331:
	s_wait_xcnt 0x0
	s_or_b32 exec_lo, exec_lo, s2
	s_wait_storecnt_dscnt 0x0
	s_barrier_signal -1
	s_barrier_wait -1
	s_clause 0x9
	scratch_load_b128 v[4:7], off, off offset:16
	scratch_load_b128 v[8:11], off, off offset:32
	;; [unrolled: 1-line block ×10, first 2 shown]
	ds_load_b128 v[150:153], v2 offset:864
	ds_load_b128 v[158:161], v2 offset:880
	s_clause 0x2
	scratch_load_b128 v[154:157], off, off offset:176
	scratch_load_b128 v[162:165], off, off
	scratch_load_b128 v[166:169], off, off offset:192
	s_and_b32 vcc_lo, exec_lo, s65
	s_wait_loadcnt_dscnt 0xc01
	v_mul_f64_e32 v[170:171], v[152:153], v[6:7]
	v_mul_f64_e32 v[174:175], v[150:151], v[6:7]
	s_wait_loadcnt_dscnt 0xb00
	v_mul_f64_e32 v[176:177], v[158:159], v[10:11]
	v_mul_f64_e32 v[10:11], v[160:161], v[10:11]
	s_delay_alu instid0(VALU_DEP_4) | instskip(NEXT) | instid1(VALU_DEP_4)
	v_fma_f64 v[178:179], v[150:151], v[4:5], -v[170:171]
	v_fmac_f64_e32 v[174:175], v[152:153], v[4:5]
	ds_load_b128 v[4:7], v2 offset:896
	ds_load_b128 v[150:153], v2 offset:912
	scratch_load_b128 v[170:173], off, off offset:208
	v_fmac_f64_e32 v[176:177], v[160:161], v[8:9]
	v_fma_f64 v[158:159], v[158:159], v[8:9], -v[10:11]
	scratch_load_b128 v[8:11], off, off offset:224
	s_wait_loadcnt_dscnt 0xc01
	v_mul_f64_e32 v[180:181], v[4:5], v[14:15]
	v_mul_f64_e32 v[14:15], v[6:7], v[14:15]
	v_add_f64_e32 v[160:161], 0, v[178:179]
	v_add_f64_e32 v[174:175], 0, v[174:175]
	s_wait_loadcnt_dscnt 0xb00
	v_mul_f64_e32 v[178:179], v[150:151], v[124:125]
	v_mul_f64_e32 v[124:125], v[152:153], v[124:125]
	v_fmac_f64_e32 v[180:181], v[6:7], v[12:13]
	v_fma_f64 v[182:183], v[4:5], v[12:13], -v[14:15]
	ds_load_b128 v[4:7], v2 offset:928
	ds_load_b128 v[12:15], v2 offset:944
	v_add_f64_e32 v[184:185], v[160:161], v[158:159]
	v_add_f64_e32 v[174:175], v[174:175], v[176:177]
	scratch_load_b128 v[158:161], off, off offset:240
	v_fmac_f64_e32 v[178:179], v[152:153], v[122:123]
	v_fma_f64 v[150:151], v[150:151], v[122:123], -v[124:125]
	scratch_load_b128 v[122:125], off, off offset:256
	s_wait_loadcnt_dscnt 0xc01
	v_mul_f64_e32 v[176:177], v[4:5], v[128:129]
	v_mul_f64_e32 v[128:129], v[6:7], v[128:129]
	v_add_f64_e32 v[152:153], v[184:185], v[182:183]
	v_add_f64_e32 v[174:175], v[174:175], v[180:181]
	s_wait_loadcnt_dscnt 0xb00
	v_mul_f64_e32 v[180:181], v[12:13], v[132:133]
	v_mul_f64_e32 v[132:133], v[14:15], v[132:133]
	v_fmac_f64_e32 v[176:177], v[6:7], v[126:127]
	v_fma_f64 v[182:183], v[4:5], v[126:127], -v[128:129]
	ds_load_b128 v[4:7], v2 offset:960
	ds_load_b128 v[126:129], v2 offset:976
	v_add_f64_e32 v[184:185], v[152:153], v[150:151]
	v_add_f64_e32 v[174:175], v[174:175], v[178:179]
	scratch_load_b128 v[150:153], off, off offset:272
	s_wait_loadcnt_dscnt 0xb01
	v_mul_f64_e32 v[178:179], v[4:5], v[136:137]
	v_mul_f64_e32 v[136:137], v[6:7], v[136:137]
	v_fmac_f64_e32 v[180:181], v[14:15], v[130:131]
	v_fma_f64 v[130:131], v[12:13], v[130:131], -v[132:133]
	scratch_load_b128 v[12:15], off, off offset:288
	v_add_f64_e32 v[132:133], v[184:185], v[182:183]
	v_add_f64_e32 v[174:175], v[174:175], v[176:177]
	s_wait_loadcnt_dscnt 0xb00
	v_mul_f64_e32 v[176:177], v[126:127], v[140:141]
	v_mul_f64_e32 v[140:141], v[128:129], v[140:141]
	v_fmac_f64_e32 v[178:179], v[6:7], v[134:135]
	v_fma_f64 v[182:183], v[4:5], v[134:135], -v[136:137]
	v_add_f64_e32 v[184:185], v[132:133], v[130:131]
	v_add_f64_e32 v[174:175], v[174:175], v[180:181]
	ds_load_b128 v[4:7], v2 offset:992
	ds_load_b128 v[130:133], v2 offset:1008
	scratch_load_b128 v[134:137], off, off offset:304
	v_fmac_f64_e32 v[176:177], v[128:129], v[138:139]
	v_fma_f64 v[138:139], v[126:127], v[138:139], -v[140:141]
	scratch_load_b128 v[126:129], off, off offset:320
	s_wait_loadcnt_dscnt 0xc01
	v_mul_f64_e32 v[180:181], v[4:5], v[144:145]
	v_mul_f64_e32 v[144:145], v[6:7], v[144:145]
	v_add_f64_e32 v[140:141], v[184:185], v[182:183]
	v_add_f64_e32 v[174:175], v[174:175], v[178:179]
	s_wait_loadcnt_dscnt 0xb00
	v_mul_f64_e32 v[178:179], v[130:131], v[148:149]
	v_mul_f64_e32 v[148:149], v[132:133], v[148:149]
	v_fmac_f64_e32 v[180:181], v[6:7], v[142:143]
	v_fma_f64 v[182:183], v[4:5], v[142:143], -v[144:145]
	v_add_f64_e32 v[184:185], v[140:141], v[138:139]
	v_add_f64_e32 v[174:175], v[174:175], v[176:177]
	ds_load_b128 v[4:7], v2 offset:1024
	ds_load_b128 v[138:141], v2 offset:1040
	scratch_load_b128 v[142:145], off, off offset:336
	v_fmac_f64_e32 v[178:179], v[132:133], v[146:147]
	v_fma_f64 v[146:147], v[130:131], v[146:147], -v[148:149]
	scratch_load_b128 v[130:133], off, off offset:352
	s_wait_loadcnt_dscnt 0xc01
	v_mul_f64_e32 v[176:177], v[4:5], v[156:157]
	v_mul_f64_e32 v[156:157], v[6:7], v[156:157]
	;; [unrolled: 18-line block ×5, first 2 shown]
	v_add_f64_e32 v[168:169], v[184:185], v[182:183]
	v_add_f64_e32 v[174:175], v[174:175], v[180:181]
	s_wait_loadcnt_dscnt 0xa00
	v_mul_f64_e32 v[180:181], v[146:147], v[14:15]
	v_mul_f64_e32 v[14:15], v[148:149], v[14:15]
	v_fmac_f64_e32 v[176:177], v[6:7], v[150:151]
	v_fma_f64 v[182:183], v[4:5], v[150:151], -v[152:153]
	ds_load_b128 v[4:7], v2 offset:1152
	ds_load_b128 v[150:153], v2 offset:1168
	v_add_f64_e32 v[184:185], v[168:169], v[166:167]
	v_add_f64_e32 v[174:175], v[174:175], v[178:179]
	scratch_load_b128 v[166:169], off, off offset:464
	v_fmac_f64_e32 v[180:181], v[148:149], v[12:13]
	v_fma_f64 v[146:147], v[146:147], v[12:13], -v[14:15]
	scratch_load_b128 v[12:15], off, off offset:480
	s_wait_loadcnt_dscnt 0xb01
	v_mul_f64_e32 v[178:179], v[4:5], v[136:137]
	v_mul_f64_e32 v[136:137], v[6:7], v[136:137]
	v_add_f64_e32 v[148:149], v[184:185], v[182:183]
	v_add_f64_e32 v[174:175], v[174:175], v[176:177]
	s_wait_loadcnt_dscnt 0xa00
	v_mul_f64_e32 v[176:177], v[150:151], v[128:129]
	v_mul_f64_e32 v[128:129], v[152:153], v[128:129]
	v_fmac_f64_e32 v[178:179], v[6:7], v[134:135]
	v_fma_f64 v[182:183], v[4:5], v[134:135], -v[136:137]
	ds_load_b128 v[4:7], v2 offset:1184
	ds_load_b128 v[134:137], v2 offset:1200
	v_add_f64_e32 v[184:185], v[148:149], v[146:147]
	v_add_f64_e32 v[174:175], v[174:175], v[180:181]
	scratch_load_b128 v[146:149], off, off offset:496
	s_wait_loadcnt_dscnt 0xa01
	v_mul_f64_e32 v[180:181], v[4:5], v[144:145]
	v_mul_f64_e32 v[144:145], v[6:7], v[144:145]
	v_fmac_f64_e32 v[176:177], v[152:153], v[126:127]
	v_fma_f64 v[150:151], v[150:151], v[126:127], -v[128:129]
	scratch_load_b128 v[126:129], off, off offset:512
	v_add_f64_e32 v[152:153], v[184:185], v[182:183]
	v_add_f64_e32 v[174:175], v[174:175], v[178:179]
	s_wait_loadcnt_dscnt 0xa00
	v_mul_f64_e32 v[178:179], v[134:135], v[132:133]
	v_mul_f64_e32 v[132:133], v[136:137], v[132:133]
	v_fmac_f64_e32 v[180:181], v[6:7], v[142:143]
	v_fma_f64 v[182:183], v[4:5], v[142:143], -v[144:145]
	ds_load_b128 v[4:7], v2 offset:1216
	ds_load_b128 v[142:145], v2 offset:1232
	v_add_f64_e32 v[184:185], v[152:153], v[150:151]
	v_add_f64_e32 v[174:175], v[174:175], v[176:177]
	scratch_load_b128 v[150:153], off, off offset:528
	s_wait_loadcnt_dscnt 0xa01
	v_mul_f64_e32 v[176:177], v[4:5], v[156:157]
	v_mul_f64_e32 v[156:157], v[6:7], v[156:157]
	v_fmac_f64_e32 v[178:179], v[136:137], v[130:131]
	v_fma_f64 v[134:135], v[134:135], v[130:131], -v[132:133]
	scratch_load_b128 v[130:133], off, off offset:544
	v_add_f64_e32 v[136:137], v[184:185], v[182:183]
	v_add_f64_e32 v[174:175], v[174:175], v[180:181]
	s_wait_loadcnt_dscnt 0xa00
	v_mul_f64_e32 v[180:181], v[142:143], v[140:141]
	v_mul_f64_e32 v[140:141], v[144:145], v[140:141]
	v_fmac_f64_e32 v[176:177], v[6:7], v[154:155]
	v_fma_f64 v[182:183], v[4:5], v[154:155], -v[156:157]
	v_add_f64_e32 v[184:185], v[136:137], v[134:135]
	v_add_f64_e32 v[174:175], v[174:175], v[178:179]
	ds_load_b128 v[4:7], v2 offset:1248
	ds_load_b128 v[134:137], v2 offset:1264
	scratch_load_b128 v[154:157], off, off offset:560
	v_fmac_f64_e32 v[180:181], v[144:145], v[138:139]
	v_fma_f64 v[142:143], v[142:143], v[138:139], -v[140:141]
	scratch_load_b128 v[138:141], off, off offset:576
	s_wait_loadcnt_dscnt 0xb01
	v_mul_f64_e32 v[178:179], v[4:5], v[172:173]
	v_mul_f64_e32 v[172:173], v[6:7], v[172:173]
	v_add_f64_e32 v[144:145], v[184:185], v[182:183]
	v_add_f64_e32 v[174:175], v[174:175], v[176:177]
	s_wait_loadcnt_dscnt 0xa00
	v_mul_f64_e32 v[176:177], v[134:135], v[10:11]
	v_mul_f64_e32 v[10:11], v[136:137], v[10:11]
	v_fmac_f64_e32 v[178:179], v[6:7], v[170:171]
	v_fma_f64 v[182:183], v[4:5], v[170:171], -v[172:173]
	v_add_f64_e32 v[184:185], v[144:145], v[142:143]
	v_add_f64_e32 v[174:175], v[174:175], v[180:181]
	ds_load_b128 v[4:7], v2 offset:1280
	ds_load_b128 v[142:145], v2 offset:1296
	scratch_load_b128 v[170:173], off, off offset:592
	v_fmac_f64_e32 v[176:177], v[136:137], v[8:9]
	v_fma_f64 v[134:135], v[134:135], v[8:9], -v[10:11]
	scratch_load_b128 v[8:11], off, off offset:608
	s_wait_loadcnt_dscnt 0xb01
	v_mul_f64_e32 v[180:181], v[4:5], v[160:161]
	v_mul_f64_e32 v[160:161], v[6:7], v[160:161]
	;; [unrolled: 18-line block ×9, first 2 shown]
	v_add_f64_e32 v[144:145], v[184:185], v[182:183]
	v_add_f64_e32 v[174:175], v[174:175], v[180:181]
	s_wait_loadcnt_dscnt 0xa00
	v_mul_f64_e32 v[180:181], v[134:135], v[14:15]
	v_mul_f64_e32 v[14:15], v[136:137], v[14:15]
	v_fmac_f64_e32 v[176:177], v[6:7], v[166:167]
	v_fma_f64 v[166:167], v[4:5], v[166:167], -v[168:169]
	v_add_f64_e32 v[168:169], v[144:145], v[142:143]
	v_add_f64_e32 v[174:175], v[174:175], v[178:179]
	ds_load_b128 v[4:7], v2 offset:1536
	ds_load_b128 v[142:145], v2 offset:1552
	v_fmac_f64_e32 v[180:181], v[136:137], v[12:13]
	v_fma_f64 v[12:13], v[134:135], v[12:13], -v[14:15]
	s_wait_loadcnt_dscnt 0x901
	v_mul_f64_e32 v[178:179], v[4:5], v[148:149]
	v_mul_f64_e32 v[148:149], v[6:7], v[148:149]
	s_wait_loadcnt_dscnt 0x800
	v_mul_f64_e32 v[136:137], v[142:143], v[128:129]
	v_mul_f64_e32 v[128:129], v[144:145], v[128:129]
	v_add_f64_e32 v[14:15], v[168:169], v[166:167]
	v_add_f64_e32 v[134:135], v[174:175], v[176:177]
	v_fmac_f64_e32 v[178:179], v[6:7], v[146:147]
	v_fma_f64 v[146:147], v[4:5], v[146:147], -v[148:149]
	v_fmac_f64_e32 v[136:137], v[144:145], v[126:127]
	v_fma_f64 v[126:127], v[142:143], v[126:127], -v[128:129]
	v_add_f64_e32 v[148:149], v[14:15], v[12:13]
	v_add_f64_e32 v[134:135], v[134:135], v[180:181]
	ds_load_b128 v[4:7], v2 offset:1568
	ds_load_b128 v[12:15], v2 offset:1584
	s_wait_loadcnt_dscnt 0x701
	v_mul_f64_e32 v[166:167], v[4:5], v[152:153]
	v_mul_f64_e32 v[152:153], v[6:7], v[152:153]
	s_wait_loadcnt_dscnt 0x600
	v_mul_f64_e32 v[142:143], v[12:13], v[132:133]
	v_mul_f64_e32 v[132:133], v[14:15], v[132:133]
	v_add_f64_e32 v[128:129], v[148:149], v[146:147]
	v_add_f64_e32 v[134:135], v[134:135], v[178:179]
	v_fmac_f64_e32 v[166:167], v[6:7], v[150:151]
	v_fma_f64 v[144:145], v[4:5], v[150:151], -v[152:153]
	v_fmac_f64_e32 v[142:143], v[14:15], v[130:131]
	v_fma_f64 v[12:13], v[12:13], v[130:131], -v[132:133]
	v_add_f64_e32 v[146:147], v[128:129], v[126:127]
	v_add_f64_e32 v[134:135], v[134:135], v[136:137]
	ds_load_b128 v[4:7], v2 offset:1600
	ds_load_b128 v[126:129], v2 offset:1616
	s_wait_loadcnt_dscnt 0x501
	v_mul_f64_e32 v[136:137], v[4:5], v[156:157]
	v_mul_f64_e32 v[148:149], v[6:7], v[156:157]
	s_wait_loadcnt_dscnt 0x400
	v_mul_f64_e32 v[132:133], v[126:127], v[140:141]
	v_add_f64_e32 v[14:15], v[146:147], v[144:145]
	v_add_f64_e32 v[130:131], v[134:135], v[166:167]
	v_mul_f64_e32 v[134:135], v[128:129], v[140:141]
	v_fmac_f64_e32 v[136:137], v[6:7], v[154:155]
	v_fma_f64 v[140:141], v[4:5], v[154:155], -v[148:149]
	v_fmac_f64_e32 v[132:133], v[128:129], v[138:139]
	v_add_f64_e32 v[144:145], v[14:15], v[12:13]
	v_add_f64_e32 v[130:131], v[130:131], v[142:143]
	ds_load_b128 v[4:7], v2 offset:1632
	ds_load_b128 v[12:15], v2 offset:1648
	v_fma_f64 v[126:127], v[126:127], v[138:139], -v[134:135]
	s_wait_loadcnt_dscnt 0x301
	v_mul_f64_e32 v[142:143], v[4:5], v[172:173]
	v_mul_f64_e32 v[146:147], v[6:7], v[172:173]
	s_wait_loadcnt_dscnt 0x200
	v_mul_f64_e32 v[134:135], v[12:13], v[10:11]
	v_mul_f64_e32 v[10:11], v[14:15], v[10:11]
	v_add_f64_e32 v[128:129], v[144:145], v[140:141]
	v_add_f64_e32 v[130:131], v[130:131], v[136:137]
	v_fmac_f64_e32 v[142:143], v[6:7], v[170:171]
	v_fma_f64 v[136:137], v[4:5], v[170:171], -v[146:147]
	v_fmac_f64_e32 v[134:135], v[14:15], v[8:9]
	v_fma_f64 v[8:9], v[12:13], v[8:9], -v[10:11]
	v_add_f64_e32 v[138:139], v[128:129], v[126:127]
	v_add_f64_e32 v[130:131], v[130:131], v[132:133]
	ds_load_b128 v[4:7], v2 offset:1664
	ds_load_b128 v[126:129], v2 offset:1680
	s_wait_loadcnt_dscnt 0x101
	v_mul_f64_e32 v[2:3], v[4:5], v[160:161]
	v_mul_f64_e32 v[132:133], v[6:7], v[160:161]
	s_wait_loadcnt_dscnt 0x0
	v_mul_f64_e32 v[14:15], v[126:127], v[124:125]
	v_mul_f64_e32 v[124:125], v[128:129], v[124:125]
	v_add_f64_e32 v[10:11], v[138:139], v[136:137]
	v_add_f64_e32 v[12:13], v[130:131], v[142:143]
	v_lshl_add_u64 v[136:137], v[20:21], 4, s[4:5]
	v_lshl_add_u64 v[130:131], v[26:27], 4, s[4:5]
	;; [unrolled: 1-line block ×8, first 2 shown]
	v_fmac_f64_e32 v[2:3], v[6:7], v[158:159]
	v_fma_f64 v[4:5], v[4:5], v[158:159], -v[132:133]
	v_fmac_f64_e32 v[14:15], v[128:129], v[122:123]
	v_lshl_add_u64 v[132:133], v[22:23], 4, s[4:5]
	v_lshl_add_u64 v[128:129], v[28:29], 4, s[4:5]
	;; [unrolled: 1-line block ×7, first 2 shown]
	v_add_f64_e32 v[6:7], v[10:11], v[8:9]
	v_add_f64_e32 v[8:9], v[12:13], v[134:135]
	v_fma_f64 v[10:11], v[126:127], v[122:123], -v[124:125]
	v_lshl_add_u64 v[134:135], v[24:25], 4, s[4:5]
	v_lshl_add_u64 v[124:125], v[30:31], 4, s[4:5]
	;; [unrolled: 1-line block ×18, first 2 shown]
	v_add_f64_e32 v[4:5], v[6:7], v[4:5]
	v_add_f64_e32 v[2:3], v[8:9], v[2:3]
	v_lshl_add_u64 v[6:7], v[42:43], 4, s[4:5]
	v_lshl_add_u64 v[8:9], v[44:45], 4, s[4:5]
	;; [unrolled: 1-line block ×6, first 2 shown]
	v_add_f64_e32 v[138:139], v[4:5], v[10:11]
	v_add_f64_e32 v[140:141], v[2:3], v[14:15]
	v_lshl_add_u64 v[2:3], v[38:39], 4, s[4:5]
	v_lshl_add_u64 v[4:5], v[40:41], 4, s[4:5]
	;; [unrolled: 1-line block ×12, first 2 shown]
	v_add_f64_e64 v[138:139], v[162:163], -v[138:139]
	v_add_f64_e64 v[140:141], v[164:165], -v[140:141]
	scratch_store_b128 off, v[138:141], off
	s_cbranch_vccz .LBB52_436
; %bb.332:
	v_mov_b32_e32 v92, 0
	s_load_b64 s[2:3], s[0:1], 0x4
	v_bfe_u32 v94, v0, 10, 10
	v_bfe_u32 v0, v0, 20, 10
	global_load_b32 v93, v92, s[16:17] offset:204
	s_wait_kmcnt 0x0
	s_lshr_b32 s0, s2, 16
	v_mul_u32_u24_e32 v94, s3, v94
	s_mul_i32 s0, s0, s3
	s_delay_alu instid0(SALU_CYCLE_1) | instskip(NEXT) | instid1(VALU_DEP_1)
	v_mul_u32_u24_e32 v1, s0, v1
	v_add3_u32 v0, v1, v94, v0
	s_delay_alu instid0(VALU_DEP_1)
	v_lshl_add_u32 v0, v0, 4, 0x6a8
	s_wait_loadcnt 0x0
	v_cmp_ne_u32_e32 vcc_lo, 52, v93
	s_cbranch_vccz .LBB52_334
; %bb.333:
	v_lshlrev_b32_e32 v1, 4, v93
	s_clause 0x1
	scratch_load_b128 v[94:97], off, s24
	scratch_load_b128 v[98:101], v1, off offset:-16
	s_wait_loadcnt 0x1
	ds_store_2addr_b64 v0, v[94:95], v[96:97] offset1:1
	s_wait_loadcnt 0x0
	s_clause 0x1
	scratch_store_b128 off, v[98:101], s24
	scratch_store_b128 v1, v[94:97], off offset:-16
.LBB52_334:
	global_load_b32 v1, v92, s[16:17] offset:200
	s_wait_loadcnt 0x0
	v_cmp_eq_u32_e32 vcc_lo, 51, v1
	s_cbranch_vccnz .LBB52_336
; %bb.335:
	v_lshlrev_b32_e32 v1, 4, v1
	s_clause 0x1
	scratch_load_b128 v[92:95], off, s30
	scratch_load_b128 v[96:99], v1, off offset:-16
	s_wait_loadcnt 0x1
	ds_store_2addr_b64 v0, v[92:93], v[94:95] offset1:1
	s_wait_loadcnt 0x0
	s_clause 0x1
	scratch_store_b128 off, v[96:99], s30
	scratch_store_b128 v1, v[92:95], off offset:-16
.LBB52_336:
	s_wait_xcnt 0x0
	v_mov_b32_e32 v1, 0
	global_load_b32 v92, v1, s[16:17] offset:196
	s_wait_loadcnt 0x0
	v_cmp_eq_u32_e32 vcc_lo, 50, v92
	s_cbranch_vccnz .LBB52_338
; %bb.337:
	v_lshlrev_b32_e32 v92, 4, v92
	s_delay_alu instid0(VALU_DEP_1)
	v_mov_b32_e32 v100, v92
	s_clause 0x1
	scratch_load_b128 v[92:95], off, s8
	scratch_load_b128 v[96:99], v100, off offset:-16
	s_wait_loadcnt 0x1
	ds_store_2addr_b64 v0, v[92:93], v[94:95] offset1:1
	s_wait_loadcnt 0x0
	s_clause 0x1
	scratch_store_b128 off, v[96:99], s8
	scratch_store_b128 v100, v[92:95], off offset:-16
.LBB52_338:
	global_load_b32 v1, v1, s[16:17] offset:192
	s_wait_loadcnt 0x0
	v_cmp_eq_u32_e32 vcc_lo, 49, v1
	s_cbranch_vccnz .LBB52_340
; %bb.339:
	s_wait_xcnt 0x0
	v_lshlrev_b32_e32 v1, 4, v1
	s_clause 0x1
	scratch_load_b128 v[92:95], off, s10
	scratch_load_b128 v[96:99], v1, off offset:-16
	s_wait_loadcnt 0x1
	ds_store_2addr_b64 v0, v[92:93], v[94:95] offset1:1
	s_wait_loadcnt 0x0
	s_clause 0x1
	scratch_store_b128 off, v[96:99], s10
	scratch_store_b128 v1, v[92:95], off offset:-16
.LBB52_340:
	s_wait_xcnt 0x0
	v_mov_b32_e32 v1, 0
	global_load_b32 v92, v1, s[16:17] offset:188
	s_wait_loadcnt 0x0
	v_cmp_eq_u32_e32 vcc_lo, 48, v92
	s_cbranch_vccnz .LBB52_342
; %bb.341:
	v_lshlrev_b32_e32 v92, 4, v92
	s_delay_alu instid0(VALU_DEP_1)
	v_mov_b32_e32 v100, v92
	s_clause 0x1
	scratch_load_b128 v[92:95], off, s9
	scratch_load_b128 v[96:99], v100, off offset:-16
	s_wait_loadcnt 0x1
	ds_store_2addr_b64 v0, v[92:93], v[94:95] offset1:1
	s_wait_loadcnt 0x0
	s_clause 0x1
	scratch_store_b128 off, v[96:99], s9
	scratch_store_b128 v100, v[92:95], off offset:-16
.LBB52_342:
	global_load_b32 v1, v1, s[16:17] offset:184
	s_wait_loadcnt 0x0
	v_cmp_eq_u32_e32 vcc_lo, 47, v1
	s_cbranch_vccnz .LBB52_344
; %bb.343:
	s_wait_xcnt 0x0
	v_lshlrev_b32_e32 v1, 4, v1
	s_clause 0x1
	scratch_load_b128 v[92:95], off, s12
	scratch_load_b128 v[96:99], v1, off offset:-16
	s_wait_loadcnt 0x1
	ds_store_2addr_b64 v0, v[92:93], v[94:95] offset1:1
	s_wait_loadcnt 0x0
	s_clause 0x1
	scratch_store_b128 off, v[96:99], s12
	scratch_store_b128 v1, v[92:95], off offset:-16
.LBB52_344:
	;; [unrolled: 37-line block ×24, first 2 shown]
	s_wait_xcnt 0x0
	v_mov_b32_e32 v1, 0
	global_load_b32 v92, v1, s[16:17] offset:4
	s_wait_loadcnt 0x0
	v_cmp_eq_u32_e32 vcc_lo, 2, v92
	s_cbranch_vccnz .LBB52_434
; %bb.433:
	v_lshlrev_b32_e32 v92, 4, v92
	s_delay_alu instid0(VALU_DEP_1)
	v_mov_b32_e32 v100, v92
	s_clause 0x1
	scratch_load_b128 v[92:95], off, s38
	scratch_load_b128 v[96:99], v100, off offset:-16
	s_wait_loadcnt 0x1
	ds_store_2addr_b64 v0, v[92:93], v[94:95] offset1:1
	s_wait_loadcnt 0x0
	s_clause 0x1
	scratch_store_b128 off, v[96:99], s38
	scratch_store_b128 v100, v[92:95], off offset:-16
.LBB52_434:
	global_load_b32 v1, v1, s[16:17]
	s_wait_loadcnt 0x0
	v_cmp_eq_u32_e32 vcc_lo, 1, v1
	s_cbranch_vccnz .LBB52_436
; %bb.435:
	s_wait_xcnt 0x0
	v_lshlrev_b32_e32 v1, 4, v1
	scratch_load_b128 v[92:95], off, off
	scratch_load_b128 v[96:99], v1, off offset:-16
	s_wait_loadcnt 0x1
	ds_store_2addr_b64 v0, v[92:93], v[94:95] offset1:1
	s_wait_loadcnt 0x0
	scratch_store_b128 off, v[96:99], off
	scratch_store_b128 v1, v[92:95], off offset:-16
.LBB52_436:
	scratch_load_b128 v[92:95], off, off
	s_clause 0x21
	scratch_load_b128 v[96:99], off, s38
	scratch_load_b128 v[100:103], off, s35
	;; [unrolled: 1-line block ×15, first 2 shown]
	; meta instruction
	; meta instruction
	; meta instruction
	; meta instruction
	; meta instruction
	; meta instruction
	; meta instruction
	; meta instruction
	; meta instruction
	; meta instruction
	; meta instruction
	; meta instruction
	; meta instruction
	; meta instruction
	; meta instruction
	scratch_load_b128 v[174:177], off, s39
	scratch_load_b128 v[178:181], off, s41
	;; [unrolled: 1-line block ×15, first 2 shown]
	; meta instruction
	; meta instruction
	;; [unrolled: 1-line block ×15, first 2 shown]
	scratch_load_b128 v[234:237], off, s29
	scratch_load_b128 v[238:241], off, s31
	;; [unrolled: 1-line block ×4, first 2 shown]
	s_wait_loadcnt 0x22
	global_store_b128 v[16:17], v[92:95], off
	s_clause 0x1
	scratch_load_b128 v[92:95], off, s27
	scratch_load_b128 v[250:253], off, s28
	s_wait_loadcnt 0x23
	global_store_b128 v[18:19], v[96:99], off
	s_clause 0x1
	scratch_load_b128 v[16:19], off, s23
	scratch_load_b128 v[96:99], off, s25
	s_wait_loadcnt 0x24
	global_store_b128 v[136:137], v[100:103], off
	s_clause 0x1
	scratch_load_b128 v[100:103], off, s21
	scratch_load_b128 v[254:257], off, s22
	s_wait_loadcnt 0x25
	global_store_b128 v[132:133], v[104:107], off
	s_wait_loadcnt 0x24
	global_store_b128 v[134:135], v[108:111], off
	s_clause 0x1
	scratch_load_b128 v[104:107], off, s15
	scratch_load_b128 v[108:111], off, s20
	s_wait_loadcnt 0x25
	global_store_b128 v[130:131], v[112:115], off
	s_clause 0x1
	scratch_load_b128 v[112:115], off, s13
	scratch_load_b128 v[130:133], off, s14
	s_wait_loadcnt 0x26
	global_store_b128 v[128:129], v[116:119], off
	s_clause 0x1
	scratch_load_b128 v[116:119], off, s11
	scratch_load_b128 v[134:137], off, s12
	s_wait_loadcnt 0x27
	global_store_b128 v[124:125], v[138:141], off
	;; [unrolled: 17-line block ×3, first 2 shown]
	s_wait_loadcnt 0x28
	global_store_b128 v[4:5], v[158:161], off
	s_wait_loadcnt 0x27
	global_store_b128 v[6:7], v[162:165], off
	;; [unrolled: 2-line block ×41, first 2 shown]
	s_sendmsg sendmsg(MSG_DEALLOC_VGPRS)
	s_endpgm
	.section	.rodata,"a",@progbits
	.p2align	6, 0x0
	.amdhsa_kernel _ZN9rocsolver6v33100L18getri_kernel_smallILi53E19rocblas_complex_numIdEPS3_EEvT1_iilPiilS6_bb
		.amdhsa_group_segment_fixed_size 2728
		.amdhsa_private_segment_fixed_size 864
		.amdhsa_kernarg_size 60
		.amdhsa_user_sgpr_count 4
		.amdhsa_user_sgpr_dispatch_ptr 1
		.amdhsa_user_sgpr_queue_ptr 0
		.amdhsa_user_sgpr_kernarg_segment_ptr 1
		.amdhsa_user_sgpr_dispatch_id 0
		.amdhsa_user_sgpr_kernarg_preload_length 0
		.amdhsa_user_sgpr_kernarg_preload_offset 0
		.amdhsa_user_sgpr_private_segment_size 0
		.amdhsa_wavefront_size32 1
		.amdhsa_uses_dynamic_stack 0
		.amdhsa_enable_private_segment 1
		.amdhsa_system_sgpr_workgroup_id_x 1
		.amdhsa_system_sgpr_workgroup_id_y 0
		.amdhsa_system_sgpr_workgroup_id_z 0
		.amdhsa_system_sgpr_workgroup_info 0
		.amdhsa_system_vgpr_workitem_id 2
		.amdhsa_next_free_vgpr 260
		.amdhsa_next_free_sgpr 89
		.amdhsa_named_barrier_count 0
		.amdhsa_reserve_vcc 1
		.amdhsa_float_round_mode_32 0
		.amdhsa_float_round_mode_16_64 0
		.amdhsa_float_denorm_mode_32 3
		.amdhsa_float_denorm_mode_16_64 3
		.amdhsa_fp16_overflow 0
		.amdhsa_memory_ordered 1
		.amdhsa_forward_progress 1
		.amdhsa_inst_pref_size 255
		.amdhsa_round_robin_scheduling 0
		.amdhsa_exception_fp_ieee_invalid_op 0
		.amdhsa_exception_fp_denorm_src 0
		.amdhsa_exception_fp_ieee_div_zero 0
		.amdhsa_exception_fp_ieee_overflow 0
		.amdhsa_exception_fp_ieee_underflow 0
		.amdhsa_exception_fp_ieee_inexact 0
		.amdhsa_exception_int_div_zero 0
	.end_amdhsa_kernel
	.section	.text._ZN9rocsolver6v33100L18getri_kernel_smallILi53E19rocblas_complex_numIdEPS3_EEvT1_iilPiilS6_bb,"axG",@progbits,_ZN9rocsolver6v33100L18getri_kernel_smallILi53E19rocblas_complex_numIdEPS3_EEvT1_iilPiilS6_bb,comdat
.Lfunc_end52:
	.size	_ZN9rocsolver6v33100L18getri_kernel_smallILi53E19rocblas_complex_numIdEPS3_EEvT1_iilPiilS6_bb, .Lfunc_end52-_ZN9rocsolver6v33100L18getri_kernel_smallILi53E19rocblas_complex_numIdEPS3_EEvT1_iilPiilS6_bb
                                        ; -- End function
	.set _ZN9rocsolver6v33100L18getri_kernel_smallILi53E19rocblas_complex_numIdEPS3_EEvT1_iilPiilS6_bb.num_vgpr, 260
	.set _ZN9rocsolver6v33100L18getri_kernel_smallILi53E19rocblas_complex_numIdEPS3_EEvT1_iilPiilS6_bb.num_agpr, 0
	.set _ZN9rocsolver6v33100L18getri_kernel_smallILi53E19rocblas_complex_numIdEPS3_EEvT1_iilPiilS6_bb.numbered_sgpr, 89
	.set _ZN9rocsolver6v33100L18getri_kernel_smallILi53E19rocblas_complex_numIdEPS3_EEvT1_iilPiilS6_bb.num_named_barrier, 0
	.set _ZN9rocsolver6v33100L18getri_kernel_smallILi53E19rocblas_complex_numIdEPS3_EEvT1_iilPiilS6_bb.private_seg_size, 864
	.set _ZN9rocsolver6v33100L18getri_kernel_smallILi53E19rocblas_complex_numIdEPS3_EEvT1_iilPiilS6_bb.uses_vcc, 1
	.set _ZN9rocsolver6v33100L18getri_kernel_smallILi53E19rocblas_complex_numIdEPS3_EEvT1_iilPiilS6_bb.uses_flat_scratch, 1
	.set _ZN9rocsolver6v33100L18getri_kernel_smallILi53E19rocblas_complex_numIdEPS3_EEvT1_iilPiilS6_bb.has_dyn_sized_stack, 0
	.set _ZN9rocsolver6v33100L18getri_kernel_smallILi53E19rocblas_complex_numIdEPS3_EEvT1_iilPiilS6_bb.has_recursion, 0
	.set _ZN9rocsolver6v33100L18getri_kernel_smallILi53E19rocblas_complex_numIdEPS3_EEvT1_iilPiilS6_bb.has_indirect_call, 0
	.section	.AMDGPU.csdata,"",@progbits
; Kernel info:
; codeLenInByte = 104660
; TotalNumSgprs: 91
; NumVgprs: 260
; ScratchSize: 864
; MemoryBound: 0
; FloatMode: 240
; IeeeMode: 1
; LDSByteSize: 2728 bytes/workgroup (compile time only)
; SGPRBlocks: 0
; VGPRBlocks: 16
; NumSGPRsForWavesPerEU: 91
; NumVGPRsForWavesPerEU: 260
; NamedBarCnt: 0
; Occupancy: 3
; WaveLimiterHint : 1
; COMPUTE_PGM_RSRC2:SCRATCH_EN: 1
; COMPUTE_PGM_RSRC2:USER_SGPR: 4
; COMPUTE_PGM_RSRC2:TRAP_HANDLER: 0
; COMPUTE_PGM_RSRC2:TGID_X_EN: 1
; COMPUTE_PGM_RSRC2:TGID_Y_EN: 0
; COMPUTE_PGM_RSRC2:TGID_Z_EN: 0
; COMPUTE_PGM_RSRC2:TIDIG_COMP_CNT: 2
	.section	.text._ZN9rocsolver6v33100L18getri_kernel_smallILi54E19rocblas_complex_numIdEPS3_EEvT1_iilPiilS6_bb,"axG",@progbits,_ZN9rocsolver6v33100L18getri_kernel_smallILi54E19rocblas_complex_numIdEPS3_EEvT1_iilPiilS6_bb,comdat
	.globl	_ZN9rocsolver6v33100L18getri_kernel_smallILi54E19rocblas_complex_numIdEPS3_EEvT1_iilPiilS6_bb ; -- Begin function _ZN9rocsolver6v33100L18getri_kernel_smallILi54E19rocblas_complex_numIdEPS3_EEvT1_iilPiilS6_bb
	.p2align	8
	.type	_ZN9rocsolver6v33100L18getri_kernel_smallILi54E19rocblas_complex_numIdEPS3_EEvT1_iilPiilS6_bb,@function
_ZN9rocsolver6v33100L18getri_kernel_smallILi54E19rocblas_complex_numIdEPS3_EEvT1_iilPiilS6_bb: ; @_ZN9rocsolver6v33100L18getri_kernel_smallILi54E19rocblas_complex_numIdEPS3_EEvT1_iilPiilS6_bb
; %bb.0:
	v_and_b32_e32 v1, 0x3ff, v0
	s_mov_b32 s4, exec_lo
	s_delay_alu instid0(VALU_DEP_1)
	v_cmpx_gt_u32_e32 54, v1
	s_cbranch_execz .LBB53_230
; %bb.1:
	s_clause 0x2
	s_load_b32 s8, s[2:3], 0x38
	s_load_b128 s[12:15], s[2:3], 0x10
	s_load_b128 s[4:7], s[2:3], 0x28
	s_getreg_b32 s11, hwreg(HW_REG_IB_STS2, 6, 4)
                                        ; implicit-def: $sgpr16_sgpr17
	s_wait_kmcnt 0x0
	s_bitcmp1_b32 s8, 8
	s_cselect_b32 s66, -1, 0
	s_bfe_u32 s9, ttmp6, 0x4000c
	s_and_b32 s10, ttmp6, 15
	s_add_co_i32 s9, s9, 1
	s_delay_alu instid0(SALU_CYCLE_1) | instskip(NEXT) | instid1(SALU_CYCLE_1)
	s_mul_i32 s9, ttmp9, s9
	s_add_co_i32 s10, s10, s9
	s_cmp_eq_u32 s11, 0
	s_cselect_b32 s18, ttmp9, s10
	s_bfe_u32 s8, s8, 0x10008
	s_ashr_i32 s19, s18, 31
	s_cmp_eq_u32 s8, 0
	s_cbranch_scc1 .LBB53_3
; %bb.2:
	s_load_b32 s8, s[2:3], 0x20
	s_mul_u64 s[4:5], s[4:5], s[18:19]
	s_delay_alu instid0(SALU_CYCLE_1) | instskip(NEXT) | instid1(SALU_CYCLE_1)
	s_lshl_b64 s[4:5], s[4:5], 2
	s_add_nc_u64 s[4:5], s[14:15], s[4:5]
	s_wait_kmcnt 0x0
	s_ashr_i32 s9, s8, 31
	s_delay_alu instid0(SALU_CYCLE_1) | instskip(NEXT) | instid1(SALU_CYCLE_1)
	s_lshl_b64 s[8:9], s[8:9], 2
	s_add_nc_u64 s[16:17], s[4:5], s[8:9]
.LBB53_3:
	s_clause 0x1
	s_load_b128 s[8:11], s[2:3], 0x0
	s_load_b32 s67, s[2:3], 0x38
	s_wait_xcnt 0x0
	s_mul_u64 s[2:3], s[12:13], s[18:19]
	s_movk_i32 s68, 0x210
	s_lshl_b64 s[2:3], s[2:3], 4
	s_movk_i32 s69, 0x220
	s_movk_i32 s70, 0x230
	s_movk_i32 s71, 0x240
	s_movk_i32 s72, 0x250
	s_movk_i32 s73, 0x260
	s_movk_i32 s74, 0x270
	s_movk_i32 s75, 0x280
	s_movk_i32 s76, 0x290
	s_movk_i32 s77, 0x2a0
	s_movk_i32 s78, 0x2b0
	s_movk_i32 s79, 0x2c0
	s_movk_i32 s80, 0x2d0
	s_movk_i32 s81, 0x2e0
	s_movk_i32 s82, 0x2f0
	s_movk_i32 s83, 0x300
	s_wait_kmcnt 0x0
	v_add3_u32 v20, s11, s11, v1
	s_ashr_i32 s5, s10, 31
	s_mov_b32 s4, s10
	s_add_nc_u64 s[2:3], s[8:9], s[2:3]
	s_lshl_b64 s[4:5], s[4:5], 4
	v_add_nc_u32_e32 v22, s11, v20
	s_add_nc_u64 s[4:5], s[2:3], s[4:5]
	s_ashr_i32 s3, s11, 31
	s_mov_b32 s2, s11
	s_clause 0x1
	global_load_b128 v[2:5], v1, s[4:5] scale_offset
	global_load_b128 v[6:9], v20, s[4:5] scale_offset
	v_dual_add_nc_u32 v24, s11, v22 :: v_dual_lshlrev_b32 v14, 4, v1
	s_movk_i32 s84, 0x310
	s_movk_i32 s85, 0x320
	;; [unrolled: 1-line block ×3, first 2 shown]
	s_delay_alu instid0(VALU_DEP_1) | instskip(SKIP_3) | instid1(VALU_DEP_1)
	v_dual_mov_b32 v15, 0 :: v_dual_add_nc_u32 v26, s11, v24
	s_movk_i32 s87, 0x340
	s_movk_i32 s88, 0x350
	s_mov_b32 s51, 16
	v_add_nc_u32_e32 v28, s11, v26
	v_add_nc_u64_e32 v[16:17], s[4:5], v[14:15]
	s_mov_b32 s50, 32
	s_mov_b32 s33, 48
	;; [unrolled: 1-line block ×3, first 2 shown]
	v_add_nc_u32_e32 v30, s11, v28
	s_movk_i32 s55, 0x50
	s_movk_i32 s58, 0x60
	v_lshl_add_u64 v[18:19], s[2:3], 4, v[16:17]
	s_movk_i32 s60, 0x70
	v_add_nc_u32_e32 v32, s11, v30
	s_clause 0x4
	global_load_b128 v[10:13], v22, s[4:5] scale_offset
	global_load_b128 v[112:115], v24, s[4:5] scale_offset
	global_load_b128 v[116:119], v[18:19], off
	global_load_b128 v[120:123], v26, s[4:5] scale_offset
	global_load_b128 v[124:127], v28, s[4:5] scale_offset
	s_movk_i32 s53, 0x80
	s_movk_i32 s54, 0x90
	v_add_nc_u32_e32 v34, s11, v32
	s_movk_i32 s56, 0xa0
	s_movk_i32 s59, 0xb0
	;; [unrolled: 1-line block ×4, first 2 shown]
	v_add_nc_u32_e32 v36, s11, v34
	s_movk_i32 s65, 0xe0
	s_movk_i32 s57, 0xf0
	;; [unrolled: 1-line block ×4, first 2 shown]
	v_add_nc_u32_e32 v38, s11, v36
	s_clause 0x1
	global_load_b128 v[128:131], v30, s[4:5] scale_offset
	global_load_b128 v[132:135], v32, s[4:5] scale_offset
	s_movk_i32 s38, 0x120
	s_movk_i32 s41, 0x130
	;; [unrolled: 1-line block ×3, first 2 shown]
	v_add_nc_u32_e32 v40, s11, v38
	s_clause 0x2
	global_load_b128 v[136:139], v34, s[4:5] scale_offset
	global_load_b128 v[140:143], v36, s[4:5] scale_offset
	;; [unrolled: 1-line block ×3, first 2 shown]
	s_movk_i32 s36, 0x150
	s_movk_i32 s37, 0x160
	s_movk_i32 s40, 0x170
	v_add_nc_u32_e32 v42, s11, v40
	s_movk_i32 s43, 0x180
	s_movk_i32 s46, 0x190
	s_movk_i32 s48, 0x1a0
	s_movk_i32 s39, 0x1b0
	v_add_nc_u32_e32 v44, s11, v42
	s_movk_i32 s42, 0x1c0
	;; [unrolled: 5-line block ×3, first 2 shown]
	s_mov_b32 s24, s68
	s_mov_b32 s25, s69
	;; [unrolled: 1-line block ×3, first 2 shown]
	v_add_nc_u32_e32 v48, s11, v46
	s_clause 0x1
	global_load_b128 v[148:151], v40, s[4:5] scale_offset
	global_load_b128 v[152:155], v42, s[4:5] scale_offset
	s_mov_b32 s23, s71
	s_mov_b32 s20, s72
	;; [unrolled: 1-line block ×3, first 2 shown]
	v_add_nc_u32_e32 v50, s11, v48
	s_mov_b32 s14, s74
	s_mov_b32 s15, s75
	;; [unrolled: 1-line block ×4, first 2 shown]
	v_add_nc_u32_e32 v52, s11, v50
	s_clause 0x2
	global_load_b128 v[156:159], v44, s[4:5] scale_offset
	global_load_b128 v[160:163], v46, s[4:5] scale_offset
	;; [unrolled: 1-line block ×3, first 2 shown]
	s_mov_b32 s10, s78
	s_clause 0x1
	global_load_b128 v[168:171], v50, s[4:5] scale_offset
	global_load_b128 v[172:175], v52, s[4:5] scale_offset
	v_add_nc_u32_e32 v54, s11, v52
	s_mov_b32 s8, s80
	s_mov_b32 s9, s81
	;; [unrolled: 1-line block ×4, first 2 shown]
	v_add_nc_u32_e32 v56, s11, v54
	s_mov_b32 s28, s84
	s_mov_b32 s29, s85
	;; [unrolled: 1-line block ×4, first 2 shown]
	v_add_nc_u32_e32 v58, s11, v56
	s_mov_b32 s35, s88
	s_bitcmp0_b32 s67, 0
	s_mov_b32 s3, -1
	s_delay_alu instid0(VALU_DEP_1) | instskip(NEXT) | instid1(VALU_DEP_1)
	v_add_nc_u32_e32 v60, s11, v58
	v_add_nc_u32_e32 v62, s11, v60
	s_delay_alu instid0(VALU_DEP_1)
	v_add_nc_u32_e32 v64, s11, v62
	s_clause 0x2
	global_load_b128 v[176:179], v54, s[4:5] scale_offset
	global_load_b128 v[180:183], v56, s[4:5] scale_offset
	global_load_b128 v[184:187], v58, s[4:5] scale_offset
	v_add_nc_u32_e32 v66, s11, v64
	s_delay_alu instid0(VALU_DEP_1) | instskip(NEXT) | instid1(VALU_DEP_1)
	v_add_nc_u32_e32 v68, s11, v66
	v_add_nc_u32_e32 v70, s11, v68
	s_delay_alu instid0(VALU_DEP_1)
	v_add_nc_u32_e32 v72, s11, v70
	s_clause 0x3
	global_load_b128 v[188:191], v60, s[4:5] scale_offset
	global_load_b128 v[192:195], v62, s[4:5] scale_offset
	;; [unrolled: 1-line block ×4, first 2 shown]
	v_add_nc_u32_e32 v74, s11, v72
	s_delay_alu instid0(VALU_DEP_1)
	v_add_nc_u32_e32 v76, s11, v74
	s_clause 0x3
	global_load_b128 v[204:207], v68, s[4:5] scale_offset
	global_load_b128 v[208:211], v70, s[4:5] scale_offset
	;; [unrolled: 1-line block ×4, first 2 shown]
	v_add_nc_u32_e32 v78, s11, v76
	s_delay_alu instid0(VALU_DEP_1) | instskip(NEXT) | instid1(VALU_DEP_1)
	v_add_nc_u32_e32 v80, s11, v78
	v_add_nc_u32_e32 v82, s11, v80
	s_delay_alu instid0(VALU_DEP_1) | instskip(NEXT) | instid1(VALU_DEP_1)
	v_add_nc_u32_e32 v84, s11, v82
	v_add_nc_u32_e32 v86, s11, v84
	s_delay_alu instid0(VALU_DEP_1)
	v_add_nc_u32_e32 v88, s11, v86
	s_clause 0x3
	global_load_b128 v[220:223], v76, s[4:5] scale_offset
	global_load_b128 v[224:227], v78, s[4:5] scale_offset
	;; [unrolled: 1-line block ×4, first 2 shown]
	v_add_nc_u32_e32 v90, s11, v88
	s_delay_alu instid0(VALU_DEP_1) | instskip(NEXT) | instid1(VALU_DEP_1)
	v_add_nc_u32_e32 v92, s11, v90
	v_add_nc_u32_e32 v94, s11, v92
	s_delay_alu instid0(VALU_DEP_1)
	v_add_nc_u32_e32 v96, s11, v94
	s_clause 0x3
	global_load_b128 v[236:239], v84, s[4:5] scale_offset
	global_load_b128 v[240:243], v86, s[4:5] scale_offset
	;; [unrolled: 1-line block ×4, first 2 shown]
	s_wait_loadcnt 0x25
	scratch_store_b128 off, v[2:5], off
	s_wait_loadcnt 0x24
	scratch_store_b128 off, v[6:9], off offset:32
	v_add_nc_u32_e32 v98, s11, v96
	s_delay_alu instid0(VALU_DEP_1)
	v_add_nc_u32_e32 v100, s11, v98
	s_clause 0x1
	global_load_b128 v[2:5], v92, s[4:5] scale_offset
	global_load_b128 v[6:9], v94, s[4:5] scale_offset
	s_wait_loadcnt 0x25
	scratch_store_b128 off, v[10:13], off offset:48
	s_wait_loadcnt 0x24
	scratch_store_b128 off, v[112:115], off offset:64
	v_add_nc_u32_e32 v102, s11, v100
	s_clause 0x1
	global_load_b128 v[10:13], v96, s[4:5] scale_offset
	global_load_b128 v[252:255], v98, s[4:5] scale_offset
	s_wait_loadcnt 0x25
	scratch_store_b128 off, v[116:119], off offset:16
	s_wait_loadcnt 0x24
	scratch_store_b128 off, v[120:123], off offset:80
	;; [unrolled: 2-line block ×3, first 2 shown]
	v_add_nc_u32_e32 v104, s11, v102
	s_delay_alu instid0(VALU_DEP_1) | instskip(NEXT) | instid1(VALU_DEP_1)
	v_add_nc_u32_e32 v106, s11, v104
	v_add_nc_u32_e32 v108, s11, v106
	s_clause 0x2
	global_load_b128 v[124:127], v100, s[4:5] scale_offset
	s_set_vgpr_msb 64                       ;  msbs: dst=1 src0=0 src1=0 src2=0
	global_load_b128 v[0:3] /*v[256:259]*/, v102, s[4:5] scale_offset
	s_wait_loadcnt 0x24
	scratch_store_b128 off, v[128:131], off offset:112
	s_wait_loadcnt 0x23
	scratch_store_b128 off, v[132:135], off offset:128
	s_set_vgpr_msb 0                        ;  msbs: dst=0 src0=0 src1=0 src2=0
	v_add_nc_u32_e32 v110, s11, v108
	s_delay_alu instid0(VALU_DEP_1)
	v_add_nc_u32_e32 v112, s11, v110
	s_clause 0x1
	global_load_b128 v[128:131], v104, s[4:5] scale_offset
	global_load_b128 v[132:135], v106, s[4:5] scale_offset
	s_wait_loadcnt 0x24
	scratch_store_b128 off, v[136:139], off offset:144
	s_wait_loadcnt 0x23
	scratch_store_b128 off, v[140:143], off offset:160
	;; [unrolled: 2-line block ×3, first 2 shown]
	s_clause 0x1
	global_load_b128 v[136:139], v108, s[4:5] scale_offset
	global_load_b128 v[140:143], v110, s[4:5] scale_offset
	v_add_nc_u32_e32 v114, s11, v112
	s_wait_loadcnt 0x23
	scratch_store_b128 off, v[148:151], off offset:192
	s_wait_loadcnt 0x22
	scratch_store_b128 off, v[152:155], off offset:208
	v_add_nc_u32_e32 v116, s11, v114
	s_delay_alu instid0(VALU_DEP_1) | instskip(NEXT) | instid1(VALU_DEP_1)
	v_add_nc_u32_e32 v118, s11, v116
	v_add_nc_u32_e32 v120, s11, v118
	s_clause 0x1
	global_load_b128 v[144:147], v112, s[4:5] scale_offset
	global_load_b128 v[148:151], v114, s[4:5] scale_offset
	s_wait_loadcnt 0x23
	scratch_store_b128 off, v[156:159], off offset:224
	s_wait_loadcnt 0x22
	scratch_store_b128 off, v[160:163], off offset:240
	v_add_nc_u32_e32 v122, s11, v120
	s_clause 0x1
	global_load_b128 v[152:155], v116, s[4:5] scale_offset
	global_load_b128 v[156:159], v118, s[4:5] scale_offset
	s_wait_loadcnt 0x23
	scratch_store_b128 off, v[164:167], off offset:256
	s_wait_loadcnt 0x22
	scratch_store_b128 off, v[168:171], off offset:272
	s_wait_loadcnt 0x21
	scratch_store_b128 off, v[172:175], off offset:288
	s_clause 0x1
	global_load_b128 v[160:163], v120, s[4:5] scale_offset
	global_load_b128 v[164:167], v122, s[4:5] scale_offset
	s_mov_b32 s11, s79
	s_wait_loadcnt 0x22
	scratch_store_b128 off, v[176:179], off offset:304
	s_wait_loadcnt 0x21
	scratch_store_b128 off, v[180:183], off offset:320
	;; [unrolled: 2-line block ×24, first 2 shown]
	s_wait_loadcnt 0xa
	s_set_vgpr_msb 4                        ;  msbs: dst=0 src0=0 src1=1 src2=0
	scratch_store_b128 off, v[0:3] /*v[256:259]*/, off offset:688
	s_wait_loadcnt 0x9
	s_set_vgpr_msb 0                        ;  msbs: dst=0 src0=0 src1=0 src2=0
	scratch_store_b128 off, v[128:131], off offset:704
	s_wait_loadcnt 0x8
	scratch_store_b128 off, v[132:135], off offset:720
	s_wait_loadcnt 0x7
	;; [unrolled: 2-line block ×9, first 2 shown]
	scratch_store_b128 off, v[164:167], off offset:848
	s_cbranch_scc1 .LBB53_228
; %bb.4:
	v_cmp_eq_u32_e64 s2, 0, v1
	s_wait_xcnt 0x0
	s_and_saveexec_b32 s3, s2
; %bb.5:
	v_mov_b32_e32 v2, 0
	ds_store_b32 v2, v2 offset:1728
; %bb.6:
	s_or_b32 exec_lo, exec_lo, s3
	s_wait_storecnt_dscnt 0x0
	s_barrier_signal -1
	s_barrier_wait -1
	scratch_load_b128 v[2:5], v1, off scale_offset
	s_wait_loadcnt 0x0
	v_cmp_eq_f64_e32 vcc_lo, 0, v[2:3]
	v_cmp_eq_f64_e64 s3, 0, v[4:5]
	s_and_b32 s3, vcc_lo, s3
	s_delay_alu instid0(SALU_CYCLE_1)
	s_and_saveexec_b32 s67, s3
	s_cbranch_execz .LBB53_10
; %bb.7:
	v_mov_b32_e32 v2, 0
	s_mov_b32 s68, 0
	ds_load_b32 v3, v2 offset:1728
	s_wait_dscnt 0x0
	v_readfirstlane_b32 s3, v3
	v_add_nc_u32_e32 v3, 1, v1
	s_cmp_eq_u32 s3, 0
	s_delay_alu instid0(VALU_DEP_1) | instskip(SKIP_1) | instid1(SALU_CYCLE_1)
	v_cmp_gt_i32_e32 vcc_lo, s3, v3
	s_cselect_b32 s69, -1, 0
	s_or_b32 s69, s69, vcc_lo
	s_delay_alu instid0(SALU_CYCLE_1)
	s_and_b32 exec_lo, exec_lo, s69
	s_cbranch_execz .LBB53_10
; %bb.8:
	v_mov_b32_e32 v4, s3
.LBB53_9:                               ; =>This Inner Loop Header: Depth=1
	ds_cmpstore_rtn_b32 v4, v2, v3, v4 offset:1728
	s_wait_dscnt 0x0
	v_cmp_ne_u32_e32 vcc_lo, 0, v4
	v_cmp_le_i32_e64 s3, v4, v3
	s_and_b32 s3, vcc_lo, s3
	s_delay_alu instid0(SALU_CYCLE_1) | instskip(NEXT) | instid1(SALU_CYCLE_1)
	s_and_b32 s3, exec_lo, s3
	s_or_b32 s68, s3, s68
	s_delay_alu instid0(SALU_CYCLE_1)
	s_and_not1_b32 exec_lo, exec_lo, s68
	s_cbranch_execnz .LBB53_9
.LBB53_10:
	s_or_b32 exec_lo, exec_lo, s67
	v_mov_b32_e32 v2, 0
	s_barrier_signal -1
	s_barrier_wait -1
	ds_load_b32 v3, v2 offset:1728
	s_and_saveexec_b32 s3, s2
	s_cbranch_execz .LBB53_12
; %bb.11:
	s_lshl_b64 s[68:69], s[18:19], 2
	s_delay_alu instid0(SALU_CYCLE_1)
	s_add_nc_u64 s[68:69], s[6:7], s[68:69]
	s_wait_dscnt 0x0
	global_store_b32 v2, v3, s[68:69]
.LBB53_12:
	s_wait_xcnt 0x0
	s_or_b32 exec_lo, exec_lo, s3
	s_wait_dscnt 0x0
	v_cmp_ne_u32_e32 vcc_lo, 0, v3
	s_mov_b32 s3, 0
	s_cbranch_vccnz .LBB53_228
; %bb.13:
	v_lshl_add_u32 v15, v1, 4, 0
                                        ; implicit-def: $vgpr6_vgpr7
                                        ; implicit-def: $vgpr10_vgpr11
	scratch_load_b128 v[2:5], v15, off
	s_wait_loadcnt 0x0
	v_cmp_ngt_f64_e64 s3, |v[2:3]|, |v[4:5]|
	s_wait_xcnt 0x0
	s_and_saveexec_b32 s67, s3
	s_delay_alu instid0(SALU_CYCLE_1)
	s_xor_b32 s3, exec_lo, s67
	s_cbranch_execz .LBB53_15
; %bb.14:
	v_div_scale_f64 v[6:7], null, v[4:5], v[4:5], v[2:3]
	v_div_scale_f64 v[12:13], vcc_lo, v[2:3], v[4:5], v[2:3]
	s_delay_alu instid0(VALU_DEP_2) | instskip(SKIP_1) | instid1(TRANS32_DEP_1)
	v_rcp_f64_e32 v[8:9], v[6:7]
	v_nop
	v_fma_f64 v[10:11], -v[6:7], v[8:9], 1.0
	s_delay_alu instid0(VALU_DEP_1) | instskip(NEXT) | instid1(VALU_DEP_1)
	v_fmac_f64_e32 v[8:9], v[8:9], v[10:11]
	v_fma_f64 v[10:11], -v[6:7], v[8:9], 1.0
	s_delay_alu instid0(VALU_DEP_1) | instskip(NEXT) | instid1(VALU_DEP_1)
	v_fmac_f64_e32 v[8:9], v[8:9], v[10:11]
	v_mul_f64_e32 v[10:11], v[12:13], v[8:9]
	s_delay_alu instid0(VALU_DEP_1) | instskip(NEXT) | instid1(VALU_DEP_1)
	v_fma_f64 v[6:7], -v[6:7], v[10:11], v[12:13]
	v_div_fmas_f64 v[6:7], v[6:7], v[8:9], v[10:11]
	s_delay_alu instid0(VALU_DEP_1) | instskip(NEXT) | instid1(VALU_DEP_1)
	v_div_fixup_f64 v[6:7], v[6:7], v[4:5], v[2:3]
	v_fmac_f64_e32 v[4:5], v[2:3], v[6:7]
	s_delay_alu instid0(VALU_DEP_1) | instskip(SKIP_1) | instid1(VALU_DEP_2)
	v_div_scale_f64 v[2:3], null, v[4:5], v[4:5], 1.0
	v_div_scale_f64 v[12:13], vcc_lo, 1.0, v[4:5], 1.0
	v_rcp_f64_e32 v[8:9], v[2:3]
	v_nop
	s_delay_alu instid0(TRANS32_DEP_1) | instskip(NEXT) | instid1(VALU_DEP_1)
	v_fma_f64 v[10:11], -v[2:3], v[8:9], 1.0
	v_fmac_f64_e32 v[8:9], v[8:9], v[10:11]
	s_delay_alu instid0(VALU_DEP_1) | instskip(NEXT) | instid1(VALU_DEP_1)
	v_fma_f64 v[10:11], -v[2:3], v[8:9], 1.0
	v_fmac_f64_e32 v[8:9], v[8:9], v[10:11]
	s_delay_alu instid0(VALU_DEP_1) | instskip(NEXT) | instid1(VALU_DEP_1)
	v_mul_f64_e32 v[10:11], v[12:13], v[8:9]
	v_fma_f64 v[2:3], -v[2:3], v[10:11], v[12:13]
	s_delay_alu instid0(VALU_DEP_1) | instskip(NEXT) | instid1(VALU_DEP_1)
	v_div_fmas_f64 v[2:3], v[2:3], v[8:9], v[10:11]
	v_div_fixup_f64 v[8:9], v[2:3], v[4:5], 1.0
                                        ; implicit-def: $vgpr2_vgpr3
	s_delay_alu instid0(VALU_DEP_1) | instskip(SKIP_1) | instid1(VALU_DEP_2)
	v_mul_f64_e32 v[6:7], v[6:7], v[8:9]
	v_xor_b32_e32 v9, 0x80000000, v9
	v_xor_b32_e32 v11, 0x80000000, v7
	s_delay_alu instid0(VALU_DEP_3)
	v_mov_b32_e32 v10, v6
.LBB53_15:
	s_and_not1_saveexec_b32 s3, s3
	s_cbranch_execz .LBB53_17
; %bb.16:
	v_div_scale_f64 v[6:7], null, v[2:3], v[2:3], v[4:5]
	v_div_scale_f64 v[12:13], vcc_lo, v[4:5], v[2:3], v[4:5]
	s_delay_alu instid0(VALU_DEP_2) | instskip(SKIP_1) | instid1(TRANS32_DEP_1)
	v_rcp_f64_e32 v[8:9], v[6:7]
	v_nop
	v_fma_f64 v[10:11], -v[6:7], v[8:9], 1.0
	s_delay_alu instid0(VALU_DEP_1) | instskip(NEXT) | instid1(VALU_DEP_1)
	v_fmac_f64_e32 v[8:9], v[8:9], v[10:11]
	v_fma_f64 v[10:11], -v[6:7], v[8:9], 1.0
	s_delay_alu instid0(VALU_DEP_1) | instskip(NEXT) | instid1(VALU_DEP_1)
	v_fmac_f64_e32 v[8:9], v[8:9], v[10:11]
	v_mul_f64_e32 v[10:11], v[12:13], v[8:9]
	s_delay_alu instid0(VALU_DEP_1) | instskip(NEXT) | instid1(VALU_DEP_1)
	v_fma_f64 v[6:7], -v[6:7], v[10:11], v[12:13]
	v_div_fmas_f64 v[6:7], v[6:7], v[8:9], v[10:11]
	s_delay_alu instid0(VALU_DEP_1) | instskip(NEXT) | instid1(VALU_DEP_1)
	v_div_fixup_f64 v[8:9], v[6:7], v[2:3], v[4:5]
	v_fmac_f64_e32 v[2:3], v[4:5], v[8:9]
	s_delay_alu instid0(VALU_DEP_1) | instskip(NEXT) | instid1(VALU_DEP_1)
	v_div_scale_f64 v[4:5], null, v[2:3], v[2:3], 1.0
	v_rcp_f64_e32 v[6:7], v[4:5]
	v_nop
	s_delay_alu instid0(TRANS32_DEP_1) | instskip(NEXT) | instid1(VALU_DEP_1)
	v_fma_f64 v[10:11], -v[4:5], v[6:7], 1.0
	v_fmac_f64_e32 v[6:7], v[6:7], v[10:11]
	s_delay_alu instid0(VALU_DEP_1) | instskip(NEXT) | instid1(VALU_DEP_1)
	v_fma_f64 v[10:11], -v[4:5], v[6:7], 1.0
	v_fmac_f64_e32 v[6:7], v[6:7], v[10:11]
	v_div_scale_f64 v[10:11], vcc_lo, 1.0, v[2:3], 1.0
	s_delay_alu instid0(VALU_DEP_1) | instskip(NEXT) | instid1(VALU_DEP_1)
	v_mul_f64_e32 v[12:13], v[10:11], v[6:7]
	v_fma_f64 v[4:5], -v[4:5], v[12:13], v[10:11]
	s_delay_alu instid0(VALU_DEP_1) | instskip(NEXT) | instid1(VALU_DEP_1)
	v_div_fmas_f64 v[4:5], v[4:5], v[6:7], v[12:13]
	v_div_fixup_f64 v[6:7], v[4:5], v[2:3], 1.0
	s_delay_alu instid0(VALU_DEP_1)
	v_mul_f64_e64 v[8:9], v[8:9], -v[6:7]
	v_xor_b32_e32 v11, 0x80000000, v7
	v_mov_b32_e32 v10, v6
.LBB53_17:
	s_or_b32 exec_lo, exec_lo, s3
	s_clause 0x1
	scratch_store_b128 v15, v[6:9], off
	scratch_load_b128 v[2:5], off, s51
	v_xor_b32_e32 v13, 0x80000000, v9
	v_mov_b32_e32 v12, v8
	s_wait_xcnt 0x1
	v_add_nc_u32_e32 v6, 0x360, v14
	ds_store_b128 v14, v[10:13]
	s_wait_loadcnt 0x0
	ds_store_b128 v14, v[2:5] offset:864
	s_wait_storecnt_dscnt 0x0
	s_barrier_signal -1
	s_barrier_wait -1
	s_wait_xcnt 0x0
	s_and_saveexec_b32 s3, s2
	s_cbranch_execz .LBB53_19
; %bb.18:
	scratch_load_b128 v[2:5], v15, off
	ds_load_b128 v[8:11], v6
	v_mov_b32_e32 v7, 0
	ds_load_b128 v[124:127], v7 offset:16
	s_wait_loadcnt_dscnt 0x1
	v_mul_f64_e32 v[12:13], v[8:9], v[4:5]
	v_mul_f64_e32 v[4:5], v[10:11], v[4:5]
	s_delay_alu instid0(VALU_DEP_2) | instskip(NEXT) | instid1(VALU_DEP_2)
	v_fmac_f64_e32 v[12:13], v[10:11], v[2:3]
	v_fma_f64 v[2:3], v[8:9], v[2:3], -v[4:5]
	s_delay_alu instid0(VALU_DEP_2) | instskip(NEXT) | instid1(VALU_DEP_2)
	v_add_f64_e32 v[8:9], 0, v[12:13]
	v_add_f64_e32 v[2:3], 0, v[2:3]
	s_wait_dscnt 0x0
	s_delay_alu instid0(VALU_DEP_2) | instskip(NEXT) | instid1(VALU_DEP_2)
	v_mul_f64_e32 v[10:11], v[8:9], v[126:127]
	v_mul_f64_e32 v[4:5], v[2:3], v[126:127]
	s_delay_alu instid0(VALU_DEP_2) | instskip(NEXT) | instid1(VALU_DEP_2)
	v_fma_f64 v[2:3], v[2:3], v[124:125], -v[10:11]
	v_fmac_f64_e32 v[4:5], v[8:9], v[124:125]
	scratch_store_b128 off, v[2:5], off offset:16
.LBB53_19:
	s_wait_xcnt 0x0
	s_or_b32 exec_lo, exec_lo, s3
	s_wait_storecnt 0x0
	s_barrier_signal -1
	s_barrier_wait -1
	scratch_load_b128 v[2:5], off, s50
	s_mov_b32 s3, exec_lo
	s_wait_loadcnt 0x0
	ds_store_b128 v6, v[2:5]
	s_wait_dscnt 0x0
	s_barrier_signal -1
	s_barrier_wait -1
	v_cmpx_gt_u32_e32 2, v1
	s_cbranch_execz .LBB53_23
; %bb.20:
	scratch_load_b128 v[2:5], v15, off
	ds_load_b128 v[8:11], v6
	s_wait_loadcnt_dscnt 0x0
	v_mul_f64_e32 v[12:13], v[10:11], v[4:5]
	v_mul_f64_e32 v[124:125], v[8:9], v[4:5]
	s_delay_alu instid0(VALU_DEP_2) | instskip(NEXT) | instid1(VALU_DEP_2)
	v_fma_f64 v[4:5], v[8:9], v[2:3], -v[12:13]
	v_fmac_f64_e32 v[124:125], v[10:11], v[2:3]
	s_delay_alu instid0(VALU_DEP_2) | instskip(NEXT) | instid1(VALU_DEP_2)
	v_add_f64_e32 v[4:5], 0, v[4:5]
	v_add_f64_e32 v[2:3], 0, v[124:125]
	s_and_saveexec_b32 s67, s2
	s_cbranch_execz .LBB53_22
; %bb.21:
	scratch_load_b128 v[8:11], off, off offset:16
	v_mov_b32_e32 v7, 0
	ds_load_b128 v[124:127], v7 offset:880
	s_wait_loadcnt_dscnt 0x0
	v_mul_f64_e32 v[12:13], v[124:125], v[10:11]
	v_mul_f64_e32 v[10:11], v[126:127], v[10:11]
	s_delay_alu instid0(VALU_DEP_2) | instskip(NEXT) | instid1(VALU_DEP_2)
	v_fmac_f64_e32 v[12:13], v[126:127], v[8:9]
	v_fma_f64 v[8:9], v[124:125], v[8:9], -v[10:11]
	s_delay_alu instid0(VALU_DEP_2) | instskip(NEXT) | instid1(VALU_DEP_2)
	v_add_f64_e32 v[2:3], v[2:3], v[12:13]
	v_add_f64_e32 v[4:5], v[4:5], v[8:9]
.LBB53_22:
	s_or_b32 exec_lo, exec_lo, s67
	v_mov_b32_e32 v7, 0
	ds_load_b128 v[8:11], v7 offset:32
	s_wait_dscnt 0x0
	v_mul_f64_e32 v[124:125], v[2:3], v[10:11]
	v_mul_f64_e32 v[12:13], v[4:5], v[10:11]
	s_delay_alu instid0(VALU_DEP_2) | instskip(NEXT) | instid1(VALU_DEP_2)
	v_fma_f64 v[10:11], v[4:5], v[8:9], -v[124:125]
	v_fmac_f64_e32 v[12:13], v[2:3], v[8:9]
	scratch_store_b128 off, v[10:13], off offset:32
.LBB53_23:
	s_wait_xcnt 0x0
	s_or_b32 exec_lo, exec_lo, s3
	s_wait_storecnt 0x0
	s_barrier_signal -1
	s_barrier_wait -1
	scratch_load_b128 v[2:5], off, s33
	v_add_nc_u32_e32 v7, -1, v1
	s_mov_b32 s2, exec_lo
	s_wait_loadcnt 0x0
	ds_store_b128 v6, v[2:5]
	s_wait_dscnt 0x0
	s_barrier_signal -1
	s_barrier_wait -1
	v_cmpx_gt_u32_e32 3, v1
	s_cbranch_execz .LBB53_27
; %bb.24:
	v_dual_mov_b32 v10, v14 :: v_dual_add_nc_u32 v8, -1, v1
	v_mov_b64_e32 v[2:3], 0
	v_mov_b64_e32 v[4:5], 0
	v_add_nc_u32_e32 v9, 0x360, v14
	s_delay_alu instid0(VALU_DEP_4)
	v_or_b32_e32 v10, 8, v10
	s_mov_b32 s3, 0
.LBB53_25:                              ; =>This Inner Loop Header: Depth=1
	scratch_load_b128 v[124:127], v10, off offset:-8
	ds_load_b128 v[128:131], v9
	v_dual_add_nc_u32 v8, 1, v8 :: v_dual_add_nc_u32 v9, 16, v9
	s_wait_xcnt 0x0
	v_add_nc_u32_e32 v10, 16, v10
	s_delay_alu instid0(VALU_DEP_2) | instskip(SKIP_4) | instid1(VALU_DEP_2)
	v_cmp_lt_u32_e32 vcc_lo, 1, v8
	s_or_b32 s3, vcc_lo, s3
	s_wait_loadcnt_dscnt 0x0
	v_mul_f64_e32 v[12:13], v[130:131], v[126:127]
	v_mul_f64_e32 v[126:127], v[128:129], v[126:127]
	v_fma_f64 v[12:13], v[128:129], v[124:125], -v[12:13]
	s_delay_alu instid0(VALU_DEP_2) | instskip(NEXT) | instid1(VALU_DEP_2)
	v_fmac_f64_e32 v[126:127], v[130:131], v[124:125]
	v_add_f64_e32 v[4:5], v[4:5], v[12:13]
	s_delay_alu instid0(VALU_DEP_2)
	v_add_f64_e32 v[2:3], v[2:3], v[126:127]
	s_and_not1_b32 exec_lo, exec_lo, s3
	s_cbranch_execnz .LBB53_25
; %bb.26:
	s_or_b32 exec_lo, exec_lo, s3
	v_mov_b32_e32 v8, 0
	ds_load_b128 v[8:11], v8 offset:48
	s_wait_dscnt 0x0
	v_mul_f64_e32 v[124:125], v[2:3], v[10:11]
	v_mul_f64_e32 v[12:13], v[4:5], v[10:11]
	s_delay_alu instid0(VALU_DEP_2) | instskip(NEXT) | instid1(VALU_DEP_2)
	v_fma_f64 v[10:11], v[4:5], v[8:9], -v[124:125]
	v_fmac_f64_e32 v[12:13], v[2:3], v[8:9]
	scratch_store_b128 off, v[10:13], off offset:48
.LBB53_27:
	s_wait_xcnt 0x0
	s_or_b32 exec_lo, exec_lo, s2
	s_wait_storecnt 0x0
	s_barrier_signal -1
	s_barrier_wait -1
	scratch_load_b128 v[2:5], off, s34
	s_mov_b32 s2, exec_lo
	s_wait_loadcnt 0x0
	ds_store_b128 v6, v[2:5]
	s_wait_dscnt 0x0
	s_barrier_signal -1
	s_barrier_wait -1
	v_cmpx_gt_u32_e32 4, v1
	s_cbranch_execz .LBB53_31
; %bb.28:
	v_dual_mov_b32 v10, v14 :: v_dual_add_nc_u32 v8, -1, v1
	v_mov_b64_e32 v[2:3], 0
	v_mov_b64_e32 v[4:5], 0
	v_add_nc_u32_e32 v9, 0x360, v14
	s_delay_alu instid0(VALU_DEP_4)
	v_or_b32_e32 v10, 8, v10
	s_mov_b32 s3, 0
.LBB53_29:                              ; =>This Inner Loop Header: Depth=1
	scratch_load_b128 v[124:127], v10, off offset:-8
	ds_load_b128 v[128:131], v9
	v_dual_add_nc_u32 v8, 1, v8 :: v_dual_add_nc_u32 v9, 16, v9
	s_wait_xcnt 0x0
	v_add_nc_u32_e32 v10, 16, v10
	s_delay_alu instid0(VALU_DEP_2) | instskip(SKIP_4) | instid1(VALU_DEP_2)
	v_cmp_lt_u32_e32 vcc_lo, 2, v8
	s_or_b32 s3, vcc_lo, s3
	s_wait_loadcnt_dscnt 0x0
	v_mul_f64_e32 v[12:13], v[130:131], v[126:127]
	v_mul_f64_e32 v[126:127], v[128:129], v[126:127]
	v_fma_f64 v[12:13], v[128:129], v[124:125], -v[12:13]
	s_delay_alu instid0(VALU_DEP_2) | instskip(NEXT) | instid1(VALU_DEP_2)
	v_fmac_f64_e32 v[126:127], v[130:131], v[124:125]
	v_add_f64_e32 v[4:5], v[4:5], v[12:13]
	s_delay_alu instid0(VALU_DEP_2)
	v_add_f64_e32 v[2:3], v[2:3], v[126:127]
	s_and_not1_b32 exec_lo, exec_lo, s3
	s_cbranch_execnz .LBB53_29
; %bb.30:
	s_or_b32 exec_lo, exec_lo, s3
	v_mov_b32_e32 v8, 0
	ds_load_b128 v[8:11], v8 offset:64
	s_wait_dscnt 0x0
	v_mul_f64_e32 v[124:125], v[2:3], v[10:11]
	v_mul_f64_e32 v[12:13], v[4:5], v[10:11]
	s_delay_alu instid0(VALU_DEP_2) | instskip(NEXT) | instid1(VALU_DEP_2)
	v_fma_f64 v[10:11], v[4:5], v[8:9], -v[124:125]
	v_fmac_f64_e32 v[12:13], v[2:3], v[8:9]
	scratch_store_b128 off, v[10:13], off offset:64
.LBB53_31:
	s_wait_xcnt 0x0
	s_or_b32 exec_lo, exec_lo, s2
	s_wait_storecnt 0x0
	s_barrier_signal -1
	s_barrier_wait -1
	scratch_load_b128 v[2:5], off, s55
	;; [unrolled: 54-line block ×19, first 2 shown]
	s_mov_b32 s2, exec_lo
	s_wait_loadcnt 0x0
	ds_store_b128 v6, v[2:5]
	s_wait_dscnt 0x0
	s_barrier_signal -1
	s_barrier_wait -1
	v_cmpx_gt_u32_e32 22, v1
	s_cbranch_execz .LBB53_103
; %bb.100:
	v_dual_mov_b32 v10, v14 :: v_dual_add_nc_u32 v8, -1, v1
	v_mov_b64_e32 v[2:3], 0
	v_mov_b64_e32 v[4:5], 0
	v_add_nc_u32_e32 v9, 0x360, v14
	s_delay_alu instid0(VALU_DEP_4)
	v_or_b32_e32 v10, 8, v10
	s_mov_b32 s3, 0
.LBB53_101:                             ; =>This Inner Loop Header: Depth=1
	scratch_load_b128 v[124:127], v10, off offset:-8
	ds_load_b128 v[128:131], v9
	v_dual_add_nc_u32 v8, 1, v8 :: v_dual_add_nc_u32 v9, 16, v9
	s_wait_xcnt 0x0
	v_add_nc_u32_e32 v10, 16, v10
	s_delay_alu instid0(VALU_DEP_2) | instskip(SKIP_4) | instid1(VALU_DEP_2)
	v_cmp_lt_u32_e32 vcc_lo, 20, v8
	s_or_b32 s3, vcc_lo, s3
	s_wait_loadcnt_dscnt 0x0
	v_mul_f64_e32 v[12:13], v[130:131], v[126:127]
	v_mul_f64_e32 v[126:127], v[128:129], v[126:127]
	v_fma_f64 v[12:13], v[128:129], v[124:125], -v[12:13]
	s_delay_alu instid0(VALU_DEP_2) | instskip(NEXT) | instid1(VALU_DEP_2)
	v_fmac_f64_e32 v[126:127], v[130:131], v[124:125]
	v_add_f64_e32 v[4:5], v[4:5], v[12:13]
	s_delay_alu instid0(VALU_DEP_2)
	v_add_f64_e32 v[2:3], v[2:3], v[126:127]
	s_and_not1_b32 exec_lo, exec_lo, s3
	s_cbranch_execnz .LBB53_101
; %bb.102:
	s_or_b32 exec_lo, exec_lo, s3
	v_mov_b32_e32 v8, 0
	ds_load_b128 v[8:11], v8 offset:352
	s_wait_dscnt 0x0
	v_mul_f64_e32 v[124:125], v[2:3], v[10:11]
	v_mul_f64_e32 v[12:13], v[4:5], v[10:11]
	s_delay_alu instid0(VALU_DEP_2) | instskip(NEXT) | instid1(VALU_DEP_2)
	v_fma_f64 v[10:11], v[4:5], v[8:9], -v[124:125]
	v_fmac_f64_e32 v[12:13], v[2:3], v[8:9]
	scratch_store_b128 off, v[10:13], off offset:352
.LBB53_103:
	s_wait_xcnt 0x0
	s_or_b32 exec_lo, exec_lo, s2
	s_wait_storecnt 0x0
	s_barrier_signal -1
	s_barrier_wait -1
	scratch_load_b128 v[2:5], off, s40
	s_mov_b32 s2, exec_lo
	s_wait_loadcnt 0x0
	ds_store_b128 v6, v[2:5]
	s_wait_dscnt 0x0
	s_barrier_signal -1
	s_barrier_wait -1
	v_cmpx_gt_u32_e32 23, v1
	s_cbranch_execz .LBB53_107
; %bb.104:
	v_dual_mov_b32 v10, v14 :: v_dual_add_nc_u32 v8, -1, v1
	v_mov_b64_e32 v[2:3], 0
	v_mov_b64_e32 v[4:5], 0
	v_add_nc_u32_e32 v9, 0x360, v14
	s_delay_alu instid0(VALU_DEP_4)
	v_or_b32_e32 v10, 8, v10
	s_mov_b32 s3, 0
.LBB53_105:                             ; =>This Inner Loop Header: Depth=1
	scratch_load_b128 v[124:127], v10, off offset:-8
	ds_load_b128 v[128:131], v9
	v_dual_add_nc_u32 v8, 1, v8 :: v_dual_add_nc_u32 v9, 16, v9
	s_wait_xcnt 0x0
	v_add_nc_u32_e32 v10, 16, v10
	s_delay_alu instid0(VALU_DEP_2) | instskip(SKIP_4) | instid1(VALU_DEP_2)
	v_cmp_lt_u32_e32 vcc_lo, 21, v8
	s_or_b32 s3, vcc_lo, s3
	s_wait_loadcnt_dscnt 0x0
	v_mul_f64_e32 v[12:13], v[130:131], v[126:127]
	v_mul_f64_e32 v[126:127], v[128:129], v[126:127]
	v_fma_f64 v[12:13], v[128:129], v[124:125], -v[12:13]
	s_delay_alu instid0(VALU_DEP_2) | instskip(NEXT) | instid1(VALU_DEP_2)
	v_fmac_f64_e32 v[126:127], v[130:131], v[124:125]
	v_add_f64_e32 v[4:5], v[4:5], v[12:13]
	s_delay_alu instid0(VALU_DEP_2)
	v_add_f64_e32 v[2:3], v[2:3], v[126:127]
	s_and_not1_b32 exec_lo, exec_lo, s3
	s_cbranch_execnz .LBB53_105
; %bb.106:
	s_or_b32 exec_lo, exec_lo, s3
	v_mov_b32_e32 v8, 0
	ds_load_b128 v[8:11], v8 offset:368
	s_wait_dscnt 0x0
	v_mul_f64_e32 v[124:125], v[2:3], v[10:11]
	v_mul_f64_e32 v[12:13], v[4:5], v[10:11]
	s_delay_alu instid0(VALU_DEP_2) | instskip(NEXT) | instid1(VALU_DEP_2)
	v_fma_f64 v[10:11], v[4:5], v[8:9], -v[124:125]
	v_fmac_f64_e32 v[12:13], v[2:3], v[8:9]
	scratch_store_b128 off, v[10:13], off offset:368
.LBB53_107:
	s_wait_xcnt 0x0
	s_or_b32 exec_lo, exec_lo, s2
	s_wait_storecnt 0x0
	s_barrier_signal -1
	s_barrier_wait -1
	scratch_load_b128 v[2:5], off, s43
	;; [unrolled: 54-line block ×31, first 2 shown]
	s_mov_b32 s2, exec_lo
	s_wait_loadcnt 0x0
	ds_store_b128 v6, v[2:5]
	s_wait_dscnt 0x0
	s_barrier_signal -1
	s_barrier_wait -1
	v_cmpx_ne_u32_e32 53, v1
	s_cbranch_execz .LBB53_227
; %bb.224:
	v_mov_b32_e32 v8, v14
	v_mov_b64_e32 v[2:3], 0
	v_mov_b64_e32 v[4:5], 0
	s_mov_b32 s3, 0
	s_delay_alu instid0(VALU_DEP_3)
	v_or_b32_e32 v8, 8, v8
.LBB53_225:                             ; =>This Inner Loop Header: Depth=1
	scratch_load_b128 v[10:13], v8, off offset:-8
	ds_load_b128 v[124:127], v6
	v_dual_add_nc_u32 v7, 1, v7 :: v_dual_add_nc_u32 v6, 16, v6
	s_wait_xcnt 0x0
	v_add_nc_u32_e32 v8, 16, v8
	s_delay_alu instid0(VALU_DEP_2) | instskip(SKIP_4) | instid1(VALU_DEP_2)
	v_cmp_lt_u32_e32 vcc_lo, 51, v7
	s_or_b32 s3, vcc_lo, s3
	s_wait_loadcnt_dscnt 0x0
	v_mul_f64_e32 v[14:15], v[126:127], v[12:13]
	v_mul_f64_e32 v[12:13], v[124:125], v[12:13]
	v_fma_f64 v[14:15], v[124:125], v[10:11], -v[14:15]
	s_delay_alu instid0(VALU_DEP_2) | instskip(NEXT) | instid1(VALU_DEP_2)
	v_fmac_f64_e32 v[12:13], v[126:127], v[10:11]
	v_add_f64_e32 v[4:5], v[4:5], v[14:15]
	s_delay_alu instid0(VALU_DEP_2)
	v_add_f64_e32 v[2:3], v[2:3], v[12:13]
	s_and_not1_b32 exec_lo, exec_lo, s3
	s_cbranch_execnz .LBB53_225
; %bb.226:
	s_or_b32 exec_lo, exec_lo, s3
	v_mov_b32_e32 v6, 0
	ds_load_b128 v[6:9], v6 offset:848
	s_wait_dscnt 0x0
	v_mul_f64_e32 v[12:13], v[2:3], v[8:9]
	v_mul_f64_e32 v[10:11], v[4:5], v[8:9]
	s_delay_alu instid0(VALU_DEP_2) | instskip(NEXT) | instid1(VALU_DEP_2)
	v_fma_f64 v[8:9], v[4:5], v[6:7], -v[12:13]
	v_fmac_f64_e32 v[10:11], v[2:3], v[6:7]
	scratch_store_b128 off, v[8:11], off offset:848
.LBB53_227:
	s_wait_xcnt 0x0
	s_or_b32 exec_lo, exec_lo, s2
	s_mov_b32 s3, -1
	s_wait_storecnt 0x0
	s_barrier_signal -1
	s_barrier_wait -1
.LBB53_228:
	s_and_b32 vcc_lo, exec_lo, s3
	s_cbranch_vccz .LBB53_230
; %bb.229:
	s_wait_xcnt 0xf
	v_mov_b32_e32 v2, 0
	s_lshl_b64 s[2:3], s[18:19], 2
	s_delay_alu instid0(SALU_CYCLE_1)
	s_add_nc_u64 s[2:3], s[6:7], s[2:3]
	global_load_b32 v2, v2, s[2:3]
	s_wait_loadcnt 0x0
	v_cmp_ne_u32_e32 vcc_lo, 0, v2
	s_cbranch_vccz .LBB53_231
.LBB53_230:
	s_sendmsg sendmsg(MSG_DEALLOC_VGPRS)
	s_endpgm
.LBB53_231:
	s_wait_xcnt 0xc
	v_lshl_add_u32 v124, v1, 4, 0x360
	s_wait_xcnt 0x0
	s_mov_b32 s2, exec_lo
	v_cmpx_eq_u32_e32 53, v1
	s_cbranch_execz .LBB53_233
; %bb.232:
	scratch_load_b128 v[2:5], off, s27
	v_mov_b32_e32 v6, 0
	s_delay_alu instid0(VALU_DEP_1)
	v_dual_mov_b32 v7, v6 :: v_dual_mov_b32 v8, v6
	v_mov_b32_e32 v9, v6
	scratch_store_b128 off, v[6:9], off offset:832
	s_wait_loadcnt 0x0
	ds_store_b128 v124, v[2:5]
.LBB53_233:
	s_wait_xcnt 0x0
	s_or_b32 exec_lo, exec_lo, s2
	s_wait_storecnt_dscnt 0x0
	s_barrier_signal -1
	s_barrier_wait -1
	s_clause 0x1
	scratch_load_b128 v[4:7], off, off offset:848
	scratch_load_b128 v[8:11], off, off offset:832
	v_mov_b32_e32 v2, 0
	s_mov_b32 s2, exec_lo
	ds_load_b128 v[12:15], v2 offset:1712
	s_wait_loadcnt_dscnt 0x100
	v_mul_f64_e32 v[126:127], v[14:15], v[6:7]
	v_mul_f64_e32 v[6:7], v[12:13], v[6:7]
	s_delay_alu instid0(VALU_DEP_2) | instskip(NEXT) | instid1(VALU_DEP_2)
	v_fma_f64 v[12:13], v[12:13], v[4:5], -v[126:127]
	v_fmac_f64_e32 v[6:7], v[14:15], v[4:5]
	s_delay_alu instid0(VALU_DEP_2) | instskip(NEXT) | instid1(VALU_DEP_2)
	v_add_f64_e32 v[4:5], 0, v[12:13]
	v_add_f64_e32 v[6:7], 0, v[6:7]
	s_wait_loadcnt 0x0
	s_delay_alu instid0(VALU_DEP_2) | instskip(NEXT) | instid1(VALU_DEP_2)
	v_add_f64_e64 v[4:5], v[8:9], -v[4:5]
	v_add_f64_e64 v[6:7], v[10:11], -v[6:7]
	scratch_store_b128 off, v[4:7], off offset:832
	s_wait_xcnt 0x0
	v_cmpx_lt_u32_e32 51, v1
	s_cbranch_execz .LBB53_235
; %bb.234:
	scratch_load_b128 v[6:9], off, s26
	v_dual_mov_b32 v3, v2 :: v_dual_mov_b32 v4, v2
	v_mov_b32_e32 v5, v2
	scratch_store_b128 off, v[2:5], off offset:816
	s_wait_loadcnt 0x0
	ds_store_b128 v124, v[6:9]
.LBB53_235:
	s_wait_xcnt 0x0
	s_or_b32 exec_lo, exec_lo, s2
	s_wait_storecnt_dscnt 0x0
	s_barrier_signal -1
	s_barrier_wait -1
	s_clause 0x2
	scratch_load_b128 v[4:7], off, off offset:832
	scratch_load_b128 v[8:11], off, off offset:848
	;; [unrolled: 1-line block ×3, first 2 shown]
	ds_load_b128 v[126:129], v2 offset:1696
	ds_load_b128 v[130:133], v2 offset:1712
	s_mov_b32 s2, exec_lo
	s_wait_loadcnt_dscnt 0x201
	v_mul_f64_e32 v[2:3], v[128:129], v[6:7]
	v_mul_f64_e32 v[6:7], v[126:127], v[6:7]
	s_wait_loadcnt_dscnt 0x100
	v_mul_f64_e32 v[134:135], v[130:131], v[10:11]
	v_mul_f64_e32 v[10:11], v[132:133], v[10:11]
	s_delay_alu instid0(VALU_DEP_4) | instskip(NEXT) | instid1(VALU_DEP_4)
	v_fma_f64 v[2:3], v[126:127], v[4:5], -v[2:3]
	v_fmac_f64_e32 v[6:7], v[128:129], v[4:5]
	s_delay_alu instid0(VALU_DEP_4) | instskip(NEXT) | instid1(VALU_DEP_4)
	v_fmac_f64_e32 v[134:135], v[132:133], v[8:9]
	v_fma_f64 v[4:5], v[130:131], v[8:9], -v[10:11]
	s_delay_alu instid0(VALU_DEP_4) | instskip(NEXT) | instid1(VALU_DEP_4)
	v_add_f64_e32 v[2:3], 0, v[2:3]
	v_add_f64_e32 v[6:7], 0, v[6:7]
	s_delay_alu instid0(VALU_DEP_2) | instskip(NEXT) | instid1(VALU_DEP_2)
	v_add_f64_e32 v[2:3], v[2:3], v[4:5]
	v_add_f64_e32 v[4:5], v[6:7], v[134:135]
	s_wait_loadcnt 0x0
	s_delay_alu instid0(VALU_DEP_2) | instskip(NEXT) | instid1(VALU_DEP_2)
	v_add_f64_e64 v[2:3], v[12:13], -v[2:3]
	v_add_f64_e64 v[4:5], v[14:15], -v[4:5]
	scratch_store_b128 off, v[2:5], off offset:816
	s_wait_xcnt 0x0
	v_cmpx_lt_u32_e32 50, v1
	s_cbranch_execz .LBB53_237
; %bb.236:
	scratch_load_b128 v[2:5], off, s29
	v_mov_b32_e32 v6, 0
	s_delay_alu instid0(VALU_DEP_1)
	v_dual_mov_b32 v7, v6 :: v_dual_mov_b32 v8, v6
	v_mov_b32_e32 v9, v6
	scratch_store_b128 off, v[6:9], off offset:800
	s_wait_loadcnt 0x0
	ds_store_b128 v124, v[2:5]
.LBB53_237:
	s_wait_xcnt 0x0
	s_or_b32 exec_lo, exec_lo, s2
	s_wait_storecnt_dscnt 0x0
	s_barrier_signal -1
	s_barrier_wait -1
	s_clause 0x3
	scratch_load_b128 v[4:7], off, off offset:816
	scratch_load_b128 v[8:11], off, off offset:832
	;; [unrolled: 1-line block ×4, first 2 shown]
	v_mov_b32_e32 v2, 0
	ds_load_b128 v[130:133], v2 offset:1680
	ds_load_b128 v[134:137], v2 offset:1696
	s_mov_b32 s2, exec_lo
	s_wait_loadcnt_dscnt 0x301
	v_mul_f64_e32 v[138:139], v[132:133], v[6:7]
	v_mul_f64_e32 v[140:141], v[130:131], v[6:7]
	s_wait_loadcnt_dscnt 0x200
	v_mul_f64_e32 v[142:143], v[134:135], v[10:11]
	v_mul_f64_e32 v[10:11], v[136:137], v[10:11]
	s_delay_alu instid0(VALU_DEP_4) | instskip(NEXT) | instid1(VALU_DEP_4)
	v_fma_f64 v[130:131], v[130:131], v[4:5], -v[138:139]
	v_fmac_f64_e32 v[140:141], v[132:133], v[4:5]
	ds_load_b128 v[4:7], v2 offset:1712
	v_fmac_f64_e32 v[142:143], v[136:137], v[8:9]
	v_fma_f64 v[8:9], v[134:135], v[8:9], -v[10:11]
	s_wait_loadcnt_dscnt 0x100
	v_mul_f64_e32 v[132:133], v[4:5], v[14:15]
	v_mul_f64_e32 v[14:15], v[6:7], v[14:15]
	v_add_f64_e32 v[10:11], 0, v[130:131]
	v_add_f64_e32 v[130:131], 0, v[140:141]
	s_delay_alu instid0(VALU_DEP_4) | instskip(NEXT) | instid1(VALU_DEP_4)
	v_fmac_f64_e32 v[132:133], v[6:7], v[12:13]
	v_fma_f64 v[4:5], v[4:5], v[12:13], -v[14:15]
	s_delay_alu instid0(VALU_DEP_4) | instskip(NEXT) | instid1(VALU_DEP_4)
	v_add_f64_e32 v[6:7], v[10:11], v[8:9]
	v_add_f64_e32 v[8:9], v[130:131], v[142:143]
	s_delay_alu instid0(VALU_DEP_2) | instskip(NEXT) | instid1(VALU_DEP_2)
	v_add_f64_e32 v[4:5], v[6:7], v[4:5]
	v_add_f64_e32 v[6:7], v[8:9], v[132:133]
	s_wait_loadcnt 0x0
	s_delay_alu instid0(VALU_DEP_2) | instskip(NEXT) | instid1(VALU_DEP_2)
	v_add_f64_e64 v[4:5], v[126:127], -v[4:5]
	v_add_f64_e64 v[6:7], v[128:129], -v[6:7]
	scratch_store_b128 off, v[4:7], off offset:800
	s_wait_xcnt 0x0
	v_cmpx_lt_u32_e32 49, v1
	s_cbranch_execz .LBB53_239
; %bb.238:
	scratch_load_b128 v[6:9], off, s28
	v_dual_mov_b32 v3, v2 :: v_dual_mov_b32 v4, v2
	v_mov_b32_e32 v5, v2
	scratch_store_b128 off, v[2:5], off offset:784
	s_wait_loadcnt 0x0
	ds_store_b128 v124, v[6:9]
.LBB53_239:
	s_wait_xcnt 0x0
	s_or_b32 exec_lo, exec_lo, s2
	s_wait_storecnt_dscnt 0x0
	s_barrier_signal -1
	s_barrier_wait -1
	s_clause 0x4
	scratch_load_b128 v[4:7], off, off offset:800
	scratch_load_b128 v[8:11], off, off offset:816
	scratch_load_b128 v[12:15], off, off offset:832
	scratch_load_b128 v[126:129], off, off offset:848
	scratch_load_b128 v[130:133], off, off offset:784
	ds_load_b128 v[134:137], v2 offset:1664
	ds_load_b128 v[138:141], v2 offset:1680
	s_mov_b32 s2, exec_lo
	s_wait_loadcnt_dscnt 0x401
	v_mul_f64_e32 v[142:143], v[136:137], v[6:7]
	v_mul_f64_e32 v[144:145], v[134:135], v[6:7]
	s_wait_loadcnt_dscnt 0x300
	v_mul_f64_e32 v[146:147], v[138:139], v[10:11]
	v_mul_f64_e32 v[10:11], v[140:141], v[10:11]
	s_delay_alu instid0(VALU_DEP_4) | instskip(NEXT) | instid1(VALU_DEP_4)
	v_fma_f64 v[142:143], v[134:135], v[4:5], -v[142:143]
	v_fmac_f64_e32 v[144:145], v[136:137], v[4:5]
	ds_load_b128 v[4:7], v2 offset:1696
	ds_load_b128 v[134:137], v2 offset:1712
	v_fmac_f64_e32 v[146:147], v[140:141], v[8:9]
	v_fma_f64 v[8:9], v[138:139], v[8:9], -v[10:11]
	s_wait_loadcnt_dscnt 0x201
	v_mul_f64_e32 v[2:3], v[4:5], v[14:15]
	v_mul_f64_e32 v[14:15], v[6:7], v[14:15]
	s_wait_loadcnt_dscnt 0x100
	v_mul_f64_e32 v[140:141], v[134:135], v[128:129]
	v_mul_f64_e32 v[128:129], v[136:137], v[128:129]
	v_add_f64_e32 v[10:11], 0, v[142:143]
	v_add_f64_e32 v[138:139], 0, v[144:145]
	v_fmac_f64_e32 v[2:3], v[6:7], v[12:13]
	v_fma_f64 v[4:5], v[4:5], v[12:13], -v[14:15]
	v_fmac_f64_e32 v[140:141], v[136:137], v[126:127]
	v_add_f64_e32 v[6:7], v[10:11], v[8:9]
	v_add_f64_e32 v[8:9], v[138:139], v[146:147]
	v_fma_f64 v[10:11], v[134:135], v[126:127], -v[128:129]
	s_delay_alu instid0(VALU_DEP_3) | instskip(NEXT) | instid1(VALU_DEP_3)
	v_add_f64_e32 v[4:5], v[6:7], v[4:5]
	v_add_f64_e32 v[2:3], v[8:9], v[2:3]
	s_delay_alu instid0(VALU_DEP_2) | instskip(NEXT) | instid1(VALU_DEP_2)
	v_add_f64_e32 v[4:5], v[4:5], v[10:11]
	v_add_f64_e32 v[6:7], v[2:3], v[140:141]
	s_wait_loadcnt 0x0
	s_delay_alu instid0(VALU_DEP_2) | instskip(NEXT) | instid1(VALU_DEP_2)
	v_add_f64_e64 v[2:3], v[130:131], -v[4:5]
	v_add_f64_e64 v[4:5], v[132:133], -v[6:7]
	scratch_store_b128 off, v[2:5], off offset:784
	s_wait_xcnt 0x0
	v_cmpx_lt_u32_e32 48, v1
	s_cbranch_execz .LBB53_241
; %bb.240:
	scratch_load_b128 v[2:5], off, s31
	v_mov_b32_e32 v6, 0
	s_delay_alu instid0(VALU_DEP_1)
	v_dual_mov_b32 v7, v6 :: v_dual_mov_b32 v8, v6
	v_mov_b32_e32 v9, v6
	scratch_store_b128 off, v[6:9], off offset:768
	s_wait_loadcnt 0x0
	ds_store_b128 v124, v[2:5]
.LBB53_241:
	s_wait_xcnt 0x0
	s_or_b32 exec_lo, exec_lo, s2
	s_wait_storecnt_dscnt 0x0
	s_barrier_signal -1
	s_barrier_wait -1
	s_clause 0x5
	scratch_load_b128 v[4:7], off, off offset:784
	scratch_load_b128 v[8:11], off, off offset:800
	;; [unrolled: 1-line block ×6, first 2 shown]
	v_mov_b32_e32 v2, 0
	ds_load_b128 v[138:141], v2 offset:1648
	ds_load_b128 v[142:145], v2 offset:1664
	s_mov_b32 s2, exec_lo
	s_wait_loadcnt_dscnt 0x501
	v_mul_f64_e32 v[146:147], v[140:141], v[6:7]
	v_mul_f64_e32 v[148:149], v[138:139], v[6:7]
	s_wait_loadcnt_dscnt 0x400
	v_mul_f64_e32 v[150:151], v[142:143], v[10:11]
	v_mul_f64_e32 v[10:11], v[144:145], v[10:11]
	s_delay_alu instid0(VALU_DEP_4) | instskip(NEXT) | instid1(VALU_DEP_4)
	v_fma_f64 v[146:147], v[138:139], v[4:5], -v[146:147]
	v_fmac_f64_e32 v[148:149], v[140:141], v[4:5]
	ds_load_b128 v[4:7], v2 offset:1680
	ds_load_b128 v[138:141], v2 offset:1696
	v_fmac_f64_e32 v[150:151], v[144:145], v[8:9]
	v_fma_f64 v[8:9], v[142:143], v[8:9], -v[10:11]
	s_wait_loadcnt_dscnt 0x301
	v_mul_f64_e32 v[152:153], v[4:5], v[14:15]
	v_mul_f64_e32 v[14:15], v[6:7], v[14:15]
	s_wait_loadcnt_dscnt 0x200
	v_mul_f64_e32 v[144:145], v[138:139], v[128:129]
	v_mul_f64_e32 v[128:129], v[140:141], v[128:129]
	v_add_f64_e32 v[10:11], 0, v[146:147]
	v_add_f64_e32 v[142:143], 0, v[148:149]
	v_fmac_f64_e32 v[152:153], v[6:7], v[12:13]
	v_fma_f64 v[12:13], v[4:5], v[12:13], -v[14:15]
	ds_load_b128 v[4:7], v2 offset:1712
	v_fmac_f64_e32 v[144:145], v[140:141], v[126:127]
	v_fma_f64 v[126:127], v[138:139], v[126:127], -v[128:129]
	v_add_f64_e32 v[8:9], v[10:11], v[8:9]
	v_add_f64_e32 v[10:11], v[142:143], v[150:151]
	s_wait_loadcnt_dscnt 0x100
	v_mul_f64_e32 v[14:15], v[4:5], v[132:133]
	v_mul_f64_e32 v[132:133], v[6:7], v[132:133]
	s_delay_alu instid0(VALU_DEP_4) | instskip(NEXT) | instid1(VALU_DEP_4)
	v_add_f64_e32 v[8:9], v[8:9], v[12:13]
	v_add_f64_e32 v[10:11], v[10:11], v[152:153]
	s_delay_alu instid0(VALU_DEP_4) | instskip(NEXT) | instid1(VALU_DEP_4)
	v_fmac_f64_e32 v[14:15], v[6:7], v[130:131]
	v_fma_f64 v[4:5], v[4:5], v[130:131], -v[132:133]
	s_delay_alu instid0(VALU_DEP_4) | instskip(NEXT) | instid1(VALU_DEP_4)
	v_add_f64_e32 v[6:7], v[8:9], v[126:127]
	v_add_f64_e32 v[8:9], v[10:11], v[144:145]
	s_delay_alu instid0(VALU_DEP_2) | instskip(NEXT) | instid1(VALU_DEP_2)
	v_add_f64_e32 v[4:5], v[6:7], v[4:5]
	v_add_f64_e32 v[6:7], v[8:9], v[14:15]
	s_wait_loadcnt 0x0
	s_delay_alu instid0(VALU_DEP_2) | instskip(NEXT) | instid1(VALU_DEP_2)
	v_add_f64_e64 v[4:5], v[134:135], -v[4:5]
	v_add_f64_e64 v[6:7], v[136:137], -v[6:7]
	scratch_store_b128 off, v[4:7], off offset:768
	s_wait_xcnt 0x0
	v_cmpx_lt_u32_e32 47, v1
	s_cbranch_execz .LBB53_243
; %bb.242:
	scratch_load_b128 v[6:9], off, s30
	v_dual_mov_b32 v3, v2 :: v_dual_mov_b32 v4, v2
	v_mov_b32_e32 v5, v2
	scratch_store_b128 off, v[2:5], off offset:752
	s_wait_loadcnt 0x0
	ds_store_b128 v124, v[6:9]
.LBB53_243:
	s_wait_xcnt 0x0
	s_or_b32 exec_lo, exec_lo, s2
	s_wait_storecnt_dscnt 0x0
	s_barrier_signal -1
	s_barrier_wait -1
	s_clause 0x6
	scratch_load_b128 v[4:7], off, off offset:768
	scratch_load_b128 v[8:11], off, off offset:784
	;; [unrolled: 1-line block ×7, first 2 shown]
	ds_load_b128 v[142:145], v2 offset:1632
	ds_load_b128 v[146:149], v2 offset:1648
	s_mov_b32 s2, exec_lo
	s_wait_loadcnt_dscnt 0x601
	v_mul_f64_e32 v[150:151], v[144:145], v[6:7]
	v_mul_f64_e32 v[152:153], v[142:143], v[6:7]
	s_wait_loadcnt_dscnt 0x500
	v_mul_f64_e32 v[154:155], v[146:147], v[10:11]
	v_mul_f64_e32 v[10:11], v[148:149], v[10:11]
	s_delay_alu instid0(VALU_DEP_4) | instskip(NEXT) | instid1(VALU_DEP_4)
	v_fma_f64 v[150:151], v[142:143], v[4:5], -v[150:151]
	v_fmac_f64_e32 v[152:153], v[144:145], v[4:5]
	ds_load_b128 v[4:7], v2 offset:1664
	ds_load_b128 v[142:145], v2 offset:1680
	v_fmac_f64_e32 v[154:155], v[148:149], v[8:9]
	v_fma_f64 v[8:9], v[146:147], v[8:9], -v[10:11]
	s_wait_loadcnt_dscnt 0x401
	v_mul_f64_e32 v[156:157], v[4:5], v[14:15]
	v_mul_f64_e32 v[14:15], v[6:7], v[14:15]
	s_wait_loadcnt_dscnt 0x300
	v_mul_f64_e32 v[148:149], v[142:143], v[128:129]
	v_mul_f64_e32 v[128:129], v[144:145], v[128:129]
	v_add_f64_e32 v[10:11], 0, v[150:151]
	v_add_f64_e32 v[146:147], 0, v[152:153]
	v_fmac_f64_e32 v[156:157], v[6:7], v[12:13]
	v_fma_f64 v[12:13], v[4:5], v[12:13], -v[14:15]
	v_fmac_f64_e32 v[148:149], v[144:145], v[126:127]
	v_fma_f64 v[126:127], v[142:143], v[126:127], -v[128:129]
	v_add_f64_e32 v[14:15], v[10:11], v[8:9]
	v_add_f64_e32 v[146:147], v[146:147], v[154:155]
	ds_load_b128 v[4:7], v2 offset:1696
	ds_load_b128 v[8:11], v2 offset:1712
	s_wait_loadcnt_dscnt 0x201
	v_mul_f64_e32 v[2:3], v[4:5], v[132:133]
	v_mul_f64_e32 v[132:133], v[6:7], v[132:133]
	s_wait_loadcnt_dscnt 0x100
	v_mul_f64_e32 v[128:129], v[8:9], v[136:137]
	v_mul_f64_e32 v[136:137], v[10:11], v[136:137]
	v_add_f64_e32 v[12:13], v[14:15], v[12:13]
	v_add_f64_e32 v[14:15], v[146:147], v[156:157]
	v_fmac_f64_e32 v[2:3], v[6:7], v[130:131]
	v_fma_f64 v[4:5], v[4:5], v[130:131], -v[132:133]
	v_fmac_f64_e32 v[128:129], v[10:11], v[134:135]
	v_fma_f64 v[8:9], v[8:9], v[134:135], -v[136:137]
	v_add_f64_e32 v[6:7], v[12:13], v[126:127]
	v_add_f64_e32 v[12:13], v[14:15], v[148:149]
	s_delay_alu instid0(VALU_DEP_2) | instskip(NEXT) | instid1(VALU_DEP_2)
	v_add_f64_e32 v[4:5], v[6:7], v[4:5]
	v_add_f64_e32 v[2:3], v[12:13], v[2:3]
	s_delay_alu instid0(VALU_DEP_2) | instskip(NEXT) | instid1(VALU_DEP_2)
	v_add_f64_e32 v[4:5], v[4:5], v[8:9]
	v_add_f64_e32 v[6:7], v[2:3], v[128:129]
	s_wait_loadcnt 0x0
	s_delay_alu instid0(VALU_DEP_2) | instskip(NEXT) | instid1(VALU_DEP_2)
	v_add_f64_e64 v[2:3], v[138:139], -v[4:5]
	v_add_f64_e64 v[4:5], v[140:141], -v[6:7]
	scratch_store_b128 off, v[2:5], off offset:752
	s_wait_xcnt 0x0
	v_cmpx_lt_u32_e32 46, v1
	s_cbranch_execz .LBB53_245
; %bb.244:
	scratch_load_b128 v[2:5], off, s9
	v_mov_b32_e32 v6, 0
	s_delay_alu instid0(VALU_DEP_1)
	v_dual_mov_b32 v7, v6 :: v_dual_mov_b32 v8, v6
	v_mov_b32_e32 v9, v6
	scratch_store_b128 off, v[6:9], off offset:736
	s_wait_loadcnt 0x0
	ds_store_b128 v124, v[2:5]
.LBB53_245:
	s_wait_xcnt 0x0
	s_or_b32 exec_lo, exec_lo, s2
	s_wait_storecnt_dscnt 0x0
	s_barrier_signal -1
	s_barrier_wait -1
	s_clause 0x7
	scratch_load_b128 v[4:7], off, off offset:752
	scratch_load_b128 v[8:11], off, off offset:768
	;; [unrolled: 1-line block ×8, first 2 shown]
	v_mov_b32_e32 v2, 0
	ds_load_b128 v[146:149], v2 offset:1616
	ds_load_b128 v[150:153], v2 offset:1632
	s_mov_b32 s2, exec_lo
	s_wait_loadcnt_dscnt 0x701
	v_mul_f64_e32 v[154:155], v[148:149], v[6:7]
	v_mul_f64_e32 v[156:157], v[146:147], v[6:7]
	s_wait_loadcnt_dscnt 0x600
	v_mul_f64_e32 v[158:159], v[150:151], v[10:11]
	v_mul_f64_e32 v[10:11], v[152:153], v[10:11]
	s_delay_alu instid0(VALU_DEP_4) | instskip(NEXT) | instid1(VALU_DEP_4)
	v_fma_f64 v[154:155], v[146:147], v[4:5], -v[154:155]
	v_fmac_f64_e32 v[156:157], v[148:149], v[4:5]
	ds_load_b128 v[4:7], v2 offset:1648
	ds_load_b128 v[146:149], v2 offset:1664
	v_fmac_f64_e32 v[158:159], v[152:153], v[8:9]
	v_fma_f64 v[8:9], v[150:151], v[8:9], -v[10:11]
	s_wait_loadcnt_dscnt 0x501
	v_mul_f64_e32 v[160:161], v[4:5], v[14:15]
	v_mul_f64_e32 v[14:15], v[6:7], v[14:15]
	s_wait_loadcnt_dscnt 0x400
	v_mul_f64_e32 v[152:153], v[146:147], v[128:129]
	v_mul_f64_e32 v[128:129], v[148:149], v[128:129]
	v_add_f64_e32 v[10:11], 0, v[154:155]
	v_add_f64_e32 v[150:151], 0, v[156:157]
	v_fmac_f64_e32 v[160:161], v[6:7], v[12:13]
	v_fma_f64 v[12:13], v[4:5], v[12:13], -v[14:15]
	v_fmac_f64_e32 v[152:153], v[148:149], v[126:127]
	v_fma_f64 v[126:127], v[146:147], v[126:127], -v[128:129]
	v_add_f64_e32 v[14:15], v[10:11], v[8:9]
	v_add_f64_e32 v[150:151], v[150:151], v[158:159]
	ds_load_b128 v[4:7], v2 offset:1680
	ds_load_b128 v[8:11], v2 offset:1696
	s_wait_loadcnt_dscnt 0x301
	v_mul_f64_e32 v[154:155], v[4:5], v[132:133]
	v_mul_f64_e32 v[132:133], v[6:7], v[132:133]
	s_wait_loadcnt_dscnt 0x200
	v_mul_f64_e32 v[128:129], v[8:9], v[136:137]
	v_mul_f64_e32 v[136:137], v[10:11], v[136:137]
	v_add_f64_e32 v[12:13], v[14:15], v[12:13]
	v_add_f64_e32 v[14:15], v[150:151], v[160:161]
	v_fmac_f64_e32 v[154:155], v[6:7], v[130:131]
	v_fma_f64 v[130:131], v[4:5], v[130:131], -v[132:133]
	ds_load_b128 v[4:7], v2 offset:1712
	v_fmac_f64_e32 v[128:129], v[10:11], v[134:135]
	v_fma_f64 v[8:9], v[8:9], v[134:135], -v[136:137]
	v_add_f64_e32 v[12:13], v[12:13], v[126:127]
	v_add_f64_e32 v[14:15], v[14:15], v[152:153]
	s_wait_loadcnt_dscnt 0x100
	v_mul_f64_e32 v[126:127], v[4:5], v[140:141]
	v_mul_f64_e32 v[132:133], v[6:7], v[140:141]
	s_delay_alu instid0(VALU_DEP_4) | instskip(NEXT) | instid1(VALU_DEP_4)
	v_add_f64_e32 v[10:11], v[12:13], v[130:131]
	v_add_f64_e32 v[12:13], v[14:15], v[154:155]
	s_delay_alu instid0(VALU_DEP_4) | instskip(NEXT) | instid1(VALU_DEP_4)
	v_fmac_f64_e32 v[126:127], v[6:7], v[138:139]
	v_fma_f64 v[4:5], v[4:5], v[138:139], -v[132:133]
	s_delay_alu instid0(VALU_DEP_4) | instskip(NEXT) | instid1(VALU_DEP_4)
	v_add_f64_e32 v[6:7], v[10:11], v[8:9]
	v_add_f64_e32 v[8:9], v[12:13], v[128:129]
	s_delay_alu instid0(VALU_DEP_2) | instskip(NEXT) | instid1(VALU_DEP_2)
	v_add_f64_e32 v[4:5], v[6:7], v[4:5]
	v_add_f64_e32 v[6:7], v[8:9], v[126:127]
	s_wait_loadcnt 0x0
	s_delay_alu instid0(VALU_DEP_2) | instskip(NEXT) | instid1(VALU_DEP_2)
	v_add_f64_e64 v[4:5], v[142:143], -v[4:5]
	v_add_f64_e64 v[6:7], v[144:145], -v[6:7]
	scratch_store_b128 off, v[4:7], off offset:736
	s_wait_xcnt 0x0
	v_cmpx_lt_u32_e32 45, v1
	s_cbranch_execz .LBB53_247
; %bb.246:
	scratch_load_b128 v[6:9], off, s8
	v_dual_mov_b32 v3, v2 :: v_dual_mov_b32 v4, v2
	v_mov_b32_e32 v5, v2
	scratch_store_b128 off, v[2:5], off offset:720
	s_wait_loadcnt 0x0
	ds_store_b128 v124, v[6:9]
.LBB53_247:
	s_wait_xcnt 0x0
	s_or_b32 exec_lo, exec_lo, s2
	s_wait_storecnt_dscnt 0x0
	s_barrier_signal -1
	s_barrier_wait -1
	s_clause 0x7
	scratch_load_b128 v[4:7], off, off offset:736
	scratch_load_b128 v[8:11], off, off offset:752
	;; [unrolled: 1-line block ×8, first 2 shown]
	ds_load_b128 v[146:149], v2 offset:1600
	ds_load_b128 v[150:153], v2 offset:1616
	scratch_load_b128 v[154:157], off, off offset:720
	s_mov_b32 s2, exec_lo
	s_wait_loadcnt_dscnt 0x801
	v_mul_f64_e32 v[158:159], v[148:149], v[6:7]
	v_mul_f64_e32 v[160:161], v[146:147], v[6:7]
	s_wait_loadcnt_dscnt 0x700
	v_mul_f64_e32 v[162:163], v[150:151], v[10:11]
	v_mul_f64_e32 v[10:11], v[152:153], v[10:11]
	s_delay_alu instid0(VALU_DEP_4) | instskip(NEXT) | instid1(VALU_DEP_4)
	v_fma_f64 v[158:159], v[146:147], v[4:5], -v[158:159]
	v_fmac_f64_e32 v[160:161], v[148:149], v[4:5]
	ds_load_b128 v[4:7], v2 offset:1632
	ds_load_b128 v[146:149], v2 offset:1648
	v_fmac_f64_e32 v[162:163], v[152:153], v[8:9]
	v_fma_f64 v[8:9], v[150:151], v[8:9], -v[10:11]
	s_wait_loadcnt_dscnt 0x601
	v_mul_f64_e32 v[164:165], v[4:5], v[14:15]
	v_mul_f64_e32 v[14:15], v[6:7], v[14:15]
	s_wait_loadcnt_dscnt 0x500
	v_mul_f64_e32 v[152:153], v[146:147], v[128:129]
	v_mul_f64_e32 v[128:129], v[148:149], v[128:129]
	v_add_f64_e32 v[10:11], 0, v[158:159]
	v_add_f64_e32 v[150:151], 0, v[160:161]
	v_fmac_f64_e32 v[164:165], v[6:7], v[12:13]
	v_fma_f64 v[12:13], v[4:5], v[12:13], -v[14:15]
	v_fmac_f64_e32 v[152:153], v[148:149], v[126:127]
	v_fma_f64 v[126:127], v[146:147], v[126:127], -v[128:129]
	v_add_f64_e32 v[14:15], v[10:11], v[8:9]
	v_add_f64_e32 v[150:151], v[150:151], v[162:163]
	ds_load_b128 v[4:7], v2 offset:1664
	ds_load_b128 v[8:11], v2 offset:1680
	s_wait_loadcnt_dscnt 0x401
	v_mul_f64_e32 v[158:159], v[4:5], v[132:133]
	v_mul_f64_e32 v[132:133], v[6:7], v[132:133]
	s_wait_loadcnt_dscnt 0x300
	v_mul_f64_e32 v[128:129], v[8:9], v[136:137]
	v_mul_f64_e32 v[136:137], v[10:11], v[136:137]
	v_add_f64_e32 v[12:13], v[14:15], v[12:13]
	v_add_f64_e32 v[14:15], v[150:151], v[164:165]
	v_fmac_f64_e32 v[158:159], v[6:7], v[130:131]
	v_fma_f64 v[130:131], v[4:5], v[130:131], -v[132:133]
	v_fmac_f64_e32 v[128:129], v[10:11], v[134:135]
	v_fma_f64 v[8:9], v[8:9], v[134:135], -v[136:137]
	v_add_f64_e32 v[126:127], v[12:13], v[126:127]
	v_add_f64_e32 v[132:133], v[14:15], v[152:153]
	ds_load_b128 v[4:7], v2 offset:1696
	ds_load_b128 v[12:15], v2 offset:1712
	s_wait_loadcnt_dscnt 0x201
	v_mul_f64_e32 v[2:3], v[4:5], v[140:141]
	v_mul_f64_e32 v[140:141], v[6:7], v[140:141]
	v_add_f64_e32 v[10:11], v[126:127], v[130:131]
	v_add_f64_e32 v[126:127], v[132:133], v[158:159]
	s_wait_loadcnt_dscnt 0x100
	v_mul_f64_e32 v[130:131], v[12:13], v[144:145]
	v_mul_f64_e32 v[132:133], v[14:15], v[144:145]
	v_fmac_f64_e32 v[2:3], v[6:7], v[138:139]
	v_fma_f64 v[4:5], v[4:5], v[138:139], -v[140:141]
	v_add_f64_e32 v[6:7], v[10:11], v[8:9]
	v_add_f64_e32 v[8:9], v[126:127], v[128:129]
	v_fmac_f64_e32 v[130:131], v[14:15], v[142:143]
	v_fma_f64 v[10:11], v[12:13], v[142:143], -v[132:133]
	s_delay_alu instid0(VALU_DEP_4) | instskip(NEXT) | instid1(VALU_DEP_4)
	v_add_f64_e32 v[4:5], v[6:7], v[4:5]
	v_add_f64_e32 v[2:3], v[8:9], v[2:3]
	s_delay_alu instid0(VALU_DEP_2) | instskip(NEXT) | instid1(VALU_DEP_2)
	v_add_f64_e32 v[4:5], v[4:5], v[10:11]
	v_add_f64_e32 v[6:7], v[2:3], v[130:131]
	s_wait_loadcnt 0x0
	s_delay_alu instid0(VALU_DEP_2) | instskip(NEXT) | instid1(VALU_DEP_2)
	v_add_f64_e64 v[2:3], v[154:155], -v[4:5]
	v_add_f64_e64 v[4:5], v[156:157], -v[6:7]
	scratch_store_b128 off, v[2:5], off offset:720
	s_wait_xcnt 0x0
	v_cmpx_lt_u32_e32 44, v1
	s_cbranch_execz .LBB53_249
; %bb.248:
	scratch_load_b128 v[2:5], off, s11
	v_mov_b32_e32 v6, 0
	s_delay_alu instid0(VALU_DEP_1)
	v_dual_mov_b32 v7, v6 :: v_dual_mov_b32 v8, v6
	v_mov_b32_e32 v9, v6
	scratch_store_b128 off, v[6:9], off offset:704
	s_wait_loadcnt 0x0
	ds_store_b128 v124, v[2:5]
.LBB53_249:
	s_wait_xcnt 0x0
	s_or_b32 exec_lo, exec_lo, s2
	s_wait_storecnt_dscnt 0x0
	s_barrier_signal -1
	s_barrier_wait -1
	s_clause 0x8
	scratch_load_b128 v[4:7], off, off offset:720
	scratch_load_b128 v[8:11], off, off offset:736
	;; [unrolled: 1-line block ×9, first 2 shown]
	v_mov_b32_e32 v2, 0
	scratch_load_b128 v[154:157], off, off offset:704
	s_mov_b32 s2, exec_lo
	ds_load_b128 v[150:153], v2 offset:1584
	ds_load_b128 v[158:161], v2 offset:1600
	s_wait_loadcnt_dscnt 0x901
	v_mul_f64_e32 v[162:163], v[152:153], v[6:7]
	v_mul_f64_e32 v[164:165], v[150:151], v[6:7]
	s_wait_loadcnt_dscnt 0x800
	v_mul_f64_e32 v[166:167], v[158:159], v[10:11]
	v_mul_f64_e32 v[10:11], v[160:161], v[10:11]
	s_delay_alu instid0(VALU_DEP_4) | instskip(NEXT) | instid1(VALU_DEP_4)
	v_fma_f64 v[162:163], v[150:151], v[4:5], -v[162:163]
	v_fmac_f64_e32 v[164:165], v[152:153], v[4:5]
	ds_load_b128 v[4:7], v2 offset:1616
	ds_load_b128 v[150:153], v2 offset:1632
	v_fmac_f64_e32 v[166:167], v[160:161], v[8:9]
	v_fma_f64 v[8:9], v[158:159], v[8:9], -v[10:11]
	s_wait_loadcnt_dscnt 0x701
	v_mul_f64_e32 v[168:169], v[4:5], v[14:15]
	v_mul_f64_e32 v[14:15], v[6:7], v[14:15]
	s_wait_loadcnt_dscnt 0x600
	v_mul_f64_e32 v[160:161], v[150:151], v[128:129]
	v_mul_f64_e32 v[128:129], v[152:153], v[128:129]
	v_add_f64_e32 v[10:11], 0, v[162:163]
	v_add_f64_e32 v[158:159], 0, v[164:165]
	v_fmac_f64_e32 v[168:169], v[6:7], v[12:13]
	v_fma_f64 v[12:13], v[4:5], v[12:13], -v[14:15]
	v_fmac_f64_e32 v[160:161], v[152:153], v[126:127]
	v_fma_f64 v[126:127], v[150:151], v[126:127], -v[128:129]
	v_add_f64_e32 v[14:15], v[10:11], v[8:9]
	v_add_f64_e32 v[158:159], v[158:159], v[166:167]
	ds_load_b128 v[4:7], v2 offset:1648
	ds_load_b128 v[8:11], v2 offset:1664
	s_wait_loadcnt_dscnt 0x501
	v_mul_f64_e32 v[162:163], v[4:5], v[132:133]
	v_mul_f64_e32 v[132:133], v[6:7], v[132:133]
	s_wait_loadcnt_dscnt 0x400
	v_mul_f64_e32 v[128:129], v[8:9], v[136:137]
	v_mul_f64_e32 v[136:137], v[10:11], v[136:137]
	v_add_f64_e32 v[12:13], v[14:15], v[12:13]
	v_add_f64_e32 v[14:15], v[158:159], v[168:169]
	v_fmac_f64_e32 v[162:163], v[6:7], v[130:131]
	v_fma_f64 v[130:131], v[4:5], v[130:131], -v[132:133]
	v_fmac_f64_e32 v[128:129], v[10:11], v[134:135]
	v_fma_f64 v[8:9], v[8:9], v[134:135], -v[136:137]
	v_add_f64_e32 v[126:127], v[12:13], v[126:127]
	v_add_f64_e32 v[132:133], v[14:15], v[160:161]
	ds_load_b128 v[4:7], v2 offset:1680
	ds_load_b128 v[12:15], v2 offset:1696
	s_wait_loadcnt_dscnt 0x301
	v_mul_f64_e32 v[150:151], v[4:5], v[140:141]
	v_mul_f64_e32 v[140:141], v[6:7], v[140:141]
	v_add_f64_e32 v[10:11], v[126:127], v[130:131]
	v_add_f64_e32 v[126:127], v[132:133], v[162:163]
	s_wait_loadcnt_dscnt 0x200
	v_mul_f64_e32 v[130:131], v[12:13], v[144:145]
	v_mul_f64_e32 v[132:133], v[14:15], v[144:145]
	v_fmac_f64_e32 v[150:151], v[6:7], v[138:139]
	v_fma_f64 v[134:135], v[4:5], v[138:139], -v[140:141]
	ds_load_b128 v[4:7], v2 offset:1712
	v_add_f64_e32 v[8:9], v[10:11], v[8:9]
	v_add_f64_e32 v[10:11], v[126:127], v[128:129]
	v_fmac_f64_e32 v[130:131], v[14:15], v[142:143]
	v_fma_f64 v[12:13], v[12:13], v[142:143], -v[132:133]
	s_wait_loadcnt_dscnt 0x100
	v_mul_f64_e32 v[126:127], v[4:5], v[148:149]
	v_mul_f64_e32 v[128:129], v[6:7], v[148:149]
	v_add_f64_e32 v[8:9], v[8:9], v[134:135]
	v_add_f64_e32 v[10:11], v[10:11], v[150:151]
	s_delay_alu instid0(VALU_DEP_4) | instskip(NEXT) | instid1(VALU_DEP_4)
	v_fmac_f64_e32 v[126:127], v[6:7], v[146:147]
	v_fma_f64 v[4:5], v[4:5], v[146:147], -v[128:129]
	s_delay_alu instid0(VALU_DEP_4) | instskip(NEXT) | instid1(VALU_DEP_4)
	v_add_f64_e32 v[6:7], v[8:9], v[12:13]
	v_add_f64_e32 v[8:9], v[10:11], v[130:131]
	s_delay_alu instid0(VALU_DEP_2) | instskip(NEXT) | instid1(VALU_DEP_2)
	v_add_f64_e32 v[4:5], v[6:7], v[4:5]
	v_add_f64_e32 v[6:7], v[8:9], v[126:127]
	s_wait_loadcnt 0x0
	s_delay_alu instid0(VALU_DEP_2) | instskip(NEXT) | instid1(VALU_DEP_2)
	v_add_f64_e64 v[4:5], v[154:155], -v[4:5]
	v_add_f64_e64 v[6:7], v[156:157], -v[6:7]
	scratch_store_b128 off, v[4:7], off offset:704
	s_wait_xcnt 0x0
	v_cmpx_lt_u32_e32 43, v1
	s_cbranch_execz .LBB53_251
; %bb.250:
	scratch_load_b128 v[6:9], off, s10
	v_dual_mov_b32 v3, v2 :: v_dual_mov_b32 v4, v2
	v_mov_b32_e32 v5, v2
	scratch_store_b128 off, v[2:5], off offset:688
	s_wait_loadcnt 0x0
	ds_store_b128 v124, v[6:9]
.LBB53_251:
	s_wait_xcnt 0x0
	s_or_b32 exec_lo, exec_lo, s2
	s_wait_storecnt_dscnt 0x0
	s_barrier_signal -1
	s_barrier_wait -1
	s_clause 0x9
	scratch_load_b128 v[4:7], off, off offset:704
	scratch_load_b128 v[8:11], off, off offset:720
	;; [unrolled: 1-line block ×10, first 2 shown]
	ds_load_b128 v[154:157], v2 offset:1568
	ds_load_b128 v[158:161], v2 offset:1584
	scratch_load_b128 v[162:165], off, off offset:688
	s_mov_b32 s2, exec_lo
	s_wait_loadcnt_dscnt 0xa01
	v_mul_f64_e32 v[166:167], v[156:157], v[6:7]
	v_mul_f64_e32 v[168:169], v[154:155], v[6:7]
	s_wait_loadcnt_dscnt 0x900
	v_mul_f64_e32 v[170:171], v[158:159], v[10:11]
	v_mul_f64_e32 v[10:11], v[160:161], v[10:11]
	s_delay_alu instid0(VALU_DEP_4) | instskip(NEXT) | instid1(VALU_DEP_4)
	v_fma_f64 v[166:167], v[154:155], v[4:5], -v[166:167]
	v_fmac_f64_e32 v[168:169], v[156:157], v[4:5]
	ds_load_b128 v[4:7], v2 offset:1600
	ds_load_b128 v[154:157], v2 offset:1616
	v_fmac_f64_e32 v[170:171], v[160:161], v[8:9]
	v_fma_f64 v[8:9], v[158:159], v[8:9], -v[10:11]
	s_wait_loadcnt_dscnt 0x801
	v_mul_f64_e32 v[172:173], v[4:5], v[14:15]
	v_mul_f64_e32 v[14:15], v[6:7], v[14:15]
	s_wait_loadcnt_dscnt 0x700
	v_mul_f64_e32 v[160:161], v[154:155], v[128:129]
	v_mul_f64_e32 v[128:129], v[156:157], v[128:129]
	v_add_f64_e32 v[10:11], 0, v[166:167]
	v_add_f64_e32 v[158:159], 0, v[168:169]
	v_fmac_f64_e32 v[172:173], v[6:7], v[12:13]
	v_fma_f64 v[12:13], v[4:5], v[12:13], -v[14:15]
	v_fmac_f64_e32 v[160:161], v[156:157], v[126:127]
	v_fma_f64 v[126:127], v[154:155], v[126:127], -v[128:129]
	v_add_f64_e32 v[14:15], v[10:11], v[8:9]
	v_add_f64_e32 v[158:159], v[158:159], v[170:171]
	ds_load_b128 v[4:7], v2 offset:1632
	ds_load_b128 v[8:11], v2 offset:1648
	s_wait_loadcnt_dscnt 0x601
	v_mul_f64_e32 v[166:167], v[4:5], v[132:133]
	v_mul_f64_e32 v[132:133], v[6:7], v[132:133]
	s_wait_loadcnt_dscnt 0x500
	v_mul_f64_e32 v[128:129], v[8:9], v[136:137]
	v_mul_f64_e32 v[136:137], v[10:11], v[136:137]
	v_add_f64_e32 v[12:13], v[14:15], v[12:13]
	v_add_f64_e32 v[14:15], v[158:159], v[172:173]
	v_fmac_f64_e32 v[166:167], v[6:7], v[130:131]
	v_fma_f64 v[130:131], v[4:5], v[130:131], -v[132:133]
	v_fmac_f64_e32 v[128:129], v[10:11], v[134:135]
	v_fma_f64 v[8:9], v[8:9], v[134:135], -v[136:137]
	v_add_f64_e32 v[126:127], v[12:13], v[126:127]
	v_add_f64_e32 v[132:133], v[14:15], v[160:161]
	ds_load_b128 v[4:7], v2 offset:1664
	ds_load_b128 v[12:15], v2 offset:1680
	s_wait_loadcnt_dscnt 0x401
	v_mul_f64_e32 v[154:155], v[4:5], v[140:141]
	v_mul_f64_e32 v[140:141], v[6:7], v[140:141]
	v_add_f64_e32 v[10:11], v[126:127], v[130:131]
	v_add_f64_e32 v[126:127], v[132:133], v[166:167]
	s_wait_loadcnt_dscnt 0x300
	v_mul_f64_e32 v[130:131], v[12:13], v[144:145]
	v_mul_f64_e32 v[132:133], v[14:15], v[144:145]
	v_fmac_f64_e32 v[154:155], v[6:7], v[138:139]
	v_fma_f64 v[134:135], v[4:5], v[138:139], -v[140:141]
	v_add_f64_e32 v[136:137], v[10:11], v[8:9]
	v_add_f64_e32 v[126:127], v[126:127], v[128:129]
	ds_load_b128 v[4:7], v2 offset:1696
	ds_load_b128 v[8:11], v2 offset:1712
	v_fmac_f64_e32 v[130:131], v[14:15], v[142:143]
	v_fma_f64 v[12:13], v[12:13], v[142:143], -v[132:133]
	s_wait_loadcnt_dscnt 0x201
	v_mul_f64_e32 v[2:3], v[4:5], v[148:149]
	v_mul_f64_e32 v[128:129], v[6:7], v[148:149]
	s_wait_loadcnt_dscnt 0x100
	v_mul_f64_e32 v[132:133], v[8:9], v[152:153]
	v_add_f64_e32 v[14:15], v[136:137], v[134:135]
	v_add_f64_e32 v[126:127], v[126:127], v[154:155]
	v_mul_f64_e32 v[134:135], v[10:11], v[152:153]
	v_fmac_f64_e32 v[2:3], v[6:7], v[146:147]
	v_fma_f64 v[4:5], v[4:5], v[146:147], -v[128:129]
	v_fmac_f64_e32 v[132:133], v[10:11], v[150:151]
	v_add_f64_e32 v[6:7], v[14:15], v[12:13]
	v_add_f64_e32 v[12:13], v[126:127], v[130:131]
	v_fma_f64 v[8:9], v[8:9], v[150:151], -v[134:135]
	s_delay_alu instid0(VALU_DEP_3) | instskip(NEXT) | instid1(VALU_DEP_3)
	v_add_f64_e32 v[4:5], v[6:7], v[4:5]
	v_add_f64_e32 v[2:3], v[12:13], v[2:3]
	s_delay_alu instid0(VALU_DEP_2) | instskip(NEXT) | instid1(VALU_DEP_2)
	v_add_f64_e32 v[4:5], v[4:5], v[8:9]
	v_add_f64_e32 v[6:7], v[2:3], v[132:133]
	s_wait_loadcnt 0x0
	s_delay_alu instid0(VALU_DEP_2) | instskip(NEXT) | instid1(VALU_DEP_2)
	v_add_f64_e64 v[2:3], v[162:163], -v[4:5]
	v_add_f64_e64 v[4:5], v[164:165], -v[6:7]
	scratch_store_b128 off, v[2:5], off offset:688
	s_wait_xcnt 0x0
	v_cmpx_lt_u32_e32 42, v1
	s_cbranch_execz .LBB53_253
; %bb.252:
	scratch_load_b128 v[2:5], off, s13
	v_mov_b32_e32 v6, 0
	s_delay_alu instid0(VALU_DEP_1)
	v_dual_mov_b32 v7, v6 :: v_dual_mov_b32 v8, v6
	v_mov_b32_e32 v9, v6
	scratch_store_b128 off, v[6:9], off offset:672
	s_wait_loadcnt 0x0
	ds_store_b128 v124, v[2:5]
.LBB53_253:
	s_wait_xcnt 0x0
	s_or_b32 exec_lo, exec_lo, s2
	s_wait_storecnt_dscnt 0x0
	s_barrier_signal -1
	s_barrier_wait -1
	s_clause 0x9
	scratch_load_b128 v[4:7], off, off offset:688
	scratch_load_b128 v[8:11], off, off offset:704
	;; [unrolled: 1-line block ×10, first 2 shown]
	v_mov_b32_e32 v2, 0
	s_mov_b32 s2, exec_lo
	ds_load_b128 v[154:157], v2 offset:1552
	s_clause 0x1
	scratch_load_b128 v[158:161], off, off offset:848
	scratch_load_b128 v[162:165], off, off offset:672
	s_wait_loadcnt_dscnt 0xb00
	v_mul_f64_e32 v[170:171], v[156:157], v[6:7]
	v_mul_f64_e32 v[172:173], v[154:155], v[6:7]
	ds_load_b128 v[166:169], v2 offset:1568
	s_wait_loadcnt_dscnt 0xa00
	v_mul_f64_e32 v[174:175], v[166:167], v[10:11]
	v_mul_f64_e32 v[10:11], v[168:169], v[10:11]
	v_fma_f64 v[170:171], v[154:155], v[4:5], -v[170:171]
	v_fmac_f64_e32 v[172:173], v[156:157], v[4:5]
	ds_load_b128 v[4:7], v2 offset:1584
	ds_load_b128 v[154:157], v2 offset:1600
	s_wait_loadcnt_dscnt 0x901
	v_mul_f64_e32 v[176:177], v[4:5], v[14:15]
	v_mul_f64_e32 v[14:15], v[6:7], v[14:15]
	v_fmac_f64_e32 v[174:175], v[168:169], v[8:9]
	v_fma_f64 v[8:9], v[166:167], v[8:9], -v[10:11]
	s_wait_loadcnt_dscnt 0x800
	v_mul_f64_e32 v[168:169], v[154:155], v[128:129]
	v_mul_f64_e32 v[128:129], v[156:157], v[128:129]
	v_add_f64_e32 v[10:11], 0, v[170:171]
	v_add_f64_e32 v[166:167], 0, v[172:173]
	v_fmac_f64_e32 v[176:177], v[6:7], v[12:13]
	v_fma_f64 v[12:13], v[4:5], v[12:13], -v[14:15]
	v_fmac_f64_e32 v[168:169], v[156:157], v[126:127]
	v_fma_f64 v[126:127], v[154:155], v[126:127], -v[128:129]
	v_add_f64_e32 v[14:15], v[10:11], v[8:9]
	v_add_f64_e32 v[166:167], v[166:167], v[174:175]
	ds_load_b128 v[4:7], v2 offset:1616
	ds_load_b128 v[8:11], v2 offset:1632
	s_wait_loadcnt_dscnt 0x701
	v_mul_f64_e32 v[170:171], v[4:5], v[132:133]
	v_mul_f64_e32 v[132:133], v[6:7], v[132:133]
	s_wait_loadcnt_dscnt 0x600
	v_mul_f64_e32 v[128:129], v[8:9], v[136:137]
	v_mul_f64_e32 v[136:137], v[10:11], v[136:137]
	v_add_f64_e32 v[12:13], v[14:15], v[12:13]
	v_add_f64_e32 v[14:15], v[166:167], v[176:177]
	v_fmac_f64_e32 v[170:171], v[6:7], v[130:131]
	v_fma_f64 v[130:131], v[4:5], v[130:131], -v[132:133]
	v_fmac_f64_e32 v[128:129], v[10:11], v[134:135]
	v_fma_f64 v[8:9], v[8:9], v[134:135], -v[136:137]
	v_add_f64_e32 v[126:127], v[12:13], v[126:127]
	v_add_f64_e32 v[132:133], v[14:15], v[168:169]
	ds_load_b128 v[4:7], v2 offset:1648
	ds_load_b128 v[12:15], v2 offset:1664
	s_wait_loadcnt_dscnt 0x501
	v_mul_f64_e32 v[154:155], v[4:5], v[140:141]
	v_mul_f64_e32 v[140:141], v[6:7], v[140:141]
	v_add_f64_e32 v[10:11], v[126:127], v[130:131]
	v_add_f64_e32 v[126:127], v[132:133], v[170:171]
	s_wait_loadcnt_dscnt 0x400
	v_mul_f64_e32 v[130:131], v[12:13], v[144:145]
	v_mul_f64_e32 v[132:133], v[14:15], v[144:145]
	v_fmac_f64_e32 v[154:155], v[6:7], v[138:139]
	v_fma_f64 v[134:135], v[4:5], v[138:139], -v[140:141]
	v_add_f64_e32 v[136:137], v[10:11], v[8:9]
	v_add_f64_e32 v[126:127], v[126:127], v[128:129]
	ds_load_b128 v[4:7], v2 offset:1680
	ds_load_b128 v[8:11], v2 offset:1696
	v_fmac_f64_e32 v[130:131], v[14:15], v[142:143]
	v_fma_f64 v[12:13], v[12:13], v[142:143], -v[132:133]
	s_wait_loadcnt_dscnt 0x301
	v_mul_f64_e32 v[128:129], v[4:5], v[148:149]
	v_mul_f64_e32 v[138:139], v[6:7], v[148:149]
	s_wait_loadcnt_dscnt 0x200
	v_mul_f64_e32 v[132:133], v[8:9], v[152:153]
	v_add_f64_e32 v[14:15], v[136:137], v[134:135]
	v_add_f64_e32 v[126:127], v[126:127], v[154:155]
	v_mul_f64_e32 v[134:135], v[10:11], v[152:153]
	v_fmac_f64_e32 v[128:129], v[6:7], v[146:147]
	v_fma_f64 v[136:137], v[4:5], v[146:147], -v[138:139]
	ds_load_b128 v[4:7], v2 offset:1712
	v_fmac_f64_e32 v[132:133], v[10:11], v[150:151]
	v_add_f64_e32 v[12:13], v[14:15], v[12:13]
	v_add_f64_e32 v[14:15], v[126:127], v[130:131]
	v_fma_f64 v[8:9], v[8:9], v[150:151], -v[134:135]
	s_wait_loadcnt_dscnt 0x100
	v_mul_f64_e32 v[126:127], v[4:5], v[160:161]
	v_mul_f64_e32 v[130:131], v[6:7], v[160:161]
	v_add_f64_e32 v[10:11], v[12:13], v[136:137]
	v_add_f64_e32 v[12:13], v[14:15], v[128:129]
	s_delay_alu instid0(VALU_DEP_4) | instskip(NEXT) | instid1(VALU_DEP_4)
	v_fmac_f64_e32 v[126:127], v[6:7], v[158:159]
	v_fma_f64 v[4:5], v[4:5], v[158:159], -v[130:131]
	s_delay_alu instid0(VALU_DEP_4) | instskip(NEXT) | instid1(VALU_DEP_4)
	v_add_f64_e32 v[6:7], v[10:11], v[8:9]
	v_add_f64_e32 v[8:9], v[12:13], v[132:133]
	s_delay_alu instid0(VALU_DEP_2) | instskip(NEXT) | instid1(VALU_DEP_2)
	v_add_f64_e32 v[4:5], v[6:7], v[4:5]
	v_add_f64_e32 v[6:7], v[8:9], v[126:127]
	s_wait_loadcnt 0x0
	s_delay_alu instid0(VALU_DEP_2) | instskip(NEXT) | instid1(VALU_DEP_2)
	v_add_f64_e64 v[4:5], v[162:163], -v[4:5]
	v_add_f64_e64 v[6:7], v[164:165], -v[6:7]
	scratch_store_b128 off, v[4:7], off offset:672
	s_wait_xcnt 0x0
	v_cmpx_lt_u32_e32 41, v1
	s_cbranch_execz .LBB53_255
; %bb.254:
	scratch_load_b128 v[6:9], off, s12
	v_dual_mov_b32 v3, v2 :: v_dual_mov_b32 v4, v2
	v_mov_b32_e32 v5, v2
	scratch_store_b128 off, v[2:5], off offset:656
	s_wait_loadcnt 0x0
	ds_store_b128 v124, v[6:9]
.LBB53_255:
	s_wait_xcnt 0x0
	s_or_b32 exec_lo, exec_lo, s2
	s_wait_storecnt_dscnt 0x0
	s_barrier_signal -1
	s_barrier_wait -1
	s_clause 0x9
	scratch_load_b128 v[4:7], off, off offset:672
	scratch_load_b128 v[8:11], off, off offset:688
	;; [unrolled: 1-line block ×10, first 2 shown]
	ds_load_b128 v[154:157], v2 offset:1536
	ds_load_b128 v[162:165], v2 offset:1552
	s_clause 0x2
	scratch_load_b128 v[158:161], off, off offset:832
	scratch_load_b128 v[166:169], off, off offset:656
	;; [unrolled: 1-line block ×3, first 2 shown]
	s_mov_b32 s2, exec_lo
	s_wait_loadcnt_dscnt 0xc01
	v_mul_f64_e32 v[174:175], v[156:157], v[6:7]
	v_mul_f64_e32 v[176:177], v[154:155], v[6:7]
	s_wait_loadcnt_dscnt 0xb00
	v_mul_f64_e32 v[178:179], v[162:163], v[10:11]
	v_mul_f64_e32 v[10:11], v[164:165], v[10:11]
	s_delay_alu instid0(VALU_DEP_4) | instskip(NEXT) | instid1(VALU_DEP_4)
	v_fma_f64 v[174:175], v[154:155], v[4:5], -v[174:175]
	v_fmac_f64_e32 v[176:177], v[156:157], v[4:5]
	ds_load_b128 v[4:7], v2 offset:1568
	ds_load_b128 v[154:157], v2 offset:1584
	v_fmac_f64_e32 v[178:179], v[164:165], v[8:9]
	v_fma_f64 v[8:9], v[162:163], v[8:9], -v[10:11]
	s_wait_loadcnt_dscnt 0xa01
	v_mul_f64_e32 v[180:181], v[4:5], v[14:15]
	v_mul_f64_e32 v[14:15], v[6:7], v[14:15]
	s_wait_loadcnt_dscnt 0x900
	v_mul_f64_e32 v[164:165], v[154:155], v[128:129]
	v_mul_f64_e32 v[128:129], v[156:157], v[128:129]
	v_add_f64_e32 v[10:11], 0, v[174:175]
	v_add_f64_e32 v[162:163], 0, v[176:177]
	v_fmac_f64_e32 v[180:181], v[6:7], v[12:13]
	v_fma_f64 v[12:13], v[4:5], v[12:13], -v[14:15]
	v_fmac_f64_e32 v[164:165], v[156:157], v[126:127]
	v_fma_f64 v[126:127], v[154:155], v[126:127], -v[128:129]
	v_add_f64_e32 v[14:15], v[10:11], v[8:9]
	v_add_f64_e32 v[162:163], v[162:163], v[178:179]
	ds_load_b128 v[4:7], v2 offset:1600
	ds_load_b128 v[8:11], v2 offset:1616
	s_wait_loadcnt_dscnt 0x801
	v_mul_f64_e32 v[174:175], v[4:5], v[132:133]
	v_mul_f64_e32 v[132:133], v[6:7], v[132:133]
	s_wait_loadcnt_dscnt 0x700
	v_mul_f64_e32 v[128:129], v[8:9], v[136:137]
	v_mul_f64_e32 v[136:137], v[10:11], v[136:137]
	v_add_f64_e32 v[12:13], v[14:15], v[12:13]
	v_add_f64_e32 v[14:15], v[162:163], v[180:181]
	v_fmac_f64_e32 v[174:175], v[6:7], v[130:131]
	v_fma_f64 v[130:131], v[4:5], v[130:131], -v[132:133]
	v_fmac_f64_e32 v[128:129], v[10:11], v[134:135]
	v_fma_f64 v[8:9], v[8:9], v[134:135], -v[136:137]
	v_add_f64_e32 v[126:127], v[12:13], v[126:127]
	v_add_f64_e32 v[132:133], v[14:15], v[164:165]
	ds_load_b128 v[4:7], v2 offset:1632
	ds_load_b128 v[12:15], v2 offset:1648
	s_wait_loadcnt_dscnt 0x601
	v_mul_f64_e32 v[154:155], v[4:5], v[140:141]
	v_mul_f64_e32 v[140:141], v[6:7], v[140:141]
	v_add_f64_e32 v[10:11], v[126:127], v[130:131]
	v_add_f64_e32 v[126:127], v[132:133], v[174:175]
	s_wait_loadcnt_dscnt 0x500
	v_mul_f64_e32 v[130:131], v[12:13], v[144:145]
	v_mul_f64_e32 v[132:133], v[14:15], v[144:145]
	v_fmac_f64_e32 v[154:155], v[6:7], v[138:139]
	v_fma_f64 v[134:135], v[4:5], v[138:139], -v[140:141]
	v_add_f64_e32 v[136:137], v[10:11], v[8:9]
	v_add_f64_e32 v[126:127], v[126:127], v[128:129]
	ds_load_b128 v[4:7], v2 offset:1664
	ds_load_b128 v[8:11], v2 offset:1680
	v_fmac_f64_e32 v[130:131], v[14:15], v[142:143]
	v_fma_f64 v[12:13], v[12:13], v[142:143], -v[132:133]
	s_wait_loadcnt_dscnt 0x401
	v_mul_f64_e32 v[128:129], v[4:5], v[148:149]
	v_mul_f64_e32 v[138:139], v[6:7], v[148:149]
	s_wait_loadcnt_dscnt 0x300
	v_mul_f64_e32 v[132:133], v[8:9], v[152:153]
	v_add_f64_e32 v[14:15], v[136:137], v[134:135]
	v_add_f64_e32 v[126:127], v[126:127], v[154:155]
	v_mul_f64_e32 v[134:135], v[10:11], v[152:153]
	v_fmac_f64_e32 v[128:129], v[6:7], v[146:147]
	v_fma_f64 v[136:137], v[4:5], v[146:147], -v[138:139]
	v_fmac_f64_e32 v[132:133], v[10:11], v[150:151]
	v_add_f64_e32 v[138:139], v[14:15], v[12:13]
	v_add_f64_e32 v[126:127], v[126:127], v[130:131]
	ds_load_b128 v[4:7], v2 offset:1696
	ds_load_b128 v[12:15], v2 offset:1712
	v_fma_f64 v[8:9], v[8:9], v[150:151], -v[134:135]
	s_wait_loadcnt_dscnt 0x201
	v_mul_f64_e32 v[2:3], v[4:5], v[160:161]
	v_mul_f64_e32 v[130:131], v[6:7], v[160:161]
	s_wait_loadcnt_dscnt 0x0
	v_mul_f64_e32 v[134:135], v[14:15], v[172:173]
	v_add_f64_e32 v[10:11], v[138:139], v[136:137]
	v_add_f64_e32 v[126:127], v[126:127], v[128:129]
	v_mul_f64_e32 v[128:129], v[12:13], v[172:173]
	v_fmac_f64_e32 v[2:3], v[6:7], v[158:159]
	v_fma_f64 v[4:5], v[4:5], v[158:159], -v[130:131]
	v_add_f64_e32 v[6:7], v[10:11], v[8:9]
	v_add_f64_e32 v[8:9], v[126:127], v[132:133]
	v_fmac_f64_e32 v[128:129], v[14:15], v[170:171]
	v_fma_f64 v[10:11], v[12:13], v[170:171], -v[134:135]
	s_delay_alu instid0(VALU_DEP_4) | instskip(NEXT) | instid1(VALU_DEP_4)
	v_add_f64_e32 v[4:5], v[6:7], v[4:5]
	v_add_f64_e32 v[2:3], v[8:9], v[2:3]
	s_delay_alu instid0(VALU_DEP_2) | instskip(NEXT) | instid1(VALU_DEP_2)
	v_add_f64_e32 v[4:5], v[4:5], v[10:11]
	v_add_f64_e32 v[6:7], v[2:3], v[128:129]
	s_delay_alu instid0(VALU_DEP_2) | instskip(NEXT) | instid1(VALU_DEP_2)
	v_add_f64_e64 v[2:3], v[166:167], -v[4:5]
	v_add_f64_e64 v[4:5], v[168:169], -v[6:7]
	scratch_store_b128 off, v[2:5], off offset:656
	s_wait_xcnt 0x0
	v_cmpx_lt_u32_e32 40, v1
	s_cbranch_execz .LBB53_257
; %bb.256:
	scratch_load_b128 v[2:5], off, s15
	v_mov_b32_e32 v6, 0
	s_delay_alu instid0(VALU_DEP_1)
	v_dual_mov_b32 v7, v6 :: v_dual_mov_b32 v8, v6
	v_mov_b32_e32 v9, v6
	scratch_store_b128 off, v[6:9], off offset:640
	s_wait_loadcnt 0x0
	ds_store_b128 v124, v[2:5]
.LBB53_257:
	s_wait_xcnt 0x0
	s_or_b32 exec_lo, exec_lo, s2
	s_wait_storecnt_dscnt 0x0
	s_barrier_signal -1
	s_barrier_wait -1
	s_clause 0x9
	scratch_load_b128 v[4:7], off, off offset:656
	scratch_load_b128 v[8:11], off, off offset:672
	;; [unrolled: 1-line block ×10, first 2 shown]
	v_mov_b32_e32 v2, 0
	s_mov_b32 s2, exec_lo
	ds_load_b128 v[154:157], v2 offset:1520
	s_clause 0x2
	scratch_load_b128 v[158:161], off, off offset:816
	scratch_load_b128 v[162:165], off, off offset:640
	;; [unrolled: 1-line block ×3, first 2 shown]
	s_wait_loadcnt_dscnt 0xc00
	v_mul_f64_e32 v[174:175], v[156:157], v[6:7]
	v_mul_f64_e32 v[178:179], v[154:155], v[6:7]
	ds_load_b128 v[166:169], v2 offset:1536
	v_fma_f64 v[182:183], v[154:155], v[4:5], -v[174:175]
	v_fmac_f64_e32 v[178:179], v[156:157], v[4:5]
	ds_load_b128 v[4:7], v2 offset:1552
	s_wait_loadcnt_dscnt 0xb01
	v_mul_f64_e32 v[180:181], v[166:167], v[10:11]
	v_mul_f64_e32 v[10:11], v[168:169], v[10:11]
	scratch_load_b128 v[154:157], off, off offset:848
	ds_load_b128 v[174:177], v2 offset:1568
	s_wait_loadcnt_dscnt 0xb01
	v_mul_f64_e32 v[184:185], v[4:5], v[14:15]
	v_mul_f64_e32 v[14:15], v[6:7], v[14:15]
	v_fmac_f64_e32 v[180:181], v[168:169], v[8:9]
	v_fma_f64 v[8:9], v[166:167], v[8:9], -v[10:11]
	v_add_f64_e32 v[10:11], 0, v[182:183]
	v_add_f64_e32 v[166:167], 0, v[178:179]
	s_wait_loadcnt_dscnt 0xa00
	v_mul_f64_e32 v[168:169], v[174:175], v[128:129]
	v_mul_f64_e32 v[128:129], v[176:177], v[128:129]
	v_fmac_f64_e32 v[184:185], v[6:7], v[12:13]
	v_fma_f64 v[12:13], v[4:5], v[12:13], -v[14:15]
	v_add_f64_e32 v[14:15], v[10:11], v[8:9]
	v_add_f64_e32 v[166:167], v[166:167], v[180:181]
	ds_load_b128 v[4:7], v2 offset:1584
	ds_load_b128 v[8:11], v2 offset:1600
	v_fmac_f64_e32 v[168:169], v[176:177], v[126:127]
	v_fma_f64 v[126:127], v[174:175], v[126:127], -v[128:129]
	s_wait_loadcnt_dscnt 0x901
	v_mul_f64_e32 v[178:179], v[4:5], v[132:133]
	v_mul_f64_e32 v[132:133], v[6:7], v[132:133]
	s_wait_loadcnt_dscnt 0x800
	v_mul_f64_e32 v[128:129], v[8:9], v[136:137]
	v_mul_f64_e32 v[136:137], v[10:11], v[136:137]
	v_add_f64_e32 v[12:13], v[14:15], v[12:13]
	v_add_f64_e32 v[14:15], v[166:167], v[184:185]
	v_fmac_f64_e32 v[178:179], v[6:7], v[130:131]
	v_fma_f64 v[130:131], v[4:5], v[130:131], -v[132:133]
	v_fmac_f64_e32 v[128:129], v[10:11], v[134:135]
	v_fma_f64 v[8:9], v[8:9], v[134:135], -v[136:137]
	v_add_f64_e32 v[126:127], v[12:13], v[126:127]
	v_add_f64_e32 v[132:133], v[14:15], v[168:169]
	ds_load_b128 v[4:7], v2 offset:1616
	ds_load_b128 v[12:15], v2 offset:1632
	s_wait_loadcnt_dscnt 0x701
	v_mul_f64_e32 v[166:167], v[4:5], v[140:141]
	v_mul_f64_e32 v[140:141], v[6:7], v[140:141]
	v_add_f64_e32 v[10:11], v[126:127], v[130:131]
	v_add_f64_e32 v[126:127], v[132:133], v[178:179]
	s_wait_loadcnt_dscnt 0x600
	v_mul_f64_e32 v[130:131], v[12:13], v[144:145]
	v_mul_f64_e32 v[132:133], v[14:15], v[144:145]
	v_fmac_f64_e32 v[166:167], v[6:7], v[138:139]
	v_fma_f64 v[134:135], v[4:5], v[138:139], -v[140:141]
	v_add_f64_e32 v[136:137], v[10:11], v[8:9]
	v_add_f64_e32 v[126:127], v[126:127], v[128:129]
	ds_load_b128 v[4:7], v2 offset:1648
	ds_load_b128 v[8:11], v2 offset:1664
	v_fmac_f64_e32 v[130:131], v[14:15], v[142:143]
	v_fma_f64 v[12:13], v[12:13], v[142:143], -v[132:133]
	s_wait_loadcnt_dscnt 0x501
	v_mul_f64_e32 v[128:129], v[4:5], v[148:149]
	v_mul_f64_e32 v[138:139], v[6:7], v[148:149]
	s_wait_loadcnt_dscnt 0x400
	v_mul_f64_e32 v[132:133], v[8:9], v[152:153]
	v_add_f64_e32 v[14:15], v[136:137], v[134:135]
	v_add_f64_e32 v[126:127], v[126:127], v[166:167]
	v_mul_f64_e32 v[134:135], v[10:11], v[152:153]
	v_fmac_f64_e32 v[128:129], v[6:7], v[146:147]
	v_fma_f64 v[136:137], v[4:5], v[146:147], -v[138:139]
	v_fmac_f64_e32 v[132:133], v[10:11], v[150:151]
	v_add_f64_e32 v[138:139], v[14:15], v[12:13]
	v_add_f64_e32 v[126:127], v[126:127], v[130:131]
	ds_load_b128 v[4:7], v2 offset:1680
	ds_load_b128 v[12:15], v2 offset:1696
	v_fma_f64 v[8:9], v[8:9], v[150:151], -v[134:135]
	s_wait_loadcnt_dscnt 0x301
	v_mul_f64_e32 v[130:131], v[4:5], v[160:161]
	v_mul_f64_e32 v[140:141], v[6:7], v[160:161]
	s_wait_loadcnt_dscnt 0x100
	v_mul_f64_e32 v[134:135], v[14:15], v[172:173]
	v_add_f64_e32 v[10:11], v[138:139], v[136:137]
	v_add_f64_e32 v[126:127], v[126:127], v[128:129]
	v_mul_f64_e32 v[128:129], v[12:13], v[172:173]
	v_fmac_f64_e32 v[130:131], v[6:7], v[158:159]
	v_fma_f64 v[136:137], v[4:5], v[158:159], -v[140:141]
	ds_load_b128 v[4:7], v2 offset:1712
	v_fma_f64 v[12:13], v[12:13], v[170:171], -v[134:135]
	v_add_f64_e32 v[8:9], v[10:11], v[8:9]
	v_add_f64_e32 v[10:11], v[126:127], v[132:133]
	v_fmac_f64_e32 v[128:129], v[14:15], v[170:171]
	s_wait_loadcnt_dscnt 0x0
	v_mul_f64_e32 v[126:127], v[4:5], v[156:157]
	v_mul_f64_e32 v[132:133], v[6:7], v[156:157]
	v_add_f64_e32 v[8:9], v[8:9], v[136:137]
	v_add_f64_e32 v[10:11], v[10:11], v[130:131]
	s_delay_alu instid0(VALU_DEP_4) | instskip(NEXT) | instid1(VALU_DEP_4)
	v_fmac_f64_e32 v[126:127], v[6:7], v[154:155]
	v_fma_f64 v[4:5], v[4:5], v[154:155], -v[132:133]
	s_delay_alu instid0(VALU_DEP_4) | instskip(NEXT) | instid1(VALU_DEP_4)
	v_add_f64_e32 v[6:7], v[8:9], v[12:13]
	v_add_f64_e32 v[8:9], v[10:11], v[128:129]
	s_delay_alu instid0(VALU_DEP_2) | instskip(NEXT) | instid1(VALU_DEP_2)
	v_add_f64_e32 v[4:5], v[6:7], v[4:5]
	v_add_f64_e32 v[6:7], v[8:9], v[126:127]
	s_delay_alu instid0(VALU_DEP_2) | instskip(NEXT) | instid1(VALU_DEP_2)
	v_add_f64_e64 v[4:5], v[162:163], -v[4:5]
	v_add_f64_e64 v[6:7], v[164:165], -v[6:7]
	scratch_store_b128 off, v[4:7], off offset:640
	s_wait_xcnt 0x0
	v_cmpx_lt_u32_e32 39, v1
	s_cbranch_execz .LBB53_259
; %bb.258:
	scratch_load_b128 v[6:9], off, s14
	v_dual_mov_b32 v3, v2 :: v_dual_mov_b32 v4, v2
	v_mov_b32_e32 v5, v2
	scratch_store_b128 off, v[2:5], off offset:624
	s_wait_loadcnt 0x0
	ds_store_b128 v124, v[6:9]
.LBB53_259:
	s_wait_xcnt 0x0
	s_or_b32 exec_lo, exec_lo, s2
	s_wait_storecnt_dscnt 0x0
	s_barrier_signal -1
	s_barrier_wait -1
	s_clause 0x9
	scratch_load_b128 v[4:7], off, off offset:640
	scratch_load_b128 v[8:11], off, off offset:656
	;; [unrolled: 1-line block ×10, first 2 shown]
	ds_load_b128 v[154:157], v2 offset:1504
	ds_load_b128 v[162:165], v2 offset:1520
	s_clause 0x2
	scratch_load_b128 v[158:161], off, off offset:800
	scratch_load_b128 v[166:169], off, off offset:624
	;; [unrolled: 1-line block ×3, first 2 shown]
	s_mov_b32 s2, exec_lo
	s_wait_loadcnt_dscnt 0xc01
	v_mul_f64_e32 v[174:175], v[156:157], v[6:7]
	v_mul_f64_e32 v[178:179], v[154:155], v[6:7]
	s_wait_loadcnt_dscnt 0xb00
	v_mul_f64_e32 v[180:181], v[162:163], v[10:11]
	v_mul_f64_e32 v[10:11], v[164:165], v[10:11]
	s_delay_alu instid0(VALU_DEP_4) | instskip(NEXT) | instid1(VALU_DEP_4)
	v_fma_f64 v[182:183], v[154:155], v[4:5], -v[174:175]
	v_fmac_f64_e32 v[178:179], v[156:157], v[4:5]
	ds_load_b128 v[4:7], v2 offset:1536
	ds_load_b128 v[154:157], v2 offset:1552
	scratch_load_b128 v[174:177], off, off offset:832
	v_fmac_f64_e32 v[180:181], v[164:165], v[8:9]
	v_fma_f64 v[162:163], v[162:163], v[8:9], -v[10:11]
	scratch_load_b128 v[8:11], off, off offset:848
	s_wait_loadcnt_dscnt 0xc01
	v_mul_f64_e32 v[184:185], v[4:5], v[14:15]
	v_mul_f64_e32 v[14:15], v[6:7], v[14:15]
	v_add_f64_e32 v[164:165], 0, v[182:183]
	v_add_f64_e32 v[178:179], 0, v[178:179]
	s_wait_loadcnt_dscnt 0xb00
	v_mul_f64_e32 v[182:183], v[154:155], v[128:129]
	v_mul_f64_e32 v[128:129], v[156:157], v[128:129]
	v_fmac_f64_e32 v[184:185], v[6:7], v[12:13]
	v_fma_f64 v[186:187], v[4:5], v[12:13], -v[14:15]
	ds_load_b128 v[4:7], v2 offset:1568
	ds_load_b128 v[12:15], v2 offset:1584
	v_add_f64_e32 v[162:163], v[164:165], v[162:163]
	v_add_f64_e32 v[164:165], v[178:179], v[180:181]
	v_fmac_f64_e32 v[182:183], v[156:157], v[126:127]
	v_fma_f64 v[126:127], v[154:155], v[126:127], -v[128:129]
	s_wait_loadcnt_dscnt 0xa01
	v_mul_f64_e32 v[178:179], v[4:5], v[132:133]
	v_mul_f64_e32 v[132:133], v[6:7], v[132:133]
	s_wait_loadcnt_dscnt 0x900
	v_mul_f64_e32 v[156:157], v[12:13], v[136:137]
	v_mul_f64_e32 v[136:137], v[14:15], v[136:137]
	v_add_f64_e32 v[128:129], v[162:163], v[186:187]
	v_add_f64_e32 v[154:155], v[164:165], v[184:185]
	v_fmac_f64_e32 v[178:179], v[6:7], v[130:131]
	v_fma_f64 v[130:131], v[4:5], v[130:131], -v[132:133]
	v_fmac_f64_e32 v[156:157], v[14:15], v[134:135]
	v_fma_f64 v[12:13], v[12:13], v[134:135], -v[136:137]
	v_add_f64_e32 v[132:133], v[128:129], v[126:127]
	v_add_f64_e32 v[154:155], v[154:155], v[182:183]
	ds_load_b128 v[4:7], v2 offset:1600
	ds_load_b128 v[126:129], v2 offset:1616
	s_wait_loadcnt_dscnt 0x801
	v_mul_f64_e32 v[162:163], v[4:5], v[140:141]
	v_mul_f64_e32 v[140:141], v[6:7], v[140:141]
	s_wait_loadcnt_dscnt 0x700
	v_mul_f64_e32 v[134:135], v[128:129], v[144:145]
	v_add_f64_e32 v[14:15], v[132:133], v[130:131]
	v_add_f64_e32 v[130:131], v[154:155], v[178:179]
	v_mul_f64_e32 v[132:133], v[126:127], v[144:145]
	v_fmac_f64_e32 v[162:163], v[6:7], v[138:139]
	v_fma_f64 v[136:137], v[4:5], v[138:139], -v[140:141]
	v_fma_f64 v[126:127], v[126:127], v[142:143], -v[134:135]
	v_add_f64_e32 v[138:139], v[14:15], v[12:13]
	v_add_f64_e32 v[130:131], v[130:131], v[156:157]
	ds_load_b128 v[4:7], v2 offset:1632
	ds_load_b128 v[12:15], v2 offset:1648
	v_fmac_f64_e32 v[132:133], v[128:129], v[142:143]
	s_wait_loadcnt_dscnt 0x601
	v_mul_f64_e32 v[140:141], v[4:5], v[148:149]
	v_mul_f64_e32 v[144:145], v[6:7], v[148:149]
	s_wait_loadcnt_dscnt 0x500
	v_mul_f64_e32 v[134:135], v[12:13], v[152:153]
	v_add_f64_e32 v[128:129], v[138:139], v[136:137]
	v_add_f64_e32 v[130:131], v[130:131], v[162:163]
	v_mul_f64_e32 v[136:137], v[14:15], v[152:153]
	v_fmac_f64_e32 v[140:141], v[6:7], v[146:147]
	v_fma_f64 v[138:139], v[4:5], v[146:147], -v[144:145]
	v_fmac_f64_e32 v[134:135], v[14:15], v[150:151]
	v_add_f64_e32 v[142:143], v[128:129], v[126:127]
	v_add_f64_e32 v[130:131], v[130:131], v[132:133]
	ds_load_b128 v[4:7], v2 offset:1664
	ds_load_b128 v[126:129], v2 offset:1680
	v_fma_f64 v[12:13], v[12:13], v[150:151], -v[136:137]
	s_wait_loadcnt_dscnt 0x401
	v_mul_f64_e32 v[132:133], v[4:5], v[160:161]
	v_mul_f64_e32 v[144:145], v[6:7], v[160:161]
	s_wait_loadcnt_dscnt 0x200
	v_mul_f64_e32 v[136:137], v[126:127], v[172:173]
	v_add_f64_e32 v[14:15], v[142:143], v[138:139]
	v_add_f64_e32 v[130:131], v[130:131], v[140:141]
	v_mul_f64_e32 v[138:139], v[128:129], v[172:173]
	v_fmac_f64_e32 v[132:133], v[6:7], v[158:159]
	v_fma_f64 v[140:141], v[4:5], v[158:159], -v[144:145]
	v_fmac_f64_e32 v[136:137], v[128:129], v[170:171]
	v_add_f64_e32 v[142:143], v[14:15], v[12:13]
	v_add_f64_e32 v[130:131], v[130:131], v[134:135]
	ds_load_b128 v[4:7], v2 offset:1696
	ds_load_b128 v[12:15], v2 offset:1712
	v_fma_f64 v[126:127], v[126:127], v[170:171], -v[138:139]
	s_wait_loadcnt_dscnt 0x101
	v_mul_f64_e32 v[2:3], v[4:5], v[176:177]
	v_mul_f64_e32 v[134:135], v[6:7], v[176:177]
	v_add_f64_e32 v[128:129], v[142:143], v[140:141]
	v_add_f64_e32 v[130:131], v[130:131], v[132:133]
	s_wait_loadcnt_dscnt 0x0
	v_mul_f64_e32 v[132:133], v[12:13], v[10:11]
	v_mul_f64_e32 v[10:11], v[14:15], v[10:11]
	v_fmac_f64_e32 v[2:3], v[6:7], v[174:175]
	v_fma_f64 v[4:5], v[4:5], v[174:175], -v[134:135]
	v_add_f64_e32 v[6:7], v[128:129], v[126:127]
	v_add_f64_e32 v[126:127], v[130:131], v[136:137]
	v_fmac_f64_e32 v[132:133], v[14:15], v[8:9]
	v_fma_f64 v[8:9], v[12:13], v[8:9], -v[10:11]
	s_delay_alu instid0(VALU_DEP_4) | instskip(NEXT) | instid1(VALU_DEP_4)
	v_add_f64_e32 v[4:5], v[6:7], v[4:5]
	v_add_f64_e32 v[2:3], v[126:127], v[2:3]
	s_delay_alu instid0(VALU_DEP_2) | instskip(NEXT) | instid1(VALU_DEP_2)
	v_add_f64_e32 v[4:5], v[4:5], v[8:9]
	v_add_f64_e32 v[6:7], v[2:3], v[132:133]
	s_delay_alu instid0(VALU_DEP_2) | instskip(NEXT) | instid1(VALU_DEP_2)
	v_add_f64_e64 v[2:3], v[166:167], -v[4:5]
	v_add_f64_e64 v[4:5], v[168:169], -v[6:7]
	scratch_store_b128 off, v[2:5], off offset:624
	s_wait_xcnt 0x0
	v_cmpx_lt_u32_e32 38, v1
	s_cbranch_execz .LBB53_261
; %bb.260:
	scratch_load_b128 v[2:5], off, s21
	v_mov_b32_e32 v6, 0
	s_delay_alu instid0(VALU_DEP_1)
	v_dual_mov_b32 v7, v6 :: v_dual_mov_b32 v8, v6
	v_mov_b32_e32 v9, v6
	scratch_store_b128 off, v[6:9], off offset:608
	s_wait_loadcnt 0x0
	ds_store_b128 v124, v[2:5]
.LBB53_261:
	s_wait_xcnt 0x0
	s_or_b32 exec_lo, exec_lo, s2
	s_wait_storecnt_dscnt 0x0
	s_barrier_signal -1
	s_barrier_wait -1
	s_clause 0x9
	scratch_load_b128 v[4:7], off, off offset:624
	scratch_load_b128 v[8:11], off, off offset:640
	;; [unrolled: 1-line block ×10, first 2 shown]
	v_mov_b32_e32 v2, 0
	s_mov_b32 s2, exec_lo
	ds_load_b128 v[154:157], v2 offset:1488
	s_clause 0x2
	scratch_load_b128 v[158:161], off, off offset:784
	scratch_load_b128 v[162:165], off, off offset:608
	;; [unrolled: 1-line block ×3, first 2 shown]
	s_wait_loadcnt_dscnt 0xc00
	v_mul_f64_e32 v[174:175], v[156:157], v[6:7]
	v_mul_f64_e32 v[178:179], v[154:155], v[6:7]
	ds_load_b128 v[166:169], v2 offset:1504
	v_fma_f64 v[182:183], v[154:155], v[4:5], -v[174:175]
	v_fmac_f64_e32 v[178:179], v[156:157], v[4:5]
	ds_load_b128 v[4:7], v2 offset:1520
	s_wait_loadcnt_dscnt 0xb01
	v_mul_f64_e32 v[180:181], v[166:167], v[10:11]
	v_mul_f64_e32 v[10:11], v[168:169], v[10:11]
	scratch_load_b128 v[154:157], off, off offset:816
	ds_load_b128 v[174:177], v2 offset:1536
	s_wait_loadcnt_dscnt 0xb01
	v_mul_f64_e32 v[184:185], v[4:5], v[14:15]
	v_mul_f64_e32 v[14:15], v[6:7], v[14:15]
	v_add_f64_e32 v[178:179], 0, v[178:179]
	v_fmac_f64_e32 v[180:181], v[168:169], v[8:9]
	v_fma_f64 v[166:167], v[166:167], v[8:9], -v[10:11]
	v_add_f64_e32 v[168:169], 0, v[182:183]
	scratch_load_b128 v[8:11], off, off offset:832
	v_fmac_f64_e32 v[184:185], v[6:7], v[12:13]
	v_fma_f64 v[186:187], v[4:5], v[12:13], -v[14:15]
	ds_load_b128 v[4:7], v2 offset:1552
	s_wait_loadcnt_dscnt 0xb01
	v_mul_f64_e32 v[182:183], v[174:175], v[128:129]
	v_mul_f64_e32 v[128:129], v[176:177], v[128:129]
	scratch_load_b128 v[12:15], off, off offset:848
	v_add_f64_e32 v[178:179], v[178:179], v[180:181]
	v_add_f64_e32 v[188:189], v[168:169], v[166:167]
	ds_load_b128 v[166:169], v2 offset:1568
	s_wait_loadcnt_dscnt 0xb01
	v_mul_f64_e32 v[180:181], v[4:5], v[132:133]
	v_mul_f64_e32 v[132:133], v[6:7], v[132:133]
	v_fmac_f64_e32 v[182:183], v[176:177], v[126:127]
	v_fma_f64 v[126:127], v[174:175], v[126:127], -v[128:129]
	s_wait_loadcnt_dscnt 0xa00
	v_mul_f64_e32 v[176:177], v[166:167], v[136:137]
	v_mul_f64_e32 v[136:137], v[168:169], v[136:137]
	v_add_f64_e32 v[174:175], v[178:179], v[184:185]
	v_add_f64_e32 v[128:129], v[188:189], v[186:187]
	v_fmac_f64_e32 v[180:181], v[6:7], v[130:131]
	v_fma_f64 v[130:131], v[4:5], v[130:131], -v[132:133]
	v_fmac_f64_e32 v[176:177], v[168:169], v[134:135]
	v_fma_f64 v[134:135], v[166:167], v[134:135], -v[136:137]
	v_add_f64_e32 v[174:175], v[174:175], v[182:183]
	v_add_f64_e32 v[132:133], v[128:129], v[126:127]
	ds_load_b128 v[4:7], v2 offset:1584
	ds_load_b128 v[126:129], v2 offset:1600
	s_wait_loadcnt_dscnt 0x901
	v_mul_f64_e32 v[178:179], v[4:5], v[140:141]
	v_mul_f64_e32 v[140:141], v[6:7], v[140:141]
	s_wait_loadcnt_dscnt 0x800
	v_mul_f64_e32 v[136:137], v[126:127], v[144:145]
	v_mul_f64_e32 v[144:145], v[128:129], v[144:145]
	v_add_f64_e32 v[130:131], v[132:133], v[130:131]
	v_add_f64_e32 v[132:133], v[174:175], v[180:181]
	v_fmac_f64_e32 v[178:179], v[6:7], v[138:139]
	v_fma_f64 v[138:139], v[4:5], v[138:139], -v[140:141]
	v_fmac_f64_e32 v[136:137], v[128:129], v[142:143]
	v_fma_f64 v[126:127], v[126:127], v[142:143], -v[144:145]
	v_add_f64_e32 v[134:135], v[130:131], v[134:135]
	v_add_f64_e32 v[140:141], v[132:133], v[176:177]
	ds_load_b128 v[4:7], v2 offset:1616
	ds_load_b128 v[130:133], v2 offset:1632
	s_wait_loadcnt_dscnt 0x701
	v_mul_f64_e32 v[166:167], v[4:5], v[148:149]
	v_mul_f64_e32 v[148:149], v[6:7], v[148:149]
	v_add_f64_e32 v[128:129], v[134:135], v[138:139]
	v_add_f64_e32 v[134:135], v[140:141], v[178:179]
	s_wait_loadcnt_dscnt 0x600
	v_mul_f64_e32 v[138:139], v[130:131], v[152:153]
	v_mul_f64_e32 v[140:141], v[132:133], v[152:153]
	v_fmac_f64_e32 v[166:167], v[6:7], v[146:147]
	v_fma_f64 v[142:143], v[4:5], v[146:147], -v[148:149]
	v_add_f64_e32 v[144:145], v[128:129], v[126:127]
	v_add_f64_e32 v[134:135], v[134:135], v[136:137]
	ds_load_b128 v[4:7], v2 offset:1648
	ds_load_b128 v[126:129], v2 offset:1664
	v_fmac_f64_e32 v[138:139], v[132:133], v[150:151]
	v_fma_f64 v[130:131], v[130:131], v[150:151], -v[140:141]
	s_wait_loadcnt_dscnt 0x501
	v_mul_f64_e32 v[136:137], v[4:5], v[160:161]
	v_mul_f64_e32 v[146:147], v[6:7], v[160:161]
	s_wait_loadcnt_dscnt 0x300
	v_mul_f64_e32 v[140:141], v[126:127], v[172:173]
	v_add_f64_e32 v[132:133], v[144:145], v[142:143]
	v_add_f64_e32 v[134:135], v[134:135], v[166:167]
	v_mul_f64_e32 v[142:143], v[128:129], v[172:173]
	v_fmac_f64_e32 v[136:137], v[6:7], v[158:159]
	v_fma_f64 v[144:145], v[4:5], v[158:159], -v[146:147]
	v_fmac_f64_e32 v[140:141], v[128:129], v[170:171]
	v_add_f64_e32 v[146:147], v[132:133], v[130:131]
	v_add_f64_e32 v[134:135], v[134:135], v[138:139]
	ds_load_b128 v[4:7], v2 offset:1680
	ds_load_b128 v[130:133], v2 offset:1696
	v_fma_f64 v[126:127], v[126:127], v[170:171], -v[142:143]
	s_wait_loadcnt_dscnt 0x201
	v_mul_f64_e32 v[138:139], v[4:5], v[156:157]
	v_mul_f64_e32 v[148:149], v[6:7], v[156:157]
	v_add_f64_e32 v[128:129], v[146:147], v[144:145]
	v_add_f64_e32 v[134:135], v[134:135], v[136:137]
	s_wait_loadcnt_dscnt 0x100
	v_mul_f64_e32 v[136:137], v[130:131], v[10:11]
	v_mul_f64_e32 v[10:11], v[132:133], v[10:11]
	v_fmac_f64_e32 v[138:139], v[6:7], v[154:155]
	v_fma_f64 v[142:143], v[4:5], v[154:155], -v[148:149]
	ds_load_b128 v[4:7], v2 offset:1712
	v_add_f64_e32 v[126:127], v[128:129], v[126:127]
	v_add_f64_e32 v[128:129], v[134:135], v[140:141]
	v_fmac_f64_e32 v[136:137], v[132:133], v[8:9]
	v_fma_f64 v[8:9], v[130:131], v[8:9], -v[10:11]
	s_wait_loadcnt_dscnt 0x0
	v_mul_f64_e32 v[134:135], v[4:5], v[14:15]
	v_mul_f64_e32 v[14:15], v[6:7], v[14:15]
	v_add_f64_e32 v[10:11], v[126:127], v[142:143]
	v_add_f64_e32 v[126:127], v[128:129], v[138:139]
	s_delay_alu instid0(VALU_DEP_4) | instskip(NEXT) | instid1(VALU_DEP_4)
	v_fmac_f64_e32 v[134:135], v[6:7], v[12:13]
	v_fma_f64 v[4:5], v[4:5], v[12:13], -v[14:15]
	s_delay_alu instid0(VALU_DEP_4) | instskip(NEXT) | instid1(VALU_DEP_4)
	v_add_f64_e32 v[6:7], v[10:11], v[8:9]
	v_add_f64_e32 v[8:9], v[126:127], v[136:137]
	s_delay_alu instid0(VALU_DEP_2) | instskip(NEXT) | instid1(VALU_DEP_2)
	v_add_f64_e32 v[4:5], v[6:7], v[4:5]
	v_add_f64_e32 v[6:7], v[8:9], v[134:135]
	s_delay_alu instid0(VALU_DEP_2) | instskip(NEXT) | instid1(VALU_DEP_2)
	v_add_f64_e64 v[4:5], v[162:163], -v[4:5]
	v_add_f64_e64 v[6:7], v[164:165], -v[6:7]
	scratch_store_b128 off, v[4:7], off offset:608
	s_wait_xcnt 0x0
	v_cmpx_lt_u32_e32 37, v1
	s_cbranch_execz .LBB53_263
; %bb.262:
	scratch_load_b128 v[6:9], off, s20
	v_dual_mov_b32 v3, v2 :: v_dual_mov_b32 v4, v2
	v_mov_b32_e32 v5, v2
	scratch_store_b128 off, v[2:5], off offset:592
	s_wait_loadcnt 0x0
	ds_store_b128 v124, v[6:9]
.LBB53_263:
	s_wait_xcnt 0x0
	s_or_b32 exec_lo, exec_lo, s2
	s_wait_storecnt_dscnt 0x0
	s_barrier_signal -1
	s_barrier_wait -1
	s_clause 0x9
	scratch_load_b128 v[4:7], off, off offset:608
	scratch_load_b128 v[8:11], off, off offset:624
	;; [unrolled: 1-line block ×10, first 2 shown]
	ds_load_b128 v[154:157], v2 offset:1472
	ds_load_b128 v[162:165], v2 offset:1488
	s_clause 0x2
	scratch_load_b128 v[158:161], off, off offset:768
	scratch_load_b128 v[166:169], off, off offset:592
	;; [unrolled: 1-line block ×3, first 2 shown]
	s_mov_b32 s2, exec_lo
	s_wait_loadcnt_dscnt 0xc01
	v_mul_f64_e32 v[174:175], v[156:157], v[6:7]
	v_mul_f64_e32 v[178:179], v[154:155], v[6:7]
	s_wait_loadcnt_dscnt 0xb00
	v_mul_f64_e32 v[180:181], v[162:163], v[10:11]
	v_mul_f64_e32 v[10:11], v[164:165], v[10:11]
	s_delay_alu instid0(VALU_DEP_4) | instskip(NEXT) | instid1(VALU_DEP_4)
	v_fma_f64 v[182:183], v[154:155], v[4:5], -v[174:175]
	v_fmac_f64_e32 v[178:179], v[156:157], v[4:5]
	ds_load_b128 v[4:7], v2 offset:1504
	ds_load_b128 v[154:157], v2 offset:1520
	scratch_load_b128 v[174:177], off, off offset:800
	v_fmac_f64_e32 v[180:181], v[164:165], v[8:9]
	v_fma_f64 v[162:163], v[162:163], v[8:9], -v[10:11]
	scratch_load_b128 v[8:11], off, off offset:816
	s_wait_loadcnt_dscnt 0xc01
	v_mul_f64_e32 v[184:185], v[4:5], v[14:15]
	v_mul_f64_e32 v[14:15], v[6:7], v[14:15]
	v_add_f64_e32 v[164:165], 0, v[182:183]
	v_add_f64_e32 v[178:179], 0, v[178:179]
	s_wait_loadcnt_dscnt 0xb00
	v_mul_f64_e32 v[182:183], v[154:155], v[128:129]
	v_mul_f64_e32 v[128:129], v[156:157], v[128:129]
	v_fmac_f64_e32 v[184:185], v[6:7], v[12:13]
	v_fma_f64 v[186:187], v[4:5], v[12:13], -v[14:15]
	ds_load_b128 v[4:7], v2 offset:1536
	ds_load_b128 v[12:15], v2 offset:1552
	v_add_f64_e32 v[188:189], v[164:165], v[162:163]
	v_add_f64_e32 v[178:179], v[178:179], v[180:181]
	scratch_load_b128 v[162:165], off, off offset:832
	v_fmac_f64_e32 v[182:183], v[156:157], v[126:127]
	v_fma_f64 v[154:155], v[154:155], v[126:127], -v[128:129]
	scratch_load_b128 v[126:129], off, off offset:848
	s_wait_loadcnt_dscnt 0xc01
	v_mul_f64_e32 v[180:181], v[4:5], v[132:133]
	v_mul_f64_e32 v[132:133], v[6:7], v[132:133]
	v_add_f64_e32 v[156:157], v[188:189], v[186:187]
	v_add_f64_e32 v[178:179], v[178:179], v[184:185]
	s_wait_loadcnt_dscnt 0xb00
	v_mul_f64_e32 v[184:185], v[12:13], v[136:137]
	v_mul_f64_e32 v[136:137], v[14:15], v[136:137]
	v_fmac_f64_e32 v[180:181], v[6:7], v[130:131]
	v_fma_f64 v[186:187], v[4:5], v[130:131], -v[132:133]
	ds_load_b128 v[4:7], v2 offset:1568
	ds_load_b128 v[130:133], v2 offset:1584
	v_add_f64_e32 v[154:155], v[156:157], v[154:155]
	v_add_f64_e32 v[156:157], v[178:179], v[182:183]
	s_wait_loadcnt_dscnt 0xa01
	v_mul_f64_e32 v[178:179], v[4:5], v[140:141]
	v_mul_f64_e32 v[140:141], v[6:7], v[140:141]
	v_fmac_f64_e32 v[184:185], v[14:15], v[134:135]
	v_fma_f64 v[12:13], v[12:13], v[134:135], -v[136:137]
	s_wait_loadcnt_dscnt 0x900
	v_mul_f64_e32 v[136:137], v[130:131], v[144:145]
	v_mul_f64_e32 v[144:145], v[132:133], v[144:145]
	v_add_f64_e32 v[14:15], v[154:155], v[186:187]
	v_add_f64_e32 v[134:135], v[156:157], v[180:181]
	v_fmac_f64_e32 v[178:179], v[6:7], v[138:139]
	v_fma_f64 v[138:139], v[4:5], v[138:139], -v[140:141]
	v_fmac_f64_e32 v[136:137], v[132:133], v[142:143]
	v_fma_f64 v[130:131], v[130:131], v[142:143], -v[144:145]
	v_add_f64_e32 v[140:141], v[14:15], v[12:13]
	v_add_f64_e32 v[134:135], v[134:135], v[184:185]
	ds_load_b128 v[4:7], v2 offset:1600
	ds_load_b128 v[12:15], v2 offset:1616
	s_wait_loadcnt_dscnt 0x801
	v_mul_f64_e32 v[154:155], v[4:5], v[148:149]
	v_mul_f64_e32 v[148:149], v[6:7], v[148:149]
	v_add_f64_e32 v[132:133], v[140:141], v[138:139]
	v_add_f64_e32 v[134:135], v[134:135], v[178:179]
	s_wait_loadcnt_dscnt 0x700
	v_mul_f64_e32 v[138:139], v[12:13], v[152:153]
	v_mul_f64_e32 v[140:141], v[14:15], v[152:153]
	v_fmac_f64_e32 v[154:155], v[6:7], v[146:147]
	v_fma_f64 v[142:143], v[4:5], v[146:147], -v[148:149]
	v_add_f64_e32 v[144:145], v[132:133], v[130:131]
	v_add_f64_e32 v[134:135], v[134:135], v[136:137]
	ds_load_b128 v[4:7], v2 offset:1632
	ds_load_b128 v[130:133], v2 offset:1648
	v_fmac_f64_e32 v[138:139], v[14:15], v[150:151]
	v_fma_f64 v[12:13], v[12:13], v[150:151], -v[140:141]
	s_wait_loadcnt_dscnt 0x601
	v_mul_f64_e32 v[136:137], v[4:5], v[160:161]
	v_mul_f64_e32 v[146:147], v[6:7], v[160:161]
	s_wait_loadcnt_dscnt 0x400
	v_mul_f64_e32 v[140:141], v[130:131], v[172:173]
	v_add_f64_e32 v[14:15], v[144:145], v[142:143]
	v_add_f64_e32 v[134:135], v[134:135], v[154:155]
	v_mul_f64_e32 v[142:143], v[132:133], v[172:173]
	v_fmac_f64_e32 v[136:137], v[6:7], v[158:159]
	v_fma_f64 v[144:145], v[4:5], v[158:159], -v[146:147]
	v_fmac_f64_e32 v[140:141], v[132:133], v[170:171]
	v_add_f64_e32 v[146:147], v[14:15], v[12:13]
	v_add_f64_e32 v[134:135], v[134:135], v[138:139]
	ds_load_b128 v[4:7], v2 offset:1664
	ds_load_b128 v[12:15], v2 offset:1680
	v_fma_f64 v[130:131], v[130:131], v[170:171], -v[142:143]
	s_wait_loadcnt_dscnt 0x301
	v_mul_f64_e32 v[138:139], v[4:5], v[176:177]
	v_mul_f64_e32 v[148:149], v[6:7], v[176:177]
	v_add_f64_e32 v[132:133], v[146:147], v[144:145]
	v_add_f64_e32 v[134:135], v[134:135], v[136:137]
	s_wait_loadcnt_dscnt 0x200
	v_mul_f64_e32 v[136:137], v[12:13], v[10:11]
	v_mul_f64_e32 v[10:11], v[14:15], v[10:11]
	v_fmac_f64_e32 v[138:139], v[6:7], v[174:175]
	v_fma_f64 v[142:143], v[4:5], v[174:175], -v[148:149]
	v_add_f64_e32 v[144:145], v[132:133], v[130:131]
	v_add_f64_e32 v[134:135], v[134:135], v[140:141]
	ds_load_b128 v[4:7], v2 offset:1696
	ds_load_b128 v[130:133], v2 offset:1712
	v_fmac_f64_e32 v[136:137], v[14:15], v[8:9]
	v_fma_f64 v[8:9], v[12:13], v[8:9], -v[10:11]
	s_wait_loadcnt_dscnt 0x101
	v_mul_f64_e32 v[2:3], v[4:5], v[164:165]
	v_mul_f64_e32 v[140:141], v[6:7], v[164:165]
	s_wait_loadcnt_dscnt 0x0
	v_mul_f64_e32 v[14:15], v[130:131], v[128:129]
	v_mul_f64_e32 v[128:129], v[132:133], v[128:129]
	v_add_f64_e32 v[10:11], v[144:145], v[142:143]
	v_add_f64_e32 v[12:13], v[134:135], v[138:139]
	v_fmac_f64_e32 v[2:3], v[6:7], v[162:163]
	v_fma_f64 v[4:5], v[4:5], v[162:163], -v[140:141]
	v_fmac_f64_e32 v[14:15], v[132:133], v[126:127]
	v_add_f64_e32 v[6:7], v[10:11], v[8:9]
	v_add_f64_e32 v[8:9], v[12:13], v[136:137]
	v_fma_f64 v[10:11], v[130:131], v[126:127], -v[128:129]
	s_delay_alu instid0(VALU_DEP_3) | instskip(NEXT) | instid1(VALU_DEP_3)
	v_add_f64_e32 v[4:5], v[6:7], v[4:5]
	v_add_f64_e32 v[2:3], v[8:9], v[2:3]
	s_delay_alu instid0(VALU_DEP_2) | instskip(NEXT) | instid1(VALU_DEP_2)
	v_add_f64_e32 v[4:5], v[4:5], v[10:11]
	v_add_f64_e32 v[6:7], v[2:3], v[14:15]
	s_delay_alu instid0(VALU_DEP_2) | instskip(NEXT) | instid1(VALU_DEP_2)
	v_add_f64_e64 v[2:3], v[166:167], -v[4:5]
	v_add_f64_e64 v[4:5], v[168:169], -v[6:7]
	scratch_store_b128 off, v[2:5], off offset:592
	s_wait_xcnt 0x0
	v_cmpx_lt_u32_e32 36, v1
	s_cbranch_execz .LBB53_265
; %bb.264:
	scratch_load_b128 v[2:5], off, s23
	v_mov_b32_e32 v6, 0
	s_delay_alu instid0(VALU_DEP_1)
	v_dual_mov_b32 v7, v6 :: v_dual_mov_b32 v8, v6
	v_mov_b32_e32 v9, v6
	scratch_store_b128 off, v[6:9], off offset:576
	s_wait_loadcnt 0x0
	ds_store_b128 v124, v[2:5]
.LBB53_265:
	s_wait_xcnt 0x0
	s_or_b32 exec_lo, exec_lo, s2
	s_wait_storecnt_dscnt 0x0
	s_barrier_signal -1
	s_barrier_wait -1
	s_clause 0x9
	scratch_load_b128 v[4:7], off, off offset:592
	scratch_load_b128 v[8:11], off, off offset:608
	;; [unrolled: 1-line block ×10, first 2 shown]
	v_mov_b32_e32 v2, 0
	s_mov_b32 s2, exec_lo
	ds_load_b128 v[154:157], v2 offset:1456
	s_clause 0x2
	scratch_load_b128 v[158:161], off, off offset:752
	scratch_load_b128 v[162:165], off, off offset:576
	;; [unrolled: 1-line block ×3, first 2 shown]
	s_wait_loadcnt_dscnt 0xc00
	v_mul_f64_e32 v[174:175], v[156:157], v[6:7]
	v_mul_f64_e32 v[178:179], v[154:155], v[6:7]
	ds_load_b128 v[166:169], v2 offset:1472
	v_fma_f64 v[182:183], v[154:155], v[4:5], -v[174:175]
	v_fmac_f64_e32 v[178:179], v[156:157], v[4:5]
	ds_load_b128 v[4:7], v2 offset:1488
	s_wait_loadcnt_dscnt 0xb01
	v_mul_f64_e32 v[180:181], v[166:167], v[10:11]
	v_mul_f64_e32 v[10:11], v[168:169], v[10:11]
	scratch_load_b128 v[154:157], off, off offset:784
	ds_load_b128 v[174:177], v2 offset:1504
	s_wait_loadcnt_dscnt 0xb01
	v_mul_f64_e32 v[184:185], v[4:5], v[14:15]
	v_mul_f64_e32 v[14:15], v[6:7], v[14:15]
	v_add_f64_e32 v[178:179], 0, v[178:179]
	v_fmac_f64_e32 v[180:181], v[168:169], v[8:9]
	v_fma_f64 v[166:167], v[166:167], v[8:9], -v[10:11]
	v_add_f64_e32 v[168:169], 0, v[182:183]
	scratch_load_b128 v[8:11], off, off offset:800
	v_fmac_f64_e32 v[184:185], v[6:7], v[12:13]
	v_fma_f64 v[186:187], v[4:5], v[12:13], -v[14:15]
	ds_load_b128 v[4:7], v2 offset:1520
	s_wait_loadcnt_dscnt 0xb01
	v_mul_f64_e32 v[182:183], v[174:175], v[128:129]
	v_mul_f64_e32 v[128:129], v[176:177], v[128:129]
	scratch_load_b128 v[12:15], off, off offset:816
	v_add_f64_e32 v[178:179], v[178:179], v[180:181]
	v_add_f64_e32 v[188:189], v[168:169], v[166:167]
	ds_load_b128 v[166:169], v2 offset:1536
	s_wait_loadcnt_dscnt 0xb01
	v_mul_f64_e32 v[180:181], v[4:5], v[132:133]
	v_mul_f64_e32 v[132:133], v[6:7], v[132:133]
	v_fmac_f64_e32 v[182:183], v[176:177], v[126:127]
	v_fma_f64 v[174:175], v[174:175], v[126:127], -v[128:129]
	scratch_load_b128 v[126:129], off, off offset:832
	v_add_f64_e32 v[178:179], v[178:179], v[184:185]
	v_add_f64_e32 v[176:177], v[188:189], v[186:187]
	v_fmac_f64_e32 v[180:181], v[6:7], v[130:131]
	v_fma_f64 v[186:187], v[4:5], v[130:131], -v[132:133]
	ds_load_b128 v[4:7], v2 offset:1552
	s_wait_loadcnt_dscnt 0xb01
	v_mul_f64_e32 v[184:185], v[166:167], v[136:137]
	v_mul_f64_e32 v[136:137], v[168:169], v[136:137]
	scratch_load_b128 v[130:133], off, off offset:848
	v_add_f64_e32 v[178:179], v[178:179], v[182:183]
	s_wait_loadcnt_dscnt 0xb00
	v_mul_f64_e32 v[182:183], v[4:5], v[140:141]
	v_add_f64_e32 v[188:189], v[176:177], v[174:175]
	v_mul_f64_e32 v[140:141], v[6:7], v[140:141]
	ds_load_b128 v[174:177], v2 offset:1568
	v_fmac_f64_e32 v[184:185], v[168:169], v[134:135]
	v_fma_f64 v[134:135], v[166:167], v[134:135], -v[136:137]
	s_wait_loadcnt_dscnt 0xa00
	v_mul_f64_e32 v[168:169], v[174:175], v[144:145]
	v_mul_f64_e32 v[144:145], v[176:177], v[144:145]
	v_add_f64_e32 v[166:167], v[178:179], v[180:181]
	v_fmac_f64_e32 v[182:183], v[6:7], v[138:139]
	v_add_f64_e32 v[136:137], v[188:189], v[186:187]
	v_fma_f64 v[138:139], v[4:5], v[138:139], -v[140:141]
	v_fmac_f64_e32 v[168:169], v[176:177], v[142:143]
	v_fma_f64 v[142:143], v[174:175], v[142:143], -v[144:145]
	v_add_f64_e32 v[166:167], v[166:167], v[184:185]
	v_add_f64_e32 v[140:141], v[136:137], v[134:135]
	ds_load_b128 v[4:7], v2 offset:1584
	ds_load_b128 v[134:137], v2 offset:1600
	s_wait_loadcnt_dscnt 0x901
	v_mul_f64_e32 v[178:179], v[4:5], v[148:149]
	v_mul_f64_e32 v[148:149], v[6:7], v[148:149]
	s_wait_loadcnt_dscnt 0x800
	v_mul_f64_e32 v[144:145], v[134:135], v[152:153]
	v_mul_f64_e32 v[152:153], v[136:137], v[152:153]
	v_add_f64_e32 v[138:139], v[140:141], v[138:139]
	v_add_f64_e32 v[140:141], v[166:167], v[182:183]
	v_fmac_f64_e32 v[178:179], v[6:7], v[146:147]
	v_fma_f64 v[146:147], v[4:5], v[146:147], -v[148:149]
	v_fmac_f64_e32 v[144:145], v[136:137], v[150:151]
	v_fma_f64 v[134:135], v[134:135], v[150:151], -v[152:153]
	v_add_f64_e32 v[142:143], v[138:139], v[142:143]
	v_add_f64_e32 v[148:149], v[140:141], v[168:169]
	ds_load_b128 v[4:7], v2 offset:1616
	ds_load_b128 v[138:141], v2 offset:1632
	s_wait_loadcnt_dscnt 0x701
	v_mul_f64_e32 v[166:167], v[4:5], v[160:161]
	v_mul_f64_e32 v[160:161], v[6:7], v[160:161]
	v_add_f64_e32 v[136:137], v[142:143], v[146:147]
	v_add_f64_e32 v[142:143], v[148:149], v[178:179]
	s_wait_loadcnt_dscnt 0x500
	v_mul_f64_e32 v[146:147], v[138:139], v[172:173]
	v_mul_f64_e32 v[148:149], v[140:141], v[172:173]
	v_fmac_f64_e32 v[166:167], v[6:7], v[158:159]
	v_fma_f64 v[150:151], v[4:5], v[158:159], -v[160:161]
	v_add_f64_e32 v[152:153], v[136:137], v[134:135]
	v_add_f64_e32 v[142:143], v[142:143], v[144:145]
	ds_load_b128 v[4:7], v2 offset:1648
	ds_load_b128 v[134:137], v2 offset:1664
	v_fmac_f64_e32 v[146:147], v[140:141], v[170:171]
	v_fma_f64 v[138:139], v[138:139], v[170:171], -v[148:149]
	s_wait_loadcnt_dscnt 0x401
	v_mul_f64_e32 v[144:145], v[4:5], v[156:157]
	v_mul_f64_e32 v[156:157], v[6:7], v[156:157]
	v_add_f64_e32 v[140:141], v[152:153], v[150:151]
	v_add_f64_e32 v[142:143], v[142:143], v[166:167]
	s_wait_loadcnt_dscnt 0x300
	v_mul_f64_e32 v[148:149], v[134:135], v[10:11]
	v_mul_f64_e32 v[10:11], v[136:137], v[10:11]
	v_fmac_f64_e32 v[144:145], v[6:7], v[154:155]
	v_fma_f64 v[150:151], v[4:5], v[154:155], -v[156:157]
	v_add_f64_e32 v[152:153], v[140:141], v[138:139]
	v_add_f64_e32 v[142:143], v[142:143], v[146:147]
	ds_load_b128 v[4:7], v2 offset:1680
	ds_load_b128 v[138:141], v2 offset:1696
	v_fmac_f64_e32 v[148:149], v[136:137], v[8:9]
	v_fma_f64 v[8:9], v[134:135], v[8:9], -v[10:11]
	s_wait_loadcnt_dscnt 0x201
	v_mul_f64_e32 v[146:147], v[4:5], v[14:15]
	v_mul_f64_e32 v[14:15], v[6:7], v[14:15]
	s_wait_loadcnt_dscnt 0x100
	v_mul_f64_e32 v[136:137], v[138:139], v[128:129]
	v_mul_f64_e32 v[128:129], v[140:141], v[128:129]
	v_add_f64_e32 v[10:11], v[152:153], v[150:151]
	v_add_f64_e32 v[134:135], v[142:143], v[144:145]
	v_fmac_f64_e32 v[146:147], v[6:7], v[12:13]
	v_fma_f64 v[12:13], v[4:5], v[12:13], -v[14:15]
	ds_load_b128 v[4:7], v2 offset:1712
	v_fmac_f64_e32 v[136:137], v[140:141], v[126:127]
	v_fma_f64 v[126:127], v[138:139], v[126:127], -v[128:129]
	v_add_f64_e32 v[8:9], v[10:11], v[8:9]
	v_add_f64_e32 v[10:11], v[134:135], v[148:149]
	s_wait_loadcnt_dscnt 0x0
	v_mul_f64_e32 v[14:15], v[4:5], v[132:133]
	v_mul_f64_e32 v[132:133], v[6:7], v[132:133]
	s_delay_alu instid0(VALU_DEP_4) | instskip(NEXT) | instid1(VALU_DEP_4)
	v_add_f64_e32 v[8:9], v[8:9], v[12:13]
	v_add_f64_e32 v[10:11], v[10:11], v[146:147]
	s_delay_alu instid0(VALU_DEP_4) | instskip(NEXT) | instid1(VALU_DEP_4)
	v_fmac_f64_e32 v[14:15], v[6:7], v[130:131]
	v_fma_f64 v[4:5], v[4:5], v[130:131], -v[132:133]
	s_delay_alu instid0(VALU_DEP_4) | instskip(NEXT) | instid1(VALU_DEP_4)
	v_add_f64_e32 v[6:7], v[8:9], v[126:127]
	v_add_f64_e32 v[8:9], v[10:11], v[136:137]
	s_delay_alu instid0(VALU_DEP_2) | instskip(NEXT) | instid1(VALU_DEP_2)
	v_add_f64_e32 v[4:5], v[6:7], v[4:5]
	v_add_f64_e32 v[6:7], v[8:9], v[14:15]
	s_delay_alu instid0(VALU_DEP_2) | instskip(NEXT) | instid1(VALU_DEP_2)
	v_add_f64_e64 v[4:5], v[162:163], -v[4:5]
	v_add_f64_e64 v[6:7], v[164:165], -v[6:7]
	scratch_store_b128 off, v[4:7], off offset:576
	s_wait_xcnt 0x0
	v_cmpx_lt_u32_e32 35, v1
	s_cbranch_execz .LBB53_267
; %bb.266:
	scratch_load_b128 v[6:9], off, s22
	v_dual_mov_b32 v3, v2 :: v_dual_mov_b32 v4, v2
	v_mov_b32_e32 v5, v2
	scratch_store_b128 off, v[2:5], off offset:560
	s_wait_loadcnt 0x0
	ds_store_b128 v124, v[6:9]
.LBB53_267:
	s_wait_xcnt 0x0
	s_or_b32 exec_lo, exec_lo, s2
	s_wait_storecnt_dscnt 0x0
	s_barrier_signal -1
	s_barrier_wait -1
	s_clause 0x9
	scratch_load_b128 v[4:7], off, off offset:576
	scratch_load_b128 v[8:11], off, off offset:592
	;; [unrolled: 1-line block ×10, first 2 shown]
	ds_load_b128 v[154:157], v2 offset:1440
	ds_load_b128 v[162:165], v2 offset:1456
	s_clause 0x2
	scratch_load_b128 v[158:161], off, off offset:736
	scratch_load_b128 v[166:169], off, off offset:560
	;; [unrolled: 1-line block ×3, first 2 shown]
	s_mov_b32 s2, exec_lo
	s_wait_loadcnt_dscnt 0xc01
	v_mul_f64_e32 v[174:175], v[156:157], v[6:7]
	v_mul_f64_e32 v[178:179], v[154:155], v[6:7]
	s_wait_loadcnt_dscnt 0xb00
	v_mul_f64_e32 v[180:181], v[162:163], v[10:11]
	v_mul_f64_e32 v[10:11], v[164:165], v[10:11]
	s_delay_alu instid0(VALU_DEP_4) | instskip(NEXT) | instid1(VALU_DEP_4)
	v_fma_f64 v[182:183], v[154:155], v[4:5], -v[174:175]
	v_fmac_f64_e32 v[178:179], v[156:157], v[4:5]
	ds_load_b128 v[4:7], v2 offset:1472
	ds_load_b128 v[154:157], v2 offset:1488
	scratch_load_b128 v[174:177], off, off offset:768
	v_fmac_f64_e32 v[180:181], v[164:165], v[8:9]
	v_fma_f64 v[162:163], v[162:163], v[8:9], -v[10:11]
	scratch_load_b128 v[8:11], off, off offset:784
	s_wait_loadcnt_dscnt 0xc01
	v_mul_f64_e32 v[184:185], v[4:5], v[14:15]
	v_mul_f64_e32 v[14:15], v[6:7], v[14:15]
	v_add_f64_e32 v[164:165], 0, v[182:183]
	v_add_f64_e32 v[178:179], 0, v[178:179]
	s_wait_loadcnt_dscnt 0xb00
	v_mul_f64_e32 v[182:183], v[154:155], v[128:129]
	v_mul_f64_e32 v[128:129], v[156:157], v[128:129]
	v_fmac_f64_e32 v[184:185], v[6:7], v[12:13]
	v_fma_f64 v[186:187], v[4:5], v[12:13], -v[14:15]
	ds_load_b128 v[4:7], v2 offset:1504
	ds_load_b128 v[12:15], v2 offset:1520
	v_add_f64_e32 v[188:189], v[164:165], v[162:163]
	v_add_f64_e32 v[178:179], v[178:179], v[180:181]
	scratch_load_b128 v[162:165], off, off offset:800
	v_fmac_f64_e32 v[182:183], v[156:157], v[126:127]
	v_fma_f64 v[154:155], v[154:155], v[126:127], -v[128:129]
	scratch_load_b128 v[126:129], off, off offset:816
	s_wait_loadcnt_dscnt 0xc01
	v_mul_f64_e32 v[180:181], v[4:5], v[132:133]
	v_mul_f64_e32 v[132:133], v[6:7], v[132:133]
	v_add_f64_e32 v[156:157], v[188:189], v[186:187]
	v_add_f64_e32 v[178:179], v[178:179], v[184:185]
	s_wait_loadcnt_dscnt 0xb00
	v_mul_f64_e32 v[184:185], v[12:13], v[136:137]
	v_mul_f64_e32 v[136:137], v[14:15], v[136:137]
	v_fmac_f64_e32 v[180:181], v[6:7], v[130:131]
	v_fma_f64 v[186:187], v[4:5], v[130:131], -v[132:133]
	ds_load_b128 v[4:7], v2 offset:1536
	ds_load_b128 v[130:133], v2 offset:1552
	v_add_f64_e32 v[188:189], v[156:157], v[154:155]
	v_add_f64_e32 v[178:179], v[178:179], v[182:183]
	scratch_load_b128 v[154:157], off, off offset:832
	s_wait_loadcnt_dscnt 0xb01
	v_mul_f64_e32 v[182:183], v[4:5], v[140:141]
	v_mul_f64_e32 v[140:141], v[6:7], v[140:141]
	v_fmac_f64_e32 v[184:185], v[14:15], v[134:135]
	v_fma_f64 v[134:135], v[12:13], v[134:135], -v[136:137]
	scratch_load_b128 v[12:15], off, off offset:848
	v_add_f64_e32 v[136:137], v[188:189], v[186:187]
	v_add_f64_e32 v[178:179], v[178:179], v[180:181]
	s_wait_loadcnt_dscnt 0xb00
	v_mul_f64_e32 v[180:181], v[130:131], v[144:145]
	v_mul_f64_e32 v[144:145], v[132:133], v[144:145]
	v_fmac_f64_e32 v[182:183], v[6:7], v[138:139]
	v_fma_f64 v[138:139], v[4:5], v[138:139], -v[140:141]
	v_add_f64_e32 v[140:141], v[136:137], v[134:135]
	v_add_f64_e32 v[178:179], v[178:179], v[184:185]
	ds_load_b128 v[4:7], v2 offset:1568
	ds_load_b128 v[134:137], v2 offset:1584
	v_fmac_f64_e32 v[180:181], v[132:133], v[142:143]
	v_fma_f64 v[130:131], v[130:131], v[142:143], -v[144:145]
	s_wait_loadcnt_dscnt 0xa01
	v_mul_f64_e32 v[184:185], v[4:5], v[148:149]
	v_mul_f64_e32 v[148:149], v[6:7], v[148:149]
	s_wait_loadcnt_dscnt 0x900
	v_mul_f64_e32 v[142:143], v[136:137], v[152:153]
	v_add_f64_e32 v[132:133], v[140:141], v[138:139]
	v_add_f64_e32 v[138:139], v[178:179], v[182:183]
	v_mul_f64_e32 v[140:141], v[134:135], v[152:153]
	v_fmac_f64_e32 v[184:185], v[6:7], v[146:147]
	v_fma_f64 v[144:145], v[4:5], v[146:147], -v[148:149]
	v_fma_f64 v[134:135], v[134:135], v[150:151], -v[142:143]
	v_add_f64_e32 v[146:147], v[132:133], v[130:131]
	v_add_f64_e32 v[138:139], v[138:139], v[180:181]
	ds_load_b128 v[4:7], v2 offset:1600
	ds_load_b128 v[130:133], v2 offset:1616
	v_fmac_f64_e32 v[140:141], v[136:137], v[150:151]
	s_wait_loadcnt_dscnt 0x801
	v_mul_f64_e32 v[148:149], v[4:5], v[160:161]
	v_mul_f64_e32 v[152:153], v[6:7], v[160:161]
	s_wait_loadcnt_dscnt 0x600
	v_mul_f64_e32 v[142:143], v[130:131], v[172:173]
	v_add_f64_e32 v[136:137], v[146:147], v[144:145]
	v_add_f64_e32 v[138:139], v[138:139], v[184:185]
	v_mul_f64_e32 v[144:145], v[132:133], v[172:173]
	v_fmac_f64_e32 v[148:149], v[6:7], v[158:159]
	v_fma_f64 v[146:147], v[4:5], v[158:159], -v[152:153]
	v_fmac_f64_e32 v[142:143], v[132:133], v[170:171]
	v_add_f64_e32 v[150:151], v[136:137], v[134:135]
	v_add_f64_e32 v[138:139], v[138:139], v[140:141]
	ds_load_b128 v[4:7], v2 offset:1632
	ds_load_b128 v[134:137], v2 offset:1648
	v_fma_f64 v[130:131], v[130:131], v[170:171], -v[144:145]
	s_wait_loadcnt_dscnt 0x501
	v_mul_f64_e32 v[140:141], v[4:5], v[176:177]
	v_mul_f64_e32 v[152:153], v[6:7], v[176:177]
	s_wait_loadcnt_dscnt 0x400
	v_mul_f64_e32 v[144:145], v[134:135], v[10:11]
	v_mul_f64_e32 v[10:11], v[136:137], v[10:11]
	v_add_f64_e32 v[132:133], v[150:151], v[146:147]
	v_add_f64_e32 v[138:139], v[138:139], v[148:149]
	v_fmac_f64_e32 v[140:141], v[6:7], v[174:175]
	v_fma_f64 v[146:147], v[4:5], v[174:175], -v[152:153]
	v_fmac_f64_e32 v[144:145], v[136:137], v[8:9]
	v_fma_f64 v[8:9], v[134:135], v[8:9], -v[10:11]
	v_add_f64_e32 v[148:149], v[132:133], v[130:131]
	v_add_f64_e32 v[138:139], v[138:139], v[142:143]
	ds_load_b128 v[4:7], v2 offset:1664
	ds_load_b128 v[130:133], v2 offset:1680
	s_wait_loadcnt_dscnt 0x301
	v_mul_f64_e32 v[142:143], v[4:5], v[164:165]
	v_mul_f64_e32 v[150:151], v[6:7], v[164:165]
	s_wait_loadcnt_dscnt 0x200
	v_mul_f64_e32 v[136:137], v[130:131], v[128:129]
	v_mul_f64_e32 v[128:129], v[132:133], v[128:129]
	v_add_f64_e32 v[10:11], v[148:149], v[146:147]
	v_add_f64_e32 v[134:135], v[138:139], v[140:141]
	v_fmac_f64_e32 v[142:143], v[6:7], v[162:163]
	v_fma_f64 v[138:139], v[4:5], v[162:163], -v[150:151]
	v_fmac_f64_e32 v[136:137], v[132:133], v[126:127]
	v_fma_f64 v[126:127], v[130:131], v[126:127], -v[128:129]
	v_add_f64_e32 v[140:141], v[10:11], v[8:9]
	v_add_f64_e32 v[134:135], v[134:135], v[144:145]
	ds_load_b128 v[4:7], v2 offset:1696
	ds_load_b128 v[8:11], v2 offset:1712
	s_wait_loadcnt_dscnt 0x101
	v_mul_f64_e32 v[2:3], v[4:5], v[156:157]
	v_mul_f64_e32 v[144:145], v[6:7], v[156:157]
	s_wait_loadcnt_dscnt 0x0
	v_mul_f64_e32 v[132:133], v[8:9], v[14:15]
	v_mul_f64_e32 v[14:15], v[10:11], v[14:15]
	v_add_f64_e32 v[128:129], v[140:141], v[138:139]
	v_add_f64_e32 v[130:131], v[134:135], v[142:143]
	v_fmac_f64_e32 v[2:3], v[6:7], v[154:155]
	v_fma_f64 v[4:5], v[4:5], v[154:155], -v[144:145]
	v_fmac_f64_e32 v[132:133], v[10:11], v[12:13]
	v_fma_f64 v[8:9], v[8:9], v[12:13], -v[14:15]
	v_add_f64_e32 v[6:7], v[128:129], v[126:127]
	v_add_f64_e32 v[126:127], v[130:131], v[136:137]
	s_delay_alu instid0(VALU_DEP_2) | instskip(NEXT) | instid1(VALU_DEP_2)
	v_add_f64_e32 v[4:5], v[6:7], v[4:5]
	v_add_f64_e32 v[2:3], v[126:127], v[2:3]
	s_delay_alu instid0(VALU_DEP_2) | instskip(NEXT) | instid1(VALU_DEP_2)
	;; [unrolled: 3-line block ×3, first 2 shown]
	v_add_f64_e64 v[2:3], v[166:167], -v[4:5]
	v_add_f64_e64 v[4:5], v[168:169], -v[6:7]
	scratch_store_b128 off, v[2:5], off offset:560
	s_wait_xcnt 0x0
	v_cmpx_lt_u32_e32 34, v1
	s_cbranch_execz .LBB53_269
; %bb.268:
	scratch_load_b128 v[2:5], off, s25
	v_mov_b32_e32 v6, 0
	s_delay_alu instid0(VALU_DEP_1)
	v_dual_mov_b32 v7, v6 :: v_dual_mov_b32 v8, v6
	v_mov_b32_e32 v9, v6
	scratch_store_b128 off, v[6:9], off offset:544
	s_wait_loadcnt 0x0
	ds_store_b128 v124, v[2:5]
.LBB53_269:
	s_wait_xcnt 0x0
	s_or_b32 exec_lo, exec_lo, s2
	s_wait_storecnt_dscnt 0x0
	s_barrier_signal -1
	s_barrier_wait -1
	s_clause 0x9
	scratch_load_b128 v[4:7], off, off offset:560
	scratch_load_b128 v[8:11], off, off offset:576
	;; [unrolled: 1-line block ×10, first 2 shown]
	v_mov_b32_e32 v2, 0
	s_mov_b32 s2, exec_lo
	ds_load_b128 v[154:157], v2 offset:1424
	s_clause 0x2
	scratch_load_b128 v[158:161], off, off offset:720
	scratch_load_b128 v[162:165], off, off offset:544
	;; [unrolled: 1-line block ×3, first 2 shown]
	s_wait_loadcnt_dscnt 0xc00
	v_mul_f64_e32 v[174:175], v[156:157], v[6:7]
	v_mul_f64_e32 v[178:179], v[154:155], v[6:7]
	ds_load_b128 v[166:169], v2 offset:1440
	v_fma_f64 v[182:183], v[154:155], v[4:5], -v[174:175]
	v_fmac_f64_e32 v[178:179], v[156:157], v[4:5]
	ds_load_b128 v[4:7], v2 offset:1456
	s_wait_loadcnt_dscnt 0xb01
	v_mul_f64_e32 v[180:181], v[166:167], v[10:11]
	v_mul_f64_e32 v[10:11], v[168:169], v[10:11]
	scratch_load_b128 v[154:157], off, off offset:752
	ds_load_b128 v[174:177], v2 offset:1472
	s_wait_loadcnt_dscnt 0xb01
	v_mul_f64_e32 v[184:185], v[4:5], v[14:15]
	v_mul_f64_e32 v[14:15], v[6:7], v[14:15]
	v_add_f64_e32 v[178:179], 0, v[178:179]
	v_fmac_f64_e32 v[180:181], v[168:169], v[8:9]
	v_fma_f64 v[166:167], v[166:167], v[8:9], -v[10:11]
	v_add_f64_e32 v[168:169], 0, v[182:183]
	scratch_load_b128 v[8:11], off, off offset:768
	v_fmac_f64_e32 v[184:185], v[6:7], v[12:13]
	v_fma_f64 v[186:187], v[4:5], v[12:13], -v[14:15]
	ds_load_b128 v[4:7], v2 offset:1488
	s_wait_loadcnt_dscnt 0xb01
	v_mul_f64_e32 v[182:183], v[174:175], v[128:129]
	v_mul_f64_e32 v[128:129], v[176:177], v[128:129]
	scratch_load_b128 v[12:15], off, off offset:784
	v_add_f64_e32 v[178:179], v[178:179], v[180:181]
	v_add_f64_e32 v[188:189], v[168:169], v[166:167]
	ds_load_b128 v[166:169], v2 offset:1504
	s_wait_loadcnt_dscnt 0xb01
	v_mul_f64_e32 v[180:181], v[4:5], v[132:133]
	v_mul_f64_e32 v[132:133], v[6:7], v[132:133]
	v_fmac_f64_e32 v[182:183], v[176:177], v[126:127]
	v_fma_f64 v[174:175], v[174:175], v[126:127], -v[128:129]
	scratch_load_b128 v[126:129], off, off offset:800
	v_add_f64_e32 v[178:179], v[178:179], v[184:185]
	v_add_f64_e32 v[176:177], v[188:189], v[186:187]
	v_fmac_f64_e32 v[180:181], v[6:7], v[130:131]
	v_fma_f64 v[186:187], v[4:5], v[130:131], -v[132:133]
	ds_load_b128 v[4:7], v2 offset:1520
	s_wait_loadcnt_dscnt 0xb01
	v_mul_f64_e32 v[184:185], v[166:167], v[136:137]
	v_mul_f64_e32 v[136:137], v[168:169], v[136:137]
	scratch_load_b128 v[130:133], off, off offset:816
	v_add_f64_e32 v[178:179], v[178:179], v[182:183]
	s_wait_loadcnt_dscnt 0xb00
	v_mul_f64_e32 v[182:183], v[4:5], v[140:141]
	v_add_f64_e32 v[188:189], v[176:177], v[174:175]
	v_mul_f64_e32 v[140:141], v[6:7], v[140:141]
	ds_load_b128 v[174:177], v2 offset:1536
	v_fmac_f64_e32 v[184:185], v[168:169], v[134:135]
	v_fma_f64 v[166:167], v[166:167], v[134:135], -v[136:137]
	scratch_load_b128 v[134:137], off, off offset:832
	v_add_f64_e32 v[178:179], v[178:179], v[180:181]
	v_fmac_f64_e32 v[182:183], v[6:7], v[138:139]
	v_add_f64_e32 v[168:169], v[188:189], v[186:187]
	v_fma_f64 v[186:187], v[4:5], v[138:139], -v[140:141]
	ds_load_b128 v[4:7], v2 offset:1552
	s_wait_loadcnt_dscnt 0xb01
	v_mul_f64_e32 v[180:181], v[174:175], v[144:145]
	v_mul_f64_e32 v[144:145], v[176:177], v[144:145]
	scratch_load_b128 v[138:141], off, off offset:848
	v_add_f64_e32 v[178:179], v[178:179], v[184:185]
	s_wait_loadcnt_dscnt 0xb00
	v_mul_f64_e32 v[184:185], v[4:5], v[148:149]
	v_add_f64_e32 v[188:189], v[168:169], v[166:167]
	v_mul_f64_e32 v[148:149], v[6:7], v[148:149]
	ds_load_b128 v[166:169], v2 offset:1568
	v_fmac_f64_e32 v[180:181], v[176:177], v[142:143]
	v_fma_f64 v[142:143], v[174:175], v[142:143], -v[144:145]
	s_wait_loadcnt_dscnt 0xa00
	v_mul_f64_e32 v[176:177], v[166:167], v[152:153]
	v_mul_f64_e32 v[152:153], v[168:169], v[152:153]
	v_add_f64_e32 v[174:175], v[178:179], v[182:183]
	v_fmac_f64_e32 v[184:185], v[6:7], v[146:147]
	v_add_f64_e32 v[144:145], v[188:189], v[186:187]
	v_fma_f64 v[146:147], v[4:5], v[146:147], -v[148:149]
	v_fmac_f64_e32 v[176:177], v[168:169], v[150:151]
	v_fma_f64 v[150:151], v[166:167], v[150:151], -v[152:153]
	v_add_f64_e32 v[174:175], v[174:175], v[180:181]
	v_add_f64_e32 v[148:149], v[144:145], v[142:143]
	ds_load_b128 v[4:7], v2 offset:1584
	ds_load_b128 v[142:145], v2 offset:1600
	s_wait_loadcnt_dscnt 0x901
	v_mul_f64_e32 v[178:179], v[4:5], v[160:161]
	v_mul_f64_e32 v[160:161], v[6:7], v[160:161]
	s_wait_loadcnt_dscnt 0x700
	v_mul_f64_e32 v[152:153], v[142:143], v[172:173]
	v_mul_f64_e32 v[166:167], v[144:145], v[172:173]
	v_add_f64_e32 v[146:147], v[148:149], v[146:147]
	v_add_f64_e32 v[148:149], v[174:175], v[184:185]
	v_fmac_f64_e32 v[178:179], v[6:7], v[158:159]
	v_fma_f64 v[158:159], v[4:5], v[158:159], -v[160:161]
	v_fmac_f64_e32 v[152:153], v[144:145], v[170:171]
	v_fma_f64 v[142:143], v[142:143], v[170:171], -v[166:167]
	v_add_f64_e32 v[150:151], v[146:147], v[150:151]
	v_add_f64_e32 v[160:161], v[148:149], v[176:177]
	ds_load_b128 v[4:7], v2 offset:1616
	ds_load_b128 v[146:149], v2 offset:1632
	s_wait_loadcnt_dscnt 0x601
	v_mul_f64_e32 v[168:169], v[4:5], v[156:157]
	v_mul_f64_e32 v[156:157], v[6:7], v[156:157]
	v_add_f64_e32 v[144:145], v[150:151], v[158:159]
	v_add_f64_e32 v[150:151], v[160:161], v[178:179]
	s_wait_loadcnt_dscnt 0x500
	v_mul_f64_e32 v[158:159], v[146:147], v[10:11]
	v_mul_f64_e32 v[10:11], v[148:149], v[10:11]
	v_fmac_f64_e32 v[168:169], v[6:7], v[154:155]
	v_fma_f64 v[154:155], v[4:5], v[154:155], -v[156:157]
	v_add_f64_e32 v[156:157], v[144:145], v[142:143]
	v_add_f64_e32 v[150:151], v[150:151], v[152:153]
	ds_load_b128 v[4:7], v2 offset:1648
	ds_load_b128 v[142:145], v2 offset:1664
	v_fmac_f64_e32 v[158:159], v[148:149], v[8:9]
	v_fma_f64 v[8:9], v[146:147], v[8:9], -v[10:11]
	s_wait_loadcnt_dscnt 0x401
	v_mul_f64_e32 v[152:153], v[4:5], v[14:15]
	v_mul_f64_e32 v[14:15], v[6:7], v[14:15]
	s_wait_loadcnt_dscnt 0x300
	v_mul_f64_e32 v[148:149], v[142:143], v[128:129]
	v_mul_f64_e32 v[128:129], v[144:145], v[128:129]
	v_add_f64_e32 v[10:11], v[156:157], v[154:155]
	v_add_f64_e32 v[146:147], v[150:151], v[168:169]
	v_fmac_f64_e32 v[152:153], v[6:7], v[12:13]
	v_fma_f64 v[12:13], v[4:5], v[12:13], -v[14:15]
	v_fmac_f64_e32 v[148:149], v[144:145], v[126:127]
	v_fma_f64 v[126:127], v[142:143], v[126:127], -v[128:129]
	v_add_f64_e32 v[14:15], v[10:11], v[8:9]
	v_add_f64_e32 v[146:147], v[146:147], v[158:159]
	ds_load_b128 v[4:7], v2 offset:1680
	ds_load_b128 v[8:11], v2 offset:1696
	s_wait_loadcnt_dscnt 0x201
	v_mul_f64_e32 v[150:151], v[4:5], v[132:133]
	v_mul_f64_e32 v[132:133], v[6:7], v[132:133]
	s_wait_loadcnt_dscnt 0x100
	v_mul_f64_e32 v[128:129], v[8:9], v[136:137]
	v_mul_f64_e32 v[136:137], v[10:11], v[136:137]
	v_add_f64_e32 v[12:13], v[14:15], v[12:13]
	v_add_f64_e32 v[14:15], v[146:147], v[152:153]
	v_fmac_f64_e32 v[150:151], v[6:7], v[130:131]
	v_fma_f64 v[130:131], v[4:5], v[130:131], -v[132:133]
	ds_load_b128 v[4:7], v2 offset:1712
	v_fmac_f64_e32 v[128:129], v[10:11], v[134:135]
	v_fma_f64 v[8:9], v[8:9], v[134:135], -v[136:137]
	v_add_f64_e32 v[12:13], v[12:13], v[126:127]
	v_add_f64_e32 v[14:15], v[14:15], v[148:149]
	s_wait_loadcnt_dscnt 0x0
	v_mul_f64_e32 v[126:127], v[4:5], v[140:141]
	v_mul_f64_e32 v[132:133], v[6:7], v[140:141]
	s_delay_alu instid0(VALU_DEP_4) | instskip(NEXT) | instid1(VALU_DEP_4)
	v_add_f64_e32 v[10:11], v[12:13], v[130:131]
	v_add_f64_e32 v[12:13], v[14:15], v[150:151]
	s_delay_alu instid0(VALU_DEP_4) | instskip(NEXT) | instid1(VALU_DEP_4)
	v_fmac_f64_e32 v[126:127], v[6:7], v[138:139]
	v_fma_f64 v[4:5], v[4:5], v[138:139], -v[132:133]
	s_delay_alu instid0(VALU_DEP_4) | instskip(NEXT) | instid1(VALU_DEP_4)
	v_add_f64_e32 v[6:7], v[10:11], v[8:9]
	v_add_f64_e32 v[8:9], v[12:13], v[128:129]
	s_delay_alu instid0(VALU_DEP_2) | instskip(NEXT) | instid1(VALU_DEP_2)
	v_add_f64_e32 v[4:5], v[6:7], v[4:5]
	v_add_f64_e32 v[6:7], v[8:9], v[126:127]
	s_delay_alu instid0(VALU_DEP_2) | instskip(NEXT) | instid1(VALU_DEP_2)
	v_add_f64_e64 v[4:5], v[162:163], -v[4:5]
	v_add_f64_e64 v[6:7], v[164:165], -v[6:7]
	scratch_store_b128 off, v[4:7], off offset:544
	s_wait_xcnt 0x0
	v_cmpx_lt_u32_e32 33, v1
	s_cbranch_execz .LBB53_271
; %bb.270:
	scratch_load_b128 v[6:9], off, s24
	v_dual_mov_b32 v3, v2 :: v_dual_mov_b32 v4, v2
	v_mov_b32_e32 v5, v2
	scratch_store_b128 off, v[2:5], off offset:528
	s_wait_loadcnt 0x0
	ds_store_b128 v124, v[6:9]
.LBB53_271:
	s_wait_xcnt 0x0
	s_or_b32 exec_lo, exec_lo, s2
	s_wait_storecnt_dscnt 0x0
	s_barrier_signal -1
	s_barrier_wait -1
	s_clause 0x9
	scratch_load_b128 v[4:7], off, off offset:544
	scratch_load_b128 v[8:11], off, off offset:560
	;; [unrolled: 1-line block ×10, first 2 shown]
	ds_load_b128 v[154:157], v2 offset:1408
	ds_load_b128 v[162:165], v2 offset:1424
	s_clause 0x2
	scratch_load_b128 v[158:161], off, off offset:704
	scratch_load_b128 v[166:169], off, off offset:528
	;; [unrolled: 1-line block ×3, first 2 shown]
	s_mov_b32 s2, exec_lo
	s_wait_loadcnt_dscnt 0xc01
	v_mul_f64_e32 v[174:175], v[156:157], v[6:7]
	v_mul_f64_e32 v[178:179], v[154:155], v[6:7]
	s_wait_loadcnt_dscnt 0xb00
	v_mul_f64_e32 v[180:181], v[162:163], v[10:11]
	v_mul_f64_e32 v[10:11], v[164:165], v[10:11]
	s_delay_alu instid0(VALU_DEP_4) | instskip(NEXT) | instid1(VALU_DEP_4)
	v_fma_f64 v[182:183], v[154:155], v[4:5], -v[174:175]
	v_fmac_f64_e32 v[178:179], v[156:157], v[4:5]
	ds_load_b128 v[4:7], v2 offset:1440
	ds_load_b128 v[154:157], v2 offset:1456
	scratch_load_b128 v[174:177], off, off offset:736
	v_fmac_f64_e32 v[180:181], v[164:165], v[8:9]
	v_fma_f64 v[162:163], v[162:163], v[8:9], -v[10:11]
	scratch_load_b128 v[8:11], off, off offset:752
	s_wait_loadcnt_dscnt 0xc01
	v_mul_f64_e32 v[184:185], v[4:5], v[14:15]
	v_mul_f64_e32 v[14:15], v[6:7], v[14:15]
	v_add_f64_e32 v[164:165], 0, v[182:183]
	v_add_f64_e32 v[178:179], 0, v[178:179]
	s_wait_loadcnt_dscnt 0xb00
	v_mul_f64_e32 v[182:183], v[154:155], v[128:129]
	v_mul_f64_e32 v[128:129], v[156:157], v[128:129]
	v_fmac_f64_e32 v[184:185], v[6:7], v[12:13]
	v_fma_f64 v[186:187], v[4:5], v[12:13], -v[14:15]
	ds_load_b128 v[4:7], v2 offset:1472
	ds_load_b128 v[12:15], v2 offset:1488
	v_add_f64_e32 v[188:189], v[164:165], v[162:163]
	v_add_f64_e32 v[178:179], v[178:179], v[180:181]
	scratch_load_b128 v[162:165], off, off offset:768
	v_fmac_f64_e32 v[182:183], v[156:157], v[126:127]
	v_fma_f64 v[154:155], v[154:155], v[126:127], -v[128:129]
	scratch_load_b128 v[126:129], off, off offset:784
	s_wait_loadcnt_dscnt 0xc01
	v_mul_f64_e32 v[180:181], v[4:5], v[132:133]
	v_mul_f64_e32 v[132:133], v[6:7], v[132:133]
	v_add_f64_e32 v[156:157], v[188:189], v[186:187]
	v_add_f64_e32 v[178:179], v[178:179], v[184:185]
	s_wait_loadcnt_dscnt 0xb00
	v_mul_f64_e32 v[184:185], v[12:13], v[136:137]
	v_mul_f64_e32 v[136:137], v[14:15], v[136:137]
	v_fmac_f64_e32 v[180:181], v[6:7], v[130:131]
	v_fma_f64 v[186:187], v[4:5], v[130:131], -v[132:133]
	ds_load_b128 v[4:7], v2 offset:1504
	ds_load_b128 v[130:133], v2 offset:1520
	v_add_f64_e32 v[188:189], v[156:157], v[154:155]
	v_add_f64_e32 v[178:179], v[178:179], v[182:183]
	scratch_load_b128 v[154:157], off, off offset:800
	s_wait_loadcnt_dscnt 0xb01
	v_mul_f64_e32 v[182:183], v[4:5], v[140:141]
	v_mul_f64_e32 v[140:141], v[6:7], v[140:141]
	v_fmac_f64_e32 v[184:185], v[14:15], v[134:135]
	v_fma_f64 v[134:135], v[12:13], v[134:135], -v[136:137]
	scratch_load_b128 v[12:15], off, off offset:816
	v_add_f64_e32 v[136:137], v[188:189], v[186:187]
	v_add_f64_e32 v[178:179], v[178:179], v[180:181]
	s_wait_loadcnt_dscnt 0xb00
	v_mul_f64_e32 v[180:181], v[130:131], v[144:145]
	v_mul_f64_e32 v[144:145], v[132:133], v[144:145]
	v_fmac_f64_e32 v[182:183], v[6:7], v[138:139]
	v_fma_f64 v[186:187], v[4:5], v[138:139], -v[140:141]
	v_add_f64_e32 v[188:189], v[136:137], v[134:135]
	v_add_f64_e32 v[178:179], v[178:179], v[184:185]
	ds_load_b128 v[4:7], v2 offset:1536
	ds_load_b128 v[134:137], v2 offset:1552
	scratch_load_b128 v[138:141], off, off offset:832
	v_fmac_f64_e32 v[180:181], v[132:133], v[142:143]
	v_fma_f64 v[142:143], v[130:131], v[142:143], -v[144:145]
	scratch_load_b128 v[130:133], off, off offset:848
	s_wait_loadcnt_dscnt 0xc01
	v_mul_f64_e32 v[184:185], v[4:5], v[148:149]
	v_mul_f64_e32 v[148:149], v[6:7], v[148:149]
	v_add_f64_e32 v[144:145], v[188:189], v[186:187]
	v_add_f64_e32 v[178:179], v[178:179], v[182:183]
	s_wait_loadcnt_dscnt 0xb00
	v_mul_f64_e32 v[182:183], v[134:135], v[152:153]
	v_mul_f64_e32 v[152:153], v[136:137], v[152:153]
	v_fmac_f64_e32 v[184:185], v[6:7], v[146:147]
	v_fma_f64 v[146:147], v[4:5], v[146:147], -v[148:149]
	v_add_f64_e32 v[148:149], v[144:145], v[142:143]
	v_add_f64_e32 v[178:179], v[178:179], v[180:181]
	ds_load_b128 v[4:7], v2 offset:1568
	ds_load_b128 v[142:145], v2 offset:1584
	v_fmac_f64_e32 v[182:183], v[136:137], v[150:151]
	v_fma_f64 v[134:135], v[134:135], v[150:151], -v[152:153]
	s_wait_loadcnt_dscnt 0xa01
	v_mul_f64_e32 v[180:181], v[4:5], v[160:161]
	v_mul_f64_e32 v[160:161], v[6:7], v[160:161]
	s_wait_loadcnt_dscnt 0x800
	v_mul_f64_e32 v[150:151], v[144:145], v[172:173]
	v_add_f64_e32 v[136:137], v[148:149], v[146:147]
	v_add_f64_e32 v[146:147], v[178:179], v[184:185]
	v_mul_f64_e32 v[148:149], v[142:143], v[172:173]
	v_fmac_f64_e32 v[180:181], v[6:7], v[158:159]
	v_fma_f64 v[152:153], v[4:5], v[158:159], -v[160:161]
	v_fma_f64 v[142:143], v[142:143], v[170:171], -v[150:151]
	v_add_f64_e32 v[158:159], v[136:137], v[134:135]
	v_add_f64_e32 v[146:147], v[146:147], v[182:183]
	ds_load_b128 v[4:7], v2 offset:1600
	ds_load_b128 v[134:137], v2 offset:1616
	v_fmac_f64_e32 v[148:149], v[144:145], v[170:171]
	s_wait_loadcnt_dscnt 0x701
	v_mul_f64_e32 v[160:161], v[4:5], v[176:177]
	v_mul_f64_e32 v[172:173], v[6:7], v[176:177]
	s_wait_loadcnt_dscnt 0x600
	v_mul_f64_e32 v[150:151], v[134:135], v[10:11]
	v_mul_f64_e32 v[10:11], v[136:137], v[10:11]
	v_add_f64_e32 v[144:145], v[158:159], v[152:153]
	v_add_f64_e32 v[146:147], v[146:147], v[180:181]
	v_fmac_f64_e32 v[160:161], v[6:7], v[174:175]
	v_fma_f64 v[152:153], v[4:5], v[174:175], -v[172:173]
	v_fmac_f64_e32 v[150:151], v[136:137], v[8:9]
	v_fma_f64 v[8:9], v[134:135], v[8:9], -v[10:11]
	v_add_f64_e32 v[158:159], v[144:145], v[142:143]
	v_add_f64_e32 v[146:147], v[146:147], v[148:149]
	ds_load_b128 v[4:7], v2 offset:1632
	ds_load_b128 v[142:145], v2 offset:1648
	s_wait_loadcnt_dscnt 0x501
	v_mul_f64_e32 v[148:149], v[4:5], v[164:165]
	v_mul_f64_e32 v[164:165], v[6:7], v[164:165]
	s_wait_loadcnt_dscnt 0x400
	v_mul_f64_e32 v[136:137], v[142:143], v[128:129]
	v_mul_f64_e32 v[128:129], v[144:145], v[128:129]
	v_add_f64_e32 v[10:11], v[158:159], v[152:153]
	v_add_f64_e32 v[134:135], v[146:147], v[160:161]
	v_fmac_f64_e32 v[148:149], v[6:7], v[162:163]
	v_fma_f64 v[146:147], v[4:5], v[162:163], -v[164:165]
	v_fmac_f64_e32 v[136:137], v[144:145], v[126:127]
	v_fma_f64 v[126:127], v[142:143], v[126:127], -v[128:129]
	v_add_f64_e32 v[152:153], v[10:11], v[8:9]
	v_add_f64_e32 v[134:135], v[134:135], v[150:151]
	ds_load_b128 v[4:7], v2 offset:1664
	ds_load_b128 v[8:11], v2 offset:1680
	;; [unrolled: 16-line block ×3, first 2 shown]
	s_wait_loadcnt_dscnt 0x101
	v_mul_f64_e32 v[2:3], v[4:5], v[140:141]
	v_mul_f64_e32 v[136:137], v[6:7], v[140:141]
	s_wait_loadcnt_dscnt 0x0
	v_mul_f64_e32 v[14:15], v[126:127], v[132:133]
	v_mul_f64_e32 v[132:133], v[128:129], v[132:133]
	v_add_f64_e32 v[10:11], v[146:147], v[144:145]
	v_add_f64_e32 v[12:13], v[134:135], v[150:151]
	v_fmac_f64_e32 v[2:3], v[6:7], v[138:139]
	v_fma_f64 v[4:5], v[4:5], v[138:139], -v[136:137]
	v_fmac_f64_e32 v[14:15], v[128:129], v[130:131]
	v_add_f64_e32 v[6:7], v[10:11], v[8:9]
	v_add_f64_e32 v[8:9], v[12:13], v[142:143]
	v_fma_f64 v[10:11], v[126:127], v[130:131], -v[132:133]
	s_delay_alu instid0(VALU_DEP_3) | instskip(NEXT) | instid1(VALU_DEP_3)
	v_add_f64_e32 v[4:5], v[6:7], v[4:5]
	v_add_f64_e32 v[2:3], v[8:9], v[2:3]
	s_delay_alu instid0(VALU_DEP_2) | instskip(NEXT) | instid1(VALU_DEP_2)
	v_add_f64_e32 v[4:5], v[4:5], v[10:11]
	v_add_f64_e32 v[6:7], v[2:3], v[14:15]
	s_delay_alu instid0(VALU_DEP_2) | instskip(NEXT) | instid1(VALU_DEP_2)
	v_add_f64_e64 v[2:3], v[166:167], -v[4:5]
	v_add_f64_e64 v[4:5], v[168:169], -v[6:7]
	scratch_store_b128 off, v[2:5], off offset:528
	s_wait_xcnt 0x0
	v_cmpx_lt_u32_e32 32, v1
	s_cbranch_execz .LBB53_273
; %bb.272:
	scratch_load_b128 v[2:5], off, s52
	v_mov_b32_e32 v6, 0
	s_delay_alu instid0(VALU_DEP_1)
	v_dual_mov_b32 v7, v6 :: v_dual_mov_b32 v8, v6
	v_mov_b32_e32 v9, v6
	scratch_store_b128 off, v[6:9], off offset:512
	s_wait_loadcnt 0x0
	ds_store_b128 v124, v[2:5]
.LBB53_273:
	s_wait_xcnt 0x0
	s_or_b32 exec_lo, exec_lo, s2
	s_wait_storecnt_dscnt 0x0
	s_barrier_signal -1
	s_barrier_wait -1
	s_clause 0x9
	scratch_load_b128 v[4:7], off, off offset:528
	scratch_load_b128 v[8:11], off, off offset:544
	;; [unrolled: 1-line block ×10, first 2 shown]
	v_mov_b32_e32 v2, 0
	s_mov_b32 s2, exec_lo
	ds_load_b128 v[154:157], v2 offset:1392
	s_clause 0x2
	scratch_load_b128 v[158:161], off, off offset:688
	scratch_load_b128 v[162:165], off, off offset:512
	;; [unrolled: 1-line block ×3, first 2 shown]
	s_wait_loadcnt_dscnt 0xc00
	v_mul_f64_e32 v[174:175], v[156:157], v[6:7]
	v_mul_f64_e32 v[178:179], v[154:155], v[6:7]
	ds_load_b128 v[166:169], v2 offset:1408
	v_fma_f64 v[182:183], v[154:155], v[4:5], -v[174:175]
	v_fmac_f64_e32 v[178:179], v[156:157], v[4:5]
	ds_load_b128 v[4:7], v2 offset:1424
	s_wait_loadcnt_dscnt 0xb01
	v_mul_f64_e32 v[180:181], v[166:167], v[10:11]
	v_mul_f64_e32 v[10:11], v[168:169], v[10:11]
	scratch_load_b128 v[154:157], off, off offset:720
	ds_load_b128 v[174:177], v2 offset:1440
	s_wait_loadcnt_dscnt 0xb01
	v_mul_f64_e32 v[184:185], v[4:5], v[14:15]
	v_mul_f64_e32 v[14:15], v[6:7], v[14:15]
	v_add_f64_e32 v[178:179], 0, v[178:179]
	v_fmac_f64_e32 v[180:181], v[168:169], v[8:9]
	v_fma_f64 v[166:167], v[166:167], v[8:9], -v[10:11]
	v_add_f64_e32 v[168:169], 0, v[182:183]
	scratch_load_b128 v[8:11], off, off offset:736
	v_fmac_f64_e32 v[184:185], v[6:7], v[12:13]
	v_fma_f64 v[186:187], v[4:5], v[12:13], -v[14:15]
	ds_load_b128 v[4:7], v2 offset:1456
	s_wait_loadcnt_dscnt 0xb01
	v_mul_f64_e32 v[182:183], v[174:175], v[128:129]
	v_mul_f64_e32 v[128:129], v[176:177], v[128:129]
	scratch_load_b128 v[12:15], off, off offset:752
	v_add_f64_e32 v[178:179], v[178:179], v[180:181]
	v_add_f64_e32 v[188:189], v[168:169], v[166:167]
	ds_load_b128 v[166:169], v2 offset:1472
	s_wait_loadcnt_dscnt 0xb01
	v_mul_f64_e32 v[180:181], v[4:5], v[132:133]
	v_mul_f64_e32 v[132:133], v[6:7], v[132:133]
	v_fmac_f64_e32 v[182:183], v[176:177], v[126:127]
	v_fma_f64 v[174:175], v[174:175], v[126:127], -v[128:129]
	scratch_load_b128 v[126:129], off, off offset:768
	v_add_f64_e32 v[178:179], v[178:179], v[184:185]
	v_add_f64_e32 v[176:177], v[188:189], v[186:187]
	v_fmac_f64_e32 v[180:181], v[6:7], v[130:131]
	v_fma_f64 v[186:187], v[4:5], v[130:131], -v[132:133]
	ds_load_b128 v[4:7], v2 offset:1488
	s_wait_loadcnt_dscnt 0xb01
	v_mul_f64_e32 v[184:185], v[166:167], v[136:137]
	v_mul_f64_e32 v[136:137], v[168:169], v[136:137]
	scratch_load_b128 v[130:133], off, off offset:784
	v_add_f64_e32 v[178:179], v[178:179], v[182:183]
	s_wait_loadcnt_dscnt 0xb00
	v_mul_f64_e32 v[182:183], v[4:5], v[140:141]
	v_add_f64_e32 v[188:189], v[176:177], v[174:175]
	v_mul_f64_e32 v[140:141], v[6:7], v[140:141]
	ds_load_b128 v[174:177], v2 offset:1504
	v_fmac_f64_e32 v[184:185], v[168:169], v[134:135]
	v_fma_f64 v[166:167], v[166:167], v[134:135], -v[136:137]
	scratch_load_b128 v[134:137], off, off offset:800
	v_add_f64_e32 v[178:179], v[178:179], v[180:181]
	v_fmac_f64_e32 v[182:183], v[6:7], v[138:139]
	v_add_f64_e32 v[168:169], v[188:189], v[186:187]
	v_fma_f64 v[186:187], v[4:5], v[138:139], -v[140:141]
	ds_load_b128 v[4:7], v2 offset:1520
	s_wait_loadcnt_dscnt 0xb01
	v_mul_f64_e32 v[180:181], v[174:175], v[144:145]
	v_mul_f64_e32 v[144:145], v[176:177], v[144:145]
	scratch_load_b128 v[138:141], off, off offset:816
	v_add_f64_e32 v[178:179], v[178:179], v[184:185]
	s_wait_loadcnt_dscnt 0xb00
	v_mul_f64_e32 v[184:185], v[4:5], v[148:149]
	v_add_f64_e32 v[188:189], v[168:169], v[166:167]
	v_mul_f64_e32 v[148:149], v[6:7], v[148:149]
	ds_load_b128 v[166:169], v2 offset:1536
	v_fmac_f64_e32 v[180:181], v[176:177], v[142:143]
	v_fma_f64 v[174:175], v[174:175], v[142:143], -v[144:145]
	scratch_load_b128 v[142:145], off, off offset:832
	v_add_f64_e32 v[178:179], v[178:179], v[182:183]
	v_fmac_f64_e32 v[184:185], v[6:7], v[146:147]
	v_add_f64_e32 v[176:177], v[188:189], v[186:187]
	v_fma_f64 v[186:187], v[4:5], v[146:147], -v[148:149]
	ds_load_b128 v[4:7], v2 offset:1552
	s_wait_loadcnt_dscnt 0xb01
	v_mul_f64_e32 v[182:183], v[166:167], v[152:153]
	v_mul_f64_e32 v[152:153], v[168:169], v[152:153]
	scratch_load_b128 v[146:149], off, off offset:848
	v_add_f64_e32 v[178:179], v[178:179], v[180:181]
	s_wait_loadcnt_dscnt 0xb00
	v_mul_f64_e32 v[180:181], v[4:5], v[160:161]
	v_add_f64_e32 v[188:189], v[176:177], v[174:175]
	v_mul_f64_e32 v[160:161], v[6:7], v[160:161]
	ds_load_b128 v[174:177], v2 offset:1568
	v_fmac_f64_e32 v[182:183], v[168:169], v[150:151]
	v_fma_f64 v[150:151], v[166:167], v[150:151], -v[152:153]
	s_wait_loadcnt_dscnt 0x900
	v_mul_f64_e32 v[168:169], v[174:175], v[172:173]
	v_mul_f64_e32 v[172:173], v[176:177], v[172:173]
	v_add_f64_e32 v[166:167], v[178:179], v[184:185]
	v_fmac_f64_e32 v[180:181], v[6:7], v[158:159]
	v_add_f64_e32 v[152:153], v[188:189], v[186:187]
	v_fma_f64 v[158:159], v[4:5], v[158:159], -v[160:161]
	v_fmac_f64_e32 v[168:169], v[176:177], v[170:171]
	v_fma_f64 v[170:171], v[174:175], v[170:171], -v[172:173]
	v_add_f64_e32 v[166:167], v[166:167], v[182:183]
	v_add_f64_e32 v[160:161], v[152:153], v[150:151]
	ds_load_b128 v[4:7], v2 offset:1584
	ds_load_b128 v[150:153], v2 offset:1600
	s_wait_loadcnt_dscnt 0x801
	v_mul_f64_e32 v[178:179], v[4:5], v[156:157]
	v_mul_f64_e32 v[156:157], v[6:7], v[156:157]
	v_add_f64_e32 v[158:159], v[160:161], v[158:159]
	v_add_f64_e32 v[160:161], v[166:167], v[180:181]
	s_wait_loadcnt_dscnt 0x700
	v_mul_f64_e32 v[166:167], v[150:151], v[10:11]
	v_mul_f64_e32 v[10:11], v[152:153], v[10:11]
	v_fmac_f64_e32 v[178:179], v[6:7], v[154:155]
	v_fma_f64 v[172:173], v[4:5], v[154:155], -v[156:157]
	ds_load_b128 v[4:7], v2 offset:1616
	ds_load_b128 v[154:157], v2 offset:1632
	v_add_f64_e32 v[158:159], v[158:159], v[170:171]
	v_add_f64_e32 v[160:161], v[160:161], v[168:169]
	v_fmac_f64_e32 v[166:167], v[152:153], v[8:9]
	v_fma_f64 v[8:9], v[150:151], v[8:9], -v[10:11]
	s_wait_loadcnt_dscnt 0x601
	v_mul_f64_e32 v[168:169], v[4:5], v[14:15]
	v_mul_f64_e32 v[14:15], v[6:7], v[14:15]
	s_wait_loadcnt_dscnt 0x500
	v_mul_f64_e32 v[152:153], v[154:155], v[128:129]
	v_mul_f64_e32 v[128:129], v[156:157], v[128:129]
	v_add_f64_e32 v[10:11], v[158:159], v[172:173]
	v_add_f64_e32 v[150:151], v[160:161], v[178:179]
	v_fmac_f64_e32 v[168:169], v[6:7], v[12:13]
	v_fma_f64 v[12:13], v[4:5], v[12:13], -v[14:15]
	v_fmac_f64_e32 v[152:153], v[156:157], v[126:127]
	v_fma_f64 v[126:127], v[154:155], v[126:127], -v[128:129]
	v_add_f64_e32 v[14:15], v[10:11], v[8:9]
	v_add_f64_e32 v[150:151], v[150:151], v[166:167]
	ds_load_b128 v[4:7], v2 offset:1648
	ds_load_b128 v[8:11], v2 offset:1664
	s_wait_loadcnt_dscnt 0x401
	v_mul_f64_e32 v[158:159], v[4:5], v[132:133]
	v_mul_f64_e32 v[132:133], v[6:7], v[132:133]
	s_wait_loadcnt_dscnt 0x300
	v_mul_f64_e32 v[128:129], v[8:9], v[136:137]
	v_mul_f64_e32 v[136:137], v[10:11], v[136:137]
	v_add_f64_e32 v[12:13], v[14:15], v[12:13]
	v_add_f64_e32 v[14:15], v[150:151], v[168:169]
	v_fmac_f64_e32 v[158:159], v[6:7], v[130:131]
	v_fma_f64 v[130:131], v[4:5], v[130:131], -v[132:133]
	v_fmac_f64_e32 v[128:129], v[10:11], v[134:135]
	v_fma_f64 v[8:9], v[8:9], v[134:135], -v[136:137]
	v_add_f64_e32 v[126:127], v[12:13], v[126:127]
	v_add_f64_e32 v[132:133], v[14:15], v[152:153]
	ds_load_b128 v[4:7], v2 offset:1680
	ds_load_b128 v[12:15], v2 offset:1696
	s_wait_loadcnt_dscnt 0x201
	v_mul_f64_e32 v[150:151], v[4:5], v[140:141]
	v_mul_f64_e32 v[140:141], v[6:7], v[140:141]
	v_add_f64_e32 v[10:11], v[126:127], v[130:131]
	v_add_f64_e32 v[126:127], v[132:133], v[158:159]
	s_wait_loadcnt_dscnt 0x100
	v_mul_f64_e32 v[130:131], v[12:13], v[144:145]
	v_mul_f64_e32 v[132:133], v[14:15], v[144:145]
	v_fmac_f64_e32 v[150:151], v[6:7], v[138:139]
	v_fma_f64 v[134:135], v[4:5], v[138:139], -v[140:141]
	ds_load_b128 v[4:7], v2 offset:1712
	v_add_f64_e32 v[8:9], v[10:11], v[8:9]
	v_add_f64_e32 v[10:11], v[126:127], v[128:129]
	v_fmac_f64_e32 v[130:131], v[14:15], v[142:143]
	v_fma_f64 v[12:13], v[12:13], v[142:143], -v[132:133]
	s_wait_loadcnt_dscnt 0x0
	v_mul_f64_e32 v[126:127], v[4:5], v[148:149]
	v_mul_f64_e32 v[128:129], v[6:7], v[148:149]
	v_add_f64_e32 v[8:9], v[8:9], v[134:135]
	v_add_f64_e32 v[10:11], v[10:11], v[150:151]
	s_delay_alu instid0(VALU_DEP_4) | instskip(NEXT) | instid1(VALU_DEP_4)
	v_fmac_f64_e32 v[126:127], v[6:7], v[146:147]
	v_fma_f64 v[4:5], v[4:5], v[146:147], -v[128:129]
	s_delay_alu instid0(VALU_DEP_4) | instskip(NEXT) | instid1(VALU_DEP_4)
	v_add_f64_e32 v[6:7], v[8:9], v[12:13]
	v_add_f64_e32 v[8:9], v[10:11], v[130:131]
	s_delay_alu instid0(VALU_DEP_2) | instskip(NEXT) | instid1(VALU_DEP_2)
	v_add_f64_e32 v[4:5], v[6:7], v[4:5]
	v_add_f64_e32 v[6:7], v[8:9], v[126:127]
	s_delay_alu instid0(VALU_DEP_2) | instskip(NEXT) | instid1(VALU_DEP_2)
	v_add_f64_e64 v[4:5], v[162:163], -v[4:5]
	v_add_f64_e64 v[6:7], v[164:165], -v[6:7]
	scratch_store_b128 off, v[4:7], off offset:512
	s_wait_xcnt 0x0
	v_cmpx_lt_u32_e32 31, v1
	s_cbranch_execz .LBB53_275
; %bb.274:
	scratch_load_b128 v[6:9], off, s49
	v_dual_mov_b32 v3, v2 :: v_dual_mov_b32 v4, v2
	v_mov_b32_e32 v5, v2
	scratch_store_b128 off, v[2:5], off offset:496
	s_wait_loadcnt 0x0
	ds_store_b128 v124, v[6:9]
.LBB53_275:
	s_wait_xcnt 0x0
	s_or_b32 exec_lo, exec_lo, s2
	s_wait_storecnt_dscnt 0x0
	s_barrier_signal -1
	s_barrier_wait -1
	s_clause 0x9
	scratch_load_b128 v[4:7], off, off offset:512
	scratch_load_b128 v[8:11], off, off offset:528
	;; [unrolled: 1-line block ×10, first 2 shown]
	ds_load_b128 v[154:157], v2 offset:1376
	ds_load_b128 v[162:165], v2 offset:1392
	s_clause 0x2
	scratch_load_b128 v[158:161], off, off offset:672
	scratch_load_b128 v[166:169], off, off offset:496
	;; [unrolled: 1-line block ×3, first 2 shown]
	s_mov_b32 s2, exec_lo
	s_wait_loadcnt_dscnt 0xc01
	v_mul_f64_e32 v[174:175], v[156:157], v[6:7]
	v_mul_f64_e32 v[178:179], v[154:155], v[6:7]
	s_wait_loadcnt_dscnt 0xb00
	v_mul_f64_e32 v[180:181], v[162:163], v[10:11]
	v_mul_f64_e32 v[10:11], v[164:165], v[10:11]
	s_delay_alu instid0(VALU_DEP_4) | instskip(NEXT) | instid1(VALU_DEP_4)
	v_fma_f64 v[182:183], v[154:155], v[4:5], -v[174:175]
	v_fmac_f64_e32 v[178:179], v[156:157], v[4:5]
	ds_load_b128 v[4:7], v2 offset:1408
	ds_load_b128 v[154:157], v2 offset:1424
	scratch_load_b128 v[174:177], off, off offset:704
	v_fmac_f64_e32 v[180:181], v[164:165], v[8:9]
	v_fma_f64 v[162:163], v[162:163], v[8:9], -v[10:11]
	scratch_load_b128 v[8:11], off, off offset:720
	s_wait_loadcnt_dscnt 0xc01
	v_mul_f64_e32 v[184:185], v[4:5], v[14:15]
	v_mul_f64_e32 v[14:15], v[6:7], v[14:15]
	v_add_f64_e32 v[164:165], 0, v[182:183]
	v_add_f64_e32 v[178:179], 0, v[178:179]
	s_wait_loadcnt_dscnt 0xb00
	v_mul_f64_e32 v[182:183], v[154:155], v[128:129]
	v_mul_f64_e32 v[128:129], v[156:157], v[128:129]
	v_fmac_f64_e32 v[184:185], v[6:7], v[12:13]
	v_fma_f64 v[186:187], v[4:5], v[12:13], -v[14:15]
	ds_load_b128 v[4:7], v2 offset:1440
	ds_load_b128 v[12:15], v2 offset:1456
	v_add_f64_e32 v[188:189], v[164:165], v[162:163]
	v_add_f64_e32 v[178:179], v[178:179], v[180:181]
	scratch_load_b128 v[162:165], off, off offset:736
	v_fmac_f64_e32 v[182:183], v[156:157], v[126:127]
	v_fma_f64 v[154:155], v[154:155], v[126:127], -v[128:129]
	scratch_load_b128 v[126:129], off, off offset:752
	s_wait_loadcnt_dscnt 0xc01
	v_mul_f64_e32 v[180:181], v[4:5], v[132:133]
	v_mul_f64_e32 v[132:133], v[6:7], v[132:133]
	v_add_f64_e32 v[156:157], v[188:189], v[186:187]
	v_add_f64_e32 v[178:179], v[178:179], v[184:185]
	s_wait_loadcnt_dscnt 0xb00
	v_mul_f64_e32 v[184:185], v[12:13], v[136:137]
	v_mul_f64_e32 v[136:137], v[14:15], v[136:137]
	v_fmac_f64_e32 v[180:181], v[6:7], v[130:131]
	v_fma_f64 v[186:187], v[4:5], v[130:131], -v[132:133]
	ds_load_b128 v[4:7], v2 offset:1472
	ds_load_b128 v[130:133], v2 offset:1488
	v_add_f64_e32 v[188:189], v[156:157], v[154:155]
	v_add_f64_e32 v[178:179], v[178:179], v[182:183]
	scratch_load_b128 v[154:157], off, off offset:768
	s_wait_loadcnt_dscnt 0xb01
	v_mul_f64_e32 v[182:183], v[4:5], v[140:141]
	v_mul_f64_e32 v[140:141], v[6:7], v[140:141]
	v_fmac_f64_e32 v[184:185], v[14:15], v[134:135]
	v_fma_f64 v[134:135], v[12:13], v[134:135], -v[136:137]
	scratch_load_b128 v[12:15], off, off offset:784
	v_add_f64_e32 v[136:137], v[188:189], v[186:187]
	v_add_f64_e32 v[178:179], v[178:179], v[180:181]
	s_wait_loadcnt_dscnt 0xb00
	v_mul_f64_e32 v[180:181], v[130:131], v[144:145]
	v_mul_f64_e32 v[144:145], v[132:133], v[144:145]
	v_fmac_f64_e32 v[182:183], v[6:7], v[138:139]
	v_fma_f64 v[186:187], v[4:5], v[138:139], -v[140:141]
	v_add_f64_e32 v[188:189], v[136:137], v[134:135]
	v_add_f64_e32 v[178:179], v[178:179], v[184:185]
	ds_load_b128 v[4:7], v2 offset:1504
	ds_load_b128 v[134:137], v2 offset:1520
	scratch_load_b128 v[138:141], off, off offset:800
	v_fmac_f64_e32 v[180:181], v[132:133], v[142:143]
	v_fma_f64 v[142:143], v[130:131], v[142:143], -v[144:145]
	scratch_load_b128 v[130:133], off, off offset:816
	s_wait_loadcnt_dscnt 0xc01
	v_mul_f64_e32 v[184:185], v[4:5], v[148:149]
	v_mul_f64_e32 v[148:149], v[6:7], v[148:149]
	v_add_f64_e32 v[144:145], v[188:189], v[186:187]
	v_add_f64_e32 v[178:179], v[178:179], v[182:183]
	s_wait_loadcnt_dscnt 0xb00
	v_mul_f64_e32 v[182:183], v[134:135], v[152:153]
	v_mul_f64_e32 v[152:153], v[136:137], v[152:153]
	v_fmac_f64_e32 v[184:185], v[6:7], v[146:147]
	v_fma_f64 v[186:187], v[4:5], v[146:147], -v[148:149]
	v_add_f64_e32 v[188:189], v[144:145], v[142:143]
	v_add_f64_e32 v[178:179], v[178:179], v[180:181]
	ds_load_b128 v[4:7], v2 offset:1536
	ds_load_b128 v[142:145], v2 offset:1552
	scratch_load_b128 v[146:149], off, off offset:832
	v_fmac_f64_e32 v[182:183], v[136:137], v[150:151]
	v_fma_f64 v[150:151], v[134:135], v[150:151], -v[152:153]
	scratch_load_b128 v[134:137], off, off offset:848
	s_wait_loadcnt_dscnt 0xc01
	v_mul_f64_e32 v[180:181], v[4:5], v[160:161]
	v_mul_f64_e32 v[160:161], v[6:7], v[160:161]
	v_add_f64_e32 v[152:153], v[188:189], v[186:187]
	v_add_f64_e32 v[178:179], v[178:179], v[184:185]
	s_wait_loadcnt_dscnt 0xa00
	v_mul_f64_e32 v[184:185], v[142:143], v[172:173]
	v_mul_f64_e32 v[172:173], v[144:145], v[172:173]
	v_fmac_f64_e32 v[180:181], v[6:7], v[158:159]
	v_fma_f64 v[158:159], v[4:5], v[158:159], -v[160:161]
	v_add_f64_e32 v[160:161], v[152:153], v[150:151]
	v_add_f64_e32 v[178:179], v[178:179], v[182:183]
	ds_load_b128 v[4:7], v2 offset:1568
	ds_load_b128 v[150:153], v2 offset:1584
	v_fmac_f64_e32 v[184:185], v[144:145], v[170:171]
	v_fma_f64 v[142:143], v[142:143], v[170:171], -v[172:173]
	s_wait_loadcnt_dscnt 0x901
	v_mul_f64_e32 v[182:183], v[4:5], v[176:177]
	v_mul_f64_e32 v[176:177], v[6:7], v[176:177]
	v_add_f64_e32 v[144:145], v[160:161], v[158:159]
	v_add_f64_e32 v[158:159], v[178:179], v[180:181]
	s_wait_loadcnt_dscnt 0x800
	v_mul_f64_e32 v[160:161], v[150:151], v[10:11]
	v_mul_f64_e32 v[10:11], v[152:153], v[10:11]
	v_fmac_f64_e32 v[182:183], v[6:7], v[174:175]
	v_fma_f64 v[170:171], v[4:5], v[174:175], -v[176:177]
	v_add_f64_e32 v[172:173], v[144:145], v[142:143]
	v_add_f64_e32 v[158:159], v[158:159], v[184:185]
	ds_load_b128 v[4:7], v2 offset:1600
	ds_load_b128 v[142:145], v2 offset:1616
	v_fmac_f64_e32 v[160:161], v[152:153], v[8:9]
	v_fma_f64 v[8:9], v[150:151], v[8:9], -v[10:11]
	s_wait_loadcnt_dscnt 0x701
	v_mul_f64_e32 v[174:175], v[4:5], v[164:165]
	v_mul_f64_e32 v[164:165], v[6:7], v[164:165]
	s_wait_loadcnt_dscnt 0x600
	v_mul_f64_e32 v[152:153], v[142:143], v[128:129]
	v_mul_f64_e32 v[128:129], v[144:145], v[128:129]
	v_add_f64_e32 v[10:11], v[172:173], v[170:171]
	v_add_f64_e32 v[150:151], v[158:159], v[182:183]
	v_fmac_f64_e32 v[174:175], v[6:7], v[162:163]
	v_fma_f64 v[158:159], v[4:5], v[162:163], -v[164:165]
	v_fmac_f64_e32 v[152:153], v[144:145], v[126:127]
	v_fma_f64 v[126:127], v[142:143], v[126:127], -v[128:129]
	v_add_f64_e32 v[162:163], v[10:11], v[8:9]
	v_add_f64_e32 v[150:151], v[150:151], v[160:161]
	ds_load_b128 v[4:7], v2 offset:1632
	ds_load_b128 v[8:11], v2 offset:1648
	s_wait_loadcnt_dscnt 0x501
	v_mul_f64_e32 v[160:161], v[4:5], v[156:157]
	v_mul_f64_e32 v[156:157], v[6:7], v[156:157]
	s_wait_loadcnt_dscnt 0x400
	v_mul_f64_e32 v[144:145], v[8:9], v[14:15]
	v_mul_f64_e32 v[14:15], v[10:11], v[14:15]
	v_add_f64_e32 v[128:129], v[162:163], v[158:159]
	v_add_f64_e32 v[142:143], v[150:151], v[174:175]
	v_fmac_f64_e32 v[160:161], v[6:7], v[154:155]
	v_fma_f64 v[150:151], v[4:5], v[154:155], -v[156:157]
	v_fmac_f64_e32 v[144:145], v[10:11], v[12:13]
	v_fma_f64 v[8:9], v[8:9], v[12:13], -v[14:15]
	v_add_f64_e32 v[154:155], v[128:129], v[126:127]
	v_add_f64_e32 v[142:143], v[142:143], v[152:153]
	ds_load_b128 v[4:7], v2 offset:1664
	ds_load_b128 v[126:129], v2 offset:1680
	;; [unrolled: 16-line block ×3, first 2 shown]
	s_wait_loadcnt_dscnt 0x101
	v_mul_f64_e32 v[2:3], v[4:5], v[148:149]
	v_mul_f64_e32 v[142:143], v[6:7], v[148:149]
	s_wait_loadcnt_dscnt 0x0
	v_mul_f64_e32 v[130:131], v[8:9], v[136:137]
	v_mul_f64_e32 v[132:133], v[10:11], v[136:137]
	v_add_f64_e32 v[128:129], v[140:141], v[138:139]
	v_add_f64_e32 v[12:13], v[12:13], v[152:153]
	v_fmac_f64_e32 v[2:3], v[6:7], v[146:147]
	v_fma_f64 v[4:5], v[4:5], v[146:147], -v[142:143]
	v_fmac_f64_e32 v[130:131], v[10:11], v[134:135]
	v_fma_f64 v[8:9], v[8:9], v[134:135], -v[132:133]
	v_add_f64_e32 v[6:7], v[128:129], v[126:127]
	v_add_f64_e32 v[12:13], v[12:13], v[14:15]
	s_delay_alu instid0(VALU_DEP_2) | instskip(NEXT) | instid1(VALU_DEP_2)
	v_add_f64_e32 v[4:5], v[6:7], v[4:5]
	v_add_f64_e32 v[2:3], v[12:13], v[2:3]
	s_delay_alu instid0(VALU_DEP_2) | instskip(NEXT) | instid1(VALU_DEP_2)
	;; [unrolled: 3-line block ×3, first 2 shown]
	v_add_f64_e64 v[2:3], v[166:167], -v[4:5]
	v_add_f64_e64 v[4:5], v[168:169], -v[6:7]
	scratch_store_b128 off, v[2:5], off offset:496
	s_wait_xcnt 0x0
	v_cmpx_lt_u32_e32 30, v1
	s_cbranch_execz .LBB53_277
; %bb.276:
	scratch_load_b128 v[2:5], off, s47
	v_mov_b32_e32 v6, 0
	s_delay_alu instid0(VALU_DEP_1)
	v_dual_mov_b32 v7, v6 :: v_dual_mov_b32 v8, v6
	v_mov_b32_e32 v9, v6
	scratch_store_b128 off, v[6:9], off offset:480
	s_wait_loadcnt 0x0
	ds_store_b128 v124, v[2:5]
.LBB53_277:
	s_wait_xcnt 0x0
	s_or_b32 exec_lo, exec_lo, s2
	s_wait_storecnt_dscnt 0x0
	s_barrier_signal -1
	s_barrier_wait -1
	s_clause 0x9
	scratch_load_b128 v[4:7], off, off offset:496
	scratch_load_b128 v[8:11], off, off offset:512
	;; [unrolled: 1-line block ×10, first 2 shown]
	v_mov_b32_e32 v2, 0
	s_mov_b32 s2, exec_lo
	ds_load_b128 v[154:157], v2 offset:1360
	s_clause 0x2
	scratch_load_b128 v[158:161], off, off offset:656
	scratch_load_b128 v[162:165], off, off offset:480
	;; [unrolled: 1-line block ×3, first 2 shown]
	s_wait_loadcnt_dscnt 0xc00
	v_mul_f64_e32 v[174:175], v[156:157], v[6:7]
	v_mul_f64_e32 v[178:179], v[154:155], v[6:7]
	ds_load_b128 v[166:169], v2 offset:1376
	v_fma_f64 v[182:183], v[154:155], v[4:5], -v[174:175]
	v_fmac_f64_e32 v[178:179], v[156:157], v[4:5]
	ds_load_b128 v[4:7], v2 offset:1392
	s_wait_loadcnt_dscnt 0xb01
	v_mul_f64_e32 v[180:181], v[166:167], v[10:11]
	v_mul_f64_e32 v[10:11], v[168:169], v[10:11]
	scratch_load_b128 v[154:157], off, off offset:688
	ds_load_b128 v[174:177], v2 offset:1408
	s_wait_loadcnt_dscnt 0xb01
	v_mul_f64_e32 v[184:185], v[4:5], v[14:15]
	v_mul_f64_e32 v[14:15], v[6:7], v[14:15]
	v_add_f64_e32 v[178:179], 0, v[178:179]
	v_fmac_f64_e32 v[180:181], v[168:169], v[8:9]
	v_fma_f64 v[166:167], v[166:167], v[8:9], -v[10:11]
	v_add_f64_e32 v[168:169], 0, v[182:183]
	scratch_load_b128 v[8:11], off, off offset:704
	v_fmac_f64_e32 v[184:185], v[6:7], v[12:13]
	v_fma_f64 v[186:187], v[4:5], v[12:13], -v[14:15]
	ds_load_b128 v[4:7], v2 offset:1424
	s_wait_loadcnt_dscnt 0xb01
	v_mul_f64_e32 v[182:183], v[174:175], v[128:129]
	v_mul_f64_e32 v[128:129], v[176:177], v[128:129]
	scratch_load_b128 v[12:15], off, off offset:720
	v_add_f64_e32 v[178:179], v[178:179], v[180:181]
	v_add_f64_e32 v[188:189], v[168:169], v[166:167]
	ds_load_b128 v[166:169], v2 offset:1440
	s_wait_loadcnt_dscnt 0xb01
	v_mul_f64_e32 v[180:181], v[4:5], v[132:133]
	v_mul_f64_e32 v[132:133], v[6:7], v[132:133]
	v_fmac_f64_e32 v[182:183], v[176:177], v[126:127]
	v_fma_f64 v[174:175], v[174:175], v[126:127], -v[128:129]
	scratch_load_b128 v[126:129], off, off offset:736
	v_add_f64_e32 v[178:179], v[178:179], v[184:185]
	v_add_f64_e32 v[176:177], v[188:189], v[186:187]
	v_fmac_f64_e32 v[180:181], v[6:7], v[130:131]
	v_fma_f64 v[186:187], v[4:5], v[130:131], -v[132:133]
	ds_load_b128 v[4:7], v2 offset:1456
	s_wait_loadcnt_dscnt 0xb01
	v_mul_f64_e32 v[184:185], v[166:167], v[136:137]
	v_mul_f64_e32 v[136:137], v[168:169], v[136:137]
	scratch_load_b128 v[130:133], off, off offset:752
	v_add_f64_e32 v[178:179], v[178:179], v[182:183]
	s_wait_loadcnt_dscnt 0xb00
	v_mul_f64_e32 v[182:183], v[4:5], v[140:141]
	v_add_f64_e32 v[188:189], v[176:177], v[174:175]
	v_mul_f64_e32 v[140:141], v[6:7], v[140:141]
	ds_load_b128 v[174:177], v2 offset:1472
	v_fmac_f64_e32 v[184:185], v[168:169], v[134:135]
	v_fma_f64 v[166:167], v[166:167], v[134:135], -v[136:137]
	scratch_load_b128 v[134:137], off, off offset:768
	v_add_f64_e32 v[178:179], v[178:179], v[180:181]
	v_fmac_f64_e32 v[182:183], v[6:7], v[138:139]
	v_add_f64_e32 v[168:169], v[188:189], v[186:187]
	v_fma_f64 v[186:187], v[4:5], v[138:139], -v[140:141]
	ds_load_b128 v[4:7], v2 offset:1488
	s_wait_loadcnt_dscnt 0xb01
	v_mul_f64_e32 v[180:181], v[174:175], v[144:145]
	v_mul_f64_e32 v[144:145], v[176:177], v[144:145]
	scratch_load_b128 v[138:141], off, off offset:784
	v_add_f64_e32 v[178:179], v[178:179], v[184:185]
	s_wait_loadcnt_dscnt 0xb00
	v_mul_f64_e32 v[184:185], v[4:5], v[148:149]
	v_add_f64_e32 v[188:189], v[168:169], v[166:167]
	v_mul_f64_e32 v[148:149], v[6:7], v[148:149]
	ds_load_b128 v[166:169], v2 offset:1504
	v_fmac_f64_e32 v[180:181], v[176:177], v[142:143]
	v_fma_f64 v[174:175], v[174:175], v[142:143], -v[144:145]
	scratch_load_b128 v[142:145], off, off offset:800
	v_add_f64_e32 v[178:179], v[178:179], v[182:183]
	v_fmac_f64_e32 v[184:185], v[6:7], v[146:147]
	v_add_f64_e32 v[176:177], v[188:189], v[186:187]
	;; [unrolled: 18-line block ×3, first 2 shown]
	v_fma_f64 v[186:187], v[4:5], v[158:159], -v[160:161]
	ds_load_b128 v[4:7], v2 offset:1552
	s_wait_loadcnt_dscnt 0xa01
	v_mul_f64_e32 v[184:185], v[174:175], v[172:173]
	v_mul_f64_e32 v[172:173], v[176:177], v[172:173]
	scratch_load_b128 v[158:161], off, off offset:848
	v_add_f64_e32 v[178:179], v[178:179], v[182:183]
	v_add_f64_e32 v[188:189], v[168:169], v[166:167]
	s_wait_loadcnt_dscnt 0xa00
	v_mul_f64_e32 v[182:183], v[4:5], v[156:157]
	v_mul_f64_e32 v[156:157], v[6:7], v[156:157]
	v_fmac_f64_e32 v[184:185], v[176:177], v[170:171]
	v_fma_f64 v[170:171], v[174:175], v[170:171], -v[172:173]
	ds_load_b128 v[166:169], v2 offset:1568
	v_add_f64_e32 v[174:175], v[178:179], v[180:181]
	v_add_f64_e32 v[172:173], v[188:189], v[186:187]
	s_wait_loadcnt_dscnt 0x900
	v_mul_f64_e32 v[176:177], v[166:167], v[10:11]
	v_mul_f64_e32 v[10:11], v[168:169], v[10:11]
	v_fmac_f64_e32 v[182:183], v[6:7], v[154:155]
	v_fma_f64 v[178:179], v[4:5], v[154:155], -v[156:157]
	ds_load_b128 v[4:7], v2 offset:1584
	ds_load_b128 v[154:157], v2 offset:1600
	v_add_f64_e32 v[170:171], v[172:173], v[170:171]
	v_add_f64_e32 v[172:173], v[174:175], v[184:185]
	s_wait_loadcnt_dscnt 0x801
	v_mul_f64_e32 v[174:175], v[4:5], v[14:15]
	v_mul_f64_e32 v[14:15], v[6:7], v[14:15]
	v_fmac_f64_e32 v[176:177], v[168:169], v[8:9]
	v_fma_f64 v[8:9], v[166:167], v[8:9], -v[10:11]
	s_wait_loadcnt_dscnt 0x700
	v_mul_f64_e32 v[168:169], v[154:155], v[128:129]
	v_mul_f64_e32 v[128:129], v[156:157], v[128:129]
	v_add_f64_e32 v[10:11], v[170:171], v[178:179]
	v_add_f64_e32 v[166:167], v[172:173], v[182:183]
	v_fmac_f64_e32 v[174:175], v[6:7], v[12:13]
	v_fma_f64 v[12:13], v[4:5], v[12:13], -v[14:15]
	v_fmac_f64_e32 v[168:169], v[156:157], v[126:127]
	v_fma_f64 v[126:127], v[154:155], v[126:127], -v[128:129]
	v_add_f64_e32 v[14:15], v[10:11], v[8:9]
	v_add_f64_e32 v[166:167], v[166:167], v[176:177]
	ds_load_b128 v[4:7], v2 offset:1616
	ds_load_b128 v[8:11], v2 offset:1632
	s_wait_loadcnt_dscnt 0x601
	v_mul_f64_e32 v[170:171], v[4:5], v[132:133]
	v_mul_f64_e32 v[132:133], v[6:7], v[132:133]
	s_wait_loadcnt_dscnt 0x500
	v_mul_f64_e32 v[128:129], v[8:9], v[136:137]
	v_mul_f64_e32 v[136:137], v[10:11], v[136:137]
	v_add_f64_e32 v[12:13], v[14:15], v[12:13]
	v_add_f64_e32 v[14:15], v[166:167], v[174:175]
	v_fmac_f64_e32 v[170:171], v[6:7], v[130:131]
	v_fma_f64 v[130:131], v[4:5], v[130:131], -v[132:133]
	v_fmac_f64_e32 v[128:129], v[10:11], v[134:135]
	v_fma_f64 v[8:9], v[8:9], v[134:135], -v[136:137]
	v_add_f64_e32 v[126:127], v[12:13], v[126:127]
	v_add_f64_e32 v[132:133], v[14:15], v[168:169]
	ds_load_b128 v[4:7], v2 offset:1648
	ds_load_b128 v[12:15], v2 offset:1664
	s_wait_loadcnt_dscnt 0x401
	v_mul_f64_e32 v[154:155], v[4:5], v[140:141]
	v_mul_f64_e32 v[140:141], v[6:7], v[140:141]
	v_add_f64_e32 v[10:11], v[126:127], v[130:131]
	v_add_f64_e32 v[126:127], v[132:133], v[170:171]
	s_wait_loadcnt_dscnt 0x300
	v_mul_f64_e32 v[130:131], v[12:13], v[144:145]
	v_mul_f64_e32 v[132:133], v[14:15], v[144:145]
	v_fmac_f64_e32 v[154:155], v[6:7], v[138:139]
	v_fma_f64 v[134:135], v[4:5], v[138:139], -v[140:141]
	v_add_f64_e32 v[136:137], v[10:11], v[8:9]
	v_add_f64_e32 v[126:127], v[126:127], v[128:129]
	ds_load_b128 v[4:7], v2 offset:1680
	ds_load_b128 v[8:11], v2 offset:1696
	v_fmac_f64_e32 v[130:131], v[14:15], v[142:143]
	v_fma_f64 v[12:13], v[12:13], v[142:143], -v[132:133]
	s_wait_loadcnt_dscnt 0x201
	v_mul_f64_e32 v[128:129], v[4:5], v[148:149]
	v_mul_f64_e32 v[138:139], v[6:7], v[148:149]
	s_wait_loadcnt_dscnt 0x100
	v_mul_f64_e32 v[132:133], v[8:9], v[152:153]
	v_add_f64_e32 v[14:15], v[136:137], v[134:135]
	v_add_f64_e32 v[126:127], v[126:127], v[154:155]
	v_mul_f64_e32 v[134:135], v[10:11], v[152:153]
	v_fmac_f64_e32 v[128:129], v[6:7], v[146:147]
	v_fma_f64 v[136:137], v[4:5], v[146:147], -v[138:139]
	ds_load_b128 v[4:7], v2 offset:1712
	v_fmac_f64_e32 v[132:133], v[10:11], v[150:151]
	v_add_f64_e32 v[12:13], v[14:15], v[12:13]
	v_add_f64_e32 v[14:15], v[126:127], v[130:131]
	v_fma_f64 v[8:9], v[8:9], v[150:151], -v[134:135]
	s_wait_loadcnt_dscnt 0x0
	v_mul_f64_e32 v[126:127], v[4:5], v[160:161]
	v_mul_f64_e32 v[130:131], v[6:7], v[160:161]
	v_add_f64_e32 v[10:11], v[12:13], v[136:137]
	v_add_f64_e32 v[12:13], v[14:15], v[128:129]
	s_delay_alu instid0(VALU_DEP_4) | instskip(NEXT) | instid1(VALU_DEP_4)
	v_fmac_f64_e32 v[126:127], v[6:7], v[158:159]
	v_fma_f64 v[4:5], v[4:5], v[158:159], -v[130:131]
	s_delay_alu instid0(VALU_DEP_4) | instskip(NEXT) | instid1(VALU_DEP_4)
	v_add_f64_e32 v[6:7], v[10:11], v[8:9]
	v_add_f64_e32 v[8:9], v[12:13], v[132:133]
	s_delay_alu instid0(VALU_DEP_2) | instskip(NEXT) | instid1(VALU_DEP_2)
	v_add_f64_e32 v[4:5], v[6:7], v[4:5]
	v_add_f64_e32 v[6:7], v[8:9], v[126:127]
	s_delay_alu instid0(VALU_DEP_2) | instskip(NEXT) | instid1(VALU_DEP_2)
	v_add_f64_e64 v[4:5], v[162:163], -v[4:5]
	v_add_f64_e64 v[6:7], v[164:165], -v[6:7]
	scratch_store_b128 off, v[4:7], off offset:480
	s_wait_xcnt 0x0
	v_cmpx_lt_u32_e32 29, v1
	s_cbranch_execz .LBB53_279
; %bb.278:
	scratch_load_b128 v[6:9], off, s44
	v_dual_mov_b32 v3, v2 :: v_dual_mov_b32 v4, v2
	v_mov_b32_e32 v5, v2
	scratch_store_b128 off, v[2:5], off offset:464
	s_wait_loadcnt 0x0
	ds_store_b128 v124, v[6:9]
.LBB53_279:
	s_wait_xcnt 0x0
	s_or_b32 exec_lo, exec_lo, s2
	s_wait_storecnt_dscnt 0x0
	s_barrier_signal -1
	s_barrier_wait -1
	s_clause 0x9
	scratch_load_b128 v[4:7], off, off offset:480
	scratch_load_b128 v[8:11], off, off offset:496
	;; [unrolled: 1-line block ×10, first 2 shown]
	ds_load_b128 v[154:157], v2 offset:1344
	ds_load_b128 v[162:165], v2 offset:1360
	s_clause 0x2
	scratch_load_b128 v[158:161], off, off offset:640
	scratch_load_b128 v[166:169], off, off offset:464
	;; [unrolled: 1-line block ×3, first 2 shown]
	s_mov_b32 s2, exec_lo
	s_wait_loadcnt_dscnt 0xc01
	v_mul_f64_e32 v[174:175], v[156:157], v[6:7]
	v_mul_f64_e32 v[178:179], v[154:155], v[6:7]
	s_wait_loadcnt_dscnt 0xb00
	v_mul_f64_e32 v[180:181], v[162:163], v[10:11]
	v_mul_f64_e32 v[10:11], v[164:165], v[10:11]
	s_delay_alu instid0(VALU_DEP_4) | instskip(NEXT) | instid1(VALU_DEP_4)
	v_fma_f64 v[182:183], v[154:155], v[4:5], -v[174:175]
	v_fmac_f64_e32 v[178:179], v[156:157], v[4:5]
	ds_load_b128 v[4:7], v2 offset:1376
	ds_load_b128 v[154:157], v2 offset:1392
	scratch_load_b128 v[174:177], off, off offset:672
	v_fmac_f64_e32 v[180:181], v[164:165], v[8:9]
	v_fma_f64 v[162:163], v[162:163], v[8:9], -v[10:11]
	scratch_load_b128 v[8:11], off, off offset:688
	s_wait_loadcnt_dscnt 0xc01
	v_mul_f64_e32 v[184:185], v[4:5], v[14:15]
	v_mul_f64_e32 v[14:15], v[6:7], v[14:15]
	v_add_f64_e32 v[164:165], 0, v[182:183]
	v_add_f64_e32 v[178:179], 0, v[178:179]
	s_wait_loadcnt_dscnt 0xb00
	v_mul_f64_e32 v[182:183], v[154:155], v[128:129]
	v_mul_f64_e32 v[128:129], v[156:157], v[128:129]
	v_fmac_f64_e32 v[184:185], v[6:7], v[12:13]
	v_fma_f64 v[186:187], v[4:5], v[12:13], -v[14:15]
	ds_load_b128 v[4:7], v2 offset:1408
	ds_load_b128 v[12:15], v2 offset:1424
	v_add_f64_e32 v[188:189], v[164:165], v[162:163]
	v_add_f64_e32 v[178:179], v[178:179], v[180:181]
	scratch_load_b128 v[162:165], off, off offset:704
	v_fmac_f64_e32 v[182:183], v[156:157], v[126:127]
	v_fma_f64 v[154:155], v[154:155], v[126:127], -v[128:129]
	scratch_load_b128 v[126:129], off, off offset:720
	s_wait_loadcnt_dscnt 0xc01
	v_mul_f64_e32 v[180:181], v[4:5], v[132:133]
	v_mul_f64_e32 v[132:133], v[6:7], v[132:133]
	v_add_f64_e32 v[156:157], v[188:189], v[186:187]
	v_add_f64_e32 v[178:179], v[178:179], v[184:185]
	s_wait_loadcnt_dscnt 0xb00
	v_mul_f64_e32 v[184:185], v[12:13], v[136:137]
	v_mul_f64_e32 v[136:137], v[14:15], v[136:137]
	v_fmac_f64_e32 v[180:181], v[6:7], v[130:131]
	v_fma_f64 v[186:187], v[4:5], v[130:131], -v[132:133]
	ds_load_b128 v[4:7], v2 offset:1440
	ds_load_b128 v[130:133], v2 offset:1456
	v_add_f64_e32 v[188:189], v[156:157], v[154:155]
	v_add_f64_e32 v[178:179], v[178:179], v[182:183]
	scratch_load_b128 v[154:157], off, off offset:736
	s_wait_loadcnt_dscnt 0xb01
	v_mul_f64_e32 v[182:183], v[4:5], v[140:141]
	v_mul_f64_e32 v[140:141], v[6:7], v[140:141]
	v_fmac_f64_e32 v[184:185], v[14:15], v[134:135]
	v_fma_f64 v[134:135], v[12:13], v[134:135], -v[136:137]
	scratch_load_b128 v[12:15], off, off offset:752
	v_add_f64_e32 v[136:137], v[188:189], v[186:187]
	v_add_f64_e32 v[178:179], v[178:179], v[180:181]
	s_wait_loadcnt_dscnt 0xb00
	v_mul_f64_e32 v[180:181], v[130:131], v[144:145]
	v_mul_f64_e32 v[144:145], v[132:133], v[144:145]
	v_fmac_f64_e32 v[182:183], v[6:7], v[138:139]
	v_fma_f64 v[186:187], v[4:5], v[138:139], -v[140:141]
	v_add_f64_e32 v[188:189], v[136:137], v[134:135]
	v_add_f64_e32 v[178:179], v[178:179], v[184:185]
	ds_load_b128 v[4:7], v2 offset:1472
	ds_load_b128 v[134:137], v2 offset:1488
	scratch_load_b128 v[138:141], off, off offset:768
	v_fmac_f64_e32 v[180:181], v[132:133], v[142:143]
	v_fma_f64 v[142:143], v[130:131], v[142:143], -v[144:145]
	scratch_load_b128 v[130:133], off, off offset:784
	s_wait_loadcnt_dscnt 0xc01
	v_mul_f64_e32 v[184:185], v[4:5], v[148:149]
	v_mul_f64_e32 v[148:149], v[6:7], v[148:149]
	v_add_f64_e32 v[144:145], v[188:189], v[186:187]
	v_add_f64_e32 v[178:179], v[178:179], v[182:183]
	s_wait_loadcnt_dscnt 0xb00
	v_mul_f64_e32 v[182:183], v[134:135], v[152:153]
	v_mul_f64_e32 v[152:153], v[136:137], v[152:153]
	v_fmac_f64_e32 v[184:185], v[6:7], v[146:147]
	v_fma_f64 v[186:187], v[4:5], v[146:147], -v[148:149]
	v_add_f64_e32 v[188:189], v[144:145], v[142:143]
	v_add_f64_e32 v[178:179], v[178:179], v[180:181]
	ds_load_b128 v[4:7], v2 offset:1504
	ds_load_b128 v[142:145], v2 offset:1520
	scratch_load_b128 v[146:149], off, off offset:800
	v_fmac_f64_e32 v[182:183], v[136:137], v[150:151]
	v_fma_f64 v[150:151], v[134:135], v[150:151], -v[152:153]
	scratch_load_b128 v[134:137], off, off offset:816
	s_wait_loadcnt_dscnt 0xc01
	v_mul_f64_e32 v[180:181], v[4:5], v[160:161]
	v_mul_f64_e32 v[160:161], v[6:7], v[160:161]
	;; [unrolled: 18-line block ×3, first 2 shown]
	v_add_f64_e32 v[172:173], v[188:189], v[186:187]
	v_add_f64_e32 v[178:179], v[178:179], v[180:181]
	s_wait_loadcnt_dscnt 0xa00
	v_mul_f64_e32 v[180:181], v[150:151], v[10:11]
	v_mul_f64_e32 v[10:11], v[152:153], v[10:11]
	v_fmac_f64_e32 v[182:183], v[6:7], v[174:175]
	v_fma_f64 v[174:175], v[4:5], v[174:175], -v[176:177]
	v_add_f64_e32 v[176:177], v[172:173], v[170:171]
	v_add_f64_e32 v[178:179], v[178:179], v[184:185]
	ds_load_b128 v[4:7], v2 offset:1568
	ds_load_b128 v[170:173], v2 offset:1584
	v_fmac_f64_e32 v[180:181], v[152:153], v[8:9]
	v_fma_f64 v[8:9], v[150:151], v[8:9], -v[10:11]
	s_wait_loadcnt_dscnt 0x901
	v_mul_f64_e32 v[184:185], v[4:5], v[164:165]
	v_mul_f64_e32 v[164:165], v[6:7], v[164:165]
	s_wait_loadcnt_dscnt 0x800
	v_mul_f64_e32 v[152:153], v[170:171], v[128:129]
	v_mul_f64_e32 v[128:129], v[172:173], v[128:129]
	v_add_f64_e32 v[10:11], v[176:177], v[174:175]
	v_add_f64_e32 v[150:151], v[178:179], v[182:183]
	v_fmac_f64_e32 v[184:185], v[6:7], v[162:163]
	v_fma_f64 v[162:163], v[4:5], v[162:163], -v[164:165]
	v_fmac_f64_e32 v[152:153], v[172:173], v[126:127]
	v_fma_f64 v[126:127], v[170:171], v[126:127], -v[128:129]
	v_add_f64_e32 v[164:165], v[10:11], v[8:9]
	v_add_f64_e32 v[150:151], v[150:151], v[180:181]
	ds_load_b128 v[4:7], v2 offset:1600
	ds_load_b128 v[8:11], v2 offset:1616
	s_wait_loadcnt_dscnt 0x701
	v_mul_f64_e32 v[174:175], v[4:5], v[156:157]
	v_mul_f64_e32 v[156:157], v[6:7], v[156:157]
	v_add_f64_e32 v[128:129], v[164:165], v[162:163]
	v_add_f64_e32 v[150:151], v[150:151], v[184:185]
	s_wait_loadcnt_dscnt 0x600
	v_mul_f64_e32 v[162:163], v[8:9], v[14:15]
	v_mul_f64_e32 v[14:15], v[10:11], v[14:15]
	v_fmac_f64_e32 v[174:175], v[6:7], v[154:155]
	v_fma_f64 v[154:155], v[4:5], v[154:155], -v[156:157]
	v_add_f64_e32 v[156:157], v[128:129], v[126:127]
	v_add_f64_e32 v[150:151], v[150:151], v[152:153]
	ds_load_b128 v[4:7], v2 offset:1632
	ds_load_b128 v[126:129], v2 offset:1648
	v_fmac_f64_e32 v[162:163], v[10:11], v[12:13]
	v_fma_f64 v[8:9], v[8:9], v[12:13], -v[14:15]
	s_wait_loadcnt_dscnt 0x501
	v_mul_f64_e32 v[152:153], v[4:5], v[140:141]
	v_mul_f64_e32 v[140:141], v[6:7], v[140:141]
	s_wait_loadcnt_dscnt 0x400
	v_mul_f64_e32 v[14:15], v[126:127], v[132:133]
	v_mul_f64_e32 v[132:133], v[128:129], v[132:133]
	v_add_f64_e32 v[10:11], v[156:157], v[154:155]
	v_add_f64_e32 v[12:13], v[150:151], v[174:175]
	v_fmac_f64_e32 v[152:153], v[6:7], v[138:139]
	v_fma_f64 v[138:139], v[4:5], v[138:139], -v[140:141]
	v_fmac_f64_e32 v[14:15], v[128:129], v[130:131]
	v_fma_f64 v[126:127], v[126:127], v[130:131], -v[132:133]
	v_add_f64_e32 v[140:141], v[10:11], v[8:9]
	v_add_f64_e32 v[12:13], v[12:13], v[162:163]
	ds_load_b128 v[4:7], v2 offset:1664
	ds_load_b128 v[8:11], v2 offset:1680
	s_wait_loadcnt_dscnt 0x301
	v_mul_f64_e32 v[150:151], v[4:5], v[148:149]
	v_mul_f64_e32 v[148:149], v[6:7], v[148:149]
	s_wait_loadcnt_dscnt 0x200
	v_mul_f64_e32 v[130:131], v[8:9], v[136:137]
	v_mul_f64_e32 v[132:133], v[10:11], v[136:137]
	v_add_f64_e32 v[128:129], v[140:141], v[138:139]
	v_add_f64_e32 v[12:13], v[12:13], v[152:153]
	v_fmac_f64_e32 v[150:151], v[6:7], v[146:147]
	v_fma_f64 v[136:137], v[4:5], v[146:147], -v[148:149]
	v_fmac_f64_e32 v[130:131], v[10:11], v[134:135]
	v_fma_f64 v[8:9], v[8:9], v[134:135], -v[132:133]
	v_add_f64_e32 v[126:127], v[128:129], v[126:127]
	v_add_f64_e32 v[128:129], v[12:13], v[14:15]
	ds_load_b128 v[4:7], v2 offset:1696
	ds_load_b128 v[12:15], v2 offset:1712
	s_wait_loadcnt_dscnt 0x101
	v_mul_f64_e32 v[2:3], v[4:5], v[160:161]
	v_mul_f64_e32 v[138:139], v[6:7], v[160:161]
	s_wait_loadcnt_dscnt 0x0
	v_mul_f64_e32 v[132:133], v[14:15], v[144:145]
	v_add_f64_e32 v[10:11], v[126:127], v[136:137]
	v_add_f64_e32 v[126:127], v[128:129], v[150:151]
	v_mul_f64_e32 v[128:129], v[12:13], v[144:145]
	v_fmac_f64_e32 v[2:3], v[6:7], v[158:159]
	v_fma_f64 v[4:5], v[4:5], v[158:159], -v[138:139]
	v_add_f64_e32 v[6:7], v[10:11], v[8:9]
	v_add_f64_e32 v[8:9], v[126:127], v[130:131]
	v_fmac_f64_e32 v[128:129], v[14:15], v[142:143]
	v_fma_f64 v[10:11], v[12:13], v[142:143], -v[132:133]
	s_delay_alu instid0(VALU_DEP_4) | instskip(NEXT) | instid1(VALU_DEP_4)
	v_add_f64_e32 v[4:5], v[6:7], v[4:5]
	v_add_f64_e32 v[2:3], v[8:9], v[2:3]
	s_delay_alu instid0(VALU_DEP_2) | instskip(NEXT) | instid1(VALU_DEP_2)
	v_add_f64_e32 v[4:5], v[4:5], v[10:11]
	v_add_f64_e32 v[6:7], v[2:3], v[128:129]
	s_delay_alu instid0(VALU_DEP_2) | instskip(NEXT) | instid1(VALU_DEP_2)
	v_add_f64_e64 v[2:3], v[166:167], -v[4:5]
	v_add_f64_e64 v[4:5], v[168:169], -v[6:7]
	scratch_store_b128 off, v[2:5], off offset:464
	s_wait_xcnt 0x0
	v_cmpx_lt_u32_e32 28, v1
	s_cbranch_execz .LBB53_281
; %bb.280:
	scratch_load_b128 v[2:5], off, s42
	v_mov_b32_e32 v6, 0
	s_delay_alu instid0(VALU_DEP_1)
	v_dual_mov_b32 v7, v6 :: v_dual_mov_b32 v8, v6
	v_mov_b32_e32 v9, v6
	scratch_store_b128 off, v[6:9], off offset:448
	s_wait_loadcnt 0x0
	ds_store_b128 v124, v[2:5]
.LBB53_281:
	s_wait_xcnt 0x0
	s_or_b32 exec_lo, exec_lo, s2
	s_wait_storecnt_dscnt 0x0
	s_barrier_signal -1
	s_barrier_wait -1
	s_clause 0x9
	scratch_load_b128 v[4:7], off, off offset:464
	scratch_load_b128 v[8:11], off, off offset:480
	;; [unrolled: 1-line block ×10, first 2 shown]
	v_mov_b32_e32 v2, 0
	s_mov_b32 s2, exec_lo
	ds_load_b128 v[154:157], v2 offset:1328
	s_clause 0x2
	scratch_load_b128 v[158:161], off, off offset:624
	scratch_load_b128 v[162:165], off, off offset:448
	;; [unrolled: 1-line block ×3, first 2 shown]
	s_wait_loadcnt_dscnt 0xc00
	v_mul_f64_e32 v[174:175], v[156:157], v[6:7]
	v_mul_f64_e32 v[178:179], v[154:155], v[6:7]
	ds_load_b128 v[166:169], v2 offset:1344
	v_fma_f64 v[182:183], v[154:155], v[4:5], -v[174:175]
	v_fmac_f64_e32 v[178:179], v[156:157], v[4:5]
	ds_load_b128 v[4:7], v2 offset:1360
	s_wait_loadcnt_dscnt 0xb01
	v_mul_f64_e32 v[180:181], v[166:167], v[10:11]
	v_mul_f64_e32 v[10:11], v[168:169], v[10:11]
	scratch_load_b128 v[154:157], off, off offset:656
	ds_load_b128 v[174:177], v2 offset:1376
	s_wait_loadcnt_dscnt 0xb01
	v_mul_f64_e32 v[184:185], v[4:5], v[14:15]
	v_mul_f64_e32 v[14:15], v[6:7], v[14:15]
	v_add_f64_e32 v[178:179], 0, v[178:179]
	v_fmac_f64_e32 v[180:181], v[168:169], v[8:9]
	v_fma_f64 v[166:167], v[166:167], v[8:9], -v[10:11]
	v_add_f64_e32 v[168:169], 0, v[182:183]
	scratch_load_b128 v[8:11], off, off offset:672
	v_fmac_f64_e32 v[184:185], v[6:7], v[12:13]
	v_fma_f64 v[186:187], v[4:5], v[12:13], -v[14:15]
	ds_load_b128 v[4:7], v2 offset:1392
	s_wait_loadcnt_dscnt 0xb01
	v_mul_f64_e32 v[182:183], v[174:175], v[128:129]
	v_mul_f64_e32 v[128:129], v[176:177], v[128:129]
	scratch_load_b128 v[12:15], off, off offset:688
	v_add_f64_e32 v[178:179], v[178:179], v[180:181]
	v_add_f64_e32 v[188:189], v[168:169], v[166:167]
	ds_load_b128 v[166:169], v2 offset:1408
	s_wait_loadcnt_dscnt 0xb01
	v_mul_f64_e32 v[180:181], v[4:5], v[132:133]
	v_mul_f64_e32 v[132:133], v[6:7], v[132:133]
	v_fmac_f64_e32 v[182:183], v[176:177], v[126:127]
	v_fma_f64 v[174:175], v[174:175], v[126:127], -v[128:129]
	scratch_load_b128 v[126:129], off, off offset:704
	v_add_f64_e32 v[178:179], v[178:179], v[184:185]
	v_add_f64_e32 v[176:177], v[188:189], v[186:187]
	v_fmac_f64_e32 v[180:181], v[6:7], v[130:131]
	v_fma_f64 v[186:187], v[4:5], v[130:131], -v[132:133]
	ds_load_b128 v[4:7], v2 offset:1424
	s_wait_loadcnt_dscnt 0xb01
	v_mul_f64_e32 v[184:185], v[166:167], v[136:137]
	v_mul_f64_e32 v[136:137], v[168:169], v[136:137]
	scratch_load_b128 v[130:133], off, off offset:720
	v_add_f64_e32 v[178:179], v[178:179], v[182:183]
	s_wait_loadcnt_dscnt 0xb00
	v_mul_f64_e32 v[182:183], v[4:5], v[140:141]
	v_add_f64_e32 v[188:189], v[176:177], v[174:175]
	v_mul_f64_e32 v[140:141], v[6:7], v[140:141]
	ds_load_b128 v[174:177], v2 offset:1440
	v_fmac_f64_e32 v[184:185], v[168:169], v[134:135]
	v_fma_f64 v[166:167], v[166:167], v[134:135], -v[136:137]
	scratch_load_b128 v[134:137], off, off offset:736
	v_add_f64_e32 v[178:179], v[178:179], v[180:181]
	v_fmac_f64_e32 v[182:183], v[6:7], v[138:139]
	v_add_f64_e32 v[168:169], v[188:189], v[186:187]
	v_fma_f64 v[186:187], v[4:5], v[138:139], -v[140:141]
	ds_load_b128 v[4:7], v2 offset:1456
	s_wait_loadcnt_dscnt 0xb01
	v_mul_f64_e32 v[180:181], v[174:175], v[144:145]
	v_mul_f64_e32 v[144:145], v[176:177], v[144:145]
	scratch_load_b128 v[138:141], off, off offset:752
	v_add_f64_e32 v[178:179], v[178:179], v[184:185]
	s_wait_loadcnt_dscnt 0xb00
	v_mul_f64_e32 v[184:185], v[4:5], v[148:149]
	v_add_f64_e32 v[188:189], v[168:169], v[166:167]
	v_mul_f64_e32 v[148:149], v[6:7], v[148:149]
	ds_load_b128 v[166:169], v2 offset:1472
	v_fmac_f64_e32 v[180:181], v[176:177], v[142:143]
	v_fma_f64 v[174:175], v[174:175], v[142:143], -v[144:145]
	scratch_load_b128 v[142:145], off, off offset:768
	v_add_f64_e32 v[178:179], v[178:179], v[182:183]
	v_fmac_f64_e32 v[184:185], v[6:7], v[146:147]
	v_add_f64_e32 v[176:177], v[188:189], v[186:187]
	;; [unrolled: 18-line block ×3, first 2 shown]
	v_fma_f64 v[186:187], v[4:5], v[158:159], -v[160:161]
	ds_load_b128 v[4:7], v2 offset:1520
	s_wait_loadcnt_dscnt 0xa01
	v_mul_f64_e32 v[184:185], v[174:175], v[172:173]
	v_mul_f64_e32 v[172:173], v[176:177], v[172:173]
	scratch_load_b128 v[158:161], off, off offset:816
	v_add_f64_e32 v[178:179], v[178:179], v[182:183]
	v_add_f64_e32 v[188:189], v[168:169], v[166:167]
	s_wait_loadcnt_dscnt 0xa00
	v_mul_f64_e32 v[182:183], v[4:5], v[156:157]
	v_mul_f64_e32 v[156:157], v[6:7], v[156:157]
	v_fmac_f64_e32 v[184:185], v[176:177], v[170:171]
	v_fma_f64 v[174:175], v[174:175], v[170:171], -v[172:173]
	ds_load_b128 v[166:169], v2 offset:1536
	scratch_load_b128 v[170:173], off, off offset:832
	v_add_f64_e32 v[178:179], v[178:179], v[180:181]
	v_add_f64_e32 v[176:177], v[188:189], v[186:187]
	v_fmac_f64_e32 v[182:183], v[6:7], v[154:155]
	v_fma_f64 v[186:187], v[4:5], v[154:155], -v[156:157]
	ds_load_b128 v[4:7], v2 offset:1552
	s_wait_loadcnt_dscnt 0xa01
	v_mul_f64_e32 v[180:181], v[166:167], v[10:11]
	v_mul_f64_e32 v[10:11], v[168:169], v[10:11]
	scratch_load_b128 v[154:157], off, off offset:848
	v_add_f64_e32 v[178:179], v[178:179], v[184:185]
	s_wait_loadcnt_dscnt 0xa00
	v_mul_f64_e32 v[184:185], v[4:5], v[14:15]
	v_add_f64_e32 v[188:189], v[176:177], v[174:175]
	v_mul_f64_e32 v[14:15], v[6:7], v[14:15]
	ds_load_b128 v[174:177], v2 offset:1568
	v_fmac_f64_e32 v[180:181], v[168:169], v[8:9]
	v_fma_f64 v[8:9], v[166:167], v[8:9], -v[10:11]
	s_wait_loadcnt_dscnt 0x900
	v_mul_f64_e32 v[168:169], v[174:175], v[128:129]
	v_mul_f64_e32 v[128:129], v[176:177], v[128:129]
	v_add_f64_e32 v[166:167], v[178:179], v[182:183]
	v_fmac_f64_e32 v[184:185], v[6:7], v[12:13]
	v_add_f64_e32 v[10:11], v[188:189], v[186:187]
	v_fma_f64 v[12:13], v[4:5], v[12:13], -v[14:15]
	v_fmac_f64_e32 v[168:169], v[176:177], v[126:127]
	v_fma_f64 v[126:127], v[174:175], v[126:127], -v[128:129]
	v_add_f64_e32 v[166:167], v[166:167], v[180:181]
	v_add_f64_e32 v[14:15], v[10:11], v[8:9]
	ds_load_b128 v[4:7], v2 offset:1584
	ds_load_b128 v[8:11], v2 offset:1600
	s_wait_loadcnt_dscnt 0x801
	v_mul_f64_e32 v[178:179], v[4:5], v[132:133]
	v_mul_f64_e32 v[132:133], v[6:7], v[132:133]
	s_wait_loadcnt_dscnt 0x700
	v_mul_f64_e32 v[128:129], v[8:9], v[136:137]
	v_mul_f64_e32 v[136:137], v[10:11], v[136:137]
	v_add_f64_e32 v[12:13], v[14:15], v[12:13]
	v_add_f64_e32 v[14:15], v[166:167], v[184:185]
	v_fmac_f64_e32 v[178:179], v[6:7], v[130:131]
	v_fma_f64 v[130:131], v[4:5], v[130:131], -v[132:133]
	v_fmac_f64_e32 v[128:129], v[10:11], v[134:135]
	v_fma_f64 v[8:9], v[8:9], v[134:135], -v[136:137]
	v_add_f64_e32 v[126:127], v[12:13], v[126:127]
	v_add_f64_e32 v[132:133], v[14:15], v[168:169]
	ds_load_b128 v[4:7], v2 offset:1616
	ds_load_b128 v[12:15], v2 offset:1632
	s_wait_loadcnt_dscnt 0x601
	v_mul_f64_e32 v[166:167], v[4:5], v[140:141]
	v_mul_f64_e32 v[140:141], v[6:7], v[140:141]
	v_add_f64_e32 v[10:11], v[126:127], v[130:131]
	v_add_f64_e32 v[126:127], v[132:133], v[178:179]
	s_wait_loadcnt_dscnt 0x500
	v_mul_f64_e32 v[130:131], v[12:13], v[144:145]
	v_mul_f64_e32 v[132:133], v[14:15], v[144:145]
	v_fmac_f64_e32 v[166:167], v[6:7], v[138:139]
	v_fma_f64 v[134:135], v[4:5], v[138:139], -v[140:141]
	v_add_f64_e32 v[136:137], v[10:11], v[8:9]
	v_add_f64_e32 v[126:127], v[126:127], v[128:129]
	ds_load_b128 v[4:7], v2 offset:1648
	ds_load_b128 v[8:11], v2 offset:1664
	v_fmac_f64_e32 v[130:131], v[14:15], v[142:143]
	v_fma_f64 v[12:13], v[12:13], v[142:143], -v[132:133]
	s_wait_loadcnt_dscnt 0x401
	v_mul_f64_e32 v[128:129], v[4:5], v[148:149]
	v_mul_f64_e32 v[138:139], v[6:7], v[148:149]
	s_wait_loadcnt_dscnt 0x300
	v_mul_f64_e32 v[132:133], v[8:9], v[152:153]
	v_add_f64_e32 v[14:15], v[136:137], v[134:135]
	v_add_f64_e32 v[126:127], v[126:127], v[166:167]
	v_mul_f64_e32 v[134:135], v[10:11], v[152:153]
	v_fmac_f64_e32 v[128:129], v[6:7], v[146:147]
	v_fma_f64 v[136:137], v[4:5], v[146:147], -v[138:139]
	v_fmac_f64_e32 v[132:133], v[10:11], v[150:151]
	v_add_f64_e32 v[138:139], v[14:15], v[12:13]
	v_add_f64_e32 v[126:127], v[126:127], v[130:131]
	ds_load_b128 v[4:7], v2 offset:1680
	ds_load_b128 v[12:15], v2 offset:1696
	v_fma_f64 v[8:9], v[8:9], v[150:151], -v[134:135]
	s_wait_loadcnt_dscnt 0x201
	v_mul_f64_e32 v[130:131], v[4:5], v[160:161]
	v_mul_f64_e32 v[140:141], v[6:7], v[160:161]
	s_wait_loadcnt_dscnt 0x100
	v_mul_f64_e32 v[134:135], v[14:15], v[172:173]
	v_add_f64_e32 v[10:11], v[138:139], v[136:137]
	v_add_f64_e32 v[126:127], v[126:127], v[128:129]
	v_mul_f64_e32 v[128:129], v[12:13], v[172:173]
	v_fmac_f64_e32 v[130:131], v[6:7], v[158:159]
	v_fma_f64 v[136:137], v[4:5], v[158:159], -v[140:141]
	ds_load_b128 v[4:7], v2 offset:1712
	v_fma_f64 v[12:13], v[12:13], v[170:171], -v[134:135]
	v_add_f64_e32 v[8:9], v[10:11], v[8:9]
	v_add_f64_e32 v[10:11], v[126:127], v[132:133]
	v_fmac_f64_e32 v[128:129], v[14:15], v[170:171]
	s_wait_loadcnt_dscnt 0x0
	v_mul_f64_e32 v[126:127], v[4:5], v[156:157]
	v_mul_f64_e32 v[132:133], v[6:7], v[156:157]
	v_add_f64_e32 v[8:9], v[8:9], v[136:137]
	v_add_f64_e32 v[10:11], v[10:11], v[130:131]
	s_delay_alu instid0(VALU_DEP_4) | instskip(NEXT) | instid1(VALU_DEP_4)
	v_fmac_f64_e32 v[126:127], v[6:7], v[154:155]
	v_fma_f64 v[4:5], v[4:5], v[154:155], -v[132:133]
	s_delay_alu instid0(VALU_DEP_4) | instskip(NEXT) | instid1(VALU_DEP_4)
	v_add_f64_e32 v[6:7], v[8:9], v[12:13]
	v_add_f64_e32 v[8:9], v[10:11], v[128:129]
	s_delay_alu instid0(VALU_DEP_2) | instskip(NEXT) | instid1(VALU_DEP_2)
	v_add_f64_e32 v[4:5], v[6:7], v[4:5]
	v_add_f64_e32 v[6:7], v[8:9], v[126:127]
	s_delay_alu instid0(VALU_DEP_2) | instskip(NEXT) | instid1(VALU_DEP_2)
	v_add_f64_e64 v[4:5], v[162:163], -v[4:5]
	v_add_f64_e64 v[6:7], v[164:165], -v[6:7]
	scratch_store_b128 off, v[4:7], off offset:448
	s_wait_xcnt 0x0
	v_cmpx_lt_u32_e32 27, v1
	s_cbranch_execz .LBB53_283
; %bb.282:
	scratch_load_b128 v[6:9], off, s39
	v_dual_mov_b32 v3, v2 :: v_dual_mov_b32 v4, v2
	v_mov_b32_e32 v5, v2
	scratch_store_b128 off, v[2:5], off offset:432
	s_wait_loadcnt 0x0
	ds_store_b128 v124, v[6:9]
.LBB53_283:
	s_wait_xcnt 0x0
	s_or_b32 exec_lo, exec_lo, s2
	s_wait_storecnt_dscnt 0x0
	s_barrier_signal -1
	s_barrier_wait -1
	s_clause 0x9
	scratch_load_b128 v[4:7], off, off offset:448
	scratch_load_b128 v[8:11], off, off offset:464
	;; [unrolled: 1-line block ×10, first 2 shown]
	ds_load_b128 v[154:157], v2 offset:1312
	ds_load_b128 v[162:165], v2 offset:1328
	s_clause 0x2
	scratch_load_b128 v[158:161], off, off offset:608
	scratch_load_b128 v[166:169], off, off offset:432
	;; [unrolled: 1-line block ×3, first 2 shown]
	s_mov_b32 s2, exec_lo
	s_wait_loadcnt_dscnt 0xc01
	v_mul_f64_e32 v[174:175], v[156:157], v[6:7]
	v_mul_f64_e32 v[178:179], v[154:155], v[6:7]
	s_wait_loadcnt_dscnt 0xb00
	v_mul_f64_e32 v[180:181], v[162:163], v[10:11]
	v_mul_f64_e32 v[10:11], v[164:165], v[10:11]
	s_delay_alu instid0(VALU_DEP_4) | instskip(NEXT) | instid1(VALU_DEP_4)
	v_fma_f64 v[182:183], v[154:155], v[4:5], -v[174:175]
	v_fmac_f64_e32 v[178:179], v[156:157], v[4:5]
	ds_load_b128 v[4:7], v2 offset:1344
	ds_load_b128 v[154:157], v2 offset:1360
	scratch_load_b128 v[174:177], off, off offset:640
	v_fmac_f64_e32 v[180:181], v[164:165], v[8:9]
	v_fma_f64 v[162:163], v[162:163], v[8:9], -v[10:11]
	scratch_load_b128 v[8:11], off, off offset:656
	s_wait_loadcnt_dscnt 0xc01
	v_mul_f64_e32 v[184:185], v[4:5], v[14:15]
	v_mul_f64_e32 v[14:15], v[6:7], v[14:15]
	v_add_f64_e32 v[164:165], 0, v[182:183]
	v_add_f64_e32 v[178:179], 0, v[178:179]
	s_wait_loadcnt_dscnt 0xb00
	v_mul_f64_e32 v[182:183], v[154:155], v[128:129]
	v_mul_f64_e32 v[128:129], v[156:157], v[128:129]
	v_fmac_f64_e32 v[184:185], v[6:7], v[12:13]
	v_fma_f64 v[186:187], v[4:5], v[12:13], -v[14:15]
	ds_load_b128 v[4:7], v2 offset:1376
	ds_load_b128 v[12:15], v2 offset:1392
	v_add_f64_e32 v[188:189], v[164:165], v[162:163]
	v_add_f64_e32 v[178:179], v[178:179], v[180:181]
	scratch_load_b128 v[162:165], off, off offset:672
	v_fmac_f64_e32 v[182:183], v[156:157], v[126:127]
	v_fma_f64 v[154:155], v[154:155], v[126:127], -v[128:129]
	scratch_load_b128 v[126:129], off, off offset:688
	s_wait_loadcnt_dscnt 0xc01
	v_mul_f64_e32 v[180:181], v[4:5], v[132:133]
	v_mul_f64_e32 v[132:133], v[6:7], v[132:133]
	v_add_f64_e32 v[156:157], v[188:189], v[186:187]
	v_add_f64_e32 v[178:179], v[178:179], v[184:185]
	s_wait_loadcnt_dscnt 0xb00
	v_mul_f64_e32 v[184:185], v[12:13], v[136:137]
	v_mul_f64_e32 v[136:137], v[14:15], v[136:137]
	v_fmac_f64_e32 v[180:181], v[6:7], v[130:131]
	v_fma_f64 v[186:187], v[4:5], v[130:131], -v[132:133]
	ds_load_b128 v[4:7], v2 offset:1408
	ds_load_b128 v[130:133], v2 offset:1424
	v_add_f64_e32 v[188:189], v[156:157], v[154:155]
	v_add_f64_e32 v[178:179], v[178:179], v[182:183]
	scratch_load_b128 v[154:157], off, off offset:704
	s_wait_loadcnt_dscnt 0xb01
	v_mul_f64_e32 v[182:183], v[4:5], v[140:141]
	v_mul_f64_e32 v[140:141], v[6:7], v[140:141]
	v_fmac_f64_e32 v[184:185], v[14:15], v[134:135]
	v_fma_f64 v[134:135], v[12:13], v[134:135], -v[136:137]
	scratch_load_b128 v[12:15], off, off offset:720
	v_add_f64_e32 v[136:137], v[188:189], v[186:187]
	v_add_f64_e32 v[178:179], v[178:179], v[180:181]
	s_wait_loadcnt_dscnt 0xb00
	v_mul_f64_e32 v[180:181], v[130:131], v[144:145]
	v_mul_f64_e32 v[144:145], v[132:133], v[144:145]
	v_fmac_f64_e32 v[182:183], v[6:7], v[138:139]
	v_fma_f64 v[186:187], v[4:5], v[138:139], -v[140:141]
	v_add_f64_e32 v[188:189], v[136:137], v[134:135]
	v_add_f64_e32 v[178:179], v[178:179], v[184:185]
	ds_load_b128 v[4:7], v2 offset:1440
	ds_load_b128 v[134:137], v2 offset:1456
	scratch_load_b128 v[138:141], off, off offset:736
	v_fmac_f64_e32 v[180:181], v[132:133], v[142:143]
	v_fma_f64 v[142:143], v[130:131], v[142:143], -v[144:145]
	scratch_load_b128 v[130:133], off, off offset:752
	s_wait_loadcnt_dscnt 0xc01
	v_mul_f64_e32 v[184:185], v[4:5], v[148:149]
	v_mul_f64_e32 v[148:149], v[6:7], v[148:149]
	v_add_f64_e32 v[144:145], v[188:189], v[186:187]
	v_add_f64_e32 v[178:179], v[178:179], v[182:183]
	s_wait_loadcnt_dscnt 0xb00
	v_mul_f64_e32 v[182:183], v[134:135], v[152:153]
	v_mul_f64_e32 v[152:153], v[136:137], v[152:153]
	v_fmac_f64_e32 v[184:185], v[6:7], v[146:147]
	v_fma_f64 v[186:187], v[4:5], v[146:147], -v[148:149]
	v_add_f64_e32 v[188:189], v[144:145], v[142:143]
	v_add_f64_e32 v[178:179], v[178:179], v[180:181]
	ds_load_b128 v[4:7], v2 offset:1472
	ds_load_b128 v[142:145], v2 offset:1488
	scratch_load_b128 v[146:149], off, off offset:768
	v_fmac_f64_e32 v[182:183], v[136:137], v[150:151]
	v_fma_f64 v[150:151], v[134:135], v[150:151], -v[152:153]
	scratch_load_b128 v[134:137], off, off offset:784
	s_wait_loadcnt_dscnt 0xc01
	v_mul_f64_e32 v[180:181], v[4:5], v[160:161]
	v_mul_f64_e32 v[160:161], v[6:7], v[160:161]
	;; [unrolled: 18-line block ×4, first 2 shown]
	v_add_f64_e32 v[152:153], v[188:189], v[186:187]
	v_add_f64_e32 v[178:179], v[178:179], v[182:183]
	s_wait_loadcnt_dscnt 0xa00
	v_mul_f64_e32 v[182:183], v[170:171], v[128:129]
	v_mul_f64_e32 v[128:129], v[172:173], v[128:129]
	v_fmac_f64_e32 v[184:185], v[6:7], v[162:163]
	v_fma_f64 v[162:163], v[4:5], v[162:163], -v[164:165]
	v_add_f64_e32 v[164:165], v[152:153], v[150:151]
	v_add_f64_e32 v[178:179], v[178:179], v[180:181]
	ds_load_b128 v[4:7], v2 offset:1568
	ds_load_b128 v[150:153], v2 offset:1584
	v_fmac_f64_e32 v[182:183], v[172:173], v[126:127]
	v_fma_f64 v[126:127], v[170:171], v[126:127], -v[128:129]
	s_wait_loadcnt_dscnt 0x901
	v_mul_f64_e32 v[180:181], v[4:5], v[156:157]
	v_mul_f64_e32 v[156:157], v[6:7], v[156:157]
	v_add_f64_e32 v[128:129], v[164:165], v[162:163]
	v_add_f64_e32 v[162:163], v[178:179], v[184:185]
	s_wait_loadcnt_dscnt 0x800
	v_mul_f64_e32 v[164:165], v[150:151], v[14:15]
	v_mul_f64_e32 v[14:15], v[152:153], v[14:15]
	v_fmac_f64_e32 v[180:181], v[6:7], v[154:155]
	v_fma_f64 v[154:155], v[4:5], v[154:155], -v[156:157]
	v_add_f64_e32 v[156:157], v[128:129], v[126:127]
	v_add_f64_e32 v[162:163], v[162:163], v[182:183]
	ds_load_b128 v[4:7], v2 offset:1600
	ds_load_b128 v[126:129], v2 offset:1616
	v_fmac_f64_e32 v[164:165], v[152:153], v[12:13]
	v_fma_f64 v[12:13], v[150:151], v[12:13], -v[14:15]
	s_wait_loadcnt_dscnt 0x701
	v_mul_f64_e32 v[170:171], v[4:5], v[140:141]
	v_mul_f64_e32 v[140:141], v[6:7], v[140:141]
	s_wait_loadcnt_dscnt 0x600
	v_mul_f64_e32 v[152:153], v[126:127], v[132:133]
	v_mul_f64_e32 v[132:133], v[128:129], v[132:133]
	v_add_f64_e32 v[14:15], v[156:157], v[154:155]
	v_add_f64_e32 v[150:151], v[162:163], v[180:181]
	v_fmac_f64_e32 v[170:171], v[6:7], v[138:139]
	v_fma_f64 v[138:139], v[4:5], v[138:139], -v[140:141]
	v_fmac_f64_e32 v[152:153], v[128:129], v[130:131]
	v_fma_f64 v[126:127], v[126:127], v[130:131], -v[132:133]
	v_add_f64_e32 v[140:141], v[14:15], v[12:13]
	v_add_f64_e32 v[150:151], v[150:151], v[164:165]
	ds_load_b128 v[4:7], v2 offset:1632
	ds_load_b128 v[12:15], v2 offset:1648
	s_wait_loadcnt_dscnt 0x501
	v_mul_f64_e32 v[154:155], v[4:5], v[148:149]
	v_mul_f64_e32 v[148:149], v[6:7], v[148:149]
	s_wait_loadcnt_dscnt 0x400
	v_mul_f64_e32 v[132:133], v[12:13], v[136:137]
	v_mul_f64_e32 v[136:137], v[14:15], v[136:137]
	v_add_f64_e32 v[128:129], v[140:141], v[138:139]
	v_add_f64_e32 v[130:131], v[150:151], v[170:171]
	v_fmac_f64_e32 v[154:155], v[6:7], v[146:147]
	v_fma_f64 v[138:139], v[4:5], v[146:147], -v[148:149]
	v_fmac_f64_e32 v[132:133], v[14:15], v[134:135]
	v_fma_f64 v[12:13], v[12:13], v[134:135], -v[136:137]
	v_add_f64_e32 v[140:141], v[128:129], v[126:127]
	v_add_f64_e32 v[130:131], v[130:131], v[152:153]
	ds_load_b128 v[4:7], v2 offset:1664
	ds_load_b128 v[126:129], v2 offset:1680
	;; [unrolled: 16-line block ×3, first 2 shown]
	s_wait_loadcnt_dscnt 0x101
	v_mul_f64_e32 v[2:3], v[4:5], v[176:177]
	v_mul_f64_e32 v[132:133], v[6:7], v[176:177]
	s_wait_loadcnt_dscnt 0x0
	v_mul_f64_e32 v[136:137], v[12:13], v[10:11]
	v_mul_f64_e32 v[10:11], v[14:15], v[10:11]
	v_add_f64_e32 v[128:129], v[140:141], v[138:139]
	v_add_f64_e32 v[130:131], v[130:131], v[146:147]
	v_fmac_f64_e32 v[2:3], v[6:7], v[174:175]
	v_fma_f64 v[4:5], v[4:5], v[174:175], -v[132:133]
	v_fmac_f64_e32 v[136:137], v[14:15], v[8:9]
	v_fma_f64 v[8:9], v[12:13], v[8:9], -v[10:11]
	v_add_f64_e32 v[6:7], v[128:129], v[126:127]
	v_add_f64_e32 v[126:127], v[130:131], v[134:135]
	s_delay_alu instid0(VALU_DEP_2) | instskip(NEXT) | instid1(VALU_DEP_2)
	v_add_f64_e32 v[4:5], v[6:7], v[4:5]
	v_add_f64_e32 v[2:3], v[126:127], v[2:3]
	s_delay_alu instid0(VALU_DEP_2) | instskip(NEXT) | instid1(VALU_DEP_2)
	;; [unrolled: 3-line block ×3, first 2 shown]
	v_add_f64_e64 v[2:3], v[166:167], -v[4:5]
	v_add_f64_e64 v[4:5], v[168:169], -v[6:7]
	scratch_store_b128 off, v[2:5], off offset:432
	s_wait_xcnt 0x0
	v_cmpx_lt_u32_e32 26, v1
	s_cbranch_execz .LBB53_285
; %bb.284:
	scratch_load_b128 v[2:5], off, s48
	v_mov_b32_e32 v6, 0
	s_delay_alu instid0(VALU_DEP_1)
	v_dual_mov_b32 v7, v6 :: v_dual_mov_b32 v8, v6
	v_mov_b32_e32 v9, v6
	scratch_store_b128 off, v[6:9], off offset:416
	s_wait_loadcnt 0x0
	ds_store_b128 v124, v[2:5]
.LBB53_285:
	s_wait_xcnt 0x0
	s_or_b32 exec_lo, exec_lo, s2
	s_wait_storecnt_dscnt 0x0
	s_barrier_signal -1
	s_barrier_wait -1
	s_clause 0x9
	scratch_load_b128 v[4:7], off, off offset:432
	scratch_load_b128 v[8:11], off, off offset:448
	;; [unrolled: 1-line block ×10, first 2 shown]
	v_mov_b32_e32 v2, 0
	s_mov_b32 s2, exec_lo
	ds_load_b128 v[154:157], v2 offset:1296
	s_clause 0x2
	scratch_load_b128 v[158:161], off, off offset:592
	scratch_load_b128 v[162:165], off, off offset:416
	;; [unrolled: 1-line block ×3, first 2 shown]
	s_wait_loadcnt_dscnt 0xc00
	v_mul_f64_e32 v[174:175], v[156:157], v[6:7]
	v_mul_f64_e32 v[178:179], v[154:155], v[6:7]
	ds_load_b128 v[166:169], v2 offset:1312
	v_fma_f64 v[182:183], v[154:155], v[4:5], -v[174:175]
	v_fmac_f64_e32 v[178:179], v[156:157], v[4:5]
	ds_load_b128 v[4:7], v2 offset:1328
	s_wait_loadcnt_dscnt 0xb01
	v_mul_f64_e32 v[180:181], v[166:167], v[10:11]
	v_mul_f64_e32 v[10:11], v[168:169], v[10:11]
	scratch_load_b128 v[154:157], off, off offset:624
	ds_load_b128 v[174:177], v2 offset:1344
	s_wait_loadcnt_dscnt 0xb01
	v_mul_f64_e32 v[184:185], v[4:5], v[14:15]
	v_mul_f64_e32 v[14:15], v[6:7], v[14:15]
	v_add_f64_e32 v[178:179], 0, v[178:179]
	v_fmac_f64_e32 v[180:181], v[168:169], v[8:9]
	v_fma_f64 v[166:167], v[166:167], v[8:9], -v[10:11]
	v_add_f64_e32 v[168:169], 0, v[182:183]
	scratch_load_b128 v[8:11], off, off offset:640
	v_fmac_f64_e32 v[184:185], v[6:7], v[12:13]
	v_fma_f64 v[186:187], v[4:5], v[12:13], -v[14:15]
	ds_load_b128 v[4:7], v2 offset:1360
	s_wait_loadcnt_dscnt 0xb01
	v_mul_f64_e32 v[182:183], v[174:175], v[128:129]
	v_mul_f64_e32 v[128:129], v[176:177], v[128:129]
	scratch_load_b128 v[12:15], off, off offset:656
	v_add_f64_e32 v[178:179], v[178:179], v[180:181]
	v_add_f64_e32 v[188:189], v[168:169], v[166:167]
	ds_load_b128 v[166:169], v2 offset:1376
	s_wait_loadcnt_dscnt 0xb01
	v_mul_f64_e32 v[180:181], v[4:5], v[132:133]
	v_mul_f64_e32 v[132:133], v[6:7], v[132:133]
	v_fmac_f64_e32 v[182:183], v[176:177], v[126:127]
	v_fma_f64 v[174:175], v[174:175], v[126:127], -v[128:129]
	scratch_load_b128 v[126:129], off, off offset:672
	v_add_f64_e32 v[178:179], v[178:179], v[184:185]
	v_add_f64_e32 v[176:177], v[188:189], v[186:187]
	v_fmac_f64_e32 v[180:181], v[6:7], v[130:131]
	v_fma_f64 v[186:187], v[4:5], v[130:131], -v[132:133]
	ds_load_b128 v[4:7], v2 offset:1392
	s_wait_loadcnt_dscnt 0xb01
	v_mul_f64_e32 v[184:185], v[166:167], v[136:137]
	v_mul_f64_e32 v[136:137], v[168:169], v[136:137]
	scratch_load_b128 v[130:133], off, off offset:688
	v_add_f64_e32 v[178:179], v[178:179], v[182:183]
	s_wait_loadcnt_dscnt 0xb00
	v_mul_f64_e32 v[182:183], v[4:5], v[140:141]
	v_add_f64_e32 v[188:189], v[176:177], v[174:175]
	v_mul_f64_e32 v[140:141], v[6:7], v[140:141]
	ds_load_b128 v[174:177], v2 offset:1408
	v_fmac_f64_e32 v[184:185], v[168:169], v[134:135]
	v_fma_f64 v[166:167], v[166:167], v[134:135], -v[136:137]
	scratch_load_b128 v[134:137], off, off offset:704
	v_add_f64_e32 v[178:179], v[178:179], v[180:181]
	v_fmac_f64_e32 v[182:183], v[6:7], v[138:139]
	v_add_f64_e32 v[168:169], v[188:189], v[186:187]
	v_fma_f64 v[186:187], v[4:5], v[138:139], -v[140:141]
	ds_load_b128 v[4:7], v2 offset:1424
	s_wait_loadcnt_dscnt 0xb01
	v_mul_f64_e32 v[180:181], v[174:175], v[144:145]
	v_mul_f64_e32 v[144:145], v[176:177], v[144:145]
	scratch_load_b128 v[138:141], off, off offset:720
	v_add_f64_e32 v[178:179], v[178:179], v[184:185]
	s_wait_loadcnt_dscnt 0xb00
	v_mul_f64_e32 v[184:185], v[4:5], v[148:149]
	v_add_f64_e32 v[188:189], v[168:169], v[166:167]
	v_mul_f64_e32 v[148:149], v[6:7], v[148:149]
	ds_load_b128 v[166:169], v2 offset:1440
	v_fmac_f64_e32 v[180:181], v[176:177], v[142:143]
	v_fma_f64 v[174:175], v[174:175], v[142:143], -v[144:145]
	scratch_load_b128 v[142:145], off, off offset:736
	v_add_f64_e32 v[178:179], v[178:179], v[182:183]
	v_fmac_f64_e32 v[184:185], v[6:7], v[146:147]
	v_add_f64_e32 v[176:177], v[188:189], v[186:187]
	;; [unrolled: 18-line block ×3, first 2 shown]
	v_fma_f64 v[186:187], v[4:5], v[158:159], -v[160:161]
	ds_load_b128 v[4:7], v2 offset:1488
	s_wait_loadcnt_dscnt 0xa01
	v_mul_f64_e32 v[184:185], v[174:175], v[172:173]
	v_mul_f64_e32 v[172:173], v[176:177], v[172:173]
	scratch_load_b128 v[158:161], off, off offset:784
	v_add_f64_e32 v[178:179], v[178:179], v[182:183]
	v_add_f64_e32 v[188:189], v[168:169], v[166:167]
	s_wait_loadcnt_dscnt 0xa00
	v_mul_f64_e32 v[182:183], v[4:5], v[156:157]
	v_mul_f64_e32 v[156:157], v[6:7], v[156:157]
	v_fmac_f64_e32 v[184:185], v[176:177], v[170:171]
	v_fma_f64 v[174:175], v[174:175], v[170:171], -v[172:173]
	ds_load_b128 v[166:169], v2 offset:1504
	scratch_load_b128 v[170:173], off, off offset:800
	v_add_f64_e32 v[178:179], v[178:179], v[180:181]
	v_add_f64_e32 v[176:177], v[188:189], v[186:187]
	v_fmac_f64_e32 v[182:183], v[6:7], v[154:155]
	v_fma_f64 v[186:187], v[4:5], v[154:155], -v[156:157]
	ds_load_b128 v[4:7], v2 offset:1520
	s_wait_loadcnt_dscnt 0xa01
	v_mul_f64_e32 v[180:181], v[166:167], v[10:11]
	v_mul_f64_e32 v[10:11], v[168:169], v[10:11]
	scratch_load_b128 v[154:157], off, off offset:816
	v_add_f64_e32 v[178:179], v[178:179], v[184:185]
	s_wait_loadcnt_dscnt 0xa00
	v_mul_f64_e32 v[184:185], v[4:5], v[14:15]
	v_add_f64_e32 v[188:189], v[176:177], v[174:175]
	v_mul_f64_e32 v[14:15], v[6:7], v[14:15]
	ds_load_b128 v[174:177], v2 offset:1536
	v_fmac_f64_e32 v[180:181], v[168:169], v[8:9]
	v_fma_f64 v[166:167], v[166:167], v[8:9], -v[10:11]
	scratch_load_b128 v[8:11], off, off offset:832
	v_add_f64_e32 v[178:179], v[178:179], v[182:183]
	v_fmac_f64_e32 v[184:185], v[6:7], v[12:13]
	v_add_f64_e32 v[168:169], v[188:189], v[186:187]
	v_fma_f64 v[186:187], v[4:5], v[12:13], -v[14:15]
	ds_load_b128 v[4:7], v2 offset:1552
	s_wait_loadcnt_dscnt 0xa01
	v_mul_f64_e32 v[182:183], v[174:175], v[128:129]
	v_mul_f64_e32 v[128:129], v[176:177], v[128:129]
	scratch_load_b128 v[12:15], off, off offset:848
	v_add_f64_e32 v[178:179], v[178:179], v[180:181]
	s_wait_loadcnt_dscnt 0xa00
	v_mul_f64_e32 v[180:181], v[4:5], v[132:133]
	v_add_f64_e32 v[188:189], v[168:169], v[166:167]
	v_mul_f64_e32 v[132:133], v[6:7], v[132:133]
	ds_load_b128 v[166:169], v2 offset:1568
	v_fmac_f64_e32 v[182:183], v[176:177], v[126:127]
	v_fma_f64 v[126:127], v[174:175], v[126:127], -v[128:129]
	s_wait_loadcnt_dscnt 0x900
	v_mul_f64_e32 v[176:177], v[166:167], v[136:137]
	v_mul_f64_e32 v[136:137], v[168:169], v[136:137]
	v_add_f64_e32 v[174:175], v[178:179], v[184:185]
	v_fmac_f64_e32 v[180:181], v[6:7], v[130:131]
	v_add_f64_e32 v[128:129], v[188:189], v[186:187]
	v_fma_f64 v[130:131], v[4:5], v[130:131], -v[132:133]
	v_fmac_f64_e32 v[176:177], v[168:169], v[134:135]
	v_fma_f64 v[134:135], v[166:167], v[134:135], -v[136:137]
	v_add_f64_e32 v[174:175], v[174:175], v[182:183]
	v_add_f64_e32 v[132:133], v[128:129], v[126:127]
	ds_load_b128 v[4:7], v2 offset:1584
	ds_load_b128 v[126:129], v2 offset:1600
	s_wait_loadcnt_dscnt 0x801
	v_mul_f64_e32 v[178:179], v[4:5], v[140:141]
	v_mul_f64_e32 v[140:141], v[6:7], v[140:141]
	s_wait_loadcnt_dscnt 0x700
	v_mul_f64_e32 v[136:137], v[126:127], v[144:145]
	v_mul_f64_e32 v[144:145], v[128:129], v[144:145]
	v_add_f64_e32 v[130:131], v[132:133], v[130:131]
	v_add_f64_e32 v[132:133], v[174:175], v[180:181]
	v_fmac_f64_e32 v[178:179], v[6:7], v[138:139]
	v_fma_f64 v[138:139], v[4:5], v[138:139], -v[140:141]
	v_fmac_f64_e32 v[136:137], v[128:129], v[142:143]
	v_fma_f64 v[126:127], v[126:127], v[142:143], -v[144:145]
	v_add_f64_e32 v[134:135], v[130:131], v[134:135]
	v_add_f64_e32 v[140:141], v[132:133], v[176:177]
	ds_load_b128 v[4:7], v2 offset:1616
	ds_load_b128 v[130:133], v2 offset:1632
	s_wait_loadcnt_dscnt 0x601
	v_mul_f64_e32 v[166:167], v[4:5], v[148:149]
	v_mul_f64_e32 v[148:149], v[6:7], v[148:149]
	v_add_f64_e32 v[128:129], v[134:135], v[138:139]
	v_add_f64_e32 v[134:135], v[140:141], v[178:179]
	s_wait_loadcnt_dscnt 0x500
	v_mul_f64_e32 v[138:139], v[130:131], v[152:153]
	v_mul_f64_e32 v[140:141], v[132:133], v[152:153]
	v_fmac_f64_e32 v[166:167], v[6:7], v[146:147]
	v_fma_f64 v[142:143], v[4:5], v[146:147], -v[148:149]
	v_add_f64_e32 v[144:145], v[128:129], v[126:127]
	v_add_f64_e32 v[134:135], v[134:135], v[136:137]
	ds_load_b128 v[4:7], v2 offset:1648
	ds_load_b128 v[126:129], v2 offset:1664
	v_fmac_f64_e32 v[138:139], v[132:133], v[150:151]
	v_fma_f64 v[130:131], v[130:131], v[150:151], -v[140:141]
	s_wait_loadcnt_dscnt 0x401
	v_mul_f64_e32 v[136:137], v[4:5], v[160:161]
	v_mul_f64_e32 v[146:147], v[6:7], v[160:161]
	s_wait_loadcnt_dscnt 0x300
	v_mul_f64_e32 v[140:141], v[126:127], v[172:173]
	v_add_f64_e32 v[132:133], v[144:145], v[142:143]
	v_add_f64_e32 v[134:135], v[134:135], v[166:167]
	v_mul_f64_e32 v[142:143], v[128:129], v[172:173]
	v_fmac_f64_e32 v[136:137], v[6:7], v[158:159]
	v_fma_f64 v[144:145], v[4:5], v[158:159], -v[146:147]
	v_fmac_f64_e32 v[140:141], v[128:129], v[170:171]
	v_add_f64_e32 v[146:147], v[132:133], v[130:131]
	v_add_f64_e32 v[134:135], v[134:135], v[138:139]
	ds_load_b128 v[4:7], v2 offset:1680
	ds_load_b128 v[130:133], v2 offset:1696
	v_fma_f64 v[126:127], v[126:127], v[170:171], -v[142:143]
	s_wait_loadcnt_dscnt 0x201
	v_mul_f64_e32 v[138:139], v[4:5], v[156:157]
	v_mul_f64_e32 v[148:149], v[6:7], v[156:157]
	v_add_f64_e32 v[128:129], v[146:147], v[144:145]
	v_add_f64_e32 v[134:135], v[134:135], v[136:137]
	s_wait_loadcnt_dscnt 0x100
	v_mul_f64_e32 v[136:137], v[130:131], v[10:11]
	v_mul_f64_e32 v[10:11], v[132:133], v[10:11]
	v_fmac_f64_e32 v[138:139], v[6:7], v[154:155]
	v_fma_f64 v[142:143], v[4:5], v[154:155], -v[148:149]
	ds_load_b128 v[4:7], v2 offset:1712
	v_add_f64_e32 v[126:127], v[128:129], v[126:127]
	v_add_f64_e32 v[128:129], v[134:135], v[140:141]
	v_fmac_f64_e32 v[136:137], v[132:133], v[8:9]
	v_fma_f64 v[8:9], v[130:131], v[8:9], -v[10:11]
	s_wait_loadcnt_dscnt 0x0
	v_mul_f64_e32 v[134:135], v[4:5], v[14:15]
	v_mul_f64_e32 v[14:15], v[6:7], v[14:15]
	v_add_f64_e32 v[10:11], v[126:127], v[142:143]
	v_add_f64_e32 v[126:127], v[128:129], v[138:139]
	s_delay_alu instid0(VALU_DEP_4) | instskip(NEXT) | instid1(VALU_DEP_4)
	v_fmac_f64_e32 v[134:135], v[6:7], v[12:13]
	v_fma_f64 v[4:5], v[4:5], v[12:13], -v[14:15]
	s_delay_alu instid0(VALU_DEP_4) | instskip(NEXT) | instid1(VALU_DEP_4)
	v_add_f64_e32 v[6:7], v[10:11], v[8:9]
	v_add_f64_e32 v[8:9], v[126:127], v[136:137]
	s_delay_alu instid0(VALU_DEP_2) | instskip(NEXT) | instid1(VALU_DEP_2)
	v_add_f64_e32 v[4:5], v[6:7], v[4:5]
	v_add_f64_e32 v[6:7], v[8:9], v[134:135]
	s_delay_alu instid0(VALU_DEP_2) | instskip(NEXT) | instid1(VALU_DEP_2)
	v_add_f64_e64 v[4:5], v[162:163], -v[4:5]
	v_add_f64_e64 v[6:7], v[164:165], -v[6:7]
	scratch_store_b128 off, v[4:7], off offset:416
	s_wait_xcnt 0x0
	v_cmpx_lt_u32_e32 25, v1
	s_cbranch_execz .LBB53_287
; %bb.286:
	scratch_load_b128 v[6:9], off, s46
	v_dual_mov_b32 v3, v2 :: v_dual_mov_b32 v4, v2
	v_mov_b32_e32 v5, v2
	scratch_store_b128 off, v[2:5], off offset:400
	s_wait_loadcnt 0x0
	ds_store_b128 v124, v[6:9]
.LBB53_287:
	s_wait_xcnt 0x0
	s_or_b32 exec_lo, exec_lo, s2
	s_wait_storecnt_dscnt 0x0
	s_barrier_signal -1
	s_barrier_wait -1
	s_clause 0x9
	scratch_load_b128 v[4:7], off, off offset:416
	scratch_load_b128 v[8:11], off, off offset:432
	;; [unrolled: 1-line block ×10, first 2 shown]
	ds_load_b128 v[154:157], v2 offset:1280
	ds_load_b128 v[162:165], v2 offset:1296
	s_clause 0x2
	scratch_load_b128 v[158:161], off, off offset:576
	scratch_load_b128 v[166:169], off, off offset:400
	;; [unrolled: 1-line block ×3, first 2 shown]
	s_mov_b32 s2, exec_lo
	s_wait_loadcnt_dscnt 0xc01
	v_mul_f64_e32 v[174:175], v[156:157], v[6:7]
	v_mul_f64_e32 v[178:179], v[154:155], v[6:7]
	s_wait_loadcnt_dscnt 0xb00
	v_mul_f64_e32 v[180:181], v[162:163], v[10:11]
	v_mul_f64_e32 v[10:11], v[164:165], v[10:11]
	s_delay_alu instid0(VALU_DEP_4) | instskip(NEXT) | instid1(VALU_DEP_4)
	v_fma_f64 v[182:183], v[154:155], v[4:5], -v[174:175]
	v_fmac_f64_e32 v[178:179], v[156:157], v[4:5]
	ds_load_b128 v[4:7], v2 offset:1312
	ds_load_b128 v[154:157], v2 offset:1328
	scratch_load_b128 v[174:177], off, off offset:608
	v_fmac_f64_e32 v[180:181], v[164:165], v[8:9]
	v_fma_f64 v[162:163], v[162:163], v[8:9], -v[10:11]
	scratch_load_b128 v[8:11], off, off offset:624
	s_wait_loadcnt_dscnt 0xc01
	v_mul_f64_e32 v[184:185], v[4:5], v[14:15]
	v_mul_f64_e32 v[14:15], v[6:7], v[14:15]
	v_add_f64_e32 v[164:165], 0, v[182:183]
	v_add_f64_e32 v[178:179], 0, v[178:179]
	s_wait_loadcnt_dscnt 0xb00
	v_mul_f64_e32 v[182:183], v[154:155], v[128:129]
	v_mul_f64_e32 v[128:129], v[156:157], v[128:129]
	v_fmac_f64_e32 v[184:185], v[6:7], v[12:13]
	v_fma_f64 v[186:187], v[4:5], v[12:13], -v[14:15]
	ds_load_b128 v[4:7], v2 offset:1344
	ds_load_b128 v[12:15], v2 offset:1360
	v_add_f64_e32 v[188:189], v[164:165], v[162:163]
	v_add_f64_e32 v[178:179], v[178:179], v[180:181]
	scratch_load_b128 v[162:165], off, off offset:640
	v_fmac_f64_e32 v[182:183], v[156:157], v[126:127]
	v_fma_f64 v[154:155], v[154:155], v[126:127], -v[128:129]
	scratch_load_b128 v[126:129], off, off offset:656
	s_wait_loadcnt_dscnt 0xc01
	v_mul_f64_e32 v[180:181], v[4:5], v[132:133]
	v_mul_f64_e32 v[132:133], v[6:7], v[132:133]
	v_add_f64_e32 v[156:157], v[188:189], v[186:187]
	v_add_f64_e32 v[178:179], v[178:179], v[184:185]
	s_wait_loadcnt_dscnt 0xb00
	v_mul_f64_e32 v[184:185], v[12:13], v[136:137]
	v_mul_f64_e32 v[136:137], v[14:15], v[136:137]
	v_fmac_f64_e32 v[180:181], v[6:7], v[130:131]
	v_fma_f64 v[186:187], v[4:5], v[130:131], -v[132:133]
	ds_load_b128 v[4:7], v2 offset:1376
	ds_load_b128 v[130:133], v2 offset:1392
	v_add_f64_e32 v[188:189], v[156:157], v[154:155]
	v_add_f64_e32 v[178:179], v[178:179], v[182:183]
	scratch_load_b128 v[154:157], off, off offset:672
	s_wait_loadcnt_dscnt 0xb01
	v_mul_f64_e32 v[182:183], v[4:5], v[140:141]
	v_mul_f64_e32 v[140:141], v[6:7], v[140:141]
	v_fmac_f64_e32 v[184:185], v[14:15], v[134:135]
	v_fma_f64 v[134:135], v[12:13], v[134:135], -v[136:137]
	scratch_load_b128 v[12:15], off, off offset:688
	v_add_f64_e32 v[136:137], v[188:189], v[186:187]
	v_add_f64_e32 v[178:179], v[178:179], v[180:181]
	s_wait_loadcnt_dscnt 0xb00
	v_mul_f64_e32 v[180:181], v[130:131], v[144:145]
	v_mul_f64_e32 v[144:145], v[132:133], v[144:145]
	v_fmac_f64_e32 v[182:183], v[6:7], v[138:139]
	v_fma_f64 v[186:187], v[4:5], v[138:139], -v[140:141]
	v_add_f64_e32 v[188:189], v[136:137], v[134:135]
	v_add_f64_e32 v[178:179], v[178:179], v[184:185]
	ds_load_b128 v[4:7], v2 offset:1408
	ds_load_b128 v[134:137], v2 offset:1424
	scratch_load_b128 v[138:141], off, off offset:704
	v_fmac_f64_e32 v[180:181], v[132:133], v[142:143]
	v_fma_f64 v[142:143], v[130:131], v[142:143], -v[144:145]
	scratch_load_b128 v[130:133], off, off offset:720
	s_wait_loadcnt_dscnt 0xc01
	v_mul_f64_e32 v[184:185], v[4:5], v[148:149]
	v_mul_f64_e32 v[148:149], v[6:7], v[148:149]
	v_add_f64_e32 v[144:145], v[188:189], v[186:187]
	v_add_f64_e32 v[178:179], v[178:179], v[182:183]
	s_wait_loadcnt_dscnt 0xb00
	v_mul_f64_e32 v[182:183], v[134:135], v[152:153]
	v_mul_f64_e32 v[152:153], v[136:137], v[152:153]
	v_fmac_f64_e32 v[184:185], v[6:7], v[146:147]
	v_fma_f64 v[186:187], v[4:5], v[146:147], -v[148:149]
	v_add_f64_e32 v[188:189], v[144:145], v[142:143]
	v_add_f64_e32 v[178:179], v[178:179], v[180:181]
	ds_load_b128 v[4:7], v2 offset:1440
	ds_load_b128 v[142:145], v2 offset:1456
	scratch_load_b128 v[146:149], off, off offset:736
	v_fmac_f64_e32 v[182:183], v[136:137], v[150:151]
	v_fma_f64 v[150:151], v[134:135], v[150:151], -v[152:153]
	scratch_load_b128 v[134:137], off, off offset:752
	s_wait_loadcnt_dscnt 0xc01
	v_mul_f64_e32 v[180:181], v[4:5], v[160:161]
	v_mul_f64_e32 v[160:161], v[6:7], v[160:161]
	v_add_f64_e32 v[152:153], v[188:189], v[186:187]
	v_add_f64_e32 v[178:179], v[178:179], v[184:185]
	s_wait_loadcnt_dscnt 0xa00
	v_mul_f64_e32 v[184:185], v[142:143], v[172:173]
	v_mul_f64_e32 v[172:173], v[144:145], v[172:173]
	v_fmac_f64_e32 v[180:181], v[6:7], v[158:159]
	v_fma_f64 v[186:187], v[4:5], v[158:159], -v[160:161]
	v_add_f64_e32 v[188:189], v[152:153], v[150:151]
	v_add_f64_e32 v[178:179], v[178:179], v[182:183]
	ds_load_b128 v[4:7], v2 offset:1472
	ds_load_b128 v[150:153], v2 offset:1488
	scratch_load_b128 v[158:161], off, off offset:768
	v_fmac_f64_e32 v[184:185], v[144:145], v[170:171]
	v_fma_f64 v[170:171], v[142:143], v[170:171], -v[172:173]
	scratch_load_b128 v[142:145], off, off offset:784
	s_wait_loadcnt_dscnt 0xb01
	v_mul_f64_e32 v[182:183], v[4:5], v[176:177]
	v_mul_f64_e32 v[176:177], v[6:7], v[176:177]
	v_add_f64_e32 v[172:173], v[188:189], v[186:187]
	v_add_f64_e32 v[178:179], v[178:179], v[180:181]
	s_wait_loadcnt_dscnt 0xa00
	v_mul_f64_e32 v[180:181], v[150:151], v[10:11]
	v_mul_f64_e32 v[10:11], v[152:153], v[10:11]
	v_fmac_f64_e32 v[182:183], v[6:7], v[174:175]
	v_fma_f64 v[186:187], v[4:5], v[174:175], -v[176:177]
	v_add_f64_e32 v[188:189], v[172:173], v[170:171]
	v_add_f64_e32 v[178:179], v[178:179], v[184:185]
	ds_load_b128 v[4:7], v2 offset:1504
	ds_load_b128 v[170:173], v2 offset:1520
	scratch_load_b128 v[174:177], off, off offset:800
	v_fmac_f64_e32 v[180:181], v[152:153], v[8:9]
	v_fma_f64 v[150:151], v[150:151], v[8:9], -v[10:11]
	scratch_load_b128 v[8:11], off, off offset:816
	s_wait_loadcnt_dscnt 0xb01
	v_mul_f64_e32 v[184:185], v[4:5], v[164:165]
	v_mul_f64_e32 v[164:165], v[6:7], v[164:165]
	v_add_f64_e32 v[152:153], v[188:189], v[186:187]
	v_add_f64_e32 v[178:179], v[178:179], v[182:183]
	s_wait_loadcnt_dscnt 0xa00
	v_mul_f64_e32 v[182:183], v[170:171], v[128:129]
	v_mul_f64_e32 v[128:129], v[172:173], v[128:129]
	v_fmac_f64_e32 v[184:185], v[6:7], v[162:163]
	v_fma_f64 v[186:187], v[4:5], v[162:163], -v[164:165]
	v_add_f64_e32 v[188:189], v[152:153], v[150:151]
	v_add_f64_e32 v[178:179], v[178:179], v[180:181]
	ds_load_b128 v[4:7], v2 offset:1536
	ds_load_b128 v[150:153], v2 offset:1552
	scratch_load_b128 v[162:165], off, off offset:832
	v_fmac_f64_e32 v[182:183], v[172:173], v[126:127]
	v_fma_f64 v[170:171], v[170:171], v[126:127], -v[128:129]
	scratch_load_b128 v[126:129], off, off offset:848
	s_wait_loadcnt_dscnt 0xb01
	v_mul_f64_e32 v[180:181], v[4:5], v[156:157]
	v_mul_f64_e32 v[156:157], v[6:7], v[156:157]
	v_add_f64_e32 v[172:173], v[188:189], v[186:187]
	v_add_f64_e32 v[178:179], v[178:179], v[184:185]
	s_wait_loadcnt_dscnt 0xa00
	v_mul_f64_e32 v[184:185], v[150:151], v[14:15]
	v_mul_f64_e32 v[14:15], v[152:153], v[14:15]
	v_fmac_f64_e32 v[180:181], v[6:7], v[154:155]
	v_fma_f64 v[186:187], v[4:5], v[154:155], -v[156:157]
	ds_load_b128 v[4:7], v2 offset:1568
	ds_load_b128 v[154:157], v2 offset:1584
	v_add_f64_e32 v[170:171], v[172:173], v[170:171]
	v_add_f64_e32 v[172:173], v[178:179], v[182:183]
	v_fmac_f64_e32 v[184:185], v[152:153], v[12:13]
	v_fma_f64 v[12:13], v[150:151], v[12:13], -v[14:15]
	s_wait_loadcnt_dscnt 0x901
	v_mul_f64_e32 v[178:179], v[4:5], v[140:141]
	v_mul_f64_e32 v[140:141], v[6:7], v[140:141]
	s_wait_loadcnt_dscnt 0x800
	v_mul_f64_e32 v[152:153], v[154:155], v[132:133]
	v_mul_f64_e32 v[132:133], v[156:157], v[132:133]
	v_add_f64_e32 v[14:15], v[170:171], v[186:187]
	v_add_f64_e32 v[150:151], v[172:173], v[180:181]
	v_fmac_f64_e32 v[178:179], v[6:7], v[138:139]
	v_fma_f64 v[138:139], v[4:5], v[138:139], -v[140:141]
	v_fmac_f64_e32 v[152:153], v[156:157], v[130:131]
	v_fma_f64 v[130:131], v[154:155], v[130:131], -v[132:133]
	v_add_f64_e32 v[140:141], v[14:15], v[12:13]
	v_add_f64_e32 v[150:151], v[150:151], v[184:185]
	ds_load_b128 v[4:7], v2 offset:1600
	ds_load_b128 v[12:15], v2 offset:1616
	s_wait_loadcnt_dscnt 0x701
	v_mul_f64_e32 v[170:171], v[4:5], v[148:149]
	v_mul_f64_e32 v[148:149], v[6:7], v[148:149]
	v_add_f64_e32 v[132:133], v[140:141], v[138:139]
	v_add_f64_e32 v[138:139], v[150:151], v[178:179]
	s_wait_loadcnt_dscnt 0x600
	v_mul_f64_e32 v[140:141], v[12:13], v[136:137]
	v_mul_f64_e32 v[136:137], v[14:15], v[136:137]
	v_fmac_f64_e32 v[170:171], v[6:7], v[146:147]
	v_fma_f64 v[146:147], v[4:5], v[146:147], -v[148:149]
	v_add_f64_e32 v[148:149], v[132:133], v[130:131]
	v_add_f64_e32 v[138:139], v[138:139], v[152:153]
	ds_load_b128 v[4:7], v2 offset:1632
	ds_load_b128 v[130:133], v2 offset:1648
	v_fmac_f64_e32 v[140:141], v[14:15], v[134:135]
	v_fma_f64 v[12:13], v[12:13], v[134:135], -v[136:137]
	s_wait_loadcnt_dscnt 0x501
	v_mul_f64_e32 v[150:151], v[4:5], v[160:161]
	v_mul_f64_e32 v[152:153], v[6:7], v[160:161]
	s_wait_loadcnt_dscnt 0x400
	v_mul_f64_e32 v[136:137], v[130:131], v[144:145]
	v_add_f64_e32 v[14:15], v[148:149], v[146:147]
	v_add_f64_e32 v[134:135], v[138:139], v[170:171]
	v_mul_f64_e32 v[138:139], v[132:133], v[144:145]
	v_fmac_f64_e32 v[150:151], v[6:7], v[158:159]
	v_fma_f64 v[144:145], v[4:5], v[158:159], -v[152:153]
	v_fmac_f64_e32 v[136:137], v[132:133], v[142:143]
	v_add_f64_e32 v[146:147], v[14:15], v[12:13]
	v_add_f64_e32 v[134:135], v[134:135], v[140:141]
	ds_load_b128 v[4:7], v2 offset:1664
	ds_load_b128 v[12:15], v2 offset:1680
	v_fma_f64 v[130:131], v[130:131], v[142:143], -v[138:139]
	s_wait_loadcnt_dscnt 0x301
	v_mul_f64_e32 v[140:141], v[4:5], v[176:177]
	v_mul_f64_e32 v[148:149], v[6:7], v[176:177]
	s_wait_loadcnt_dscnt 0x200
	v_mul_f64_e32 v[138:139], v[12:13], v[10:11]
	v_mul_f64_e32 v[10:11], v[14:15], v[10:11]
	v_add_f64_e32 v[132:133], v[146:147], v[144:145]
	v_add_f64_e32 v[134:135], v[134:135], v[150:151]
	v_fmac_f64_e32 v[140:141], v[6:7], v[174:175]
	v_fma_f64 v[142:143], v[4:5], v[174:175], -v[148:149]
	v_fmac_f64_e32 v[138:139], v[14:15], v[8:9]
	v_fma_f64 v[8:9], v[12:13], v[8:9], -v[10:11]
	v_add_f64_e32 v[144:145], v[132:133], v[130:131]
	v_add_f64_e32 v[134:135], v[134:135], v[136:137]
	ds_load_b128 v[4:7], v2 offset:1696
	ds_load_b128 v[130:133], v2 offset:1712
	s_wait_loadcnt_dscnt 0x101
	v_mul_f64_e32 v[2:3], v[4:5], v[164:165]
	v_mul_f64_e32 v[136:137], v[6:7], v[164:165]
	s_wait_loadcnt_dscnt 0x0
	v_mul_f64_e32 v[14:15], v[130:131], v[128:129]
	v_mul_f64_e32 v[128:129], v[132:133], v[128:129]
	v_add_f64_e32 v[10:11], v[144:145], v[142:143]
	v_add_f64_e32 v[12:13], v[134:135], v[140:141]
	v_fmac_f64_e32 v[2:3], v[6:7], v[162:163]
	v_fma_f64 v[4:5], v[4:5], v[162:163], -v[136:137]
	v_fmac_f64_e32 v[14:15], v[132:133], v[126:127]
	v_add_f64_e32 v[6:7], v[10:11], v[8:9]
	v_add_f64_e32 v[8:9], v[12:13], v[138:139]
	v_fma_f64 v[10:11], v[130:131], v[126:127], -v[128:129]
	s_delay_alu instid0(VALU_DEP_3) | instskip(NEXT) | instid1(VALU_DEP_3)
	v_add_f64_e32 v[4:5], v[6:7], v[4:5]
	v_add_f64_e32 v[2:3], v[8:9], v[2:3]
	s_delay_alu instid0(VALU_DEP_2) | instskip(NEXT) | instid1(VALU_DEP_2)
	v_add_f64_e32 v[4:5], v[4:5], v[10:11]
	v_add_f64_e32 v[6:7], v[2:3], v[14:15]
	s_delay_alu instid0(VALU_DEP_2) | instskip(NEXT) | instid1(VALU_DEP_2)
	v_add_f64_e64 v[2:3], v[166:167], -v[4:5]
	v_add_f64_e64 v[4:5], v[168:169], -v[6:7]
	scratch_store_b128 off, v[2:5], off offset:400
	s_wait_xcnt 0x0
	v_cmpx_lt_u32_e32 24, v1
	s_cbranch_execz .LBB53_289
; %bb.288:
	scratch_load_b128 v[2:5], off, s43
	v_mov_b32_e32 v6, 0
	s_delay_alu instid0(VALU_DEP_1)
	v_dual_mov_b32 v7, v6 :: v_dual_mov_b32 v8, v6
	v_mov_b32_e32 v9, v6
	scratch_store_b128 off, v[6:9], off offset:384
	s_wait_loadcnt 0x0
	ds_store_b128 v124, v[2:5]
.LBB53_289:
	s_wait_xcnt 0x0
	s_or_b32 exec_lo, exec_lo, s2
	s_wait_storecnt_dscnt 0x0
	s_barrier_signal -1
	s_barrier_wait -1
	s_clause 0x9
	scratch_load_b128 v[4:7], off, off offset:400
	scratch_load_b128 v[8:11], off, off offset:416
	;; [unrolled: 1-line block ×10, first 2 shown]
	v_mov_b32_e32 v2, 0
	s_mov_b32 s2, exec_lo
	ds_load_b128 v[154:157], v2 offset:1264
	s_clause 0x2
	scratch_load_b128 v[158:161], off, off offset:560
	scratch_load_b128 v[162:165], off, off offset:384
	;; [unrolled: 1-line block ×3, first 2 shown]
	s_wait_loadcnt_dscnt 0xc00
	v_mul_f64_e32 v[174:175], v[156:157], v[6:7]
	v_mul_f64_e32 v[178:179], v[154:155], v[6:7]
	ds_load_b128 v[166:169], v2 offset:1280
	v_fma_f64 v[182:183], v[154:155], v[4:5], -v[174:175]
	v_fmac_f64_e32 v[178:179], v[156:157], v[4:5]
	ds_load_b128 v[4:7], v2 offset:1296
	s_wait_loadcnt_dscnt 0xb01
	v_mul_f64_e32 v[180:181], v[166:167], v[10:11]
	v_mul_f64_e32 v[10:11], v[168:169], v[10:11]
	scratch_load_b128 v[154:157], off, off offset:592
	ds_load_b128 v[174:177], v2 offset:1312
	s_wait_loadcnt_dscnt 0xb01
	v_mul_f64_e32 v[184:185], v[4:5], v[14:15]
	v_mul_f64_e32 v[14:15], v[6:7], v[14:15]
	v_add_f64_e32 v[178:179], 0, v[178:179]
	v_fmac_f64_e32 v[180:181], v[168:169], v[8:9]
	v_fma_f64 v[166:167], v[166:167], v[8:9], -v[10:11]
	v_add_f64_e32 v[168:169], 0, v[182:183]
	scratch_load_b128 v[8:11], off, off offset:608
	v_fmac_f64_e32 v[184:185], v[6:7], v[12:13]
	v_fma_f64 v[186:187], v[4:5], v[12:13], -v[14:15]
	ds_load_b128 v[4:7], v2 offset:1328
	s_wait_loadcnt_dscnt 0xb01
	v_mul_f64_e32 v[182:183], v[174:175], v[128:129]
	v_mul_f64_e32 v[128:129], v[176:177], v[128:129]
	scratch_load_b128 v[12:15], off, off offset:624
	v_add_f64_e32 v[178:179], v[178:179], v[180:181]
	v_add_f64_e32 v[188:189], v[168:169], v[166:167]
	ds_load_b128 v[166:169], v2 offset:1344
	s_wait_loadcnt_dscnt 0xb01
	v_mul_f64_e32 v[180:181], v[4:5], v[132:133]
	v_mul_f64_e32 v[132:133], v[6:7], v[132:133]
	v_fmac_f64_e32 v[182:183], v[176:177], v[126:127]
	v_fma_f64 v[174:175], v[174:175], v[126:127], -v[128:129]
	scratch_load_b128 v[126:129], off, off offset:640
	v_add_f64_e32 v[178:179], v[178:179], v[184:185]
	v_add_f64_e32 v[176:177], v[188:189], v[186:187]
	v_fmac_f64_e32 v[180:181], v[6:7], v[130:131]
	v_fma_f64 v[186:187], v[4:5], v[130:131], -v[132:133]
	ds_load_b128 v[4:7], v2 offset:1360
	s_wait_loadcnt_dscnt 0xb01
	v_mul_f64_e32 v[184:185], v[166:167], v[136:137]
	v_mul_f64_e32 v[136:137], v[168:169], v[136:137]
	scratch_load_b128 v[130:133], off, off offset:656
	v_add_f64_e32 v[178:179], v[178:179], v[182:183]
	s_wait_loadcnt_dscnt 0xb00
	v_mul_f64_e32 v[182:183], v[4:5], v[140:141]
	v_add_f64_e32 v[188:189], v[176:177], v[174:175]
	v_mul_f64_e32 v[140:141], v[6:7], v[140:141]
	ds_load_b128 v[174:177], v2 offset:1376
	v_fmac_f64_e32 v[184:185], v[168:169], v[134:135]
	v_fma_f64 v[166:167], v[166:167], v[134:135], -v[136:137]
	scratch_load_b128 v[134:137], off, off offset:672
	v_add_f64_e32 v[178:179], v[178:179], v[180:181]
	v_fmac_f64_e32 v[182:183], v[6:7], v[138:139]
	v_add_f64_e32 v[168:169], v[188:189], v[186:187]
	v_fma_f64 v[186:187], v[4:5], v[138:139], -v[140:141]
	ds_load_b128 v[4:7], v2 offset:1392
	s_wait_loadcnt_dscnt 0xb01
	v_mul_f64_e32 v[180:181], v[174:175], v[144:145]
	v_mul_f64_e32 v[144:145], v[176:177], v[144:145]
	scratch_load_b128 v[138:141], off, off offset:688
	v_add_f64_e32 v[178:179], v[178:179], v[184:185]
	s_wait_loadcnt_dscnt 0xb00
	v_mul_f64_e32 v[184:185], v[4:5], v[148:149]
	v_add_f64_e32 v[188:189], v[168:169], v[166:167]
	v_mul_f64_e32 v[148:149], v[6:7], v[148:149]
	ds_load_b128 v[166:169], v2 offset:1408
	v_fmac_f64_e32 v[180:181], v[176:177], v[142:143]
	v_fma_f64 v[174:175], v[174:175], v[142:143], -v[144:145]
	scratch_load_b128 v[142:145], off, off offset:704
	v_add_f64_e32 v[178:179], v[178:179], v[182:183]
	v_fmac_f64_e32 v[184:185], v[6:7], v[146:147]
	v_add_f64_e32 v[176:177], v[188:189], v[186:187]
	v_fma_f64 v[186:187], v[4:5], v[146:147], -v[148:149]
	ds_load_b128 v[4:7], v2 offset:1424
	s_wait_loadcnt_dscnt 0xb01
	v_mul_f64_e32 v[182:183], v[166:167], v[152:153]
	v_mul_f64_e32 v[152:153], v[168:169], v[152:153]
	scratch_load_b128 v[146:149], off, off offset:720
	v_add_f64_e32 v[178:179], v[178:179], v[180:181]
	s_wait_loadcnt_dscnt 0xb00
	v_mul_f64_e32 v[180:181], v[4:5], v[160:161]
	v_add_f64_e32 v[188:189], v[176:177], v[174:175]
	v_mul_f64_e32 v[160:161], v[6:7], v[160:161]
	ds_load_b128 v[174:177], v2 offset:1440
	v_fmac_f64_e32 v[182:183], v[168:169], v[150:151]
	v_fma_f64 v[166:167], v[166:167], v[150:151], -v[152:153]
	scratch_load_b128 v[150:153], off, off offset:736
	v_add_f64_e32 v[178:179], v[178:179], v[184:185]
	v_fmac_f64_e32 v[180:181], v[6:7], v[158:159]
	v_add_f64_e32 v[168:169], v[188:189], v[186:187]
	v_fma_f64 v[186:187], v[4:5], v[158:159], -v[160:161]
	ds_load_b128 v[4:7], v2 offset:1456
	s_wait_loadcnt_dscnt 0xa01
	v_mul_f64_e32 v[184:185], v[174:175], v[172:173]
	v_mul_f64_e32 v[172:173], v[176:177], v[172:173]
	scratch_load_b128 v[158:161], off, off offset:752
	v_add_f64_e32 v[178:179], v[178:179], v[182:183]
	v_add_f64_e32 v[188:189], v[168:169], v[166:167]
	s_wait_loadcnt_dscnt 0xa00
	v_mul_f64_e32 v[182:183], v[4:5], v[156:157]
	v_mul_f64_e32 v[156:157], v[6:7], v[156:157]
	v_fmac_f64_e32 v[184:185], v[176:177], v[170:171]
	v_fma_f64 v[174:175], v[174:175], v[170:171], -v[172:173]
	ds_load_b128 v[166:169], v2 offset:1472
	scratch_load_b128 v[170:173], off, off offset:768
	v_add_f64_e32 v[178:179], v[178:179], v[180:181]
	v_add_f64_e32 v[176:177], v[188:189], v[186:187]
	v_fmac_f64_e32 v[182:183], v[6:7], v[154:155]
	v_fma_f64 v[186:187], v[4:5], v[154:155], -v[156:157]
	ds_load_b128 v[4:7], v2 offset:1488
	s_wait_loadcnt_dscnt 0xa01
	v_mul_f64_e32 v[180:181], v[166:167], v[10:11]
	v_mul_f64_e32 v[10:11], v[168:169], v[10:11]
	scratch_load_b128 v[154:157], off, off offset:784
	v_add_f64_e32 v[178:179], v[178:179], v[184:185]
	s_wait_loadcnt_dscnt 0xa00
	v_mul_f64_e32 v[184:185], v[4:5], v[14:15]
	v_add_f64_e32 v[188:189], v[176:177], v[174:175]
	v_mul_f64_e32 v[14:15], v[6:7], v[14:15]
	ds_load_b128 v[174:177], v2 offset:1504
	v_fmac_f64_e32 v[180:181], v[168:169], v[8:9]
	v_fma_f64 v[166:167], v[166:167], v[8:9], -v[10:11]
	scratch_load_b128 v[8:11], off, off offset:800
	v_add_f64_e32 v[178:179], v[178:179], v[182:183]
	v_fmac_f64_e32 v[184:185], v[6:7], v[12:13]
	v_add_f64_e32 v[168:169], v[188:189], v[186:187]
	v_fma_f64 v[186:187], v[4:5], v[12:13], -v[14:15]
	ds_load_b128 v[4:7], v2 offset:1520
	s_wait_loadcnt_dscnt 0xa01
	v_mul_f64_e32 v[182:183], v[174:175], v[128:129]
	v_mul_f64_e32 v[128:129], v[176:177], v[128:129]
	scratch_load_b128 v[12:15], off, off offset:816
	v_add_f64_e32 v[178:179], v[178:179], v[180:181]
	s_wait_loadcnt_dscnt 0xa00
	v_mul_f64_e32 v[180:181], v[4:5], v[132:133]
	v_add_f64_e32 v[188:189], v[168:169], v[166:167]
	v_mul_f64_e32 v[132:133], v[6:7], v[132:133]
	ds_load_b128 v[166:169], v2 offset:1536
	v_fmac_f64_e32 v[182:183], v[176:177], v[126:127]
	v_fma_f64 v[174:175], v[174:175], v[126:127], -v[128:129]
	scratch_load_b128 v[126:129], off, off offset:832
	v_add_f64_e32 v[178:179], v[178:179], v[184:185]
	v_fmac_f64_e32 v[180:181], v[6:7], v[130:131]
	v_add_f64_e32 v[176:177], v[188:189], v[186:187]
	v_fma_f64 v[186:187], v[4:5], v[130:131], -v[132:133]
	ds_load_b128 v[4:7], v2 offset:1552
	s_wait_loadcnt_dscnt 0xa01
	v_mul_f64_e32 v[184:185], v[166:167], v[136:137]
	v_mul_f64_e32 v[136:137], v[168:169], v[136:137]
	scratch_load_b128 v[130:133], off, off offset:848
	v_add_f64_e32 v[178:179], v[178:179], v[182:183]
	s_wait_loadcnt_dscnt 0xa00
	v_mul_f64_e32 v[182:183], v[4:5], v[140:141]
	v_add_f64_e32 v[188:189], v[176:177], v[174:175]
	v_mul_f64_e32 v[140:141], v[6:7], v[140:141]
	ds_load_b128 v[174:177], v2 offset:1568
	v_fmac_f64_e32 v[184:185], v[168:169], v[134:135]
	v_fma_f64 v[134:135], v[166:167], v[134:135], -v[136:137]
	s_wait_loadcnt_dscnt 0x900
	v_mul_f64_e32 v[168:169], v[174:175], v[144:145]
	v_mul_f64_e32 v[144:145], v[176:177], v[144:145]
	v_add_f64_e32 v[166:167], v[178:179], v[180:181]
	v_fmac_f64_e32 v[182:183], v[6:7], v[138:139]
	v_add_f64_e32 v[136:137], v[188:189], v[186:187]
	v_fma_f64 v[138:139], v[4:5], v[138:139], -v[140:141]
	v_fmac_f64_e32 v[168:169], v[176:177], v[142:143]
	v_fma_f64 v[142:143], v[174:175], v[142:143], -v[144:145]
	v_add_f64_e32 v[166:167], v[166:167], v[184:185]
	v_add_f64_e32 v[140:141], v[136:137], v[134:135]
	ds_load_b128 v[4:7], v2 offset:1584
	ds_load_b128 v[134:137], v2 offset:1600
	s_wait_loadcnt_dscnt 0x801
	v_mul_f64_e32 v[178:179], v[4:5], v[148:149]
	v_mul_f64_e32 v[148:149], v[6:7], v[148:149]
	s_wait_loadcnt_dscnt 0x700
	v_mul_f64_e32 v[144:145], v[134:135], v[152:153]
	v_mul_f64_e32 v[152:153], v[136:137], v[152:153]
	v_add_f64_e32 v[138:139], v[140:141], v[138:139]
	v_add_f64_e32 v[140:141], v[166:167], v[182:183]
	v_fmac_f64_e32 v[178:179], v[6:7], v[146:147]
	v_fma_f64 v[146:147], v[4:5], v[146:147], -v[148:149]
	v_fmac_f64_e32 v[144:145], v[136:137], v[150:151]
	v_fma_f64 v[134:135], v[134:135], v[150:151], -v[152:153]
	v_add_f64_e32 v[142:143], v[138:139], v[142:143]
	v_add_f64_e32 v[148:149], v[140:141], v[168:169]
	ds_load_b128 v[4:7], v2 offset:1616
	ds_load_b128 v[138:141], v2 offset:1632
	s_wait_loadcnt_dscnt 0x601
	v_mul_f64_e32 v[166:167], v[4:5], v[160:161]
	v_mul_f64_e32 v[160:161], v[6:7], v[160:161]
	v_add_f64_e32 v[136:137], v[142:143], v[146:147]
	v_add_f64_e32 v[142:143], v[148:149], v[178:179]
	s_wait_loadcnt_dscnt 0x500
	v_mul_f64_e32 v[146:147], v[138:139], v[172:173]
	v_mul_f64_e32 v[148:149], v[140:141], v[172:173]
	v_fmac_f64_e32 v[166:167], v[6:7], v[158:159]
	v_fma_f64 v[150:151], v[4:5], v[158:159], -v[160:161]
	v_add_f64_e32 v[152:153], v[136:137], v[134:135]
	v_add_f64_e32 v[142:143], v[142:143], v[144:145]
	ds_load_b128 v[4:7], v2 offset:1648
	ds_load_b128 v[134:137], v2 offset:1664
	v_fmac_f64_e32 v[146:147], v[140:141], v[170:171]
	v_fma_f64 v[138:139], v[138:139], v[170:171], -v[148:149]
	s_wait_loadcnt_dscnt 0x401
	v_mul_f64_e32 v[144:145], v[4:5], v[156:157]
	v_mul_f64_e32 v[156:157], v[6:7], v[156:157]
	s_wait_loadcnt_dscnt 0x300
	v_mul_f64_e32 v[148:149], v[134:135], v[10:11]
	v_mul_f64_e32 v[10:11], v[136:137], v[10:11]
	v_add_f64_e32 v[140:141], v[152:153], v[150:151]
	v_add_f64_e32 v[142:143], v[142:143], v[166:167]
	v_fmac_f64_e32 v[144:145], v[6:7], v[154:155]
	v_fma_f64 v[150:151], v[4:5], v[154:155], -v[156:157]
	v_fmac_f64_e32 v[148:149], v[136:137], v[8:9]
	v_fma_f64 v[8:9], v[134:135], v[8:9], -v[10:11]
	v_add_f64_e32 v[152:153], v[140:141], v[138:139]
	v_add_f64_e32 v[142:143], v[142:143], v[146:147]
	ds_load_b128 v[4:7], v2 offset:1680
	ds_load_b128 v[138:141], v2 offset:1696
	s_wait_loadcnt_dscnt 0x201
	v_mul_f64_e32 v[146:147], v[4:5], v[14:15]
	v_mul_f64_e32 v[14:15], v[6:7], v[14:15]
	s_wait_loadcnt_dscnt 0x100
	v_mul_f64_e32 v[136:137], v[138:139], v[128:129]
	v_mul_f64_e32 v[128:129], v[140:141], v[128:129]
	v_add_f64_e32 v[10:11], v[152:153], v[150:151]
	v_add_f64_e32 v[134:135], v[142:143], v[144:145]
	v_fmac_f64_e32 v[146:147], v[6:7], v[12:13]
	v_fma_f64 v[12:13], v[4:5], v[12:13], -v[14:15]
	ds_load_b128 v[4:7], v2 offset:1712
	v_fmac_f64_e32 v[136:137], v[140:141], v[126:127]
	v_fma_f64 v[126:127], v[138:139], v[126:127], -v[128:129]
	v_add_f64_e32 v[8:9], v[10:11], v[8:9]
	v_add_f64_e32 v[10:11], v[134:135], v[148:149]
	s_wait_loadcnt_dscnt 0x0
	v_mul_f64_e32 v[14:15], v[4:5], v[132:133]
	v_mul_f64_e32 v[132:133], v[6:7], v[132:133]
	s_delay_alu instid0(VALU_DEP_4) | instskip(NEXT) | instid1(VALU_DEP_4)
	v_add_f64_e32 v[8:9], v[8:9], v[12:13]
	v_add_f64_e32 v[10:11], v[10:11], v[146:147]
	s_delay_alu instid0(VALU_DEP_4) | instskip(NEXT) | instid1(VALU_DEP_4)
	v_fmac_f64_e32 v[14:15], v[6:7], v[130:131]
	v_fma_f64 v[4:5], v[4:5], v[130:131], -v[132:133]
	s_delay_alu instid0(VALU_DEP_4) | instskip(NEXT) | instid1(VALU_DEP_4)
	v_add_f64_e32 v[6:7], v[8:9], v[126:127]
	v_add_f64_e32 v[8:9], v[10:11], v[136:137]
	s_delay_alu instid0(VALU_DEP_2) | instskip(NEXT) | instid1(VALU_DEP_2)
	v_add_f64_e32 v[4:5], v[6:7], v[4:5]
	v_add_f64_e32 v[6:7], v[8:9], v[14:15]
	s_delay_alu instid0(VALU_DEP_2) | instskip(NEXT) | instid1(VALU_DEP_2)
	v_add_f64_e64 v[4:5], v[162:163], -v[4:5]
	v_add_f64_e64 v[6:7], v[164:165], -v[6:7]
	scratch_store_b128 off, v[4:7], off offset:384
	s_wait_xcnt 0x0
	v_cmpx_lt_u32_e32 23, v1
	s_cbranch_execz .LBB53_291
; %bb.290:
	scratch_load_b128 v[6:9], off, s40
	v_dual_mov_b32 v3, v2 :: v_dual_mov_b32 v4, v2
	v_mov_b32_e32 v5, v2
	scratch_store_b128 off, v[2:5], off offset:368
	s_wait_loadcnt 0x0
	ds_store_b128 v124, v[6:9]
.LBB53_291:
	s_wait_xcnt 0x0
	s_or_b32 exec_lo, exec_lo, s2
	s_wait_storecnt_dscnt 0x0
	s_barrier_signal -1
	s_barrier_wait -1
	s_clause 0x9
	scratch_load_b128 v[4:7], off, off offset:384
	scratch_load_b128 v[8:11], off, off offset:400
	scratch_load_b128 v[12:15], off, off offset:416
	scratch_load_b128 v[126:129], off, off offset:432
	scratch_load_b128 v[130:133], off, off offset:448
	scratch_load_b128 v[134:137], off, off offset:464
	scratch_load_b128 v[138:141], off, off offset:480
	scratch_load_b128 v[142:145], off, off offset:496
	scratch_load_b128 v[146:149], off, off offset:512
	scratch_load_b128 v[150:153], off, off offset:528
	ds_load_b128 v[154:157], v2 offset:1248
	ds_load_b128 v[162:165], v2 offset:1264
	s_clause 0x2
	scratch_load_b128 v[158:161], off, off offset:544
	scratch_load_b128 v[166:169], off, off offset:368
	;; [unrolled: 1-line block ×3, first 2 shown]
	s_mov_b32 s2, exec_lo
	s_wait_loadcnt_dscnt 0xc01
	v_mul_f64_e32 v[174:175], v[156:157], v[6:7]
	v_mul_f64_e32 v[178:179], v[154:155], v[6:7]
	s_wait_loadcnt_dscnt 0xb00
	v_mul_f64_e32 v[180:181], v[162:163], v[10:11]
	v_mul_f64_e32 v[10:11], v[164:165], v[10:11]
	s_delay_alu instid0(VALU_DEP_4) | instskip(NEXT) | instid1(VALU_DEP_4)
	v_fma_f64 v[182:183], v[154:155], v[4:5], -v[174:175]
	v_fmac_f64_e32 v[178:179], v[156:157], v[4:5]
	ds_load_b128 v[4:7], v2 offset:1280
	ds_load_b128 v[154:157], v2 offset:1296
	scratch_load_b128 v[174:177], off, off offset:576
	v_fmac_f64_e32 v[180:181], v[164:165], v[8:9]
	v_fma_f64 v[162:163], v[162:163], v[8:9], -v[10:11]
	scratch_load_b128 v[8:11], off, off offset:592
	s_wait_loadcnt_dscnt 0xc01
	v_mul_f64_e32 v[184:185], v[4:5], v[14:15]
	v_mul_f64_e32 v[14:15], v[6:7], v[14:15]
	v_add_f64_e32 v[164:165], 0, v[182:183]
	v_add_f64_e32 v[178:179], 0, v[178:179]
	s_wait_loadcnt_dscnt 0xb00
	v_mul_f64_e32 v[182:183], v[154:155], v[128:129]
	v_mul_f64_e32 v[128:129], v[156:157], v[128:129]
	v_fmac_f64_e32 v[184:185], v[6:7], v[12:13]
	v_fma_f64 v[186:187], v[4:5], v[12:13], -v[14:15]
	ds_load_b128 v[4:7], v2 offset:1312
	ds_load_b128 v[12:15], v2 offset:1328
	v_add_f64_e32 v[188:189], v[164:165], v[162:163]
	v_add_f64_e32 v[178:179], v[178:179], v[180:181]
	scratch_load_b128 v[162:165], off, off offset:608
	v_fmac_f64_e32 v[182:183], v[156:157], v[126:127]
	v_fma_f64 v[154:155], v[154:155], v[126:127], -v[128:129]
	scratch_load_b128 v[126:129], off, off offset:624
	s_wait_loadcnt_dscnt 0xc01
	v_mul_f64_e32 v[180:181], v[4:5], v[132:133]
	v_mul_f64_e32 v[132:133], v[6:7], v[132:133]
	v_add_f64_e32 v[156:157], v[188:189], v[186:187]
	v_add_f64_e32 v[178:179], v[178:179], v[184:185]
	s_wait_loadcnt_dscnt 0xb00
	v_mul_f64_e32 v[184:185], v[12:13], v[136:137]
	v_mul_f64_e32 v[136:137], v[14:15], v[136:137]
	v_fmac_f64_e32 v[180:181], v[6:7], v[130:131]
	v_fma_f64 v[186:187], v[4:5], v[130:131], -v[132:133]
	ds_load_b128 v[4:7], v2 offset:1344
	ds_load_b128 v[130:133], v2 offset:1360
	v_add_f64_e32 v[188:189], v[156:157], v[154:155]
	v_add_f64_e32 v[178:179], v[178:179], v[182:183]
	scratch_load_b128 v[154:157], off, off offset:640
	s_wait_loadcnt_dscnt 0xb01
	v_mul_f64_e32 v[182:183], v[4:5], v[140:141]
	v_mul_f64_e32 v[140:141], v[6:7], v[140:141]
	v_fmac_f64_e32 v[184:185], v[14:15], v[134:135]
	v_fma_f64 v[134:135], v[12:13], v[134:135], -v[136:137]
	scratch_load_b128 v[12:15], off, off offset:656
	v_add_f64_e32 v[136:137], v[188:189], v[186:187]
	v_add_f64_e32 v[178:179], v[178:179], v[180:181]
	s_wait_loadcnt_dscnt 0xb00
	v_mul_f64_e32 v[180:181], v[130:131], v[144:145]
	v_mul_f64_e32 v[144:145], v[132:133], v[144:145]
	v_fmac_f64_e32 v[182:183], v[6:7], v[138:139]
	v_fma_f64 v[186:187], v[4:5], v[138:139], -v[140:141]
	v_add_f64_e32 v[188:189], v[136:137], v[134:135]
	v_add_f64_e32 v[178:179], v[178:179], v[184:185]
	ds_load_b128 v[4:7], v2 offset:1376
	ds_load_b128 v[134:137], v2 offset:1392
	scratch_load_b128 v[138:141], off, off offset:672
	v_fmac_f64_e32 v[180:181], v[132:133], v[142:143]
	v_fma_f64 v[142:143], v[130:131], v[142:143], -v[144:145]
	scratch_load_b128 v[130:133], off, off offset:688
	s_wait_loadcnt_dscnt 0xc01
	v_mul_f64_e32 v[184:185], v[4:5], v[148:149]
	v_mul_f64_e32 v[148:149], v[6:7], v[148:149]
	v_add_f64_e32 v[144:145], v[188:189], v[186:187]
	v_add_f64_e32 v[178:179], v[178:179], v[182:183]
	s_wait_loadcnt_dscnt 0xb00
	v_mul_f64_e32 v[182:183], v[134:135], v[152:153]
	v_mul_f64_e32 v[152:153], v[136:137], v[152:153]
	v_fmac_f64_e32 v[184:185], v[6:7], v[146:147]
	v_fma_f64 v[186:187], v[4:5], v[146:147], -v[148:149]
	v_add_f64_e32 v[188:189], v[144:145], v[142:143]
	v_add_f64_e32 v[178:179], v[178:179], v[180:181]
	ds_load_b128 v[4:7], v2 offset:1408
	ds_load_b128 v[142:145], v2 offset:1424
	scratch_load_b128 v[146:149], off, off offset:704
	v_fmac_f64_e32 v[182:183], v[136:137], v[150:151]
	v_fma_f64 v[150:151], v[134:135], v[150:151], -v[152:153]
	scratch_load_b128 v[134:137], off, off offset:720
	s_wait_loadcnt_dscnt 0xc01
	v_mul_f64_e32 v[180:181], v[4:5], v[160:161]
	v_mul_f64_e32 v[160:161], v[6:7], v[160:161]
	v_add_f64_e32 v[152:153], v[188:189], v[186:187]
	v_add_f64_e32 v[178:179], v[178:179], v[184:185]
	s_wait_loadcnt_dscnt 0xa00
	v_mul_f64_e32 v[184:185], v[142:143], v[172:173]
	v_mul_f64_e32 v[172:173], v[144:145], v[172:173]
	v_fmac_f64_e32 v[180:181], v[6:7], v[158:159]
	v_fma_f64 v[186:187], v[4:5], v[158:159], -v[160:161]
	v_add_f64_e32 v[188:189], v[152:153], v[150:151]
	v_add_f64_e32 v[178:179], v[178:179], v[182:183]
	ds_load_b128 v[4:7], v2 offset:1440
	ds_load_b128 v[150:153], v2 offset:1456
	scratch_load_b128 v[158:161], off, off offset:736
	v_fmac_f64_e32 v[184:185], v[144:145], v[170:171]
	v_fma_f64 v[170:171], v[142:143], v[170:171], -v[172:173]
	scratch_load_b128 v[142:145], off, off offset:752
	s_wait_loadcnt_dscnt 0xb01
	v_mul_f64_e32 v[182:183], v[4:5], v[176:177]
	v_mul_f64_e32 v[176:177], v[6:7], v[176:177]
	v_add_f64_e32 v[172:173], v[188:189], v[186:187]
	v_add_f64_e32 v[178:179], v[178:179], v[180:181]
	s_wait_loadcnt_dscnt 0xa00
	v_mul_f64_e32 v[180:181], v[150:151], v[10:11]
	v_mul_f64_e32 v[10:11], v[152:153], v[10:11]
	v_fmac_f64_e32 v[182:183], v[6:7], v[174:175]
	v_fma_f64 v[186:187], v[4:5], v[174:175], -v[176:177]
	v_add_f64_e32 v[188:189], v[172:173], v[170:171]
	v_add_f64_e32 v[178:179], v[178:179], v[184:185]
	ds_load_b128 v[4:7], v2 offset:1472
	ds_load_b128 v[170:173], v2 offset:1488
	scratch_load_b128 v[174:177], off, off offset:768
	v_fmac_f64_e32 v[180:181], v[152:153], v[8:9]
	v_fma_f64 v[150:151], v[150:151], v[8:9], -v[10:11]
	scratch_load_b128 v[8:11], off, off offset:784
	s_wait_loadcnt_dscnt 0xb01
	v_mul_f64_e32 v[184:185], v[4:5], v[164:165]
	v_mul_f64_e32 v[164:165], v[6:7], v[164:165]
	v_add_f64_e32 v[152:153], v[188:189], v[186:187]
	v_add_f64_e32 v[178:179], v[178:179], v[182:183]
	s_wait_loadcnt_dscnt 0xa00
	v_mul_f64_e32 v[182:183], v[170:171], v[128:129]
	v_mul_f64_e32 v[128:129], v[172:173], v[128:129]
	v_fmac_f64_e32 v[184:185], v[6:7], v[162:163]
	v_fma_f64 v[186:187], v[4:5], v[162:163], -v[164:165]
	v_add_f64_e32 v[188:189], v[152:153], v[150:151]
	v_add_f64_e32 v[178:179], v[178:179], v[180:181]
	ds_load_b128 v[4:7], v2 offset:1504
	ds_load_b128 v[150:153], v2 offset:1520
	scratch_load_b128 v[162:165], off, off offset:800
	v_fmac_f64_e32 v[182:183], v[172:173], v[126:127]
	v_fma_f64 v[170:171], v[170:171], v[126:127], -v[128:129]
	scratch_load_b128 v[126:129], off, off offset:816
	s_wait_loadcnt_dscnt 0xb01
	v_mul_f64_e32 v[180:181], v[4:5], v[156:157]
	v_mul_f64_e32 v[156:157], v[6:7], v[156:157]
	v_add_f64_e32 v[172:173], v[188:189], v[186:187]
	v_add_f64_e32 v[178:179], v[178:179], v[184:185]
	s_wait_loadcnt_dscnt 0xa00
	v_mul_f64_e32 v[184:185], v[150:151], v[14:15]
	v_mul_f64_e32 v[14:15], v[152:153], v[14:15]
	v_fmac_f64_e32 v[180:181], v[6:7], v[154:155]
	v_fma_f64 v[186:187], v[4:5], v[154:155], -v[156:157]
	ds_load_b128 v[4:7], v2 offset:1536
	ds_load_b128 v[154:157], v2 offset:1552
	v_add_f64_e32 v[188:189], v[172:173], v[170:171]
	v_add_f64_e32 v[178:179], v[178:179], v[182:183]
	scratch_load_b128 v[170:173], off, off offset:832
	v_fmac_f64_e32 v[184:185], v[152:153], v[12:13]
	v_fma_f64 v[150:151], v[150:151], v[12:13], -v[14:15]
	scratch_load_b128 v[12:15], off, off offset:848
	s_wait_loadcnt_dscnt 0xb01
	v_mul_f64_e32 v[182:183], v[4:5], v[140:141]
	v_mul_f64_e32 v[140:141], v[6:7], v[140:141]
	v_add_f64_e32 v[152:153], v[188:189], v[186:187]
	v_add_f64_e32 v[178:179], v[178:179], v[180:181]
	s_wait_loadcnt_dscnt 0xa00
	v_mul_f64_e32 v[180:181], v[154:155], v[132:133]
	v_mul_f64_e32 v[132:133], v[156:157], v[132:133]
	v_fmac_f64_e32 v[182:183], v[6:7], v[138:139]
	v_fma_f64 v[186:187], v[4:5], v[138:139], -v[140:141]
	ds_load_b128 v[4:7], v2 offset:1568
	ds_load_b128 v[138:141], v2 offset:1584
	v_add_f64_e32 v[150:151], v[152:153], v[150:151]
	v_add_f64_e32 v[152:153], v[178:179], v[184:185]
	v_fmac_f64_e32 v[180:181], v[156:157], v[130:131]
	s_wait_loadcnt_dscnt 0x901
	v_mul_f64_e32 v[178:179], v[4:5], v[148:149]
	v_mul_f64_e32 v[148:149], v[6:7], v[148:149]
	v_fma_f64 v[130:131], v[154:155], v[130:131], -v[132:133]
	v_add_f64_e32 v[132:133], v[150:151], v[186:187]
	v_add_f64_e32 v[150:151], v[152:153], v[182:183]
	s_wait_loadcnt_dscnt 0x800
	v_mul_f64_e32 v[152:153], v[138:139], v[136:137]
	v_mul_f64_e32 v[136:137], v[140:141], v[136:137]
	v_fmac_f64_e32 v[178:179], v[6:7], v[146:147]
	v_fma_f64 v[146:147], v[4:5], v[146:147], -v[148:149]
	v_add_f64_e32 v[148:149], v[132:133], v[130:131]
	v_add_f64_e32 v[150:151], v[150:151], v[180:181]
	ds_load_b128 v[4:7], v2 offset:1600
	ds_load_b128 v[130:133], v2 offset:1616
	v_fmac_f64_e32 v[152:153], v[140:141], v[134:135]
	v_fma_f64 v[134:135], v[138:139], v[134:135], -v[136:137]
	s_wait_loadcnt_dscnt 0x701
	v_mul_f64_e32 v[154:155], v[4:5], v[160:161]
	v_mul_f64_e32 v[156:157], v[6:7], v[160:161]
	s_wait_loadcnt_dscnt 0x600
	v_mul_f64_e32 v[140:141], v[130:131], v[144:145]
	v_mul_f64_e32 v[144:145], v[132:133], v[144:145]
	v_add_f64_e32 v[136:137], v[148:149], v[146:147]
	v_add_f64_e32 v[138:139], v[150:151], v[178:179]
	v_fmac_f64_e32 v[154:155], v[6:7], v[158:159]
	v_fma_f64 v[146:147], v[4:5], v[158:159], -v[156:157]
	v_fmac_f64_e32 v[140:141], v[132:133], v[142:143]
	v_fma_f64 v[130:131], v[130:131], v[142:143], -v[144:145]
	v_add_f64_e32 v[148:149], v[136:137], v[134:135]
	v_add_f64_e32 v[138:139], v[138:139], v[152:153]
	ds_load_b128 v[4:7], v2 offset:1632
	ds_load_b128 v[134:137], v2 offset:1648
	s_wait_loadcnt_dscnt 0x501
	v_mul_f64_e32 v[150:151], v[4:5], v[176:177]
	v_mul_f64_e32 v[152:153], v[6:7], v[176:177]
	s_wait_loadcnt_dscnt 0x400
	v_mul_f64_e32 v[142:143], v[134:135], v[10:11]
	v_mul_f64_e32 v[10:11], v[136:137], v[10:11]
	v_add_f64_e32 v[132:133], v[148:149], v[146:147]
	v_add_f64_e32 v[138:139], v[138:139], v[154:155]
	v_fmac_f64_e32 v[150:151], v[6:7], v[174:175]
	v_fma_f64 v[144:145], v[4:5], v[174:175], -v[152:153]
	v_fmac_f64_e32 v[142:143], v[136:137], v[8:9]
	v_fma_f64 v[8:9], v[134:135], v[8:9], -v[10:11]
	v_add_f64_e32 v[146:147], v[132:133], v[130:131]
	v_add_f64_e32 v[138:139], v[138:139], v[140:141]
	ds_load_b128 v[4:7], v2 offset:1664
	ds_load_b128 v[130:133], v2 offset:1680
	s_wait_loadcnt_dscnt 0x301
	v_mul_f64_e32 v[140:141], v[4:5], v[164:165]
	v_mul_f64_e32 v[148:149], v[6:7], v[164:165]
	s_wait_loadcnt_dscnt 0x200
	v_mul_f64_e32 v[136:137], v[130:131], v[128:129]
	v_mul_f64_e32 v[128:129], v[132:133], v[128:129]
	v_add_f64_e32 v[10:11], v[146:147], v[144:145]
	v_add_f64_e32 v[134:135], v[138:139], v[150:151]
	v_fmac_f64_e32 v[140:141], v[6:7], v[162:163]
	v_fma_f64 v[138:139], v[4:5], v[162:163], -v[148:149]
	v_fmac_f64_e32 v[136:137], v[132:133], v[126:127]
	v_fma_f64 v[126:127], v[130:131], v[126:127], -v[128:129]
	v_add_f64_e32 v[144:145], v[10:11], v[8:9]
	v_add_f64_e32 v[134:135], v[134:135], v[142:143]
	ds_load_b128 v[4:7], v2 offset:1696
	ds_load_b128 v[8:11], v2 offset:1712
	s_wait_loadcnt_dscnt 0x101
	v_mul_f64_e32 v[2:3], v[4:5], v[172:173]
	v_mul_f64_e32 v[142:143], v[6:7], v[172:173]
	s_wait_loadcnt_dscnt 0x0
	v_mul_f64_e32 v[132:133], v[8:9], v[14:15]
	v_mul_f64_e32 v[14:15], v[10:11], v[14:15]
	v_add_f64_e32 v[128:129], v[144:145], v[138:139]
	v_add_f64_e32 v[130:131], v[134:135], v[140:141]
	v_fmac_f64_e32 v[2:3], v[6:7], v[170:171]
	v_fma_f64 v[4:5], v[4:5], v[170:171], -v[142:143]
	v_fmac_f64_e32 v[132:133], v[10:11], v[12:13]
	v_fma_f64 v[8:9], v[8:9], v[12:13], -v[14:15]
	v_add_f64_e32 v[6:7], v[128:129], v[126:127]
	v_add_f64_e32 v[126:127], v[130:131], v[136:137]
	s_delay_alu instid0(VALU_DEP_2) | instskip(NEXT) | instid1(VALU_DEP_2)
	v_add_f64_e32 v[4:5], v[6:7], v[4:5]
	v_add_f64_e32 v[2:3], v[126:127], v[2:3]
	s_delay_alu instid0(VALU_DEP_2) | instskip(NEXT) | instid1(VALU_DEP_2)
	;; [unrolled: 3-line block ×3, first 2 shown]
	v_add_f64_e64 v[2:3], v[166:167], -v[4:5]
	v_add_f64_e64 v[4:5], v[168:169], -v[6:7]
	scratch_store_b128 off, v[2:5], off offset:368
	s_wait_xcnt 0x0
	v_cmpx_lt_u32_e32 22, v1
	s_cbranch_execz .LBB53_293
; %bb.292:
	scratch_load_b128 v[2:5], off, s37
	v_mov_b32_e32 v6, 0
	s_delay_alu instid0(VALU_DEP_1)
	v_dual_mov_b32 v7, v6 :: v_dual_mov_b32 v8, v6
	v_mov_b32_e32 v9, v6
	scratch_store_b128 off, v[6:9], off offset:352
	s_wait_loadcnt 0x0
	ds_store_b128 v124, v[2:5]
.LBB53_293:
	s_wait_xcnt 0x0
	s_or_b32 exec_lo, exec_lo, s2
	s_wait_storecnt_dscnt 0x0
	s_barrier_signal -1
	s_barrier_wait -1
	s_clause 0x9
	scratch_load_b128 v[4:7], off, off offset:368
	scratch_load_b128 v[8:11], off, off offset:384
	;; [unrolled: 1-line block ×10, first 2 shown]
	v_mov_b32_e32 v2, 0
	s_mov_b32 s2, exec_lo
	ds_load_b128 v[154:157], v2 offset:1232
	s_clause 0x2
	scratch_load_b128 v[158:161], off, off offset:528
	scratch_load_b128 v[162:165], off, off offset:352
	;; [unrolled: 1-line block ×3, first 2 shown]
	s_wait_loadcnt_dscnt 0xc00
	v_mul_f64_e32 v[174:175], v[156:157], v[6:7]
	v_mul_f64_e32 v[178:179], v[154:155], v[6:7]
	ds_load_b128 v[166:169], v2 offset:1248
	v_fma_f64 v[182:183], v[154:155], v[4:5], -v[174:175]
	v_fmac_f64_e32 v[178:179], v[156:157], v[4:5]
	ds_load_b128 v[4:7], v2 offset:1264
	s_wait_loadcnt_dscnt 0xb01
	v_mul_f64_e32 v[180:181], v[166:167], v[10:11]
	v_mul_f64_e32 v[10:11], v[168:169], v[10:11]
	scratch_load_b128 v[154:157], off, off offset:560
	ds_load_b128 v[174:177], v2 offset:1280
	s_wait_loadcnt_dscnt 0xb01
	v_mul_f64_e32 v[184:185], v[4:5], v[14:15]
	v_mul_f64_e32 v[14:15], v[6:7], v[14:15]
	v_add_f64_e32 v[178:179], 0, v[178:179]
	v_fmac_f64_e32 v[180:181], v[168:169], v[8:9]
	v_fma_f64 v[166:167], v[166:167], v[8:9], -v[10:11]
	v_add_f64_e32 v[168:169], 0, v[182:183]
	scratch_load_b128 v[8:11], off, off offset:576
	v_fmac_f64_e32 v[184:185], v[6:7], v[12:13]
	v_fma_f64 v[186:187], v[4:5], v[12:13], -v[14:15]
	ds_load_b128 v[4:7], v2 offset:1296
	s_wait_loadcnt_dscnt 0xb01
	v_mul_f64_e32 v[182:183], v[174:175], v[128:129]
	v_mul_f64_e32 v[128:129], v[176:177], v[128:129]
	scratch_load_b128 v[12:15], off, off offset:592
	v_add_f64_e32 v[178:179], v[178:179], v[180:181]
	v_add_f64_e32 v[188:189], v[168:169], v[166:167]
	ds_load_b128 v[166:169], v2 offset:1312
	s_wait_loadcnt_dscnt 0xb01
	v_mul_f64_e32 v[180:181], v[4:5], v[132:133]
	v_mul_f64_e32 v[132:133], v[6:7], v[132:133]
	v_fmac_f64_e32 v[182:183], v[176:177], v[126:127]
	v_fma_f64 v[174:175], v[174:175], v[126:127], -v[128:129]
	scratch_load_b128 v[126:129], off, off offset:608
	v_add_f64_e32 v[178:179], v[178:179], v[184:185]
	v_add_f64_e32 v[176:177], v[188:189], v[186:187]
	v_fmac_f64_e32 v[180:181], v[6:7], v[130:131]
	v_fma_f64 v[186:187], v[4:5], v[130:131], -v[132:133]
	ds_load_b128 v[4:7], v2 offset:1328
	s_wait_loadcnt_dscnt 0xb01
	v_mul_f64_e32 v[184:185], v[166:167], v[136:137]
	v_mul_f64_e32 v[136:137], v[168:169], v[136:137]
	scratch_load_b128 v[130:133], off, off offset:624
	v_add_f64_e32 v[178:179], v[178:179], v[182:183]
	s_wait_loadcnt_dscnt 0xb00
	v_mul_f64_e32 v[182:183], v[4:5], v[140:141]
	v_add_f64_e32 v[188:189], v[176:177], v[174:175]
	v_mul_f64_e32 v[140:141], v[6:7], v[140:141]
	ds_load_b128 v[174:177], v2 offset:1344
	v_fmac_f64_e32 v[184:185], v[168:169], v[134:135]
	v_fma_f64 v[166:167], v[166:167], v[134:135], -v[136:137]
	scratch_load_b128 v[134:137], off, off offset:640
	v_add_f64_e32 v[178:179], v[178:179], v[180:181]
	v_fmac_f64_e32 v[182:183], v[6:7], v[138:139]
	v_add_f64_e32 v[168:169], v[188:189], v[186:187]
	v_fma_f64 v[186:187], v[4:5], v[138:139], -v[140:141]
	ds_load_b128 v[4:7], v2 offset:1360
	s_wait_loadcnt_dscnt 0xb01
	v_mul_f64_e32 v[180:181], v[174:175], v[144:145]
	v_mul_f64_e32 v[144:145], v[176:177], v[144:145]
	scratch_load_b128 v[138:141], off, off offset:656
	v_add_f64_e32 v[178:179], v[178:179], v[184:185]
	s_wait_loadcnt_dscnt 0xb00
	v_mul_f64_e32 v[184:185], v[4:5], v[148:149]
	v_add_f64_e32 v[188:189], v[168:169], v[166:167]
	v_mul_f64_e32 v[148:149], v[6:7], v[148:149]
	ds_load_b128 v[166:169], v2 offset:1376
	v_fmac_f64_e32 v[180:181], v[176:177], v[142:143]
	v_fma_f64 v[174:175], v[174:175], v[142:143], -v[144:145]
	scratch_load_b128 v[142:145], off, off offset:672
	v_add_f64_e32 v[178:179], v[178:179], v[182:183]
	v_fmac_f64_e32 v[184:185], v[6:7], v[146:147]
	v_add_f64_e32 v[176:177], v[188:189], v[186:187]
	;; [unrolled: 18-line block ×3, first 2 shown]
	v_fma_f64 v[186:187], v[4:5], v[158:159], -v[160:161]
	ds_load_b128 v[4:7], v2 offset:1424
	s_wait_loadcnt_dscnt 0xa01
	v_mul_f64_e32 v[184:185], v[174:175], v[172:173]
	v_mul_f64_e32 v[172:173], v[176:177], v[172:173]
	scratch_load_b128 v[158:161], off, off offset:720
	v_add_f64_e32 v[178:179], v[178:179], v[182:183]
	v_add_f64_e32 v[188:189], v[168:169], v[166:167]
	s_wait_loadcnt_dscnt 0xa00
	v_mul_f64_e32 v[182:183], v[4:5], v[156:157]
	v_mul_f64_e32 v[156:157], v[6:7], v[156:157]
	v_fmac_f64_e32 v[184:185], v[176:177], v[170:171]
	v_fma_f64 v[174:175], v[174:175], v[170:171], -v[172:173]
	ds_load_b128 v[166:169], v2 offset:1440
	scratch_load_b128 v[170:173], off, off offset:736
	v_add_f64_e32 v[178:179], v[178:179], v[180:181]
	v_add_f64_e32 v[176:177], v[188:189], v[186:187]
	v_fmac_f64_e32 v[182:183], v[6:7], v[154:155]
	v_fma_f64 v[186:187], v[4:5], v[154:155], -v[156:157]
	ds_load_b128 v[4:7], v2 offset:1456
	s_wait_loadcnt_dscnt 0xa01
	v_mul_f64_e32 v[180:181], v[166:167], v[10:11]
	v_mul_f64_e32 v[10:11], v[168:169], v[10:11]
	scratch_load_b128 v[154:157], off, off offset:752
	v_add_f64_e32 v[178:179], v[178:179], v[184:185]
	s_wait_loadcnt_dscnt 0xa00
	v_mul_f64_e32 v[184:185], v[4:5], v[14:15]
	v_add_f64_e32 v[188:189], v[176:177], v[174:175]
	v_mul_f64_e32 v[14:15], v[6:7], v[14:15]
	ds_load_b128 v[174:177], v2 offset:1472
	v_fmac_f64_e32 v[180:181], v[168:169], v[8:9]
	v_fma_f64 v[166:167], v[166:167], v[8:9], -v[10:11]
	scratch_load_b128 v[8:11], off, off offset:768
	v_add_f64_e32 v[178:179], v[178:179], v[182:183]
	v_fmac_f64_e32 v[184:185], v[6:7], v[12:13]
	v_add_f64_e32 v[168:169], v[188:189], v[186:187]
	v_fma_f64 v[186:187], v[4:5], v[12:13], -v[14:15]
	ds_load_b128 v[4:7], v2 offset:1488
	s_wait_loadcnt_dscnt 0xa01
	v_mul_f64_e32 v[182:183], v[174:175], v[128:129]
	v_mul_f64_e32 v[128:129], v[176:177], v[128:129]
	scratch_load_b128 v[12:15], off, off offset:784
	v_add_f64_e32 v[178:179], v[178:179], v[180:181]
	s_wait_loadcnt_dscnt 0xa00
	v_mul_f64_e32 v[180:181], v[4:5], v[132:133]
	v_add_f64_e32 v[188:189], v[168:169], v[166:167]
	v_mul_f64_e32 v[132:133], v[6:7], v[132:133]
	ds_load_b128 v[166:169], v2 offset:1504
	v_fmac_f64_e32 v[182:183], v[176:177], v[126:127]
	v_fma_f64 v[174:175], v[174:175], v[126:127], -v[128:129]
	scratch_load_b128 v[126:129], off, off offset:800
	v_add_f64_e32 v[178:179], v[178:179], v[184:185]
	v_fmac_f64_e32 v[180:181], v[6:7], v[130:131]
	v_add_f64_e32 v[176:177], v[188:189], v[186:187]
	;; [unrolled: 18-line block ×3, first 2 shown]
	v_fma_f64 v[186:187], v[4:5], v[138:139], -v[140:141]
	ds_load_b128 v[4:7], v2 offset:1552
	s_wait_loadcnt_dscnt 0xa01
	v_mul_f64_e32 v[180:181], v[174:175], v[144:145]
	v_mul_f64_e32 v[144:145], v[176:177], v[144:145]
	scratch_load_b128 v[138:141], off, off offset:848
	v_add_f64_e32 v[178:179], v[178:179], v[184:185]
	s_wait_loadcnt_dscnt 0xa00
	v_mul_f64_e32 v[184:185], v[4:5], v[148:149]
	v_add_f64_e32 v[188:189], v[168:169], v[166:167]
	v_mul_f64_e32 v[148:149], v[6:7], v[148:149]
	ds_load_b128 v[166:169], v2 offset:1568
	v_fmac_f64_e32 v[180:181], v[176:177], v[142:143]
	v_fma_f64 v[142:143], v[174:175], v[142:143], -v[144:145]
	s_wait_loadcnt_dscnt 0x900
	v_mul_f64_e32 v[176:177], v[166:167], v[152:153]
	v_mul_f64_e32 v[152:153], v[168:169], v[152:153]
	v_add_f64_e32 v[174:175], v[178:179], v[182:183]
	v_fmac_f64_e32 v[184:185], v[6:7], v[146:147]
	v_add_f64_e32 v[144:145], v[188:189], v[186:187]
	v_fma_f64 v[146:147], v[4:5], v[146:147], -v[148:149]
	v_fmac_f64_e32 v[176:177], v[168:169], v[150:151]
	v_fma_f64 v[150:151], v[166:167], v[150:151], -v[152:153]
	v_add_f64_e32 v[174:175], v[174:175], v[180:181]
	v_add_f64_e32 v[148:149], v[144:145], v[142:143]
	ds_load_b128 v[4:7], v2 offset:1584
	ds_load_b128 v[142:145], v2 offset:1600
	s_wait_loadcnt_dscnt 0x801
	v_mul_f64_e32 v[178:179], v[4:5], v[160:161]
	v_mul_f64_e32 v[160:161], v[6:7], v[160:161]
	s_wait_loadcnt_dscnt 0x700
	v_mul_f64_e32 v[152:153], v[142:143], v[172:173]
	v_mul_f64_e32 v[166:167], v[144:145], v[172:173]
	v_add_f64_e32 v[146:147], v[148:149], v[146:147]
	v_add_f64_e32 v[148:149], v[174:175], v[184:185]
	v_fmac_f64_e32 v[178:179], v[6:7], v[158:159]
	v_fma_f64 v[158:159], v[4:5], v[158:159], -v[160:161]
	v_fmac_f64_e32 v[152:153], v[144:145], v[170:171]
	v_fma_f64 v[142:143], v[142:143], v[170:171], -v[166:167]
	v_add_f64_e32 v[150:151], v[146:147], v[150:151]
	v_add_f64_e32 v[160:161], v[148:149], v[176:177]
	ds_load_b128 v[4:7], v2 offset:1616
	ds_load_b128 v[146:149], v2 offset:1632
	s_wait_loadcnt_dscnt 0x601
	v_mul_f64_e32 v[168:169], v[4:5], v[156:157]
	v_mul_f64_e32 v[156:157], v[6:7], v[156:157]
	v_add_f64_e32 v[144:145], v[150:151], v[158:159]
	v_add_f64_e32 v[150:151], v[160:161], v[178:179]
	s_wait_loadcnt_dscnt 0x500
	v_mul_f64_e32 v[158:159], v[146:147], v[10:11]
	v_mul_f64_e32 v[10:11], v[148:149], v[10:11]
	v_fmac_f64_e32 v[168:169], v[6:7], v[154:155]
	v_fma_f64 v[154:155], v[4:5], v[154:155], -v[156:157]
	v_add_f64_e32 v[156:157], v[144:145], v[142:143]
	v_add_f64_e32 v[150:151], v[150:151], v[152:153]
	ds_load_b128 v[4:7], v2 offset:1648
	ds_load_b128 v[142:145], v2 offset:1664
	v_fmac_f64_e32 v[158:159], v[148:149], v[8:9]
	v_fma_f64 v[8:9], v[146:147], v[8:9], -v[10:11]
	s_wait_loadcnt_dscnt 0x401
	v_mul_f64_e32 v[152:153], v[4:5], v[14:15]
	v_mul_f64_e32 v[14:15], v[6:7], v[14:15]
	s_wait_loadcnt_dscnt 0x300
	v_mul_f64_e32 v[148:149], v[142:143], v[128:129]
	v_mul_f64_e32 v[128:129], v[144:145], v[128:129]
	v_add_f64_e32 v[10:11], v[156:157], v[154:155]
	v_add_f64_e32 v[146:147], v[150:151], v[168:169]
	v_fmac_f64_e32 v[152:153], v[6:7], v[12:13]
	v_fma_f64 v[12:13], v[4:5], v[12:13], -v[14:15]
	v_fmac_f64_e32 v[148:149], v[144:145], v[126:127]
	v_fma_f64 v[126:127], v[142:143], v[126:127], -v[128:129]
	v_add_f64_e32 v[14:15], v[10:11], v[8:9]
	v_add_f64_e32 v[146:147], v[146:147], v[158:159]
	ds_load_b128 v[4:7], v2 offset:1680
	ds_load_b128 v[8:11], v2 offset:1696
	s_wait_loadcnt_dscnt 0x201
	v_mul_f64_e32 v[150:151], v[4:5], v[132:133]
	v_mul_f64_e32 v[132:133], v[6:7], v[132:133]
	s_wait_loadcnt_dscnt 0x100
	v_mul_f64_e32 v[128:129], v[8:9], v[136:137]
	v_mul_f64_e32 v[136:137], v[10:11], v[136:137]
	v_add_f64_e32 v[12:13], v[14:15], v[12:13]
	v_add_f64_e32 v[14:15], v[146:147], v[152:153]
	v_fmac_f64_e32 v[150:151], v[6:7], v[130:131]
	v_fma_f64 v[130:131], v[4:5], v[130:131], -v[132:133]
	ds_load_b128 v[4:7], v2 offset:1712
	v_fmac_f64_e32 v[128:129], v[10:11], v[134:135]
	v_fma_f64 v[8:9], v[8:9], v[134:135], -v[136:137]
	v_add_f64_e32 v[12:13], v[12:13], v[126:127]
	v_add_f64_e32 v[14:15], v[14:15], v[148:149]
	s_wait_loadcnt_dscnt 0x0
	v_mul_f64_e32 v[126:127], v[4:5], v[140:141]
	v_mul_f64_e32 v[132:133], v[6:7], v[140:141]
	s_delay_alu instid0(VALU_DEP_4) | instskip(NEXT) | instid1(VALU_DEP_4)
	v_add_f64_e32 v[10:11], v[12:13], v[130:131]
	v_add_f64_e32 v[12:13], v[14:15], v[150:151]
	s_delay_alu instid0(VALU_DEP_4) | instskip(NEXT) | instid1(VALU_DEP_4)
	v_fmac_f64_e32 v[126:127], v[6:7], v[138:139]
	v_fma_f64 v[4:5], v[4:5], v[138:139], -v[132:133]
	s_delay_alu instid0(VALU_DEP_4) | instskip(NEXT) | instid1(VALU_DEP_4)
	v_add_f64_e32 v[6:7], v[10:11], v[8:9]
	v_add_f64_e32 v[8:9], v[12:13], v[128:129]
	s_delay_alu instid0(VALU_DEP_2) | instskip(NEXT) | instid1(VALU_DEP_2)
	v_add_f64_e32 v[4:5], v[6:7], v[4:5]
	v_add_f64_e32 v[6:7], v[8:9], v[126:127]
	s_delay_alu instid0(VALU_DEP_2) | instskip(NEXT) | instid1(VALU_DEP_2)
	v_add_f64_e64 v[4:5], v[162:163], -v[4:5]
	v_add_f64_e64 v[6:7], v[164:165], -v[6:7]
	scratch_store_b128 off, v[4:7], off offset:352
	s_wait_xcnt 0x0
	v_cmpx_lt_u32_e32 21, v1
	s_cbranch_execz .LBB53_295
; %bb.294:
	scratch_load_b128 v[6:9], off, s36
	v_dual_mov_b32 v3, v2 :: v_dual_mov_b32 v4, v2
	v_mov_b32_e32 v5, v2
	scratch_store_b128 off, v[2:5], off offset:336
	s_wait_loadcnt 0x0
	ds_store_b128 v124, v[6:9]
.LBB53_295:
	s_wait_xcnt 0x0
	s_or_b32 exec_lo, exec_lo, s2
	s_wait_storecnt_dscnt 0x0
	s_barrier_signal -1
	s_barrier_wait -1
	s_clause 0x9
	scratch_load_b128 v[4:7], off, off offset:352
	scratch_load_b128 v[8:11], off, off offset:368
	;; [unrolled: 1-line block ×10, first 2 shown]
	ds_load_b128 v[154:157], v2 offset:1216
	ds_load_b128 v[162:165], v2 offset:1232
	s_clause 0x2
	scratch_load_b128 v[158:161], off, off offset:512
	scratch_load_b128 v[166:169], off, off offset:336
	;; [unrolled: 1-line block ×3, first 2 shown]
	s_mov_b32 s2, exec_lo
	s_wait_loadcnt_dscnt 0xc01
	v_mul_f64_e32 v[174:175], v[156:157], v[6:7]
	v_mul_f64_e32 v[178:179], v[154:155], v[6:7]
	s_wait_loadcnt_dscnt 0xb00
	v_mul_f64_e32 v[180:181], v[162:163], v[10:11]
	v_mul_f64_e32 v[10:11], v[164:165], v[10:11]
	s_delay_alu instid0(VALU_DEP_4) | instskip(NEXT) | instid1(VALU_DEP_4)
	v_fma_f64 v[182:183], v[154:155], v[4:5], -v[174:175]
	v_fmac_f64_e32 v[178:179], v[156:157], v[4:5]
	ds_load_b128 v[4:7], v2 offset:1248
	ds_load_b128 v[154:157], v2 offset:1264
	scratch_load_b128 v[174:177], off, off offset:544
	v_fmac_f64_e32 v[180:181], v[164:165], v[8:9]
	v_fma_f64 v[162:163], v[162:163], v[8:9], -v[10:11]
	scratch_load_b128 v[8:11], off, off offset:560
	s_wait_loadcnt_dscnt 0xc01
	v_mul_f64_e32 v[184:185], v[4:5], v[14:15]
	v_mul_f64_e32 v[14:15], v[6:7], v[14:15]
	v_add_f64_e32 v[164:165], 0, v[182:183]
	v_add_f64_e32 v[178:179], 0, v[178:179]
	s_wait_loadcnt_dscnt 0xb00
	v_mul_f64_e32 v[182:183], v[154:155], v[128:129]
	v_mul_f64_e32 v[128:129], v[156:157], v[128:129]
	v_fmac_f64_e32 v[184:185], v[6:7], v[12:13]
	v_fma_f64 v[186:187], v[4:5], v[12:13], -v[14:15]
	ds_load_b128 v[4:7], v2 offset:1280
	ds_load_b128 v[12:15], v2 offset:1296
	v_add_f64_e32 v[188:189], v[164:165], v[162:163]
	v_add_f64_e32 v[178:179], v[178:179], v[180:181]
	scratch_load_b128 v[162:165], off, off offset:576
	v_fmac_f64_e32 v[182:183], v[156:157], v[126:127]
	v_fma_f64 v[154:155], v[154:155], v[126:127], -v[128:129]
	scratch_load_b128 v[126:129], off, off offset:592
	s_wait_loadcnt_dscnt 0xc01
	v_mul_f64_e32 v[180:181], v[4:5], v[132:133]
	v_mul_f64_e32 v[132:133], v[6:7], v[132:133]
	v_add_f64_e32 v[156:157], v[188:189], v[186:187]
	v_add_f64_e32 v[178:179], v[178:179], v[184:185]
	s_wait_loadcnt_dscnt 0xb00
	v_mul_f64_e32 v[184:185], v[12:13], v[136:137]
	v_mul_f64_e32 v[136:137], v[14:15], v[136:137]
	v_fmac_f64_e32 v[180:181], v[6:7], v[130:131]
	v_fma_f64 v[186:187], v[4:5], v[130:131], -v[132:133]
	ds_load_b128 v[4:7], v2 offset:1312
	ds_load_b128 v[130:133], v2 offset:1328
	v_add_f64_e32 v[188:189], v[156:157], v[154:155]
	v_add_f64_e32 v[178:179], v[178:179], v[182:183]
	scratch_load_b128 v[154:157], off, off offset:608
	s_wait_loadcnt_dscnt 0xb01
	v_mul_f64_e32 v[182:183], v[4:5], v[140:141]
	v_mul_f64_e32 v[140:141], v[6:7], v[140:141]
	v_fmac_f64_e32 v[184:185], v[14:15], v[134:135]
	v_fma_f64 v[134:135], v[12:13], v[134:135], -v[136:137]
	scratch_load_b128 v[12:15], off, off offset:624
	v_add_f64_e32 v[136:137], v[188:189], v[186:187]
	v_add_f64_e32 v[178:179], v[178:179], v[180:181]
	s_wait_loadcnt_dscnt 0xb00
	v_mul_f64_e32 v[180:181], v[130:131], v[144:145]
	v_mul_f64_e32 v[144:145], v[132:133], v[144:145]
	v_fmac_f64_e32 v[182:183], v[6:7], v[138:139]
	v_fma_f64 v[186:187], v[4:5], v[138:139], -v[140:141]
	v_add_f64_e32 v[188:189], v[136:137], v[134:135]
	v_add_f64_e32 v[178:179], v[178:179], v[184:185]
	ds_load_b128 v[4:7], v2 offset:1344
	ds_load_b128 v[134:137], v2 offset:1360
	scratch_load_b128 v[138:141], off, off offset:640
	v_fmac_f64_e32 v[180:181], v[132:133], v[142:143]
	v_fma_f64 v[142:143], v[130:131], v[142:143], -v[144:145]
	scratch_load_b128 v[130:133], off, off offset:656
	s_wait_loadcnt_dscnt 0xc01
	v_mul_f64_e32 v[184:185], v[4:5], v[148:149]
	v_mul_f64_e32 v[148:149], v[6:7], v[148:149]
	v_add_f64_e32 v[144:145], v[188:189], v[186:187]
	v_add_f64_e32 v[178:179], v[178:179], v[182:183]
	s_wait_loadcnt_dscnt 0xb00
	v_mul_f64_e32 v[182:183], v[134:135], v[152:153]
	v_mul_f64_e32 v[152:153], v[136:137], v[152:153]
	v_fmac_f64_e32 v[184:185], v[6:7], v[146:147]
	v_fma_f64 v[186:187], v[4:5], v[146:147], -v[148:149]
	v_add_f64_e32 v[188:189], v[144:145], v[142:143]
	v_add_f64_e32 v[178:179], v[178:179], v[180:181]
	ds_load_b128 v[4:7], v2 offset:1376
	ds_load_b128 v[142:145], v2 offset:1392
	scratch_load_b128 v[146:149], off, off offset:672
	v_fmac_f64_e32 v[182:183], v[136:137], v[150:151]
	v_fma_f64 v[150:151], v[134:135], v[150:151], -v[152:153]
	scratch_load_b128 v[134:137], off, off offset:688
	s_wait_loadcnt_dscnt 0xc01
	v_mul_f64_e32 v[180:181], v[4:5], v[160:161]
	v_mul_f64_e32 v[160:161], v[6:7], v[160:161]
	;; [unrolled: 18-line block ×5, first 2 shown]
	v_add_f64_e32 v[172:173], v[188:189], v[186:187]
	v_add_f64_e32 v[178:179], v[178:179], v[184:185]
	s_wait_loadcnt_dscnt 0xa00
	v_mul_f64_e32 v[184:185], v[150:151], v[14:15]
	v_mul_f64_e32 v[14:15], v[152:153], v[14:15]
	v_fmac_f64_e32 v[180:181], v[6:7], v[154:155]
	v_fma_f64 v[186:187], v[4:5], v[154:155], -v[156:157]
	ds_load_b128 v[4:7], v2 offset:1504
	ds_load_b128 v[154:157], v2 offset:1520
	v_add_f64_e32 v[188:189], v[172:173], v[170:171]
	v_add_f64_e32 v[178:179], v[178:179], v[182:183]
	scratch_load_b128 v[170:173], off, off offset:800
	v_fmac_f64_e32 v[184:185], v[152:153], v[12:13]
	v_fma_f64 v[150:151], v[150:151], v[12:13], -v[14:15]
	scratch_load_b128 v[12:15], off, off offset:816
	s_wait_loadcnt_dscnt 0xb01
	v_mul_f64_e32 v[182:183], v[4:5], v[140:141]
	v_mul_f64_e32 v[140:141], v[6:7], v[140:141]
	v_add_f64_e32 v[152:153], v[188:189], v[186:187]
	v_add_f64_e32 v[178:179], v[178:179], v[180:181]
	s_wait_loadcnt_dscnt 0xa00
	v_mul_f64_e32 v[180:181], v[154:155], v[132:133]
	v_mul_f64_e32 v[132:133], v[156:157], v[132:133]
	v_fmac_f64_e32 v[182:183], v[6:7], v[138:139]
	v_fma_f64 v[186:187], v[4:5], v[138:139], -v[140:141]
	ds_load_b128 v[4:7], v2 offset:1536
	ds_load_b128 v[138:141], v2 offset:1552
	v_add_f64_e32 v[188:189], v[152:153], v[150:151]
	v_add_f64_e32 v[178:179], v[178:179], v[184:185]
	scratch_load_b128 v[150:153], off, off offset:832
	s_wait_loadcnt_dscnt 0xa01
	v_mul_f64_e32 v[184:185], v[4:5], v[148:149]
	v_mul_f64_e32 v[148:149], v[6:7], v[148:149]
	v_fmac_f64_e32 v[180:181], v[156:157], v[130:131]
	v_fma_f64 v[154:155], v[154:155], v[130:131], -v[132:133]
	scratch_load_b128 v[130:133], off, off offset:848
	v_add_f64_e32 v[156:157], v[188:189], v[186:187]
	v_add_f64_e32 v[178:179], v[178:179], v[182:183]
	s_wait_loadcnt_dscnt 0xa00
	v_mul_f64_e32 v[182:183], v[138:139], v[136:137]
	v_mul_f64_e32 v[136:137], v[140:141], v[136:137]
	v_fmac_f64_e32 v[184:185], v[6:7], v[146:147]
	v_fma_f64 v[186:187], v[4:5], v[146:147], -v[148:149]
	ds_load_b128 v[4:7], v2 offset:1568
	ds_load_b128 v[146:149], v2 offset:1584
	v_add_f64_e32 v[154:155], v[156:157], v[154:155]
	v_add_f64_e32 v[156:157], v[178:179], v[180:181]
	v_fmac_f64_e32 v[182:183], v[140:141], v[134:135]
	s_wait_loadcnt_dscnt 0x901
	v_mul_f64_e32 v[178:179], v[4:5], v[160:161]
	v_mul_f64_e32 v[160:161], v[6:7], v[160:161]
	v_fma_f64 v[134:135], v[138:139], v[134:135], -v[136:137]
	s_wait_loadcnt_dscnt 0x800
	v_mul_f64_e32 v[140:141], v[146:147], v[144:145]
	v_mul_f64_e32 v[144:145], v[148:149], v[144:145]
	v_add_f64_e32 v[136:137], v[154:155], v[186:187]
	v_add_f64_e32 v[138:139], v[156:157], v[184:185]
	v_fmac_f64_e32 v[178:179], v[6:7], v[158:159]
	v_fma_f64 v[154:155], v[4:5], v[158:159], -v[160:161]
	v_fmac_f64_e32 v[140:141], v[148:149], v[142:143]
	v_fma_f64 v[142:143], v[146:147], v[142:143], -v[144:145]
	v_add_f64_e32 v[156:157], v[136:137], v[134:135]
	v_add_f64_e32 v[138:139], v[138:139], v[182:183]
	ds_load_b128 v[4:7], v2 offset:1600
	ds_load_b128 v[134:137], v2 offset:1616
	s_wait_loadcnt_dscnt 0x701
	v_mul_f64_e32 v[158:159], v[4:5], v[176:177]
	v_mul_f64_e32 v[160:161], v[6:7], v[176:177]
	s_wait_loadcnt_dscnt 0x600
	v_mul_f64_e32 v[146:147], v[134:135], v[10:11]
	v_mul_f64_e32 v[10:11], v[136:137], v[10:11]
	v_add_f64_e32 v[144:145], v[156:157], v[154:155]
	v_add_f64_e32 v[138:139], v[138:139], v[178:179]
	v_fmac_f64_e32 v[158:159], v[6:7], v[174:175]
	v_fma_f64 v[148:149], v[4:5], v[174:175], -v[160:161]
	v_fmac_f64_e32 v[146:147], v[136:137], v[8:9]
	v_fma_f64 v[8:9], v[134:135], v[8:9], -v[10:11]
	v_add_f64_e32 v[142:143], v[144:145], v[142:143]
	v_add_f64_e32 v[144:145], v[138:139], v[140:141]
	ds_load_b128 v[4:7], v2 offset:1632
	ds_load_b128 v[138:141], v2 offset:1648
	s_wait_loadcnt_dscnt 0x501
	v_mul_f64_e32 v[154:155], v[4:5], v[164:165]
	v_mul_f64_e32 v[156:157], v[6:7], v[164:165]
	;; [unrolled: 16-line block ×4, first 2 shown]
	s_wait_loadcnt_dscnt 0x0
	v_mul_f64_e32 v[14:15], v[126:127], v[132:133]
	v_mul_f64_e32 v[132:133], v[128:129], v[132:133]
	v_add_f64_e32 v[10:11], v[142:143], v[140:141]
	v_add_f64_e32 v[12:13], v[134:135], v[146:147]
	v_fmac_f64_e32 v[2:3], v[6:7], v[150:151]
	v_fma_f64 v[4:5], v[4:5], v[150:151], -v[136:137]
	v_fmac_f64_e32 v[14:15], v[128:129], v[130:131]
	v_add_f64_e32 v[6:7], v[10:11], v[8:9]
	v_add_f64_e32 v[8:9], v[12:13], v[138:139]
	v_fma_f64 v[10:11], v[126:127], v[130:131], -v[132:133]
	s_delay_alu instid0(VALU_DEP_3) | instskip(NEXT) | instid1(VALU_DEP_3)
	v_add_f64_e32 v[4:5], v[6:7], v[4:5]
	v_add_f64_e32 v[2:3], v[8:9], v[2:3]
	s_delay_alu instid0(VALU_DEP_2) | instskip(NEXT) | instid1(VALU_DEP_2)
	v_add_f64_e32 v[4:5], v[4:5], v[10:11]
	v_add_f64_e32 v[6:7], v[2:3], v[14:15]
	s_delay_alu instid0(VALU_DEP_2) | instskip(NEXT) | instid1(VALU_DEP_2)
	v_add_f64_e64 v[2:3], v[166:167], -v[4:5]
	v_add_f64_e64 v[4:5], v[168:169], -v[6:7]
	scratch_store_b128 off, v[2:5], off offset:336
	s_wait_xcnt 0x0
	v_cmpx_lt_u32_e32 20, v1
	s_cbranch_execz .LBB53_297
; %bb.296:
	scratch_load_b128 v[2:5], off, s45
	v_mov_b32_e32 v6, 0
	s_delay_alu instid0(VALU_DEP_1)
	v_dual_mov_b32 v7, v6 :: v_dual_mov_b32 v8, v6
	v_mov_b32_e32 v9, v6
	scratch_store_b128 off, v[6:9], off offset:320
	s_wait_loadcnt 0x0
	ds_store_b128 v124, v[2:5]
.LBB53_297:
	s_wait_xcnt 0x0
	s_or_b32 exec_lo, exec_lo, s2
	s_wait_storecnt_dscnt 0x0
	s_barrier_signal -1
	s_barrier_wait -1
	s_clause 0x9
	scratch_load_b128 v[4:7], off, off offset:336
	scratch_load_b128 v[8:11], off, off offset:352
	;; [unrolled: 1-line block ×10, first 2 shown]
	v_mov_b32_e32 v2, 0
	s_mov_b32 s2, exec_lo
	ds_load_b128 v[154:157], v2 offset:1200
	s_clause 0x2
	scratch_load_b128 v[158:161], off, off offset:496
	scratch_load_b128 v[162:165], off, off offset:320
	;; [unrolled: 1-line block ×3, first 2 shown]
	s_wait_loadcnt_dscnt 0xc00
	v_mul_f64_e32 v[174:175], v[156:157], v[6:7]
	v_mul_f64_e32 v[178:179], v[154:155], v[6:7]
	ds_load_b128 v[166:169], v2 offset:1216
	v_fma_f64 v[182:183], v[154:155], v[4:5], -v[174:175]
	v_fmac_f64_e32 v[178:179], v[156:157], v[4:5]
	ds_load_b128 v[4:7], v2 offset:1232
	s_wait_loadcnt_dscnt 0xb01
	v_mul_f64_e32 v[180:181], v[166:167], v[10:11]
	v_mul_f64_e32 v[10:11], v[168:169], v[10:11]
	scratch_load_b128 v[154:157], off, off offset:528
	ds_load_b128 v[174:177], v2 offset:1248
	s_wait_loadcnt_dscnt 0xb01
	v_mul_f64_e32 v[184:185], v[4:5], v[14:15]
	v_mul_f64_e32 v[14:15], v[6:7], v[14:15]
	v_add_f64_e32 v[178:179], 0, v[178:179]
	v_fmac_f64_e32 v[180:181], v[168:169], v[8:9]
	v_fma_f64 v[166:167], v[166:167], v[8:9], -v[10:11]
	v_add_f64_e32 v[168:169], 0, v[182:183]
	scratch_load_b128 v[8:11], off, off offset:544
	v_fmac_f64_e32 v[184:185], v[6:7], v[12:13]
	v_fma_f64 v[186:187], v[4:5], v[12:13], -v[14:15]
	ds_load_b128 v[4:7], v2 offset:1264
	s_wait_loadcnt_dscnt 0xb01
	v_mul_f64_e32 v[182:183], v[174:175], v[128:129]
	v_mul_f64_e32 v[128:129], v[176:177], v[128:129]
	scratch_load_b128 v[12:15], off, off offset:560
	v_add_f64_e32 v[178:179], v[178:179], v[180:181]
	v_add_f64_e32 v[188:189], v[168:169], v[166:167]
	ds_load_b128 v[166:169], v2 offset:1280
	s_wait_loadcnt_dscnt 0xb01
	v_mul_f64_e32 v[180:181], v[4:5], v[132:133]
	v_mul_f64_e32 v[132:133], v[6:7], v[132:133]
	v_fmac_f64_e32 v[182:183], v[176:177], v[126:127]
	v_fma_f64 v[174:175], v[174:175], v[126:127], -v[128:129]
	scratch_load_b128 v[126:129], off, off offset:576
	v_add_f64_e32 v[178:179], v[178:179], v[184:185]
	v_add_f64_e32 v[176:177], v[188:189], v[186:187]
	v_fmac_f64_e32 v[180:181], v[6:7], v[130:131]
	v_fma_f64 v[186:187], v[4:5], v[130:131], -v[132:133]
	ds_load_b128 v[4:7], v2 offset:1296
	s_wait_loadcnt_dscnt 0xb01
	v_mul_f64_e32 v[184:185], v[166:167], v[136:137]
	v_mul_f64_e32 v[136:137], v[168:169], v[136:137]
	scratch_load_b128 v[130:133], off, off offset:592
	v_add_f64_e32 v[178:179], v[178:179], v[182:183]
	s_wait_loadcnt_dscnt 0xb00
	v_mul_f64_e32 v[182:183], v[4:5], v[140:141]
	v_add_f64_e32 v[188:189], v[176:177], v[174:175]
	v_mul_f64_e32 v[140:141], v[6:7], v[140:141]
	ds_load_b128 v[174:177], v2 offset:1312
	v_fmac_f64_e32 v[184:185], v[168:169], v[134:135]
	v_fma_f64 v[166:167], v[166:167], v[134:135], -v[136:137]
	scratch_load_b128 v[134:137], off, off offset:608
	v_add_f64_e32 v[178:179], v[178:179], v[180:181]
	v_fmac_f64_e32 v[182:183], v[6:7], v[138:139]
	v_add_f64_e32 v[168:169], v[188:189], v[186:187]
	v_fma_f64 v[186:187], v[4:5], v[138:139], -v[140:141]
	ds_load_b128 v[4:7], v2 offset:1328
	s_wait_loadcnt_dscnt 0xb01
	v_mul_f64_e32 v[180:181], v[174:175], v[144:145]
	v_mul_f64_e32 v[144:145], v[176:177], v[144:145]
	scratch_load_b128 v[138:141], off, off offset:624
	v_add_f64_e32 v[178:179], v[178:179], v[184:185]
	s_wait_loadcnt_dscnt 0xb00
	v_mul_f64_e32 v[184:185], v[4:5], v[148:149]
	v_add_f64_e32 v[188:189], v[168:169], v[166:167]
	v_mul_f64_e32 v[148:149], v[6:7], v[148:149]
	ds_load_b128 v[166:169], v2 offset:1344
	v_fmac_f64_e32 v[180:181], v[176:177], v[142:143]
	v_fma_f64 v[174:175], v[174:175], v[142:143], -v[144:145]
	scratch_load_b128 v[142:145], off, off offset:640
	v_add_f64_e32 v[178:179], v[178:179], v[182:183]
	v_fmac_f64_e32 v[184:185], v[6:7], v[146:147]
	v_add_f64_e32 v[176:177], v[188:189], v[186:187]
	;; [unrolled: 18-line block ×3, first 2 shown]
	v_fma_f64 v[186:187], v[4:5], v[158:159], -v[160:161]
	ds_load_b128 v[4:7], v2 offset:1392
	s_wait_loadcnt_dscnt 0xa01
	v_mul_f64_e32 v[184:185], v[174:175], v[172:173]
	v_mul_f64_e32 v[172:173], v[176:177], v[172:173]
	scratch_load_b128 v[158:161], off, off offset:688
	v_add_f64_e32 v[178:179], v[178:179], v[182:183]
	v_add_f64_e32 v[188:189], v[168:169], v[166:167]
	s_wait_loadcnt_dscnt 0xa00
	v_mul_f64_e32 v[182:183], v[4:5], v[156:157]
	v_mul_f64_e32 v[156:157], v[6:7], v[156:157]
	v_fmac_f64_e32 v[184:185], v[176:177], v[170:171]
	v_fma_f64 v[174:175], v[174:175], v[170:171], -v[172:173]
	ds_load_b128 v[166:169], v2 offset:1408
	scratch_load_b128 v[170:173], off, off offset:704
	v_add_f64_e32 v[178:179], v[178:179], v[180:181]
	v_add_f64_e32 v[176:177], v[188:189], v[186:187]
	v_fmac_f64_e32 v[182:183], v[6:7], v[154:155]
	v_fma_f64 v[186:187], v[4:5], v[154:155], -v[156:157]
	ds_load_b128 v[4:7], v2 offset:1424
	s_wait_loadcnt_dscnt 0xa01
	v_mul_f64_e32 v[180:181], v[166:167], v[10:11]
	v_mul_f64_e32 v[10:11], v[168:169], v[10:11]
	scratch_load_b128 v[154:157], off, off offset:720
	v_add_f64_e32 v[178:179], v[178:179], v[184:185]
	s_wait_loadcnt_dscnt 0xa00
	v_mul_f64_e32 v[184:185], v[4:5], v[14:15]
	v_add_f64_e32 v[188:189], v[176:177], v[174:175]
	v_mul_f64_e32 v[14:15], v[6:7], v[14:15]
	ds_load_b128 v[174:177], v2 offset:1440
	v_fmac_f64_e32 v[180:181], v[168:169], v[8:9]
	v_fma_f64 v[166:167], v[166:167], v[8:9], -v[10:11]
	scratch_load_b128 v[8:11], off, off offset:736
	v_add_f64_e32 v[178:179], v[178:179], v[182:183]
	v_fmac_f64_e32 v[184:185], v[6:7], v[12:13]
	v_add_f64_e32 v[168:169], v[188:189], v[186:187]
	v_fma_f64 v[186:187], v[4:5], v[12:13], -v[14:15]
	ds_load_b128 v[4:7], v2 offset:1456
	s_wait_loadcnt_dscnt 0xa01
	v_mul_f64_e32 v[182:183], v[174:175], v[128:129]
	v_mul_f64_e32 v[128:129], v[176:177], v[128:129]
	scratch_load_b128 v[12:15], off, off offset:752
	v_add_f64_e32 v[178:179], v[178:179], v[180:181]
	s_wait_loadcnt_dscnt 0xa00
	v_mul_f64_e32 v[180:181], v[4:5], v[132:133]
	v_add_f64_e32 v[188:189], v[168:169], v[166:167]
	v_mul_f64_e32 v[132:133], v[6:7], v[132:133]
	ds_load_b128 v[166:169], v2 offset:1472
	v_fmac_f64_e32 v[182:183], v[176:177], v[126:127]
	v_fma_f64 v[174:175], v[174:175], v[126:127], -v[128:129]
	scratch_load_b128 v[126:129], off, off offset:768
	v_add_f64_e32 v[178:179], v[178:179], v[184:185]
	v_fmac_f64_e32 v[180:181], v[6:7], v[130:131]
	v_add_f64_e32 v[176:177], v[188:189], v[186:187]
	;; [unrolled: 18-line block ×4, first 2 shown]
	v_fma_f64 v[186:187], v[4:5], v[146:147], -v[148:149]
	ds_load_b128 v[4:7], v2 offset:1552
	s_wait_loadcnt_dscnt 0xa01
	v_mul_f64_e32 v[182:183], v[166:167], v[152:153]
	v_mul_f64_e32 v[152:153], v[168:169], v[152:153]
	scratch_load_b128 v[146:149], off, off offset:848
	v_add_f64_e32 v[178:179], v[178:179], v[180:181]
	s_wait_loadcnt_dscnt 0xa00
	v_mul_f64_e32 v[180:181], v[4:5], v[160:161]
	v_add_f64_e32 v[188:189], v[176:177], v[174:175]
	v_mul_f64_e32 v[160:161], v[6:7], v[160:161]
	ds_load_b128 v[174:177], v2 offset:1568
	v_fmac_f64_e32 v[182:183], v[168:169], v[150:151]
	v_fma_f64 v[150:151], v[166:167], v[150:151], -v[152:153]
	s_wait_loadcnt_dscnt 0x900
	v_mul_f64_e32 v[168:169], v[174:175], v[172:173]
	v_mul_f64_e32 v[172:173], v[176:177], v[172:173]
	v_add_f64_e32 v[166:167], v[178:179], v[184:185]
	v_fmac_f64_e32 v[180:181], v[6:7], v[158:159]
	v_add_f64_e32 v[152:153], v[188:189], v[186:187]
	v_fma_f64 v[158:159], v[4:5], v[158:159], -v[160:161]
	v_fmac_f64_e32 v[168:169], v[176:177], v[170:171]
	v_fma_f64 v[170:171], v[174:175], v[170:171], -v[172:173]
	v_add_f64_e32 v[166:167], v[166:167], v[182:183]
	v_add_f64_e32 v[160:161], v[152:153], v[150:151]
	ds_load_b128 v[4:7], v2 offset:1584
	ds_load_b128 v[150:153], v2 offset:1600
	s_wait_loadcnt_dscnt 0x801
	v_mul_f64_e32 v[178:179], v[4:5], v[156:157]
	v_mul_f64_e32 v[156:157], v[6:7], v[156:157]
	v_add_f64_e32 v[158:159], v[160:161], v[158:159]
	v_add_f64_e32 v[160:161], v[166:167], v[180:181]
	s_wait_loadcnt_dscnt 0x700
	v_mul_f64_e32 v[166:167], v[150:151], v[10:11]
	v_mul_f64_e32 v[10:11], v[152:153], v[10:11]
	v_fmac_f64_e32 v[178:179], v[6:7], v[154:155]
	v_fma_f64 v[172:173], v[4:5], v[154:155], -v[156:157]
	ds_load_b128 v[4:7], v2 offset:1616
	ds_load_b128 v[154:157], v2 offset:1632
	v_add_f64_e32 v[158:159], v[158:159], v[170:171]
	v_add_f64_e32 v[160:161], v[160:161], v[168:169]
	v_fmac_f64_e32 v[166:167], v[152:153], v[8:9]
	v_fma_f64 v[8:9], v[150:151], v[8:9], -v[10:11]
	s_wait_loadcnt_dscnt 0x601
	v_mul_f64_e32 v[168:169], v[4:5], v[14:15]
	v_mul_f64_e32 v[14:15], v[6:7], v[14:15]
	s_wait_loadcnt_dscnt 0x500
	v_mul_f64_e32 v[152:153], v[154:155], v[128:129]
	v_mul_f64_e32 v[128:129], v[156:157], v[128:129]
	v_add_f64_e32 v[10:11], v[158:159], v[172:173]
	v_add_f64_e32 v[150:151], v[160:161], v[178:179]
	v_fmac_f64_e32 v[168:169], v[6:7], v[12:13]
	v_fma_f64 v[12:13], v[4:5], v[12:13], -v[14:15]
	v_fmac_f64_e32 v[152:153], v[156:157], v[126:127]
	v_fma_f64 v[126:127], v[154:155], v[126:127], -v[128:129]
	v_add_f64_e32 v[14:15], v[10:11], v[8:9]
	v_add_f64_e32 v[150:151], v[150:151], v[166:167]
	ds_load_b128 v[4:7], v2 offset:1648
	ds_load_b128 v[8:11], v2 offset:1664
	s_wait_loadcnt_dscnt 0x401
	v_mul_f64_e32 v[158:159], v[4:5], v[132:133]
	v_mul_f64_e32 v[132:133], v[6:7], v[132:133]
	s_wait_loadcnt_dscnt 0x300
	v_mul_f64_e32 v[128:129], v[8:9], v[136:137]
	v_mul_f64_e32 v[136:137], v[10:11], v[136:137]
	v_add_f64_e32 v[12:13], v[14:15], v[12:13]
	v_add_f64_e32 v[14:15], v[150:151], v[168:169]
	v_fmac_f64_e32 v[158:159], v[6:7], v[130:131]
	v_fma_f64 v[130:131], v[4:5], v[130:131], -v[132:133]
	v_fmac_f64_e32 v[128:129], v[10:11], v[134:135]
	v_fma_f64 v[8:9], v[8:9], v[134:135], -v[136:137]
	v_add_f64_e32 v[126:127], v[12:13], v[126:127]
	v_add_f64_e32 v[132:133], v[14:15], v[152:153]
	ds_load_b128 v[4:7], v2 offset:1680
	ds_load_b128 v[12:15], v2 offset:1696
	s_wait_loadcnt_dscnt 0x201
	v_mul_f64_e32 v[150:151], v[4:5], v[140:141]
	v_mul_f64_e32 v[140:141], v[6:7], v[140:141]
	v_add_f64_e32 v[10:11], v[126:127], v[130:131]
	v_add_f64_e32 v[126:127], v[132:133], v[158:159]
	s_wait_loadcnt_dscnt 0x100
	v_mul_f64_e32 v[130:131], v[12:13], v[144:145]
	v_mul_f64_e32 v[132:133], v[14:15], v[144:145]
	v_fmac_f64_e32 v[150:151], v[6:7], v[138:139]
	v_fma_f64 v[134:135], v[4:5], v[138:139], -v[140:141]
	ds_load_b128 v[4:7], v2 offset:1712
	v_add_f64_e32 v[8:9], v[10:11], v[8:9]
	v_add_f64_e32 v[10:11], v[126:127], v[128:129]
	v_fmac_f64_e32 v[130:131], v[14:15], v[142:143]
	v_fma_f64 v[12:13], v[12:13], v[142:143], -v[132:133]
	s_wait_loadcnt_dscnt 0x0
	v_mul_f64_e32 v[126:127], v[4:5], v[148:149]
	v_mul_f64_e32 v[128:129], v[6:7], v[148:149]
	v_add_f64_e32 v[8:9], v[8:9], v[134:135]
	v_add_f64_e32 v[10:11], v[10:11], v[150:151]
	s_delay_alu instid0(VALU_DEP_4) | instskip(NEXT) | instid1(VALU_DEP_4)
	v_fmac_f64_e32 v[126:127], v[6:7], v[146:147]
	v_fma_f64 v[4:5], v[4:5], v[146:147], -v[128:129]
	s_delay_alu instid0(VALU_DEP_4) | instskip(NEXT) | instid1(VALU_DEP_4)
	v_add_f64_e32 v[6:7], v[8:9], v[12:13]
	v_add_f64_e32 v[8:9], v[10:11], v[130:131]
	s_delay_alu instid0(VALU_DEP_2) | instskip(NEXT) | instid1(VALU_DEP_2)
	v_add_f64_e32 v[4:5], v[6:7], v[4:5]
	v_add_f64_e32 v[6:7], v[8:9], v[126:127]
	s_delay_alu instid0(VALU_DEP_2) | instskip(NEXT) | instid1(VALU_DEP_2)
	v_add_f64_e64 v[4:5], v[162:163], -v[4:5]
	v_add_f64_e64 v[6:7], v[164:165], -v[6:7]
	scratch_store_b128 off, v[4:7], off offset:320
	s_wait_xcnt 0x0
	v_cmpx_lt_u32_e32 19, v1
	s_cbranch_execz .LBB53_299
; %bb.298:
	scratch_load_b128 v[6:9], off, s41
	v_dual_mov_b32 v3, v2 :: v_dual_mov_b32 v4, v2
	v_mov_b32_e32 v5, v2
	scratch_store_b128 off, v[2:5], off offset:304
	s_wait_loadcnt 0x0
	ds_store_b128 v124, v[6:9]
.LBB53_299:
	s_wait_xcnt 0x0
	s_or_b32 exec_lo, exec_lo, s2
	s_wait_storecnt_dscnt 0x0
	s_barrier_signal -1
	s_barrier_wait -1
	s_clause 0x9
	scratch_load_b128 v[4:7], off, off offset:320
	scratch_load_b128 v[8:11], off, off offset:336
	;; [unrolled: 1-line block ×10, first 2 shown]
	ds_load_b128 v[154:157], v2 offset:1184
	ds_load_b128 v[162:165], v2 offset:1200
	s_clause 0x2
	scratch_load_b128 v[158:161], off, off offset:480
	scratch_load_b128 v[166:169], off, off offset:304
	;; [unrolled: 1-line block ×3, first 2 shown]
	s_mov_b32 s2, exec_lo
	s_wait_loadcnt_dscnt 0xc01
	v_mul_f64_e32 v[174:175], v[156:157], v[6:7]
	v_mul_f64_e32 v[178:179], v[154:155], v[6:7]
	s_wait_loadcnt_dscnt 0xb00
	v_mul_f64_e32 v[180:181], v[162:163], v[10:11]
	v_mul_f64_e32 v[10:11], v[164:165], v[10:11]
	s_delay_alu instid0(VALU_DEP_4) | instskip(NEXT) | instid1(VALU_DEP_4)
	v_fma_f64 v[182:183], v[154:155], v[4:5], -v[174:175]
	v_fmac_f64_e32 v[178:179], v[156:157], v[4:5]
	ds_load_b128 v[4:7], v2 offset:1216
	ds_load_b128 v[154:157], v2 offset:1232
	scratch_load_b128 v[174:177], off, off offset:512
	v_fmac_f64_e32 v[180:181], v[164:165], v[8:9]
	v_fma_f64 v[162:163], v[162:163], v[8:9], -v[10:11]
	scratch_load_b128 v[8:11], off, off offset:528
	s_wait_loadcnt_dscnt 0xc01
	v_mul_f64_e32 v[184:185], v[4:5], v[14:15]
	v_mul_f64_e32 v[14:15], v[6:7], v[14:15]
	v_add_f64_e32 v[164:165], 0, v[182:183]
	v_add_f64_e32 v[178:179], 0, v[178:179]
	s_wait_loadcnt_dscnt 0xb00
	v_mul_f64_e32 v[182:183], v[154:155], v[128:129]
	v_mul_f64_e32 v[128:129], v[156:157], v[128:129]
	v_fmac_f64_e32 v[184:185], v[6:7], v[12:13]
	v_fma_f64 v[186:187], v[4:5], v[12:13], -v[14:15]
	ds_load_b128 v[4:7], v2 offset:1248
	ds_load_b128 v[12:15], v2 offset:1264
	v_add_f64_e32 v[188:189], v[164:165], v[162:163]
	v_add_f64_e32 v[178:179], v[178:179], v[180:181]
	scratch_load_b128 v[162:165], off, off offset:544
	v_fmac_f64_e32 v[182:183], v[156:157], v[126:127]
	v_fma_f64 v[154:155], v[154:155], v[126:127], -v[128:129]
	scratch_load_b128 v[126:129], off, off offset:560
	s_wait_loadcnt_dscnt 0xc01
	v_mul_f64_e32 v[180:181], v[4:5], v[132:133]
	v_mul_f64_e32 v[132:133], v[6:7], v[132:133]
	v_add_f64_e32 v[156:157], v[188:189], v[186:187]
	v_add_f64_e32 v[178:179], v[178:179], v[184:185]
	s_wait_loadcnt_dscnt 0xb00
	v_mul_f64_e32 v[184:185], v[12:13], v[136:137]
	v_mul_f64_e32 v[136:137], v[14:15], v[136:137]
	v_fmac_f64_e32 v[180:181], v[6:7], v[130:131]
	v_fma_f64 v[186:187], v[4:5], v[130:131], -v[132:133]
	ds_load_b128 v[4:7], v2 offset:1280
	ds_load_b128 v[130:133], v2 offset:1296
	v_add_f64_e32 v[188:189], v[156:157], v[154:155]
	v_add_f64_e32 v[178:179], v[178:179], v[182:183]
	scratch_load_b128 v[154:157], off, off offset:576
	s_wait_loadcnt_dscnt 0xb01
	v_mul_f64_e32 v[182:183], v[4:5], v[140:141]
	v_mul_f64_e32 v[140:141], v[6:7], v[140:141]
	v_fmac_f64_e32 v[184:185], v[14:15], v[134:135]
	v_fma_f64 v[134:135], v[12:13], v[134:135], -v[136:137]
	scratch_load_b128 v[12:15], off, off offset:592
	v_add_f64_e32 v[136:137], v[188:189], v[186:187]
	v_add_f64_e32 v[178:179], v[178:179], v[180:181]
	s_wait_loadcnt_dscnt 0xb00
	v_mul_f64_e32 v[180:181], v[130:131], v[144:145]
	v_mul_f64_e32 v[144:145], v[132:133], v[144:145]
	v_fmac_f64_e32 v[182:183], v[6:7], v[138:139]
	v_fma_f64 v[186:187], v[4:5], v[138:139], -v[140:141]
	v_add_f64_e32 v[188:189], v[136:137], v[134:135]
	v_add_f64_e32 v[178:179], v[178:179], v[184:185]
	ds_load_b128 v[4:7], v2 offset:1312
	ds_load_b128 v[134:137], v2 offset:1328
	scratch_load_b128 v[138:141], off, off offset:608
	v_fmac_f64_e32 v[180:181], v[132:133], v[142:143]
	v_fma_f64 v[142:143], v[130:131], v[142:143], -v[144:145]
	scratch_load_b128 v[130:133], off, off offset:624
	s_wait_loadcnt_dscnt 0xc01
	v_mul_f64_e32 v[184:185], v[4:5], v[148:149]
	v_mul_f64_e32 v[148:149], v[6:7], v[148:149]
	v_add_f64_e32 v[144:145], v[188:189], v[186:187]
	v_add_f64_e32 v[178:179], v[178:179], v[182:183]
	s_wait_loadcnt_dscnt 0xb00
	v_mul_f64_e32 v[182:183], v[134:135], v[152:153]
	v_mul_f64_e32 v[152:153], v[136:137], v[152:153]
	v_fmac_f64_e32 v[184:185], v[6:7], v[146:147]
	v_fma_f64 v[186:187], v[4:5], v[146:147], -v[148:149]
	v_add_f64_e32 v[188:189], v[144:145], v[142:143]
	v_add_f64_e32 v[178:179], v[178:179], v[180:181]
	ds_load_b128 v[4:7], v2 offset:1344
	ds_load_b128 v[142:145], v2 offset:1360
	scratch_load_b128 v[146:149], off, off offset:640
	v_fmac_f64_e32 v[182:183], v[136:137], v[150:151]
	v_fma_f64 v[150:151], v[134:135], v[150:151], -v[152:153]
	scratch_load_b128 v[134:137], off, off offset:656
	s_wait_loadcnt_dscnt 0xc01
	v_mul_f64_e32 v[180:181], v[4:5], v[160:161]
	v_mul_f64_e32 v[160:161], v[6:7], v[160:161]
	;; [unrolled: 18-line block ×5, first 2 shown]
	v_add_f64_e32 v[172:173], v[188:189], v[186:187]
	v_add_f64_e32 v[178:179], v[178:179], v[184:185]
	s_wait_loadcnt_dscnt 0xa00
	v_mul_f64_e32 v[184:185], v[150:151], v[14:15]
	v_mul_f64_e32 v[14:15], v[152:153], v[14:15]
	v_fmac_f64_e32 v[180:181], v[6:7], v[154:155]
	v_fma_f64 v[186:187], v[4:5], v[154:155], -v[156:157]
	ds_load_b128 v[4:7], v2 offset:1472
	ds_load_b128 v[154:157], v2 offset:1488
	v_add_f64_e32 v[188:189], v[172:173], v[170:171]
	v_add_f64_e32 v[178:179], v[178:179], v[182:183]
	scratch_load_b128 v[170:173], off, off offset:768
	v_fmac_f64_e32 v[184:185], v[152:153], v[12:13]
	v_fma_f64 v[150:151], v[150:151], v[12:13], -v[14:15]
	scratch_load_b128 v[12:15], off, off offset:784
	s_wait_loadcnt_dscnt 0xb01
	v_mul_f64_e32 v[182:183], v[4:5], v[140:141]
	v_mul_f64_e32 v[140:141], v[6:7], v[140:141]
	v_add_f64_e32 v[152:153], v[188:189], v[186:187]
	v_add_f64_e32 v[178:179], v[178:179], v[180:181]
	s_wait_loadcnt_dscnt 0xa00
	v_mul_f64_e32 v[180:181], v[154:155], v[132:133]
	v_mul_f64_e32 v[132:133], v[156:157], v[132:133]
	v_fmac_f64_e32 v[182:183], v[6:7], v[138:139]
	v_fma_f64 v[186:187], v[4:5], v[138:139], -v[140:141]
	ds_load_b128 v[4:7], v2 offset:1504
	ds_load_b128 v[138:141], v2 offset:1520
	v_add_f64_e32 v[188:189], v[152:153], v[150:151]
	v_add_f64_e32 v[178:179], v[178:179], v[184:185]
	scratch_load_b128 v[150:153], off, off offset:800
	s_wait_loadcnt_dscnt 0xa01
	v_mul_f64_e32 v[184:185], v[4:5], v[148:149]
	v_mul_f64_e32 v[148:149], v[6:7], v[148:149]
	v_fmac_f64_e32 v[180:181], v[156:157], v[130:131]
	v_fma_f64 v[154:155], v[154:155], v[130:131], -v[132:133]
	scratch_load_b128 v[130:133], off, off offset:816
	v_add_f64_e32 v[156:157], v[188:189], v[186:187]
	v_add_f64_e32 v[178:179], v[178:179], v[182:183]
	s_wait_loadcnt_dscnt 0xa00
	v_mul_f64_e32 v[182:183], v[138:139], v[136:137]
	v_mul_f64_e32 v[136:137], v[140:141], v[136:137]
	v_fmac_f64_e32 v[184:185], v[6:7], v[146:147]
	v_fma_f64 v[186:187], v[4:5], v[146:147], -v[148:149]
	ds_load_b128 v[4:7], v2 offset:1536
	ds_load_b128 v[146:149], v2 offset:1552
	v_add_f64_e32 v[188:189], v[156:157], v[154:155]
	v_add_f64_e32 v[178:179], v[178:179], v[180:181]
	scratch_load_b128 v[154:157], off, off offset:832
	s_wait_loadcnt_dscnt 0xa01
	v_mul_f64_e32 v[180:181], v[4:5], v[160:161]
	v_mul_f64_e32 v[160:161], v[6:7], v[160:161]
	v_fmac_f64_e32 v[182:183], v[140:141], v[134:135]
	v_fma_f64 v[138:139], v[138:139], v[134:135], -v[136:137]
	scratch_load_b128 v[134:137], off, off offset:848
	v_add_f64_e32 v[140:141], v[188:189], v[186:187]
	v_add_f64_e32 v[178:179], v[178:179], v[184:185]
	s_wait_loadcnt_dscnt 0xa00
	v_mul_f64_e32 v[184:185], v[146:147], v[144:145]
	v_mul_f64_e32 v[144:145], v[148:149], v[144:145]
	v_fmac_f64_e32 v[180:181], v[6:7], v[158:159]
	v_fma_f64 v[158:159], v[4:5], v[158:159], -v[160:161]
	v_add_f64_e32 v[160:161], v[140:141], v[138:139]
	v_add_f64_e32 v[178:179], v[178:179], v[182:183]
	ds_load_b128 v[4:7], v2 offset:1568
	ds_load_b128 v[138:141], v2 offset:1584
	v_fmac_f64_e32 v[184:185], v[148:149], v[142:143]
	v_fma_f64 v[142:143], v[146:147], v[142:143], -v[144:145]
	s_wait_loadcnt_dscnt 0x901
	v_mul_f64_e32 v[182:183], v[4:5], v[176:177]
	v_mul_f64_e32 v[176:177], v[6:7], v[176:177]
	s_wait_loadcnt_dscnt 0x800
	v_mul_f64_e32 v[148:149], v[138:139], v[10:11]
	v_mul_f64_e32 v[10:11], v[140:141], v[10:11]
	v_add_f64_e32 v[144:145], v[160:161], v[158:159]
	v_add_f64_e32 v[146:147], v[178:179], v[180:181]
	v_fmac_f64_e32 v[182:183], v[6:7], v[174:175]
	v_fma_f64 v[158:159], v[4:5], v[174:175], -v[176:177]
	v_fmac_f64_e32 v[148:149], v[140:141], v[8:9]
	v_fma_f64 v[8:9], v[138:139], v[8:9], -v[10:11]
	v_add_f64_e32 v[160:161], v[144:145], v[142:143]
	v_add_f64_e32 v[146:147], v[146:147], v[184:185]
	ds_load_b128 v[4:7], v2 offset:1600
	ds_load_b128 v[142:145], v2 offset:1616
	s_wait_loadcnt_dscnt 0x701
	v_mul_f64_e32 v[174:175], v[4:5], v[164:165]
	v_mul_f64_e32 v[164:165], v[6:7], v[164:165]
	s_wait_loadcnt_dscnt 0x600
	v_mul_f64_e32 v[140:141], v[142:143], v[128:129]
	v_mul_f64_e32 v[128:129], v[144:145], v[128:129]
	v_add_f64_e32 v[10:11], v[160:161], v[158:159]
	v_add_f64_e32 v[138:139], v[146:147], v[182:183]
	v_fmac_f64_e32 v[174:175], v[6:7], v[162:163]
	v_fma_f64 v[146:147], v[4:5], v[162:163], -v[164:165]
	v_fmac_f64_e32 v[140:141], v[144:145], v[126:127]
	v_fma_f64 v[126:127], v[142:143], v[126:127], -v[128:129]
	v_add_f64_e32 v[158:159], v[10:11], v[8:9]
	v_add_f64_e32 v[138:139], v[138:139], v[148:149]
	ds_load_b128 v[4:7], v2 offset:1632
	ds_load_b128 v[8:11], v2 offset:1648
	;; [unrolled: 16-line block ×4, first 2 shown]
	s_wait_loadcnt_dscnt 0x101
	v_mul_f64_e32 v[2:3], v[4:5], v[156:157]
	v_mul_f64_e32 v[142:143], v[6:7], v[156:157]
	s_wait_loadcnt_dscnt 0x0
	v_mul_f64_e32 v[130:131], v[8:9], v[136:137]
	v_mul_f64_e32 v[132:133], v[10:11], v[136:137]
	v_add_f64_e32 v[128:129], v[144:145], v[138:139]
	v_add_f64_e32 v[12:13], v[12:13], v[140:141]
	v_fmac_f64_e32 v[2:3], v[6:7], v[154:155]
	v_fma_f64 v[4:5], v[4:5], v[154:155], -v[142:143]
	v_fmac_f64_e32 v[130:131], v[10:11], v[134:135]
	v_fma_f64 v[8:9], v[8:9], v[134:135], -v[132:133]
	v_add_f64_e32 v[6:7], v[128:129], v[126:127]
	v_add_f64_e32 v[12:13], v[12:13], v[14:15]
	s_delay_alu instid0(VALU_DEP_2) | instskip(NEXT) | instid1(VALU_DEP_2)
	v_add_f64_e32 v[4:5], v[6:7], v[4:5]
	v_add_f64_e32 v[2:3], v[12:13], v[2:3]
	s_delay_alu instid0(VALU_DEP_2) | instskip(NEXT) | instid1(VALU_DEP_2)
	;; [unrolled: 3-line block ×3, first 2 shown]
	v_add_f64_e64 v[2:3], v[166:167], -v[4:5]
	v_add_f64_e64 v[4:5], v[168:169], -v[6:7]
	scratch_store_b128 off, v[2:5], off offset:304
	s_wait_xcnt 0x0
	v_cmpx_lt_u32_e32 18, v1
	s_cbranch_execz .LBB53_301
; %bb.300:
	scratch_load_b128 v[2:5], off, s38
	v_mov_b32_e32 v6, 0
	s_delay_alu instid0(VALU_DEP_1)
	v_dual_mov_b32 v7, v6 :: v_dual_mov_b32 v8, v6
	v_mov_b32_e32 v9, v6
	scratch_store_b128 off, v[6:9], off offset:288
	s_wait_loadcnt 0x0
	ds_store_b128 v124, v[2:5]
.LBB53_301:
	s_wait_xcnt 0x0
	s_or_b32 exec_lo, exec_lo, s2
	s_wait_storecnt_dscnt 0x0
	s_barrier_signal -1
	s_barrier_wait -1
	s_clause 0x9
	scratch_load_b128 v[4:7], off, off offset:304
	scratch_load_b128 v[8:11], off, off offset:320
	;; [unrolled: 1-line block ×10, first 2 shown]
	v_mov_b32_e32 v2, 0
	s_mov_b32 s2, exec_lo
	ds_load_b128 v[154:157], v2 offset:1168
	s_clause 0x2
	scratch_load_b128 v[158:161], off, off offset:464
	scratch_load_b128 v[162:165], off, off offset:288
	scratch_load_b128 v[170:173], off, off offset:480
	s_wait_loadcnt_dscnt 0xc00
	v_mul_f64_e32 v[174:175], v[156:157], v[6:7]
	v_mul_f64_e32 v[178:179], v[154:155], v[6:7]
	ds_load_b128 v[166:169], v2 offset:1184
	v_fma_f64 v[182:183], v[154:155], v[4:5], -v[174:175]
	v_fmac_f64_e32 v[178:179], v[156:157], v[4:5]
	ds_load_b128 v[4:7], v2 offset:1200
	s_wait_loadcnt_dscnt 0xb01
	v_mul_f64_e32 v[180:181], v[166:167], v[10:11]
	v_mul_f64_e32 v[10:11], v[168:169], v[10:11]
	scratch_load_b128 v[154:157], off, off offset:496
	ds_load_b128 v[174:177], v2 offset:1216
	s_wait_loadcnt_dscnt 0xb01
	v_mul_f64_e32 v[184:185], v[4:5], v[14:15]
	v_mul_f64_e32 v[14:15], v[6:7], v[14:15]
	v_add_f64_e32 v[178:179], 0, v[178:179]
	v_fmac_f64_e32 v[180:181], v[168:169], v[8:9]
	v_fma_f64 v[166:167], v[166:167], v[8:9], -v[10:11]
	v_add_f64_e32 v[168:169], 0, v[182:183]
	scratch_load_b128 v[8:11], off, off offset:512
	v_fmac_f64_e32 v[184:185], v[6:7], v[12:13]
	v_fma_f64 v[186:187], v[4:5], v[12:13], -v[14:15]
	ds_load_b128 v[4:7], v2 offset:1232
	s_wait_loadcnt_dscnt 0xb01
	v_mul_f64_e32 v[182:183], v[174:175], v[128:129]
	v_mul_f64_e32 v[128:129], v[176:177], v[128:129]
	scratch_load_b128 v[12:15], off, off offset:528
	v_add_f64_e32 v[178:179], v[178:179], v[180:181]
	v_add_f64_e32 v[188:189], v[168:169], v[166:167]
	ds_load_b128 v[166:169], v2 offset:1248
	s_wait_loadcnt_dscnt 0xb01
	v_mul_f64_e32 v[180:181], v[4:5], v[132:133]
	v_mul_f64_e32 v[132:133], v[6:7], v[132:133]
	v_fmac_f64_e32 v[182:183], v[176:177], v[126:127]
	v_fma_f64 v[174:175], v[174:175], v[126:127], -v[128:129]
	scratch_load_b128 v[126:129], off, off offset:544
	v_add_f64_e32 v[178:179], v[178:179], v[184:185]
	v_add_f64_e32 v[176:177], v[188:189], v[186:187]
	v_fmac_f64_e32 v[180:181], v[6:7], v[130:131]
	v_fma_f64 v[186:187], v[4:5], v[130:131], -v[132:133]
	ds_load_b128 v[4:7], v2 offset:1264
	s_wait_loadcnt_dscnt 0xb01
	v_mul_f64_e32 v[184:185], v[166:167], v[136:137]
	v_mul_f64_e32 v[136:137], v[168:169], v[136:137]
	scratch_load_b128 v[130:133], off, off offset:560
	v_add_f64_e32 v[178:179], v[178:179], v[182:183]
	s_wait_loadcnt_dscnt 0xb00
	v_mul_f64_e32 v[182:183], v[4:5], v[140:141]
	v_add_f64_e32 v[188:189], v[176:177], v[174:175]
	v_mul_f64_e32 v[140:141], v[6:7], v[140:141]
	ds_load_b128 v[174:177], v2 offset:1280
	v_fmac_f64_e32 v[184:185], v[168:169], v[134:135]
	v_fma_f64 v[166:167], v[166:167], v[134:135], -v[136:137]
	scratch_load_b128 v[134:137], off, off offset:576
	v_add_f64_e32 v[178:179], v[178:179], v[180:181]
	v_fmac_f64_e32 v[182:183], v[6:7], v[138:139]
	v_add_f64_e32 v[168:169], v[188:189], v[186:187]
	v_fma_f64 v[186:187], v[4:5], v[138:139], -v[140:141]
	ds_load_b128 v[4:7], v2 offset:1296
	s_wait_loadcnt_dscnt 0xb01
	v_mul_f64_e32 v[180:181], v[174:175], v[144:145]
	v_mul_f64_e32 v[144:145], v[176:177], v[144:145]
	scratch_load_b128 v[138:141], off, off offset:592
	v_add_f64_e32 v[178:179], v[178:179], v[184:185]
	s_wait_loadcnt_dscnt 0xb00
	v_mul_f64_e32 v[184:185], v[4:5], v[148:149]
	v_add_f64_e32 v[188:189], v[168:169], v[166:167]
	v_mul_f64_e32 v[148:149], v[6:7], v[148:149]
	ds_load_b128 v[166:169], v2 offset:1312
	v_fmac_f64_e32 v[180:181], v[176:177], v[142:143]
	v_fma_f64 v[174:175], v[174:175], v[142:143], -v[144:145]
	scratch_load_b128 v[142:145], off, off offset:608
	v_add_f64_e32 v[178:179], v[178:179], v[182:183]
	v_fmac_f64_e32 v[184:185], v[6:7], v[146:147]
	v_add_f64_e32 v[176:177], v[188:189], v[186:187]
	;; [unrolled: 18-line block ×3, first 2 shown]
	v_fma_f64 v[186:187], v[4:5], v[158:159], -v[160:161]
	ds_load_b128 v[4:7], v2 offset:1360
	s_wait_loadcnt_dscnt 0xa01
	v_mul_f64_e32 v[184:185], v[174:175], v[172:173]
	v_mul_f64_e32 v[172:173], v[176:177], v[172:173]
	scratch_load_b128 v[158:161], off, off offset:656
	v_add_f64_e32 v[178:179], v[178:179], v[182:183]
	v_add_f64_e32 v[188:189], v[168:169], v[166:167]
	s_wait_loadcnt_dscnt 0xa00
	v_mul_f64_e32 v[182:183], v[4:5], v[156:157]
	v_mul_f64_e32 v[156:157], v[6:7], v[156:157]
	v_fmac_f64_e32 v[184:185], v[176:177], v[170:171]
	v_fma_f64 v[174:175], v[174:175], v[170:171], -v[172:173]
	ds_load_b128 v[166:169], v2 offset:1376
	scratch_load_b128 v[170:173], off, off offset:672
	v_add_f64_e32 v[178:179], v[178:179], v[180:181]
	v_add_f64_e32 v[176:177], v[188:189], v[186:187]
	v_fmac_f64_e32 v[182:183], v[6:7], v[154:155]
	v_fma_f64 v[186:187], v[4:5], v[154:155], -v[156:157]
	ds_load_b128 v[4:7], v2 offset:1392
	s_wait_loadcnt_dscnt 0xa01
	v_mul_f64_e32 v[180:181], v[166:167], v[10:11]
	v_mul_f64_e32 v[10:11], v[168:169], v[10:11]
	scratch_load_b128 v[154:157], off, off offset:688
	v_add_f64_e32 v[178:179], v[178:179], v[184:185]
	s_wait_loadcnt_dscnt 0xa00
	v_mul_f64_e32 v[184:185], v[4:5], v[14:15]
	v_add_f64_e32 v[188:189], v[176:177], v[174:175]
	v_mul_f64_e32 v[14:15], v[6:7], v[14:15]
	ds_load_b128 v[174:177], v2 offset:1408
	v_fmac_f64_e32 v[180:181], v[168:169], v[8:9]
	v_fma_f64 v[166:167], v[166:167], v[8:9], -v[10:11]
	scratch_load_b128 v[8:11], off, off offset:704
	v_add_f64_e32 v[178:179], v[178:179], v[182:183]
	v_fmac_f64_e32 v[184:185], v[6:7], v[12:13]
	v_add_f64_e32 v[168:169], v[188:189], v[186:187]
	v_fma_f64 v[186:187], v[4:5], v[12:13], -v[14:15]
	ds_load_b128 v[4:7], v2 offset:1424
	s_wait_loadcnt_dscnt 0xa01
	v_mul_f64_e32 v[182:183], v[174:175], v[128:129]
	v_mul_f64_e32 v[128:129], v[176:177], v[128:129]
	scratch_load_b128 v[12:15], off, off offset:720
	v_add_f64_e32 v[178:179], v[178:179], v[180:181]
	s_wait_loadcnt_dscnt 0xa00
	v_mul_f64_e32 v[180:181], v[4:5], v[132:133]
	v_add_f64_e32 v[188:189], v[168:169], v[166:167]
	v_mul_f64_e32 v[132:133], v[6:7], v[132:133]
	ds_load_b128 v[166:169], v2 offset:1440
	v_fmac_f64_e32 v[182:183], v[176:177], v[126:127]
	v_fma_f64 v[174:175], v[174:175], v[126:127], -v[128:129]
	scratch_load_b128 v[126:129], off, off offset:736
	v_add_f64_e32 v[178:179], v[178:179], v[184:185]
	v_fmac_f64_e32 v[180:181], v[6:7], v[130:131]
	v_add_f64_e32 v[176:177], v[188:189], v[186:187]
	;; [unrolled: 18-line block ×5, first 2 shown]
	v_fma_f64 v[186:187], v[4:5], v[158:159], -v[160:161]
	ds_load_b128 v[4:7], v2 offset:1552
	s_wait_loadcnt_dscnt 0xa01
	v_mul_f64_e32 v[184:185], v[174:175], v[172:173]
	v_mul_f64_e32 v[172:173], v[176:177], v[172:173]
	scratch_load_b128 v[158:161], off, off offset:848
	v_add_f64_e32 v[178:179], v[178:179], v[182:183]
	s_wait_loadcnt_dscnt 0xa00
	v_mul_f64_e32 v[182:183], v[4:5], v[156:157]
	v_add_f64_e32 v[188:189], v[168:169], v[166:167]
	v_mul_f64_e32 v[156:157], v[6:7], v[156:157]
	ds_load_b128 v[166:169], v2 offset:1568
	v_fmac_f64_e32 v[184:185], v[176:177], v[170:171]
	v_fma_f64 v[170:171], v[174:175], v[170:171], -v[172:173]
	s_wait_loadcnt_dscnt 0x900
	v_mul_f64_e32 v[176:177], v[166:167], v[10:11]
	v_mul_f64_e32 v[10:11], v[168:169], v[10:11]
	v_add_f64_e32 v[174:175], v[178:179], v[180:181]
	v_fmac_f64_e32 v[182:183], v[6:7], v[154:155]
	v_add_f64_e32 v[172:173], v[188:189], v[186:187]
	v_fma_f64 v[178:179], v[4:5], v[154:155], -v[156:157]
	ds_load_b128 v[4:7], v2 offset:1584
	ds_load_b128 v[154:157], v2 offset:1600
	v_fmac_f64_e32 v[176:177], v[168:169], v[8:9]
	v_fma_f64 v[8:9], v[166:167], v[8:9], -v[10:11]
	v_add_f64_e32 v[170:171], v[172:173], v[170:171]
	v_add_f64_e32 v[172:173], v[174:175], v[184:185]
	s_wait_loadcnt_dscnt 0x801
	v_mul_f64_e32 v[174:175], v[4:5], v[14:15]
	v_mul_f64_e32 v[14:15], v[6:7], v[14:15]
	s_wait_loadcnt_dscnt 0x700
	v_mul_f64_e32 v[168:169], v[154:155], v[128:129]
	v_mul_f64_e32 v[128:129], v[156:157], v[128:129]
	v_add_f64_e32 v[10:11], v[170:171], v[178:179]
	v_add_f64_e32 v[166:167], v[172:173], v[182:183]
	v_fmac_f64_e32 v[174:175], v[6:7], v[12:13]
	v_fma_f64 v[12:13], v[4:5], v[12:13], -v[14:15]
	v_fmac_f64_e32 v[168:169], v[156:157], v[126:127]
	v_fma_f64 v[126:127], v[154:155], v[126:127], -v[128:129]
	v_add_f64_e32 v[14:15], v[10:11], v[8:9]
	v_add_f64_e32 v[166:167], v[166:167], v[176:177]
	ds_load_b128 v[4:7], v2 offset:1616
	ds_load_b128 v[8:11], v2 offset:1632
	s_wait_loadcnt_dscnt 0x601
	v_mul_f64_e32 v[170:171], v[4:5], v[132:133]
	v_mul_f64_e32 v[132:133], v[6:7], v[132:133]
	s_wait_loadcnt_dscnt 0x500
	v_mul_f64_e32 v[128:129], v[8:9], v[136:137]
	v_mul_f64_e32 v[136:137], v[10:11], v[136:137]
	v_add_f64_e32 v[12:13], v[14:15], v[12:13]
	v_add_f64_e32 v[14:15], v[166:167], v[174:175]
	v_fmac_f64_e32 v[170:171], v[6:7], v[130:131]
	v_fma_f64 v[130:131], v[4:5], v[130:131], -v[132:133]
	v_fmac_f64_e32 v[128:129], v[10:11], v[134:135]
	v_fma_f64 v[8:9], v[8:9], v[134:135], -v[136:137]
	v_add_f64_e32 v[126:127], v[12:13], v[126:127]
	v_add_f64_e32 v[132:133], v[14:15], v[168:169]
	ds_load_b128 v[4:7], v2 offset:1648
	ds_load_b128 v[12:15], v2 offset:1664
	s_wait_loadcnt_dscnt 0x401
	v_mul_f64_e32 v[154:155], v[4:5], v[140:141]
	v_mul_f64_e32 v[140:141], v[6:7], v[140:141]
	v_add_f64_e32 v[10:11], v[126:127], v[130:131]
	v_add_f64_e32 v[126:127], v[132:133], v[170:171]
	s_wait_loadcnt_dscnt 0x300
	v_mul_f64_e32 v[130:131], v[12:13], v[144:145]
	v_mul_f64_e32 v[132:133], v[14:15], v[144:145]
	v_fmac_f64_e32 v[154:155], v[6:7], v[138:139]
	v_fma_f64 v[134:135], v[4:5], v[138:139], -v[140:141]
	v_add_f64_e32 v[136:137], v[10:11], v[8:9]
	v_add_f64_e32 v[126:127], v[126:127], v[128:129]
	ds_load_b128 v[4:7], v2 offset:1680
	ds_load_b128 v[8:11], v2 offset:1696
	v_fmac_f64_e32 v[130:131], v[14:15], v[142:143]
	v_fma_f64 v[12:13], v[12:13], v[142:143], -v[132:133]
	s_wait_loadcnt_dscnt 0x201
	v_mul_f64_e32 v[128:129], v[4:5], v[148:149]
	v_mul_f64_e32 v[138:139], v[6:7], v[148:149]
	s_wait_loadcnt_dscnt 0x100
	v_mul_f64_e32 v[132:133], v[8:9], v[152:153]
	v_add_f64_e32 v[14:15], v[136:137], v[134:135]
	v_add_f64_e32 v[126:127], v[126:127], v[154:155]
	v_mul_f64_e32 v[134:135], v[10:11], v[152:153]
	v_fmac_f64_e32 v[128:129], v[6:7], v[146:147]
	v_fma_f64 v[136:137], v[4:5], v[146:147], -v[138:139]
	ds_load_b128 v[4:7], v2 offset:1712
	v_fmac_f64_e32 v[132:133], v[10:11], v[150:151]
	v_add_f64_e32 v[12:13], v[14:15], v[12:13]
	v_add_f64_e32 v[14:15], v[126:127], v[130:131]
	v_fma_f64 v[8:9], v[8:9], v[150:151], -v[134:135]
	s_wait_loadcnt_dscnt 0x0
	v_mul_f64_e32 v[126:127], v[4:5], v[160:161]
	v_mul_f64_e32 v[130:131], v[6:7], v[160:161]
	v_add_f64_e32 v[10:11], v[12:13], v[136:137]
	v_add_f64_e32 v[12:13], v[14:15], v[128:129]
	s_delay_alu instid0(VALU_DEP_4) | instskip(NEXT) | instid1(VALU_DEP_4)
	v_fmac_f64_e32 v[126:127], v[6:7], v[158:159]
	v_fma_f64 v[4:5], v[4:5], v[158:159], -v[130:131]
	s_delay_alu instid0(VALU_DEP_4) | instskip(NEXT) | instid1(VALU_DEP_4)
	v_add_f64_e32 v[6:7], v[10:11], v[8:9]
	v_add_f64_e32 v[8:9], v[12:13], v[132:133]
	s_delay_alu instid0(VALU_DEP_2) | instskip(NEXT) | instid1(VALU_DEP_2)
	v_add_f64_e32 v[4:5], v[6:7], v[4:5]
	v_add_f64_e32 v[6:7], v[8:9], v[126:127]
	s_delay_alu instid0(VALU_DEP_2) | instskip(NEXT) | instid1(VALU_DEP_2)
	v_add_f64_e64 v[4:5], v[162:163], -v[4:5]
	v_add_f64_e64 v[6:7], v[164:165], -v[6:7]
	scratch_store_b128 off, v[4:7], off offset:288
	s_wait_xcnt 0x0
	v_cmpx_lt_u32_e32 17, v1
	s_cbranch_execz .LBB53_303
; %bb.302:
	scratch_load_b128 v[6:9], off, s63
	v_dual_mov_b32 v3, v2 :: v_dual_mov_b32 v4, v2
	v_mov_b32_e32 v5, v2
	scratch_store_b128 off, v[2:5], off offset:272
	s_wait_loadcnt 0x0
	ds_store_b128 v124, v[6:9]
.LBB53_303:
	s_wait_xcnt 0x0
	s_or_b32 exec_lo, exec_lo, s2
	s_wait_storecnt_dscnt 0x0
	s_barrier_signal -1
	s_barrier_wait -1
	s_clause 0x9
	scratch_load_b128 v[4:7], off, off offset:288
	scratch_load_b128 v[8:11], off, off offset:304
	;; [unrolled: 1-line block ×10, first 2 shown]
	ds_load_b128 v[154:157], v2 offset:1152
	ds_load_b128 v[162:165], v2 offset:1168
	s_clause 0x2
	scratch_load_b128 v[158:161], off, off offset:448
	scratch_load_b128 v[166:169], off, off offset:272
	;; [unrolled: 1-line block ×3, first 2 shown]
	s_mov_b32 s2, exec_lo
	s_wait_loadcnt_dscnt 0xc01
	v_mul_f64_e32 v[174:175], v[156:157], v[6:7]
	v_mul_f64_e32 v[178:179], v[154:155], v[6:7]
	s_wait_loadcnt_dscnt 0xb00
	v_mul_f64_e32 v[180:181], v[162:163], v[10:11]
	v_mul_f64_e32 v[10:11], v[164:165], v[10:11]
	s_delay_alu instid0(VALU_DEP_4) | instskip(NEXT) | instid1(VALU_DEP_4)
	v_fma_f64 v[182:183], v[154:155], v[4:5], -v[174:175]
	v_fmac_f64_e32 v[178:179], v[156:157], v[4:5]
	ds_load_b128 v[4:7], v2 offset:1184
	ds_load_b128 v[154:157], v2 offset:1200
	scratch_load_b128 v[174:177], off, off offset:480
	v_fmac_f64_e32 v[180:181], v[164:165], v[8:9]
	v_fma_f64 v[162:163], v[162:163], v[8:9], -v[10:11]
	scratch_load_b128 v[8:11], off, off offset:496
	s_wait_loadcnt_dscnt 0xc01
	v_mul_f64_e32 v[184:185], v[4:5], v[14:15]
	v_mul_f64_e32 v[14:15], v[6:7], v[14:15]
	v_add_f64_e32 v[164:165], 0, v[182:183]
	v_add_f64_e32 v[178:179], 0, v[178:179]
	s_wait_loadcnt_dscnt 0xb00
	v_mul_f64_e32 v[182:183], v[154:155], v[128:129]
	v_mul_f64_e32 v[128:129], v[156:157], v[128:129]
	v_fmac_f64_e32 v[184:185], v[6:7], v[12:13]
	v_fma_f64 v[186:187], v[4:5], v[12:13], -v[14:15]
	ds_load_b128 v[4:7], v2 offset:1216
	ds_load_b128 v[12:15], v2 offset:1232
	v_add_f64_e32 v[188:189], v[164:165], v[162:163]
	v_add_f64_e32 v[178:179], v[178:179], v[180:181]
	scratch_load_b128 v[162:165], off, off offset:512
	v_fmac_f64_e32 v[182:183], v[156:157], v[126:127]
	v_fma_f64 v[154:155], v[154:155], v[126:127], -v[128:129]
	scratch_load_b128 v[126:129], off, off offset:528
	s_wait_loadcnt_dscnt 0xc01
	v_mul_f64_e32 v[180:181], v[4:5], v[132:133]
	v_mul_f64_e32 v[132:133], v[6:7], v[132:133]
	v_add_f64_e32 v[156:157], v[188:189], v[186:187]
	v_add_f64_e32 v[178:179], v[178:179], v[184:185]
	s_wait_loadcnt_dscnt 0xb00
	v_mul_f64_e32 v[184:185], v[12:13], v[136:137]
	v_mul_f64_e32 v[136:137], v[14:15], v[136:137]
	v_fmac_f64_e32 v[180:181], v[6:7], v[130:131]
	v_fma_f64 v[186:187], v[4:5], v[130:131], -v[132:133]
	ds_load_b128 v[4:7], v2 offset:1248
	ds_load_b128 v[130:133], v2 offset:1264
	v_add_f64_e32 v[188:189], v[156:157], v[154:155]
	v_add_f64_e32 v[178:179], v[178:179], v[182:183]
	scratch_load_b128 v[154:157], off, off offset:544
	s_wait_loadcnt_dscnt 0xb01
	v_mul_f64_e32 v[182:183], v[4:5], v[140:141]
	v_mul_f64_e32 v[140:141], v[6:7], v[140:141]
	v_fmac_f64_e32 v[184:185], v[14:15], v[134:135]
	v_fma_f64 v[134:135], v[12:13], v[134:135], -v[136:137]
	scratch_load_b128 v[12:15], off, off offset:560
	v_add_f64_e32 v[136:137], v[188:189], v[186:187]
	v_add_f64_e32 v[178:179], v[178:179], v[180:181]
	s_wait_loadcnt_dscnt 0xb00
	v_mul_f64_e32 v[180:181], v[130:131], v[144:145]
	v_mul_f64_e32 v[144:145], v[132:133], v[144:145]
	v_fmac_f64_e32 v[182:183], v[6:7], v[138:139]
	v_fma_f64 v[186:187], v[4:5], v[138:139], -v[140:141]
	v_add_f64_e32 v[188:189], v[136:137], v[134:135]
	v_add_f64_e32 v[178:179], v[178:179], v[184:185]
	ds_load_b128 v[4:7], v2 offset:1280
	ds_load_b128 v[134:137], v2 offset:1296
	scratch_load_b128 v[138:141], off, off offset:576
	v_fmac_f64_e32 v[180:181], v[132:133], v[142:143]
	v_fma_f64 v[142:143], v[130:131], v[142:143], -v[144:145]
	scratch_load_b128 v[130:133], off, off offset:592
	s_wait_loadcnt_dscnt 0xc01
	v_mul_f64_e32 v[184:185], v[4:5], v[148:149]
	v_mul_f64_e32 v[148:149], v[6:7], v[148:149]
	v_add_f64_e32 v[144:145], v[188:189], v[186:187]
	v_add_f64_e32 v[178:179], v[178:179], v[182:183]
	s_wait_loadcnt_dscnt 0xb00
	v_mul_f64_e32 v[182:183], v[134:135], v[152:153]
	v_mul_f64_e32 v[152:153], v[136:137], v[152:153]
	v_fmac_f64_e32 v[184:185], v[6:7], v[146:147]
	v_fma_f64 v[186:187], v[4:5], v[146:147], -v[148:149]
	v_add_f64_e32 v[188:189], v[144:145], v[142:143]
	v_add_f64_e32 v[178:179], v[178:179], v[180:181]
	ds_load_b128 v[4:7], v2 offset:1312
	ds_load_b128 v[142:145], v2 offset:1328
	scratch_load_b128 v[146:149], off, off offset:608
	v_fmac_f64_e32 v[182:183], v[136:137], v[150:151]
	v_fma_f64 v[150:151], v[134:135], v[150:151], -v[152:153]
	scratch_load_b128 v[134:137], off, off offset:624
	s_wait_loadcnt_dscnt 0xc01
	v_mul_f64_e32 v[180:181], v[4:5], v[160:161]
	v_mul_f64_e32 v[160:161], v[6:7], v[160:161]
	v_add_f64_e32 v[152:153], v[188:189], v[186:187]
	v_add_f64_e32 v[178:179], v[178:179], v[184:185]
	s_wait_loadcnt_dscnt 0xa00
	v_mul_f64_e32 v[184:185], v[142:143], v[172:173]
	v_mul_f64_e32 v[172:173], v[144:145], v[172:173]
	v_fmac_f64_e32 v[180:181], v[6:7], v[158:159]
	v_fma_f64 v[186:187], v[4:5], v[158:159], -v[160:161]
	v_add_f64_e32 v[188:189], v[152:153], v[150:151]
	v_add_f64_e32 v[178:179], v[178:179], v[182:183]
	ds_load_b128 v[4:7], v2 offset:1344
	ds_load_b128 v[150:153], v2 offset:1360
	scratch_load_b128 v[158:161], off, off offset:640
	v_fmac_f64_e32 v[184:185], v[144:145], v[170:171]
	v_fma_f64 v[170:171], v[142:143], v[170:171], -v[172:173]
	scratch_load_b128 v[142:145], off, off offset:656
	s_wait_loadcnt_dscnt 0xb01
	v_mul_f64_e32 v[182:183], v[4:5], v[176:177]
	v_mul_f64_e32 v[176:177], v[6:7], v[176:177]
	v_add_f64_e32 v[172:173], v[188:189], v[186:187]
	v_add_f64_e32 v[178:179], v[178:179], v[180:181]
	s_wait_loadcnt_dscnt 0xa00
	v_mul_f64_e32 v[180:181], v[150:151], v[10:11]
	v_mul_f64_e32 v[10:11], v[152:153], v[10:11]
	v_fmac_f64_e32 v[182:183], v[6:7], v[174:175]
	v_fma_f64 v[186:187], v[4:5], v[174:175], -v[176:177]
	v_add_f64_e32 v[188:189], v[172:173], v[170:171]
	v_add_f64_e32 v[178:179], v[178:179], v[184:185]
	ds_load_b128 v[4:7], v2 offset:1376
	ds_load_b128 v[170:173], v2 offset:1392
	scratch_load_b128 v[174:177], off, off offset:672
	v_fmac_f64_e32 v[180:181], v[152:153], v[8:9]
	v_fma_f64 v[150:151], v[150:151], v[8:9], -v[10:11]
	scratch_load_b128 v[8:11], off, off offset:688
	s_wait_loadcnt_dscnt 0xb01
	v_mul_f64_e32 v[184:185], v[4:5], v[164:165]
	v_mul_f64_e32 v[164:165], v[6:7], v[164:165]
	v_add_f64_e32 v[152:153], v[188:189], v[186:187]
	v_add_f64_e32 v[178:179], v[178:179], v[182:183]
	s_wait_loadcnt_dscnt 0xa00
	v_mul_f64_e32 v[182:183], v[170:171], v[128:129]
	v_mul_f64_e32 v[128:129], v[172:173], v[128:129]
	v_fmac_f64_e32 v[184:185], v[6:7], v[162:163]
	v_fma_f64 v[186:187], v[4:5], v[162:163], -v[164:165]
	v_add_f64_e32 v[188:189], v[152:153], v[150:151]
	v_add_f64_e32 v[178:179], v[178:179], v[180:181]
	ds_load_b128 v[4:7], v2 offset:1408
	ds_load_b128 v[150:153], v2 offset:1424
	scratch_load_b128 v[162:165], off, off offset:704
	v_fmac_f64_e32 v[182:183], v[172:173], v[126:127]
	v_fma_f64 v[170:171], v[170:171], v[126:127], -v[128:129]
	scratch_load_b128 v[126:129], off, off offset:720
	s_wait_loadcnt_dscnt 0xb01
	v_mul_f64_e32 v[180:181], v[4:5], v[156:157]
	v_mul_f64_e32 v[156:157], v[6:7], v[156:157]
	v_add_f64_e32 v[172:173], v[188:189], v[186:187]
	v_add_f64_e32 v[178:179], v[178:179], v[184:185]
	s_wait_loadcnt_dscnt 0xa00
	v_mul_f64_e32 v[184:185], v[150:151], v[14:15]
	v_mul_f64_e32 v[14:15], v[152:153], v[14:15]
	v_fmac_f64_e32 v[180:181], v[6:7], v[154:155]
	v_fma_f64 v[186:187], v[4:5], v[154:155], -v[156:157]
	ds_load_b128 v[4:7], v2 offset:1440
	ds_load_b128 v[154:157], v2 offset:1456
	v_add_f64_e32 v[188:189], v[172:173], v[170:171]
	v_add_f64_e32 v[178:179], v[178:179], v[182:183]
	scratch_load_b128 v[170:173], off, off offset:736
	v_fmac_f64_e32 v[184:185], v[152:153], v[12:13]
	v_fma_f64 v[150:151], v[150:151], v[12:13], -v[14:15]
	scratch_load_b128 v[12:15], off, off offset:752
	s_wait_loadcnt_dscnt 0xb01
	v_mul_f64_e32 v[182:183], v[4:5], v[140:141]
	v_mul_f64_e32 v[140:141], v[6:7], v[140:141]
	v_add_f64_e32 v[152:153], v[188:189], v[186:187]
	v_add_f64_e32 v[178:179], v[178:179], v[180:181]
	s_wait_loadcnt_dscnt 0xa00
	v_mul_f64_e32 v[180:181], v[154:155], v[132:133]
	v_mul_f64_e32 v[132:133], v[156:157], v[132:133]
	v_fmac_f64_e32 v[182:183], v[6:7], v[138:139]
	v_fma_f64 v[186:187], v[4:5], v[138:139], -v[140:141]
	ds_load_b128 v[4:7], v2 offset:1472
	ds_load_b128 v[138:141], v2 offset:1488
	v_add_f64_e32 v[188:189], v[152:153], v[150:151]
	v_add_f64_e32 v[178:179], v[178:179], v[184:185]
	scratch_load_b128 v[150:153], off, off offset:768
	s_wait_loadcnt_dscnt 0xa01
	v_mul_f64_e32 v[184:185], v[4:5], v[148:149]
	v_mul_f64_e32 v[148:149], v[6:7], v[148:149]
	v_fmac_f64_e32 v[180:181], v[156:157], v[130:131]
	v_fma_f64 v[154:155], v[154:155], v[130:131], -v[132:133]
	scratch_load_b128 v[130:133], off, off offset:784
	v_add_f64_e32 v[156:157], v[188:189], v[186:187]
	v_add_f64_e32 v[178:179], v[178:179], v[182:183]
	s_wait_loadcnt_dscnt 0xa00
	v_mul_f64_e32 v[182:183], v[138:139], v[136:137]
	v_mul_f64_e32 v[136:137], v[140:141], v[136:137]
	v_fmac_f64_e32 v[184:185], v[6:7], v[146:147]
	v_fma_f64 v[186:187], v[4:5], v[146:147], -v[148:149]
	ds_load_b128 v[4:7], v2 offset:1504
	ds_load_b128 v[146:149], v2 offset:1520
	v_add_f64_e32 v[188:189], v[156:157], v[154:155]
	v_add_f64_e32 v[178:179], v[178:179], v[180:181]
	scratch_load_b128 v[154:157], off, off offset:800
	s_wait_loadcnt_dscnt 0xa01
	v_mul_f64_e32 v[180:181], v[4:5], v[160:161]
	v_mul_f64_e32 v[160:161], v[6:7], v[160:161]
	v_fmac_f64_e32 v[182:183], v[140:141], v[134:135]
	v_fma_f64 v[138:139], v[138:139], v[134:135], -v[136:137]
	scratch_load_b128 v[134:137], off, off offset:816
	v_add_f64_e32 v[140:141], v[188:189], v[186:187]
	v_add_f64_e32 v[178:179], v[178:179], v[184:185]
	s_wait_loadcnt_dscnt 0xa00
	v_mul_f64_e32 v[184:185], v[146:147], v[144:145]
	v_mul_f64_e32 v[144:145], v[148:149], v[144:145]
	v_fmac_f64_e32 v[180:181], v[6:7], v[158:159]
	v_fma_f64 v[186:187], v[4:5], v[158:159], -v[160:161]
	v_add_f64_e32 v[188:189], v[140:141], v[138:139]
	v_add_f64_e32 v[178:179], v[178:179], v[182:183]
	ds_load_b128 v[4:7], v2 offset:1536
	ds_load_b128 v[138:141], v2 offset:1552
	scratch_load_b128 v[158:161], off, off offset:832
	v_fmac_f64_e32 v[184:185], v[148:149], v[142:143]
	v_fma_f64 v[146:147], v[146:147], v[142:143], -v[144:145]
	scratch_load_b128 v[142:145], off, off offset:848
	s_wait_loadcnt_dscnt 0xb01
	v_mul_f64_e32 v[182:183], v[4:5], v[176:177]
	v_mul_f64_e32 v[176:177], v[6:7], v[176:177]
	v_add_f64_e32 v[148:149], v[188:189], v[186:187]
	v_add_f64_e32 v[178:179], v[178:179], v[180:181]
	s_wait_loadcnt_dscnt 0xa00
	v_mul_f64_e32 v[180:181], v[138:139], v[10:11]
	v_mul_f64_e32 v[10:11], v[140:141], v[10:11]
	v_fmac_f64_e32 v[182:183], v[6:7], v[174:175]
	v_fma_f64 v[174:175], v[4:5], v[174:175], -v[176:177]
	v_add_f64_e32 v[176:177], v[148:149], v[146:147]
	v_add_f64_e32 v[178:179], v[178:179], v[184:185]
	ds_load_b128 v[4:7], v2 offset:1568
	ds_load_b128 v[146:149], v2 offset:1584
	v_fmac_f64_e32 v[180:181], v[140:141], v[8:9]
	v_fma_f64 v[8:9], v[138:139], v[8:9], -v[10:11]
	s_wait_loadcnt_dscnt 0x901
	v_mul_f64_e32 v[184:185], v[4:5], v[164:165]
	v_mul_f64_e32 v[164:165], v[6:7], v[164:165]
	s_wait_loadcnt_dscnt 0x800
	v_mul_f64_e32 v[140:141], v[146:147], v[128:129]
	v_mul_f64_e32 v[128:129], v[148:149], v[128:129]
	v_add_f64_e32 v[10:11], v[176:177], v[174:175]
	v_add_f64_e32 v[138:139], v[178:179], v[182:183]
	v_fmac_f64_e32 v[184:185], v[6:7], v[162:163]
	v_fma_f64 v[162:163], v[4:5], v[162:163], -v[164:165]
	v_fmac_f64_e32 v[140:141], v[148:149], v[126:127]
	v_fma_f64 v[126:127], v[146:147], v[126:127], -v[128:129]
	v_add_f64_e32 v[164:165], v[10:11], v[8:9]
	v_add_f64_e32 v[138:139], v[138:139], v[180:181]
	ds_load_b128 v[4:7], v2 offset:1600
	ds_load_b128 v[8:11], v2 offset:1616
	s_wait_loadcnt_dscnt 0x701
	v_mul_f64_e32 v[174:175], v[4:5], v[172:173]
	v_mul_f64_e32 v[172:173], v[6:7], v[172:173]
	s_wait_loadcnt_dscnt 0x600
	v_mul_f64_e32 v[146:147], v[8:9], v[14:15]
	v_mul_f64_e32 v[14:15], v[10:11], v[14:15]
	v_add_f64_e32 v[128:129], v[164:165], v[162:163]
	v_add_f64_e32 v[138:139], v[138:139], v[184:185]
	v_fmac_f64_e32 v[174:175], v[6:7], v[170:171]
	v_fma_f64 v[148:149], v[4:5], v[170:171], -v[172:173]
	v_fmac_f64_e32 v[146:147], v[10:11], v[12:13]
	v_fma_f64 v[8:9], v[8:9], v[12:13], -v[14:15]
	v_add_f64_e32 v[162:163], v[128:129], v[126:127]
	v_add_f64_e32 v[138:139], v[138:139], v[140:141]
	ds_load_b128 v[4:7], v2 offset:1632
	ds_load_b128 v[126:129], v2 offset:1648
	;; [unrolled: 16-line block ×4, first 2 shown]
	s_wait_loadcnt_dscnt 0x101
	v_mul_f64_e32 v[2:3], v[4:5], v[160:161]
	v_mul_f64_e32 v[138:139], v[6:7], v[160:161]
	s_wait_loadcnt_dscnt 0x0
	v_mul_f64_e32 v[132:133], v[14:15], v[144:145]
	v_add_f64_e32 v[10:11], v[126:127], v[136:137]
	v_add_f64_e32 v[126:127], v[128:129], v[146:147]
	v_mul_f64_e32 v[128:129], v[12:13], v[144:145]
	v_fmac_f64_e32 v[2:3], v[6:7], v[158:159]
	v_fma_f64 v[4:5], v[4:5], v[158:159], -v[138:139]
	v_add_f64_e32 v[6:7], v[10:11], v[8:9]
	v_add_f64_e32 v[8:9], v[126:127], v[130:131]
	v_fmac_f64_e32 v[128:129], v[14:15], v[142:143]
	v_fma_f64 v[10:11], v[12:13], v[142:143], -v[132:133]
	s_delay_alu instid0(VALU_DEP_4) | instskip(NEXT) | instid1(VALU_DEP_4)
	v_add_f64_e32 v[4:5], v[6:7], v[4:5]
	v_add_f64_e32 v[2:3], v[8:9], v[2:3]
	s_delay_alu instid0(VALU_DEP_2) | instskip(NEXT) | instid1(VALU_DEP_2)
	v_add_f64_e32 v[4:5], v[4:5], v[10:11]
	v_add_f64_e32 v[6:7], v[2:3], v[128:129]
	s_delay_alu instid0(VALU_DEP_2) | instskip(NEXT) | instid1(VALU_DEP_2)
	v_add_f64_e64 v[2:3], v[166:167], -v[4:5]
	v_add_f64_e64 v[4:5], v[168:169], -v[6:7]
	scratch_store_b128 off, v[2:5], off offset:272
	s_wait_xcnt 0x0
	v_cmpx_lt_u32_e32 16, v1
	s_cbranch_execz .LBB53_305
; %bb.304:
	scratch_load_b128 v[2:5], off, s61
	v_mov_b32_e32 v6, 0
	s_delay_alu instid0(VALU_DEP_1)
	v_dual_mov_b32 v7, v6 :: v_dual_mov_b32 v8, v6
	v_mov_b32_e32 v9, v6
	scratch_store_b128 off, v[6:9], off offset:256
	s_wait_loadcnt 0x0
	ds_store_b128 v124, v[2:5]
.LBB53_305:
	s_wait_xcnt 0x0
	s_or_b32 exec_lo, exec_lo, s2
	s_wait_storecnt_dscnt 0x0
	s_barrier_signal -1
	s_barrier_wait -1
	s_clause 0x9
	scratch_load_b128 v[4:7], off, off offset:272
	scratch_load_b128 v[8:11], off, off offset:288
	;; [unrolled: 1-line block ×10, first 2 shown]
	v_mov_b32_e32 v2, 0
	s_mov_b32 s2, exec_lo
	ds_load_b128 v[154:157], v2 offset:1136
	s_clause 0x2
	scratch_load_b128 v[158:161], off, off offset:432
	scratch_load_b128 v[162:165], off, off offset:256
	;; [unrolled: 1-line block ×3, first 2 shown]
	s_wait_loadcnt_dscnt 0xc00
	v_mul_f64_e32 v[174:175], v[156:157], v[6:7]
	v_mul_f64_e32 v[178:179], v[154:155], v[6:7]
	ds_load_b128 v[166:169], v2 offset:1152
	v_fma_f64 v[182:183], v[154:155], v[4:5], -v[174:175]
	v_fmac_f64_e32 v[178:179], v[156:157], v[4:5]
	ds_load_b128 v[4:7], v2 offset:1168
	s_wait_loadcnt_dscnt 0xb01
	v_mul_f64_e32 v[180:181], v[166:167], v[10:11]
	v_mul_f64_e32 v[10:11], v[168:169], v[10:11]
	scratch_load_b128 v[154:157], off, off offset:464
	ds_load_b128 v[174:177], v2 offset:1184
	s_wait_loadcnt_dscnt 0xb01
	v_mul_f64_e32 v[184:185], v[4:5], v[14:15]
	v_mul_f64_e32 v[14:15], v[6:7], v[14:15]
	v_add_f64_e32 v[178:179], 0, v[178:179]
	v_fmac_f64_e32 v[180:181], v[168:169], v[8:9]
	v_fma_f64 v[166:167], v[166:167], v[8:9], -v[10:11]
	v_add_f64_e32 v[168:169], 0, v[182:183]
	scratch_load_b128 v[8:11], off, off offset:480
	v_fmac_f64_e32 v[184:185], v[6:7], v[12:13]
	v_fma_f64 v[186:187], v[4:5], v[12:13], -v[14:15]
	ds_load_b128 v[4:7], v2 offset:1200
	s_wait_loadcnt_dscnt 0xb01
	v_mul_f64_e32 v[182:183], v[174:175], v[128:129]
	v_mul_f64_e32 v[128:129], v[176:177], v[128:129]
	scratch_load_b128 v[12:15], off, off offset:496
	v_add_f64_e32 v[178:179], v[178:179], v[180:181]
	v_add_f64_e32 v[188:189], v[168:169], v[166:167]
	ds_load_b128 v[166:169], v2 offset:1216
	s_wait_loadcnt_dscnt 0xb01
	v_mul_f64_e32 v[180:181], v[4:5], v[132:133]
	v_mul_f64_e32 v[132:133], v[6:7], v[132:133]
	v_fmac_f64_e32 v[182:183], v[176:177], v[126:127]
	v_fma_f64 v[174:175], v[174:175], v[126:127], -v[128:129]
	scratch_load_b128 v[126:129], off, off offset:512
	v_add_f64_e32 v[178:179], v[178:179], v[184:185]
	v_add_f64_e32 v[176:177], v[188:189], v[186:187]
	v_fmac_f64_e32 v[180:181], v[6:7], v[130:131]
	v_fma_f64 v[186:187], v[4:5], v[130:131], -v[132:133]
	ds_load_b128 v[4:7], v2 offset:1232
	s_wait_loadcnt_dscnt 0xb01
	v_mul_f64_e32 v[184:185], v[166:167], v[136:137]
	v_mul_f64_e32 v[136:137], v[168:169], v[136:137]
	scratch_load_b128 v[130:133], off, off offset:528
	v_add_f64_e32 v[178:179], v[178:179], v[182:183]
	s_wait_loadcnt_dscnt 0xb00
	v_mul_f64_e32 v[182:183], v[4:5], v[140:141]
	v_add_f64_e32 v[188:189], v[176:177], v[174:175]
	v_mul_f64_e32 v[140:141], v[6:7], v[140:141]
	ds_load_b128 v[174:177], v2 offset:1248
	v_fmac_f64_e32 v[184:185], v[168:169], v[134:135]
	v_fma_f64 v[166:167], v[166:167], v[134:135], -v[136:137]
	scratch_load_b128 v[134:137], off, off offset:544
	v_add_f64_e32 v[178:179], v[178:179], v[180:181]
	v_fmac_f64_e32 v[182:183], v[6:7], v[138:139]
	v_add_f64_e32 v[168:169], v[188:189], v[186:187]
	v_fma_f64 v[186:187], v[4:5], v[138:139], -v[140:141]
	ds_load_b128 v[4:7], v2 offset:1264
	s_wait_loadcnt_dscnt 0xb01
	v_mul_f64_e32 v[180:181], v[174:175], v[144:145]
	v_mul_f64_e32 v[144:145], v[176:177], v[144:145]
	scratch_load_b128 v[138:141], off, off offset:560
	v_add_f64_e32 v[178:179], v[178:179], v[184:185]
	s_wait_loadcnt_dscnt 0xb00
	v_mul_f64_e32 v[184:185], v[4:5], v[148:149]
	v_add_f64_e32 v[188:189], v[168:169], v[166:167]
	v_mul_f64_e32 v[148:149], v[6:7], v[148:149]
	ds_load_b128 v[166:169], v2 offset:1280
	v_fmac_f64_e32 v[180:181], v[176:177], v[142:143]
	v_fma_f64 v[174:175], v[174:175], v[142:143], -v[144:145]
	scratch_load_b128 v[142:145], off, off offset:576
	v_add_f64_e32 v[178:179], v[178:179], v[182:183]
	v_fmac_f64_e32 v[184:185], v[6:7], v[146:147]
	v_add_f64_e32 v[176:177], v[188:189], v[186:187]
	;; [unrolled: 18-line block ×3, first 2 shown]
	v_fma_f64 v[186:187], v[4:5], v[158:159], -v[160:161]
	ds_load_b128 v[4:7], v2 offset:1328
	s_wait_loadcnt_dscnt 0xa01
	v_mul_f64_e32 v[184:185], v[174:175], v[172:173]
	v_mul_f64_e32 v[172:173], v[176:177], v[172:173]
	scratch_load_b128 v[158:161], off, off offset:624
	v_add_f64_e32 v[178:179], v[178:179], v[182:183]
	v_add_f64_e32 v[188:189], v[168:169], v[166:167]
	s_wait_loadcnt_dscnt 0xa00
	v_mul_f64_e32 v[182:183], v[4:5], v[156:157]
	v_mul_f64_e32 v[156:157], v[6:7], v[156:157]
	v_fmac_f64_e32 v[184:185], v[176:177], v[170:171]
	v_fma_f64 v[174:175], v[174:175], v[170:171], -v[172:173]
	ds_load_b128 v[166:169], v2 offset:1344
	scratch_load_b128 v[170:173], off, off offset:640
	v_add_f64_e32 v[178:179], v[178:179], v[180:181]
	v_add_f64_e32 v[176:177], v[188:189], v[186:187]
	v_fmac_f64_e32 v[182:183], v[6:7], v[154:155]
	v_fma_f64 v[186:187], v[4:5], v[154:155], -v[156:157]
	ds_load_b128 v[4:7], v2 offset:1360
	s_wait_loadcnt_dscnt 0xa01
	v_mul_f64_e32 v[180:181], v[166:167], v[10:11]
	v_mul_f64_e32 v[10:11], v[168:169], v[10:11]
	scratch_load_b128 v[154:157], off, off offset:656
	v_add_f64_e32 v[178:179], v[178:179], v[184:185]
	s_wait_loadcnt_dscnt 0xa00
	v_mul_f64_e32 v[184:185], v[4:5], v[14:15]
	v_add_f64_e32 v[188:189], v[176:177], v[174:175]
	v_mul_f64_e32 v[14:15], v[6:7], v[14:15]
	ds_load_b128 v[174:177], v2 offset:1376
	v_fmac_f64_e32 v[180:181], v[168:169], v[8:9]
	v_fma_f64 v[166:167], v[166:167], v[8:9], -v[10:11]
	scratch_load_b128 v[8:11], off, off offset:672
	v_add_f64_e32 v[178:179], v[178:179], v[182:183]
	v_fmac_f64_e32 v[184:185], v[6:7], v[12:13]
	v_add_f64_e32 v[168:169], v[188:189], v[186:187]
	v_fma_f64 v[186:187], v[4:5], v[12:13], -v[14:15]
	ds_load_b128 v[4:7], v2 offset:1392
	s_wait_loadcnt_dscnt 0xa01
	v_mul_f64_e32 v[182:183], v[174:175], v[128:129]
	v_mul_f64_e32 v[128:129], v[176:177], v[128:129]
	scratch_load_b128 v[12:15], off, off offset:688
	v_add_f64_e32 v[178:179], v[178:179], v[180:181]
	s_wait_loadcnt_dscnt 0xa00
	v_mul_f64_e32 v[180:181], v[4:5], v[132:133]
	v_add_f64_e32 v[188:189], v[168:169], v[166:167]
	v_mul_f64_e32 v[132:133], v[6:7], v[132:133]
	ds_load_b128 v[166:169], v2 offset:1408
	v_fmac_f64_e32 v[182:183], v[176:177], v[126:127]
	v_fma_f64 v[174:175], v[174:175], v[126:127], -v[128:129]
	scratch_load_b128 v[126:129], off, off offset:704
	v_add_f64_e32 v[178:179], v[178:179], v[184:185]
	v_fmac_f64_e32 v[180:181], v[6:7], v[130:131]
	v_add_f64_e32 v[176:177], v[188:189], v[186:187]
	;; [unrolled: 18-line block ×6, first 2 shown]
	v_fma_f64 v[186:187], v[4:5], v[154:155], -v[156:157]
	ds_load_b128 v[4:7], v2 offset:1552
	s_wait_loadcnt_dscnt 0xa01
	v_mul_f64_e32 v[180:181], v[166:167], v[10:11]
	v_mul_f64_e32 v[10:11], v[168:169], v[10:11]
	scratch_load_b128 v[154:157], off, off offset:848
	v_add_f64_e32 v[178:179], v[178:179], v[184:185]
	s_wait_loadcnt_dscnt 0xa00
	v_mul_f64_e32 v[184:185], v[4:5], v[14:15]
	v_add_f64_e32 v[188:189], v[176:177], v[174:175]
	v_mul_f64_e32 v[14:15], v[6:7], v[14:15]
	ds_load_b128 v[174:177], v2 offset:1568
	v_fmac_f64_e32 v[180:181], v[168:169], v[8:9]
	v_fma_f64 v[8:9], v[166:167], v[8:9], -v[10:11]
	s_wait_loadcnt_dscnt 0x900
	v_mul_f64_e32 v[168:169], v[174:175], v[128:129]
	v_mul_f64_e32 v[128:129], v[176:177], v[128:129]
	v_add_f64_e32 v[166:167], v[178:179], v[182:183]
	v_fmac_f64_e32 v[184:185], v[6:7], v[12:13]
	v_add_f64_e32 v[10:11], v[188:189], v[186:187]
	v_fma_f64 v[12:13], v[4:5], v[12:13], -v[14:15]
	v_fmac_f64_e32 v[168:169], v[176:177], v[126:127]
	v_fma_f64 v[126:127], v[174:175], v[126:127], -v[128:129]
	v_add_f64_e32 v[166:167], v[166:167], v[180:181]
	v_add_f64_e32 v[14:15], v[10:11], v[8:9]
	ds_load_b128 v[4:7], v2 offset:1584
	ds_load_b128 v[8:11], v2 offset:1600
	s_wait_loadcnt_dscnt 0x801
	v_mul_f64_e32 v[178:179], v[4:5], v[132:133]
	v_mul_f64_e32 v[132:133], v[6:7], v[132:133]
	s_wait_loadcnt_dscnt 0x700
	v_mul_f64_e32 v[128:129], v[8:9], v[136:137]
	v_mul_f64_e32 v[136:137], v[10:11], v[136:137]
	v_add_f64_e32 v[12:13], v[14:15], v[12:13]
	v_add_f64_e32 v[14:15], v[166:167], v[184:185]
	v_fmac_f64_e32 v[178:179], v[6:7], v[130:131]
	v_fma_f64 v[130:131], v[4:5], v[130:131], -v[132:133]
	v_fmac_f64_e32 v[128:129], v[10:11], v[134:135]
	v_fma_f64 v[8:9], v[8:9], v[134:135], -v[136:137]
	v_add_f64_e32 v[126:127], v[12:13], v[126:127]
	v_add_f64_e32 v[132:133], v[14:15], v[168:169]
	ds_load_b128 v[4:7], v2 offset:1616
	ds_load_b128 v[12:15], v2 offset:1632
	s_wait_loadcnt_dscnt 0x601
	v_mul_f64_e32 v[166:167], v[4:5], v[140:141]
	v_mul_f64_e32 v[140:141], v[6:7], v[140:141]
	v_add_f64_e32 v[10:11], v[126:127], v[130:131]
	v_add_f64_e32 v[126:127], v[132:133], v[178:179]
	s_wait_loadcnt_dscnt 0x500
	v_mul_f64_e32 v[130:131], v[12:13], v[144:145]
	v_mul_f64_e32 v[132:133], v[14:15], v[144:145]
	v_fmac_f64_e32 v[166:167], v[6:7], v[138:139]
	v_fma_f64 v[134:135], v[4:5], v[138:139], -v[140:141]
	v_add_f64_e32 v[136:137], v[10:11], v[8:9]
	v_add_f64_e32 v[126:127], v[126:127], v[128:129]
	ds_load_b128 v[4:7], v2 offset:1648
	ds_load_b128 v[8:11], v2 offset:1664
	v_fmac_f64_e32 v[130:131], v[14:15], v[142:143]
	v_fma_f64 v[12:13], v[12:13], v[142:143], -v[132:133]
	s_wait_loadcnt_dscnt 0x401
	v_mul_f64_e32 v[128:129], v[4:5], v[148:149]
	v_mul_f64_e32 v[138:139], v[6:7], v[148:149]
	s_wait_loadcnt_dscnt 0x300
	v_mul_f64_e32 v[132:133], v[8:9], v[152:153]
	v_add_f64_e32 v[14:15], v[136:137], v[134:135]
	v_add_f64_e32 v[126:127], v[126:127], v[166:167]
	v_mul_f64_e32 v[134:135], v[10:11], v[152:153]
	v_fmac_f64_e32 v[128:129], v[6:7], v[146:147]
	v_fma_f64 v[136:137], v[4:5], v[146:147], -v[138:139]
	v_fmac_f64_e32 v[132:133], v[10:11], v[150:151]
	v_add_f64_e32 v[138:139], v[14:15], v[12:13]
	v_add_f64_e32 v[126:127], v[126:127], v[130:131]
	ds_load_b128 v[4:7], v2 offset:1680
	ds_load_b128 v[12:15], v2 offset:1696
	v_fma_f64 v[8:9], v[8:9], v[150:151], -v[134:135]
	s_wait_loadcnt_dscnt 0x201
	v_mul_f64_e32 v[130:131], v[4:5], v[160:161]
	v_mul_f64_e32 v[140:141], v[6:7], v[160:161]
	s_wait_loadcnt_dscnt 0x100
	v_mul_f64_e32 v[134:135], v[14:15], v[172:173]
	v_add_f64_e32 v[10:11], v[138:139], v[136:137]
	v_add_f64_e32 v[126:127], v[126:127], v[128:129]
	v_mul_f64_e32 v[128:129], v[12:13], v[172:173]
	v_fmac_f64_e32 v[130:131], v[6:7], v[158:159]
	v_fma_f64 v[136:137], v[4:5], v[158:159], -v[140:141]
	ds_load_b128 v[4:7], v2 offset:1712
	v_fma_f64 v[12:13], v[12:13], v[170:171], -v[134:135]
	v_add_f64_e32 v[8:9], v[10:11], v[8:9]
	v_add_f64_e32 v[10:11], v[126:127], v[132:133]
	v_fmac_f64_e32 v[128:129], v[14:15], v[170:171]
	s_wait_loadcnt_dscnt 0x0
	v_mul_f64_e32 v[126:127], v[4:5], v[156:157]
	v_mul_f64_e32 v[132:133], v[6:7], v[156:157]
	v_add_f64_e32 v[8:9], v[8:9], v[136:137]
	v_add_f64_e32 v[10:11], v[10:11], v[130:131]
	s_delay_alu instid0(VALU_DEP_4) | instskip(NEXT) | instid1(VALU_DEP_4)
	v_fmac_f64_e32 v[126:127], v[6:7], v[154:155]
	v_fma_f64 v[4:5], v[4:5], v[154:155], -v[132:133]
	s_delay_alu instid0(VALU_DEP_4) | instskip(NEXT) | instid1(VALU_DEP_4)
	v_add_f64_e32 v[6:7], v[8:9], v[12:13]
	v_add_f64_e32 v[8:9], v[10:11], v[128:129]
	s_delay_alu instid0(VALU_DEP_2) | instskip(NEXT) | instid1(VALU_DEP_2)
	v_add_f64_e32 v[4:5], v[6:7], v[4:5]
	v_add_f64_e32 v[6:7], v[8:9], v[126:127]
	s_delay_alu instid0(VALU_DEP_2) | instskip(NEXT) | instid1(VALU_DEP_2)
	v_add_f64_e64 v[4:5], v[162:163], -v[4:5]
	v_add_f64_e64 v[6:7], v[164:165], -v[6:7]
	scratch_store_b128 off, v[4:7], off offset:256
	s_wait_xcnt 0x0
	v_cmpx_lt_u32_e32 15, v1
	s_cbranch_execz .LBB53_307
; %bb.306:
	scratch_load_b128 v[6:9], off, s57
	v_dual_mov_b32 v3, v2 :: v_dual_mov_b32 v4, v2
	v_mov_b32_e32 v5, v2
	scratch_store_b128 off, v[2:5], off offset:240
	s_wait_loadcnt 0x0
	ds_store_b128 v124, v[6:9]
.LBB53_307:
	s_wait_xcnt 0x0
	s_or_b32 exec_lo, exec_lo, s2
	s_wait_storecnt_dscnt 0x0
	s_barrier_signal -1
	s_barrier_wait -1
	s_clause 0x9
	scratch_load_b128 v[4:7], off, off offset:256
	scratch_load_b128 v[8:11], off, off offset:272
	;; [unrolled: 1-line block ×10, first 2 shown]
	ds_load_b128 v[154:157], v2 offset:1120
	ds_load_b128 v[162:165], v2 offset:1136
	s_clause 0x2
	scratch_load_b128 v[158:161], off, off offset:416
	scratch_load_b128 v[166:169], off, off offset:240
	;; [unrolled: 1-line block ×3, first 2 shown]
	s_mov_b32 s2, exec_lo
	s_wait_loadcnt_dscnt 0xc01
	v_mul_f64_e32 v[174:175], v[156:157], v[6:7]
	v_mul_f64_e32 v[178:179], v[154:155], v[6:7]
	s_wait_loadcnt_dscnt 0xb00
	v_mul_f64_e32 v[180:181], v[162:163], v[10:11]
	v_mul_f64_e32 v[10:11], v[164:165], v[10:11]
	s_delay_alu instid0(VALU_DEP_4) | instskip(NEXT) | instid1(VALU_DEP_4)
	v_fma_f64 v[182:183], v[154:155], v[4:5], -v[174:175]
	v_fmac_f64_e32 v[178:179], v[156:157], v[4:5]
	ds_load_b128 v[4:7], v2 offset:1152
	ds_load_b128 v[154:157], v2 offset:1168
	scratch_load_b128 v[174:177], off, off offset:448
	v_fmac_f64_e32 v[180:181], v[164:165], v[8:9]
	v_fma_f64 v[162:163], v[162:163], v[8:9], -v[10:11]
	scratch_load_b128 v[8:11], off, off offset:464
	s_wait_loadcnt_dscnt 0xc01
	v_mul_f64_e32 v[184:185], v[4:5], v[14:15]
	v_mul_f64_e32 v[14:15], v[6:7], v[14:15]
	v_add_f64_e32 v[164:165], 0, v[182:183]
	v_add_f64_e32 v[178:179], 0, v[178:179]
	s_wait_loadcnt_dscnt 0xb00
	v_mul_f64_e32 v[182:183], v[154:155], v[128:129]
	v_mul_f64_e32 v[128:129], v[156:157], v[128:129]
	v_fmac_f64_e32 v[184:185], v[6:7], v[12:13]
	v_fma_f64 v[186:187], v[4:5], v[12:13], -v[14:15]
	ds_load_b128 v[4:7], v2 offset:1184
	ds_load_b128 v[12:15], v2 offset:1200
	v_add_f64_e32 v[188:189], v[164:165], v[162:163]
	v_add_f64_e32 v[178:179], v[178:179], v[180:181]
	scratch_load_b128 v[162:165], off, off offset:480
	v_fmac_f64_e32 v[182:183], v[156:157], v[126:127]
	v_fma_f64 v[154:155], v[154:155], v[126:127], -v[128:129]
	scratch_load_b128 v[126:129], off, off offset:496
	s_wait_loadcnt_dscnt 0xc01
	v_mul_f64_e32 v[180:181], v[4:5], v[132:133]
	v_mul_f64_e32 v[132:133], v[6:7], v[132:133]
	v_add_f64_e32 v[156:157], v[188:189], v[186:187]
	v_add_f64_e32 v[178:179], v[178:179], v[184:185]
	s_wait_loadcnt_dscnt 0xb00
	v_mul_f64_e32 v[184:185], v[12:13], v[136:137]
	v_mul_f64_e32 v[136:137], v[14:15], v[136:137]
	v_fmac_f64_e32 v[180:181], v[6:7], v[130:131]
	v_fma_f64 v[186:187], v[4:5], v[130:131], -v[132:133]
	ds_load_b128 v[4:7], v2 offset:1216
	ds_load_b128 v[130:133], v2 offset:1232
	v_add_f64_e32 v[188:189], v[156:157], v[154:155]
	v_add_f64_e32 v[178:179], v[178:179], v[182:183]
	scratch_load_b128 v[154:157], off, off offset:512
	s_wait_loadcnt_dscnt 0xb01
	v_mul_f64_e32 v[182:183], v[4:5], v[140:141]
	v_mul_f64_e32 v[140:141], v[6:7], v[140:141]
	v_fmac_f64_e32 v[184:185], v[14:15], v[134:135]
	v_fma_f64 v[134:135], v[12:13], v[134:135], -v[136:137]
	scratch_load_b128 v[12:15], off, off offset:528
	v_add_f64_e32 v[136:137], v[188:189], v[186:187]
	v_add_f64_e32 v[178:179], v[178:179], v[180:181]
	s_wait_loadcnt_dscnt 0xb00
	v_mul_f64_e32 v[180:181], v[130:131], v[144:145]
	v_mul_f64_e32 v[144:145], v[132:133], v[144:145]
	v_fmac_f64_e32 v[182:183], v[6:7], v[138:139]
	v_fma_f64 v[186:187], v[4:5], v[138:139], -v[140:141]
	v_add_f64_e32 v[188:189], v[136:137], v[134:135]
	v_add_f64_e32 v[178:179], v[178:179], v[184:185]
	ds_load_b128 v[4:7], v2 offset:1248
	ds_load_b128 v[134:137], v2 offset:1264
	scratch_load_b128 v[138:141], off, off offset:544
	v_fmac_f64_e32 v[180:181], v[132:133], v[142:143]
	v_fma_f64 v[142:143], v[130:131], v[142:143], -v[144:145]
	scratch_load_b128 v[130:133], off, off offset:560
	s_wait_loadcnt_dscnt 0xc01
	v_mul_f64_e32 v[184:185], v[4:5], v[148:149]
	v_mul_f64_e32 v[148:149], v[6:7], v[148:149]
	v_add_f64_e32 v[144:145], v[188:189], v[186:187]
	v_add_f64_e32 v[178:179], v[178:179], v[182:183]
	s_wait_loadcnt_dscnt 0xb00
	v_mul_f64_e32 v[182:183], v[134:135], v[152:153]
	v_mul_f64_e32 v[152:153], v[136:137], v[152:153]
	v_fmac_f64_e32 v[184:185], v[6:7], v[146:147]
	v_fma_f64 v[186:187], v[4:5], v[146:147], -v[148:149]
	v_add_f64_e32 v[188:189], v[144:145], v[142:143]
	v_add_f64_e32 v[178:179], v[178:179], v[180:181]
	ds_load_b128 v[4:7], v2 offset:1280
	ds_load_b128 v[142:145], v2 offset:1296
	scratch_load_b128 v[146:149], off, off offset:576
	v_fmac_f64_e32 v[182:183], v[136:137], v[150:151]
	v_fma_f64 v[150:151], v[134:135], v[150:151], -v[152:153]
	scratch_load_b128 v[134:137], off, off offset:592
	s_wait_loadcnt_dscnt 0xc01
	v_mul_f64_e32 v[180:181], v[4:5], v[160:161]
	v_mul_f64_e32 v[160:161], v[6:7], v[160:161]
	;; [unrolled: 18-line block ×5, first 2 shown]
	v_add_f64_e32 v[172:173], v[188:189], v[186:187]
	v_add_f64_e32 v[178:179], v[178:179], v[184:185]
	s_wait_loadcnt_dscnt 0xa00
	v_mul_f64_e32 v[184:185], v[150:151], v[14:15]
	v_mul_f64_e32 v[14:15], v[152:153], v[14:15]
	v_fmac_f64_e32 v[180:181], v[6:7], v[154:155]
	v_fma_f64 v[186:187], v[4:5], v[154:155], -v[156:157]
	ds_load_b128 v[4:7], v2 offset:1408
	ds_load_b128 v[154:157], v2 offset:1424
	v_add_f64_e32 v[188:189], v[172:173], v[170:171]
	v_add_f64_e32 v[178:179], v[178:179], v[182:183]
	scratch_load_b128 v[170:173], off, off offset:704
	v_fmac_f64_e32 v[184:185], v[152:153], v[12:13]
	v_fma_f64 v[150:151], v[150:151], v[12:13], -v[14:15]
	scratch_load_b128 v[12:15], off, off offset:720
	s_wait_loadcnt_dscnt 0xb01
	v_mul_f64_e32 v[182:183], v[4:5], v[140:141]
	v_mul_f64_e32 v[140:141], v[6:7], v[140:141]
	v_add_f64_e32 v[152:153], v[188:189], v[186:187]
	v_add_f64_e32 v[178:179], v[178:179], v[180:181]
	s_wait_loadcnt_dscnt 0xa00
	v_mul_f64_e32 v[180:181], v[154:155], v[132:133]
	v_mul_f64_e32 v[132:133], v[156:157], v[132:133]
	v_fmac_f64_e32 v[182:183], v[6:7], v[138:139]
	v_fma_f64 v[186:187], v[4:5], v[138:139], -v[140:141]
	ds_load_b128 v[4:7], v2 offset:1440
	ds_load_b128 v[138:141], v2 offset:1456
	v_add_f64_e32 v[188:189], v[152:153], v[150:151]
	v_add_f64_e32 v[178:179], v[178:179], v[184:185]
	scratch_load_b128 v[150:153], off, off offset:736
	s_wait_loadcnt_dscnt 0xa01
	v_mul_f64_e32 v[184:185], v[4:5], v[148:149]
	v_mul_f64_e32 v[148:149], v[6:7], v[148:149]
	v_fmac_f64_e32 v[180:181], v[156:157], v[130:131]
	v_fma_f64 v[154:155], v[154:155], v[130:131], -v[132:133]
	scratch_load_b128 v[130:133], off, off offset:752
	v_add_f64_e32 v[156:157], v[188:189], v[186:187]
	v_add_f64_e32 v[178:179], v[178:179], v[182:183]
	s_wait_loadcnt_dscnt 0xa00
	v_mul_f64_e32 v[182:183], v[138:139], v[136:137]
	v_mul_f64_e32 v[136:137], v[140:141], v[136:137]
	v_fmac_f64_e32 v[184:185], v[6:7], v[146:147]
	v_fma_f64 v[186:187], v[4:5], v[146:147], -v[148:149]
	ds_load_b128 v[4:7], v2 offset:1472
	ds_load_b128 v[146:149], v2 offset:1488
	v_add_f64_e32 v[188:189], v[156:157], v[154:155]
	v_add_f64_e32 v[178:179], v[178:179], v[180:181]
	scratch_load_b128 v[154:157], off, off offset:768
	s_wait_loadcnt_dscnt 0xa01
	v_mul_f64_e32 v[180:181], v[4:5], v[160:161]
	v_mul_f64_e32 v[160:161], v[6:7], v[160:161]
	v_fmac_f64_e32 v[182:183], v[140:141], v[134:135]
	v_fma_f64 v[138:139], v[138:139], v[134:135], -v[136:137]
	scratch_load_b128 v[134:137], off, off offset:784
	v_add_f64_e32 v[140:141], v[188:189], v[186:187]
	v_add_f64_e32 v[178:179], v[178:179], v[184:185]
	s_wait_loadcnt_dscnt 0xa00
	v_mul_f64_e32 v[184:185], v[146:147], v[144:145]
	v_mul_f64_e32 v[144:145], v[148:149], v[144:145]
	v_fmac_f64_e32 v[180:181], v[6:7], v[158:159]
	v_fma_f64 v[186:187], v[4:5], v[158:159], -v[160:161]
	v_add_f64_e32 v[188:189], v[140:141], v[138:139]
	v_add_f64_e32 v[178:179], v[178:179], v[182:183]
	ds_load_b128 v[4:7], v2 offset:1504
	ds_load_b128 v[138:141], v2 offset:1520
	scratch_load_b128 v[158:161], off, off offset:800
	v_fmac_f64_e32 v[184:185], v[148:149], v[142:143]
	v_fma_f64 v[146:147], v[146:147], v[142:143], -v[144:145]
	scratch_load_b128 v[142:145], off, off offset:816
	s_wait_loadcnt_dscnt 0xb01
	v_mul_f64_e32 v[182:183], v[4:5], v[176:177]
	v_mul_f64_e32 v[176:177], v[6:7], v[176:177]
	v_add_f64_e32 v[148:149], v[188:189], v[186:187]
	v_add_f64_e32 v[178:179], v[178:179], v[180:181]
	s_wait_loadcnt_dscnt 0xa00
	v_mul_f64_e32 v[180:181], v[138:139], v[10:11]
	v_mul_f64_e32 v[10:11], v[140:141], v[10:11]
	v_fmac_f64_e32 v[182:183], v[6:7], v[174:175]
	v_fma_f64 v[186:187], v[4:5], v[174:175], -v[176:177]
	v_add_f64_e32 v[188:189], v[148:149], v[146:147]
	v_add_f64_e32 v[178:179], v[178:179], v[184:185]
	ds_load_b128 v[4:7], v2 offset:1536
	ds_load_b128 v[146:149], v2 offset:1552
	scratch_load_b128 v[174:177], off, off offset:832
	v_fmac_f64_e32 v[180:181], v[140:141], v[8:9]
	v_fma_f64 v[138:139], v[138:139], v[8:9], -v[10:11]
	scratch_load_b128 v[8:11], off, off offset:848
	s_wait_loadcnt_dscnt 0xb01
	v_mul_f64_e32 v[184:185], v[4:5], v[164:165]
	v_mul_f64_e32 v[164:165], v[6:7], v[164:165]
	v_add_f64_e32 v[140:141], v[188:189], v[186:187]
	v_add_f64_e32 v[178:179], v[178:179], v[182:183]
	s_wait_loadcnt_dscnt 0xa00
	v_mul_f64_e32 v[182:183], v[146:147], v[128:129]
	v_mul_f64_e32 v[128:129], v[148:149], v[128:129]
	v_fmac_f64_e32 v[184:185], v[6:7], v[162:163]
	v_fma_f64 v[162:163], v[4:5], v[162:163], -v[164:165]
	v_add_f64_e32 v[164:165], v[140:141], v[138:139]
	v_add_f64_e32 v[178:179], v[178:179], v[180:181]
	ds_load_b128 v[4:7], v2 offset:1568
	ds_load_b128 v[138:141], v2 offset:1584
	v_fmac_f64_e32 v[182:183], v[148:149], v[126:127]
	v_fma_f64 v[126:127], v[146:147], v[126:127], -v[128:129]
	s_wait_loadcnt_dscnt 0x901
	v_mul_f64_e32 v[180:181], v[4:5], v[172:173]
	v_mul_f64_e32 v[172:173], v[6:7], v[172:173]
	s_wait_loadcnt_dscnt 0x800
	v_mul_f64_e32 v[148:149], v[138:139], v[14:15]
	v_mul_f64_e32 v[14:15], v[140:141], v[14:15]
	v_add_f64_e32 v[128:129], v[164:165], v[162:163]
	v_add_f64_e32 v[146:147], v[178:179], v[184:185]
	v_fmac_f64_e32 v[180:181], v[6:7], v[170:171]
	v_fma_f64 v[162:163], v[4:5], v[170:171], -v[172:173]
	v_fmac_f64_e32 v[148:149], v[140:141], v[12:13]
	v_fma_f64 v[12:13], v[138:139], v[12:13], -v[14:15]
	v_add_f64_e32 v[164:165], v[128:129], v[126:127]
	v_add_f64_e32 v[146:147], v[146:147], v[182:183]
	ds_load_b128 v[4:7], v2 offset:1600
	ds_load_b128 v[126:129], v2 offset:1616
	s_wait_loadcnt_dscnt 0x701
	v_mul_f64_e32 v[170:171], v[4:5], v[152:153]
	v_mul_f64_e32 v[152:153], v[6:7], v[152:153]
	s_wait_loadcnt_dscnt 0x600
	v_mul_f64_e32 v[140:141], v[126:127], v[132:133]
	v_mul_f64_e32 v[132:133], v[128:129], v[132:133]
	v_add_f64_e32 v[14:15], v[164:165], v[162:163]
	v_add_f64_e32 v[138:139], v[146:147], v[180:181]
	v_fmac_f64_e32 v[170:171], v[6:7], v[150:151]
	v_fma_f64 v[146:147], v[4:5], v[150:151], -v[152:153]
	v_fmac_f64_e32 v[140:141], v[128:129], v[130:131]
	v_fma_f64 v[126:127], v[126:127], v[130:131], -v[132:133]
	v_add_f64_e32 v[150:151], v[14:15], v[12:13]
	v_add_f64_e32 v[138:139], v[138:139], v[148:149]
	ds_load_b128 v[4:7], v2 offset:1632
	ds_load_b128 v[12:15], v2 offset:1648
	;; [unrolled: 16-line block ×4, first 2 shown]
	s_wait_loadcnt_dscnt 0x101
	v_mul_f64_e32 v[2:3], v[4:5], v[176:177]
	v_mul_f64_e32 v[132:133], v[6:7], v[176:177]
	s_wait_loadcnt_dscnt 0x0
	v_mul_f64_e32 v[136:137], v[12:13], v[10:11]
	v_mul_f64_e32 v[10:11], v[14:15], v[10:11]
	v_add_f64_e32 v[128:129], v[144:145], v[138:139]
	v_add_f64_e32 v[130:131], v[130:131], v[140:141]
	v_fmac_f64_e32 v[2:3], v[6:7], v[174:175]
	v_fma_f64 v[4:5], v[4:5], v[174:175], -v[132:133]
	v_fmac_f64_e32 v[136:137], v[14:15], v[8:9]
	v_fma_f64 v[8:9], v[12:13], v[8:9], -v[10:11]
	v_add_f64_e32 v[6:7], v[128:129], v[126:127]
	v_add_f64_e32 v[126:127], v[130:131], v[134:135]
	s_delay_alu instid0(VALU_DEP_2) | instskip(NEXT) | instid1(VALU_DEP_2)
	v_add_f64_e32 v[4:5], v[6:7], v[4:5]
	v_add_f64_e32 v[2:3], v[126:127], v[2:3]
	s_delay_alu instid0(VALU_DEP_2) | instskip(NEXT) | instid1(VALU_DEP_2)
	;; [unrolled: 3-line block ×3, first 2 shown]
	v_add_f64_e64 v[2:3], v[166:167], -v[4:5]
	v_add_f64_e64 v[4:5], v[168:169], -v[6:7]
	scratch_store_b128 off, v[2:5], off offset:240
	s_wait_xcnt 0x0
	v_cmpx_lt_u32_e32 14, v1
	s_cbranch_execz .LBB53_309
; %bb.308:
	scratch_load_b128 v[2:5], off, s65
	v_mov_b32_e32 v6, 0
	s_delay_alu instid0(VALU_DEP_1)
	v_dual_mov_b32 v7, v6 :: v_dual_mov_b32 v8, v6
	v_mov_b32_e32 v9, v6
	scratch_store_b128 off, v[6:9], off offset:224
	s_wait_loadcnt 0x0
	ds_store_b128 v124, v[2:5]
.LBB53_309:
	s_wait_xcnt 0x0
	s_or_b32 exec_lo, exec_lo, s2
	s_wait_storecnt_dscnt 0x0
	s_barrier_signal -1
	s_barrier_wait -1
	s_clause 0x9
	scratch_load_b128 v[4:7], off, off offset:240
	scratch_load_b128 v[8:11], off, off offset:256
	;; [unrolled: 1-line block ×10, first 2 shown]
	v_mov_b32_e32 v2, 0
	s_mov_b32 s2, exec_lo
	ds_load_b128 v[154:157], v2 offset:1104
	s_clause 0x2
	scratch_load_b128 v[158:161], off, off offset:400
	scratch_load_b128 v[162:165], off, off offset:224
	;; [unrolled: 1-line block ×3, first 2 shown]
	s_wait_loadcnt_dscnt 0xc00
	v_mul_f64_e32 v[174:175], v[156:157], v[6:7]
	v_mul_f64_e32 v[178:179], v[154:155], v[6:7]
	ds_load_b128 v[166:169], v2 offset:1120
	v_fma_f64 v[182:183], v[154:155], v[4:5], -v[174:175]
	v_fmac_f64_e32 v[178:179], v[156:157], v[4:5]
	ds_load_b128 v[4:7], v2 offset:1136
	s_wait_loadcnt_dscnt 0xb01
	v_mul_f64_e32 v[180:181], v[166:167], v[10:11]
	v_mul_f64_e32 v[10:11], v[168:169], v[10:11]
	scratch_load_b128 v[154:157], off, off offset:432
	ds_load_b128 v[174:177], v2 offset:1152
	s_wait_loadcnt_dscnt 0xb01
	v_mul_f64_e32 v[184:185], v[4:5], v[14:15]
	v_mul_f64_e32 v[14:15], v[6:7], v[14:15]
	v_add_f64_e32 v[178:179], 0, v[178:179]
	v_fmac_f64_e32 v[180:181], v[168:169], v[8:9]
	v_fma_f64 v[166:167], v[166:167], v[8:9], -v[10:11]
	v_add_f64_e32 v[168:169], 0, v[182:183]
	scratch_load_b128 v[8:11], off, off offset:448
	v_fmac_f64_e32 v[184:185], v[6:7], v[12:13]
	v_fma_f64 v[186:187], v[4:5], v[12:13], -v[14:15]
	ds_load_b128 v[4:7], v2 offset:1168
	s_wait_loadcnt_dscnt 0xb01
	v_mul_f64_e32 v[182:183], v[174:175], v[128:129]
	v_mul_f64_e32 v[128:129], v[176:177], v[128:129]
	scratch_load_b128 v[12:15], off, off offset:464
	v_add_f64_e32 v[178:179], v[178:179], v[180:181]
	v_add_f64_e32 v[188:189], v[168:169], v[166:167]
	ds_load_b128 v[166:169], v2 offset:1184
	s_wait_loadcnt_dscnt 0xb01
	v_mul_f64_e32 v[180:181], v[4:5], v[132:133]
	v_mul_f64_e32 v[132:133], v[6:7], v[132:133]
	v_fmac_f64_e32 v[182:183], v[176:177], v[126:127]
	v_fma_f64 v[174:175], v[174:175], v[126:127], -v[128:129]
	scratch_load_b128 v[126:129], off, off offset:480
	v_add_f64_e32 v[178:179], v[178:179], v[184:185]
	v_add_f64_e32 v[176:177], v[188:189], v[186:187]
	v_fmac_f64_e32 v[180:181], v[6:7], v[130:131]
	v_fma_f64 v[186:187], v[4:5], v[130:131], -v[132:133]
	ds_load_b128 v[4:7], v2 offset:1200
	s_wait_loadcnt_dscnt 0xb01
	v_mul_f64_e32 v[184:185], v[166:167], v[136:137]
	v_mul_f64_e32 v[136:137], v[168:169], v[136:137]
	scratch_load_b128 v[130:133], off, off offset:496
	v_add_f64_e32 v[178:179], v[178:179], v[182:183]
	s_wait_loadcnt_dscnt 0xb00
	v_mul_f64_e32 v[182:183], v[4:5], v[140:141]
	v_add_f64_e32 v[188:189], v[176:177], v[174:175]
	v_mul_f64_e32 v[140:141], v[6:7], v[140:141]
	ds_load_b128 v[174:177], v2 offset:1216
	v_fmac_f64_e32 v[184:185], v[168:169], v[134:135]
	v_fma_f64 v[166:167], v[166:167], v[134:135], -v[136:137]
	scratch_load_b128 v[134:137], off, off offset:512
	v_add_f64_e32 v[178:179], v[178:179], v[180:181]
	v_fmac_f64_e32 v[182:183], v[6:7], v[138:139]
	v_add_f64_e32 v[168:169], v[188:189], v[186:187]
	v_fma_f64 v[186:187], v[4:5], v[138:139], -v[140:141]
	ds_load_b128 v[4:7], v2 offset:1232
	s_wait_loadcnt_dscnt 0xb01
	v_mul_f64_e32 v[180:181], v[174:175], v[144:145]
	v_mul_f64_e32 v[144:145], v[176:177], v[144:145]
	scratch_load_b128 v[138:141], off, off offset:528
	v_add_f64_e32 v[178:179], v[178:179], v[184:185]
	s_wait_loadcnt_dscnt 0xb00
	v_mul_f64_e32 v[184:185], v[4:5], v[148:149]
	v_add_f64_e32 v[188:189], v[168:169], v[166:167]
	v_mul_f64_e32 v[148:149], v[6:7], v[148:149]
	ds_load_b128 v[166:169], v2 offset:1248
	v_fmac_f64_e32 v[180:181], v[176:177], v[142:143]
	v_fma_f64 v[174:175], v[174:175], v[142:143], -v[144:145]
	scratch_load_b128 v[142:145], off, off offset:544
	v_add_f64_e32 v[178:179], v[178:179], v[182:183]
	v_fmac_f64_e32 v[184:185], v[6:7], v[146:147]
	v_add_f64_e32 v[176:177], v[188:189], v[186:187]
	;; [unrolled: 18-line block ×3, first 2 shown]
	v_fma_f64 v[186:187], v[4:5], v[158:159], -v[160:161]
	ds_load_b128 v[4:7], v2 offset:1296
	s_wait_loadcnt_dscnt 0xa01
	v_mul_f64_e32 v[184:185], v[174:175], v[172:173]
	v_mul_f64_e32 v[172:173], v[176:177], v[172:173]
	scratch_load_b128 v[158:161], off, off offset:592
	v_add_f64_e32 v[178:179], v[178:179], v[182:183]
	v_add_f64_e32 v[188:189], v[168:169], v[166:167]
	s_wait_loadcnt_dscnt 0xa00
	v_mul_f64_e32 v[182:183], v[4:5], v[156:157]
	v_mul_f64_e32 v[156:157], v[6:7], v[156:157]
	v_fmac_f64_e32 v[184:185], v[176:177], v[170:171]
	v_fma_f64 v[174:175], v[174:175], v[170:171], -v[172:173]
	ds_load_b128 v[166:169], v2 offset:1312
	scratch_load_b128 v[170:173], off, off offset:608
	v_add_f64_e32 v[178:179], v[178:179], v[180:181]
	v_add_f64_e32 v[176:177], v[188:189], v[186:187]
	v_fmac_f64_e32 v[182:183], v[6:7], v[154:155]
	v_fma_f64 v[186:187], v[4:5], v[154:155], -v[156:157]
	ds_load_b128 v[4:7], v2 offset:1328
	s_wait_loadcnt_dscnt 0xa01
	v_mul_f64_e32 v[180:181], v[166:167], v[10:11]
	v_mul_f64_e32 v[10:11], v[168:169], v[10:11]
	scratch_load_b128 v[154:157], off, off offset:624
	v_add_f64_e32 v[178:179], v[178:179], v[184:185]
	s_wait_loadcnt_dscnt 0xa00
	v_mul_f64_e32 v[184:185], v[4:5], v[14:15]
	v_add_f64_e32 v[188:189], v[176:177], v[174:175]
	v_mul_f64_e32 v[14:15], v[6:7], v[14:15]
	ds_load_b128 v[174:177], v2 offset:1344
	v_fmac_f64_e32 v[180:181], v[168:169], v[8:9]
	v_fma_f64 v[166:167], v[166:167], v[8:9], -v[10:11]
	scratch_load_b128 v[8:11], off, off offset:640
	v_add_f64_e32 v[178:179], v[178:179], v[182:183]
	v_fmac_f64_e32 v[184:185], v[6:7], v[12:13]
	v_add_f64_e32 v[168:169], v[188:189], v[186:187]
	v_fma_f64 v[186:187], v[4:5], v[12:13], -v[14:15]
	ds_load_b128 v[4:7], v2 offset:1360
	s_wait_loadcnt_dscnt 0xa01
	v_mul_f64_e32 v[182:183], v[174:175], v[128:129]
	v_mul_f64_e32 v[128:129], v[176:177], v[128:129]
	scratch_load_b128 v[12:15], off, off offset:656
	v_add_f64_e32 v[178:179], v[178:179], v[180:181]
	s_wait_loadcnt_dscnt 0xa00
	v_mul_f64_e32 v[180:181], v[4:5], v[132:133]
	v_add_f64_e32 v[188:189], v[168:169], v[166:167]
	v_mul_f64_e32 v[132:133], v[6:7], v[132:133]
	ds_load_b128 v[166:169], v2 offset:1376
	v_fmac_f64_e32 v[182:183], v[176:177], v[126:127]
	v_fma_f64 v[174:175], v[174:175], v[126:127], -v[128:129]
	scratch_load_b128 v[126:129], off, off offset:672
	v_add_f64_e32 v[178:179], v[178:179], v[184:185]
	v_fmac_f64_e32 v[180:181], v[6:7], v[130:131]
	v_add_f64_e32 v[176:177], v[188:189], v[186:187]
	;; [unrolled: 18-line block ×7, first 2 shown]
	v_fma_f64 v[186:187], v[4:5], v[12:13], -v[14:15]
	ds_load_b128 v[4:7], v2 offset:1552
	s_wait_loadcnt_dscnt 0xa01
	v_mul_f64_e32 v[182:183], v[174:175], v[128:129]
	v_mul_f64_e32 v[128:129], v[176:177], v[128:129]
	scratch_load_b128 v[12:15], off, off offset:848
	v_add_f64_e32 v[178:179], v[178:179], v[180:181]
	s_wait_loadcnt_dscnt 0xa00
	v_mul_f64_e32 v[180:181], v[4:5], v[132:133]
	v_add_f64_e32 v[188:189], v[168:169], v[166:167]
	v_mul_f64_e32 v[132:133], v[6:7], v[132:133]
	ds_load_b128 v[166:169], v2 offset:1568
	v_fmac_f64_e32 v[182:183], v[176:177], v[126:127]
	v_fma_f64 v[126:127], v[174:175], v[126:127], -v[128:129]
	s_wait_loadcnt_dscnt 0x900
	v_mul_f64_e32 v[176:177], v[166:167], v[136:137]
	v_mul_f64_e32 v[136:137], v[168:169], v[136:137]
	v_add_f64_e32 v[174:175], v[178:179], v[184:185]
	v_fmac_f64_e32 v[180:181], v[6:7], v[130:131]
	v_add_f64_e32 v[128:129], v[188:189], v[186:187]
	v_fma_f64 v[130:131], v[4:5], v[130:131], -v[132:133]
	v_fmac_f64_e32 v[176:177], v[168:169], v[134:135]
	v_fma_f64 v[134:135], v[166:167], v[134:135], -v[136:137]
	v_add_f64_e32 v[174:175], v[174:175], v[182:183]
	v_add_f64_e32 v[132:133], v[128:129], v[126:127]
	ds_load_b128 v[4:7], v2 offset:1584
	ds_load_b128 v[126:129], v2 offset:1600
	s_wait_loadcnt_dscnt 0x801
	v_mul_f64_e32 v[178:179], v[4:5], v[140:141]
	v_mul_f64_e32 v[140:141], v[6:7], v[140:141]
	s_wait_loadcnt_dscnt 0x700
	v_mul_f64_e32 v[136:137], v[126:127], v[144:145]
	v_mul_f64_e32 v[144:145], v[128:129], v[144:145]
	v_add_f64_e32 v[130:131], v[132:133], v[130:131]
	v_add_f64_e32 v[132:133], v[174:175], v[180:181]
	v_fmac_f64_e32 v[178:179], v[6:7], v[138:139]
	v_fma_f64 v[138:139], v[4:5], v[138:139], -v[140:141]
	v_fmac_f64_e32 v[136:137], v[128:129], v[142:143]
	v_fma_f64 v[126:127], v[126:127], v[142:143], -v[144:145]
	v_add_f64_e32 v[134:135], v[130:131], v[134:135]
	v_add_f64_e32 v[140:141], v[132:133], v[176:177]
	ds_load_b128 v[4:7], v2 offset:1616
	ds_load_b128 v[130:133], v2 offset:1632
	s_wait_loadcnt_dscnt 0x601
	v_mul_f64_e32 v[166:167], v[4:5], v[148:149]
	v_mul_f64_e32 v[148:149], v[6:7], v[148:149]
	v_add_f64_e32 v[128:129], v[134:135], v[138:139]
	v_add_f64_e32 v[134:135], v[140:141], v[178:179]
	s_wait_loadcnt_dscnt 0x500
	v_mul_f64_e32 v[138:139], v[130:131], v[152:153]
	v_mul_f64_e32 v[140:141], v[132:133], v[152:153]
	v_fmac_f64_e32 v[166:167], v[6:7], v[146:147]
	v_fma_f64 v[142:143], v[4:5], v[146:147], -v[148:149]
	v_add_f64_e32 v[144:145], v[128:129], v[126:127]
	v_add_f64_e32 v[134:135], v[134:135], v[136:137]
	ds_load_b128 v[4:7], v2 offset:1648
	ds_load_b128 v[126:129], v2 offset:1664
	v_fmac_f64_e32 v[138:139], v[132:133], v[150:151]
	v_fma_f64 v[130:131], v[130:131], v[150:151], -v[140:141]
	s_wait_loadcnt_dscnt 0x401
	v_mul_f64_e32 v[136:137], v[4:5], v[160:161]
	v_mul_f64_e32 v[146:147], v[6:7], v[160:161]
	s_wait_loadcnt_dscnt 0x300
	v_mul_f64_e32 v[140:141], v[126:127], v[172:173]
	v_add_f64_e32 v[132:133], v[144:145], v[142:143]
	v_add_f64_e32 v[134:135], v[134:135], v[166:167]
	v_mul_f64_e32 v[142:143], v[128:129], v[172:173]
	v_fmac_f64_e32 v[136:137], v[6:7], v[158:159]
	v_fma_f64 v[144:145], v[4:5], v[158:159], -v[146:147]
	v_fmac_f64_e32 v[140:141], v[128:129], v[170:171]
	v_add_f64_e32 v[146:147], v[132:133], v[130:131]
	v_add_f64_e32 v[134:135], v[134:135], v[138:139]
	ds_load_b128 v[4:7], v2 offset:1680
	ds_load_b128 v[130:133], v2 offset:1696
	v_fma_f64 v[126:127], v[126:127], v[170:171], -v[142:143]
	s_wait_loadcnt_dscnt 0x201
	v_mul_f64_e32 v[138:139], v[4:5], v[156:157]
	v_mul_f64_e32 v[148:149], v[6:7], v[156:157]
	v_add_f64_e32 v[128:129], v[146:147], v[144:145]
	v_add_f64_e32 v[134:135], v[134:135], v[136:137]
	s_wait_loadcnt_dscnt 0x100
	v_mul_f64_e32 v[136:137], v[130:131], v[10:11]
	v_mul_f64_e32 v[10:11], v[132:133], v[10:11]
	v_fmac_f64_e32 v[138:139], v[6:7], v[154:155]
	v_fma_f64 v[142:143], v[4:5], v[154:155], -v[148:149]
	ds_load_b128 v[4:7], v2 offset:1712
	v_add_f64_e32 v[126:127], v[128:129], v[126:127]
	v_add_f64_e32 v[128:129], v[134:135], v[140:141]
	v_fmac_f64_e32 v[136:137], v[132:133], v[8:9]
	v_fma_f64 v[8:9], v[130:131], v[8:9], -v[10:11]
	s_wait_loadcnt_dscnt 0x0
	v_mul_f64_e32 v[134:135], v[4:5], v[14:15]
	v_mul_f64_e32 v[14:15], v[6:7], v[14:15]
	v_add_f64_e32 v[10:11], v[126:127], v[142:143]
	v_add_f64_e32 v[126:127], v[128:129], v[138:139]
	s_delay_alu instid0(VALU_DEP_4) | instskip(NEXT) | instid1(VALU_DEP_4)
	v_fmac_f64_e32 v[134:135], v[6:7], v[12:13]
	v_fma_f64 v[4:5], v[4:5], v[12:13], -v[14:15]
	s_delay_alu instid0(VALU_DEP_4) | instskip(NEXT) | instid1(VALU_DEP_4)
	v_add_f64_e32 v[6:7], v[10:11], v[8:9]
	v_add_f64_e32 v[8:9], v[126:127], v[136:137]
	s_delay_alu instid0(VALU_DEP_2) | instskip(NEXT) | instid1(VALU_DEP_2)
	v_add_f64_e32 v[4:5], v[6:7], v[4:5]
	v_add_f64_e32 v[6:7], v[8:9], v[134:135]
	s_delay_alu instid0(VALU_DEP_2) | instskip(NEXT) | instid1(VALU_DEP_2)
	v_add_f64_e64 v[4:5], v[162:163], -v[4:5]
	v_add_f64_e64 v[6:7], v[164:165], -v[6:7]
	scratch_store_b128 off, v[4:7], off offset:224
	s_wait_xcnt 0x0
	v_cmpx_lt_u32_e32 13, v1
	s_cbranch_execz .LBB53_311
; %bb.310:
	scratch_load_b128 v[6:9], off, s64
	v_dual_mov_b32 v3, v2 :: v_dual_mov_b32 v4, v2
	v_mov_b32_e32 v5, v2
	scratch_store_b128 off, v[2:5], off offset:208
	s_wait_loadcnt 0x0
	ds_store_b128 v124, v[6:9]
.LBB53_311:
	s_wait_xcnt 0x0
	s_or_b32 exec_lo, exec_lo, s2
	s_wait_storecnt_dscnt 0x0
	s_barrier_signal -1
	s_barrier_wait -1
	s_clause 0x9
	scratch_load_b128 v[4:7], off, off offset:224
	scratch_load_b128 v[8:11], off, off offset:240
	;; [unrolled: 1-line block ×10, first 2 shown]
	ds_load_b128 v[154:157], v2 offset:1088
	ds_load_b128 v[162:165], v2 offset:1104
	s_clause 0x2
	scratch_load_b128 v[158:161], off, off offset:384
	scratch_load_b128 v[166:169], off, off offset:208
	;; [unrolled: 1-line block ×3, first 2 shown]
	s_mov_b32 s2, exec_lo
	s_wait_loadcnt_dscnt 0xc01
	v_mul_f64_e32 v[174:175], v[156:157], v[6:7]
	v_mul_f64_e32 v[178:179], v[154:155], v[6:7]
	s_wait_loadcnt_dscnt 0xb00
	v_mul_f64_e32 v[180:181], v[162:163], v[10:11]
	v_mul_f64_e32 v[10:11], v[164:165], v[10:11]
	s_delay_alu instid0(VALU_DEP_4) | instskip(NEXT) | instid1(VALU_DEP_4)
	v_fma_f64 v[182:183], v[154:155], v[4:5], -v[174:175]
	v_fmac_f64_e32 v[178:179], v[156:157], v[4:5]
	ds_load_b128 v[4:7], v2 offset:1120
	ds_load_b128 v[154:157], v2 offset:1136
	scratch_load_b128 v[174:177], off, off offset:416
	v_fmac_f64_e32 v[180:181], v[164:165], v[8:9]
	v_fma_f64 v[162:163], v[162:163], v[8:9], -v[10:11]
	scratch_load_b128 v[8:11], off, off offset:432
	s_wait_loadcnt_dscnt 0xc01
	v_mul_f64_e32 v[184:185], v[4:5], v[14:15]
	v_mul_f64_e32 v[14:15], v[6:7], v[14:15]
	v_add_f64_e32 v[164:165], 0, v[182:183]
	v_add_f64_e32 v[178:179], 0, v[178:179]
	s_wait_loadcnt_dscnt 0xb00
	v_mul_f64_e32 v[182:183], v[154:155], v[128:129]
	v_mul_f64_e32 v[128:129], v[156:157], v[128:129]
	v_fmac_f64_e32 v[184:185], v[6:7], v[12:13]
	v_fma_f64 v[186:187], v[4:5], v[12:13], -v[14:15]
	ds_load_b128 v[4:7], v2 offset:1152
	ds_load_b128 v[12:15], v2 offset:1168
	v_add_f64_e32 v[188:189], v[164:165], v[162:163]
	v_add_f64_e32 v[178:179], v[178:179], v[180:181]
	scratch_load_b128 v[162:165], off, off offset:448
	v_fmac_f64_e32 v[182:183], v[156:157], v[126:127]
	v_fma_f64 v[154:155], v[154:155], v[126:127], -v[128:129]
	scratch_load_b128 v[126:129], off, off offset:464
	s_wait_loadcnt_dscnt 0xc01
	v_mul_f64_e32 v[180:181], v[4:5], v[132:133]
	v_mul_f64_e32 v[132:133], v[6:7], v[132:133]
	v_add_f64_e32 v[156:157], v[188:189], v[186:187]
	v_add_f64_e32 v[178:179], v[178:179], v[184:185]
	s_wait_loadcnt_dscnt 0xb00
	v_mul_f64_e32 v[184:185], v[12:13], v[136:137]
	v_mul_f64_e32 v[136:137], v[14:15], v[136:137]
	v_fmac_f64_e32 v[180:181], v[6:7], v[130:131]
	v_fma_f64 v[186:187], v[4:5], v[130:131], -v[132:133]
	ds_load_b128 v[4:7], v2 offset:1184
	ds_load_b128 v[130:133], v2 offset:1200
	v_add_f64_e32 v[188:189], v[156:157], v[154:155]
	v_add_f64_e32 v[178:179], v[178:179], v[182:183]
	scratch_load_b128 v[154:157], off, off offset:480
	s_wait_loadcnt_dscnt 0xb01
	v_mul_f64_e32 v[182:183], v[4:5], v[140:141]
	v_mul_f64_e32 v[140:141], v[6:7], v[140:141]
	v_fmac_f64_e32 v[184:185], v[14:15], v[134:135]
	v_fma_f64 v[134:135], v[12:13], v[134:135], -v[136:137]
	scratch_load_b128 v[12:15], off, off offset:496
	v_add_f64_e32 v[136:137], v[188:189], v[186:187]
	v_add_f64_e32 v[178:179], v[178:179], v[180:181]
	s_wait_loadcnt_dscnt 0xb00
	v_mul_f64_e32 v[180:181], v[130:131], v[144:145]
	v_mul_f64_e32 v[144:145], v[132:133], v[144:145]
	v_fmac_f64_e32 v[182:183], v[6:7], v[138:139]
	v_fma_f64 v[186:187], v[4:5], v[138:139], -v[140:141]
	v_add_f64_e32 v[188:189], v[136:137], v[134:135]
	v_add_f64_e32 v[178:179], v[178:179], v[184:185]
	ds_load_b128 v[4:7], v2 offset:1216
	ds_load_b128 v[134:137], v2 offset:1232
	scratch_load_b128 v[138:141], off, off offset:512
	v_fmac_f64_e32 v[180:181], v[132:133], v[142:143]
	v_fma_f64 v[142:143], v[130:131], v[142:143], -v[144:145]
	scratch_load_b128 v[130:133], off, off offset:528
	s_wait_loadcnt_dscnt 0xc01
	v_mul_f64_e32 v[184:185], v[4:5], v[148:149]
	v_mul_f64_e32 v[148:149], v[6:7], v[148:149]
	v_add_f64_e32 v[144:145], v[188:189], v[186:187]
	v_add_f64_e32 v[178:179], v[178:179], v[182:183]
	s_wait_loadcnt_dscnt 0xb00
	v_mul_f64_e32 v[182:183], v[134:135], v[152:153]
	v_mul_f64_e32 v[152:153], v[136:137], v[152:153]
	v_fmac_f64_e32 v[184:185], v[6:7], v[146:147]
	v_fma_f64 v[186:187], v[4:5], v[146:147], -v[148:149]
	v_add_f64_e32 v[188:189], v[144:145], v[142:143]
	v_add_f64_e32 v[178:179], v[178:179], v[180:181]
	ds_load_b128 v[4:7], v2 offset:1248
	ds_load_b128 v[142:145], v2 offset:1264
	scratch_load_b128 v[146:149], off, off offset:544
	v_fmac_f64_e32 v[182:183], v[136:137], v[150:151]
	v_fma_f64 v[150:151], v[134:135], v[150:151], -v[152:153]
	scratch_load_b128 v[134:137], off, off offset:560
	s_wait_loadcnt_dscnt 0xc01
	v_mul_f64_e32 v[180:181], v[4:5], v[160:161]
	v_mul_f64_e32 v[160:161], v[6:7], v[160:161]
	;; [unrolled: 18-line block ×5, first 2 shown]
	v_add_f64_e32 v[172:173], v[188:189], v[186:187]
	v_add_f64_e32 v[178:179], v[178:179], v[184:185]
	s_wait_loadcnt_dscnt 0xa00
	v_mul_f64_e32 v[184:185], v[150:151], v[14:15]
	v_mul_f64_e32 v[14:15], v[152:153], v[14:15]
	v_fmac_f64_e32 v[180:181], v[6:7], v[154:155]
	v_fma_f64 v[186:187], v[4:5], v[154:155], -v[156:157]
	ds_load_b128 v[4:7], v2 offset:1376
	ds_load_b128 v[154:157], v2 offset:1392
	v_add_f64_e32 v[188:189], v[172:173], v[170:171]
	v_add_f64_e32 v[178:179], v[178:179], v[182:183]
	scratch_load_b128 v[170:173], off, off offset:672
	v_fmac_f64_e32 v[184:185], v[152:153], v[12:13]
	v_fma_f64 v[150:151], v[150:151], v[12:13], -v[14:15]
	scratch_load_b128 v[12:15], off, off offset:688
	s_wait_loadcnt_dscnt 0xb01
	v_mul_f64_e32 v[182:183], v[4:5], v[140:141]
	v_mul_f64_e32 v[140:141], v[6:7], v[140:141]
	v_add_f64_e32 v[152:153], v[188:189], v[186:187]
	v_add_f64_e32 v[178:179], v[178:179], v[180:181]
	s_wait_loadcnt_dscnt 0xa00
	v_mul_f64_e32 v[180:181], v[154:155], v[132:133]
	v_mul_f64_e32 v[132:133], v[156:157], v[132:133]
	v_fmac_f64_e32 v[182:183], v[6:7], v[138:139]
	v_fma_f64 v[186:187], v[4:5], v[138:139], -v[140:141]
	ds_load_b128 v[4:7], v2 offset:1408
	ds_load_b128 v[138:141], v2 offset:1424
	v_add_f64_e32 v[188:189], v[152:153], v[150:151]
	v_add_f64_e32 v[178:179], v[178:179], v[184:185]
	scratch_load_b128 v[150:153], off, off offset:704
	s_wait_loadcnt_dscnt 0xa01
	v_mul_f64_e32 v[184:185], v[4:5], v[148:149]
	v_mul_f64_e32 v[148:149], v[6:7], v[148:149]
	v_fmac_f64_e32 v[180:181], v[156:157], v[130:131]
	v_fma_f64 v[154:155], v[154:155], v[130:131], -v[132:133]
	scratch_load_b128 v[130:133], off, off offset:720
	v_add_f64_e32 v[156:157], v[188:189], v[186:187]
	v_add_f64_e32 v[178:179], v[178:179], v[182:183]
	s_wait_loadcnt_dscnt 0xa00
	v_mul_f64_e32 v[182:183], v[138:139], v[136:137]
	v_mul_f64_e32 v[136:137], v[140:141], v[136:137]
	v_fmac_f64_e32 v[184:185], v[6:7], v[146:147]
	v_fma_f64 v[186:187], v[4:5], v[146:147], -v[148:149]
	ds_load_b128 v[4:7], v2 offset:1440
	ds_load_b128 v[146:149], v2 offset:1456
	v_add_f64_e32 v[188:189], v[156:157], v[154:155]
	v_add_f64_e32 v[178:179], v[178:179], v[180:181]
	scratch_load_b128 v[154:157], off, off offset:736
	s_wait_loadcnt_dscnt 0xa01
	v_mul_f64_e32 v[180:181], v[4:5], v[160:161]
	v_mul_f64_e32 v[160:161], v[6:7], v[160:161]
	v_fmac_f64_e32 v[182:183], v[140:141], v[134:135]
	v_fma_f64 v[138:139], v[138:139], v[134:135], -v[136:137]
	scratch_load_b128 v[134:137], off, off offset:752
	v_add_f64_e32 v[140:141], v[188:189], v[186:187]
	v_add_f64_e32 v[178:179], v[178:179], v[184:185]
	s_wait_loadcnt_dscnt 0xa00
	v_mul_f64_e32 v[184:185], v[146:147], v[144:145]
	v_mul_f64_e32 v[144:145], v[148:149], v[144:145]
	v_fmac_f64_e32 v[180:181], v[6:7], v[158:159]
	v_fma_f64 v[186:187], v[4:5], v[158:159], -v[160:161]
	v_add_f64_e32 v[188:189], v[140:141], v[138:139]
	v_add_f64_e32 v[178:179], v[178:179], v[182:183]
	ds_load_b128 v[4:7], v2 offset:1472
	ds_load_b128 v[138:141], v2 offset:1488
	scratch_load_b128 v[158:161], off, off offset:768
	v_fmac_f64_e32 v[184:185], v[148:149], v[142:143]
	v_fma_f64 v[146:147], v[146:147], v[142:143], -v[144:145]
	scratch_load_b128 v[142:145], off, off offset:784
	s_wait_loadcnt_dscnt 0xb01
	v_mul_f64_e32 v[182:183], v[4:5], v[176:177]
	v_mul_f64_e32 v[176:177], v[6:7], v[176:177]
	v_add_f64_e32 v[148:149], v[188:189], v[186:187]
	v_add_f64_e32 v[178:179], v[178:179], v[180:181]
	s_wait_loadcnt_dscnt 0xa00
	v_mul_f64_e32 v[180:181], v[138:139], v[10:11]
	v_mul_f64_e32 v[10:11], v[140:141], v[10:11]
	v_fmac_f64_e32 v[182:183], v[6:7], v[174:175]
	v_fma_f64 v[186:187], v[4:5], v[174:175], -v[176:177]
	v_add_f64_e32 v[188:189], v[148:149], v[146:147]
	v_add_f64_e32 v[178:179], v[178:179], v[184:185]
	ds_load_b128 v[4:7], v2 offset:1504
	ds_load_b128 v[146:149], v2 offset:1520
	scratch_load_b128 v[174:177], off, off offset:800
	v_fmac_f64_e32 v[180:181], v[140:141], v[8:9]
	v_fma_f64 v[138:139], v[138:139], v[8:9], -v[10:11]
	scratch_load_b128 v[8:11], off, off offset:816
	s_wait_loadcnt_dscnt 0xb01
	v_mul_f64_e32 v[184:185], v[4:5], v[164:165]
	v_mul_f64_e32 v[164:165], v[6:7], v[164:165]
	;; [unrolled: 18-line block ×3, first 2 shown]
	v_add_f64_e32 v[148:149], v[188:189], v[186:187]
	v_add_f64_e32 v[178:179], v[178:179], v[184:185]
	s_wait_loadcnt_dscnt 0xa00
	v_mul_f64_e32 v[184:185], v[138:139], v[14:15]
	v_mul_f64_e32 v[14:15], v[140:141], v[14:15]
	v_fmac_f64_e32 v[180:181], v[6:7], v[170:171]
	v_fma_f64 v[170:171], v[4:5], v[170:171], -v[172:173]
	v_add_f64_e32 v[172:173], v[148:149], v[146:147]
	v_add_f64_e32 v[178:179], v[178:179], v[182:183]
	ds_load_b128 v[4:7], v2 offset:1568
	ds_load_b128 v[146:149], v2 offset:1584
	v_fmac_f64_e32 v[184:185], v[140:141], v[12:13]
	v_fma_f64 v[12:13], v[138:139], v[12:13], -v[14:15]
	s_wait_loadcnt_dscnt 0x901
	v_mul_f64_e32 v[182:183], v[4:5], v[152:153]
	v_mul_f64_e32 v[152:153], v[6:7], v[152:153]
	s_wait_loadcnt_dscnt 0x800
	v_mul_f64_e32 v[140:141], v[146:147], v[132:133]
	v_mul_f64_e32 v[132:133], v[148:149], v[132:133]
	v_add_f64_e32 v[14:15], v[172:173], v[170:171]
	v_add_f64_e32 v[138:139], v[178:179], v[180:181]
	v_fmac_f64_e32 v[182:183], v[6:7], v[150:151]
	v_fma_f64 v[150:151], v[4:5], v[150:151], -v[152:153]
	v_fmac_f64_e32 v[140:141], v[148:149], v[130:131]
	v_fma_f64 v[130:131], v[146:147], v[130:131], -v[132:133]
	v_add_f64_e32 v[152:153], v[14:15], v[12:13]
	v_add_f64_e32 v[138:139], v[138:139], v[184:185]
	ds_load_b128 v[4:7], v2 offset:1600
	ds_load_b128 v[12:15], v2 offset:1616
	s_wait_loadcnt_dscnt 0x701
	v_mul_f64_e32 v[170:171], v[4:5], v[156:157]
	v_mul_f64_e32 v[156:157], v[6:7], v[156:157]
	s_wait_loadcnt_dscnt 0x600
	v_mul_f64_e32 v[146:147], v[12:13], v[136:137]
	v_mul_f64_e32 v[136:137], v[14:15], v[136:137]
	v_add_f64_e32 v[132:133], v[152:153], v[150:151]
	v_add_f64_e32 v[138:139], v[138:139], v[182:183]
	v_fmac_f64_e32 v[170:171], v[6:7], v[154:155]
	v_fma_f64 v[148:149], v[4:5], v[154:155], -v[156:157]
	v_fmac_f64_e32 v[146:147], v[14:15], v[134:135]
	v_fma_f64 v[12:13], v[12:13], v[134:135], -v[136:137]
	v_add_f64_e32 v[150:151], v[132:133], v[130:131]
	v_add_f64_e32 v[138:139], v[138:139], v[140:141]
	ds_load_b128 v[4:7], v2 offset:1632
	ds_load_b128 v[130:133], v2 offset:1648
	s_wait_loadcnt_dscnt 0x501
	v_mul_f64_e32 v[140:141], v[4:5], v[160:161]
	v_mul_f64_e32 v[152:153], v[6:7], v[160:161]
	s_wait_loadcnt_dscnt 0x400
	v_mul_f64_e32 v[136:137], v[130:131], v[144:145]
	v_add_f64_e32 v[14:15], v[150:151], v[148:149]
	v_add_f64_e32 v[134:135], v[138:139], v[170:171]
	v_mul_f64_e32 v[138:139], v[132:133], v[144:145]
	v_fmac_f64_e32 v[140:141], v[6:7], v[158:159]
	v_fma_f64 v[144:145], v[4:5], v[158:159], -v[152:153]
	v_fmac_f64_e32 v[136:137], v[132:133], v[142:143]
	v_add_f64_e32 v[148:149], v[14:15], v[12:13]
	v_add_f64_e32 v[134:135], v[134:135], v[146:147]
	ds_load_b128 v[4:7], v2 offset:1664
	ds_load_b128 v[12:15], v2 offset:1680
	v_fma_f64 v[130:131], v[130:131], v[142:143], -v[138:139]
	s_wait_loadcnt_dscnt 0x301
	v_mul_f64_e32 v[146:147], v[4:5], v[176:177]
	v_mul_f64_e32 v[150:151], v[6:7], v[176:177]
	s_wait_loadcnt_dscnt 0x200
	v_mul_f64_e32 v[138:139], v[12:13], v[10:11]
	v_mul_f64_e32 v[10:11], v[14:15], v[10:11]
	v_add_f64_e32 v[132:133], v[148:149], v[144:145]
	v_add_f64_e32 v[134:135], v[134:135], v[140:141]
	v_fmac_f64_e32 v[146:147], v[6:7], v[174:175]
	v_fma_f64 v[140:141], v[4:5], v[174:175], -v[150:151]
	v_fmac_f64_e32 v[138:139], v[14:15], v[8:9]
	v_fma_f64 v[8:9], v[12:13], v[8:9], -v[10:11]
	v_add_f64_e32 v[142:143], v[132:133], v[130:131]
	v_add_f64_e32 v[134:135], v[134:135], v[136:137]
	ds_load_b128 v[4:7], v2 offset:1696
	ds_load_b128 v[130:133], v2 offset:1712
	s_wait_loadcnt_dscnt 0x101
	v_mul_f64_e32 v[2:3], v[4:5], v[164:165]
	v_mul_f64_e32 v[136:137], v[6:7], v[164:165]
	s_wait_loadcnt_dscnt 0x0
	v_mul_f64_e32 v[14:15], v[130:131], v[128:129]
	v_mul_f64_e32 v[128:129], v[132:133], v[128:129]
	v_add_f64_e32 v[10:11], v[142:143], v[140:141]
	v_add_f64_e32 v[12:13], v[134:135], v[146:147]
	v_fmac_f64_e32 v[2:3], v[6:7], v[162:163]
	v_fma_f64 v[4:5], v[4:5], v[162:163], -v[136:137]
	v_fmac_f64_e32 v[14:15], v[132:133], v[126:127]
	v_add_f64_e32 v[6:7], v[10:11], v[8:9]
	v_add_f64_e32 v[8:9], v[12:13], v[138:139]
	v_fma_f64 v[10:11], v[130:131], v[126:127], -v[128:129]
	s_delay_alu instid0(VALU_DEP_3) | instskip(NEXT) | instid1(VALU_DEP_3)
	v_add_f64_e32 v[4:5], v[6:7], v[4:5]
	v_add_f64_e32 v[2:3], v[8:9], v[2:3]
	s_delay_alu instid0(VALU_DEP_2) | instskip(NEXT) | instid1(VALU_DEP_2)
	v_add_f64_e32 v[4:5], v[4:5], v[10:11]
	v_add_f64_e32 v[6:7], v[2:3], v[14:15]
	s_delay_alu instid0(VALU_DEP_2) | instskip(NEXT) | instid1(VALU_DEP_2)
	v_add_f64_e64 v[2:3], v[166:167], -v[4:5]
	v_add_f64_e64 v[4:5], v[168:169], -v[6:7]
	scratch_store_b128 off, v[2:5], off offset:208
	s_wait_xcnt 0x0
	v_cmpx_lt_u32_e32 12, v1
	s_cbranch_execz .LBB53_313
; %bb.312:
	scratch_load_b128 v[2:5], off, s62
	v_mov_b32_e32 v6, 0
	s_delay_alu instid0(VALU_DEP_1)
	v_dual_mov_b32 v7, v6 :: v_dual_mov_b32 v8, v6
	v_mov_b32_e32 v9, v6
	scratch_store_b128 off, v[6:9], off offset:192
	s_wait_loadcnt 0x0
	ds_store_b128 v124, v[2:5]
.LBB53_313:
	s_wait_xcnt 0x0
	s_or_b32 exec_lo, exec_lo, s2
	s_wait_storecnt_dscnt 0x0
	s_barrier_signal -1
	s_barrier_wait -1
	s_clause 0x9
	scratch_load_b128 v[4:7], off, off offset:208
	scratch_load_b128 v[8:11], off, off offset:224
	;; [unrolled: 1-line block ×10, first 2 shown]
	v_mov_b32_e32 v2, 0
	s_mov_b32 s2, exec_lo
	ds_load_b128 v[154:157], v2 offset:1072
	s_clause 0x2
	scratch_load_b128 v[158:161], off, off offset:368
	scratch_load_b128 v[162:165], off, off offset:192
	;; [unrolled: 1-line block ×3, first 2 shown]
	s_wait_loadcnt_dscnt 0xc00
	v_mul_f64_e32 v[174:175], v[156:157], v[6:7]
	v_mul_f64_e32 v[178:179], v[154:155], v[6:7]
	ds_load_b128 v[166:169], v2 offset:1088
	v_fma_f64 v[182:183], v[154:155], v[4:5], -v[174:175]
	v_fmac_f64_e32 v[178:179], v[156:157], v[4:5]
	ds_load_b128 v[4:7], v2 offset:1104
	s_wait_loadcnt_dscnt 0xb01
	v_mul_f64_e32 v[180:181], v[166:167], v[10:11]
	v_mul_f64_e32 v[10:11], v[168:169], v[10:11]
	scratch_load_b128 v[154:157], off, off offset:400
	ds_load_b128 v[174:177], v2 offset:1120
	s_wait_loadcnt_dscnt 0xb01
	v_mul_f64_e32 v[184:185], v[4:5], v[14:15]
	v_mul_f64_e32 v[14:15], v[6:7], v[14:15]
	v_add_f64_e32 v[178:179], 0, v[178:179]
	v_fmac_f64_e32 v[180:181], v[168:169], v[8:9]
	v_fma_f64 v[166:167], v[166:167], v[8:9], -v[10:11]
	v_add_f64_e32 v[168:169], 0, v[182:183]
	scratch_load_b128 v[8:11], off, off offset:416
	v_fmac_f64_e32 v[184:185], v[6:7], v[12:13]
	v_fma_f64 v[186:187], v[4:5], v[12:13], -v[14:15]
	ds_load_b128 v[4:7], v2 offset:1136
	s_wait_loadcnt_dscnt 0xb01
	v_mul_f64_e32 v[182:183], v[174:175], v[128:129]
	v_mul_f64_e32 v[128:129], v[176:177], v[128:129]
	scratch_load_b128 v[12:15], off, off offset:432
	v_add_f64_e32 v[178:179], v[178:179], v[180:181]
	v_add_f64_e32 v[188:189], v[168:169], v[166:167]
	ds_load_b128 v[166:169], v2 offset:1152
	s_wait_loadcnt_dscnt 0xb01
	v_mul_f64_e32 v[180:181], v[4:5], v[132:133]
	v_mul_f64_e32 v[132:133], v[6:7], v[132:133]
	v_fmac_f64_e32 v[182:183], v[176:177], v[126:127]
	v_fma_f64 v[174:175], v[174:175], v[126:127], -v[128:129]
	scratch_load_b128 v[126:129], off, off offset:448
	v_add_f64_e32 v[178:179], v[178:179], v[184:185]
	v_add_f64_e32 v[176:177], v[188:189], v[186:187]
	v_fmac_f64_e32 v[180:181], v[6:7], v[130:131]
	v_fma_f64 v[186:187], v[4:5], v[130:131], -v[132:133]
	ds_load_b128 v[4:7], v2 offset:1168
	s_wait_loadcnt_dscnt 0xb01
	v_mul_f64_e32 v[184:185], v[166:167], v[136:137]
	v_mul_f64_e32 v[136:137], v[168:169], v[136:137]
	scratch_load_b128 v[130:133], off, off offset:464
	v_add_f64_e32 v[178:179], v[178:179], v[182:183]
	s_wait_loadcnt_dscnt 0xb00
	v_mul_f64_e32 v[182:183], v[4:5], v[140:141]
	v_add_f64_e32 v[188:189], v[176:177], v[174:175]
	v_mul_f64_e32 v[140:141], v[6:7], v[140:141]
	ds_load_b128 v[174:177], v2 offset:1184
	v_fmac_f64_e32 v[184:185], v[168:169], v[134:135]
	v_fma_f64 v[166:167], v[166:167], v[134:135], -v[136:137]
	scratch_load_b128 v[134:137], off, off offset:480
	v_add_f64_e32 v[178:179], v[178:179], v[180:181]
	v_fmac_f64_e32 v[182:183], v[6:7], v[138:139]
	v_add_f64_e32 v[168:169], v[188:189], v[186:187]
	v_fma_f64 v[186:187], v[4:5], v[138:139], -v[140:141]
	ds_load_b128 v[4:7], v2 offset:1200
	s_wait_loadcnt_dscnt 0xb01
	v_mul_f64_e32 v[180:181], v[174:175], v[144:145]
	v_mul_f64_e32 v[144:145], v[176:177], v[144:145]
	scratch_load_b128 v[138:141], off, off offset:496
	v_add_f64_e32 v[178:179], v[178:179], v[184:185]
	s_wait_loadcnt_dscnt 0xb00
	v_mul_f64_e32 v[184:185], v[4:5], v[148:149]
	v_add_f64_e32 v[188:189], v[168:169], v[166:167]
	v_mul_f64_e32 v[148:149], v[6:7], v[148:149]
	ds_load_b128 v[166:169], v2 offset:1216
	v_fmac_f64_e32 v[180:181], v[176:177], v[142:143]
	v_fma_f64 v[174:175], v[174:175], v[142:143], -v[144:145]
	scratch_load_b128 v[142:145], off, off offset:512
	v_add_f64_e32 v[178:179], v[178:179], v[182:183]
	v_fmac_f64_e32 v[184:185], v[6:7], v[146:147]
	v_add_f64_e32 v[176:177], v[188:189], v[186:187]
	;; [unrolled: 18-line block ×3, first 2 shown]
	v_fma_f64 v[186:187], v[4:5], v[158:159], -v[160:161]
	ds_load_b128 v[4:7], v2 offset:1264
	s_wait_loadcnt_dscnt 0xa01
	v_mul_f64_e32 v[184:185], v[174:175], v[172:173]
	v_mul_f64_e32 v[172:173], v[176:177], v[172:173]
	scratch_load_b128 v[158:161], off, off offset:560
	v_add_f64_e32 v[178:179], v[178:179], v[182:183]
	v_add_f64_e32 v[188:189], v[168:169], v[166:167]
	s_wait_loadcnt_dscnt 0xa00
	v_mul_f64_e32 v[182:183], v[4:5], v[156:157]
	v_mul_f64_e32 v[156:157], v[6:7], v[156:157]
	v_fmac_f64_e32 v[184:185], v[176:177], v[170:171]
	v_fma_f64 v[174:175], v[174:175], v[170:171], -v[172:173]
	ds_load_b128 v[166:169], v2 offset:1280
	scratch_load_b128 v[170:173], off, off offset:576
	v_add_f64_e32 v[178:179], v[178:179], v[180:181]
	v_add_f64_e32 v[176:177], v[188:189], v[186:187]
	v_fmac_f64_e32 v[182:183], v[6:7], v[154:155]
	v_fma_f64 v[186:187], v[4:5], v[154:155], -v[156:157]
	ds_load_b128 v[4:7], v2 offset:1296
	s_wait_loadcnt_dscnt 0xa01
	v_mul_f64_e32 v[180:181], v[166:167], v[10:11]
	v_mul_f64_e32 v[10:11], v[168:169], v[10:11]
	scratch_load_b128 v[154:157], off, off offset:592
	v_add_f64_e32 v[178:179], v[178:179], v[184:185]
	s_wait_loadcnt_dscnt 0xa00
	v_mul_f64_e32 v[184:185], v[4:5], v[14:15]
	v_add_f64_e32 v[188:189], v[176:177], v[174:175]
	v_mul_f64_e32 v[14:15], v[6:7], v[14:15]
	ds_load_b128 v[174:177], v2 offset:1312
	v_fmac_f64_e32 v[180:181], v[168:169], v[8:9]
	v_fma_f64 v[166:167], v[166:167], v[8:9], -v[10:11]
	scratch_load_b128 v[8:11], off, off offset:608
	v_add_f64_e32 v[178:179], v[178:179], v[182:183]
	v_fmac_f64_e32 v[184:185], v[6:7], v[12:13]
	v_add_f64_e32 v[168:169], v[188:189], v[186:187]
	v_fma_f64 v[186:187], v[4:5], v[12:13], -v[14:15]
	ds_load_b128 v[4:7], v2 offset:1328
	s_wait_loadcnt_dscnt 0xa01
	v_mul_f64_e32 v[182:183], v[174:175], v[128:129]
	v_mul_f64_e32 v[128:129], v[176:177], v[128:129]
	scratch_load_b128 v[12:15], off, off offset:624
	v_add_f64_e32 v[178:179], v[178:179], v[180:181]
	s_wait_loadcnt_dscnt 0xa00
	v_mul_f64_e32 v[180:181], v[4:5], v[132:133]
	v_add_f64_e32 v[188:189], v[168:169], v[166:167]
	v_mul_f64_e32 v[132:133], v[6:7], v[132:133]
	ds_load_b128 v[166:169], v2 offset:1344
	v_fmac_f64_e32 v[182:183], v[176:177], v[126:127]
	v_fma_f64 v[174:175], v[174:175], v[126:127], -v[128:129]
	scratch_load_b128 v[126:129], off, off offset:640
	v_add_f64_e32 v[178:179], v[178:179], v[184:185]
	v_fmac_f64_e32 v[180:181], v[6:7], v[130:131]
	v_add_f64_e32 v[176:177], v[188:189], v[186:187]
	;; [unrolled: 18-line block ×8, first 2 shown]
	v_fma_f64 v[186:187], v[4:5], v[130:131], -v[132:133]
	ds_load_b128 v[4:7], v2 offset:1552
	s_wait_loadcnt_dscnt 0xa01
	v_mul_f64_e32 v[184:185], v[166:167], v[136:137]
	v_mul_f64_e32 v[136:137], v[168:169], v[136:137]
	scratch_load_b128 v[130:133], off, off offset:848
	v_add_f64_e32 v[178:179], v[178:179], v[182:183]
	s_wait_loadcnt_dscnt 0xa00
	v_mul_f64_e32 v[182:183], v[4:5], v[140:141]
	v_add_f64_e32 v[188:189], v[176:177], v[174:175]
	v_mul_f64_e32 v[140:141], v[6:7], v[140:141]
	ds_load_b128 v[174:177], v2 offset:1568
	v_fmac_f64_e32 v[184:185], v[168:169], v[134:135]
	v_fma_f64 v[134:135], v[166:167], v[134:135], -v[136:137]
	s_wait_loadcnt_dscnt 0x900
	v_mul_f64_e32 v[168:169], v[174:175], v[144:145]
	v_mul_f64_e32 v[144:145], v[176:177], v[144:145]
	v_add_f64_e32 v[166:167], v[178:179], v[180:181]
	v_fmac_f64_e32 v[182:183], v[6:7], v[138:139]
	v_add_f64_e32 v[136:137], v[188:189], v[186:187]
	v_fma_f64 v[138:139], v[4:5], v[138:139], -v[140:141]
	v_fmac_f64_e32 v[168:169], v[176:177], v[142:143]
	v_fma_f64 v[142:143], v[174:175], v[142:143], -v[144:145]
	v_add_f64_e32 v[166:167], v[166:167], v[184:185]
	v_add_f64_e32 v[140:141], v[136:137], v[134:135]
	ds_load_b128 v[4:7], v2 offset:1584
	ds_load_b128 v[134:137], v2 offset:1600
	s_wait_loadcnt_dscnt 0x801
	v_mul_f64_e32 v[178:179], v[4:5], v[148:149]
	v_mul_f64_e32 v[148:149], v[6:7], v[148:149]
	s_wait_loadcnt_dscnt 0x700
	v_mul_f64_e32 v[144:145], v[134:135], v[152:153]
	v_mul_f64_e32 v[152:153], v[136:137], v[152:153]
	v_add_f64_e32 v[138:139], v[140:141], v[138:139]
	v_add_f64_e32 v[140:141], v[166:167], v[182:183]
	v_fmac_f64_e32 v[178:179], v[6:7], v[146:147]
	v_fma_f64 v[146:147], v[4:5], v[146:147], -v[148:149]
	v_fmac_f64_e32 v[144:145], v[136:137], v[150:151]
	v_fma_f64 v[134:135], v[134:135], v[150:151], -v[152:153]
	v_add_f64_e32 v[142:143], v[138:139], v[142:143]
	v_add_f64_e32 v[148:149], v[140:141], v[168:169]
	ds_load_b128 v[4:7], v2 offset:1616
	ds_load_b128 v[138:141], v2 offset:1632
	s_wait_loadcnt_dscnt 0x601
	v_mul_f64_e32 v[166:167], v[4:5], v[160:161]
	v_mul_f64_e32 v[160:161], v[6:7], v[160:161]
	v_add_f64_e32 v[136:137], v[142:143], v[146:147]
	v_add_f64_e32 v[142:143], v[148:149], v[178:179]
	s_wait_loadcnt_dscnt 0x500
	v_mul_f64_e32 v[146:147], v[138:139], v[172:173]
	v_mul_f64_e32 v[148:149], v[140:141], v[172:173]
	v_fmac_f64_e32 v[166:167], v[6:7], v[158:159]
	v_fma_f64 v[150:151], v[4:5], v[158:159], -v[160:161]
	v_add_f64_e32 v[152:153], v[136:137], v[134:135]
	v_add_f64_e32 v[142:143], v[142:143], v[144:145]
	ds_load_b128 v[4:7], v2 offset:1648
	ds_load_b128 v[134:137], v2 offset:1664
	v_fmac_f64_e32 v[146:147], v[140:141], v[170:171]
	v_fma_f64 v[138:139], v[138:139], v[170:171], -v[148:149]
	s_wait_loadcnt_dscnt 0x401
	v_mul_f64_e32 v[144:145], v[4:5], v[156:157]
	v_mul_f64_e32 v[156:157], v[6:7], v[156:157]
	s_wait_loadcnt_dscnt 0x300
	v_mul_f64_e32 v[148:149], v[134:135], v[10:11]
	v_mul_f64_e32 v[10:11], v[136:137], v[10:11]
	v_add_f64_e32 v[140:141], v[152:153], v[150:151]
	v_add_f64_e32 v[142:143], v[142:143], v[166:167]
	v_fmac_f64_e32 v[144:145], v[6:7], v[154:155]
	v_fma_f64 v[150:151], v[4:5], v[154:155], -v[156:157]
	v_fmac_f64_e32 v[148:149], v[136:137], v[8:9]
	v_fma_f64 v[8:9], v[134:135], v[8:9], -v[10:11]
	v_add_f64_e32 v[152:153], v[140:141], v[138:139]
	v_add_f64_e32 v[142:143], v[142:143], v[146:147]
	ds_load_b128 v[4:7], v2 offset:1680
	ds_load_b128 v[138:141], v2 offset:1696
	s_wait_loadcnt_dscnt 0x201
	v_mul_f64_e32 v[146:147], v[4:5], v[14:15]
	v_mul_f64_e32 v[14:15], v[6:7], v[14:15]
	s_wait_loadcnt_dscnt 0x100
	v_mul_f64_e32 v[136:137], v[138:139], v[128:129]
	v_mul_f64_e32 v[128:129], v[140:141], v[128:129]
	v_add_f64_e32 v[10:11], v[152:153], v[150:151]
	v_add_f64_e32 v[134:135], v[142:143], v[144:145]
	v_fmac_f64_e32 v[146:147], v[6:7], v[12:13]
	v_fma_f64 v[12:13], v[4:5], v[12:13], -v[14:15]
	ds_load_b128 v[4:7], v2 offset:1712
	v_fmac_f64_e32 v[136:137], v[140:141], v[126:127]
	v_fma_f64 v[126:127], v[138:139], v[126:127], -v[128:129]
	v_add_f64_e32 v[8:9], v[10:11], v[8:9]
	v_add_f64_e32 v[10:11], v[134:135], v[148:149]
	s_wait_loadcnt_dscnt 0x0
	v_mul_f64_e32 v[14:15], v[4:5], v[132:133]
	v_mul_f64_e32 v[132:133], v[6:7], v[132:133]
	s_delay_alu instid0(VALU_DEP_4) | instskip(NEXT) | instid1(VALU_DEP_4)
	v_add_f64_e32 v[8:9], v[8:9], v[12:13]
	v_add_f64_e32 v[10:11], v[10:11], v[146:147]
	s_delay_alu instid0(VALU_DEP_4) | instskip(NEXT) | instid1(VALU_DEP_4)
	v_fmac_f64_e32 v[14:15], v[6:7], v[130:131]
	v_fma_f64 v[4:5], v[4:5], v[130:131], -v[132:133]
	s_delay_alu instid0(VALU_DEP_4) | instskip(NEXT) | instid1(VALU_DEP_4)
	v_add_f64_e32 v[6:7], v[8:9], v[126:127]
	v_add_f64_e32 v[8:9], v[10:11], v[136:137]
	s_delay_alu instid0(VALU_DEP_2) | instskip(NEXT) | instid1(VALU_DEP_2)
	v_add_f64_e32 v[4:5], v[6:7], v[4:5]
	v_add_f64_e32 v[6:7], v[8:9], v[14:15]
	s_delay_alu instid0(VALU_DEP_2) | instskip(NEXT) | instid1(VALU_DEP_2)
	v_add_f64_e64 v[4:5], v[162:163], -v[4:5]
	v_add_f64_e64 v[6:7], v[164:165], -v[6:7]
	scratch_store_b128 off, v[4:7], off offset:192
	s_wait_xcnt 0x0
	v_cmpx_lt_u32_e32 11, v1
	s_cbranch_execz .LBB53_315
; %bb.314:
	scratch_load_b128 v[6:9], off, s59
	v_dual_mov_b32 v3, v2 :: v_dual_mov_b32 v4, v2
	v_mov_b32_e32 v5, v2
	scratch_store_b128 off, v[2:5], off offset:176
	s_wait_loadcnt 0x0
	ds_store_b128 v124, v[6:9]
.LBB53_315:
	s_wait_xcnt 0x0
	s_or_b32 exec_lo, exec_lo, s2
	s_wait_storecnt_dscnt 0x0
	s_barrier_signal -1
	s_barrier_wait -1
	s_clause 0x9
	scratch_load_b128 v[4:7], off, off offset:192
	scratch_load_b128 v[8:11], off, off offset:208
	;; [unrolled: 1-line block ×10, first 2 shown]
	ds_load_b128 v[154:157], v2 offset:1056
	ds_load_b128 v[162:165], v2 offset:1072
	s_clause 0x2
	scratch_load_b128 v[158:161], off, off offset:352
	scratch_load_b128 v[166:169], off, off offset:176
	;; [unrolled: 1-line block ×3, first 2 shown]
	s_mov_b32 s2, exec_lo
	s_wait_loadcnt_dscnt 0xc01
	v_mul_f64_e32 v[174:175], v[156:157], v[6:7]
	v_mul_f64_e32 v[178:179], v[154:155], v[6:7]
	s_wait_loadcnt_dscnt 0xb00
	v_mul_f64_e32 v[180:181], v[162:163], v[10:11]
	v_mul_f64_e32 v[10:11], v[164:165], v[10:11]
	s_delay_alu instid0(VALU_DEP_4) | instskip(NEXT) | instid1(VALU_DEP_4)
	v_fma_f64 v[182:183], v[154:155], v[4:5], -v[174:175]
	v_fmac_f64_e32 v[178:179], v[156:157], v[4:5]
	ds_load_b128 v[4:7], v2 offset:1088
	ds_load_b128 v[154:157], v2 offset:1104
	scratch_load_b128 v[174:177], off, off offset:384
	v_fmac_f64_e32 v[180:181], v[164:165], v[8:9]
	v_fma_f64 v[162:163], v[162:163], v[8:9], -v[10:11]
	scratch_load_b128 v[8:11], off, off offset:400
	s_wait_loadcnt_dscnt 0xc01
	v_mul_f64_e32 v[184:185], v[4:5], v[14:15]
	v_mul_f64_e32 v[14:15], v[6:7], v[14:15]
	v_add_f64_e32 v[164:165], 0, v[182:183]
	v_add_f64_e32 v[178:179], 0, v[178:179]
	s_wait_loadcnt_dscnt 0xb00
	v_mul_f64_e32 v[182:183], v[154:155], v[128:129]
	v_mul_f64_e32 v[128:129], v[156:157], v[128:129]
	v_fmac_f64_e32 v[184:185], v[6:7], v[12:13]
	v_fma_f64 v[186:187], v[4:5], v[12:13], -v[14:15]
	ds_load_b128 v[4:7], v2 offset:1120
	ds_load_b128 v[12:15], v2 offset:1136
	v_add_f64_e32 v[188:189], v[164:165], v[162:163]
	v_add_f64_e32 v[178:179], v[178:179], v[180:181]
	scratch_load_b128 v[162:165], off, off offset:416
	v_fmac_f64_e32 v[182:183], v[156:157], v[126:127]
	v_fma_f64 v[154:155], v[154:155], v[126:127], -v[128:129]
	scratch_load_b128 v[126:129], off, off offset:432
	s_wait_loadcnt_dscnt 0xc01
	v_mul_f64_e32 v[180:181], v[4:5], v[132:133]
	v_mul_f64_e32 v[132:133], v[6:7], v[132:133]
	v_add_f64_e32 v[156:157], v[188:189], v[186:187]
	v_add_f64_e32 v[178:179], v[178:179], v[184:185]
	s_wait_loadcnt_dscnt 0xb00
	v_mul_f64_e32 v[184:185], v[12:13], v[136:137]
	v_mul_f64_e32 v[136:137], v[14:15], v[136:137]
	v_fmac_f64_e32 v[180:181], v[6:7], v[130:131]
	v_fma_f64 v[186:187], v[4:5], v[130:131], -v[132:133]
	ds_load_b128 v[4:7], v2 offset:1152
	ds_load_b128 v[130:133], v2 offset:1168
	v_add_f64_e32 v[188:189], v[156:157], v[154:155]
	v_add_f64_e32 v[178:179], v[178:179], v[182:183]
	scratch_load_b128 v[154:157], off, off offset:448
	s_wait_loadcnt_dscnt 0xb01
	v_mul_f64_e32 v[182:183], v[4:5], v[140:141]
	v_mul_f64_e32 v[140:141], v[6:7], v[140:141]
	v_fmac_f64_e32 v[184:185], v[14:15], v[134:135]
	v_fma_f64 v[134:135], v[12:13], v[134:135], -v[136:137]
	scratch_load_b128 v[12:15], off, off offset:464
	v_add_f64_e32 v[136:137], v[188:189], v[186:187]
	v_add_f64_e32 v[178:179], v[178:179], v[180:181]
	s_wait_loadcnt_dscnt 0xb00
	v_mul_f64_e32 v[180:181], v[130:131], v[144:145]
	v_mul_f64_e32 v[144:145], v[132:133], v[144:145]
	v_fmac_f64_e32 v[182:183], v[6:7], v[138:139]
	v_fma_f64 v[186:187], v[4:5], v[138:139], -v[140:141]
	v_add_f64_e32 v[188:189], v[136:137], v[134:135]
	v_add_f64_e32 v[178:179], v[178:179], v[184:185]
	ds_load_b128 v[4:7], v2 offset:1184
	ds_load_b128 v[134:137], v2 offset:1200
	scratch_load_b128 v[138:141], off, off offset:480
	v_fmac_f64_e32 v[180:181], v[132:133], v[142:143]
	v_fma_f64 v[142:143], v[130:131], v[142:143], -v[144:145]
	scratch_load_b128 v[130:133], off, off offset:496
	s_wait_loadcnt_dscnt 0xc01
	v_mul_f64_e32 v[184:185], v[4:5], v[148:149]
	v_mul_f64_e32 v[148:149], v[6:7], v[148:149]
	v_add_f64_e32 v[144:145], v[188:189], v[186:187]
	v_add_f64_e32 v[178:179], v[178:179], v[182:183]
	s_wait_loadcnt_dscnt 0xb00
	v_mul_f64_e32 v[182:183], v[134:135], v[152:153]
	v_mul_f64_e32 v[152:153], v[136:137], v[152:153]
	v_fmac_f64_e32 v[184:185], v[6:7], v[146:147]
	v_fma_f64 v[186:187], v[4:5], v[146:147], -v[148:149]
	v_add_f64_e32 v[188:189], v[144:145], v[142:143]
	v_add_f64_e32 v[178:179], v[178:179], v[180:181]
	ds_load_b128 v[4:7], v2 offset:1216
	ds_load_b128 v[142:145], v2 offset:1232
	scratch_load_b128 v[146:149], off, off offset:512
	v_fmac_f64_e32 v[182:183], v[136:137], v[150:151]
	v_fma_f64 v[150:151], v[134:135], v[150:151], -v[152:153]
	scratch_load_b128 v[134:137], off, off offset:528
	s_wait_loadcnt_dscnt 0xc01
	v_mul_f64_e32 v[180:181], v[4:5], v[160:161]
	v_mul_f64_e32 v[160:161], v[6:7], v[160:161]
	;; [unrolled: 18-line block ×5, first 2 shown]
	v_add_f64_e32 v[172:173], v[188:189], v[186:187]
	v_add_f64_e32 v[178:179], v[178:179], v[184:185]
	s_wait_loadcnt_dscnt 0xa00
	v_mul_f64_e32 v[184:185], v[150:151], v[14:15]
	v_mul_f64_e32 v[14:15], v[152:153], v[14:15]
	v_fmac_f64_e32 v[180:181], v[6:7], v[154:155]
	v_fma_f64 v[186:187], v[4:5], v[154:155], -v[156:157]
	ds_load_b128 v[4:7], v2 offset:1344
	ds_load_b128 v[154:157], v2 offset:1360
	v_add_f64_e32 v[188:189], v[172:173], v[170:171]
	v_add_f64_e32 v[178:179], v[178:179], v[182:183]
	scratch_load_b128 v[170:173], off, off offset:640
	v_fmac_f64_e32 v[184:185], v[152:153], v[12:13]
	v_fma_f64 v[150:151], v[150:151], v[12:13], -v[14:15]
	scratch_load_b128 v[12:15], off, off offset:656
	s_wait_loadcnt_dscnt 0xb01
	v_mul_f64_e32 v[182:183], v[4:5], v[140:141]
	v_mul_f64_e32 v[140:141], v[6:7], v[140:141]
	v_add_f64_e32 v[152:153], v[188:189], v[186:187]
	v_add_f64_e32 v[178:179], v[178:179], v[180:181]
	s_wait_loadcnt_dscnt 0xa00
	v_mul_f64_e32 v[180:181], v[154:155], v[132:133]
	v_mul_f64_e32 v[132:133], v[156:157], v[132:133]
	v_fmac_f64_e32 v[182:183], v[6:7], v[138:139]
	v_fma_f64 v[186:187], v[4:5], v[138:139], -v[140:141]
	ds_load_b128 v[4:7], v2 offset:1376
	ds_load_b128 v[138:141], v2 offset:1392
	v_add_f64_e32 v[188:189], v[152:153], v[150:151]
	v_add_f64_e32 v[178:179], v[178:179], v[184:185]
	scratch_load_b128 v[150:153], off, off offset:672
	s_wait_loadcnt_dscnt 0xa01
	v_mul_f64_e32 v[184:185], v[4:5], v[148:149]
	v_mul_f64_e32 v[148:149], v[6:7], v[148:149]
	v_fmac_f64_e32 v[180:181], v[156:157], v[130:131]
	v_fma_f64 v[154:155], v[154:155], v[130:131], -v[132:133]
	scratch_load_b128 v[130:133], off, off offset:688
	v_add_f64_e32 v[156:157], v[188:189], v[186:187]
	v_add_f64_e32 v[178:179], v[178:179], v[182:183]
	s_wait_loadcnt_dscnt 0xa00
	v_mul_f64_e32 v[182:183], v[138:139], v[136:137]
	v_mul_f64_e32 v[136:137], v[140:141], v[136:137]
	v_fmac_f64_e32 v[184:185], v[6:7], v[146:147]
	v_fma_f64 v[186:187], v[4:5], v[146:147], -v[148:149]
	ds_load_b128 v[4:7], v2 offset:1408
	ds_load_b128 v[146:149], v2 offset:1424
	v_add_f64_e32 v[188:189], v[156:157], v[154:155]
	v_add_f64_e32 v[178:179], v[178:179], v[180:181]
	scratch_load_b128 v[154:157], off, off offset:704
	s_wait_loadcnt_dscnt 0xa01
	v_mul_f64_e32 v[180:181], v[4:5], v[160:161]
	v_mul_f64_e32 v[160:161], v[6:7], v[160:161]
	v_fmac_f64_e32 v[182:183], v[140:141], v[134:135]
	v_fma_f64 v[138:139], v[138:139], v[134:135], -v[136:137]
	scratch_load_b128 v[134:137], off, off offset:720
	v_add_f64_e32 v[140:141], v[188:189], v[186:187]
	v_add_f64_e32 v[178:179], v[178:179], v[184:185]
	s_wait_loadcnt_dscnt 0xa00
	v_mul_f64_e32 v[184:185], v[146:147], v[144:145]
	v_mul_f64_e32 v[144:145], v[148:149], v[144:145]
	v_fmac_f64_e32 v[180:181], v[6:7], v[158:159]
	v_fma_f64 v[186:187], v[4:5], v[158:159], -v[160:161]
	v_add_f64_e32 v[188:189], v[140:141], v[138:139]
	v_add_f64_e32 v[178:179], v[178:179], v[182:183]
	ds_load_b128 v[4:7], v2 offset:1440
	ds_load_b128 v[138:141], v2 offset:1456
	scratch_load_b128 v[158:161], off, off offset:736
	v_fmac_f64_e32 v[184:185], v[148:149], v[142:143]
	v_fma_f64 v[146:147], v[146:147], v[142:143], -v[144:145]
	scratch_load_b128 v[142:145], off, off offset:752
	s_wait_loadcnt_dscnt 0xb01
	v_mul_f64_e32 v[182:183], v[4:5], v[176:177]
	v_mul_f64_e32 v[176:177], v[6:7], v[176:177]
	v_add_f64_e32 v[148:149], v[188:189], v[186:187]
	v_add_f64_e32 v[178:179], v[178:179], v[180:181]
	s_wait_loadcnt_dscnt 0xa00
	v_mul_f64_e32 v[180:181], v[138:139], v[10:11]
	v_mul_f64_e32 v[10:11], v[140:141], v[10:11]
	v_fmac_f64_e32 v[182:183], v[6:7], v[174:175]
	v_fma_f64 v[186:187], v[4:5], v[174:175], -v[176:177]
	v_add_f64_e32 v[188:189], v[148:149], v[146:147]
	v_add_f64_e32 v[178:179], v[178:179], v[184:185]
	ds_load_b128 v[4:7], v2 offset:1472
	ds_load_b128 v[146:149], v2 offset:1488
	scratch_load_b128 v[174:177], off, off offset:768
	v_fmac_f64_e32 v[180:181], v[140:141], v[8:9]
	v_fma_f64 v[138:139], v[138:139], v[8:9], -v[10:11]
	scratch_load_b128 v[8:11], off, off offset:784
	s_wait_loadcnt_dscnt 0xb01
	v_mul_f64_e32 v[184:185], v[4:5], v[164:165]
	v_mul_f64_e32 v[164:165], v[6:7], v[164:165]
	v_add_f64_e32 v[140:141], v[188:189], v[186:187]
	v_add_f64_e32 v[178:179], v[178:179], v[182:183]
	s_wait_loadcnt_dscnt 0xa00
	v_mul_f64_e32 v[182:183], v[146:147], v[128:129]
	v_mul_f64_e32 v[128:129], v[148:149], v[128:129]
	v_fmac_f64_e32 v[184:185], v[6:7], v[162:163]
	v_fma_f64 v[186:187], v[4:5], v[162:163], -v[164:165]
	v_add_f64_e32 v[188:189], v[140:141], v[138:139]
	v_add_f64_e32 v[178:179], v[178:179], v[180:181]
	ds_load_b128 v[4:7], v2 offset:1504
	ds_load_b128 v[138:141], v2 offset:1520
	scratch_load_b128 v[162:165], off, off offset:800
	v_fmac_f64_e32 v[182:183], v[148:149], v[126:127]
	v_fma_f64 v[146:147], v[146:147], v[126:127], -v[128:129]
	scratch_load_b128 v[126:129], off, off offset:816
	s_wait_loadcnt_dscnt 0xb01
	v_mul_f64_e32 v[180:181], v[4:5], v[172:173]
	v_mul_f64_e32 v[172:173], v[6:7], v[172:173]
	v_add_f64_e32 v[148:149], v[188:189], v[186:187]
	v_add_f64_e32 v[178:179], v[178:179], v[184:185]
	s_wait_loadcnt_dscnt 0xa00
	v_mul_f64_e32 v[184:185], v[138:139], v[14:15]
	v_mul_f64_e32 v[14:15], v[140:141], v[14:15]
	v_fmac_f64_e32 v[180:181], v[6:7], v[170:171]
	v_fma_f64 v[186:187], v[4:5], v[170:171], -v[172:173]
	v_add_f64_e32 v[188:189], v[148:149], v[146:147]
	v_add_f64_e32 v[178:179], v[178:179], v[182:183]
	ds_load_b128 v[4:7], v2 offset:1536
	ds_load_b128 v[146:149], v2 offset:1552
	scratch_load_b128 v[170:173], off, off offset:832
	v_fmac_f64_e32 v[184:185], v[140:141], v[12:13]
	v_fma_f64 v[138:139], v[138:139], v[12:13], -v[14:15]
	scratch_load_b128 v[12:15], off, off offset:848
	s_wait_loadcnt_dscnt 0xb01
	v_mul_f64_e32 v[182:183], v[4:5], v[152:153]
	v_mul_f64_e32 v[152:153], v[6:7], v[152:153]
	v_add_f64_e32 v[140:141], v[188:189], v[186:187]
	v_add_f64_e32 v[178:179], v[178:179], v[180:181]
	s_wait_loadcnt_dscnt 0xa00
	v_mul_f64_e32 v[180:181], v[146:147], v[132:133]
	v_mul_f64_e32 v[132:133], v[148:149], v[132:133]
	v_fmac_f64_e32 v[182:183], v[6:7], v[150:151]
	v_fma_f64 v[150:151], v[4:5], v[150:151], -v[152:153]
	v_add_f64_e32 v[152:153], v[140:141], v[138:139]
	v_add_f64_e32 v[178:179], v[178:179], v[184:185]
	ds_load_b128 v[4:7], v2 offset:1568
	ds_load_b128 v[138:141], v2 offset:1584
	v_fmac_f64_e32 v[180:181], v[148:149], v[130:131]
	v_fma_f64 v[130:131], v[146:147], v[130:131], -v[132:133]
	s_wait_loadcnt_dscnt 0x901
	v_mul_f64_e32 v[184:185], v[4:5], v[156:157]
	v_mul_f64_e32 v[156:157], v[6:7], v[156:157]
	s_wait_loadcnt_dscnt 0x800
	v_mul_f64_e32 v[148:149], v[138:139], v[136:137]
	v_mul_f64_e32 v[136:137], v[140:141], v[136:137]
	v_add_f64_e32 v[132:133], v[152:153], v[150:151]
	v_add_f64_e32 v[146:147], v[178:179], v[182:183]
	v_fmac_f64_e32 v[184:185], v[6:7], v[154:155]
	v_fma_f64 v[150:151], v[4:5], v[154:155], -v[156:157]
	v_fmac_f64_e32 v[148:149], v[140:141], v[134:135]
	v_fma_f64 v[134:135], v[138:139], v[134:135], -v[136:137]
	v_add_f64_e32 v[152:153], v[132:133], v[130:131]
	v_add_f64_e32 v[146:147], v[146:147], v[180:181]
	ds_load_b128 v[4:7], v2 offset:1600
	ds_load_b128 v[130:133], v2 offset:1616
	s_wait_loadcnt_dscnt 0x701
	v_mul_f64_e32 v[154:155], v[4:5], v[160:161]
	v_mul_f64_e32 v[156:157], v[6:7], v[160:161]
	s_wait_loadcnt_dscnt 0x600
	v_mul_f64_e32 v[140:141], v[130:131], v[144:145]
	v_mul_f64_e32 v[144:145], v[132:133], v[144:145]
	v_add_f64_e32 v[136:137], v[152:153], v[150:151]
	v_add_f64_e32 v[138:139], v[146:147], v[184:185]
	v_fmac_f64_e32 v[154:155], v[6:7], v[158:159]
	v_fma_f64 v[146:147], v[4:5], v[158:159], -v[156:157]
	v_fmac_f64_e32 v[140:141], v[132:133], v[142:143]
	v_fma_f64 v[130:131], v[130:131], v[142:143], -v[144:145]
	v_add_f64_e32 v[150:151], v[136:137], v[134:135]
	v_add_f64_e32 v[138:139], v[138:139], v[148:149]
	ds_load_b128 v[4:7], v2 offset:1632
	ds_load_b128 v[134:137], v2 offset:1648
	;; [unrolled: 16-line block ×4, first 2 shown]
	s_wait_loadcnt_dscnt 0x101
	v_mul_f64_e32 v[2:3], v[4:5], v[172:173]
	v_mul_f64_e32 v[142:143], v[6:7], v[172:173]
	s_wait_loadcnt_dscnt 0x0
	v_mul_f64_e32 v[132:133], v[8:9], v[14:15]
	v_mul_f64_e32 v[14:15], v[10:11], v[14:15]
	v_add_f64_e32 v[128:129], v[144:145], v[138:139]
	v_add_f64_e32 v[130:131], v[134:135], v[140:141]
	v_fmac_f64_e32 v[2:3], v[6:7], v[170:171]
	v_fma_f64 v[4:5], v[4:5], v[170:171], -v[142:143]
	v_fmac_f64_e32 v[132:133], v[10:11], v[12:13]
	v_fma_f64 v[8:9], v[8:9], v[12:13], -v[14:15]
	v_add_f64_e32 v[6:7], v[128:129], v[126:127]
	v_add_f64_e32 v[126:127], v[130:131], v[136:137]
	s_delay_alu instid0(VALU_DEP_2) | instskip(NEXT) | instid1(VALU_DEP_2)
	v_add_f64_e32 v[4:5], v[6:7], v[4:5]
	v_add_f64_e32 v[2:3], v[126:127], v[2:3]
	s_delay_alu instid0(VALU_DEP_2) | instskip(NEXT) | instid1(VALU_DEP_2)
	;; [unrolled: 3-line block ×3, first 2 shown]
	v_add_f64_e64 v[2:3], v[166:167], -v[4:5]
	v_add_f64_e64 v[4:5], v[168:169], -v[6:7]
	scratch_store_b128 off, v[2:5], off offset:176
	s_wait_xcnt 0x0
	v_cmpx_lt_u32_e32 10, v1
	s_cbranch_execz .LBB53_317
; %bb.316:
	scratch_load_b128 v[2:5], off, s56
	v_mov_b32_e32 v6, 0
	s_delay_alu instid0(VALU_DEP_1)
	v_dual_mov_b32 v7, v6 :: v_dual_mov_b32 v8, v6
	v_mov_b32_e32 v9, v6
	scratch_store_b128 off, v[6:9], off offset:160
	s_wait_loadcnt 0x0
	ds_store_b128 v124, v[2:5]
.LBB53_317:
	s_wait_xcnt 0x0
	s_or_b32 exec_lo, exec_lo, s2
	s_wait_storecnt_dscnt 0x0
	s_barrier_signal -1
	s_barrier_wait -1
	s_clause 0x9
	scratch_load_b128 v[4:7], off, off offset:176
	scratch_load_b128 v[8:11], off, off offset:192
	;; [unrolled: 1-line block ×10, first 2 shown]
	v_mov_b32_e32 v2, 0
	s_mov_b32 s2, exec_lo
	ds_load_b128 v[154:157], v2 offset:1040
	s_clause 0x2
	scratch_load_b128 v[158:161], off, off offset:336
	scratch_load_b128 v[162:165], off, off offset:160
	;; [unrolled: 1-line block ×3, first 2 shown]
	s_wait_loadcnt_dscnt 0xc00
	v_mul_f64_e32 v[174:175], v[156:157], v[6:7]
	v_mul_f64_e32 v[178:179], v[154:155], v[6:7]
	ds_load_b128 v[166:169], v2 offset:1056
	v_fma_f64 v[182:183], v[154:155], v[4:5], -v[174:175]
	v_fmac_f64_e32 v[178:179], v[156:157], v[4:5]
	ds_load_b128 v[4:7], v2 offset:1072
	s_wait_loadcnt_dscnt 0xb01
	v_mul_f64_e32 v[180:181], v[166:167], v[10:11]
	v_mul_f64_e32 v[10:11], v[168:169], v[10:11]
	scratch_load_b128 v[154:157], off, off offset:368
	ds_load_b128 v[174:177], v2 offset:1088
	s_wait_loadcnt_dscnt 0xb01
	v_mul_f64_e32 v[184:185], v[4:5], v[14:15]
	v_mul_f64_e32 v[14:15], v[6:7], v[14:15]
	v_add_f64_e32 v[178:179], 0, v[178:179]
	v_fmac_f64_e32 v[180:181], v[168:169], v[8:9]
	v_fma_f64 v[166:167], v[166:167], v[8:9], -v[10:11]
	v_add_f64_e32 v[168:169], 0, v[182:183]
	scratch_load_b128 v[8:11], off, off offset:384
	v_fmac_f64_e32 v[184:185], v[6:7], v[12:13]
	v_fma_f64 v[186:187], v[4:5], v[12:13], -v[14:15]
	ds_load_b128 v[4:7], v2 offset:1104
	s_wait_loadcnt_dscnt 0xb01
	v_mul_f64_e32 v[182:183], v[174:175], v[128:129]
	v_mul_f64_e32 v[128:129], v[176:177], v[128:129]
	scratch_load_b128 v[12:15], off, off offset:400
	v_add_f64_e32 v[178:179], v[178:179], v[180:181]
	v_add_f64_e32 v[188:189], v[168:169], v[166:167]
	ds_load_b128 v[166:169], v2 offset:1120
	s_wait_loadcnt_dscnt 0xb01
	v_mul_f64_e32 v[180:181], v[4:5], v[132:133]
	v_mul_f64_e32 v[132:133], v[6:7], v[132:133]
	v_fmac_f64_e32 v[182:183], v[176:177], v[126:127]
	v_fma_f64 v[174:175], v[174:175], v[126:127], -v[128:129]
	scratch_load_b128 v[126:129], off, off offset:416
	v_add_f64_e32 v[178:179], v[178:179], v[184:185]
	v_add_f64_e32 v[176:177], v[188:189], v[186:187]
	v_fmac_f64_e32 v[180:181], v[6:7], v[130:131]
	v_fma_f64 v[186:187], v[4:5], v[130:131], -v[132:133]
	ds_load_b128 v[4:7], v2 offset:1136
	s_wait_loadcnt_dscnt 0xb01
	v_mul_f64_e32 v[184:185], v[166:167], v[136:137]
	v_mul_f64_e32 v[136:137], v[168:169], v[136:137]
	scratch_load_b128 v[130:133], off, off offset:432
	v_add_f64_e32 v[178:179], v[178:179], v[182:183]
	s_wait_loadcnt_dscnt 0xb00
	v_mul_f64_e32 v[182:183], v[4:5], v[140:141]
	v_add_f64_e32 v[188:189], v[176:177], v[174:175]
	v_mul_f64_e32 v[140:141], v[6:7], v[140:141]
	ds_load_b128 v[174:177], v2 offset:1152
	v_fmac_f64_e32 v[184:185], v[168:169], v[134:135]
	v_fma_f64 v[166:167], v[166:167], v[134:135], -v[136:137]
	scratch_load_b128 v[134:137], off, off offset:448
	v_add_f64_e32 v[178:179], v[178:179], v[180:181]
	v_fmac_f64_e32 v[182:183], v[6:7], v[138:139]
	v_add_f64_e32 v[168:169], v[188:189], v[186:187]
	v_fma_f64 v[186:187], v[4:5], v[138:139], -v[140:141]
	ds_load_b128 v[4:7], v2 offset:1168
	s_wait_loadcnt_dscnt 0xb01
	v_mul_f64_e32 v[180:181], v[174:175], v[144:145]
	v_mul_f64_e32 v[144:145], v[176:177], v[144:145]
	scratch_load_b128 v[138:141], off, off offset:464
	v_add_f64_e32 v[178:179], v[178:179], v[184:185]
	s_wait_loadcnt_dscnt 0xb00
	v_mul_f64_e32 v[184:185], v[4:5], v[148:149]
	v_add_f64_e32 v[188:189], v[168:169], v[166:167]
	v_mul_f64_e32 v[148:149], v[6:7], v[148:149]
	ds_load_b128 v[166:169], v2 offset:1184
	v_fmac_f64_e32 v[180:181], v[176:177], v[142:143]
	v_fma_f64 v[174:175], v[174:175], v[142:143], -v[144:145]
	scratch_load_b128 v[142:145], off, off offset:480
	v_add_f64_e32 v[178:179], v[178:179], v[182:183]
	v_fmac_f64_e32 v[184:185], v[6:7], v[146:147]
	v_add_f64_e32 v[176:177], v[188:189], v[186:187]
	v_fma_f64 v[186:187], v[4:5], v[146:147], -v[148:149]
	ds_load_b128 v[4:7], v2 offset:1200
	s_wait_loadcnt_dscnt 0xb01
	v_mul_f64_e32 v[182:183], v[166:167], v[152:153]
	v_mul_f64_e32 v[152:153], v[168:169], v[152:153]
	scratch_load_b128 v[146:149], off, off offset:496
	v_add_f64_e32 v[178:179], v[178:179], v[180:181]
	s_wait_loadcnt_dscnt 0xb00
	v_mul_f64_e32 v[180:181], v[4:5], v[160:161]
	v_add_f64_e32 v[188:189], v[176:177], v[174:175]
	v_mul_f64_e32 v[160:161], v[6:7], v[160:161]
	ds_load_b128 v[174:177], v2 offset:1216
	v_fmac_f64_e32 v[182:183], v[168:169], v[150:151]
	v_fma_f64 v[166:167], v[166:167], v[150:151], -v[152:153]
	scratch_load_b128 v[150:153], off, off offset:512
	v_add_f64_e32 v[178:179], v[178:179], v[184:185]
	v_fmac_f64_e32 v[180:181], v[6:7], v[158:159]
	v_add_f64_e32 v[168:169], v[188:189], v[186:187]
	v_fma_f64 v[186:187], v[4:5], v[158:159], -v[160:161]
	ds_load_b128 v[4:7], v2 offset:1232
	s_wait_loadcnt_dscnt 0xa01
	v_mul_f64_e32 v[184:185], v[174:175], v[172:173]
	v_mul_f64_e32 v[172:173], v[176:177], v[172:173]
	scratch_load_b128 v[158:161], off, off offset:528
	v_add_f64_e32 v[178:179], v[178:179], v[182:183]
	v_add_f64_e32 v[188:189], v[168:169], v[166:167]
	s_wait_loadcnt_dscnt 0xa00
	v_mul_f64_e32 v[182:183], v[4:5], v[156:157]
	v_mul_f64_e32 v[156:157], v[6:7], v[156:157]
	v_fmac_f64_e32 v[184:185], v[176:177], v[170:171]
	v_fma_f64 v[174:175], v[174:175], v[170:171], -v[172:173]
	ds_load_b128 v[166:169], v2 offset:1248
	scratch_load_b128 v[170:173], off, off offset:544
	v_add_f64_e32 v[178:179], v[178:179], v[180:181]
	v_add_f64_e32 v[176:177], v[188:189], v[186:187]
	v_fmac_f64_e32 v[182:183], v[6:7], v[154:155]
	v_fma_f64 v[186:187], v[4:5], v[154:155], -v[156:157]
	ds_load_b128 v[4:7], v2 offset:1264
	s_wait_loadcnt_dscnt 0xa01
	v_mul_f64_e32 v[180:181], v[166:167], v[10:11]
	v_mul_f64_e32 v[10:11], v[168:169], v[10:11]
	scratch_load_b128 v[154:157], off, off offset:560
	v_add_f64_e32 v[178:179], v[178:179], v[184:185]
	s_wait_loadcnt_dscnt 0xa00
	v_mul_f64_e32 v[184:185], v[4:5], v[14:15]
	v_add_f64_e32 v[188:189], v[176:177], v[174:175]
	v_mul_f64_e32 v[14:15], v[6:7], v[14:15]
	ds_load_b128 v[174:177], v2 offset:1280
	v_fmac_f64_e32 v[180:181], v[168:169], v[8:9]
	v_fma_f64 v[166:167], v[166:167], v[8:9], -v[10:11]
	scratch_load_b128 v[8:11], off, off offset:576
	v_add_f64_e32 v[178:179], v[178:179], v[182:183]
	v_fmac_f64_e32 v[184:185], v[6:7], v[12:13]
	v_add_f64_e32 v[168:169], v[188:189], v[186:187]
	v_fma_f64 v[186:187], v[4:5], v[12:13], -v[14:15]
	ds_load_b128 v[4:7], v2 offset:1296
	s_wait_loadcnt_dscnt 0xa01
	v_mul_f64_e32 v[182:183], v[174:175], v[128:129]
	v_mul_f64_e32 v[128:129], v[176:177], v[128:129]
	scratch_load_b128 v[12:15], off, off offset:592
	v_add_f64_e32 v[178:179], v[178:179], v[180:181]
	s_wait_loadcnt_dscnt 0xa00
	v_mul_f64_e32 v[180:181], v[4:5], v[132:133]
	v_add_f64_e32 v[188:189], v[168:169], v[166:167]
	v_mul_f64_e32 v[132:133], v[6:7], v[132:133]
	ds_load_b128 v[166:169], v2 offset:1312
	v_fmac_f64_e32 v[182:183], v[176:177], v[126:127]
	v_fma_f64 v[174:175], v[174:175], v[126:127], -v[128:129]
	scratch_load_b128 v[126:129], off, off offset:608
	v_add_f64_e32 v[178:179], v[178:179], v[184:185]
	v_fmac_f64_e32 v[180:181], v[6:7], v[130:131]
	v_add_f64_e32 v[176:177], v[188:189], v[186:187]
	;; [unrolled: 18-line block ×9, first 2 shown]
	v_fma_f64 v[186:187], v[4:5], v[138:139], -v[140:141]
	ds_load_b128 v[4:7], v2 offset:1552
	s_wait_loadcnt_dscnt 0xa01
	v_mul_f64_e32 v[180:181], v[174:175], v[144:145]
	v_mul_f64_e32 v[144:145], v[176:177], v[144:145]
	scratch_load_b128 v[138:141], off, off offset:848
	v_add_f64_e32 v[178:179], v[178:179], v[184:185]
	s_wait_loadcnt_dscnt 0xa00
	v_mul_f64_e32 v[184:185], v[4:5], v[148:149]
	v_add_f64_e32 v[188:189], v[168:169], v[166:167]
	v_mul_f64_e32 v[148:149], v[6:7], v[148:149]
	ds_load_b128 v[166:169], v2 offset:1568
	v_fmac_f64_e32 v[180:181], v[176:177], v[142:143]
	v_fma_f64 v[142:143], v[174:175], v[142:143], -v[144:145]
	s_wait_loadcnt_dscnt 0x900
	v_mul_f64_e32 v[176:177], v[166:167], v[152:153]
	v_mul_f64_e32 v[152:153], v[168:169], v[152:153]
	v_add_f64_e32 v[174:175], v[178:179], v[182:183]
	v_fmac_f64_e32 v[184:185], v[6:7], v[146:147]
	v_add_f64_e32 v[144:145], v[188:189], v[186:187]
	v_fma_f64 v[146:147], v[4:5], v[146:147], -v[148:149]
	v_fmac_f64_e32 v[176:177], v[168:169], v[150:151]
	v_fma_f64 v[150:151], v[166:167], v[150:151], -v[152:153]
	v_add_f64_e32 v[174:175], v[174:175], v[180:181]
	v_add_f64_e32 v[148:149], v[144:145], v[142:143]
	ds_load_b128 v[4:7], v2 offset:1584
	ds_load_b128 v[142:145], v2 offset:1600
	s_wait_loadcnt_dscnt 0x801
	v_mul_f64_e32 v[178:179], v[4:5], v[160:161]
	v_mul_f64_e32 v[160:161], v[6:7], v[160:161]
	s_wait_loadcnt_dscnt 0x700
	v_mul_f64_e32 v[152:153], v[142:143], v[172:173]
	v_mul_f64_e32 v[166:167], v[144:145], v[172:173]
	v_add_f64_e32 v[146:147], v[148:149], v[146:147]
	v_add_f64_e32 v[148:149], v[174:175], v[184:185]
	v_fmac_f64_e32 v[178:179], v[6:7], v[158:159]
	v_fma_f64 v[158:159], v[4:5], v[158:159], -v[160:161]
	v_fmac_f64_e32 v[152:153], v[144:145], v[170:171]
	v_fma_f64 v[142:143], v[142:143], v[170:171], -v[166:167]
	v_add_f64_e32 v[150:151], v[146:147], v[150:151]
	v_add_f64_e32 v[160:161], v[148:149], v[176:177]
	ds_load_b128 v[4:7], v2 offset:1616
	ds_load_b128 v[146:149], v2 offset:1632
	s_wait_loadcnt_dscnt 0x601
	v_mul_f64_e32 v[168:169], v[4:5], v[156:157]
	v_mul_f64_e32 v[156:157], v[6:7], v[156:157]
	v_add_f64_e32 v[144:145], v[150:151], v[158:159]
	v_add_f64_e32 v[150:151], v[160:161], v[178:179]
	s_wait_loadcnt_dscnt 0x500
	v_mul_f64_e32 v[158:159], v[146:147], v[10:11]
	v_mul_f64_e32 v[10:11], v[148:149], v[10:11]
	v_fmac_f64_e32 v[168:169], v[6:7], v[154:155]
	v_fma_f64 v[154:155], v[4:5], v[154:155], -v[156:157]
	v_add_f64_e32 v[156:157], v[144:145], v[142:143]
	v_add_f64_e32 v[150:151], v[150:151], v[152:153]
	ds_load_b128 v[4:7], v2 offset:1648
	ds_load_b128 v[142:145], v2 offset:1664
	v_fmac_f64_e32 v[158:159], v[148:149], v[8:9]
	v_fma_f64 v[8:9], v[146:147], v[8:9], -v[10:11]
	s_wait_loadcnt_dscnt 0x401
	v_mul_f64_e32 v[152:153], v[4:5], v[14:15]
	v_mul_f64_e32 v[14:15], v[6:7], v[14:15]
	s_wait_loadcnt_dscnt 0x300
	v_mul_f64_e32 v[148:149], v[142:143], v[128:129]
	v_mul_f64_e32 v[128:129], v[144:145], v[128:129]
	v_add_f64_e32 v[10:11], v[156:157], v[154:155]
	v_add_f64_e32 v[146:147], v[150:151], v[168:169]
	v_fmac_f64_e32 v[152:153], v[6:7], v[12:13]
	v_fma_f64 v[12:13], v[4:5], v[12:13], -v[14:15]
	v_fmac_f64_e32 v[148:149], v[144:145], v[126:127]
	v_fma_f64 v[126:127], v[142:143], v[126:127], -v[128:129]
	v_add_f64_e32 v[14:15], v[10:11], v[8:9]
	v_add_f64_e32 v[146:147], v[146:147], v[158:159]
	ds_load_b128 v[4:7], v2 offset:1680
	ds_load_b128 v[8:11], v2 offset:1696
	s_wait_loadcnt_dscnt 0x201
	v_mul_f64_e32 v[150:151], v[4:5], v[132:133]
	v_mul_f64_e32 v[132:133], v[6:7], v[132:133]
	s_wait_loadcnt_dscnt 0x100
	v_mul_f64_e32 v[128:129], v[8:9], v[136:137]
	v_mul_f64_e32 v[136:137], v[10:11], v[136:137]
	v_add_f64_e32 v[12:13], v[14:15], v[12:13]
	v_add_f64_e32 v[14:15], v[146:147], v[152:153]
	v_fmac_f64_e32 v[150:151], v[6:7], v[130:131]
	v_fma_f64 v[130:131], v[4:5], v[130:131], -v[132:133]
	ds_load_b128 v[4:7], v2 offset:1712
	v_fmac_f64_e32 v[128:129], v[10:11], v[134:135]
	v_fma_f64 v[8:9], v[8:9], v[134:135], -v[136:137]
	v_add_f64_e32 v[12:13], v[12:13], v[126:127]
	v_add_f64_e32 v[14:15], v[14:15], v[148:149]
	s_wait_loadcnt_dscnt 0x0
	v_mul_f64_e32 v[126:127], v[4:5], v[140:141]
	v_mul_f64_e32 v[132:133], v[6:7], v[140:141]
	s_delay_alu instid0(VALU_DEP_4) | instskip(NEXT) | instid1(VALU_DEP_4)
	v_add_f64_e32 v[10:11], v[12:13], v[130:131]
	v_add_f64_e32 v[12:13], v[14:15], v[150:151]
	s_delay_alu instid0(VALU_DEP_4) | instskip(NEXT) | instid1(VALU_DEP_4)
	v_fmac_f64_e32 v[126:127], v[6:7], v[138:139]
	v_fma_f64 v[4:5], v[4:5], v[138:139], -v[132:133]
	s_delay_alu instid0(VALU_DEP_4) | instskip(NEXT) | instid1(VALU_DEP_4)
	v_add_f64_e32 v[6:7], v[10:11], v[8:9]
	v_add_f64_e32 v[8:9], v[12:13], v[128:129]
	s_delay_alu instid0(VALU_DEP_2) | instskip(NEXT) | instid1(VALU_DEP_2)
	v_add_f64_e32 v[4:5], v[6:7], v[4:5]
	v_add_f64_e32 v[6:7], v[8:9], v[126:127]
	s_delay_alu instid0(VALU_DEP_2) | instskip(NEXT) | instid1(VALU_DEP_2)
	v_add_f64_e64 v[4:5], v[162:163], -v[4:5]
	v_add_f64_e64 v[6:7], v[164:165], -v[6:7]
	scratch_store_b128 off, v[4:7], off offset:160
	s_wait_xcnt 0x0
	v_cmpx_lt_u32_e32 9, v1
	s_cbranch_execz .LBB53_319
; %bb.318:
	scratch_load_b128 v[6:9], off, s54
	v_dual_mov_b32 v3, v2 :: v_dual_mov_b32 v4, v2
	v_mov_b32_e32 v5, v2
	scratch_store_b128 off, v[2:5], off offset:144
	s_wait_loadcnt 0x0
	ds_store_b128 v124, v[6:9]
.LBB53_319:
	s_wait_xcnt 0x0
	s_or_b32 exec_lo, exec_lo, s2
	s_wait_storecnt_dscnt 0x0
	s_barrier_signal -1
	s_barrier_wait -1
	s_clause 0x9
	scratch_load_b128 v[4:7], off, off offset:160
	scratch_load_b128 v[8:11], off, off offset:176
	;; [unrolled: 1-line block ×10, first 2 shown]
	ds_load_b128 v[154:157], v2 offset:1024
	ds_load_b128 v[162:165], v2 offset:1040
	s_clause 0x2
	scratch_load_b128 v[158:161], off, off offset:320
	scratch_load_b128 v[166:169], off, off offset:144
	;; [unrolled: 1-line block ×3, first 2 shown]
	s_mov_b32 s2, exec_lo
	s_wait_loadcnt_dscnt 0xc01
	v_mul_f64_e32 v[174:175], v[156:157], v[6:7]
	v_mul_f64_e32 v[178:179], v[154:155], v[6:7]
	s_wait_loadcnt_dscnt 0xb00
	v_mul_f64_e32 v[180:181], v[162:163], v[10:11]
	v_mul_f64_e32 v[10:11], v[164:165], v[10:11]
	s_delay_alu instid0(VALU_DEP_4) | instskip(NEXT) | instid1(VALU_DEP_4)
	v_fma_f64 v[182:183], v[154:155], v[4:5], -v[174:175]
	v_fmac_f64_e32 v[178:179], v[156:157], v[4:5]
	ds_load_b128 v[4:7], v2 offset:1056
	ds_load_b128 v[154:157], v2 offset:1072
	scratch_load_b128 v[174:177], off, off offset:352
	v_fmac_f64_e32 v[180:181], v[164:165], v[8:9]
	v_fma_f64 v[162:163], v[162:163], v[8:9], -v[10:11]
	scratch_load_b128 v[8:11], off, off offset:368
	s_wait_loadcnt_dscnt 0xc01
	v_mul_f64_e32 v[184:185], v[4:5], v[14:15]
	v_mul_f64_e32 v[14:15], v[6:7], v[14:15]
	v_add_f64_e32 v[164:165], 0, v[182:183]
	v_add_f64_e32 v[178:179], 0, v[178:179]
	s_wait_loadcnt_dscnt 0xb00
	v_mul_f64_e32 v[182:183], v[154:155], v[128:129]
	v_mul_f64_e32 v[128:129], v[156:157], v[128:129]
	v_fmac_f64_e32 v[184:185], v[6:7], v[12:13]
	v_fma_f64 v[186:187], v[4:5], v[12:13], -v[14:15]
	ds_load_b128 v[4:7], v2 offset:1088
	ds_load_b128 v[12:15], v2 offset:1104
	v_add_f64_e32 v[188:189], v[164:165], v[162:163]
	v_add_f64_e32 v[178:179], v[178:179], v[180:181]
	scratch_load_b128 v[162:165], off, off offset:384
	v_fmac_f64_e32 v[182:183], v[156:157], v[126:127]
	v_fma_f64 v[154:155], v[154:155], v[126:127], -v[128:129]
	scratch_load_b128 v[126:129], off, off offset:400
	s_wait_loadcnt_dscnt 0xc01
	v_mul_f64_e32 v[180:181], v[4:5], v[132:133]
	v_mul_f64_e32 v[132:133], v[6:7], v[132:133]
	v_add_f64_e32 v[156:157], v[188:189], v[186:187]
	v_add_f64_e32 v[178:179], v[178:179], v[184:185]
	s_wait_loadcnt_dscnt 0xb00
	v_mul_f64_e32 v[184:185], v[12:13], v[136:137]
	v_mul_f64_e32 v[136:137], v[14:15], v[136:137]
	v_fmac_f64_e32 v[180:181], v[6:7], v[130:131]
	v_fma_f64 v[186:187], v[4:5], v[130:131], -v[132:133]
	ds_load_b128 v[4:7], v2 offset:1120
	ds_load_b128 v[130:133], v2 offset:1136
	v_add_f64_e32 v[188:189], v[156:157], v[154:155]
	v_add_f64_e32 v[178:179], v[178:179], v[182:183]
	scratch_load_b128 v[154:157], off, off offset:416
	s_wait_loadcnt_dscnt 0xb01
	v_mul_f64_e32 v[182:183], v[4:5], v[140:141]
	v_mul_f64_e32 v[140:141], v[6:7], v[140:141]
	v_fmac_f64_e32 v[184:185], v[14:15], v[134:135]
	v_fma_f64 v[134:135], v[12:13], v[134:135], -v[136:137]
	scratch_load_b128 v[12:15], off, off offset:432
	v_add_f64_e32 v[136:137], v[188:189], v[186:187]
	v_add_f64_e32 v[178:179], v[178:179], v[180:181]
	s_wait_loadcnt_dscnt 0xb00
	v_mul_f64_e32 v[180:181], v[130:131], v[144:145]
	v_mul_f64_e32 v[144:145], v[132:133], v[144:145]
	v_fmac_f64_e32 v[182:183], v[6:7], v[138:139]
	v_fma_f64 v[186:187], v[4:5], v[138:139], -v[140:141]
	v_add_f64_e32 v[188:189], v[136:137], v[134:135]
	v_add_f64_e32 v[178:179], v[178:179], v[184:185]
	ds_load_b128 v[4:7], v2 offset:1152
	ds_load_b128 v[134:137], v2 offset:1168
	scratch_load_b128 v[138:141], off, off offset:448
	v_fmac_f64_e32 v[180:181], v[132:133], v[142:143]
	v_fma_f64 v[142:143], v[130:131], v[142:143], -v[144:145]
	scratch_load_b128 v[130:133], off, off offset:464
	s_wait_loadcnt_dscnt 0xc01
	v_mul_f64_e32 v[184:185], v[4:5], v[148:149]
	v_mul_f64_e32 v[148:149], v[6:7], v[148:149]
	v_add_f64_e32 v[144:145], v[188:189], v[186:187]
	v_add_f64_e32 v[178:179], v[178:179], v[182:183]
	s_wait_loadcnt_dscnt 0xb00
	v_mul_f64_e32 v[182:183], v[134:135], v[152:153]
	v_mul_f64_e32 v[152:153], v[136:137], v[152:153]
	v_fmac_f64_e32 v[184:185], v[6:7], v[146:147]
	v_fma_f64 v[186:187], v[4:5], v[146:147], -v[148:149]
	v_add_f64_e32 v[188:189], v[144:145], v[142:143]
	v_add_f64_e32 v[178:179], v[178:179], v[180:181]
	ds_load_b128 v[4:7], v2 offset:1184
	ds_load_b128 v[142:145], v2 offset:1200
	scratch_load_b128 v[146:149], off, off offset:480
	v_fmac_f64_e32 v[182:183], v[136:137], v[150:151]
	v_fma_f64 v[150:151], v[134:135], v[150:151], -v[152:153]
	scratch_load_b128 v[134:137], off, off offset:496
	s_wait_loadcnt_dscnt 0xc01
	v_mul_f64_e32 v[180:181], v[4:5], v[160:161]
	v_mul_f64_e32 v[160:161], v[6:7], v[160:161]
	;; [unrolled: 18-line block ×5, first 2 shown]
	v_add_f64_e32 v[172:173], v[188:189], v[186:187]
	v_add_f64_e32 v[178:179], v[178:179], v[184:185]
	s_wait_loadcnt_dscnt 0xa00
	v_mul_f64_e32 v[184:185], v[150:151], v[14:15]
	v_mul_f64_e32 v[14:15], v[152:153], v[14:15]
	v_fmac_f64_e32 v[180:181], v[6:7], v[154:155]
	v_fma_f64 v[186:187], v[4:5], v[154:155], -v[156:157]
	ds_load_b128 v[4:7], v2 offset:1312
	ds_load_b128 v[154:157], v2 offset:1328
	v_add_f64_e32 v[188:189], v[172:173], v[170:171]
	v_add_f64_e32 v[178:179], v[178:179], v[182:183]
	scratch_load_b128 v[170:173], off, off offset:608
	v_fmac_f64_e32 v[184:185], v[152:153], v[12:13]
	v_fma_f64 v[150:151], v[150:151], v[12:13], -v[14:15]
	scratch_load_b128 v[12:15], off, off offset:624
	s_wait_loadcnt_dscnt 0xb01
	v_mul_f64_e32 v[182:183], v[4:5], v[140:141]
	v_mul_f64_e32 v[140:141], v[6:7], v[140:141]
	v_add_f64_e32 v[152:153], v[188:189], v[186:187]
	v_add_f64_e32 v[178:179], v[178:179], v[180:181]
	s_wait_loadcnt_dscnt 0xa00
	v_mul_f64_e32 v[180:181], v[154:155], v[132:133]
	v_mul_f64_e32 v[132:133], v[156:157], v[132:133]
	v_fmac_f64_e32 v[182:183], v[6:7], v[138:139]
	v_fma_f64 v[186:187], v[4:5], v[138:139], -v[140:141]
	ds_load_b128 v[4:7], v2 offset:1344
	ds_load_b128 v[138:141], v2 offset:1360
	v_add_f64_e32 v[188:189], v[152:153], v[150:151]
	v_add_f64_e32 v[178:179], v[178:179], v[184:185]
	scratch_load_b128 v[150:153], off, off offset:640
	s_wait_loadcnt_dscnt 0xa01
	v_mul_f64_e32 v[184:185], v[4:5], v[148:149]
	v_mul_f64_e32 v[148:149], v[6:7], v[148:149]
	v_fmac_f64_e32 v[180:181], v[156:157], v[130:131]
	v_fma_f64 v[154:155], v[154:155], v[130:131], -v[132:133]
	scratch_load_b128 v[130:133], off, off offset:656
	v_add_f64_e32 v[156:157], v[188:189], v[186:187]
	v_add_f64_e32 v[178:179], v[178:179], v[182:183]
	s_wait_loadcnt_dscnt 0xa00
	v_mul_f64_e32 v[182:183], v[138:139], v[136:137]
	v_mul_f64_e32 v[136:137], v[140:141], v[136:137]
	v_fmac_f64_e32 v[184:185], v[6:7], v[146:147]
	v_fma_f64 v[186:187], v[4:5], v[146:147], -v[148:149]
	ds_load_b128 v[4:7], v2 offset:1376
	ds_load_b128 v[146:149], v2 offset:1392
	v_add_f64_e32 v[188:189], v[156:157], v[154:155]
	v_add_f64_e32 v[178:179], v[178:179], v[180:181]
	scratch_load_b128 v[154:157], off, off offset:672
	s_wait_loadcnt_dscnt 0xa01
	v_mul_f64_e32 v[180:181], v[4:5], v[160:161]
	v_mul_f64_e32 v[160:161], v[6:7], v[160:161]
	v_fmac_f64_e32 v[182:183], v[140:141], v[134:135]
	v_fma_f64 v[138:139], v[138:139], v[134:135], -v[136:137]
	scratch_load_b128 v[134:137], off, off offset:688
	v_add_f64_e32 v[140:141], v[188:189], v[186:187]
	v_add_f64_e32 v[178:179], v[178:179], v[184:185]
	s_wait_loadcnt_dscnt 0xa00
	v_mul_f64_e32 v[184:185], v[146:147], v[144:145]
	v_mul_f64_e32 v[144:145], v[148:149], v[144:145]
	v_fmac_f64_e32 v[180:181], v[6:7], v[158:159]
	v_fma_f64 v[186:187], v[4:5], v[158:159], -v[160:161]
	v_add_f64_e32 v[188:189], v[140:141], v[138:139]
	v_add_f64_e32 v[178:179], v[178:179], v[182:183]
	ds_load_b128 v[4:7], v2 offset:1408
	ds_load_b128 v[138:141], v2 offset:1424
	scratch_load_b128 v[158:161], off, off offset:704
	v_fmac_f64_e32 v[184:185], v[148:149], v[142:143]
	v_fma_f64 v[146:147], v[146:147], v[142:143], -v[144:145]
	scratch_load_b128 v[142:145], off, off offset:720
	s_wait_loadcnt_dscnt 0xb01
	v_mul_f64_e32 v[182:183], v[4:5], v[176:177]
	v_mul_f64_e32 v[176:177], v[6:7], v[176:177]
	v_add_f64_e32 v[148:149], v[188:189], v[186:187]
	v_add_f64_e32 v[178:179], v[178:179], v[180:181]
	s_wait_loadcnt_dscnt 0xa00
	v_mul_f64_e32 v[180:181], v[138:139], v[10:11]
	v_mul_f64_e32 v[10:11], v[140:141], v[10:11]
	v_fmac_f64_e32 v[182:183], v[6:7], v[174:175]
	v_fma_f64 v[186:187], v[4:5], v[174:175], -v[176:177]
	v_add_f64_e32 v[188:189], v[148:149], v[146:147]
	v_add_f64_e32 v[178:179], v[178:179], v[184:185]
	ds_load_b128 v[4:7], v2 offset:1440
	ds_load_b128 v[146:149], v2 offset:1456
	scratch_load_b128 v[174:177], off, off offset:736
	v_fmac_f64_e32 v[180:181], v[140:141], v[8:9]
	v_fma_f64 v[138:139], v[138:139], v[8:9], -v[10:11]
	scratch_load_b128 v[8:11], off, off offset:752
	s_wait_loadcnt_dscnt 0xb01
	v_mul_f64_e32 v[184:185], v[4:5], v[164:165]
	v_mul_f64_e32 v[164:165], v[6:7], v[164:165]
	;; [unrolled: 18-line block ×5, first 2 shown]
	v_add_f64_e32 v[148:149], v[188:189], v[186:187]
	v_add_f64_e32 v[178:179], v[178:179], v[182:183]
	s_wait_loadcnt_dscnt 0xa00
	v_mul_f64_e32 v[182:183], v[138:139], v[136:137]
	v_mul_f64_e32 v[136:137], v[140:141], v[136:137]
	v_fmac_f64_e32 v[184:185], v[6:7], v[154:155]
	v_fma_f64 v[154:155], v[4:5], v[154:155], -v[156:157]
	v_add_f64_e32 v[156:157], v[148:149], v[146:147]
	v_add_f64_e32 v[178:179], v[178:179], v[180:181]
	ds_load_b128 v[4:7], v2 offset:1568
	ds_load_b128 v[146:149], v2 offset:1584
	v_fmac_f64_e32 v[182:183], v[140:141], v[134:135]
	v_fma_f64 v[134:135], v[138:139], v[134:135], -v[136:137]
	s_wait_loadcnt_dscnt 0x901
	v_mul_f64_e32 v[180:181], v[4:5], v[160:161]
	v_mul_f64_e32 v[160:161], v[6:7], v[160:161]
	s_wait_loadcnt_dscnt 0x800
	v_mul_f64_e32 v[140:141], v[146:147], v[144:145]
	v_mul_f64_e32 v[144:145], v[148:149], v[144:145]
	v_add_f64_e32 v[136:137], v[156:157], v[154:155]
	v_add_f64_e32 v[138:139], v[178:179], v[184:185]
	v_fmac_f64_e32 v[180:181], v[6:7], v[158:159]
	v_fma_f64 v[154:155], v[4:5], v[158:159], -v[160:161]
	v_fmac_f64_e32 v[140:141], v[148:149], v[142:143]
	v_fma_f64 v[142:143], v[146:147], v[142:143], -v[144:145]
	v_add_f64_e32 v[156:157], v[136:137], v[134:135]
	v_add_f64_e32 v[138:139], v[138:139], v[182:183]
	ds_load_b128 v[4:7], v2 offset:1600
	ds_load_b128 v[134:137], v2 offset:1616
	s_wait_loadcnt_dscnt 0x701
	v_mul_f64_e32 v[158:159], v[4:5], v[176:177]
	v_mul_f64_e32 v[160:161], v[6:7], v[176:177]
	s_wait_loadcnt_dscnt 0x600
	v_mul_f64_e32 v[146:147], v[134:135], v[10:11]
	v_mul_f64_e32 v[10:11], v[136:137], v[10:11]
	v_add_f64_e32 v[144:145], v[156:157], v[154:155]
	v_add_f64_e32 v[138:139], v[138:139], v[180:181]
	v_fmac_f64_e32 v[158:159], v[6:7], v[174:175]
	v_fma_f64 v[148:149], v[4:5], v[174:175], -v[160:161]
	v_fmac_f64_e32 v[146:147], v[136:137], v[8:9]
	v_fma_f64 v[8:9], v[134:135], v[8:9], -v[10:11]
	v_add_f64_e32 v[142:143], v[144:145], v[142:143]
	v_add_f64_e32 v[144:145], v[138:139], v[140:141]
	ds_load_b128 v[4:7], v2 offset:1632
	ds_load_b128 v[138:141], v2 offset:1648
	;; [unrolled: 16-line block ×4, first 2 shown]
	s_wait_loadcnt_dscnt 0x101
	v_mul_f64_e32 v[2:3], v[4:5], v[152:153]
	v_mul_f64_e32 v[136:137], v[6:7], v[152:153]
	s_wait_loadcnt_dscnt 0x0
	v_mul_f64_e32 v[14:15], v[126:127], v[132:133]
	v_mul_f64_e32 v[132:133], v[128:129], v[132:133]
	v_add_f64_e32 v[10:11], v[142:143], v[140:141]
	v_add_f64_e32 v[12:13], v[134:135], v[146:147]
	v_fmac_f64_e32 v[2:3], v[6:7], v[150:151]
	v_fma_f64 v[4:5], v[4:5], v[150:151], -v[136:137]
	v_fmac_f64_e32 v[14:15], v[128:129], v[130:131]
	v_add_f64_e32 v[6:7], v[10:11], v[8:9]
	v_add_f64_e32 v[8:9], v[12:13], v[138:139]
	v_fma_f64 v[10:11], v[126:127], v[130:131], -v[132:133]
	s_delay_alu instid0(VALU_DEP_3) | instskip(NEXT) | instid1(VALU_DEP_3)
	v_add_f64_e32 v[4:5], v[6:7], v[4:5]
	v_add_f64_e32 v[2:3], v[8:9], v[2:3]
	s_delay_alu instid0(VALU_DEP_2) | instskip(NEXT) | instid1(VALU_DEP_2)
	v_add_f64_e32 v[4:5], v[4:5], v[10:11]
	v_add_f64_e32 v[6:7], v[2:3], v[14:15]
	s_delay_alu instid0(VALU_DEP_2) | instskip(NEXT) | instid1(VALU_DEP_2)
	v_add_f64_e64 v[2:3], v[166:167], -v[4:5]
	v_add_f64_e64 v[4:5], v[168:169], -v[6:7]
	scratch_store_b128 off, v[2:5], off offset:144
	s_wait_xcnt 0x0
	v_cmpx_lt_u32_e32 8, v1
	s_cbranch_execz .LBB53_321
; %bb.320:
	scratch_load_b128 v[2:5], off, s53
	v_mov_b32_e32 v6, 0
	s_delay_alu instid0(VALU_DEP_1)
	v_dual_mov_b32 v7, v6 :: v_dual_mov_b32 v8, v6
	v_mov_b32_e32 v9, v6
	scratch_store_b128 off, v[6:9], off offset:128
	s_wait_loadcnt 0x0
	ds_store_b128 v124, v[2:5]
.LBB53_321:
	s_wait_xcnt 0x0
	s_or_b32 exec_lo, exec_lo, s2
	s_wait_storecnt_dscnt 0x0
	s_barrier_signal -1
	s_barrier_wait -1
	s_clause 0x9
	scratch_load_b128 v[4:7], off, off offset:144
	scratch_load_b128 v[8:11], off, off offset:160
	;; [unrolled: 1-line block ×10, first 2 shown]
	v_mov_b32_e32 v2, 0
	s_mov_b32 s2, exec_lo
	ds_load_b128 v[154:157], v2 offset:1008
	s_clause 0x2
	scratch_load_b128 v[158:161], off, off offset:304
	scratch_load_b128 v[162:165], off, off offset:128
	;; [unrolled: 1-line block ×3, first 2 shown]
	s_wait_loadcnt_dscnt 0xc00
	v_mul_f64_e32 v[174:175], v[156:157], v[6:7]
	v_mul_f64_e32 v[178:179], v[154:155], v[6:7]
	ds_load_b128 v[166:169], v2 offset:1024
	v_fma_f64 v[182:183], v[154:155], v[4:5], -v[174:175]
	v_fmac_f64_e32 v[178:179], v[156:157], v[4:5]
	ds_load_b128 v[4:7], v2 offset:1040
	s_wait_loadcnt_dscnt 0xb01
	v_mul_f64_e32 v[180:181], v[166:167], v[10:11]
	v_mul_f64_e32 v[10:11], v[168:169], v[10:11]
	scratch_load_b128 v[154:157], off, off offset:336
	ds_load_b128 v[174:177], v2 offset:1056
	s_wait_loadcnt_dscnt 0xb01
	v_mul_f64_e32 v[184:185], v[4:5], v[14:15]
	v_mul_f64_e32 v[14:15], v[6:7], v[14:15]
	v_add_f64_e32 v[178:179], 0, v[178:179]
	v_fmac_f64_e32 v[180:181], v[168:169], v[8:9]
	v_fma_f64 v[166:167], v[166:167], v[8:9], -v[10:11]
	v_add_f64_e32 v[168:169], 0, v[182:183]
	scratch_load_b128 v[8:11], off, off offset:352
	v_fmac_f64_e32 v[184:185], v[6:7], v[12:13]
	v_fma_f64 v[186:187], v[4:5], v[12:13], -v[14:15]
	ds_load_b128 v[4:7], v2 offset:1072
	s_wait_loadcnt_dscnt 0xb01
	v_mul_f64_e32 v[182:183], v[174:175], v[128:129]
	v_mul_f64_e32 v[128:129], v[176:177], v[128:129]
	scratch_load_b128 v[12:15], off, off offset:368
	v_add_f64_e32 v[178:179], v[178:179], v[180:181]
	v_add_f64_e32 v[188:189], v[168:169], v[166:167]
	ds_load_b128 v[166:169], v2 offset:1088
	s_wait_loadcnt_dscnt 0xb01
	v_mul_f64_e32 v[180:181], v[4:5], v[132:133]
	v_mul_f64_e32 v[132:133], v[6:7], v[132:133]
	v_fmac_f64_e32 v[182:183], v[176:177], v[126:127]
	v_fma_f64 v[174:175], v[174:175], v[126:127], -v[128:129]
	scratch_load_b128 v[126:129], off, off offset:384
	v_add_f64_e32 v[178:179], v[178:179], v[184:185]
	v_add_f64_e32 v[176:177], v[188:189], v[186:187]
	v_fmac_f64_e32 v[180:181], v[6:7], v[130:131]
	v_fma_f64 v[186:187], v[4:5], v[130:131], -v[132:133]
	ds_load_b128 v[4:7], v2 offset:1104
	s_wait_loadcnt_dscnt 0xb01
	v_mul_f64_e32 v[184:185], v[166:167], v[136:137]
	v_mul_f64_e32 v[136:137], v[168:169], v[136:137]
	scratch_load_b128 v[130:133], off, off offset:400
	v_add_f64_e32 v[178:179], v[178:179], v[182:183]
	s_wait_loadcnt_dscnt 0xb00
	v_mul_f64_e32 v[182:183], v[4:5], v[140:141]
	v_add_f64_e32 v[188:189], v[176:177], v[174:175]
	v_mul_f64_e32 v[140:141], v[6:7], v[140:141]
	ds_load_b128 v[174:177], v2 offset:1120
	v_fmac_f64_e32 v[184:185], v[168:169], v[134:135]
	v_fma_f64 v[166:167], v[166:167], v[134:135], -v[136:137]
	scratch_load_b128 v[134:137], off, off offset:416
	v_add_f64_e32 v[178:179], v[178:179], v[180:181]
	v_fmac_f64_e32 v[182:183], v[6:7], v[138:139]
	v_add_f64_e32 v[168:169], v[188:189], v[186:187]
	v_fma_f64 v[186:187], v[4:5], v[138:139], -v[140:141]
	ds_load_b128 v[4:7], v2 offset:1136
	s_wait_loadcnt_dscnt 0xb01
	v_mul_f64_e32 v[180:181], v[174:175], v[144:145]
	v_mul_f64_e32 v[144:145], v[176:177], v[144:145]
	scratch_load_b128 v[138:141], off, off offset:432
	v_add_f64_e32 v[178:179], v[178:179], v[184:185]
	s_wait_loadcnt_dscnt 0xb00
	v_mul_f64_e32 v[184:185], v[4:5], v[148:149]
	v_add_f64_e32 v[188:189], v[168:169], v[166:167]
	v_mul_f64_e32 v[148:149], v[6:7], v[148:149]
	ds_load_b128 v[166:169], v2 offset:1152
	v_fmac_f64_e32 v[180:181], v[176:177], v[142:143]
	v_fma_f64 v[174:175], v[174:175], v[142:143], -v[144:145]
	scratch_load_b128 v[142:145], off, off offset:448
	v_add_f64_e32 v[178:179], v[178:179], v[182:183]
	v_fmac_f64_e32 v[184:185], v[6:7], v[146:147]
	v_add_f64_e32 v[176:177], v[188:189], v[186:187]
	;; [unrolled: 18-line block ×3, first 2 shown]
	v_fma_f64 v[186:187], v[4:5], v[158:159], -v[160:161]
	ds_load_b128 v[4:7], v2 offset:1200
	s_wait_loadcnt_dscnt 0xa01
	v_mul_f64_e32 v[184:185], v[174:175], v[172:173]
	v_mul_f64_e32 v[172:173], v[176:177], v[172:173]
	scratch_load_b128 v[158:161], off, off offset:496
	v_add_f64_e32 v[178:179], v[178:179], v[182:183]
	v_add_f64_e32 v[188:189], v[168:169], v[166:167]
	s_wait_loadcnt_dscnt 0xa00
	v_mul_f64_e32 v[182:183], v[4:5], v[156:157]
	v_mul_f64_e32 v[156:157], v[6:7], v[156:157]
	v_fmac_f64_e32 v[184:185], v[176:177], v[170:171]
	v_fma_f64 v[174:175], v[174:175], v[170:171], -v[172:173]
	ds_load_b128 v[166:169], v2 offset:1216
	scratch_load_b128 v[170:173], off, off offset:512
	v_add_f64_e32 v[178:179], v[178:179], v[180:181]
	v_add_f64_e32 v[176:177], v[188:189], v[186:187]
	v_fmac_f64_e32 v[182:183], v[6:7], v[154:155]
	v_fma_f64 v[186:187], v[4:5], v[154:155], -v[156:157]
	ds_load_b128 v[4:7], v2 offset:1232
	s_wait_loadcnt_dscnt 0xa01
	v_mul_f64_e32 v[180:181], v[166:167], v[10:11]
	v_mul_f64_e32 v[10:11], v[168:169], v[10:11]
	scratch_load_b128 v[154:157], off, off offset:528
	v_add_f64_e32 v[178:179], v[178:179], v[184:185]
	s_wait_loadcnt_dscnt 0xa00
	v_mul_f64_e32 v[184:185], v[4:5], v[14:15]
	v_add_f64_e32 v[188:189], v[176:177], v[174:175]
	v_mul_f64_e32 v[14:15], v[6:7], v[14:15]
	ds_load_b128 v[174:177], v2 offset:1248
	v_fmac_f64_e32 v[180:181], v[168:169], v[8:9]
	v_fma_f64 v[166:167], v[166:167], v[8:9], -v[10:11]
	scratch_load_b128 v[8:11], off, off offset:544
	v_add_f64_e32 v[178:179], v[178:179], v[182:183]
	v_fmac_f64_e32 v[184:185], v[6:7], v[12:13]
	v_add_f64_e32 v[168:169], v[188:189], v[186:187]
	v_fma_f64 v[186:187], v[4:5], v[12:13], -v[14:15]
	ds_load_b128 v[4:7], v2 offset:1264
	s_wait_loadcnt_dscnt 0xa01
	v_mul_f64_e32 v[182:183], v[174:175], v[128:129]
	v_mul_f64_e32 v[128:129], v[176:177], v[128:129]
	scratch_load_b128 v[12:15], off, off offset:560
	v_add_f64_e32 v[178:179], v[178:179], v[180:181]
	s_wait_loadcnt_dscnt 0xa00
	v_mul_f64_e32 v[180:181], v[4:5], v[132:133]
	v_add_f64_e32 v[188:189], v[168:169], v[166:167]
	v_mul_f64_e32 v[132:133], v[6:7], v[132:133]
	ds_load_b128 v[166:169], v2 offset:1280
	v_fmac_f64_e32 v[182:183], v[176:177], v[126:127]
	v_fma_f64 v[174:175], v[174:175], v[126:127], -v[128:129]
	scratch_load_b128 v[126:129], off, off offset:576
	v_add_f64_e32 v[178:179], v[178:179], v[184:185]
	v_fmac_f64_e32 v[180:181], v[6:7], v[130:131]
	v_add_f64_e32 v[176:177], v[188:189], v[186:187]
	;; [unrolled: 18-line block ×10, first 2 shown]
	v_fma_f64 v[186:187], v[4:5], v[146:147], -v[148:149]
	ds_load_b128 v[4:7], v2 offset:1552
	s_wait_loadcnt_dscnt 0xa01
	v_mul_f64_e32 v[182:183], v[166:167], v[152:153]
	v_mul_f64_e32 v[152:153], v[168:169], v[152:153]
	scratch_load_b128 v[146:149], off, off offset:848
	v_add_f64_e32 v[178:179], v[178:179], v[180:181]
	s_wait_loadcnt_dscnt 0xa00
	v_mul_f64_e32 v[180:181], v[4:5], v[160:161]
	v_add_f64_e32 v[188:189], v[176:177], v[174:175]
	v_mul_f64_e32 v[160:161], v[6:7], v[160:161]
	ds_load_b128 v[174:177], v2 offset:1568
	v_fmac_f64_e32 v[182:183], v[168:169], v[150:151]
	v_fma_f64 v[150:151], v[166:167], v[150:151], -v[152:153]
	s_wait_loadcnt_dscnt 0x900
	v_mul_f64_e32 v[168:169], v[174:175], v[172:173]
	v_mul_f64_e32 v[172:173], v[176:177], v[172:173]
	v_add_f64_e32 v[166:167], v[178:179], v[184:185]
	v_fmac_f64_e32 v[180:181], v[6:7], v[158:159]
	v_add_f64_e32 v[152:153], v[188:189], v[186:187]
	v_fma_f64 v[158:159], v[4:5], v[158:159], -v[160:161]
	v_fmac_f64_e32 v[168:169], v[176:177], v[170:171]
	v_fma_f64 v[170:171], v[174:175], v[170:171], -v[172:173]
	v_add_f64_e32 v[166:167], v[166:167], v[182:183]
	v_add_f64_e32 v[160:161], v[152:153], v[150:151]
	ds_load_b128 v[4:7], v2 offset:1584
	ds_load_b128 v[150:153], v2 offset:1600
	s_wait_loadcnt_dscnt 0x801
	v_mul_f64_e32 v[178:179], v[4:5], v[156:157]
	v_mul_f64_e32 v[156:157], v[6:7], v[156:157]
	v_add_f64_e32 v[158:159], v[160:161], v[158:159]
	v_add_f64_e32 v[160:161], v[166:167], v[180:181]
	s_wait_loadcnt_dscnt 0x700
	v_mul_f64_e32 v[166:167], v[150:151], v[10:11]
	v_mul_f64_e32 v[10:11], v[152:153], v[10:11]
	v_fmac_f64_e32 v[178:179], v[6:7], v[154:155]
	v_fma_f64 v[172:173], v[4:5], v[154:155], -v[156:157]
	ds_load_b128 v[4:7], v2 offset:1616
	ds_load_b128 v[154:157], v2 offset:1632
	v_add_f64_e32 v[158:159], v[158:159], v[170:171]
	v_add_f64_e32 v[160:161], v[160:161], v[168:169]
	v_fmac_f64_e32 v[166:167], v[152:153], v[8:9]
	v_fma_f64 v[8:9], v[150:151], v[8:9], -v[10:11]
	s_wait_loadcnt_dscnt 0x601
	v_mul_f64_e32 v[168:169], v[4:5], v[14:15]
	v_mul_f64_e32 v[14:15], v[6:7], v[14:15]
	s_wait_loadcnt_dscnt 0x500
	v_mul_f64_e32 v[152:153], v[154:155], v[128:129]
	v_mul_f64_e32 v[128:129], v[156:157], v[128:129]
	v_add_f64_e32 v[10:11], v[158:159], v[172:173]
	v_add_f64_e32 v[150:151], v[160:161], v[178:179]
	v_fmac_f64_e32 v[168:169], v[6:7], v[12:13]
	v_fma_f64 v[12:13], v[4:5], v[12:13], -v[14:15]
	v_fmac_f64_e32 v[152:153], v[156:157], v[126:127]
	v_fma_f64 v[126:127], v[154:155], v[126:127], -v[128:129]
	v_add_f64_e32 v[14:15], v[10:11], v[8:9]
	v_add_f64_e32 v[150:151], v[150:151], v[166:167]
	ds_load_b128 v[4:7], v2 offset:1648
	ds_load_b128 v[8:11], v2 offset:1664
	s_wait_loadcnt_dscnt 0x401
	v_mul_f64_e32 v[158:159], v[4:5], v[132:133]
	v_mul_f64_e32 v[132:133], v[6:7], v[132:133]
	s_wait_loadcnt_dscnt 0x300
	v_mul_f64_e32 v[128:129], v[8:9], v[136:137]
	v_mul_f64_e32 v[136:137], v[10:11], v[136:137]
	v_add_f64_e32 v[12:13], v[14:15], v[12:13]
	v_add_f64_e32 v[14:15], v[150:151], v[168:169]
	v_fmac_f64_e32 v[158:159], v[6:7], v[130:131]
	v_fma_f64 v[130:131], v[4:5], v[130:131], -v[132:133]
	v_fmac_f64_e32 v[128:129], v[10:11], v[134:135]
	v_fma_f64 v[8:9], v[8:9], v[134:135], -v[136:137]
	v_add_f64_e32 v[126:127], v[12:13], v[126:127]
	v_add_f64_e32 v[132:133], v[14:15], v[152:153]
	ds_load_b128 v[4:7], v2 offset:1680
	ds_load_b128 v[12:15], v2 offset:1696
	s_wait_loadcnt_dscnt 0x201
	v_mul_f64_e32 v[150:151], v[4:5], v[140:141]
	v_mul_f64_e32 v[140:141], v[6:7], v[140:141]
	v_add_f64_e32 v[10:11], v[126:127], v[130:131]
	v_add_f64_e32 v[126:127], v[132:133], v[158:159]
	s_wait_loadcnt_dscnt 0x100
	v_mul_f64_e32 v[130:131], v[12:13], v[144:145]
	v_mul_f64_e32 v[132:133], v[14:15], v[144:145]
	v_fmac_f64_e32 v[150:151], v[6:7], v[138:139]
	v_fma_f64 v[134:135], v[4:5], v[138:139], -v[140:141]
	ds_load_b128 v[4:7], v2 offset:1712
	v_add_f64_e32 v[8:9], v[10:11], v[8:9]
	v_add_f64_e32 v[10:11], v[126:127], v[128:129]
	v_fmac_f64_e32 v[130:131], v[14:15], v[142:143]
	v_fma_f64 v[12:13], v[12:13], v[142:143], -v[132:133]
	s_wait_loadcnt_dscnt 0x0
	v_mul_f64_e32 v[126:127], v[4:5], v[148:149]
	v_mul_f64_e32 v[128:129], v[6:7], v[148:149]
	v_add_f64_e32 v[8:9], v[8:9], v[134:135]
	v_add_f64_e32 v[10:11], v[10:11], v[150:151]
	s_delay_alu instid0(VALU_DEP_4) | instskip(NEXT) | instid1(VALU_DEP_4)
	v_fmac_f64_e32 v[126:127], v[6:7], v[146:147]
	v_fma_f64 v[4:5], v[4:5], v[146:147], -v[128:129]
	s_delay_alu instid0(VALU_DEP_4) | instskip(NEXT) | instid1(VALU_DEP_4)
	v_add_f64_e32 v[6:7], v[8:9], v[12:13]
	v_add_f64_e32 v[8:9], v[10:11], v[130:131]
	s_delay_alu instid0(VALU_DEP_2) | instskip(NEXT) | instid1(VALU_DEP_2)
	v_add_f64_e32 v[4:5], v[6:7], v[4:5]
	v_add_f64_e32 v[6:7], v[8:9], v[126:127]
	s_delay_alu instid0(VALU_DEP_2) | instskip(NEXT) | instid1(VALU_DEP_2)
	v_add_f64_e64 v[4:5], v[162:163], -v[4:5]
	v_add_f64_e64 v[6:7], v[164:165], -v[6:7]
	scratch_store_b128 off, v[4:7], off offset:128
	s_wait_xcnt 0x0
	v_cmpx_lt_u32_e32 7, v1
	s_cbranch_execz .LBB53_323
; %bb.322:
	scratch_load_b128 v[6:9], off, s60
	v_dual_mov_b32 v3, v2 :: v_dual_mov_b32 v4, v2
	v_mov_b32_e32 v5, v2
	scratch_store_b128 off, v[2:5], off offset:112
	s_wait_loadcnt 0x0
	ds_store_b128 v124, v[6:9]
.LBB53_323:
	s_wait_xcnt 0x0
	s_or_b32 exec_lo, exec_lo, s2
	s_wait_storecnt_dscnt 0x0
	s_barrier_signal -1
	s_barrier_wait -1
	s_clause 0x9
	scratch_load_b128 v[4:7], off, off offset:128
	scratch_load_b128 v[8:11], off, off offset:144
	;; [unrolled: 1-line block ×10, first 2 shown]
	ds_load_b128 v[154:157], v2 offset:992
	ds_load_b128 v[162:165], v2 offset:1008
	s_clause 0x2
	scratch_load_b128 v[158:161], off, off offset:288
	scratch_load_b128 v[166:169], off, off offset:112
	;; [unrolled: 1-line block ×3, first 2 shown]
	s_mov_b32 s2, exec_lo
	s_wait_loadcnt_dscnt 0xc01
	v_mul_f64_e32 v[174:175], v[156:157], v[6:7]
	v_mul_f64_e32 v[178:179], v[154:155], v[6:7]
	s_wait_loadcnt_dscnt 0xb00
	v_mul_f64_e32 v[180:181], v[162:163], v[10:11]
	v_mul_f64_e32 v[10:11], v[164:165], v[10:11]
	s_delay_alu instid0(VALU_DEP_4) | instskip(NEXT) | instid1(VALU_DEP_4)
	v_fma_f64 v[182:183], v[154:155], v[4:5], -v[174:175]
	v_fmac_f64_e32 v[178:179], v[156:157], v[4:5]
	ds_load_b128 v[4:7], v2 offset:1024
	ds_load_b128 v[154:157], v2 offset:1040
	scratch_load_b128 v[174:177], off, off offset:320
	v_fmac_f64_e32 v[180:181], v[164:165], v[8:9]
	v_fma_f64 v[162:163], v[162:163], v[8:9], -v[10:11]
	scratch_load_b128 v[8:11], off, off offset:336
	s_wait_loadcnt_dscnt 0xc01
	v_mul_f64_e32 v[184:185], v[4:5], v[14:15]
	v_mul_f64_e32 v[14:15], v[6:7], v[14:15]
	v_add_f64_e32 v[164:165], 0, v[182:183]
	v_add_f64_e32 v[178:179], 0, v[178:179]
	s_wait_loadcnt_dscnt 0xb00
	v_mul_f64_e32 v[182:183], v[154:155], v[128:129]
	v_mul_f64_e32 v[128:129], v[156:157], v[128:129]
	v_fmac_f64_e32 v[184:185], v[6:7], v[12:13]
	v_fma_f64 v[186:187], v[4:5], v[12:13], -v[14:15]
	ds_load_b128 v[4:7], v2 offset:1056
	ds_load_b128 v[12:15], v2 offset:1072
	v_add_f64_e32 v[188:189], v[164:165], v[162:163]
	v_add_f64_e32 v[178:179], v[178:179], v[180:181]
	scratch_load_b128 v[162:165], off, off offset:352
	v_fmac_f64_e32 v[182:183], v[156:157], v[126:127]
	v_fma_f64 v[154:155], v[154:155], v[126:127], -v[128:129]
	scratch_load_b128 v[126:129], off, off offset:368
	s_wait_loadcnt_dscnt 0xc01
	v_mul_f64_e32 v[180:181], v[4:5], v[132:133]
	v_mul_f64_e32 v[132:133], v[6:7], v[132:133]
	v_add_f64_e32 v[156:157], v[188:189], v[186:187]
	v_add_f64_e32 v[178:179], v[178:179], v[184:185]
	s_wait_loadcnt_dscnt 0xb00
	v_mul_f64_e32 v[184:185], v[12:13], v[136:137]
	v_mul_f64_e32 v[136:137], v[14:15], v[136:137]
	v_fmac_f64_e32 v[180:181], v[6:7], v[130:131]
	v_fma_f64 v[186:187], v[4:5], v[130:131], -v[132:133]
	ds_load_b128 v[4:7], v2 offset:1088
	ds_load_b128 v[130:133], v2 offset:1104
	v_add_f64_e32 v[188:189], v[156:157], v[154:155]
	v_add_f64_e32 v[178:179], v[178:179], v[182:183]
	scratch_load_b128 v[154:157], off, off offset:384
	s_wait_loadcnt_dscnt 0xb01
	v_mul_f64_e32 v[182:183], v[4:5], v[140:141]
	v_mul_f64_e32 v[140:141], v[6:7], v[140:141]
	v_fmac_f64_e32 v[184:185], v[14:15], v[134:135]
	v_fma_f64 v[134:135], v[12:13], v[134:135], -v[136:137]
	scratch_load_b128 v[12:15], off, off offset:400
	v_add_f64_e32 v[136:137], v[188:189], v[186:187]
	v_add_f64_e32 v[178:179], v[178:179], v[180:181]
	s_wait_loadcnt_dscnt 0xb00
	v_mul_f64_e32 v[180:181], v[130:131], v[144:145]
	v_mul_f64_e32 v[144:145], v[132:133], v[144:145]
	v_fmac_f64_e32 v[182:183], v[6:7], v[138:139]
	v_fma_f64 v[186:187], v[4:5], v[138:139], -v[140:141]
	v_add_f64_e32 v[188:189], v[136:137], v[134:135]
	v_add_f64_e32 v[178:179], v[178:179], v[184:185]
	ds_load_b128 v[4:7], v2 offset:1120
	ds_load_b128 v[134:137], v2 offset:1136
	scratch_load_b128 v[138:141], off, off offset:416
	v_fmac_f64_e32 v[180:181], v[132:133], v[142:143]
	v_fma_f64 v[142:143], v[130:131], v[142:143], -v[144:145]
	scratch_load_b128 v[130:133], off, off offset:432
	s_wait_loadcnt_dscnt 0xc01
	v_mul_f64_e32 v[184:185], v[4:5], v[148:149]
	v_mul_f64_e32 v[148:149], v[6:7], v[148:149]
	v_add_f64_e32 v[144:145], v[188:189], v[186:187]
	v_add_f64_e32 v[178:179], v[178:179], v[182:183]
	s_wait_loadcnt_dscnt 0xb00
	v_mul_f64_e32 v[182:183], v[134:135], v[152:153]
	v_mul_f64_e32 v[152:153], v[136:137], v[152:153]
	v_fmac_f64_e32 v[184:185], v[6:7], v[146:147]
	v_fma_f64 v[186:187], v[4:5], v[146:147], -v[148:149]
	v_add_f64_e32 v[188:189], v[144:145], v[142:143]
	v_add_f64_e32 v[178:179], v[178:179], v[180:181]
	ds_load_b128 v[4:7], v2 offset:1152
	ds_load_b128 v[142:145], v2 offset:1168
	scratch_load_b128 v[146:149], off, off offset:448
	v_fmac_f64_e32 v[182:183], v[136:137], v[150:151]
	v_fma_f64 v[150:151], v[134:135], v[150:151], -v[152:153]
	scratch_load_b128 v[134:137], off, off offset:464
	s_wait_loadcnt_dscnt 0xc01
	v_mul_f64_e32 v[180:181], v[4:5], v[160:161]
	v_mul_f64_e32 v[160:161], v[6:7], v[160:161]
	;; [unrolled: 18-line block ×5, first 2 shown]
	v_add_f64_e32 v[172:173], v[188:189], v[186:187]
	v_add_f64_e32 v[178:179], v[178:179], v[184:185]
	s_wait_loadcnt_dscnt 0xa00
	v_mul_f64_e32 v[184:185], v[150:151], v[14:15]
	v_mul_f64_e32 v[14:15], v[152:153], v[14:15]
	v_fmac_f64_e32 v[180:181], v[6:7], v[154:155]
	v_fma_f64 v[186:187], v[4:5], v[154:155], -v[156:157]
	ds_load_b128 v[4:7], v2 offset:1280
	ds_load_b128 v[154:157], v2 offset:1296
	v_add_f64_e32 v[188:189], v[172:173], v[170:171]
	v_add_f64_e32 v[178:179], v[178:179], v[182:183]
	scratch_load_b128 v[170:173], off, off offset:576
	v_fmac_f64_e32 v[184:185], v[152:153], v[12:13]
	v_fma_f64 v[150:151], v[150:151], v[12:13], -v[14:15]
	scratch_load_b128 v[12:15], off, off offset:592
	s_wait_loadcnt_dscnt 0xb01
	v_mul_f64_e32 v[182:183], v[4:5], v[140:141]
	v_mul_f64_e32 v[140:141], v[6:7], v[140:141]
	v_add_f64_e32 v[152:153], v[188:189], v[186:187]
	v_add_f64_e32 v[178:179], v[178:179], v[180:181]
	s_wait_loadcnt_dscnt 0xa00
	v_mul_f64_e32 v[180:181], v[154:155], v[132:133]
	v_mul_f64_e32 v[132:133], v[156:157], v[132:133]
	v_fmac_f64_e32 v[182:183], v[6:7], v[138:139]
	v_fma_f64 v[186:187], v[4:5], v[138:139], -v[140:141]
	ds_load_b128 v[4:7], v2 offset:1312
	ds_load_b128 v[138:141], v2 offset:1328
	v_add_f64_e32 v[188:189], v[152:153], v[150:151]
	v_add_f64_e32 v[178:179], v[178:179], v[184:185]
	scratch_load_b128 v[150:153], off, off offset:608
	s_wait_loadcnt_dscnt 0xa01
	v_mul_f64_e32 v[184:185], v[4:5], v[148:149]
	v_mul_f64_e32 v[148:149], v[6:7], v[148:149]
	v_fmac_f64_e32 v[180:181], v[156:157], v[130:131]
	v_fma_f64 v[154:155], v[154:155], v[130:131], -v[132:133]
	scratch_load_b128 v[130:133], off, off offset:624
	v_add_f64_e32 v[156:157], v[188:189], v[186:187]
	v_add_f64_e32 v[178:179], v[178:179], v[182:183]
	s_wait_loadcnt_dscnt 0xa00
	v_mul_f64_e32 v[182:183], v[138:139], v[136:137]
	v_mul_f64_e32 v[136:137], v[140:141], v[136:137]
	v_fmac_f64_e32 v[184:185], v[6:7], v[146:147]
	v_fma_f64 v[186:187], v[4:5], v[146:147], -v[148:149]
	ds_load_b128 v[4:7], v2 offset:1344
	ds_load_b128 v[146:149], v2 offset:1360
	v_add_f64_e32 v[188:189], v[156:157], v[154:155]
	v_add_f64_e32 v[178:179], v[178:179], v[180:181]
	scratch_load_b128 v[154:157], off, off offset:640
	s_wait_loadcnt_dscnt 0xa01
	v_mul_f64_e32 v[180:181], v[4:5], v[160:161]
	v_mul_f64_e32 v[160:161], v[6:7], v[160:161]
	v_fmac_f64_e32 v[182:183], v[140:141], v[134:135]
	v_fma_f64 v[138:139], v[138:139], v[134:135], -v[136:137]
	scratch_load_b128 v[134:137], off, off offset:656
	v_add_f64_e32 v[140:141], v[188:189], v[186:187]
	v_add_f64_e32 v[178:179], v[178:179], v[184:185]
	s_wait_loadcnt_dscnt 0xa00
	v_mul_f64_e32 v[184:185], v[146:147], v[144:145]
	v_mul_f64_e32 v[144:145], v[148:149], v[144:145]
	v_fmac_f64_e32 v[180:181], v[6:7], v[158:159]
	v_fma_f64 v[186:187], v[4:5], v[158:159], -v[160:161]
	v_add_f64_e32 v[188:189], v[140:141], v[138:139]
	v_add_f64_e32 v[178:179], v[178:179], v[182:183]
	ds_load_b128 v[4:7], v2 offset:1376
	ds_load_b128 v[138:141], v2 offset:1392
	scratch_load_b128 v[158:161], off, off offset:672
	v_fmac_f64_e32 v[184:185], v[148:149], v[142:143]
	v_fma_f64 v[146:147], v[146:147], v[142:143], -v[144:145]
	scratch_load_b128 v[142:145], off, off offset:688
	s_wait_loadcnt_dscnt 0xb01
	v_mul_f64_e32 v[182:183], v[4:5], v[176:177]
	v_mul_f64_e32 v[176:177], v[6:7], v[176:177]
	v_add_f64_e32 v[148:149], v[188:189], v[186:187]
	v_add_f64_e32 v[178:179], v[178:179], v[180:181]
	s_wait_loadcnt_dscnt 0xa00
	v_mul_f64_e32 v[180:181], v[138:139], v[10:11]
	v_mul_f64_e32 v[10:11], v[140:141], v[10:11]
	v_fmac_f64_e32 v[182:183], v[6:7], v[174:175]
	v_fma_f64 v[186:187], v[4:5], v[174:175], -v[176:177]
	v_add_f64_e32 v[188:189], v[148:149], v[146:147]
	v_add_f64_e32 v[178:179], v[178:179], v[184:185]
	ds_load_b128 v[4:7], v2 offset:1408
	ds_load_b128 v[146:149], v2 offset:1424
	scratch_load_b128 v[174:177], off, off offset:704
	v_fmac_f64_e32 v[180:181], v[140:141], v[8:9]
	v_fma_f64 v[138:139], v[138:139], v[8:9], -v[10:11]
	scratch_load_b128 v[8:11], off, off offset:720
	s_wait_loadcnt_dscnt 0xb01
	v_mul_f64_e32 v[184:185], v[4:5], v[164:165]
	v_mul_f64_e32 v[164:165], v[6:7], v[164:165]
	;; [unrolled: 18-line block ×6, first 2 shown]
	v_add_f64_e32 v[140:141], v[188:189], v[186:187]
	v_add_f64_e32 v[178:179], v[178:179], v[184:185]
	s_wait_loadcnt_dscnt 0xa00
	v_mul_f64_e32 v[184:185], v[146:147], v[144:145]
	v_mul_f64_e32 v[144:145], v[148:149], v[144:145]
	v_fmac_f64_e32 v[180:181], v[6:7], v[158:159]
	v_fma_f64 v[158:159], v[4:5], v[158:159], -v[160:161]
	v_add_f64_e32 v[160:161], v[140:141], v[138:139]
	v_add_f64_e32 v[178:179], v[178:179], v[182:183]
	ds_load_b128 v[4:7], v2 offset:1568
	ds_load_b128 v[138:141], v2 offset:1584
	v_fmac_f64_e32 v[184:185], v[148:149], v[142:143]
	v_fma_f64 v[142:143], v[146:147], v[142:143], -v[144:145]
	s_wait_loadcnt_dscnt 0x901
	v_mul_f64_e32 v[182:183], v[4:5], v[176:177]
	v_mul_f64_e32 v[176:177], v[6:7], v[176:177]
	s_wait_loadcnt_dscnt 0x800
	v_mul_f64_e32 v[148:149], v[138:139], v[10:11]
	v_mul_f64_e32 v[10:11], v[140:141], v[10:11]
	v_add_f64_e32 v[144:145], v[160:161], v[158:159]
	v_add_f64_e32 v[146:147], v[178:179], v[180:181]
	v_fmac_f64_e32 v[182:183], v[6:7], v[174:175]
	v_fma_f64 v[158:159], v[4:5], v[174:175], -v[176:177]
	v_fmac_f64_e32 v[148:149], v[140:141], v[8:9]
	v_fma_f64 v[8:9], v[138:139], v[8:9], -v[10:11]
	v_add_f64_e32 v[160:161], v[144:145], v[142:143]
	v_add_f64_e32 v[146:147], v[146:147], v[184:185]
	ds_load_b128 v[4:7], v2 offset:1600
	ds_load_b128 v[142:145], v2 offset:1616
	s_wait_loadcnt_dscnt 0x701
	v_mul_f64_e32 v[174:175], v[4:5], v[164:165]
	v_mul_f64_e32 v[164:165], v[6:7], v[164:165]
	s_wait_loadcnt_dscnt 0x600
	v_mul_f64_e32 v[140:141], v[142:143], v[128:129]
	v_mul_f64_e32 v[128:129], v[144:145], v[128:129]
	v_add_f64_e32 v[10:11], v[160:161], v[158:159]
	v_add_f64_e32 v[138:139], v[146:147], v[182:183]
	v_fmac_f64_e32 v[174:175], v[6:7], v[162:163]
	v_fma_f64 v[146:147], v[4:5], v[162:163], -v[164:165]
	v_fmac_f64_e32 v[140:141], v[144:145], v[126:127]
	v_fma_f64 v[126:127], v[142:143], v[126:127], -v[128:129]
	v_add_f64_e32 v[158:159], v[10:11], v[8:9]
	v_add_f64_e32 v[138:139], v[138:139], v[148:149]
	ds_load_b128 v[4:7], v2 offset:1632
	ds_load_b128 v[8:11], v2 offset:1648
	;; [unrolled: 16-line block ×4, first 2 shown]
	s_wait_loadcnt_dscnt 0x101
	v_mul_f64_e32 v[2:3], v[4:5], v[156:157]
	v_mul_f64_e32 v[142:143], v[6:7], v[156:157]
	s_wait_loadcnt_dscnt 0x0
	v_mul_f64_e32 v[130:131], v[8:9], v[136:137]
	v_mul_f64_e32 v[132:133], v[10:11], v[136:137]
	v_add_f64_e32 v[128:129], v[144:145], v[138:139]
	v_add_f64_e32 v[12:13], v[12:13], v[140:141]
	v_fmac_f64_e32 v[2:3], v[6:7], v[154:155]
	v_fma_f64 v[4:5], v[4:5], v[154:155], -v[142:143]
	v_fmac_f64_e32 v[130:131], v[10:11], v[134:135]
	v_fma_f64 v[8:9], v[8:9], v[134:135], -v[132:133]
	v_add_f64_e32 v[6:7], v[128:129], v[126:127]
	v_add_f64_e32 v[12:13], v[12:13], v[14:15]
	s_delay_alu instid0(VALU_DEP_2) | instskip(NEXT) | instid1(VALU_DEP_2)
	v_add_f64_e32 v[4:5], v[6:7], v[4:5]
	v_add_f64_e32 v[2:3], v[12:13], v[2:3]
	s_delay_alu instid0(VALU_DEP_2) | instskip(NEXT) | instid1(VALU_DEP_2)
	;; [unrolled: 3-line block ×3, first 2 shown]
	v_add_f64_e64 v[2:3], v[166:167], -v[4:5]
	v_add_f64_e64 v[4:5], v[168:169], -v[6:7]
	scratch_store_b128 off, v[2:5], off offset:112
	s_wait_xcnt 0x0
	v_cmpx_lt_u32_e32 6, v1
	s_cbranch_execz .LBB53_325
; %bb.324:
	scratch_load_b128 v[2:5], off, s58
	v_mov_b32_e32 v6, 0
	s_delay_alu instid0(VALU_DEP_1)
	v_dual_mov_b32 v7, v6 :: v_dual_mov_b32 v8, v6
	v_mov_b32_e32 v9, v6
	scratch_store_b128 off, v[6:9], off offset:96
	s_wait_loadcnt 0x0
	ds_store_b128 v124, v[2:5]
.LBB53_325:
	s_wait_xcnt 0x0
	s_or_b32 exec_lo, exec_lo, s2
	s_wait_storecnt_dscnt 0x0
	s_barrier_signal -1
	s_barrier_wait -1
	s_clause 0x9
	scratch_load_b128 v[4:7], off, off offset:112
	scratch_load_b128 v[8:11], off, off offset:128
	;; [unrolled: 1-line block ×10, first 2 shown]
	v_mov_b32_e32 v2, 0
	s_mov_b32 s2, exec_lo
	ds_load_b128 v[154:157], v2 offset:976
	s_clause 0x2
	scratch_load_b128 v[158:161], off, off offset:272
	scratch_load_b128 v[162:165], off, off offset:96
	;; [unrolled: 1-line block ×3, first 2 shown]
	s_wait_loadcnt_dscnt 0xc00
	v_mul_f64_e32 v[174:175], v[156:157], v[6:7]
	v_mul_f64_e32 v[178:179], v[154:155], v[6:7]
	ds_load_b128 v[166:169], v2 offset:992
	v_fma_f64 v[182:183], v[154:155], v[4:5], -v[174:175]
	v_fmac_f64_e32 v[178:179], v[156:157], v[4:5]
	ds_load_b128 v[4:7], v2 offset:1008
	s_wait_loadcnt_dscnt 0xb01
	v_mul_f64_e32 v[180:181], v[166:167], v[10:11]
	v_mul_f64_e32 v[10:11], v[168:169], v[10:11]
	scratch_load_b128 v[154:157], off, off offset:304
	ds_load_b128 v[174:177], v2 offset:1024
	s_wait_loadcnt_dscnt 0xb01
	v_mul_f64_e32 v[184:185], v[4:5], v[14:15]
	v_mul_f64_e32 v[14:15], v[6:7], v[14:15]
	v_add_f64_e32 v[178:179], 0, v[178:179]
	v_fmac_f64_e32 v[180:181], v[168:169], v[8:9]
	v_fma_f64 v[166:167], v[166:167], v[8:9], -v[10:11]
	v_add_f64_e32 v[168:169], 0, v[182:183]
	scratch_load_b128 v[8:11], off, off offset:320
	v_fmac_f64_e32 v[184:185], v[6:7], v[12:13]
	v_fma_f64 v[186:187], v[4:5], v[12:13], -v[14:15]
	ds_load_b128 v[4:7], v2 offset:1040
	s_wait_loadcnt_dscnt 0xb01
	v_mul_f64_e32 v[182:183], v[174:175], v[128:129]
	v_mul_f64_e32 v[128:129], v[176:177], v[128:129]
	scratch_load_b128 v[12:15], off, off offset:336
	v_add_f64_e32 v[178:179], v[178:179], v[180:181]
	v_add_f64_e32 v[188:189], v[168:169], v[166:167]
	ds_load_b128 v[166:169], v2 offset:1056
	s_wait_loadcnt_dscnt 0xb01
	v_mul_f64_e32 v[180:181], v[4:5], v[132:133]
	v_mul_f64_e32 v[132:133], v[6:7], v[132:133]
	v_fmac_f64_e32 v[182:183], v[176:177], v[126:127]
	v_fma_f64 v[174:175], v[174:175], v[126:127], -v[128:129]
	scratch_load_b128 v[126:129], off, off offset:352
	v_add_f64_e32 v[178:179], v[178:179], v[184:185]
	v_add_f64_e32 v[176:177], v[188:189], v[186:187]
	v_fmac_f64_e32 v[180:181], v[6:7], v[130:131]
	v_fma_f64 v[186:187], v[4:5], v[130:131], -v[132:133]
	ds_load_b128 v[4:7], v2 offset:1072
	s_wait_loadcnt_dscnt 0xb01
	v_mul_f64_e32 v[184:185], v[166:167], v[136:137]
	v_mul_f64_e32 v[136:137], v[168:169], v[136:137]
	scratch_load_b128 v[130:133], off, off offset:368
	v_add_f64_e32 v[178:179], v[178:179], v[182:183]
	s_wait_loadcnt_dscnt 0xb00
	v_mul_f64_e32 v[182:183], v[4:5], v[140:141]
	v_add_f64_e32 v[188:189], v[176:177], v[174:175]
	v_mul_f64_e32 v[140:141], v[6:7], v[140:141]
	ds_load_b128 v[174:177], v2 offset:1088
	v_fmac_f64_e32 v[184:185], v[168:169], v[134:135]
	v_fma_f64 v[166:167], v[166:167], v[134:135], -v[136:137]
	scratch_load_b128 v[134:137], off, off offset:384
	v_add_f64_e32 v[178:179], v[178:179], v[180:181]
	v_fmac_f64_e32 v[182:183], v[6:7], v[138:139]
	v_add_f64_e32 v[168:169], v[188:189], v[186:187]
	v_fma_f64 v[186:187], v[4:5], v[138:139], -v[140:141]
	ds_load_b128 v[4:7], v2 offset:1104
	s_wait_loadcnt_dscnt 0xb01
	v_mul_f64_e32 v[180:181], v[174:175], v[144:145]
	v_mul_f64_e32 v[144:145], v[176:177], v[144:145]
	scratch_load_b128 v[138:141], off, off offset:400
	v_add_f64_e32 v[178:179], v[178:179], v[184:185]
	s_wait_loadcnt_dscnt 0xb00
	v_mul_f64_e32 v[184:185], v[4:5], v[148:149]
	v_add_f64_e32 v[188:189], v[168:169], v[166:167]
	v_mul_f64_e32 v[148:149], v[6:7], v[148:149]
	ds_load_b128 v[166:169], v2 offset:1120
	v_fmac_f64_e32 v[180:181], v[176:177], v[142:143]
	v_fma_f64 v[174:175], v[174:175], v[142:143], -v[144:145]
	scratch_load_b128 v[142:145], off, off offset:416
	v_add_f64_e32 v[178:179], v[178:179], v[182:183]
	v_fmac_f64_e32 v[184:185], v[6:7], v[146:147]
	v_add_f64_e32 v[176:177], v[188:189], v[186:187]
	;; [unrolled: 18-line block ×3, first 2 shown]
	v_fma_f64 v[186:187], v[4:5], v[158:159], -v[160:161]
	ds_load_b128 v[4:7], v2 offset:1168
	s_wait_loadcnt_dscnt 0xa01
	v_mul_f64_e32 v[184:185], v[174:175], v[172:173]
	v_mul_f64_e32 v[172:173], v[176:177], v[172:173]
	scratch_load_b128 v[158:161], off, off offset:464
	v_add_f64_e32 v[178:179], v[178:179], v[182:183]
	v_add_f64_e32 v[188:189], v[168:169], v[166:167]
	s_wait_loadcnt_dscnt 0xa00
	v_mul_f64_e32 v[182:183], v[4:5], v[156:157]
	v_mul_f64_e32 v[156:157], v[6:7], v[156:157]
	v_fmac_f64_e32 v[184:185], v[176:177], v[170:171]
	v_fma_f64 v[174:175], v[174:175], v[170:171], -v[172:173]
	ds_load_b128 v[166:169], v2 offset:1184
	scratch_load_b128 v[170:173], off, off offset:480
	v_add_f64_e32 v[178:179], v[178:179], v[180:181]
	v_add_f64_e32 v[176:177], v[188:189], v[186:187]
	v_fmac_f64_e32 v[182:183], v[6:7], v[154:155]
	v_fma_f64 v[186:187], v[4:5], v[154:155], -v[156:157]
	ds_load_b128 v[4:7], v2 offset:1200
	s_wait_loadcnt_dscnt 0xa01
	v_mul_f64_e32 v[180:181], v[166:167], v[10:11]
	v_mul_f64_e32 v[10:11], v[168:169], v[10:11]
	scratch_load_b128 v[154:157], off, off offset:496
	v_add_f64_e32 v[178:179], v[178:179], v[184:185]
	s_wait_loadcnt_dscnt 0xa00
	v_mul_f64_e32 v[184:185], v[4:5], v[14:15]
	v_add_f64_e32 v[188:189], v[176:177], v[174:175]
	v_mul_f64_e32 v[14:15], v[6:7], v[14:15]
	ds_load_b128 v[174:177], v2 offset:1216
	v_fmac_f64_e32 v[180:181], v[168:169], v[8:9]
	v_fma_f64 v[166:167], v[166:167], v[8:9], -v[10:11]
	scratch_load_b128 v[8:11], off, off offset:512
	v_add_f64_e32 v[178:179], v[178:179], v[182:183]
	v_fmac_f64_e32 v[184:185], v[6:7], v[12:13]
	v_add_f64_e32 v[168:169], v[188:189], v[186:187]
	v_fma_f64 v[186:187], v[4:5], v[12:13], -v[14:15]
	ds_load_b128 v[4:7], v2 offset:1232
	s_wait_loadcnt_dscnt 0xa01
	v_mul_f64_e32 v[182:183], v[174:175], v[128:129]
	v_mul_f64_e32 v[128:129], v[176:177], v[128:129]
	scratch_load_b128 v[12:15], off, off offset:528
	v_add_f64_e32 v[178:179], v[178:179], v[180:181]
	s_wait_loadcnt_dscnt 0xa00
	v_mul_f64_e32 v[180:181], v[4:5], v[132:133]
	v_add_f64_e32 v[188:189], v[168:169], v[166:167]
	v_mul_f64_e32 v[132:133], v[6:7], v[132:133]
	ds_load_b128 v[166:169], v2 offset:1248
	v_fmac_f64_e32 v[182:183], v[176:177], v[126:127]
	v_fma_f64 v[174:175], v[174:175], v[126:127], -v[128:129]
	scratch_load_b128 v[126:129], off, off offset:544
	v_add_f64_e32 v[178:179], v[178:179], v[184:185]
	v_fmac_f64_e32 v[180:181], v[6:7], v[130:131]
	v_add_f64_e32 v[176:177], v[188:189], v[186:187]
	;; [unrolled: 18-line block ×11, first 2 shown]
	v_fma_f64 v[186:187], v[4:5], v[158:159], -v[160:161]
	ds_load_b128 v[4:7], v2 offset:1552
	s_wait_loadcnt_dscnt 0xa01
	v_mul_f64_e32 v[184:185], v[174:175], v[172:173]
	v_mul_f64_e32 v[172:173], v[176:177], v[172:173]
	scratch_load_b128 v[158:161], off, off offset:848
	v_add_f64_e32 v[178:179], v[178:179], v[182:183]
	s_wait_loadcnt_dscnt 0xa00
	v_mul_f64_e32 v[182:183], v[4:5], v[156:157]
	v_add_f64_e32 v[188:189], v[168:169], v[166:167]
	v_mul_f64_e32 v[156:157], v[6:7], v[156:157]
	ds_load_b128 v[166:169], v2 offset:1568
	v_fmac_f64_e32 v[184:185], v[176:177], v[170:171]
	v_fma_f64 v[170:171], v[174:175], v[170:171], -v[172:173]
	s_wait_loadcnt_dscnt 0x900
	v_mul_f64_e32 v[176:177], v[166:167], v[10:11]
	v_mul_f64_e32 v[10:11], v[168:169], v[10:11]
	v_add_f64_e32 v[174:175], v[178:179], v[180:181]
	v_fmac_f64_e32 v[182:183], v[6:7], v[154:155]
	v_add_f64_e32 v[172:173], v[188:189], v[186:187]
	v_fma_f64 v[178:179], v[4:5], v[154:155], -v[156:157]
	ds_load_b128 v[4:7], v2 offset:1584
	ds_load_b128 v[154:157], v2 offset:1600
	v_fmac_f64_e32 v[176:177], v[168:169], v[8:9]
	v_fma_f64 v[8:9], v[166:167], v[8:9], -v[10:11]
	v_add_f64_e32 v[170:171], v[172:173], v[170:171]
	v_add_f64_e32 v[172:173], v[174:175], v[184:185]
	s_wait_loadcnt_dscnt 0x801
	v_mul_f64_e32 v[174:175], v[4:5], v[14:15]
	v_mul_f64_e32 v[14:15], v[6:7], v[14:15]
	s_wait_loadcnt_dscnt 0x700
	v_mul_f64_e32 v[168:169], v[154:155], v[128:129]
	v_mul_f64_e32 v[128:129], v[156:157], v[128:129]
	v_add_f64_e32 v[10:11], v[170:171], v[178:179]
	v_add_f64_e32 v[166:167], v[172:173], v[182:183]
	v_fmac_f64_e32 v[174:175], v[6:7], v[12:13]
	v_fma_f64 v[12:13], v[4:5], v[12:13], -v[14:15]
	v_fmac_f64_e32 v[168:169], v[156:157], v[126:127]
	v_fma_f64 v[126:127], v[154:155], v[126:127], -v[128:129]
	v_add_f64_e32 v[14:15], v[10:11], v[8:9]
	v_add_f64_e32 v[166:167], v[166:167], v[176:177]
	ds_load_b128 v[4:7], v2 offset:1616
	ds_load_b128 v[8:11], v2 offset:1632
	s_wait_loadcnt_dscnt 0x601
	v_mul_f64_e32 v[170:171], v[4:5], v[132:133]
	v_mul_f64_e32 v[132:133], v[6:7], v[132:133]
	s_wait_loadcnt_dscnt 0x500
	v_mul_f64_e32 v[128:129], v[8:9], v[136:137]
	v_mul_f64_e32 v[136:137], v[10:11], v[136:137]
	v_add_f64_e32 v[12:13], v[14:15], v[12:13]
	v_add_f64_e32 v[14:15], v[166:167], v[174:175]
	v_fmac_f64_e32 v[170:171], v[6:7], v[130:131]
	v_fma_f64 v[130:131], v[4:5], v[130:131], -v[132:133]
	v_fmac_f64_e32 v[128:129], v[10:11], v[134:135]
	v_fma_f64 v[8:9], v[8:9], v[134:135], -v[136:137]
	v_add_f64_e32 v[126:127], v[12:13], v[126:127]
	v_add_f64_e32 v[132:133], v[14:15], v[168:169]
	ds_load_b128 v[4:7], v2 offset:1648
	ds_load_b128 v[12:15], v2 offset:1664
	s_wait_loadcnt_dscnt 0x401
	v_mul_f64_e32 v[154:155], v[4:5], v[140:141]
	v_mul_f64_e32 v[140:141], v[6:7], v[140:141]
	v_add_f64_e32 v[10:11], v[126:127], v[130:131]
	v_add_f64_e32 v[126:127], v[132:133], v[170:171]
	s_wait_loadcnt_dscnt 0x300
	v_mul_f64_e32 v[130:131], v[12:13], v[144:145]
	v_mul_f64_e32 v[132:133], v[14:15], v[144:145]
	v_fmac_f64_e32 v[154:155], v[6:7], v[138:139]
	v_fma_f64 v[134:135], v[4:5], v[138:139], -v[140:141]
	v_add_f64_e32 v[136:137], v[10:11], v[8:9]
	v_add_f64_e32 v[126:127], v[126:127], v[128:129]
	ds_load_b128 v[4:7], v2 offset:1680
	ds_load_b128 v[8:11], v2 offset:1696
	v_fmac_f64_e32 v[130:131], v[14:15], v[142:143]
	v_fma_f64 v[12:13], v[12:13], v[142:143], -v[132:133]
	s_wait_loadcnt_dscnt 0x201
	v_mul_f64_e32 v[128:129], v[4:5], v[148:149]
	v_mul_f64_e32 v[138:139], v[6:7], v[148:149]
	s_wait_loadcnt_dscnt 0x100
	v_mul_f64_e32 v[132:133], v[8:9], v[152:153]
	v_add_f64_e32 v[14:15], v[136:137], v[134:135]
	v_add_f64_e32 v[126:127], v[126:127], v[154:155]
	v_mul_f64_e32 v[134:135], v[10:11], v[152:153]
	v_fmac_f64_e32 v[128:129], v[6:7], v[146:147]
	v_fma_f64 v[136:137], v[4:5], v[146:147], -v[138:139]
	ds_load_b128 v[4:7], v2 offset:1712
	v_fmac_f64_e32 v[132:133], v[10:11], v[150:151]
	v_add_f64_e32 v[12:13], v[14:15], v[12:13]
	v_add_f64_e32 v[14:15], v[126:127], v[130:131]
	v_fma_f64 v[8:9], v[8:9], v[150:151], -v[134:135]
	s_wait_loadcnt_dscnt 0x0
	v_mul_f64_e32 v[126:127], v[4:5], v[160:161]
	v_mul_f64_e32 v[130:131], v[6:7], v[160:161]
	v_add_f64_e32 v[10:11], v[12:13], v[136:137]
	v_add_f64_e32 v[12:13], v[14:15], v[128:129]
	s_delay_alu instid0(VALU_DEP_4) | instskip(NEXT) | instid1(VALU_DEP_4)
	v_fmac_f64_e32 v[126:127], v[6:7], v[158:159]
	v_fma_f64 v[4:5], v[4:5], v[158:159], -v[130:131]
	s_delay_alu instid0(VALU_DEP_4) | instskip(NEXT) | instid1(VALU_DEP_4)
	v_add_f64_e32 v[6:7], v[10:11], v[8:9]
	v_add_f64_e32 v[8:9], v[12:13], v[132:133]
	s_delay_alu instid0(VALU_DEP_2) | instskip(NEXT) | instid1(VALU_DEP_2)
	v_add_f64_e32 v[4:5], v[6:7], v[4:5]
	v_add_f64_e32 v[6:7], v[8:9], v[126:127]
	s_delay_alu instid0(VALU_DEP_2) | instskip(NEXT) | instid1(VALU_DEP_2)
	v_add_f64_e64 v[4:5], v[162:163], -v[4:5]
	v_add_f64_e64 v[6:7], v[164:165], -v[6:7]
	scratch_store_b128 off, v[4:7], off offset:96
	s_wait_xcnt 0x0
	v_cmpx_lt_u32_e32 5, v1
	s_cbranch_execz .LBB53_327
; %bb.326:
	scratch_load_b128 v[6:9], off, s55
	v_dual_mov_b32 v3, v2 :: v_dual_mov_b32 v4, v2
	v_mov_b32_e32 v5, v2
	scratch_store_b128 off, v[2:5], off offset:80
	s_wait_loadcnt 0x0
	ds_store_b128 v124, v[6:9]
.LBB53_327:
	s_wait_xcnt 0x0
	s_or_b32 exec_lo, exec_lo, s2
	s_wait_storecnt_dscnt 0x0
	s_barrier_signal -1
	s_barrier_wait -1
	s_clause 0x9
	scratch_load_b128 v[4:7], off, off offset:96
	scratch_load_b128 v[8:11], off, off offset:112
	;; [unrolled: 1-line block ×10, first 2 shown]
	ds_load_b128 v[154:157], v2 offset:960
	ds_load_b128 v[162:165], v2 offset:976
	s_clause 0x2
	scratch_load_b128 v[158:161], off, off offset:256
	scratch_load_b128 v[166:169], off, off offset:80
	;; [unrolled: 1-line block ×3, first 2 shown]
	s_mov_b32 s2, exec_lo
	s_wait_loadcnt_dscnt 0xc01
	v_mul_f64_e32 v[174:175], v[156:157], v[6:7]
	v_mul_f64_e32 v[178:179], v[154:155], v[6:7]
	s_wait_loadcnt_dscnt 0xb00
	v_mul_f64_e32 v[180:181], v[162:163], v[10:11]
	v_mul_f64_e32 v[10:11], v[164:165], v[10:11]
	s_delay_alu instid0(VALU_DEP_4) | instskip(NEXT) | instid1(VALU_DEP_4)
	v_fma_f64 v[182:183], v[154:155], v[4:5], -v[174:175]
	v_fmac_f64_e32 v[178:179], v[156:157], v[4:5]
	ds_load_b128 v[4:7], v2 offset:992
	ds_load_b128 v[154:157], v2 offset:1008
	scratch_load_b128 v[174:177], off, off offset:288
	v_fmac_f64_e32 v[180:181], v[164:165], v[8:9]
	v_fma_f64 v[162:163], v[162:163], v[8:9], -v[10:11]
	scratch_load_b128 v[8:11], off, off offset:304
	s_wait_loadcnt_dscnt 0xc01
	v_mul_f64_e32 v[184:185], v[4:5], v[14:15]
	v_mul_f64_e32 v[14:15], v[6:7], v[14:15]
	v_add_f64_e32 v[164:165], 0, v[182:183]
	v_add_f64_e32 v[178:179], 0, v[178:179]
	s_wait_loadcnt_dscnt 0xb00
	v_mul_f64_e32 v[182:183], v[154:155], v[128:129]
	v_mul_f64_e32 v[128:129], v[156:157], v[128:129]
	v_fmac_f64_e32 v[184:185], v[6:7], v[12:13]
	v_fma_f64 v[186:187], v[4:5], v[12:13], -v[14:15]
	ds_load_b128 v[4:7], v2 offset:1024
	ds_load_b128 v[12:15], v2 offset:1040
	v_add_f64_e32 v[188:189], v[164:165], v[162:163]
	v_add_f64_e32 v[178:179], v[178:179], v[180:181]
	scratch_load_b128 v[162:165], off, off offset:320
	v_fmac_f64_e32 v[182:183], v[156:157], v[126:127]
	v_fma_f64 v[154:155], v[154:155], v[126:127], -v[128:129]
	scratch_load_b128 v[126:129], off, off offset:336
	s_wait_loadcnt_dscnt 0xc01
	v_mul_f64_e32 v[180:181], v[4:5], v[132:133]
	v_mul_f64_e32 v[132:133], v[6:7], v[132:133]
	v_add_f64_e32 v[156:157], v[188:189], v[186:187]
	v_add_f64_e32 v[178:179], v[178:179], v[184:185]
	s_wait_loadcnt_dscnt 0xb00
	v_mul_f64_e32 v[184:185], v[12:13], v[136:137]
	v_mul_f64_e32 v[136:137], v[14:15], v[136:137]
	v_fmac_f64_e32 v[180:181], v[6:7], v[130:131]
	v_fma_f64 v[186:187], v[4:5], v[130:131], -v[132:133]
	ds_load_b128 v[4:7], v2 offset:1056
	ds_load_b128 v[130:133], v2 offset:1072
	v_add_f64_e32 v[188:189], v[156:157], v[154:155]
	v_add_f64_e32 v[178:179], v[178:179], v[182:183]
	scratch_load_b128 v[154:157], off, off offset:352
	s_wait_loadcnt_dscnt 0xb01
	v_mul_f64_e32 v[182:183], v[4:5], v[140:141]
	v_mul_f64_e32 v[140:141], v[6:7], v[140:141]
	v_fmac_f64_e32 v[184:185], v[14:15], v[134:135]
	v_fma_f64 v[134:135], v[12:13], v[134:135], -v[136:137]
	scratch_load_b128 v[12:15], off, off offset:368
	v_add_f64_e32 v[136:137], v[188:189], v[186:187]
	v_add_f64_e32 v[178:179], v[178:179], v[180:181]
	s_wait_loadcnt_dscnt 0xb00
	v_mul_f64_e32 v[180:181], v[130:131], v[144:145]
	v_mul_f64_e32 v[144:145], v[132:133], v[144:145]
	v_fmac_f64_e32 v[182:183], v[6:7], v[138:139]
	v_fma_f64 v[186:187], v[4:5], v[138:139], -v[140:141]
	v_add_f64_e32 v[188:189], v[136:137], v[134:135]
	v_add_f64_e32 v[178:179], v[178:179], v[184:185]
	ds_load_b128 v[4:7], v2 offset:1088
	ds_load_b128 v[134:137], v2 offset:1104
	scratch_load_b128 v[138:141], off, off offset:384
	v_fmac_f64_e32 v[180:181], v[132:133], v[142:143]
	v_fma_f64 v[142:143], v[130:131], v[142:143], -v[144:145]
	scratch_load_b128 v[130:133], off, off offset:400
	s_wait_loadcnt_dscnt 0xc01
	v_mul_f64_e32 v[184:185], v[4:5], v[148:149]
	v_mul_f64_e32 v[148:149], v[6:7], v[148:149]
	v_add_f64_e32 v[144:145], v[188:189], v[186:187]
	v_add_f64_e32 v[178:179], v[178:179], v[182:183]
	s_wait_loadcnt_dscnt 0xb00
	v_mul_f64_e32 v[182:183], v[134:135], v[152:153]
	v_mul_f64_e32 v[152:153], v[136:137], v[152:153]
	v_fmac_f64_e32 v[184:185], v[6:7], v[146:147]
	v_fma_f64 v[186:187], v[4:5], v[146:147], -v[148:149]
	v_add_f64_e32 v[188:189], v[144:145], v[142:143]
	v_add_f64_e32 v[178:179], v[178:179], v[180:181]
	ds_load_b128 v[4:7], v2 offset:1120
	ds_load_b128 v[142:145], v2 offset:1136
	scratch_load_b128 v[146:149], off, off offset:416
	v_fmac_f64_e32 v[182:183], v[136:137], v[150:151]
	v_fma_f64 v[150:151], v[134:135], v[150:151], -v[152:153]
	scratch_load_b128 v[134:137], off, off offset:432
	s_wait_loadcnt_dscnt 0xc01
	v_mul_f64_e32 v[180:181], v[4:5], v[160:161]
	v_mul_f64_e32 v[160:161], v[6:7], v[160:161]
	;; [unrolled: 18-line block ×5, first 2 shown]
	v_add_f64_e32 v[172:173], v[188:189], v[186:187]
	v_add_f64_e32 v[178:179], v[178:179], v[184:185]
	s_wait_loadcnt_dscnt 0xa00
	v_mul_f64_e32 v[184:185], v[150:151], v[14:15]
	v_mul_f64_e32 v[14:15], v[152:153], v[14:15]
	v_fmac_f64_e32 v[180:181], v[6:7], v[154:155]
	v_fma_f64 v[186:187], v[4:5], v[154:155], -v[156:157]
	ds_load_b128 v[4:7], v2 offset:1248
	ds_load_b128 v[154:157], v2 offset:1264
	v_add_f64_e32 v[188:189], v[172:173], v[170:171]
	v_add_f64_e32 v[178:179], v[178:179], v[182:183]
	scratch_load_b128 v[170:173], off, off offset:544
	v_fmac_f64_e32 v[184:185], v[152:153], v[12:13]
	v_fma_f64 v[150:151], v[150:151], v[12:13], -v[14:15]
	scratch_load_b128 v[12:15], off, off offset:560
	s_wait_loadcnt_dscnt 0xb01
	v_mul_f64_e32 v[182:183], v[4:5], v[140:141]
	v_mul_f64_e32 v[140:141], v[6:7], v[140:141]
	v_add_f64_e32 v[152:153], v[188:189], v[186:187]
	v_add_f64_e32 v[178:179], v[178:179], v[180:181]
	s_wait_loadcnt_dscnt 0xa00
	v_mul_f64_e32 v[180:181], v[154:155], v[132:133]
	v_mul_f64_e32 v[132:133], v[156:157], v[132:133]
	v_fmac_f64_e32 v[182:183], v[6:7], v[138:139]
	v_fma_f64 v[186:187], v[4:5], v[138:139], -v[140:141]
	ds_load_b128 v[4:7], v2 offset:1280
	ds_load_b128 v[138:141], v2 offset:1296
	v_add_f64_e32 v[188:189], v[152:153], v[150:151]
	v_add_f64_e32 v[178:179], v[178:179], v[184:185]
	scratch_load_b128 v[150:153], off, off offset:576
	s_wait_loadcnt_dscnt 0xa01
	v_mul_f64_e32 v[184:185], v[4:5], v[148:149]
	v_mul_f64_e32 v[148:149], v[6:7], v[148:149]
	v_fmac_f64_e32 v[180:181], v[156:157], v[130:131]
	v_fma_f64 v[154:155], v[154:155], v[130:131], -v[132:133]
	scratch_load_b128 v[130:133], off, off offset:592
	v_add_f64_e32 v[156:157], v[188:189], v[186:187]
	v_add_f64_e32 v[178:179], v[178:179], v[182:183]
	s_wait_loadcnt_dscnt 0xa00
	v_mul_f64_e32 v[182:183], v[138:139], v[136:137]
	v_mul_f64_e32 v[136:137], v[140:141], v[136:137]
	v_fmac_f64_e32 v[184:185], v[6:7], v[146:147]
	v_fma_f64 v[186:187], v[4:5], v[146:147], -v[148:149]
	ds_load_b128 v[4:7], v2 offset:1312
	ds_load_b128 v[146:149], v2 offset:1328
	v_add_f64_e32 v[188:189], v[156:157], v[154:155]
	v_add_f64_e32 v[178:179], v[178:179], v[180:181]
	scratch_load_b128 v[154:157], off, off offset:608
	s_wait_loadcnt_dscnt 0xa01
	v_mul_f64_e32 v[180:181], v[4:5], v[160:161]
	v_mul_f64_e32 v[160:161], v[6:7], v[160:161]
	v_fmac_f64_e32 v[182:183], v[140:141], v[134:135]
	v_fma_f64 v[138:139], v[138:139], v[134:135], -v[136:137]
	scratch_load_b128 v[134:137], off, off offset:624
	v_add_f64_e32 v[140:141], v[188:189], v[186:187]
	v_add_f64_e32 v[178:179], v[178:179], v[184:185]
	s_wait_loadcnt_dscnt 0xa00
	v_mul_f64_e32 v[184:185], v[146:147], v[144:145]
	v_mul_f64_e32 v[144:145], v[148:149], v[144:145]
	v_fmac_f64_e32 v[180:181], v[6:7], v[158:159]
	v_fma_f64 v[186:187], v[4:5], v[158:159], -v[160:161]
	v_add_f64_e32 v[188:189], v[140:141], v[138:139]
	v_add_f64_e32 v[178:179], v[178:179], v[182:183]
	ds_load_b128 v[4:7], v2 offset:1344
	ds_load_b128 v[138:141], v2 offset:1360
	scratch_load_b128 v[158:161], off, off offset:640
	v_fmac_f64_e32 v[184:185], v[148:149], v[142:143]
	v_fma_f64 v[146:147], v[146:147], v[142:143], -v[144:145]
	scratch_load_b128 v[142:145], off, off offset:656
	s_wait_loadcnt_dscnt 0xb01
	v_mul_f64_e32 v[182:183], v[4:5], v[176:177]
	v_mul_f64_e32 v[176:177], v[6:7], v[176:177]
	v_add_f64_e32 v[148:149], v[188:189], v[186:187]
	v_add_f64_e32 v[178:179], v[178:179], v[180:181]
	s_wait_loadcnt_dscnt 0xa00
	v_mul_f64_e32 v[180:181], v[138:139], v[10:11]
	v_mul_f64_e32 v[10:11], v[140:141], v[10:11]
	v_fmac_f64_e32 v[182:183], v[6:7], v[174:175]
	v_fma_f64 v[186:187], v[4:5], v[174:175], -v[176:177]
	v_add_f64_e32 v[188:189], v[148:149], v[146:147]
	v_add_f64_e32 v[178:179], v[178:179], v[184:185]
	ds_load_b128 v[4:7], v2 offset:1376
	ds_load_b128 v[146:149], v2 offset:1392
	scratch_load_b128 v[174:177], off, off offset:672
	v_fmac_f64_e32 v[180:181], v[140:141], v[8:9]
	v_fma_f64 v[138:139], v[138:139], v[8:9], -v[10:11]
	scratch_load_b128 v[8:11], off, off offset:688
	s_wait_loadcnt_dscnt 0xb01
	v_mul_f64_e32 v[184:185], v[4:5], v[164:165]
	v_mul_f64_e32 v[164:165], v[6:7], v[164:165]
	;; [unrolled: 18-line block ×7, first 2 shown]
	v_add_f64_e32 v[148:149], v[188:189], v[186:187]
	v_add_f64_e32 v[178:179], v[178:179], v[180:181]
	s_wait_loadcnt_dscnt 0xa00
	v_mul_f64_e32 v[180:181], v[138:139], v[10:11]
	v_mul_f64_e32 v[10:11], v[140:141], v[10:11]
	v_fmac_f64_e32 v[182:183], v[6:7], v[174:175]
	v_fma_f64 v[174:175], v[4:5], v[174:175], -v[176:177]
	v_add_f64_e32 v[176:177], v[148:149], v[146:147]
	v_add_f64_e32 v[178:179], v[178:179], v[184:185]
	ds_load_b128 v[4:7], v2 offset:1568
	ds_load_b128 v[146:149], v2 offset:1584
	v_fmac_f64_e32 v[180:181], v[140:141], v[8:9]
	v_fma_f64 v[8:9], v[138:139], v[8:9], -v[10:11]
	s_wait_loadcnt_dscnt 0x901
	v_mul_f64_e32 v[184:185], v[4:5], v[164:165]
	v_mul_f64_e32 v[164:165], v[6:7], v[164:165]
	s_wait_loadcnt_dscnt 0x800
	v_mul_f64_e32 v[140:141], v[146:147], v[128:129]
	v_mul_f64_e32 v[128:129], v[148:149], v[128:129]
	v_add_f64_e32 v[10:11], v[176:177], v[174:175]
	v_add_f64_e32 v[138:139], v[178:179], v[182:183]
	v_fmac_f64_e32 v[184:185], v[6:7], v[162:163]
	v_fma_f64 v[162:163], v[4:5], v[162:163], -v[164:165]
	v_fmac_f64_e32 v[140:141], v[148:149], v[126:127]
	v_fma_f64 v[126:127], v[146:147], v[126:127], -v[128:129]
	v_add_f64_e32 v[164:165], v[10:11], v[8:9]
	v_add_f64_e32 v[138:139], v[138:139], v[180:181]
	ds_load_b128 v[4:7], v2 offset:1600
	ds_load_b128 v[8:11], v2 offset:1616
	s_wait_loadcnt_dscnt 0x701
	v_mul_f64_e32 v[174:175], v[4:5], v[172:173]
	v_mul_f64_e32 v[172:173], v[6:7], v[172:173]
	s_wait_loadcnt_dscnt 0x600
	v_mul_f64_e32 v[146:147], v[8:9], v[14:15]
	v_mul_f64_e32 v[14:15], v[10:11], v[14:15]
	v_add_f64_e32 v[128:129], v[164:165], v[162:163]
	v_add_f64_e32 v[138:139], v[138:139], v[184:185]
	v_fmac_f64_e32 v[174:175], v[6:7], v[170:171]
	v_fma_f64 v[148:149], v[4:5], v[170:171], -v[172:173]
	v_fmac_f64_e32 v[146:147], v[10:11], v[12:13]
	v_fma_f64 v[8:9], v[8:9], v[12:13], -v[14:15]
	v_add_f64_e32 v[162:163], v[128:129], v[126:127]
	v_add_f64_e32 v[138:139], v[138:139], v[140:141]
	ds_load_b128 v[4:7], v2 offset:1632
	ds_load_b128 v[126:129], v2 offset:1648
	;; [unrolled: 16-line block ×4, first 2 shown]
	s_wait_loadcnt_dscnt 0x101
	v_mul_f64_e32 v[2:3], v[4:5], v[160:161]
	v_mul_f64_e32 v[138:139], v[6:7], v[160:161]
	s_wait_loadcnt_dscnt 0x0
	v_mul_f64_e32 v[132:133], v[14:15], v[144:145]
	v_add_f64_e32 v[10:11], v[126:127], v[136:137]
	v_add_f64_e32 v[126:127], v[128:129], v[146:147]
	v_mul_f64_e32 v[128:129], v[12:13], v[144:145]
	v_fmac_f64_e32 v[2:3], v[6:7], v[158:159]
	v_fma_f64 v[4:5], v[4:5], v[158:159], -v[138:139]
	v_add_f64_e32 v[6:7], v[10:11], v[8:9]
	v_add_f64_e32 v[8:9], v[126:127], v[130:131]
	v_fmac_f64_e32 v[128:129], v[14:15], v[142:143]
	v_fma_f64 v[10:11], v[12:13], v[142:143], -v[132:133]
	s_delay_alu instid0(VALU_DEP_4) | instskip(NEXT) | instid1(VALU_DEP_4)
	v_add_f64_e32 v[4:5], v[6:7], v[4:5]
	v_add_f64_e32 v[2:3], v[8:9], v[2:3]
	s_delay_alu instid0(VALU_DEP_2) | instskip(NEXT) | instid1(VALU_DEP_2)
	v_add_f64_e32 v[4:5], v[4:5], v[10:11]
	v_add_f64_e32 v[6:7], v[2:3], v[128:129]
	s_delay_alu instid0(VALU_DEP_2) | instskip(NEXT) | instid1(VALU_DEP_2)
	v_add_f64_e64 v[2:3], v[166:167], -v[4:5]
	v_add_f64_e64 v[4:5], v[168:169], -v[6:7]
	scratch_store_b128 off, v[2:5], off offset:80
	s_wait_xcnt 0x0
	v_cmpx_lt_u32_e32 4, v1
	s_cbranch_execz .LBB53_329
; %bb.328:
	scratch_load_b128 v[2:5], off, s34
	v_mov_b32_e32 v6, 0
	s_delay_alu instid0(VALU_DEP_1)
	v_dual_mov_b32 v7, v6 :: v_dual_mov_b32 v8, v6
	v_mov_b32_e32 v9, v6
	scratch_store_b128 off, v[6:9], off offset:64
	s_wait_loadcnt 0x0
	ds_store_b128 v124, v[2:5]
.LBB53_329:
	s_wait_xcnt 0x0
	s_or_b32 exec_lo, exec_lo, s2
	s_wait_storecnt_dscnt 0x0
	s_barrier_signal -1
	s_barrier_wait -1
	s_clause 0x9
	scratch_load_b128 v[4:7], off, off offset:80
	scratch_load_b128 v[8:11], off, off offset:96
	;; [unrolled: 1-line block ×10, first 2 shown]
	v_mov_b32_e32 v2, 0
	s_mov_b32 s2, exec_lo
	ds_load_b128 v[154:157], v2 offset:944
	s_clause 0x2
	scratch_load_b128 v[158:161], off, off offset:240
	scratch_load_b128 v[162:165], off, off offset:64
	scratch_load_b128 v[170:173], off, off offset:256
	s_wait_loadcnt_dscnt 0xc00
	v_mul_f64_e32 v[174:175], v[156:157], v[6:7]
	v_mul_f64_e32 v[178:179], v[154:155], v[6:7]
	ds_load_b128 v[166:169], v2 offset:960
	v_fma_f64 v[182:183], v[154:155], v[4:5], -v[174:175]
	v_fmac_f64_e32 v[178:179], v[156:157], v[4:5]
	ds_load_b128 v[4:7], v2 offset:976
	s_wait_loadcnt_dscnt 0xb01
	v_mul_f64_e32 v[180:181], v[166:167], v[10:11]
	v_mul_f64_e32 v[10:11], v[168:169], v[10:11]
	scratch_load_b128 v[154:157], off, off offset:272
	ds_load_b128 v[174:177], v2 offset:992
	s_wait_loadcnt_dscnt 0xb01
	v_mul_f64_e32 v[184:185], v[4:5], v[14:15]
	v_mul_f64_e32 v[14:15], v[6:7], v[14:15]
	v_add_f64_e32 v[178:179], 0, v[178:179]
	v_fmac_f64_e32 v[180:181], v[168:169], v[8:9]
	v_fma_f64 v[166:167], v[166:167], v[8:9], -v[10:11]
	v_add_f64_e32 v[168:169], 0, v[182:183]
	scratch_load_b128 v[8:11], off, off offset:288
	v_fmac_f64_e32 v[184:185], v[6:7], v[12:13]
	v_fma_f64 v[186:187], v[4:5], v[12:13], -v[14:15]
	ds_load_b128 v[4:7], v2 offset:1008
	s_wait_loadcnt_dscnt 0xb01
	v_mul_f64_e32 v[182:183], v[174:175], v[128:129]
	v_mul_f64_e32 v[128:129], v[176:177], v[128:129]
	scratch_load_b128 v[12:15], off, off offset:304
	v_add_f64_e32 v[178:179], v[178:179], v[180:181]
	v_add_f64_e32 v[188:189], v[168:169], v[166:167]
	ds_load_b128 v[166:169], v2 offset:1024
	s_wait_loadcnt_dscnt 0xb01
	v_mul_f64_e32 v[180:181], v[4:5], v[132:133]
	v_mul_f64_e32 v[132:133], v[6:7], v[132:133]
	v_fmac_f64_e32 v[182:183], v[176:177], v[126:127]
	v_fma_f64 v[174:175], v[174:175], v[126:127], -v[128:129]
	scratch_load_b128 v[126:129], off, off offset:320
	v_add_f64_e32 v[178:179], v[178:179], v[184:185]
	v_add_f64_e32 v[176:177], v[188:189], v[186:187]
	v_fmac_f64_e32 v[180:181], v[6:7], v[130:131]
	v_fma_f64 v[186:187], v[4:5], v[130:131], -v[132:133]
	ds_load_b128 v[4:7], v2 offset:1040
	s_wait_loadcnt_dscnt 0xb01
	v_mul_f64_e32 v[184:185], v[166:167], v[136:137]
	v_mul_f64_e32 v[136:137], v[168:169], v[136:137]
	scratch_load_b128 v[130:133], off, off offset:336
	v_add_f64_e32 v[178:179], v[178:179], v[182:183]
	s_wait_loadcnt_dscnt 0xb00
	v_mul_f64_e32 v[182:183], v[4:5], v[140:141]
	v_add_f64_e32 v[188:189], v[176:177], v[174:175]
	v_mul_f64_e32 v[140:141], v[6:7], v[140:141]
	ds_load_b128 v[174:177], v2 offset:1056
	v_fmac_f64_e32 v[184:185], v[168:169], v[134:135]
	v_fma_f64 v[166:167], v[166:167], v[134:135], -v[136:137]
	scratch_load_b128 v[134:137], off, off offset:352
	v_add_f64_e32 v[178:179], v[178:179], v[180:181]
	v_fmac_f64_e32 v[182:183], v[6:7], v[138:139]
	v_add_f64_e32 v[168:169], v[188:189], v[186:187]
	v_fma_f64 v[186:187], v[4:5], v[138:139], -v[140:141]
	ds_load_b128 v[4:7], v2 offset:1072
	s_wait_loadcnt_dscnt 0xb01
	v_mul_f64_e32 v[180:181], v[174:175], v[144:145]
	v_mul_f64_e32 v[144:145], v[176:177], v[144:145]
	scratch_load_b128 v[138:141], off, off offset:368
	v_add_f64_e32 v[178:179], v[178:179], v[184:185]
	s_wait_loadcnt_dscnt 0xb00
	v_mul_f64_e32 v[184:185], v[4:5], v[148:149]
	v_add_f64_e32 v[188:189], v[168:169], v[166:167]
	v_mul_f64_e32 v[148:149], v[6:7], v[148:149]
	ds_load_b128 v[166:169], v2 offset:1088
	v_fmac_f64_e32 v[180:181], v[176:177], v[142:143]
	v_fma_f64 v[174:175], v[174:175], v[142:143], -v[144:145]
	scratch_load_b128 v[142:145], off, off offset:384
	v_add_f64_e32 v[178:179], v[178:179], v[182:183]
	v_fmac_f64_e32 v[184:185], v[6:7], v[146:147]
	v_add_f64_e32 v[176:177], v[188:189], v[186:187]
	;; [unrolled: 18-line block ×3, first 2 shown]
	v_fma_f64 v[186:187], v[4:5], v[158:159], -v[160:161]
	ds_load_b128 v[4:7], v2 offset:1136
	s_wait_loadcnt_dscnt 0xa01
	v_mul_f64_e32 v[184:185], v[174:175], v[172:173]
	v_mul_f64_e32 v[172:173], v[176:177], v[172:173]
	scratch_load_b128 v[158:161], off, off offset:432
	v_add_f64_e32 v[178:179], v[178:179], v[182:183]
	v_add_f64_e32 v[188:189], v[168:169], v[166:167]
	s_wait_loadcnt_dscnt 0xa00
	v_mul_f64_e32 v[182:183], v[4:5], v[156:157]
	v_mul_f64_e32 v[156:157], v[6:7], v[156:157]
	v_fmac_f64_e32 v[184:185], v[176:177], v[170:171]
	v_fma_f64 v[174:175], v[174:175], v[170:171], -v[172:173]
	ds_load_b128 v[166:169], v2 offset:1152
	scratch_load_b128 v[170:173], off, off offset:448
	v_add_f64_e32 v[178:179], v[178:179], v[180:181]
	v_add_f64_e32 v[176:177], v[188:189], v[186:187]
	v_fmac_f64_e32 v[182:183], v[6:7], v[154:155]
	v_fma_f64 v[186:187], v[4:5], v[154:155], -v[156:157]
	ds_load_b128 v[4:7], v2 offset:1168
	s_wait_loadcnt_dscnt 0xa01
	v_mul_f64_e32 v[180:181], v[166:167], v[10:11]
	v_mul_f64_e32 v[10:11], v[168:169], v[10:11]
	scratch_load_b128 v[154:157], off, off offset:464
	v_add_f64_e32 v[178:179], v[178:179], v[184:185]
	s_wait_loadcnt_dscnt 0xa00
	v_mul_f64_e32 v[184:185], v[4:5], v[14:15]
	v_add_f64_e32 v[188:189], v[176:177], v[174:175]
	v_mul_f64_e32 v[14:15], v[6:7], v[14:15]
	ds_load_b128 v[174:177], v2 offset:1184
	v_fmac_f64_e32 v[180:181], v[168:169], v[8:9]
	v_fma_f64 v[166:167], v[166:167], v[8:9], -v[10:11]
	scratch_load_b128 v[8:11], off, off offset:480
	v_add_f64_e32 v[178:179], v[178:179], v[182:183]
	v_fmac_f64_e32 v[184:185], v[6:7], v[12:13]
	v_add_f64_e32 v[168:169], v[188:189], v[186:187]
	v_fma_f64 v[186:187], v[4:5], v[12:13], -v[14:15]
	ds_load_b128 v[4:7], v2 offset:1200
	s_wait_loadcnt_dscnt 0xa01
	v_mul_f64_e32 v[182:183], v[174:175], v[128:129]
	v_mul_f64_e32 v[128:129], v[176:177], v[128:129]
	scratch_load_b128 v[12:15], off, off offset:496
	v_add_f64_e32 v[178:179], v[178:179], v[180:181]
	s_wait_loadcnt_dscnt 0xa00
	v_mul_f64_e32 v[180:181], v[4:5], v[132:133]
	v_add_f64_e32 v[188:189], v[168:169], v[166:167]
	v_mul_f64_e32 v[132:133], v[6:7], v[132:133]
	ds_load_b128 v[166:169], v2 offset:1216
	v_fmac_f64_e32 v[182:183], v[176:177], v[126:127]
	v_fma_f64 v[174:175], v[174:175], v[126:127], -v[128:129]
	scratch_load_b128 v[126:129], off, off offset:512
	v_add_f64_e32 v[178:179], v[178:179], v[184:185]
	v_fmac_f64_e32 v[180:181], v[6:7], v[130:131]
	v_add_f64_e32 v[176:177], v[188:189], v[186:187]
	;; [unrolled: 18-line block ×12, first 2 shown]
	v_fma_f64 v[186:187], v[4:5], v[154:155], -v[156:157]
	ds_load_b128 v[4:7], v2 offset:1552
	s_wait_loadcnt_dscnt 0xa01
	v_mul_f64_e32 v[180:181], v[166:167], v[10:11]
	v_mul_f64_e32 v[10:11], v[168:169], v[10:11]
	scratch_load_b128 v[154:157], off, off offset:848
	v_add_f64_e32 v[178:179], v[178:179], v[184:185]
	s_wait_loadcnt_dscnt 0xa00
	v_mul_f64_e32 v[184:185], v[4:5], v[14:15]
	v_add_f64_e32 v[188:189], v[176:177], v[174:175]
	v_mul_f64_e32 v[14:15], v[6:7], v[14:15]
	ds_load_b128 v[174:177], v2 offset:1568
	v_fmac_f64_e32 v[180:181], v[168:169], v[8:9]
	v_fma_f64 v[8:9], v[166:167], v[8:9], -v[10:11]
	s_wait_loadcnt_dscnt 0x900
	v_mul_f64_e32 v[168:169], v[174:175], v[128:129]
	v_mul_f64_e32 v[128:129], v[176:177], v[128:129]
	v_add_f64_e32 v[166:167], v[178:179], v[182:183]
	v_fmac_f64_e32 v[184:185], v[6:7], v[12:13]
	v_add_f64_e32 v[10:11], v[188:189], v[186:187]
	v_fma_f64 v[12:13], v[4:5], v[12:13], -v[14:15]
	v_fmac_f64_e32 v[168:169], v[176:177], v[126:127]
	v_fma_f64 v[126:127], v[174:175], v[126:127], -v[128:129]
	v_add_f64_e32 v[166:167], v[166:167], v[180:181]
	v_add_f64_e32 v[14:15], v[10:11], v[8:9]
	ds_load_b128 v[4:7], v2 offset:1584
	ds_load_b128 v[8:11], v2 offset:1600
	s_wait_loadcnt_dscnt 0x801
	v_mul_f64_e32 v[178:179], v[4:5], v[132:133]
	v_mul_f64_e32 v[132:133], v[6:7], v[132:133]
	s_wait_loadcnt_dscnt 0x700
	v_mul_f64_e32 v[128:129], v[8:9], v[136:137]
	v_mul_f64_e32 v[136:137], v[10:11], v[136:137]
	v_add_f64_e32 v[12:13], v[14:15], v[12:13]
	v_add_f64_e32 v[14:15], v[166:167], v[184:185]
	v_fmac_f64_e32 v[178:179], v[6:7], v[130:131]
	v_fma_f64 v[130:131], v[4:5], v[130:131], -v[132:133]
	v_fmac_f64_e32 v[128:129], v[10:11], v[134:135]
	v_fma_f64 v[8:9], v[8:9], v[134:135], -v[136:137]
	v_add_f64_e32 v[126:127], v[12:13], v[126:127]
	v_add_f64_e32 v[132:133], v[14:15], v[168:169]
	ds_load_b128 v[4:7], v2 offset:1616
	ds_load_b128 v[12:15], v2 offset:1632
	s_wait_loadcnt_dscnt 0x601
	v_mul_f64_e32 v[166:167], v[4:5], v[140:141]
	v_mul_f64_e32 v[140:141], v[6:7], v[140:141]
	v_add_f64_e32 v[10:11], v[126:127], v[130:131]
	v_add_f64_e32 v[126:127], v[132:133], v[178:179]
	s_wait_loadcnt_dscnt 0x500
	v_mul_f64_e32 v[130:131], v[12:13], v[144:145]
	v_mul_f64_e32 v[132:133], v[14:15], v[144:145]
	v_fmac_f64_e32 v[166:167], v[6:7], v[138:139]
	v_fma_f64 v[134:135], v[4:5], v[138:139], -v[140:141]
	v_add_f64_e32 v[136:137], v[10:11], v[8:9]
	v_add_f64_e32 v[126:127], v[126:127], v[128:129]
	ds_load_b128 v[4:7], v2 offset:1648
	ds_load_b128 v[8:11], v2 offset:1664
	v_fmac_f64_e32 v[130:131], v[14:15], v[142:143]
	v_fma_f64 v[12:13], v[12:13], v[142:143], -v[132:133]
	s_wait_loadcnt_dscnt 0x401
	v_mul_f64_e32 v[128:129], v[4:5], v[148:149]
	v_mul_f64_e32 v[138:139], v[6:7], v[148:149]
	s_wait_loadcnt_dscnt 0x300
	v_mul_f64_e32 v[132:133], v[8:9], v[152:153]
	v_add_f64_e32 v[14:15], v[136:137], v[134:135]
	v_add_f64_e32 v[126:127], v[126:127], v[166:167]
	v_mul_f64_e32 v[134:135], v[10:11], v[152:153]
	v_fmac_f64_e32 v[128:129], v[6:7], v[146:147]
	v_fma_f64 v[136:137], v[4:5], v[146:147], -v[138:139]
	v_fmac_f64_e32 v[132:133], v[10:11], v[150:151]
	v_add_f64_e32 v[138:139], v[14:15], v[12:13]
	v_add_f64_e32 v[126:127], v[126:127], v[130:131]
	ds_load_b128 v[4:7], v2 offset:1680
	ds_load_b128 v[12:15], v2 offset:1696
	v_fma_f64 v[8:9], v[8:9], v[150:151], -v[134:135]
	s_wait_loadcnt_dscnt 0x201
	v_mul_f64_e32 v[130:131], v[4:5], v[160:161]
	v_mul_f64_e32 v[140:141], v[6:7], v[160:161]
	s_wait_loadcnt_dscnt 0x100
	v_mul_f64_e32 v[134:135], v[14:15], v[172:173]
	v_add_f64_e32 v[10:11], v[138:139], v[136:137]
	v_add_f64_e32 v[126:127], v[126:127], v[128:129]
	v_mul_f64_e32 v[128:129], v[12:13], v[172:173]
	v_fmac_f64_e32 v[130:131], v[6:7], v[158:159]
	v_fma_f64 v[136:137], v[4:5], v[158:159], -v[140:141]
	ds_load_b128 v[4:7], v2 offset:1712
	v_fma_f64 v[12:13], v[12:13], v[170:171], -v[134:135]
	v_add_f64_e32 v[8:9], v[10:11], v[8:9]
	v_add_f64_e32 v[10:11], v[126:127], v[132:133]
	v_fmac_f64_e32 v[128:129], v[14:15], v[170:171]
	s_wait_loadcnt_dscnt 0x0
	v_mul_f64_e32 v[126:127], v[4:5], v[156:157]
	v_mul_f64_e32 v[132:133], v[6:7], v[156:157]
	v_add_f64_e32 v[8:9], v[8:9], v[136:137]
	v_add_f64_e32 v[10:11], v[10:11], v[130:131]
	s_delay_alu instid0(VALU_DEP_4) | instskip(NEXT) | instid1(VALU_DEP_4)
	v_fmac_f64_e32 v[126:127], v[6:7], v[154:155]
	v_fma_f64 v[4:5], v[4:5], v[154:155], -v[132:133]
	s_delay_alu instid0(VALU_DEP_4) | instskip(NEXT) | instid1(VALU_DEP_4)
	v_add_f64_e32 v[6:7], v[8:9], v[12:13]
	v_add_f64_e32 v[8:9], v[10:11], v[128:129]
	s_delay_alu instid0(VALU_DEP_2) | instskip(NEXT) | instid1(VALU_DEP_2)
	v_add_f64_e32 v[4:5], v[6:7], v[4:5]
	v_add_f64_e32 v[6:7], v[8:9], v[126:127]
	s_delay_alu instid0(VALU_DEP_2) | instskip(NEXT) | instid1(VALU_DEP_2)
	v_add_f64_e64 v[4:5], v[162:163], -v[4:5]
	v_add_f64_e64 v[6:7], v[164:165], -v[6:7]
	scratch_store_b128 off, v[4:7], off offset:64
	s_wait_xcnt 0x0
	v_cmpx_lt_u32_e32 3, v1
	s_cbranch_execz .LBB53_331
; %bb.330:
	scratch_load_b128 v[6:9], off, s33
	v_dual_mov_b32 v3, v2 :: v_dual_mov_b32 v4, v2
	v_mov_b32_e32 v5, v2
	scratch_store_b128 off, v[2:5], off offset:48
	s_wait_loadcnt 0x0
	ds_store_b128 v124, v[6:9]
.LBB53_331:
	s_wait_xcnt 0x0
	s_or_b32 exec_lo, exec_lo, s2
	s_wait_storecnt_dscnt 0x0
	s_barrier_signal -1
	s_barrier_wait -1
	s_clause 0x9
	scratch_load_b128 v[4:7], off, off offset:64
	scratch_load_b128 v[8:11], off, off offset:80
	;; [unrolled: 1-line block ×10, first 2 shown]
	ds_load_b128 v[154:157], v2 offset:928
	ds_load_b128 v[162:165], v2 offset:944
	s_clause 0x2
	scratch_load_b128 v[158:161], off, off offset:224
	scratch_load_b128 v[166:169], off, off offset:48
	;; [unrolled: 1-line block ×3, first 2 shown]
	s_mov_b32 s2, exec_lo
	s_wait_loadcnt_dscnt 0xc01
	v_mul_f64_e32 v[174:175], v[156:157], v[6:7]
	v_mul_f64_e32 v[178:179], v[154:155], v[6:7]
	s_wait_loadcnt_dscnt 0xb00
	v_mul_f64_e32 v[180:181], v[162:163], v[10:11]
	v_mul_f64_e32 v[10:11], v[164:165], v[10:11]
	s_delay_alu instid0(VALU_DEP_4) | instskip(NEXT) | instid1(VALU_DEP_4)
	v_fma_f64 v[182:183], v[154:155], v[4:5], -v[174:175]
	v_fmac_f64_e32 v[178:179], v[156:157], v[4:5]
	ds_load_b128 v[4:7], v2 offset:960
	ds_load_b128 v[154:157], v2 offset:976
	scratch_load_b128 v[174:177], off, off offset:256
	v_fmac_f64_e32 v[180:181], v[164:165], v[8:9]
	v_fma_f64 v[162:163], v[162:163], v[8:9], -v[10:11]
	scratch_load_b128 v[8:11], off, off offset:272
	s_wait_loadcnt_dscnt 0xc01
	v_mul_f64_e32 v[184:185], v[4:5], v[14:15]
	v_mul_f64_e32 v[14:15], v[6:7], v[14:15]
	v_add_f64_e32 v[164:165], 0, v[182:183]
	v_add_f64_e32 v[178:179], 0, v[178:179]
	s_wait_loadcnt_dscnt 0xb00
	v_mul_f64_e32 v[182:183], v[154:155], v[128:129]
	v_mul_f64_e32 v[128:129], v[156:157], v[128:129]
	v_fmac_f64_e32 v[184:185], v[6:7], v[12:13]
	v_fma_f64 v[186:187], v[4:5], v[12:13], -v[14:15]
	ds_load_b128 v[4:7], v2 offset:992
	ds_load_b128 v[12:15], v2 offset:1008
	v_add_f64_e32 v[188:189], v[164:165], v[162:163]
	v_add_f64_e32 v[178:179], v[178:179], v[180:181]
	scratch_load_b128 v[162:165], off, off offset:288
	v_fmac_f64_e32 v[182:183], v[156:157], v[126:127]
	v_fma_f64 v[154:155], v[154:155], v[126:127], -v[128:129]
	scratch_load_b128 v[126:129], off, off offset:304
	s_wait_loadcnt_dscnt 0xc01
	v_mul_f64_e32 v[180:181], v[4:5], v[132:133]
	v_mul_f64_e32 v[132:133], v[6:7], v[132:133]
	v_add_f64_e32 v[156:157], v[188:189], v[186:187]
	v_add_f64_e32 v[178:179], v[178:179], v[184:185]
	s_wait_loadcnt_dscnt 0xb00
	v_mul_f64_e32 v[184:185], v[12:13], v[136:137]
	v_mul_f64_e32 v[136:137], v[14:15], v[136:137]
	v_fmac_f64_e32 v[180:181], v[6:7], v[130:131]
	v_fma_f64 v[186:187], v[4:5], v[130:131], -v[132:133]
	ds_load_b128 v[4:7], v2 offset:1024
	ds_load_b128 v[130:133], v2 offset:1040
	v_add_f64_e32 v[188:189], v[156:157], v[154:155]
	v_add_f64_e32 v[178:179], v[178:179], v[182:183]
	scratch_load_b128 v[154:157], off, off offset:320
	s_wait_loadcnt_dscnt 0xb01
	v_mul_f64_e32 v[182:183], v[4:5], v[140:141]
	v_mul_f64_e32 v[140:141], v[6:7], v[140:141]
	v_fmac_f64_e32 v[184:185], v[14:15], v[134:135]
	v_fma_f64 v[134:135], v[12:13], v[134:135], -v[136:137]
	scratch_load_b128 v[12:15], off, off offset:336
	v_add_f64_e32 v[136:137], v[188:189], v[186:187]
	v_add_f64_e32 v[178:179], v[178:179], v[180:181]
	s_wait_loadcnt_dscnt 0xb00
	v_mul_f64_e32 v[180:181], v[130:131], v[144:145]
	v_mul_f64_e32 v[144:145], v[132:133], v[144:145]
	v_fmac_f64_e32 v[182:183], v[6:7], v[138:139]
	v_fma_f64 v[186:187], v[4:5], v[138:139], -v[140:141]
	v_add_f64_e32 v[188:189], v[136:137], v[134:135]
	v_add_f64_e32 v[178:179], v[178:179], v[184:185]
	ds_load_b128 v[4:7], v2 offset:1056
	ds_load_b128 v[134:137], v2 offset:1072
	scratch_load_b128 v[138:141], off, off offset:352
	v_fmac_f64_e32 v[180:181], v[132:133], v[142:143]
	v_fma_f64 v[142:143], v[130:131], v[142:143], -v[144:145]
	scratch_load_b128 v[130:133], off, off offset:368
	s_wait_loadcnt_dscnt 0xc01
	v_mul_f64_e32 v[184:185], v[4:5], v[148:149]
	v_mul_f64_e32 v[148:149], v[6:7], v[148:149]
	v_add_f64_e32 v[144:145], v[188:189], v[186:187]
	v_add_f64_e32 v[178:179], v[178:179], v[182:183]
	s_wait_loadcnt_dscnt 0xb00
	v_mul_f64_e32 v[182:183], v[134:135], v[152:153]
	v_mul_f64_e32 v[152:153], v[136:137], v[152:153]
	v_fmac_f64_e32 v[184:185], v[6:7], v[146:147]
	v_fma_f64 v[186:187], v[4:5], v[146:147], -v[148:149]
	v_add_f64_e32 v[188:189], v[144:145], v[142:143]
	v_add_f64_e32 v[178:179], v[178:179], v[180:181]
	ds_load_b128 v[4:7], v2 offset:1088
	ds_load_b128 v[142:145], v2 offset:1104
	scratch_load_b128 v[146:149], off, off offset:384
	v_fmac_f64_e32 v[182:183], v[136:137], v[150:151]
	v_fma_f64 v[150:151], v[134:135], v[150:151], -v[152:153]
	scratch_load_b128 v[134:137], off, off offset:400
	s_wait_loadcnt_dscnt 0xc01
	v_mul_f64_e32 v[180:181], v[4:5], v[160:161]
	v_mul_f64_e32 v[160:161], v[6:7], v[160:161]
	;; [unrolled: 18-line block ×5, first 2 shown]
	v_add_f64_e32 v[172:173], v[188:189], v[186:187]
	v_add_f64_e32 v[178:179], v[178:179], v[184:185]
	s_wait_loadcnt_dscnt 0xa00
	v_mul_f64_e32 v[184:185], v[150:151], v[14:15]
	v_mul_f64_e32 v[14:15], v[152:153], v[14:15]
	v_fmac_f64_e32 v[180:181], v[6:7], v[154:155]
	v_fma_f64 v[186:187], v[4:5], v[154:155], -v[156:157]
	ds_load_b128 v[4:7], v2 offset:1216
	ds_load_b128 v[154:157], v2 offset:1232
	v_add_f64_e32 v[188:189], v[172:173], v[170:171]
	v_add_f64_e32 v[178:179], v[178:179], v[182:183]
	scratch_load_b128 v[170:173], off, off offset:512
	v_fmac_f64_e32 v[184:185], v[152:153], v[12:13]
	v_fma_f64 v[150:151], v[150:151], v[12:13], -v[14:15]
	scratch_load_b128 v[12:15], off, off offset:528
	s_wait_loadcnt_dscnt 0xb01
	v_mul_f64_e32 v[182:183], v[4:5], v[140:141]
	v_mul_f64_e32 v[140:141], v[6:7], v[140:141]
	v_add_f64_e32 v[152:153], v[188:189], v[186:187]
	v_add_f64_e32 v[178:179], v[178:179], v[180:181]
	s_wait_loadcnt_dscnt 0xa00
	v_mul_f64_e32 v[180:181], v[154:155], v[132:133]
	v_mul_f64_e32 v[132:133], v[156:157], v[132:133]
	v_fmac_f64_e32 v[182:183], v[6:7], v[138:139]
	v_fma_f64 v[186:187], v[4:5], v[138:139], -v[140:141]
	ds_load_b128 v[4:7], v2 offset:1248
	ds_load_b128 v[138:141], v2 offset:1264
	v_add_f64_e32 v[188:189], v[152:153], v[150:151]
	v_add_f64_e32 v[178:179], v[178:179], v[184:185]
	scratch_load_b128 v[150:153], off, off offset:544
	s_wait_loadcnt_dscnt 0xa01
	v_mul_f64_e32 v[184:185], v[4:5], v[148:149]
	v_mul_f64_e32 v[148:149], v[6:7], v[148:149]
	v_fmac_f64_e32 v[180:181], v[156:157], v[130:131]
	v_fma_f64 v[154:155], v[154:155], v[130:131], -v[132:133]
	scratch_load_b128 v[130:133], off, off offset:560
	v_add_f64_e32 v[156:157], v[188:189], v[186:187]
	v_add_f64_e32 v[178:179], v[178:179], v[182:183]
	s_wait_loadcnt_dscnt 0xa00
	v_mul_f64_e32 v[182:183], v[138:139], v[136:137]
	v_mul_f64_e32 v[136:137], v[140:141], v[136:137]
	v_fmac_f64_e32 v[184:185], v[6:7], v[146:147]
	v_fma_f64 v[186:187], v[4:5], v[146:147], -v[148:149]
	ds_load_b128 v[4:7], v2 offset:1280
	ds_load_b128 v[146:149], v2 offset:1296
	v_add_f64_e32 v[188:189], v[156:157], v[154:155]
	v_add_f64_e32 v[178:179], v[178:179], v[180:181]
	scratch_load_b128 v[154:157], off, off offset:576
	s_wait_loadcnt_dscnt 0xa01
	v_mul_f64_e32 v[180:181], v[4:5], v[160:161]
	v_mul_f64_e32 v[160:161], v[6:7], v[160:161]
	v_fmac_f64_e32 v[182:183], v[140:141], v[134:135]
	v_fma_f64 v[138:139], v[138:139], v[134:135], -v[136:137]
	scratch_load_b128 v[134:137], off, off offset:592
	v_add_f64_e32 v[140:141], v[188:189], v[186:187]
	v_add_f64_e32 v[178:179], v[178:179], v[184:185]
	s_wait_loadcnt_dscnt 0xa00
	v_mul_f64_e32 v[184:185], v[146:147], v[144:145]
	v_mul_f64_e32 v[144:145], v[148:149], v[144:145]
	v_fmac_f64_e32 v[180:181], v[6:7], v[158:159]
	v_fma_f64 v[186:187], v[4:5], v[158:159], -v[160:161]
	v_add_f64_e32 v[188:189], v[140:141], v[138:139]
	v_add_f64_e32 v[178:179], v[178:179], v[182:183]
	ds_load_b128 v[4:7], v2 offset:1312
	ds_load_b128 v[138:141], v2 offset:1328
	scratch_load_b128 v[158:161], off, off offset:608
	v_fmac_f64_e32 v[184:185], v[148:149], v[142:143]
	v_fma_f64 v[146:147], v[146:147], v[142:143], -v[144:145]
	scratch_load_b128 v[142:145], off, off offset:624
	s_wait_loadcnt_dscnt 0xb01
	v_mul_f64_e32 v[182:183], v[4:5], v[176:177]
	v_mul_f64_e32 v[176:177], v[6:7], v[176:177]
	v_add_f64_e32 v[148:149], v[188:189], v[186:187]
	v_add_f64_e32 v[178:179], v[178:179], v[180:181]
	s_wait_loadcnt_dscnt 0xa00
	v_mul_f64_e32 v[180:181], v[138:139], v[10:11]
	v_mul_f64_e32 v[10:11], v[140:141], v[10:11]
	v_fmac_f64_e32 v[182:183], v[6:7], v[174:175]
	v_fma_f64 v[186:187], v[4:5], v[174:175], -v[176:177]
	v_add_f64_e32 v[188:189], v[148:149], v[146:147]
	v_add_f64_e32 v[178:179], v[178:179], v[184:185]
	ds_load_b128 v[4:7], v2 offset:1344
	ds_load_b128 v[146:149], v2 offset:1360
	scratch_load_b128 v[174:177], off, off offset:640
	v_fmac_f64_e32 v[180:181], v[140:141], v[8:9]
	v_fma_f64 v[138:139], v[138:139], v[8:9], -v[10:11]
	scratch_load_b128 v[8:11], off, off offset:656
	s_wait_loadcnt_dscnt 0xb01
	v_mul_f64_e32 v[184:185], v[4:5], v[164:165]
	v_mul_f64_e32 v[164:165], v[6:7], v[164:165]
	;; [unrolled: 18-line block ×8, first 2 shown]
	v_add_f64_e32 v[140:141], v[188:189], v[186:187]
	v_add_f64_e32 v[178:179], v[178:179], v[182:183]
	s_wait_loadcnt_dscnt 0xa00
	v_mul_f64_e32 v[182:183], v[146:147], v[128:129]
	v_mul_f64_e32 v[128:129], v[148:149], v[128:129]
	v_fmac_f64_e32 v[184:185], v[6:7], v[162:163]
	v_fma_f64 v[162:163], v[4:5], v[162:163], -v[164:165]
	v_add_f64_e32 v[164:165], v[140:141], v[138:139]
	v_add_f64_e32 v[178:179], v[178:179], v[180:181]
	ds_load_b128 v[4:7], v2 offset:1568
	ds_load_b128 v[138:141], v2 offset:1584
	v_fmac_f64_e32 v[182:183], v[148:149], v[126:127]
	v_fma_f64 v[126:127], v[146:147], v[126:127], -v[128:129]
	s_wait_loadcnt_dscnt 0x901
	v_mul_f64_e32 v[180:181], v[4:5], v[172:173]
	v_mul_f64_e32 v[172:173], v[6:7], v[172:173]
	s_wait_loadcnt_dscnt 0x800
	v_mul_f64_e32 v[148:149], v[138:139], v[14:15]
	v_mul_f64_e32 v[14:15], v[140:141], v[14:15]
	v_add_f64_e32 v[128:129], v[164:165], v[162:163]
	v_add_f64_e32 v[146:147], v[178:179], v[184:185]
	v_fmac_f64_e32 v[180:181], v[6:7], v[170:171]
	v_fma_f64 v[162:163], v[4:5], v[170:171], -v[172:173]
	v_fmac_f64_e32 v[148:149], v[140:141], v[12:13]
	v_fma_f64 v[12:13], v[138:139], v[12:13], -v[14:15]
	v_add_f64_e32 v[164:165], v[128:129], v[126:127]
	v_add_f64_e32 v[146:147], v[146:147], v[182:183]
	ds_load_b128 v[4:7], v2 offset:1600
	ds_load_b128 v[126:129], v2 offset:1616
	s_wait_loadcnt_dscnt 0x701
	v_mul_f64_e32 v[170:171], v[4:5], v[152:153]
	v_mul_f64_e32 v[152:153], v[6:7], v[152:153]
	s_wait_loadcnt_dscnt 0x600
	v_mul_f64_e32 v[140:141], v[126:127], v[132:133]
	v_mul_f64_e32 v[132:133], v[128:129], v[132:133]
	v_add_f64_e32 v[14:15], v[164:165], v[162:163]
	v_add_f64_e32 v[138:139], v[146:147], v[180:181]
	v_fmac_f64_e32 v[170:171], v[6:7], v[150:151]
	v_fma_f64 v[146:147], v[4:5], v[150:151], -v[152:153]
	v_fmac_f64_e32 v[140:141], v[128:129], v[130:131]
	v_fma_f64 v[126:127], v[126:127], v[130:131], -v[132:133]
	v_add_f64_e32 v[150:151], v[14:15], v[12:13]
	v_add_f64_e32 v[138:139], v[138:139], v[148:149]
	ds_load_b128 v[4:7], v2 offset:1632
	ds_load_b128 v[12:15], v2 offset:1648
	;; [unrolled: 16-line block ×4, first 2 shown]
	s_wait_loadcnt_dscnt 0x101
	v_mul_f64_e32 v[2:3], v[4:5], v[176:177]
	v_mul_f64_e32 v[132:133], v[6:7], v[176:177]
	s_wait_loadcnt_dscnt 0x0
	v_mul_f64_e32 v[136:137], v[12:13], v[10:11]
	v_mul_f64_e32 v[10:11], v[14:15], v[10:11]
	v_add_f64_e32 v[128:129], v[144:145], v[138:139]
	v_add_f64_e32 v[130:131], v[130:131], v[140:141]
	v_fmac_f64_e32 v[2:3], v[6:7], v[174:175]
	v_fma_f64 v[4:5], v[4:5], v[174:175], -v[132:133]
	v_fmac_f64_e32 v[136:137], v[14:15], v[8:9]
	v_fma_f64 v[8:9], v[12:13], v[8:9], -v[10:11]
	v_add_f64_e32 v[6:7], v[128:129], v[126:127]
	v_add_f64_e32 v[126:127], v[130:131], v[134:135]
	s_delay_alu instid0(VALU_DEP_2) | instskip(NEXT) | instid1(VALU_DEP_2)
	v_add_f64_e32 v[4:5], v[6:7], v[4:5]
	v_add_f64_e32 v[2:3], v[126:127], v[2:3]
	s_delay_alu instid0(VALU_DEP_2) | instskip(NEXT) | instid1(VALU_DEP_2)
	;; [unrolled: 3-line block ×3, first 2 shown]
	v_add_f64_e64 v[2:3], v[166:167], -v[4:5]
	v_add_f64_e64 v[4:5], v[168:169], -v[6:7]
	scratch_store_b128 off, v[2:5], off offset:48
	s_wait_xcnt 0x0
	v_cmpx_lt_u32_e32 2, v1
	s_cbranch_execz .LBB53_333
; %bb.332:
	scratch_load_b128 v[2:5], off, s50
	v_mov_b32_e32 v6, 0
	s_delay_alu instid0(VALU_DEP_1)
	v_dual_mov_b32 v7, v6 :: v_dual_mov_b32 v8, v6
	v_mov_b32_e32 v9, v6
	scratch_store_b128 off, v[6:9], off offset:32
	s_wait_loadcnt 0x0
	ds_store_b128 v124, v[2:5]
.LBB53_333:
	s_wait_xcnt 0x0
	s_or_b32 exec_lo, exec_lo, s2
	s_wait_storecnt_dscnt 0x0
	s_barrier_signal -1
	s_barrier_wait -1
	s_clause 0x9
	scratch_load_b128 v[4:7], off, off offset:48
	scratch_load_b128 v[8:11], off, off offset:64
	scratch_load_b128 v[12:15], off, off offset:80
	scratch_load_b128 v[126:129], off, off offset:96
	scratch_load_b128 v[130:133], off, off offset:112
	scratch_load_b128 v[134:137], off, off offset:128
	scratch_load_b128 v[138:141], off, off offset:144
	scratch_load_b128 v[142:145], off, off offset:160
	scratch_load_b128 v[146:149], off, off offset:176
	scratch_load_b128 v[150:153], off, off offset:192
	v_mov_b32_e32 v2, 0
	s_mov_b32 s2, exec_lo
	v_dual_ashrrev_i32 v21, 31, v20 :: v_dual_ashrrev_i32 v23, 31, v22
	v_ashrrev_i32_e32 v25, 31, v24
	ds_load_b128 v[154:157], v2 offset:912
	s_clause 0x2
	scratch_load_b128 v[158:161], off, off offset:208
	scratch_load_b128 v[162:165], off, off offset:32
	;; [unrolled: 1-line block ×3, first 2 shown]
	v_ashrrev_i32_e32 v29, 31, v28
	v_ashrrev_i32_e32 v33, 31, v32
	v_dual_ashrrev_i32 v37, 31, v36 :: v_dual_ashrrev_i32 v27, 31, v26
	v_ashrrev_i32_e32 v41, 31, v40
	v_dual_ashrrev_i32 v45, 31, v44 :: v_dual_ashrrev_i32 v31, 31, v30
	v_ashrrev_i32_e32 v35, 31, v34
	v_ashrrev_i32_e32 v39, 31, v38
	v_dual_ashrrev_i32 v43, 31, v42 :: v_dual_ashrrev_i32 v49, 31, v48
	v_ashrrev_i32_e32 v47, 31, v46
	v_dual_ashrrev_i32 v51, 31, v50 :: v_dual_ashrrev_i32 v53, 31, v52
	v_dual_ashrrev_i32 v55, 31, v54 :: v_dual_ashrrev_i32 v57, 31, v56
	;; [unrolled: 1-line block ×10, first 2 shown]
	v_ashrrev_i32_e32 v91, 31, v90
	v_dual_ashrrev_i32 v95, 31, v94 :: v_dual_ashrrev_i32 v93, 31, v92
	v_dual_ashrrev_i32 v97, 31, v96 :: v_dual_ashrrev_i32 v99, 31, v98
	v_dual_ashrrev_i32 v101, 31, v100 :: v_dual_ashrrev_i32 v103, 31, v102
	v_dual_ashrrev_i32 v105, 31, v104 :: v_dual_ashrrev_i32 v107, 31, v106
	v_dual_ashrrev_i32 v109, 31, v108 :: v_dual_ashrrev_i32 v111, 31, v110
	v_dual_ashrrev_i32 v115, 31, v114 :: v_dual_ashrrev_i32 v113, 31, v112
	v_dual_ashrrev_i32 v119, 31, v118 :: v_dual_ashrrev_i32 v117, 31, v116
	v_dual_ashrrev_i32 v123, 31, v122 :: v_dual_ashrrev_i32 v121, 31, v120
	s_wait_loadcnt_dscnt 0xc00
	v_mul_f64_e32 v[174:175], v[156:157], v[6:7]
	v_mul_f64_e32 v[178:179], v[154:155], v[6:7]
	ds_load_b128 v[166:169], v2 offset:928
	v_fma_f64 v[182:183], v[154:155], v[4:5], -v[174:175]
	v_fmac_f64_e32 v[178:179], v[156:157], v[4:5]
	ds_load_b128 v[4:7], v2 offset:944
	s_wait_loadcnt_dscnt 0xb01
	v_mul_f64_e32 v[180:181], v[166:167], v[10:11]
	v_mul_f64_e32 v[10:11], v[168:169], v[10:11]
	scratch_load_b128 v[154:157], off, off offset:240
	ds_load_b128 v[174:177], v2 offset:960
	s_wait_loadcnt_dscnt 0xb01
	v_mul_f64_e32 v[184:185], v[4:5], v[14:15]
	v_mul_f64_e32 v[14:15], v[6:7], v[14:15]
	v_add_f64_e32 v[178:179], 0, v[178:179]
	v_fmac_f64_e32 v[180:181], v[168:169], v[8:9]
	v_fma_f64 v[166:167], v[166:167], v[8:9], -v[10:11]
	v_add_f64_e32 v[168:169], 0, v[182:183]
	scratch_load_b128 v[8:11], off, off offset:256
	v_fmac_f64_e32 v[184:185], v[6:7], v[12:13]
	v_fma_f64 v[186:187], v[4:5], v[12:13], -v[14:15]
	ds_load_b128 v[4:7], v2 offset:976
	s_wait_loadcnt_dscnt 0xb01
	v_mul_f64_e32 v[182:183], v[174:175], v[128:129]
	v_mul_f64_e32 v[128:129], v[176:177], v[128:129]
	scratch_load_b128 v[12:15], off, off offset:272
	v_add_f64_e32 v[178:179], v[178:179], v[180:181]
	v_add_f64_e32 v[188:189], v[168:169], v[166:167]
	ds_load_b128 v[166:169], v2 offset:992
	s_wait_loadcnt_dscnt 0xb01
	v_mul_f64_e32 v[180:181], v[4:5], v[132:133]
	v_mul_f64_e32 v[132:133], v[6:7], v[132:133]
	v_fmac_f64_e32 v[182:183], v[176:177], v[126:127]
	v_fma_f64 v[174:175], v[174:175], v[126:127], -v[128:129]
	scratch_load_b128 v[126:129], off, off offset:288
	v_add_f64_e32 v[178:179], v[178:179], v[184:185]
	v_add_f64_e32 v[176:177], v[188:189], v[186:187]
	v_fmac_f64_e32 v[180:181], v[6:7], v[130:131]
	v_fma_f64 v[186:187], v[4:5], v[130:131], -v[132:133]
	ds_load_b128 v[4:7], v2 offset:1008
	s_wait_loadcnt_dscnt 0xb01
	v_mul_f64_e32 v[184:185], v[166:167], v[136:137]
	v_mul_f64_e32 v[136:137], v[168:169], v[136:137]
	scratch_load_b128 v[130:133], off, off offset:304
	v_add_f64_e32 v[178:179], v[178:179], v[182:183]
	s_wait_loadcnt_dscnt 0xb00
	v_mul_f64_e32 v[182:183], v[4:5], v[140:141]
	v_add_f64_e32 v[188:189], v[176:177], v[174:175]
	v_mul_f64_e32 v[140:141], v[6:7], v[140:141]
	ds_load_b128 v[174:177], v2 offset:1024
	v_fmac_f64_e32 v[184:185], v[168:169], v[134:135]
	v_fma_f64 v[166:167], v[166:167], v[134:135], -v[136:137]
	scratch_load_b128 v[134:137], off, off offset:320
	v_add_f64_e32 v[178:179], v[178:179], v[180:181]
	v_fmac_f64_e32 v[182:183], v[6:7], v[138:139]
	v_add_f64_e32 v[168:169], v[188:189], v[186:187]
	v_fma_f64 v[186:187], v[4:5], v[138:139], -v[140:141]
	ds_load_b128 v[4:7], v2 offset:1040
	s_wait_loadcnt_dscnt 0xb01
	v_mul_f64_e32 v[180:181], v[174:175], v[144:145]
	v_mul_f64_e32 v[144:145], v[176:177], v[144:145]
	scratch_load_b128 v[138:141], off, off offset:336
	v_add_f64_e32 v[178:179], v[178:179], v[184:185]
	s_wait_loadcnt_dscnt 0xb00
	v_mul_f64_e32 v[184:185], v[4:5], v[148:149]
	v_add_f64_e32 v[188:189], v[168:169], v[166:167]
	v_mul_f64_e32 v[148:149], v[6:7], v[148:149]
	ds_load_b128 v[166:169], v2 offset:1056
	v_fmac_f64_e32 v[180:181], v[176:177], v[142:143]
	v_fma_f64 v[174:175], v[174:175], v[142:143], -v[144:145]
	scratch_load_b128 v[142:145], off, off offset:352
	v_add_f64_e32 v[178:179], v[178:179], v[182:183]
	v_fmac_f64_e32 v[184:185], v[6:7], v[146:147]
	v_add_f64_e32 v[176:177], v[188:189], v[186:187]
	;; [unrolled: 18-line block ×3, first 2 shown]
	v_fma_f64 v[186:187], v[4:5], v[158:159], -v[160:161]
	ds_load_b128 v[4:7], v2 offset:1104
	s_wait_loadcnt_dscnt 0xa01
	v_mul_f64_e32 v[184:185], v[174:175], v[172:173]
	v_mul_f64_e32 v[172:173], v[176:177], v[172:173]
	scratch_load_b128 v[158:161], off, off offset:400
	v_add_f64_e32 v[178:179], v[178:179], v[182:183]
	v_add_f64_e32 v[188:189], v[168:169], v[166:167]
	s_wait_loadcnt_dscnt 0xa00
	v_mul_f64_e32 v[182:183], v[4:5], v[156:157]
	v_mul_f64_e32 v[156:157], v[6:7], v[156:157]
	v_fmac_f64_e32 v[184:185], v[176:177], v[170:171]
	v_fma_f64 v[174:175], v[174:175], v[170:171], -v[172:173]
	ds_load_b128 v[166:169], v2 offset:1120
	scratch_load_b128 v[170:173], off, off offset:416
	v_add_f64_e32 v[178:179], v[178:179], v[180:181]
	v_add_f64_e32 v[176:177], v[188:189], v[186:187]
	v_fmac_f64_e32 v[182:183], v[6:7], v[154:155]
	v_fma_f64 v[186:187], v[4:5], v[154:155], -v[156:157]
	ds_load_b128 v[4:7], v2 offset:1136
	s_wait_loadcnt_dscnt 0xa01
	v_mul_f64_e32 v[180:181], v[166:167], v[10:11]
	v_mul_f64_e32 v[10:11], v[168:169], v[10:11]
	scratch_load_b128 v[154:157], off, off offset:432
	v_add_f64_e32 v[178:179], v[178:179], v[184:185]
	s_wait_loadcnt_dscnt 0xa00
	v_mul_f64_e32 v[184:185], v[4:5], v[14:15]
	v_add_f64_e32 v[188:189], v[176:177], v[174:175]
	v_mul_f64_e32 v[14:15], v[6:7], v[14:15]
	ds_load_b128 v[174:177], v2 offset:1152
	v_fmac_f64_e32 v[180:181], v[168:169], v[8:9]
	v_fma_f64 v[166:167], v[166:167], v[8:9], -v[10:11]
	scratch_load_b128 v[8:11], off, off offset:448
	v_add_f64_e32 v[178:179], v[178:179], v[182:183]
	v_fmac_f64_e32 v[184:185], v[6:7], v[12:13]
	v_add_f64_e32 v[168:169], v[188:189], v[186:187]
	v_fma_f64 v[186:187], v[4:5], v[12:13], -v[14:15]
	ds_load_b128 v[4:7], v2 offset:1168
	s_wait_loadcnt_dscnt 0xa01
	v_mul_f64_e32 v[182:183], v[174:175], v[128:129]
	v_mul_f64_e32 v[128:129], v[176:177], v[128:129]
	scratch_load_b128 v[12:15], off, off offset:464
	v_add_f64_e32 v[178:179], v[178:179], v[180:181]
	s_wait_loadcnt_dscnt 0xa00
	v_mul_f64_e32 v[180:181], v[4:5], v[132:133]
	v_add_f64_e32 v[188:189], v[168:169], v[166:167]
	v_mul_f64_e32 v[132:133], v[6:7], v[132:133]
	ds_load_b128 v[166:169], v2 offset:1184
	v_fmac_f64_e32 v[182:183], v[176:177], v[126:127]
	v_fma_f64 v[174:175], v[174:175], v[126:127], -v[128:129]
	scratch_load_b128 v[126:129], off, off offset:480
	v_add_f64_e32 v[178:179], v[178:179], v[184:185]
	v_fmac_f64_e32 v[180:181], v[6:7], v[130:131]
	v_add_f64_e32 v[176:177], v[188:189], v[186:187]
	;; [unrolled: 18-line block ×13, first 2 shown]
	v_fma_f64 v[186:187], v[4:5], v[12:13], -v[14:15]
	ds_load_b128 v[4:7], v2 offset:1552
	s_wait_loadcnt_dscnt 0xa01
	v_mul_f64_e32 v[182:183], v[174:175], v[128:129]
	v_mul_f64_e32 v[128:129], v[176:177], v[128:129]
	scratch_load_b128 v[12:15], off, off offset:848
	v_add_f64_e32 v[178:179], v[178:179], v[180:181]
	s_wait_loadcnt_dscnt 0xa00
	v_mul_f64_e32 v[180:181], v[4:5], v[132:133]
	v_add_f64_e32 v[188:189], v[168:169], v[166:167]
	v_mul_f64_e32 v[132:133], v[6:7], v[132:133]
	ds_load_b128 v[166:169], v2 offset:1568
	v_fmac_f64_e32 v[182:183], v[176:177], v[126:127]
	v_fma_f64 v[126:127], v[174:175], v[126:127], -v[128:129]
	s_wait_loadcnt_dscnt 0x900
	v_mul_f64_e32 v[176:177], v[166:167], v[136:137]
	v_mul_f64_e32 v[136:137], v[168:169], v[136:137]
	v_add_f64_e32 v[174:175], v[178:179], v[184:185]
	v_fmac_f64_e32 v[180:181], v[6:7], v[130:131]
	v_add_f64_e32 v[128:129], v[188:189], v[186:187]
	v_fma_f64 v[130:131], v[4:5], v[130:131], -v[132:133]
	v_fmac_f64_e32 v[176:177], v[168:169], v[134:135]
	v_fma_f64 v[134:135], v[166:167], v[134:135], -v[136:137]
	v_add_f64_e32 v[174:175], v[174:175], v[182:183]
	v_add_f64_e32 v[132:133], v[128:129], v[126:127]
	ds_load_b128 v[4:7], v2 offset:1584
	ds_load_b128 v[126:129], v2 offset:1600
	s_wait_loadcnt_dscnt 0x801
	v_mul_f64_e32 v[178:179], v[4:5], v[140:141]
	v_mul_f64_e32 v[140:141], v[6:7], v[140:141]
	s_wait_loadcnt_dscnt 0x700
	v_mul_f64_e32 v[136:137], v[126:127], v[144:145]
	v_mul_f64_e32 v[144:145], v[128:129], v[144:145]
	v_add_f64_e32 v[130:131], v[132:133], v[130:131]
	v_add_f64_e32 v[132:133], v[174:175], v[180:181]
	v_fmac_f64_e32 v[178:179], v[6:7], v[138:139]
	v_fma_f64 v[138:139], v[4:5], v[138:139], -v[140:141]
	v_fmac_f64_e32 v[136:137], v[128:129], v[142:143]
	v_fma_f64 v[126:127], v[126:127], v[142:143], -v[144:145]
	v_add_f64_e32 v[134:135], v[130:131], v[134:135]
	v_add_f64_e32 v[140:141], v[132:133], v[176:177]
	ds_load_b128 v[4:7], v2 offset:1616
	ds_load_b128 v[130:133], v2 offset:1632
	s_wait_loadcnt_dscnt 0x601
	v_mul_f64_e32 v[166:167], v[4:5], v[148:149]
	v_mul_f64_e32 v[148:149], v[6:7], v[148:149]
	v_add_f64_e32 v[128:129], v[134:135], v[138:139]
	v_add_f64_e32 v[134:135], v[140:141], v[178:179]
	s_wait_loadcnt_dscnt 0x500
	v_mul_f64_e32 v[138:139], v[130:131], v[152:153]
	v_mul_f64_e32 v[140:141], v[132:133], v[152:153]
	v_fmac_f64_e32 v[166:167], v[6:7], v[146:147]
	v_fma_f64 v[142:143], v[4:5], v[146:147], -v[148:149]
	v_add_f64_e32 v[144:145], v[128:129], v[126:127]
	v_add_f64_e32 v[134:135], v[134:135], v[136:137]
	ds_load_b128 v[4:7], v2 offset:1648
	ds_load_b128 v[126:129], v2 offset:1664
	v_fmac_f64_e32 v[138:139], v[132:133], v[150:151]
	v_fma_f64 v[130:131], v[130:131], v[150:151], -v[140:141]
	s_wait_loadcnt_dscnt 0x401
	v_mul_f64_e32 v[136:137], v[4:5], v[160:161]
	v_mul_f64_e32 v[146:147], v[6:7], v[160:161]
	s_wait_loadcnt_dscnt 0x300
	v_mul_f64_e32 v[140:141], v[126:127], v[172:173]
	v_add_f64_e32 v[132:133], v[144:145], v[142:143]
	v_add_f64_e32 v[134:135], v[134:135], v[166:167]
	v_mul_f64_e32 v[142:143], v[128:129], v[172:173]
	v_fmac_f64_e32 v[136:137], v[6:7], v[158:159]
	v_fma_f64 v[144:145], v[4:5], v[158:159], -v[146:147]
	v_fmac_f64_e32 v[140:141], v[128:129], v[170:171]
	v_add_f64_e32 v[146:147], v[132:133], v[130:131]
	v_add_f64_e32 v[134:135], v[134:135], v[138:139]
	ds_load_b128 v[4:7], v2 offset:1680
	ds_load_b128 v[130:133], v2 offset:1696
	v_fma_f64 v[126:127], v[126:127], v[170:171], -v[142:143]
	s_wait_loadcnt_dscnt 0x201
	v_mul_f64_e32 v[138:139], v[4:5], v[156:157]
	v_mul_f64_e32 v[148:149], v[6:7], v[156:157]
	v_add_f64_e32 v[128:129], v[146:147], v[144:145]
	v_add_f64_e32 v[134:135], v[134:135], v[136:137]
	s_wait_loadcnt_dscnt 0x100
	v_mul_f64_e32 v[136:137], v[130:131], v[10:11]
	v_mul_f64_e32 v[10:11], v[132:133], v[10:11]
	v_fmac_f64_e32 v[138:139], v[6:7], v[154:155]
	v_fma_f64 v[142:143], v[4:5], v[154:155], -v[148:149]
	ds_load_b128 v[4:7], v2 offset:1712
	v_add_f64_e32 v[126:127], v[128:129], v[126:127]
	v_add_f64_e32 v[128:129], v[134:135], v[140:141]
	v_fmac_f64_e32 v[136:137], v[132:133], v[8:9]
	v_fma_f64 v[8:9], v[130:131], v[8:9], -v[10:11]
	s_wait_loadcnt_dscnt 0x0
	v_mul_f64_e32 v[134:135], v[4:5], v[14:15]
	v_mul_f64_e32 v[14:15], v[6:7], v[14:15]
	v_add_f64_e32 v[10:11], v[126:127], v[142:143]
	v_add_f64_e32 v[126:127], v[128:129], v[138:139]
	s_delay_alu instid0(VALU_DEP_4) | instskip(NEXT) | instid1(VALU_DEP_4)
	v_fmac_f64_e32 v[134:135], v[6:7], v[12:13]
	v_fma_f64 v[4:5], v[4:5], v[12:13], -v[14:15]
	s_delay_alu instid0(VALU_DEP_4) | instskip(NEXT) | instid1(VALU_DEP_4)
	v_add_f64_e32 v[6:7], v[10:11], v[8:9]
	v_add_f64_e32 v[8:9], v[126:127], v[136:137]
	s_delay_alu instid0(VALU_DEP_2) | instskip(NEXT) | instid1(VALU_DEP_2)
	v_add_f64_e32 v[4:5], v[6:7], v[4:5]
	v_add_f64_e32 v[6:7], v[8:9], v[134:135]
	s_delay_alu instid0(VALU_DEP_2) | instskip(NEXT) | instid1(VALU_DEP_2)
	v_add_f64_e64 v[4:5], v[162:163], -v[4:5]
	v_add_f64_e64 v[6:7], v[164:165], -v[6:7]
	scratch_store_b128 off, v[4:7], off offset:32
	s_wait_xcnt 0x0
	v_cmpx_lt_u32_e32 1, v1
	s_cbranch_execz .LBB53_335
; %bb.334:
	scratch_load_b128 v[6:9], off, s51
	v_dual_mov_b32 v3, v2 :: v_dual_mov_b32 v4, v2
	v_mov_b32_e32 v5, v2
	scratch_store_b128 off, v[2:5], off offset:16
	s_wait_loadcnt 0x0
	ds_store_b128 v124, v[6:9]
.LBB53_335:
	s_wait_xcnt 0x0
	s_or_b32 exec_lo, exec_lo, s2
	s_wait_storecnt_dscnt 0x0
	s_barrier_signal -1
	s_barrier_wait -1
	s_clause 0x9
	scratch_load_b128 v[4:7], off, off offset:32
	scratch_load_b128 v[8:11], off, off offset:48
	;; [unrolled: 1-line block ×10, first 2 shown]
	ds_load_b128 v[154:157], v2 offset:896
	ds_load_b128 v[162:165], v2 offset:912
	s_clause 0x2
	scratch_load_b128 v[158:161], off, off offset:192
	scratch_load_b128 v[166:169], off, off offset:16
	;; [unrolled: 1-line block ×3, first 2 shown]
	s_mov_b32 s2, exec_lo
	s_wait_loadcnt_dscnt 0xc01
	v_mul_f64_e32 v[174:175], v[156:157], v[6:7]
	v_mul_f64_e32 v[178:179], v[154:155], v[6:7]
	s_wait_loadcnt_dscnt 0xb00
	v_mul_f64_e32 v[180:181], v[162:163], v[10:11]
	v_mul_f64_e32 v[10:11], v[164:165], v[10:11]
	s_delay_alu instid0(VALU_DEP_4) | instskip(NEXT) | instid1(VALU_DEP_4)
	v_fma_f64 v[182:183], v[154:155], v[4:5], -v[174:175]
	v_fmac_f64_e32 v[178:179], v[156:157], v[4:5]
	ds_load_b128 v[4:7], v2 offset:928
	ds_load_b128 v[154:157], v2 offset:944
	scratch_load_b128 v[174:177], off, off offset:224
	v_fmac_f64_e32 v[180:181], v[164:165], v[8:9]
	v_fma_f64 v[162:163], v[162:163], v[8:9], -v[10:11]
	scratch_load_b128 v[8:11], off, off offset:240
	s_wait_loadcnt_dscnt 0xc01
	v_mul_f64_e32 v[184:185], v[4:5], v[14:15]
	v_mul_f64_e32 v[14:15], v[6:7], v[14:15]
	v_add_f64_e32 v[164:165], 0, v[182:183]
	v_add_f64_e32 v[178:179], 0, v[178:179]
	s_wait_loadcnt_dscnt 0xb00
	v_mul_f64_e32 v[182:183], v[154:155], v[128:129]
	v_mul_f64_e32 v[128:129], v[156:157], v[128:129]
	v_fmac_f64_e32 v[184:185], v[6:7], v[12:13]
	v_fma_f64 v[186:187], v[4:5], v[12:13], -v[14:15]
	ds_load_b128 v[4:7], v2 offset:960
	ds_load_b128 v[12:15], v2 offset:976
	v_add_f64_e32 v[188:189], v[164:165], v[162:163]
	v_add_f64_e32 v[178:179], v[178:179], v[180:181]
	scratch_load_b128 v[162:165], off, off offset:256
	v_fmac_f64_e32 v[182:183], v[156:157], v[126:127]
	v_fma_f64 v[154:155], v[154:155], v[126:127], -v[128:129]
	scratch_load_b128 v[126:129], off, off offset:272
	s_wait_loadcnt_dscnt 0xc01
	v_mul_f64_e32 v[180:181], v[4:5], v[132:133]
	v_mul_f64_e32 v[132:133], v[6:7], v[132:133]
	v_add_f64_e32 v[156:157], v[188:189], v[186:187]
	v_add_f64_e32 v[178:179], v[178:179], v[184:185]
	s_wait_loadcnt_dscnt 0xb00
	v_mul_f64_e32 v[184:185], v[12:13], v[136:137]
	v_mul_f64_e32 v[136:137], v[14:15], v[136:137]
	v_fmac_f64_e32 v[180:181], v[6:7], v[130:131]
	v_fma_f64 v[186:187], v[4:5], v[130:131], -v[132:133]
	ds_load_b128 v[4:7], v2 offset:992
	ds_load_b128 v[130:133], v2 offset:1008
	v_add_f64_e32 v[188:189], v[156:157], v[154:155]
	v_add_f64_e32 v[178:179], v[178:179], v[182:183]
	scratch_load_b128 v[154:157], off, off offset:288
	s_wait_loadcnt_dscnt 0xb01
	v_mul_f64_e32 v[182:183], v[4:5], v[140:141]
	v_mul_f64_e32 v[140:141], v[6:7], v[140:141]
	v_fmac_f64_e32 v[184:185], v[14:15], v[134:135]
	v_fma_f64 v[134:135], v[12:13], v[134:135], -v[136:137]
	scratch_load_b128 v[12:15], off, off offset:304
	v_add_f64_e32 v[136:137], v[188:189], v[186:187]
	v_add_f64_e32 v[178:179], v[178:179], v[180:181]
	s_wait_loadcnt_dscnt 0xb00
	v_mul_f64_e32 v[180:181], v[130:131], v[144:145]
	v_mul_f64_e32 v[144:145], v[132:133], v[144:145]
	v_fmac_f64_e32 v[182:183], v[6:7], v[138:139]
	v_fma_f64 v[186:187], v[4:5], v[138:139], -v[140:141]
	v_add_f64_e32 v[188:189], v[136:137], v[134:135]
	v_add_f64_e32 v[178:179], v[178:179], v[184:185]
	ds_load_b128 v[4:7], v2 offset:1024
	ds_load_b128 v[134:137], v2 offset:1040
	scratch_load_b128 v[138:141], off, off offset:320
	v_fmac_f64_e32 v[180:181], v[132:133], v[142:143]
	v_fma_f64 v[142:143], v[130:131], v[142:143], -v[144:145]
	scratch_load_b128 v[130:133], off, off offset:336
	s_wait_loadcnt_dscnt 0xc01
	v_mul_f64_e32 v[184:185], v[4:5], v[148:149]
	v_mul_f64_e32 v[148:149], v[6:7], v[148:149]
	v_add_f64_e32 v[144:145], v[188:189], v[186:187]
	v_add_f64_e32 v[178:179], v[178:179], v[182:183]
	s_wait_loadcnt_dscnt 0xb00
	v_mul_f64_e32 v[182:183], v[134:135], v[152:153]
	v_mul_f64_e32 v[152:153], v[136:137], v[152:153]
	v_fmac_f64_e32 v[184:185], v[6:7], v[146:147]
	v_fma_f64 v[186:187], v[4:5], v[146:147], -v[148:149]
	v_add_f64_e32 v[188:189], v[144:145], v[142:143]
	v_add_f64_e32 v[178:179], v[178:179], v[180:181]
	ds_load_b128 v[4:7], v2 offset:1056
	ds_load_b128 v[142:145], v2 offset:1072
	scratch_load_b128 v[146:149], off, off offset:352
	v_fmac_f64_e32 v[182:183], v[136:137], v[150:151]
	v_fma_f64 v[150:151], v[134:135], v[150:151], -v[152:153]
	scratch_load_b128 v[134:137], off, off offset:368
	s_wait_loadcnt_dscnt 0xc01
	v_mul_f64_e32 v[180:181], v[4:5], v[160:161]
	v_mul_f64_e32 v[160:161], v[6:7], v[160:161]
	;; [unrolled: 18-line block ×5, first 2 shown]
	v_add_f64_e32 v[172:173], v[188:189], v[186:187]
	v_add_f64_e32 v[178:179], v[178:179], v[184:185]
	s_wait_loadcnt_dscnt 0xa00
	v_mul_f64_e32 v[184:185], v[150:151], v[14:15]
	v_mul_f64_e32 v[14:15], v[152:153], v[14:15]
	v_fmac_f64_e32 v[180:181], v[6:7], v[154:155]
	v_fma_f64 v[186:187], v[4:5], v[154:155], -v[156:157]
	ds_load_b128 v[4:7], v2 offset:1184
	ds_load_b128 v[154:157], v2 offset:1200
	v_add_f64_e32 v[188:189], v[172:173], v[170:171]
	v_add_f64_e32 v[178:179], v[178:179], v[182:183]
	scratch_load_b128 v[170:173], off, off offset:480
	v_fmac_f64_e32 v[184:185], v[152:153], v[12:13]
	v_fma_f64 v[150:151], v[150:151], v[12:13], -v[14:15]
	scratch_load_b128 v[12:15], off, off offset:496
	s_wait_loadcnt_dscnt 0xb01
	v_mul_f64_e32 v[182:183], v[4:5], v[140:141]
	v_mul_f64_e32 v[140:141], v[6:7], v[140:141]
	v_add_f64_e32 v[152:153], v[188:189], v[186:187]
	v_add_f64_e32 v[178:179], v[178:179], v[180:181]
	s_wait_loadcnt_dscnt 0xa00
	v_mul_f64_e32 v[180:181], v[154:155], v[132:133]
	v_mul_f64_e32 v[132:133], v[156:157], v[132:133]
	v_fmac_f64_e32 v[182:183], v[6:7], v[138:139]
	v_fma_f64 v[186:187], v[4:5], v[138:139], -v[140:141]
	ds_load_b128 v[4:7], v2 offset:1216
	ds_load_b128 v[138:141], v2 offset:1232
	v_add_f64_e32 v[188:189], v[152:153], v[150:151]
	v_add_f64_e32 v[178:179], v[178:179], v[184:185]
	scratch_load_b128 v[150:153], off, off offset:512
	s_wait_loadcnt_dscnt 0xa01
	v_mul_f64_e32 v[184:185], v[4:5], v[148:149]
	v_mul_f64_e32 v[148:149], v[6:7], v[148:149]
	v_fmac_f64_e32 v[180:181], v[156:157], v[130:131]
	v_fma_f64 v[154:155], v[154:155], v[130:131], -v[132:133]
	scratch_load_b128 v[130:133], off, off offset:528
	v_add_f64_e32 v[156:157], v[188:189], v[186:187]
	v_add_f64_e32 v[178:179], v[178:179], v[182:183]
	s_wait_loadcnt_dscnt 0xa00
	v_mul_f64_e32 v[182:183], v[138:139], v[136:137]
	v_mul_f64_e32 v[136:137], v[140:141], v[136:137]
	v_fmac_f64_e32 v[184:185], v[6:7], v[146:147]
	v_fma_f64 v[186:187], v[4:5], v[146:147], -v[148:149]
	ds_load_b128 v[4:7], v2 offset:1248
	ds_load_b128 v[146:149], v2 offset:1264
	v_add_f64_e32 v[188:189], v[156:157], v[154:155]
	v_add_f64_e32 v[178:179], v[178:179], v[180:181]
	scratch_load_b128 v[154:157], off, off offset:544
	s_wait_loadcnt_dscnt 0xa01
	v_mul_f64_e32 v[180:181], v[4:5], v[160:161]
	v_mul_f64_e32 v[160:161], v[6:7], v[160:161]
	v_fmac_f64_e32 v[182:183], v[140:141], v[134:135]
	v_fma_f64 v[138:139], v[138:139], v[134:135], -v[136:137]
	scratch_load_b128 v[134:137], off, off offset:560
	v_add_f64_e32 v[140:141], v[188:189], v[186:187]
	v_add_f64_e32 v[178:179], v[178:179], v[184:185]
	s_wait_loadcnt_dscnt 0xa00
	v_mul_f64_e32 v[184:185], v[146:147], v[144:145]
	v_mul_f64_e32 v[144:145], v[148:149], v[144:145]
	v_fmac_f64_e32 v[180:181], v[6:7], v[158:159]
	v_fma_f64 v[186:187], v[4:5], v[158:159], -v[160:161]
	v_add_f64_e32 v[188:189], v[140:141], v[138:139]
	v_add_f64_e32 v[178:179], v[178:179], v[182:183]
	ds_load_b128 v[4:7], v2 offset:1280
	ds_load_b128 v[138:141], v2 offset:1296
	scratch_load_b128 v[158:161], off, off offset:576
	v_fmac_f64_e32 v[184:185], v[148:149], v[142:143]
	v_fma_f64 v[146:147], v[146:147], v[142:143], -v[144:145]
	scratch_load_b128 v[142:145], off, off offset:592
	s_wait_loadcnt_dscnt 0xb01
	v_mul_f64_e32 v[182:183], v[4:5], v[176:177]
	v_mul_f64_e32 v[176:177], v[6:7], v[176:177]
	v_add_f64_e32 v[148:149], v[188:189], v[186:187]
	v_add_f64_e32 v[178:179], v[178:179], v[180:181]
	s_wait_loadcnt_dscnt 0xa00
	v_mul_f64_e32 v[180:181], v[138:139], v[10:11]
	v_mul_f64_e32 v[10:11], v[140:141], v[10:11]
	v_fmac_f64_e32 v[182:183], v[6:7], v[174:175]
	v_fma_f64 v[186:187], v[4:5], v[174:175], -v[176:177]
	v_add_f64_e32 v[188:189], v[148:149], v[146:147]
	v_add_f64_e32 v[178:179], v[178:179], v[184:185]
	ds_load_b128 v[4:7], v2 offset:1312
	ds_load_b128 v[146:149], v2 offset:1328
	scratch_load_b128 v[174:177], off, off offset:608
	v_fmac_f64_e32 v[180:181], v[140:141], v[8:9]
	v_fma_f64 v[138:139], v[138:139], v[8:9], -v[10:11]
	scratch_load_b128 v[8:11], off, off offset:624
	s_wait_loadcnt_dscnt 0xb01
	v_mul_f64_e32 v[184:185], v[4:5], v[164:165]
	v_mul_f64_e32 v[164:165], v[6:7], v[164:165]
	;; [unrolled: 18-line block ×9, first 2 shown]
	v_add_f64_e32 v[148:149], v[188:189], v[186:187]
	v_add_f64_e32 v[178:179], v[178:179], v[184:185]
	s_wait_loadcnt_dscnt 0xa00
	v_mul_f64_e32 v[184:185], v[138:139], v[14:15]
	v_mul_f64_e32 v[14:15], v[140:141], v[14:15]
	v_fmac_f64_e32 v[180:181], v[6:7], v[170:171]
	v_fma_f64 v[170:171], v[4:5], v[170:171], -v[172:173]
	v_add_f64_e32 v[172:173], v[148:149], v[146:147]
	v_add_f64_e32 v[178:179], v[178:179], v[182:183]
	ds_load_b128 v[4:7], v2 offset:1568
	ds_load_b128 v[146:149], v2 offset:1584
	v_fmac_f64_e32 v[184:185], v[140:141], v[12:13]
	v_fma_f64 v[12:13], v[138:139], v[12:13], -v[14:15]
	s_wait_loadcnt_dscnt 0x901
	v_mul_f64_e32 v[182:183], v[4:5], v[152:153]
	v_mul_f64_e32 v[152:153], v[6:7], v[152:153]
	s_wait_loadcnt_dscnt 0x800
	v_mul_f64_e32 v[140:141], v[146:147], v[132:133]
	v_mul_f64_e32 v[132:133], v[148:149], v[132:133]
	v_add_f64_e32 v[14:15], v[172:173], v[170:171]
	v_add_f64_e32 v[138:139], v[178:179], v[180:181]
	v_fmac_f64_e32 v[182:183], v[6:7], v[150:151]
	v_fma_f64 v[150:151], v[4:5], v[150:151], -v[152:153]
	v_fmac_f64_e32 v[140:141], v[148:149], v[130:131]
	v_fma_f64 v[130:131], v[146:147], v[130:131], -v[132:133]
	v_add_f64_e32 v[152:153], v[14:15], v[12:13]
	v_add_f64_e32 v[138:139], v[138:139], v[184:185]
	ds_load_b128 v[4:7], v2 offset:1600
	ds_load_b128 v[12:15], v2 offset:1616
	s_wait_loadcnt_dscnt 0x701
	v_mul_f64_e32 v[170:171], v[4:5], v[156:157]
	v_mul_f64_e32 v[156:157], v[6:7], v[156:157]
	s_wait_loadcnt_dscnt 0x600
	v_mul_f64_e32 v[146:147], v[12:13], v[136:137]
	v_mul_f64_e32 v[136:137], v[14:15], v[136:137]
	v_add_f64_e32 v[132:133], v[152:153], v[150:151]
	v_add_f64_e32 v[138:139], v[138:139], v[182:183]
	v_fmac_f64_e32 v[170:171], v[6:7], v[154:155]
	v_fma_f64 v[148:149], v[4:5], v[154:155], -v[156:157]
	v_fmac_f64_e32 v[146:147], v[14:15], v[134:135]
	v_fma_f64 v[12:13], v[12:13], v[134:135], -v[136:137]
	v_add_f64_e32 v[150:151], v[132:133], v[130:131]
	v_add_f64_e32 v[138:139], v[138:139], v[140:141]
	ds_load_b128 v[4:7], v2 offset:1632
	ds_load_b128 v[130:133], v2 offset:1648
	s_wait_loadcnt_dscnt 0x501
	v_mul_f64_e32 v[140:141], v[4:5], v[160:161]
	v_mul_f64_e32 v[152:153], v[6:7], v[160:161]
	s_wait_loadcnt_dscnt 0x400
	v_mul_f64_e32 v[136:137], v[130:131], v[144:145]
	v_add_f64_e32 v[14:15], v[150:151], v[148:149]
	v_add_f64_e32 v[134:135], v[138:139], v[170:171]
	v_mul_f64_e32 v[138:139], v[132:133], v[144:145]
	v_fmac_f64_e32 v[140:141], v[6:7], v[158:159]
	v_fma_f64 v[144:145], v[4:5], v[158:159], -v[152:153]
	v_fmac_f64_e32 v[136:137], v[132:133], v[142:143]
	v_add_f64_e32 v[148:149], v[14:15], v[12:13]
	v_add_f64_e32 v[134:135], v[134:135], v[146:147]
	ds_load_b128 v[4:7], v2 offset:1664
	ds_load_b128 v[12:15], v2 offset:1680
	v_fma_f64 v[130:131], v[130:131], v[142:143], -v[138:139]
	s_wait_loadcnt_dscnt 0x301
	v_mul_f64_e32 v[146:147], v[4:5], v[176:177]
	v_mul_f64_e32 v[150:151], v[6:7], v[176:177]
	s_wait_loadcnt_dscnt 0x200
	v_mul_f64_e32 v[138:139], v[12:13], v[10:11]
	v_mul_f64_e32 v[10:11], v[14:15], v[10:11]
	v_add_f64_e32 v[132:133], v[148:149], v[144:145]
	v_add_f64_e32 v[134:135], v[134:135], v[140:141]
	v_fmac_f64_e32 v[146:147], v[6:7], v[174:175]
	v_fma_f64 v[140:141], v[4:5], v[174:175], -v[150:151]
	v_fmac_f64_e32 v[138:139], v[14:15], v[8:9]
	v_fma_f64 v[8:9], v[12:13], v[8:9], -v[10:11]
	v_add_f64_e32 v[142:143], v[132:133], v[130:131]
	v_add_f64_e32 v[134:135], v[134:135], v[136:137]
	ds_load_b128 v[4:7], v2 offset:1696
	ds_load_b128 v[130:133], v2 offset:1712
	s_wait_loadcnt_dscnt 0x101
	v_mul_f64_e32 v[2:3], v[4:5], v[164:165]
	v_mul_f64_e32 v[136:137], v[6:7], v[164:165]
	s_wait_loadcnt_dscnt 0x0
	v_mul_f64_e32 v[14:15], v[130:131], v[128:129]
	v_mul_f64_e32 v[128:129], v[132:133], v[128:129]
	v_add_f64_e32 v[10:11], v[142:143], v[140:141]
	v_add_f64_e32 v[12:13], v[134:135], v[146:147]
	v_fmac_f64_e32 v[2:3], v[6:7], v[162:163]
	v_fma_f64 v[4:5], v[4:5], v[162:163], -v[136:137]
	v_fmac_f64_e32 v[14:15], v[132:133], v[126:127]
	v_add_f64_e32 v[6:7], v[10:11], v[8:9]
	v_add_f64_e32 v[8:9], v[12:13], v[138:139]
	v_fma_f64 v[10:11], v[130:131], v[126:127], -v[128:129]
	s_delay_alu instid0(VALU_DEP_3) | instskip(NEXT) | instid1(VALU_DEP_3)
	v_add_f64_e32 v[4:5], v[6:7], v[4:5]
	v_add_f64_e32 v[2:3], v[8:9], v[2:3]
	s_delay_alu instid0(VALU_DEP_2) | instskip(NEXT) | instid1(VALU_DEP_2)
	v_add_f64_e32 v[4:5], v[4:5], v[10:11]
	v_add_f64_e32 v[6:7], v[2:3], v[14:15]
	s_delay_alu instid0(VALU_DEP_2) | instskip(NEXT) | instid1(VALU_DEP_2)
	v_add_f64_e64 v[2:3], v[166:167], -v[4:5]
	v_add_f64_e64 v[4:5], v[168:169], -v[6:7]
	scratch_store_b128 off, v[2:5], off offset:16
	s_wait_xcnt 0x0
	v_cmpx_ne_u32_e32 0, v1
	s_cbranch_execz .LBB53_337
; %bb.336:
	scratch_load_b128 v[2:5], off, off
	v_mov_b32_e32 v6, 0
	s_delay_alu instid0(VALU_DEP_1)
	v_dual_mov_b32 v7, v6 :: v_dual_mov_b32 v8, v6
	v_mov_b32_e32 v9, v6
	scratch_store_b128 off, v[6:9], off
	s_wait_loadcnt 0x0
	ds_store_b128 v124, v[2:5]
.LBB53_337:
	s_wait_xcnt 0x0
	s_or_b32 exec_lo, exec_lo, s2
	s_wait_storecnt_dscnt 0x0
	s_barrier_signal -1
	s_barrier_wait -1
	s_clause 0x9
	scratch_load_b128 v[2:5], off, off offset:16
	scratch_load_b128 v[6:9], off, off offset:32
	;; [unrolled: 1-line block ×10, first 2 shown]
	v_mov_b32_e32 v142, 0
	s_and_b32 vcc_lo, exec_lo, s66
	ds_load_b128 v[156:159], v142 offset:880
	s_clause 0x2
	scratch_load_b128 v[160:163], off, off offset:176
	scratch_load_b128 v[164:167], off, off
	scratch_load_b128 v[172:175], off, off offset:192
	s_wait_loadcnt_dscnt 0xc00
	v_mul_f64_e32 v[14:15], v[158:159], v[4:5]
	v_mul_f64_e32 v[140:141], v[156:157], v[4:5]
	ds_load_b128 v[168:171], v142 offset:896
	ds_load_b128 v[176:179], v142 offset:928
	v_fma_f64 v[14:15], v[156:157], v[2:3], -v[14:15]
	v_fmac_f64_e32 v[140:141], v[158:159], v[2:3]
	ds_load_b128 v[2:5], v142 offset:912
	s_wait_loadcnt_dscnt 0xb02
	v_mul_f64_e32 v[180:181], v[168:169], v[8:9]
	v_mul_f64_e32 v[8:9], v[170:171], v[8:9]
	scratch_load_b128 v[156:159], off, off offset:208
	s_wait_loadcnt_dscnt 0xb00
	v_mul_f64_e32 v[182:183], v[2:3], v[12:13]
	v_mul_f64_e32 v[12:13], v[4:5], v[12:13]
	v_add_f64_e32 v[14:15], 0, v[14:15]
	v_add_f64_e32 v[140:141], 0, v[140:141]
	v_fmac_f64_e32 v[180:181], v[170:171], v[6:7]
	v_fma_f64 v[168:169], v[168:169], v[6:7], -v[8:9]
	scratch_load_b128 v[6:9], off, off offset:224
	v_fmac_f64_e32 v[182:183], v[4:5], v[10:11]
	v_fma_f64 v[186:187], v[2:3], v[10:11], -v[12:13]
	ds_load_b128 v[2:5], v142 offset:944
	s_wait_loadcnt 0xb
	v_mul_f64_e32 v[184:185], v[176:177], v[126:127]
	v_mul_f64_e32 v[126:127], v[178:179], v[126:127]
	scratch_load_b128 v[10:13], off, off offset:240
	v_add_f64_e32 v[140:141], v[140:141], v[180:181]
	v_add_f64_e32 v[14:15], v[14:15], v[168:169]
	ds_load_b128 v[168:171], v142 offset:960
	s_wait_loadcnt_dscnt 0xb01
	v_mul_f64_e32 v[180:181], v[2:3], v[130:131]
	v_mul_f64_e32 v[130:131], v[4:5], v[130:131]
	v_fmac_f64_e32 v[184:185], v[178:179], v[124:125]
	v_fma_f64 v[176:177], v[176:177], v[124:125], -v[126:127]
	scratch_load_b128 v[124:127], off, off offset:256
	v_add_f64_e32 v[140:141], v[140:141], v[182:183]
	v_add_f64_e32 v[14:15], v[14:15], v[186:187]
	v_fmac_f64_e32 v[180:181], v[4:5], v[128:129]
	v_fma_f64 v[186:187], v[2:3], v[128:129], -v[130:131]
	ds_load_b128 v[2:5], v142 offset:976
	s_wait_loadcnt_dscnt 0xb01
	v_mul_f64_e32 v[182:183], v[168:169], v[134:135]
	v_mul_f64_e32 v[134:135], v[170:171], v[134:135]
	scratch_load_b128 v[128:131], off, off offset:272
	v_add_f64_e32 v[140:141], v[140:141], v[184:185]
	v_add_f64_e32 v[14:15], v[14:15], v[176:177]
	s_wait_loadcnt_dscnt 0xb00
	v_mul_f64_e32 v[184:185], v[2:3], v[138:139]
	v_mul_f64_e32 v[138:139], v[4:5], v[138:139]
	ds_load_b128 v[176:179], v142 offset:992
	v_fmac_f64_e32 v[182:183], v[170:171], v[132:133]
	v_fma_f64 v[168:169], v[168:169], v[132:133], -v[134:135]
	scratch_load_b128 v[132:135], off, off offset:288
	v_add_f64_e32 v[140:141], v[140:141], v[180:181]
	v_add_f64_e32 v[14:15], v[14:15], v[186:187]
	v_fmac_f64_e32 v[184:185], v[4:5], v[136:137]
	v_fma_f64 v[186:187], v[2:3], v[136:137], -v[138:139]
	ds_load_b128 v[2:5], v142 offset:1008
	s_wait_loadcnt_dscnt 0xb01
	v_mul_f64_e32 v[180:181], v[176:177], v[146:147]
	v_mul_f64_e32 v[146:147], v[178:179], v[146:147]
	scratch_load_b128 v[136:139], off, off offset:304
	v_add_f64_e32 v[140:141], v[140:141], v[182:183]
	v_add_f64_e32 v[14:15], v[14:15], v[168:169]
	s_wait_loadcnt_dscnt 0xb00
	v_mul_f64_e32 v[182:183], v[2:3], v[150:151]
	v_mul_f64_e32 v[150:151], v[4:5], v[150:151]
	ds_load_b128 v[168:171], v142 offset:1024
	;; [unrolled: 18-line block ×19, first 2 shown]
	v_fmac_f64_e32 v[182:183], v[170:171], v[132:133]
	v_fma_f64 v[132:133], v[168:169], v[132:133], -v[134:135]
	v_add_f64_e32 v[134:135], v[140:141], v[180:181]
	v_add_f64_e32 v[14:15], v[14:15], v[186:187]
	s_wait_loadcnt_dscnt 0x900
	v_mul_f64_e32 v[140:141], v[176:177], v[146:147]
	v_mul_f64_e32 v[146:147], v[178:179], v[146:147]
	v_fmac_f64_e32 v[184:185], v[4:5], v[136:137]
	v_fma_f64 v[136:137], v[2:3], v[136:137], -v[138:139]
	v_add_f64_e32 v[138:139], v[134:135], v[182:183]
	v_add_f64_e32 v[14:15], v[14:15], v[132:133]
	ds_load_b128 v[2:5], v142 offset:1584
	ds_load_b128 v[132:135], v142 offset:1600
	v_fmac_f64_e32 v[140:141], v[178:179], v[144:145]
	v_fma_f64 v[144:145], v[176:177], v[144:145], -v[146:147]
	s_wait_loadcnt_dscnt 0x801
	v_mul_f64_e32 v[168:169], v[2:3], v[150:151]
	v_mul_f64_e32 v[150:151], v[4:5], v[150:151]
	s_wait_loadcnt_dscnt 0x700
	v_mul_f64_e32 v[146:147], v[132:133], v[154:155]
	v_mul_f64_e32 v[154:155], v[134:135], v[154:155]
	v_add_f64_e32 v[14:15], v[14:15], v[136:137]
	v_add_f64_e32 v[136:137], v[138:139], v[184:185]
	v_fmac_f64_e32 v[168:169], v[4:5], v[148:149]
	v_fma_f64 v[148:149], v[2:3], v[148:149], -v[150:151]
	v_fmac_f64_e32 v[146:147], v[134:135], v[152:153]
	v_fma_f64 v[132:133], v[132:133], v[152:153], -v[154:155]
	v_add_f64_e32 v[14:15], v[14:15], v[144:145]
	v_add_f64_e32 v[140:141], v[136:137], v[140:141]
	ds_load_b128 v[2:5], v142 offset:1616
	ds_load_b128 v[136:139], v142 offset:1632
	s_wait_loadcnt_dscnt 0x601
	v_mul_f64_e32 v[144:145], v[2:3], v[162:163]
	v_mul_f64_e32 v[150:151], v[4:5], v[162:163]
	v_add_f64_e32 v[14:15], v[14:15], v[148:149]
	v_add_f64_e32 v[134:135], v[140:141], v[168:169]
	s_wait_loadcnt_dscnt 0x500
	v_mul_f64_e32 v[140:141], v[136:137], v[174:175]
	v_mul_f64_e32 v[148:149], v[138:139], v[174:175]
	v_fmac_f64_e32 v[144:145], v[4:5], v[160:161]
	v_fma_f64 v[150:151], v[2:3], v[160:161], -v[150:151]
	v_add_f64_e32 v[14:15], v[14:15], v[132:133]
	v_add_f64_e32 v[146:147], v[134:135], v[146:147]
	ds_load_b128 v[2:5], v142 offset:1648
	ds_load_b128 v[132:135], v142 offset:1664
	v_fmac_f64_e32 v[140:141], v[138:139], v[172:173]
	v_fma_f64 v[136:137], v[136:137], v[172:173], -v[148:149]
	s_wait_loadcnt_dscnt 0x401
	v_mul_f64_e32 v[152:153], v[2:3], v[158:159]
	v_mul_f64_e32 v[154:155], v[4:5], v[158:159]
	v_add_f64_e32 v[14:15], v[14:15], v[150:151]
	v_add_f64_e32 v[138:139], v[146:147], v[144:145]
	s_wait_loadcnt_dscnt 0x300
	v_mul_f64_e32 v[144:145], v[132:133], v[8:9]
	v_mul_f64_e32 v[8:9], v[134:135], v[8:9]
	v_fmac_f64_e32 v[152:153], v[4:5], v[156:157]
	v_fma_f64 v[146:147], v[2:3], v[156:157], -v[154:155]
	v_add_f64_e32 v[14:15], v[14:15], v[136:137]
	v_add_f64_e32 v[140:141], v[138:139], v[140:141]
	ds_load_b128 v[2:5], v142 offset:1680
	ds_load_b128 v[136:139], v142 offset:1696
	v_fmac_f64_e32 v[144:145], v[134:135], v[6:7]
	v_fma_f64 v[6:7], v[132:133], v[6:7], -v[8:9]
	v_lshl_add_u64 v[134:135], v[24:25], 4, s[4:5]
	v_lshl_add_u64 v[24:25], v[58:59], 4, s[4:5]
	;; [unrolled: 1-line block ×4, first 2 shown]
	s_wait_loadcnt_dscnt 0x201
	v_mul_f64_e32 v[148:149], v[2:3], v[12:13]
	v_mul_f64_e32 v[12:13], v[4:5], v[12:13]
	s_wait_loadcnt_dscnt 0x100
	v_mul_f64_e32 v[132:133], v[136:137], v[126:127]
	v_mul_f64_e32 v[126:127], v[138:139], v[126:127]
	v_add_f64_e32 v[8:9], v[14:15], v[146:147]
	v_add_f64_e32 v[14:15], v[140:141], v[152:153]
	v_lshl_add_u64 v[140:141], v[20:21], 4, s[4:5]
	v_lshl_add_u64 v[20:21], v[54:55], 4, s[4:5]
	;; [unrolled: 1-line block ×4, first 2 shown]
	v_fmac_f64_e32 v[148:149], v[4:5], v[10:11]
	v_fma_f64 v[10:11], v[2:3], v[10:11], -v[12:13]
	ds_load_b128 v[2:5], v142 offset:1712
	v_fmac_f64_e32 v[132:133], v[138:139], v[124:125]
	v_fma_f64 v[124:125], v[136:137], v[124:125], -v[126:127]
	v_lshl_add_u64 v[138:139], v[22:23], 4, s[4:5]
	v_lshl_add_u64 v[136:137], v[26:27], 4, s[4:5]
	;; [unrolled: 1-line block ×6, first 2 shown]
	v_add_f64_e32 v[6:7], v[8:9], v[6:7]
	v_add_f64_e32 v[8:9], v[14:15], v[144:145]
	v_lshl_add_u64 v[56:57], v[88:89], 4, s[4:5]
	v_lshl_add_u64 v[60:61], v[92:93], 4, s[4:5]
	;; [unrolled: 1-line block ×4, first 2 shown]
	s_wait_loadcnt_dscnt 0x0
	v_mul_f64_e32 v[12:13], v[2:3], v[130:131]
	v_mul_f64_e32 v[14:15], v[4:5], v[130:131]
	v_lshl_add_u64 v[130:131], v[30:31], 4, s[4:5]
	v_lshl_add_u64 v[30:31], v[38:39], 4, s[4:5]
	;; [unrolled: 1-line block ×4, first 2 shown]
	v_add_f64_e32 v[6:7], v[6:7], v[10:11]
	v_add_f64_e32 v[8:9], v[8:9], v[148:149]
	v_lshl_add_u64 v[10:11], v[48:49], 4, s[4:5]
	v_lshl_add_u64 v[48:49], v[80:81], 4, s[4:5]
	;; [unrolled: 1-line block ×3, first 2 shown]
	v_fmac_f64_e32 v[12:13], v[4:5], v[128:129]
	v_fma_f64 v[2:3], v[2:3], v[128:129], -v[14:15]
	v_lshl_add_u64 v[128:129], v[34:35], 4, s[4:5]
	v_lshl_add_u64 v[14:15], v[52:53], 4, s[4:5]
	;; [unrolled: 1-line block ×6, first 2 shown]
	v_add_f64_e32 v[4:5], v[6:7], v[124:125]
	v_add_f64_e32 v[6:7], v[8:9], v[132:133]
	v_lshl_add_u64 v[132:133], v[28:29], 4, s[4:5]
	v_lshl_add_u64 v[124:125], v[36:37], 4, s[4:5]
	;; [unrolled: 1-line block ×9, first 2 shown]
	v_add_f64_e32 v[144:145], v[4:5], v[2:3]
	v_add_f64_e32 v[146:147], v[6:7], v[12:13]
	v_lshl_add_u64 v[2:3], v[40:41], 4, s[4:5]
	v_lshl_add_u64 v[4:5], v[42:43], 4, s[4:5]
	;; [unrolled: 1-line block ×12, first 2 shown]
	v_add_f64_e64 v[144:145], v[164:165], -v[144:145]
	v_add_f64_e64 v[146:147], v[166:167], -v[146:147]
	scratch_store_b128 off, v[144:147], off
	s_cbranch_vccz .LBB53_444
; %bb.338:
	global_load_b32 v92, v142, s[16:17] offset:208
	s_load_b64 s[2:3], s[0:1], 0x4
	v_bfe_u32 v93, v0, 10, 10
	v_bfe_u32 v0, v0, 20, 10
	s_wait_kmcnt 0x0
	s_lshr_b32 s0, s2, 16
	s_delay_alu instid0(VALU_DEP_2) | instskip(SKIP_1) | instid1(SALU_CYCLE_1)
	v_mul_u32_u24_e32 v93, s3, v93
	s_mul_i32 s0, s0, s3
	v_mul_u32_u24_e32 v1, s0, v1
	s_delay_alu instid0(VALU_DEP_1) | instskip(NEXT) | instid1(VALU_DEP_1)
	v_add3_u32 v0, v1, v93, v0
	v_lshl_add_u32 v0, v0, 4, 0x6c8
	s_wait_loadcnt 0x0
	v_cmp_ne_u32_e32 vcc_lo, 53, v92
	s_cbranch_vccz .LBB53_340
; %bb.339:
	v_lshlrev_b32_e32 v1, 4, v92
	s_clause 0x1
	scratch_load_b128 v[92:95], off, s27
	scratch_load_b128 v[96:99], v1, off offset:-16
	s_wait_loadcnt 0x1
	ds_store_2addr_b64 v0, v[92:93], v[94:95] offset1:1
	s_wait_loadcnt 0x0
	s_clause 0x1
	scratch_store_b128 off, v[96:99], s27
	scratch_store_b128 v1, v[92:95], off offset:-16
.LBB53_340:
	s_wait_xcnt 0x0
	v_mov_b32_e32 v1, 0
	global_load_b32 v92, v1, s[16:17] offset:204
	s_wait_loadcnt 0x0
	v_cmp_eq_u32_e32 vcc_lo, 52, v92
	s_cbranch_vccnz .LBB53_342
; %bb.341:
	v_lshlrev_b32_e32 v92, 4, v92
	s_delay_alu instid0(VALU_DEP_1)
	v_mov_b32_e32 v100, v92
	s_clause 0x1
	scratch_load_b128 v[92:95], off, s26
	scratch_load_b128 v[96:99], v100, off offset:-16
	s_wait_loadcnt 0x1
	ds_store_2addr_b64 v0, v[92:93], v[94:95] offset1:1
	s_wait_loadcnt 0x0
	s_clause 0x1
	scratch_store_b128 off, v[96:99], s26
	scratch_store_b128 v100, v[92:95], off offset:-16
.LBB53_342:
	global_load_b32 v1, v1, s[16:17] offset:200
	s_wait_loadcnt 0x0
	v_cmp_eq_u32_e32 vcc_lo, 51, v1
	s_cbranch_vccnz .LBB53_344
; %bb.343:
	s_wait_xcnt 0x0
	v_lshlrev_b32_e32 v1, 4, v1
	s_clause 0x1
	scratch_load_b128 v[92:95], off, s29
	scratch_load_b128 v[96:99], v1, off offset:-16
	s_wait_loadcnt 0x1
	ds_store_2addr_b64 v0, v[92:93], v[94:95] offset1:1
	s_wait_loadcnt 0x0
	s_clause 0x1
	scratch_store_b128 off, v[96:99], s29
	scratch_store_b128 v1, v[92:95], off offset:-16
.LBB53_344:
	s_wait_xcnt 0x0
	v_mov_b32_e32 v1, 0
	global_load_b32 v92, v1, s[16:17] offset:196
	s_wait_loadcnt 0x0
	v_cmp_eq_u32_e32 vcc_lo, 50, v92
	s_cbranch_vccnz .LBB53_346
; %bb.345:
	v_lshlrev_b32_e32 v92, 4, v92
	s_delay_alu instid0(VALU_DEP_1)
	v_mov_b32_e32 v100, v92
	s_clause 0x1
	scratch_load_b128 v[92:95], off, s28
	scratch_load_b128 v[96:99], v100, off offset:-16
	s_wait_loadcnt 0x1
	ds_store_2addr_b64 v0, v[92:93], v[94:95] offset1:1
	s_wait_loadcnt 0x0
	s_clause 0x1
	scratch_store_b128 off, v[96:99], s28
	scratch_store_b128 v100, v[92:95], off offset:-16
.LBB53_346:
	global_load_b32 v1, v1, s[16:17] offset:192
	s_wait_loadcnt 0x0
	v_cmp_eq_u32_e32 vcc_lo, 49, v1
	s_cbranch_vccnz .LBB53_348
; %bb.347:
	s_wait_xcnt 0x0
	v_lshlrev_b32_e32 v1, 4, v1
	s_clause 0x1
	scratch_load_b128 v[92:95], off, s31
	scratch_load_b128 v[96:99], v1, off offset:-16
	s_wait_loadcnt 0x1
	ds_store_2addr_b64 v0, v[92:93], v[94:95] offset1:1
	s_wait_loadcnt 0x0
	s_clause 0x1
	scratch_store_b128 off, v[96:99], s31
	scratch_store_b128 v1, v[92:95], off offset:-16
.LBB53_348:
	;; [unrolled: 37-line block ×25, first 2 shown]
	s_wait_xcnt 0x0
	v_mov_b32_e32 v1, 0
	global_load_b32 v92, v1, s[16:17] offset:4
	s_wait_loadcnt 0x0
	v_cmp_eq_u32_e32 vcc_lo, 2, v92
	s_cbranch_vccnz .LBB53_442
; %bb.441:
	v_lshlrev_b32_e32 v92, 4, v92
	s_delay_alu instid0(VALU_DEP_1)
	v_mov_b32_e32 v100, v92
	s_clause 0x1
	scratch_load_b128 v[92:95], off, s51
	scratch_load_b128 v[96:99], v100, off offset:-16
	s_wait_loadcnt 0x1
	ds_store_2addr_b64 v0, v[92:93], v[94:95] offset1:1
	s_wait_loadcnt 0x0
	s_clause 0x1
	scratch_store_b128 off, v[96:99], s51
	scratch_store_b128 v100, v[92:95], off offset:-16
.LBB53_442:
	global_load_b32 v1, v1, s[16:17]
	s_wait_loadcnt 0x0
	v_cmp_eq_u32_e32 vcc_lo, 1, v1
	s_cbranch_vccnz .LBB53_444
; %bb.443:
	s_wait_xcnt 0x0
	v_lshlrev_b32_e32 v1, 4, v1
	scratch_load_b128 v[92:95], off, off
	scratch_load_b128 v[96:99], v1, off offset:-16
	s_wait_loadcnt 0x1
	ds_store_2addr_b64 v0, v[92:93], v[94:95] offset1:1
	s_wait_loadcnt 0x0
	scratch_store_b128 off, v[96:99], off
	scratch_store_b128 v1, v[92:95], off offset:-16
.LBB53_444:
	scratch_load_b128 v[92:95], off, off
	s_clause 0x22
	scratch_load_b128 v[96:99], off, s51
	scratch_load_b128 v[100:103], off, s50
	;; [unrolled: 1-line block ×17, first 2 shown]
	; meta instruction
	; meta instruction
	;; [unrolled: 1-line block ×15, first 2 shown]
	scratch_load_b128 v[182:185], off, s38
	scratch_load_b128 v[186:189], off, s41
	;; [unrolled: 1-line block ×15, first 2 shown]
	; meta instruction
	; meta instruction
	;; [unrolled: 1-line block ×15, first 2 shown]
	scratch_load_b128 v[242:245], off, s24
	scratch_load_b128 v[246:249], off, s25
	;; [unrolled: 1-line block ×3, first 2 shown]
	s_wait_loadcnt 0x23
	global_store_b128 v[16:17], v[92:95], off
	s_wait_loadcnt 0x22
	global_store_b128 v[18:19], v[96:99], off
	s_clause 0x1
	scratch_load_b128 v[16:19], off, s22
	scratch_load_b128 v[92:95], off, s23
	s_wait_loadcnt 0x23
	global_store_b128 v[140:141], v[100:103], off
	s_clause 0x1
	scratch_load_b128 v[96:99], off, s20
	scratch_load_b128 v[100:103], off, s21
	;; [unrolled: 5-line block ×3, first 2 shown]
	s_wait_loadcnt 0x25
	global_store_b128 v[134:135], v[108:111], off
	s_wait_loadcnt 0x24
	global_store_b128 v[136:137], v[112:115], off
	s_clause 0x1
	scratch_load_b128 v[108:111], off, s12
	scratch_load_b128 v[112:115], off, s13
	s_wait_loadcnt 0x25
	global_store_b128 v[132:133], v[116:119], off
	s_clause 0x1
	scratch_load_b128 v[116:119], off, s10
	scratch_load_b128 v[132:135], off, s11
	;; [unrolled: 5-line block ×3, first 2 shown]
	s_wait_loadcnt 0x27
	global_store_b128 v[126:127], v[142:145], off
	s_wait_loadcnt 0x26
	global_store_b128 v[128:129], v[146:149], off
	s_clause 0x1
	scratch_load_b128 v[126:129], off, s30
	scratch_load_b128 v[142:145], off, s31
	s_wait_loadcnt 0x27
	global_store_b128 v[124:125], v[150:153], off
	s_clause 0x1
	scratch_load_b128 v[146:149], off, s28
	scratch_load_b128 v[150:153], off, s29
	s_wait_loadcnt 0x28
	global_store_b128 v[30:31], v[154:157], off
	s_clause 0x2
	scratch_load_b128 v[154:157], off, s26
	s_set_vgpr_msb 64                       ;  msbs: dst=1 src0=0 src1=0 src2=0
	scratch_load_b128 v[2:5] /*v[258:261]*/, off, s27
	s_wait_loadcnt 0x29
	global_store_b128 v[2:3], v[158:161], off
	s_wait_loadcnt 0x28
	global_store_b128 v[4:5], v[162:165], off
	s_wait_loadcnt 0x27
	global_store_b128 v[6:7], v[166:169], off
	s_wait_loadcnt 0x26
	global_store_b128 v[8:9], v[170:173], off
	s_wait_loadcnt 0x25
	global_store_b128 v[10:11], v[174:177], off
	s_wait_loadcnt 0x24
	global_store_b128 v[12:13], v[178:181], off
	s_wait_loadcnt 0x23
	global_store_b128 v[14:15], v[182:185], off
	s_wait_loadcnt 0x22
	global_store_b128 v[20:21], v[186:189], off
	s_wait_loadcnt 0x21
	global_store_b128 v[22:23], v[190:193], off
	s_wait_loadcnt 0x20
	global_store_b128 v[24:25], v[194:197], off
	s_wait_loadcnt 0x1f
	global_store_b128 v[26:27], v[198:201], off
	s_wait_loadcnt 0x1e
	global_store_b128 v[28:29], v[202:205], off
	s_wait_loadcnt 0x1d
	global_store_b128 v[32:33], v[206:209], off
	s_wait_loadcnt 0x1c
	global_store_b128 v[34:35], v[210:213], off
	s_wait_loadcnt 0x1b
	global_store_b128 v[36:37], v[214:217], off
	s_wait_loadcnt 0x1a
	global_store_b128 v[38:39], v[218:221], off
	s_wait_loadcnt 0x19
	global_store_b128 v[40:41], v[222:225], off
	s_wait_loadcnt 0x18
	global_store_b128 v[42:43], v[226:229], off
	s_wait_loadcnt 0x17
	global_store_b128 v[44:45], v[230:233], off
	s_wait_loadcnt 0x16
	global_store_b128 v[46:47], v[234:237], off
	s_wait_loadcnt 0x15
	global_store_b128 v[48:49], v[238:241], off
	s_wait_loadcnt 0x14
	global_store_b128 v[50:51], v[242:245], off
	s_wait_loadcnt 0x13
	global_store_b128 v[52:53], v[246:249], off
	s_wait_loadcnt 0x11
	global_store_b128 v[54:55], v[16:19], off
	s_wait_loadcnt 0x10
	global_store_b128 v[56:57], v[92:95], off
	s_wait_loadcnt 0xf
	global_store_b128 v[58:59], v[96:99], off
	s_wait_loadcnt 0xe
	global_store_b128 v[60:61], v[100:103], off
	s_wait_loadcnt 0xd
	global_store_b128 v[62:63], v[104:107], off
	s_wait_loadcnt 0xc
	global_store_b128 v[64:65], v[138:141], off
	s_wait_loadcnt 0xb
	global_store_b128 v[66:67], v[108:111], off
	s_wait_loadcnt 0xa
	global_store_b128 v[68:69], v[112:115], off
	s_wait_loadcnt 0x9
	global_store_b128 v[70:71], v[116:119], off
	s_wait_loadcnt 0x8
	global_store_b128 v[72:73], v[132:135], off
	s_wait_loadcnt 0x7
	global_store_b128 v[74:75], v[120:123], off
	s_wait_loadcnt 0x6
	global_store_b128 v[76:77], v[254:257], off
	s_wait_loadcnt 0x5
	global_store_b128 v[78:79], v[126:129], off
	s_wait_loadcnt 0x4
	global_store_b128 v[80:81], v[142:145], off
	s_wait_loadcnt 0x3
	global_store_b128 v[82:83], v[146:149], off
	s_wait_loadcnt 0x2
	global_store_b128 v[84:85], v[150:153], off
	s_wait_loadcnt 0x1
	global_store_b128 v[86:87], v[154:157], off
	s_wait_loadcnt 0x0
	s_set_vgpr_msb 4                        ;  msbs: dst=0 src0=0 src1=1 src2=0
	s_clause 0x2
	global_store_b128 v[88:89], v[2:5] /*v[258:261]*/, off
	s_set_vgpr_msb 0                        ;  msbs: dst=0 src0=0 src1=0 src2=0
	global_store_b128 v[90:91], v[250:253], off
	s_sendmsg sendmsg(MSG_DEALLOC_VGPRS)
	s_endpgm
	.section	.rodata,"a",@progbits
	.p2align	6, 0x0
	.amdhsa_kernel _ZN9rocsolver6v33100L18getri_kernel_smallILi54E19rocblas_complex_numIdEPS3_EEvT1_iilPiilS6_bb
		.amdhsa_group_segment_fixed_size 2760
		.amdhsa_private_segment_fixed_size 880
		.amdhsa_kernarg_size 60
		.amdhsa_user_sgpr_count 4
		.amdhsa_user_sgpr_dispatch_ptr 1
		.amdhsa_user_sgpr_queue_ptr 0
		.amdhsa_user_sgpr_kernarg_segment_ptr 1
		.amdhsa_user_sgpr_dispatch_id 0
		.amdhsa_user_sgpr_kernarg_preload_length 0
		.amdhsa_user_sgpr_kernarg_preload_offset 0
		.amdhsa_user_sgpr_private_segment_size 0
		.amdhsa_wavefront_size32 1
		.amdhsa_uses_dynamic_stack 0
		.amdhsa_enable_private_segment 1
		.amdhsa_system_sgpr_workgroup_id_x 1
		.amdhsa_system_sgpr_workgroup_id_y 0
		.amdhsa_system_sgpr_workgroup_id_z 0
		.amdhsa_system_sgpr_workgroup_info 0
		.amdhsa_system_vgpr_workitem_id 2
		.amdhsa_next_free_vgpr 262
		.amdhsa_next_free_sgpr 89
		.amdhsa_named_barrier_count 0
		.amdhsa_reserve_vcc 1
		.amdhsa_float_round_mode_32 0
		.amdhsa_float_round_mode_16_64 0
		.amdhsa_float_denorm_mode_32 3
		.amdhsa_float_denorm_mode_16_64 3
		.amdhsa_fp16_overflow 0
		.amdhsa_memory_ordered 1
		.amdhsa_forward_progress 1
		.amdhsa_inst_pref_size 255
		.amdhsa_round_robin_scheduling 0
		.amdhsa_exception_fp_ieee_invalid_op 0
		.amdhsa_exception_fp_denorm_src 0
		.amdhsa_exception_fp_ieee_div_zero 0
		.amdhsa_exception_fp_ieee_overflow 0
		.amdhsa_exception_fp_ieee_underflow 0
		.amdhsa_exception_fp_ieee_inexact 0
		.amdhsa_exception_int_div_zero 0
	.end_amdhsa_kernel
	.section	.text._ZN9rocsolver6v33100L18getri_kernel_smallILi54E19rocblas_complex_numIdEPS3_EEvT1_iilPiilS6_bb,"axG",@progbits,_ZN9rocsolver6v33100L18getri_kernel_smallILi54E19rocblas_complex_numIdEPS3_EEvT1_iilPiilS6_bb,comdat
.Lfunc_end53:
	.size	_ZN9rocsolver6v33100L18getri_kernel_smallILi54E19rocblas_complex_numIdEPS3_EEvT1_iilPiilS6_bb, .Lfunc_end53-_ZN9rocsolver6v33100L18getri_kernel_smallILi54E19rocblas_complex_numIdEPS3_EEvT1_iilPiilS6_bb
                                        ; -- End function
	.set _ZN9rocsolver6v33100L18getri_kernel_smallILi54E19rocblas_complex_numIdEPS3_EEvT1_iilPiilS6_bb.num_vgpr, 262
	.set _ZN9rocsolver6v33100L18getri_kernel_smallILi54E19rocblas_complex_numIdEPS3_EEvT1_iilPiilS6_bb.num_agpr, 0
	.set _ZN9rocsolver6v33100L18getri_kernel_smallILi54E19rocblas_complex_numIdEPS3_EEvT1_iilPiilS6_bb.numbered_sgpr, 89
	.set _ZN9rocsolver6v33100L18getri_kernel_smallILi54E19rocblas_complex_numIdEPS3_EEvT1_iilPiilS6_bb.num_named_barrier, 0
	.set _ZN9rocsolver6v33100L18getri_kernel_smallILi54E19rocblas_complex_numIdEPS3_EEvT1_iilPiilS6_bb.private_seg_size, 880
	.set _ZN9rocsolver6v33100L18getri_kernel_smallILi54E19rocblas_complex_numIdEPS3_EEvT1_iilPiilS6_bb.uses_vcc, 1
	.set _ZN9rocsolver6v33100L18getri_kernel_smallILi54E19rocblas_complex_numIdEPS3_EEvT1_iilPiilS6_bb.uses_flat_scratch, 1
	.set _ZN9rocsolver6v33100L18getri_kernel_smallILi54E19rocblas_complex_numIdEPS3_EEvT1_iilPiilS6_bb.has_dyn_sized_stack, 0
	.set _ZN9rocsolver6v33100L18getri_kernel_smallILi54E19rocblas_complex_numIdEPS3_EEvT1_iilPiilS6_bb.has_recursion, 0
	.set _ZN9rocsolver6v33100L18getri_kernel_smallILi54E19rocblas_complex_numIdEPS3_EEvT1_iilPiilS6_bb.has_indirect_call, 0
	.section	.AMDGPU.csdata,"",@progbits
; Kernel info:
; codeLenInByte = 108056
; TotalNumSgprs: 91
; NumVgprs: 262
; ScratchSize: 880
; MemoryBound: 0
; FloatMode: 240
; IeeeMode: 1
; LDSByteSize: 2760 bytes/workgroup (compile time only)
; SGPRBlocks: 0
; VGPRBlocks: 16
; NumSGPRsForWavesPerEU: 91
; NumVGPRsForWavesPerEU: 262
; NamedBarCnt: 0
; Occupancy: 3
; WaveLimiterHint : 1
; COMPUTE_PGM_RSRC2:SCRATCH_EN: 1
; COMPUTE_PGM_RSRC2:USER_SGPR: 4
; COMPUTE_PGM_RSRC2:TRAP_HANDLER: 0
; COMPUTE_PGM_RSRC2:TGID_X_EN: 1
; COMPUTE_PGM_RSRC2:TGID_Y_EN: 0
; COMPUTE_PGM_RSRC2:TGID_Z_EN: 0
; COMPUTE_PGM_RSRC2:TIDIG_COMP_CNT: 2
	.section	.text._ZN9rocsolver6v33100L18getri_kernel_smallILi55E19rocblas_complex_numIdEPS3_EEvT1_iilPiilS6_bb,"axG",@progbits,_ZN9rocsolver6v33100L18getri_kernel_smallILi55E19rocblas_complex_numIdEPS3_EEvT1_iilPiilS6_bb,comdat
	.globl	_ZN9rocsolver6v33100L18getri_kernel_smallILi55E19rocblas_complex_numIdEPS3_EEvT1_iilPiilS6_bb ; -- Begin function _ZN9rocsolver6v33100L18getri_kernel_smallILi55E19rocblas_complex_numIdEPS3_EEvT1_iilPiilS6_bb
	.p2align	8
	.type	_ZN9rocsolver6v33100L18getri_kernel_smallILi55E19rocblas_complex_numIdEPS3_EEvT1_iilPiilS6_bb,@function
_ZN9rocsolver6v33100L18getri_kernel_smallILi55E19rocblas_complex_numIdEPS3_EEvT1_iilPiilS6_bb: ; @_ZN9rocsolver6v33100L18getri_kernel_smallILi55E19rocblas_complex_numIdEPS3_EEvT1_iilPiilS6_bb
; %bb.0:
	v_and_b32_e32 v1, 0x3ff, v0
	s_mov_b32 s4, exec_lo
	s_delay_alu instid0(VALU_DEP_1)
	v_cmpx_gt_u32_e32 55, v1
	s_cbranch_execz .LBB54_234
; %bb.1:
	s_clause 0x2
	s_load_b32 s8, s[2:3], 0x38
	s_load_b128 s[12:15], s[2:3], 0x10
	s_load_b128 s[4:7], s[2:3], 0x28
	s_getreg_b32 s11, hwreg(HW_REG_IB_STS2, 6, 4)
                                        ; implicit-def: $sgpr16_sgpr17
	s_wait_kmcnt 0x0
	s_bitcmp1_b32 s8, 8
	s_cselect_b32 s67, -1, 0
	s_bfe_u32 s9, ttmp6, 0x4000c
	s_and_b32 s10, ttmp6, 15
	s_add_co_i32 s9, s9, 1
	s_delay_alu instid0(SALU_CYCLE_1) | instskip(NEXT) | instid1(SALU_CYCLE_1)
	s_mul_i32 s9, ttmp9, s9
	s_add_co_i32 s10, s10, s9
	s_cmp_eq_u32 s11, 0
	s_cselect_b32 s18, ttmp9, s10
	s_bfe_u32 s8, s8, 0x10008
	s_ashr_i32 s19, s18, 31
	s_cmp_eq_u32 s8, 0
	s_cbranch_scc1 .LBB54_3
; %bb.2:
	s_load_b32 s8, s[2:3], 0x20
	s_mul_u64 s[4:5], s[4:5], s[18:19]
	s_delay_alu instid0(SALU_CYCLE_1) | instskip(NEXT) | instid1(SALU_CYCLE_1)
	s_lshl_b64 s[4:5], s[4:5], 2
	s_add_nc_u64 s[4:5], s[14:15], s[4:5]
	s_wait_kmcnt 0x0
	s_ashr_i32 s9, s8, 31
	s_delay_alu instid0(SALU_CYCLE_1) | instskip(NEXT) | instid1(SALU_CYCLE_1)
	s_lshl_b64 s[8:9], s[8:9], 2
	s_add_nc_u64 s[16:17], s[4:5], s[8:9]
.LBB54_3:
	s_clause 0x1
	s_load_b128 s[8:11], s[2:3], 0x0
	s_load_b32 s68, s[2:3], 0x38
	s_wait_xcnt 0x0
	s_mul_u64 s[2:3], s[12:13], s[18:19]
	s_movk_i32 s37, 0x1b0
	s_lshl_b64 s[2:3], s[2:3], 4
	s_movk_i32 s69, 0x220
	s_movk_i32 s70, 0x230
	;; [unrolled: 1-line block ×15, first 2 shown]
	s_wait_kmcnt 0x0
	v_add3_u32 v20, s11, s11, v1
	s_ashr_i32 s5, s10, 31
	s_mov_b32 s4, s10
	s_add_nc_u64 s[2:3], s[8:9], s[2:3]
	s_lshl_b64 s[4:5], s[4:5], 4
	v_add_nc_u32_e32 v22, s11, v20
	s_add_nc_u64 s[4:5], s[2:3], s[4:5]
	s_ashr_i32 s3, s11, 31
	s_mov_b32 s2, s11
	s_movk_i32 s84, 0x310
	v_add_nc_u32_e32 v24, s11, v22
	s_movk_i32 s85, 0x320
	s_movk_i32 s86, 0x330
	;; [unrolled: 1-line block ×4, first 2 shown]
	v_add_nc_u32_e32 v26, s11, v24
	s_movk_i32 s89, 0x360
	s_mov_b32 s52, 16
	s_mov_b32 s51, 32
	;; [unrolled: 1-line block ×3, first 2 shown]
	v_add_nc_u32_e32 v28, s11, v26
	s_clause 0x1
	global_load_b128 v[2:5], v20, s[4:5] scale_offset
	global_load_b128 v[6:9], v22, s[4:5] scale_offset
	s_mov_b32 s49, 64
	s_movk_i32 s55, 0x50
	s_movk_i32 s58, 0x60
	v_add_nc_u32_e32 v30, s11, v28
	global_load_b128 v[10:13], v24, s[4:5] scale_offset
	s_movk_i32 s61, 0x70
	s_movk_i32 s53, 0x80
	;; [unrolled: 1-line block ×3, first 2 shown]
	v_dual_add_nc_u32 v32, s11, v30 :: v_dual_lshlrev_b32 v14, 4, v1
	s_movk_i32 s56, 0xa0
	s_movk_i32 s59, 0xb0
	;; [unrolled: 1-line block ×3, first 2 shown]
	s_delay_alu instid0(VALU_DEP_1) | instskip(SKIP_3) | instid1(VALU_DEP_1)
	v_dual_mov_b32 v15, 0 :: v_dual_add_nc_u32 v34, s11, v32
	s_movk_i32 s64, 0xd0
	s_movk_i32 s66, 0xe0
	s_movk_i32 s57, 0xf0
	v_add_nc_u32_e32 v36, s11, v34
	v_add_nc_u64_e32 v[16:17], s[4:5], v[14:15]
	s_movk_i32 s60, 0x100
	s_movk_i32 s63, 0x110
	;; [unrolled: 1-line block ×3, first 2 shown]
	v_add_nc_u32_e32 v38, s11, v36
	s_movk_i32 s36, 0x130
	s_movk_i32 s40, 0x140
	v_lshl_add_u64 v[18:19], s[2:3], 4, v[16:17]
	s_movk_i32 s27, 0x150
	v_add_nc_u32_e32 v40, s11, v38
	s_clause 0x6
	global_load_b128 v[114:117], v1, s[4:5] scale_offset
	global_load_b128 v[118:121], v[18:19], off
	global_load_b128 v[122:125], v26, s[4:5] scale_offset
	global_load_b128 v[126:129], v28, s[4:5] scale_offset
	;; [unrolled: 1-line block ×5, first 2 shown]
	v_add_nc_u32_e32 v42, s11, v40
	s_movk_i32 s30, 0x160
	s_movk_i32 s35, 0x170
	;; [unrolled: 1-line block ×4, first 2 shown]
	v_add_nc_u32_e32 v44, s11, v42
	s_clause 0x1
	global_load_b128 v[142:145], v36, s[4:5] scale_offset
	global_load_b128 v[146:149], v38, s[4:5] scale_offset
	s_movk_i32 s45, 0x1a0
	s_movk_i32 s38, 0x1c0
	s_movk_i32 s41, 0x1d0
	v_add_nc_u32_e32 v46, s11, v44
	s_movk_i32 s44, 0x1e0
	s_movk_i32 s46, 0x1f0
	;; [unrolled: 1-line block ×4, first 2 shown]
	v_add_nc_u32_e32 v48, s11, v46
	s_clause 0x2
	global_load_b128 v[150:153], v40, s[4:5] scale_offset
	global_load_b128 v[154:157], v42, s[4:5] scale_offset
	;; [unrolled: 1-line block ×3, first 2 shown]
	s_mov_b32 s33, s37
	s_mov_b32 s42, s69
	s_clause 0x1
	global_load_b128 v[162:165], v46, s[4:5] scale_offset
	global_load_b128 v[166:169], v48, s[4:5] scale_offset
	v_add_nc_u32_e32 v50, s11, v48
	s_mov_b32 s34, s70
	s_mov_b32 s37, s71
	s_mov_b32 s28, s72
	s_mov_b32 s29, s73
	v_add_nc_u32_e32 v52, s11, v50
	s_mov_b32 s24, s74
	s_mov_b32 s25, s75
	s_mov_b32 s21, s76
	s_mov_b32 s22, s77
	;; [unrolled: 5-line block ×4, first 2 shown]
	v_add_nc_u32_e32 v58, s11, v56
	s_mov_b32 s31, s87
	s_mov_b32 s23, s88
	;; [unrolled: 1-line block ×3, first 2 shown]
	s_bitcmp0_b32 s68, 0
	v_add_nc_u32_e32 v60, s11, v58
	s_clause 0x4
	global_load_b128 v[170:173], v50, s[4:5] scale_offset
	global_load_b128 v[174:177], v52, s[4:5] scale_offset
	;; [unrolled: 1-line block ×5, first 2 shown]
	s_mov_b32 s3, -1
	v_add_nc_u32_e32 v62, s11, v60
	s_delay_alu instid0(VALU_DEP_1) | instskip(NEXT) | instid1(VALU_DEP_1)
	v_add_nc_u32_e32 v66, s11, v62
	v_add_nc_u32_e32 v64, s11, v66
	s_delay_alu instid0(VALU_DEP_1)
	v_add_nc_u32_e32 v68, s11, v64
	s_clause 0x3
	global_load_b128 v[190:193], v60, s[4:5] scale_offset
	global_load_b128 v[194:197], v62, s[4:5] scale_offset
	;; [unrolled: 1-line block ×4, first 2 shown]
	v_add_nc_u32_e32 v70, s11, v68
	s_delay_alu instid0(VALU_DEP_1) | instskip(NEXT) | instid1(VALU_DEP_1)
	v_add_nc_u32_e32 v72, s11, v70
	v_add_nc_u32_e32 v74, s11, v72
	s_delay_alu instid0(VALU_DEP_1) | instskip(NEXT) | instid1(VALU_DEP_1)
	v_add_nc_u32_e32 v76, s11, v74
	v_add_nc_u32_e32 v78, s11, v76
	s_delay_alu instid0(VALU_DEP_1)
	v_add_nc_u32_e32 v80, s11, v78
	s_clause 0x3
	global_load_b128 v[206:209], v68, s[4:5] scale_offset
	global_load_b128 v[210:213], v70, s[4:5] scale_offset
	;; [unrolled: 1-line block ×4, first 2 shown]
	v_add_nc_u32_e32 v82, s11, v80
	s_delay_alu instid0(VALU_DEP_1) | instskip(NEXT) | instid1(VALU_DEP_1)
	v_add_nc_u32_e32 v84, s11, v82
	v_add_nc_u32_e32 v86, s11, v84
	s_delay_alu instid0(VALU_DEP_1)
	v_add_nc_u32_e32 v88, s11, v86
	s_clause 0x3
	global_load_b128 v[222:225], v76, s[4:5] scale_offset
	global_load_b128 v[226:229], v78, s[4:5] scale_offset
	;; [unrolled: 1-line block ×4, first 2 shown]
	v_add_nc_u32_e32 v90, s11, v88
	s_delay_alu instid0(VALU_DEP_1)
	v_add_nc_u32_e32 v92, s11, v90
	s_clause 0x3
	global_load_b128 v[238:241], v84, s[4:5] scale_offset
	global_load_b128 v[242:245], v86, s[4:5] scale_offset
	;; [unrolled: 1-line block ×4, first 2 shown]
	s_wait_loadcnt 0x25
	scratch_store_b128 off, v[2:5], off offset:32
	s_wait_loadcnt 0x24
	scratch_store_b128 off, v[6:9], off offset:48
	v_add_nc_u32_e32 v94, s11, v92
	s_delay_alu instid0(VALU_DEP_1) | instskip(NEXT) | instid1(VALU_DEP_1)
	v_add_nc_u32_e32 v96, s11, v94
	v_add_nc_u32_e32 v98, s11, v96
	s_delay_alu instid0(VALU_DEP_1)
	v_add_nc_u32_e32 v100, s11, v98
	s_clause 0x1
	global_load_b128 v[2:5], v92, s[4:5] scale_offset
	global_load_b128 v[6:9], v94, s[4:5] scale_offset
	s_wait_loadcnt 0x25
	scratch_store_b128 off, v[10:13], off offset:64
	s_wait_loadcnt 0x24
	scratch_store_b128 off, v[114:117], off
	s_wait_loadcnt 0x23
	scratch_store_b128 off, v[118:121], off offset:16
	v_add_nc_u32_e32 v102, s11, v100
	s_delay_alu instid0(VALU_DEP_1)
	v_add_nc_u32_e32 v104, s11, v102
	s_clause 0x1
	global_load_b128 v[10:13], v96, s[4:5] scale_offset
	global_load_b128 v[254:257], v98, s[4:5] scale_offset
	s_wait_loadcnt 0x24
	scratch_store_b128 off, v[122:125], off offset:80
	s_wait_loadcnt 0x23
	scratch_store_b128 off, v[126:129], off offset:96
	s_clause 0x2
	global_load_b128 v[126:129], v100, s[4:5] scale_offset
	s_set_vgpr_msb 64                       ;  msbs: dst=1 src0=0 src1=0 src2=0
	global_load_b128 v[2:5] /*v[258:261]*/, v102, s[4:5] scale_offset
	s_wait_loadcnt 0x24
	scratch_store_b128 off, v[130:133], off offset:112
	s_set_vgpr_msb 0                        ;  msbs: dst=0 src0=0 src1=0 src2=0
	v_add_nc_u32_e32 v106, s11, v104
	s_wait_loadcnt 0x23
	scratch_store_b128 off, v[134:137], off offset:128
	s_wait_loadcnt 0x22
	scratch_store_b128 off, v[138:141], off offset:144
	v_add_nc_u32_e32 v108, s11, v106
	s_delay_alu instid0(VALU_DEP_1) | instskip(NEXT) | instid1(VALU_DEP_1)
	v_add_nc_u32_e32 v110, s11, v108
	v_add_nc_u32_e32 v112, s11, v110
	s_clause 0x1
	global_load_b128 v[130:133], v104, s[4:5] scale_offset
	global_load_b128 v[134:137], v106, s[4:5] scale_offset
	s_wait_loadcnt 0x23
	scratch_store_b128 off, v[142:145], off offset:160
	s_wait_loadcnt 0x22
	scratch_store_b128 off, v[146:149], off offset:176
	v_add_nc_u32_e32 v114, s11, v112
	s_delay_alu instid0(VALU_DEP_1)
	v_add_nc_u32_e32 v116, s11, v114
	s_clause 0x1
	global_load_b128 v[138:141], v108, s[4:5] scale_offset
	global_load_b128 v[142:145], v110, s[4:5] scale_offset
	s_wait_loadcnt 0x23
	scratch_store_b128 off, v[150:153], off offset:192
	s_wait_loadcnt 0x22
	scratch_store_b128 off, v[154:157], off offset:208
	;; [unrolled: 2-line block ×3, first 2 shown]
	s_clause 0x1
	global_load_b128 v[146:149], v112, s[4:5] scale_offset
	global_load_b128 v[150:153], v114, s[4:5] scale_offset
	v_add_nc_u32_e32 v118, s11, v116
	s_wait_loadcnt 0x22
	scratch_store_b128 off, v[162:165], off offset:240
	s_wait_loadcnt 0x21
	scratch_store_b128 off, v[166:169], off offset:256
	v_add_nc_u32_e32 v120, s11, v118
	s_delay_alu instid0(VALU_DEP_1) | instskip(NEXT) | instid1(VALU_DEP_1)
	v_add_nc_u32_e32 v122, s11, v120
	v_add_nc_u32_e32 v124, s11, v122
	s_clause 0x1
	global_load_b128 v[154:157], v116, s[4:5] scale_offset
	global_load_b128 v[158:161], v118, s[4:5] scale_offset
	s_wait_loadcnt 0x22
	scratch_store_b128 off, v[170:173], off offset:272
	s_wait_loadcnt 0x21
	scratch_store_b128 off, v[174:177], off offset:288
	s_clause 0x1
	global_load_b128 v[162:165], v120, s[4:5] scale_offset
	global_load_b128 v[166:169], v122, s[4:5] scale_offset
	s_mov_b32 s11, s82
	global_load_b128 v[170:173], v124, s[4:5] scale_offset
	s_wait_loadcnt 0x23
	scratch_store_b128 off, v[178:181], off offset:304
	s_wait_loadcnt 0x22
	scratch_store_b128 off, v[182:185], off offset:320
	;; [unrolled: 2-line block ×24, first 2 shown]
	s_wait_loadcnt 0xb
	s_set_vgpr_msb 4                        ;  msbs: dst=0 src0=0 src1=1 src2=0
	scratch_store_b128 off, v[2:5] /*v[258:261]*/, off offset:688
	s_wait_loadcnt 0xa
	s_set_vgpr_msb 0                        ;  msbs: dst=0 src0=0 src1=0 src2=0
	scratch_store_b128 off, v[130:133], off offset:704
	s_wait_loadcnt 0x9
	scratch_store_b128 off, v[134:137], off offset:720
	s_wait_loadcnt 0x8
	;; [unrolled: 2-line block ×10, first 2 shown]
	scratch_store_b128 off, v[170:173], off offset:864
	s_cbranch_scc1 .LBB54_232
; %bb.4:
	v_cmp_eq_u32_e64 s2, 0, v1
	s_wait_xcnt 0x0
	s_and_saveexec_b32 s3, s2
; %bb.5:
	v_mov_b32_e32 v2, 0
	ds_store_b32 v2, v2 offset:1760
; %bb.6:
	s_or_b32 exec_lo, exec_lo, s3
	s_wait_storecnt_dscnt 0x0
	s_barrier_signal -1
	s_barrier_wait -1
	scratch_load_b128 v[2:5], v1, off scale_offset
	s_wait_loadcnt 0x0
	v_cmp_eq_f64_e32 vcc_lo, 0, v[2:3]
	v_cmp_eq_f64_e64 s3, 0, v[4:5]
	s_and_b32 s3, vcc_lo, s3
	s_delay_alu instid0(SALU_CYCLE_1)
	s_and_saveexec_b32 s68, s3
	s_cbranch_execz .LBB54_10
; %bb.7:
	v_mov_b32_e32 v2, 0
	s_mov_b32 s69, 0
	ds_load_b32 v3, v2 offset:1760
	s_wait_dscnt 0x0
	v_readfirstlane_b32 s3, v3
	v_add_nc_u32_e32 v3, 1, v1
	s_cmp_eq_u32 s3, 0
	s_delay_alu instid0(VALU_DEP_1) | instskip(SKIP_1) | instid1(SALU_CYCLE_1)
	v_cmp_gt_i32_e32 vcc_lo, s3, v3
	s_cselect_b32 s70, -1, 0
	s_or_b32 s70, s70, vcc_lo
	s_delay_alu instid0(SALU_CYCLE_1)
	s_and_b32 exec_lo, exec_lo, s70
	s_cbranch_execz .LBB54_10
; %bb.8:
	v_mov_b32_e32 v4, s3
.LBB54_9:                               ; =>This Inner Loop Header: Depth=1
	ds_cmpstore_rtn_b32 v4, v2, v3, v4 offset:1760
	s_wait_dscnt 0x0
	v_cmp_ne_u32_e32 vcc_lo, 0, v4
	v_cmp_le_i32_e64 s3, v4, v3
	s_and_b32 s3, vcc_lo, s3
	s_delay_alu instid0(SALU_CYCLE_1) | instskip(NEXT) | instid1(SALU_CYCLE_1)
	s_and_b32 s3, exec_lo, s3
	s_or_b32 s69, s3, s69
	s_delay_alu instid0(SALU_CYCLE_1)
	s_and_not1_b32 exec_lo, exec_lo, s69
	s_cbranch_execnz .LBB54_9
.LBB54_10:
	s_or_b32 exec_lo, exec_lo, s68
	v_mov_b32_e32 v2, 0
	s_barrier_signal -1
	s_barrier_wait -1
	ds_load_b32 v3, v2 offset:1760
	s_and_saveexec_b32 s3, s2
	s_cbranch_execz .LBB54_12
; %bb.11:
	s_lshl_b64 s[68:69], s[18:19], 2
	s_delay_alu instid0(SALU_CYCLE_1)
	s_add_nc_u64 s[68:69], s[6:7], s[68:69]
	s_wait_dscnt 0x0
	global_store_b32 v2, v3, s[68:69]
.LBB54_12:
	s_wait_xcnt 0x0
	s_or_b32 exec_lo, exec_lo, s3
	s_wait_dscnt 0x0
	v_cmp_ne_u32_e32 vcc_lo, 0, v3
	s_mov_b32 s3, 0
	s_cbranch_vccnz .LBB54_232
; %bb.13:
	v_lshl_add_u32 v15, v1, 4, 0
                                        ; implicit-def: $vgpr6_vgpr7
                                        ; implicit-def: $vgpr10_vgpr11
	scratch_load_b128 v[2:5], v15, off
	s_wait_loadcnt 0x0
	v_cmp_ngt_f64_e64 s3, |v[2:3]|, |v[4:5]|
	s_wait_xcnt 0x0
	s_and_saveexec_b32 s68, s3
	s_delay_alu instid0(SALU_CYCLE_1)
	s_xor_b32 s3, exec_lo, s68
	s_cbranch_execz .LBB54_15
; %bb.14:
	v_div_scale_f64 v[6:7], null, v[4:5], v[4:5], v[2:3]
	v_div_scale_f64 v[12:13], vcc_lo, v[2:3], v[4:5], v[2:3]
	s_delay_alu instid0(VALU_DEP_2) | instskip(SKIP_1) | instid1(TRANS32_DEP_1)
	v_rcp_f64_e32 v[8:9], v[6:7]
	v_nop
	v_fma_f64 v[10:11], -v[6:7], v[8:9], 1.0
	s_delay_alu instid0(VALU_DEP_1) | instskip(NEXT) | instid1(VALU_DEP_1)
	v_fmac_f64_e32 v[8:9], v[8:9], v[10:11]
	v_fma_f64 v[10:11], -v[6:7], v[8:9], 1.0
	s_delay_alu instid0(VALU_DEP_1) | instskip(NEXT) | instid1(VALU_DEP_1)
	v_fmac_f64_e32 v[8:9], v[8:9], v[10:11]
	v_mul_f64_e32 v[10:11], v[12:13], v[8:9]
	s_delay_alu instid0(VALU_DEP_1) | instskip(NEXT) | instid1(VALU_DEP_1)
	v_fma_f64 v[6:7], -v[6:7], v[10:11], v[12:13]
	v_div_fmas_f64 v[6:7], v[6:7], v[8:9], v[10:11]
	s_delay_alu instid0(VALU_DEP_1) | instskip(NEXT) | instid1(VALU_DEP_1)
	v_div_fixup_f64 v[6:7], v[6:7], v[4:5], v[2:3]
	v_fmac_f64_e32 v[4:5], v[2:3], v[6:7]
	s_delay_alu instid0(VALU_DEP_1) | instskip(SKIP_1) | instid1(VALU_DEP_2)
	v_div_scale_f64 v[2:3], null, v[4:5], v[4:5], 1.0
	v_div_scale_f64 v[12:13], vcc_lo, 1.0, v[4:5], 1.0
	v_rcp_f64_e32 v[8:9], v[2:3]
	v_nop
	s_delay_alu instid0(TRANS32_DEP_1) | instskip(NEXT) | instid1(VALU_DEP_1)
	v_fma_f64 v[10:11], -v[2:3], v[8:9], 1.0
	v_fmac_f64_e32 v[8:9], v[8:9], v[10:11]
	s_delay_alu instid0(VALU_DEP_1) | instskip(NEXT) | instid1(VALU_DEP_1)
	v_fma_f64 v[10:11], -v[2:3], v[8:9], 1.0
	v_fmac_f64_e32 v[8:9], v[8:9], v[10:11]
	s_delay_alu instid0(VALU_DEP_1) | instskip(NEXT) | instid1(VALU_DEP_1)
	v_mul_f64_e32 v[10:11], v[12:13], v[8:9]
	v_fma_f64 v[2:3], -v[2:3], v[10:11], v[12:13]
	s_delay_alu instid0(VALU_DEP_1) | instskip(NEXT) | instid1(VALU_DEP_1)
	v_div_fmas_f64 v[2:3], v[2:3], v[8:9], v[10:11]
	v_div_fixup_f64 v[8:9], v[2:3], v[4:5], 1.0
                                        ; implicit-def: $vgpr2_vgpr3
	s_delay_alu instid0(VALU_DEP_1) | instskip(SKIP_1) | instid1(VALU_DEP_2)
	v_mul_f64_e32 v[6:7], v[6:7], v[8:9]
	v_xor_b32_e32 v9, 0x80000000, v9
	v_xor_b32_e32 v11, 0x80000000, v7
	s_delay_alu instid0(VALU_DEP_3)
	v_mov_b32_e32 v10, v6
.LBB54_15:
	s_and_not1_saveexec_b32 s3, s3
	s_cbranch_execz .LBB54_17
; %bb.16:
	v_div_scale_f64 v[6:7], null, v[2:3], v[2:3], v[4:5]
	v_div_scale_f64 v[12:13], vcc_lo, v[4:5], v[2:3], v[4:5]
	s_delay_alu instid0(VALU_DEP_2) | instskip(SKIP_1) | instid1(TRANS32_DEP_1)
	v_rcp_f64_e32 v[8:9], v[6:7]
	v_nop
	v_fma_f64 v[10:11], -v[6:7], v[8:9], 1.0
	s_delay_alu instid0(VALU_DEP_1) | instskip(NEXT) | instid1(VALU_DEP_1)
	v_fmac_f64_e32 v[8:9], v[8:9], v[10:11]
	v_fma_f64 v[10:11], -v[6:7], v[8:9], 1.0
	s_delay_alu instid0(VALU_DEP_1) | instskip(NEXT) | instid1(VALU_DEP_1)
	v_fmac_f64_e32 v[8:9], v[8:9], v[10:11]
	v_mul_f64_e32 v[10:11], v[12:13], v[8:9]
	s_delay_alu instid0(VALU_DEP_1) | instskip(NEXT) | instid1(VALU_DEP_1)
	v_fma_f64 v[6:7], -v[6:7], v[10:11], v[12:13]
	v_div_fmas_f64 v[6:7], v[6:7], v[8:9], v[10:11]
	s_delay_alu instid0(VALU_DEP_1) | instskip(NEXT) | instid1(VALU_DEP_1)
	v_div_fixup_f64 v[8:9], v[6:7], v[2:3], v[4:5]
	v_fmac_f64_e32 v[2:3], v[4:5], v[8:9]
	s_delay_alu instid0(VALU_DEP_1) | instskip(NEXT) | instid1(VALU_DEP_1)
	v_div_scale_f64 v[4:5], null, v[2:3], v[2:3], 1.0
	v_rcp_f64_e32 v[6:7], v[4:5]
	v_nop
	s_delay_alu instid0(TRANS32_DEP_1) | instskip(NEXT) | instid1(VALU_DEP_1)
	v_fma_f64 v[10:11], -v[4:5], v[6:7], 1.0
	v_fmac_f64_e32 v[6:7], v[6:7], v[10:11]
	s_delay_alu instid0(VALU_DEP_1) | instskip(NEXT) | instid1(VALU_DEP_1)
	v_fma_f64 v[10:11], -v[4:5], v[6:7], 1.0
	v_fmac_f64_e32 v[6:7], v[6:7], v[10:11]
	v_div_scale_f64 v[10:11], vcc_lo, 1.0, v[2:3], 1.0
	s_delay_alu instid0(VALU_DEP_1) | instskip(NEXT) | instid1(VALU_DEP_1)
	v_mul_f64_e32 v[12:13], v[10:11], v[6:7]
	v_fma_f64 v[4:5], -v[4:5], v[12:13], v[10:11]
	s_delay_alu instid0(VALU_DEP_1) | instskip(NEXT) | instid1(VALU_DEP_1)
	v_div_fmas_f64 v[4:5], v[4:5], v[6:7], v[12:13]
	v_div_fixup_f64 v[6:7], v[4:5], v[2:3], 1.0
	s_delay_alu instid0(VALU_DEP_1)
	v_mul_f64_e64 v[8:9], v[8:9], -v[6:7]
	v_xor_b32_e32 v11, 0x80000000, v7
	v_mov_b32_e32 v10, v6
.LBB54_17:
	s_or_b32 exec_lo, exec_lo, s3
	s_clause 0x1
	scratch_store_b128 v15, v[6:9], off
	scratch_load_b128 v[2:5], off, s52
	v_xor_b32_e32 v13, 0x80000000, v9
	v_mov_b32_e32 v12, v8
	s_wait_xcnt 0x1
	v_add_nc_u32_e32 v6, 0x370, v14
	ds_store_b128 v14, v[10:13]
	s_wait_loadcnt 0x0
	ds_store_b128 v14, v[2:5] offset:880
	s_wait_storecnt_dscnt 0x0
	s_barrier_signal -1
	s_barrier_wait -1
	s_wait_xcnt 0x0
	s_and_saveexec_b32 s3, s2
	s_cbranch_execz .LBB54_19
; %bb.18:
	scratch_load_b128 v[2:5], v15, off
	ds_load_b128 v[8:11], v6
	v_mov_b32_e32 v7, 0
	ds_load_b128 v[126:129], v7 offset:16
	s_wait_loadcnt_dscnt 0x1
	v_mul_f64_e32 v[12:13], v[8:9], v[4:5]
	v_mul_f64_e32 v[4:5], v[10:11], v[4:5]
	s_delay_alu instid0(VALU_DEP_2) | instskip(NEXT) | instid1(VALU_DEP_2)
	v_fmac_f64_e32 v[12:13], v[10:11], v[2:3]
	v_fma_f64 v[2:3], v[8:9], v[2:3], -v[4:5]
	s_delay_alu instid0(VALU_DEP_2) | instskip(NEXT) | instid1(VALU_DEP_2)
	v_add_f64_e32 v[8:9], 0, v[12:13]
	v_add_f64_e32 v[2:3], 0, v[2:3]
	s_wait_dscnt 0x0
	s_delay_alu instid0(VALU_DEP_2) | instskip(NEXT) | instid1(VALU_DEP_2)
	v_mul_f64_e32 v[10:11], v[8:9], v[128:129]
	v_mul_f64_e32 v[4:5], v[2:3], v[128:129]
	s_delay_alu instid0(VALU_DEP_2) | instskip(NEXT) | instid1(VALU_DEP_2)
	v_fma_f64 v[2:3], v[2:3], v[126:127], -v[10:11]
	v_fmac_f64_e32 v[4:5], v[8:9], v[126:127]
	scratch_store_b128 off, v[2:5], off offset:16
.LBB54_19:
	s_wait_xcnt 0x0
	s_or_b32 exec_lo, exec_lo, s3
	s_wait_storecnt 0x0
	s_barrier_signal -1
	s_barrier_wait -1
	scratch_load_b128 v[2:5], off, s51
	s_mov_b32 s3, exec_lo
	s_wait_loadcnt 0x0
	ds_store_b128 v6, v[2:5]
	s_wait_dscnt 0x0
	s_barrier_signal -1
	s_barrier_wait -1
	v_cmpx_gt_u32_e32 2, v1
	s_cbranch_execz .LBB54_23
; %bb.20:
	scratch_load_b128 v[2:5], v15, off
	ds_load_b128 v[8:11], v6
	s_wait_loadcnt_dscnt 0x0
	v_mul_f64_e32 v[12:13], v[10:11], v[4:5]
	v_mul_f64_e32 v[126:127], v[8:9], v[4:5]
	s_delay_alu instid0(VALU_DEP_2) | instskip(NEXT) | instid1(VALU_DEP_2)
	v_fma_f64 v[4:5], v[8:9], v[2:3], -v[12:13]
	v_fmac_f64_e32 v[126:127], v[10:11], v[2:3]
	s_delay_alu instid0(VALU_DEP_2) | instskip(NEXT) | instid1(VALU_DEP_2)
	v_add_f64_e32 v[4:5], 0, v[4:5]
	v_add_f64_e32 v[2:3], 0, v[126:127]
	s_and_saveexec_b32 s68, s2
	s_cbranch_execz .LBB54_22
; %bb.21:
	scratch_load_b128 v[8:11], off, off offset:16
	v_mov_b32_e32 v7, 0
	ds_load_b128 v[126:129], v7 offset:896
	s_wait_loadcnt_dscnt 0x0
	v_mul_f64_e32 v[12:13], v[126:127], v[10:11]
	v_mul_f64_e32 v[10:11], v[128:129], v[10:11]
	s_delay_alu instid0(VALU_DEP_2) | instskip(NEXT) | instid1(VALU_DEP_2)
	v_fmac_f64_e32 v[12:13], v[128:129], v[8:9]
	v_fma_f64 v[8:9], v[126:127], v[8:9], -v[10:11]
	s_delay_alu instid0(VALU_DEP_2) | instskip(NEXT) | instid1(VALU_DEP_2)
	v_add_f64_e32 v[2:3], v[2:3], v[12:13]
	v_add_f64_e32 v[4:5], v[4:5], v[8:9]
.LBB54_22:
	s_or_b32 exec_lo, exec_lo, s68
	v_mov_b32_e32 v7, 0
	ds_load_b128 v[8:11], v7 offset:32
	s_wait_dscnt 0x0
	v_mul_f64_e32 v[126:127], v[2:3], v[10:11]
	v_mul_f64_e32 v[12:13], v[4:5], v[10:11]
	s_delay_alu instid0(VALU_DEP_2) | instskip(NEXT) | instid1(VALU_DEP_2)
	v_fma_f64 v[10:11], v[4:5], v[8:9], -v[126:127]
	v_fmac_f64_e32 v[12:13], v[2:3], v[8:9]
	scratch_store_b128 off, v[10:13], off offset:32
.LBB54_23:
	s_wait_xcnt 0x0
	s_or_b32 exec_lo, exec_lo, s3
	s_wait_storecnt 0x0
	s_barrier_signal -1
	s_barrier_wait -1
	scratch_load_b128 v[2:5], off, s50
	v_add_nc_u32_e32 v7, -1, v1
	s_mov_b32 s2, exec_lo
	s_wait_loadcnt 0x0
	ds_store_b128 v6, v[2:5]
	s_wait_dscnt 0x0
	s_barrier_signal -1
	s_barrier_wait -1
	v_cmpx_gt_u32_e32 3, v1
	s_cbranch_execz .LBB54_27
; %bb.24:
	v_dual_mov_b32 v10, v14 :: v_dual_add_nc_u32 v8, -1, v1
	v_mov_b64_e32 v[2:3], 0
	v_mov_b64_e32 v[4:5], 0
	v_add_nc_u32_e32 v9, 0x370, v14
	s_delay_alu instid0(VALU_DEP_4)
	v_or_b32_e32 v10, 8, v10
	s_mov_b32 s3, 0
.LBB54_25:                              ; =>This Inner Loop Header: Depth=1
	scratch_load_b128 v[126:129], v10, off offset:-8
	ds_load_b128 v[130:133], v9
	s_wait_xcnt 0x0
	v_dual_add_nc_u32 v9, 16, v9 :: v_dual_add_nc_u32 v10, 16, v10
	v_add_nc_u32_e32 v8, 1, v8
	s_delay_alu instid0(VALU_DEP_1) | instskip(SKIP_4) | instid1(VALU_DEP_2)
	v_cmp_lt_u32_e32 vcc_lo, 1, v8
	s_or_b32 s3, vcc_lo, s3
	s_wait_loadcnt_dscnt 0x0
	v_mul_f64_e32 v[12:13], v[132:133], v[128:129]
	v_mul_f64_e32 v[128:129], v[130:131], v[128:129]
	v_fma_f64 v[12:13], v[130:131], v[126:127], -v[12:13]
	s_delay_alu instid0(VALU_DEP_2) | instskip(NEXT) | instid1(VALU_DEP_2)
	v_fmac_f64_e32 v[128:129], v[132:133], v[126:127]
	v_add_f64_e32 v[4:5], v[4:5], v[12:13]
	s_delay_alu instid0(VALU_DEP_2)
	v_add_f64_e32 v[2:3], v[2:3], v[128:129]
	s_and_not1_b32 exec_lo, exec_lo, s3
	s_cbranch_execnz .LBB54_25
; %bb.26:
	s_or_b32 exec_lo, exec_lo, s3
	v_mov_b32_e32 v8, 0
	ds_load_b128 v[8:11], v8 offset:48
	s_wait_dscnt 0x0
	v_mul_f64_e32 v[126:127], v[2:3], v[10:11]
	v_mul_f64_e32 v[12:13], v[4:5], v[10:11]
	s_delay_alu instid0(VALU_DEP_2) | instskip(NEXT) | instid1(VALU_DEP_2)
	v_fma_f64 v[10:11], v[4:5], v[8:9], -v[126:127]
	v_fmac_f64_e32 v[12:13], v[2:3], v[8:9]
	scratch_store_b128 off, v[10:13], off offset:48
.LBB54_27:
	s_wait_xcnt 0x0
	s_or_b32 exec_lo, exec_lo, s2
	s_wait_storecnt 0x0
	s_barrier_signal -1
	s_barrier_wait -1
	scratch_load_b128 v[2:5], off, s49
	s_mov_b32 s2, exec_lo
	s_wait_loadcnt 0x0
	ds_store_b128 v6, v[2:5]
	s_wait_dscnt 0x0
	s_barrier_signal -1
	s_barrier_wait -1
	v_cmpx_gt_u32_e32 4, v1
	s_cbranch_execz .LBB54_31
; %bb.28:
	v_dual_mov_b32 v10, v14 :: v_dual_add_nc_u32 v8, -1, v1
	v_mov_b64_e32 v[2:3], 0
	v_mov_b64_e32 v[4:5], 0
	v_add_nc_u32_e32 v9, 0x370, v14
	s_delay_alu instid0(VALU_DEP_4)
	v_or_b32_e32 v10, 8, v10
	s_mov_b32 s3, 0
.LBB54_29:                              ; =>This Inner Loop Header: Depth=1
	scratch_load_b128 v[126:129], v10, off offset:-8
	ds_load_b128 v[130:133], v9
	s_wait_xcnt 0x0
	v_dual_add_nc_u32 v9, 16, v9 :: v_dual_add_nc_u32 v10, 16, v10
	v_add_nc_u32_e32 v8, 1, v8
	s_delay_alu instid0(VALU_DEP_1) | instskip(SKIP_4) | instid1(VALU_DEP_2)
	v_cmp_lt_u32_e32 vcc_lo, 2, v8
	s_or_b32 s3, vcc_lo, s3
	s_wait_loadcnt_dscnt 0x0
	v_mul_f64_e32 v[12:13], v[132:133], v[128:129]
	v_mul_f64_e32 v[128:129], v[130:131], v[128:129]
	v_fma_f64 v[12:13], v[130:131], v[126:127], -v[12:13]
	s_delay_alu instid0(VALU_DEP_2) | instskip(NEXT) | instid1(VALU_DEP_2)
	v_fmac_f64_e32 v[128:129], v[132:133], v[126:127]
	v_add_f64_e32 v[4:5], v[4:5], v[12:13]
	s_delay_alu instid0(VALU_DEP_2)
	v_add_f64_e32 v[2:3], v[2:3], v[128:129]
	s_and_not1_b32 exec_lo, exec_lo, s3
	s_cbranch_execnz .LBB54_29
; %bb.30:
	s_or_b32 exec_lo, exec_lo, s3
	v_mov_b32_e32 v8, 0
	ds_load_b128 v[8:11], v8 offset:64
	s_wait_dscnt 0x0
	v_mul_f64_e32 v[126:127], v[2:3], v[10:11]
	v_mul_f64_e32 v[12:13], v[4:5], v[10:11]
	s_delay_alu instid0(VALU_DEP_2) | instskip(NEXT) | instid1(VALU_DEP_2)
	v_fma_f64 v[10:11], v[4:5], v[8:9], -v[126:127]
	v_fmac_f64_e32 v[12:13], v[2:3], v[8:9]
	scratch_store_b128 off, v[10:13], off offset:64
.LBB54_31:
	s_wait_xcnt 0x0
	s_or_b32 exec_lo, exec_lo, s2
	s_wait_storecnt 0x0
	s_barrier_signal -1
	s_barrier_wait -1
	scratch_load_b128 v[2:5], off, s55
	;; [unrolled: 54-line block ×19, first 2 shown]
	s_mov_b32 s2, exec_lo
	s_wait_loadcnt 0x0
	ds_store_b128 v6, v[2:5]
	s_wait_dscnt 0x0
	s_barrier_signal -1
	s_barrier_wait -1
	v_cmpx_gt_u32_e32 22, v1
	s_cbranch_execz .LBB54_103
; %bb.100:
	v_dual_mov_b32 v10, v14 :: v_dual_add_nc_u32 v8, -1, v1
	v_mov_b64_e32 v[2:3], 0
	v_mov_b64_e32 v[4:5], 0
	v_add_nc_u32_e32 v9, 0x370, v14
	s_delay_alu instid0(VALU_DEP_4)
	v_or_b32_e32 v10, 8, v10
	s_mov_b32 s3, 0
.LBB54_101:                             ; =>This Inner Loop Header: Depth=1
	scratch_load_b128 v[126:129], v10, off offset:-8
	ds_load_b128 v[130:133], v9
	s_wait_xcnt 0x0
	v_dual_add_nc_u32 v9, 16, v9 :: v_dual_add_nc_u32 v10, 16, v10
	v_add_nc_u32_e32 v8, 1, v8
	s_delay_alu instid0(VALU_DEP_1) | instskip(SKIP_4) | instid1(VALU_DEP_2)
	v_cmp_lt_u32_e32 vcc_lo, 20, v8
	s_or_b32 s3, vcc_lo, s3
	s_wait_loadcnt_dscnt 0x0
	v_mul_f64_e32 v[12:13], v[132:133], v[128:129]
	v_mul_f64_e32 v[128:129], v[130:131], v[128:129]
	v_fma_f64 v[12:13], v[130:131], v[126:127], -v[12:13]
	s_delay_alu instid0(VALU_DEP_2) | instskip(NEXT) | instid1(VALU_DEP_2)
	v_fmac_f64_e32 v[128:129], v[132:133], v[126:127]
	v_add_f64_e32 v[4:5], v[4:5], v[12:13]
	s_delay_alu instid0(VALU_DEP_2)
	v_add_f64_e32 v[2:3], v[2:3], v[128:129]
	s_and_not1_b32 exec_lo, exec_lo, s3
	s_cbranch_execnz .LBB54_101
; %bb.102:
	s_or_b32 exec_lo, exec_lo, s3
	v_mov_b32_e32 v8, 0
	ds_load_b128 v[8:11], v8 offset:352
	s_wait_dscnt 0x0
	v_mul_f64_e32 v[126:127], v[2:3], v[10:11]
	v_mul_f64_e32 v[12:13], v[4:5], v[10:11]
	s_delay_alu instid0(VALU_DEP_2) | instskip(NEXT) | instid1(VALU_DEP_2)
	v_fma_f64 v[10:11], v[4:5], v[8:9], -v[126:127]
	v_fmac_f64_e32 v[12:13], v[2:3], v[8:9]
	scratch_store_b128 off, v[10:13], off offset:352
.LBB54_103:
	s_wait_xcnt 0x0
	s_or_b32 exec_lo, exec_lo, s2
	s_wait_storecnt 0x0
	s_barrier_signal -1
	s_barrier_wait -1
	scratch_load_b128 v[2:5], off, s35
	s_mov_b32 s2, exec_lo
	s_wait_loadcnt 0x0
	ds_store_b128 v6, v[2:5]
	s_wait_dscnt 0x0
	s_barrier_signal -1
	s_barrier_wait -1
	v_cmpx_gt_u32_e32 23, v1
	s_cbranch_execz .LBB54_107
; %bb.104:
	v_dual_mov_b32 v10, v14 :: v_dual_add_nc_u32 v8, -1, v1
	v_mov_b64_e32 v[2:3], 0
	v_mov_b64_e32 v[4:5], 0
	v_add_nc_u32_e32 v9, 0x370, v14
	s_delay_alu instid0(VALU_DEP_4)
	v_or_b32_e32 v10, 8, v10
	s_mov_b32 s3, 0
.LBB54_105:                             ; =>This Inner Loop Header: Depth=1
	scratch_load_b128 v[126:129], v10, off offset:-8
	ds_load_b128 v[130:133], v9
	s_wait_xcnt 0x0
	v_dual_add_nc_u32 v9, 16, v9 :: v_dual_add_nc_u32 v10, 16, v10
	v_add_nc_u32_e32 v8, 1, v8
	s_delay_alu instid0(VALU_DEP_1) | instskip(SKIP_4) | instid1(VALU_DEP_2)
	v_cmp_lt_u32_e32 vcc_lo, 21, v8
	s_or_b32 s3, vcc_lo, s3
	s_wait_loadcnt_dscnt 0x0
	v_mul_f64_e32 v[12:13], v[132:133], v[128:129]
	v_mul_f64_e32 v[128:129], v[130:131], v[128:129]
	v_fma_f64 v[12:13], v[130:131], v[126:127], -v[12:13]
	s_delay_alu instid0(VALU_DEP_2) | instskip(NEXT) | instid1(VALU_DEP_2)
	v_fmac_f64_e32 v[128:129], v[132:133], v[126:127]
	v_add_f64_e32 v[4:5], v[4:5], v[12:13]
	s_delay_alu instid0(VALU_DEP_2)
	v_add_f64_e32 v[2:3], v[2:3], v[128:129]
	s_and_not1_b32 exec_lo, exec_lo, s3
	s_cbranch_execnz .LBB54_105
; %bb.106:
	s_or_b32 exec_lo, exec_lo, s3
	v_mov_b32_e32 v8, 0
	ds_load_b128 v[8:11], v8 offset:368
	s_wait_dscnt 0x0
	v_mul_f64_e32 v[126:127], v[2:3], v[10:11]
	v_mul_f64_e32 v[12:13], v[4:5], v[10:11]
	s_delay_alu instid0(VALU_DEP_2) | instskip(NEXT) | instid1(VALU_DEP_2)
	v_fma_f64 v[10:11], v[4:5], v[8:9], -v[126:127]
	v_fmac_f64_e32 v[12:13], v[2:3], v[8:9]
	scratch_store_b128 off, v[10:13], off offset:368
.LBB54_107:
	s_wait_xcnt 0x0
	s_or_b32 exec_lo, exec_lo, s2
	s_wait_storecnt 0x0
	s_barrier_signal -1
	s_barrier_wait -1
	scratch_load_b128 v[2:5], off, s39
	s_mov_b32 s2, exec_lo
	s_wait_loadcnt 0x0
	ds_store_b128 v6, v[2:5]
	s_wait_dscnt 0x0
	s_barrier_signal -1
	s_barrier_wait -1
	v_cmpx_gt_u32_e32 24, v1
	s_cbranch_execz .LBB54_111
; %bb.108:
	v_dual_mov_b32 v10, v14 :: v_dual_add_nc_u32 v8, -1, v1
	v_mov_b64_e32 v[2:3], 0
	v_mov_b64_e32 v[4:5], 0
	v_add_nc_u32_e32 v9, 0x370, v14
	s_delay_alu instid0(VALU_DEP_4)
	v_or_b32_e32 v10, 8, v10
	s_mov_b32 s3, 0
.LBB54_109:                             ; =>This Inner Loop Header: Depth=1
	scratch_load_b128 v[126:129], v10, off offset:-8
	ds_load_b128 v[130:133], v9
	s_wait_xcnt 0x0
	v_dual_add_nc_u32 v9, 16, v9 :: v_dual_add_nc_u32 v10, 16, v10
	v_add_nc_u32_e32 v8, 1, v8
	s_delay_alu instid0(VALU_DEP_1) | instskip(SKIP_4) | instid1(VALU_DEP_2)
	v_cmp_lt_u32_e32 vcc_lo, 22, v8
	s_or_b32 s3, vcc_lo, s3
	s_wait_loadcnt_dscnt 0x0
	v_mul_f64_e32 v[12:13], v[132:133], v[128:129]
	v_mul_f64_e32 v[128:129], v[130:131], v[128:129]
	v_fma_f64 v[12:13], v[130:131], v[126:127], -v[12:13]
	s_delay_alu instid0(VALU_DEP_2) | instskip(NEXT) | instid1(VALU_DEP_2)
	v_fmac_f64_e32 v[128:129], v[132:133], v[126:127]
	v_add_f64_e32 v[4:5], v[4:5], v[12:13]
	s_delay_alu instid0(VALU_DEP_2)
	v_add_f64_e32 v[2:3], v[2:3], v[128:129]
	s_and_not1_b32 exec_lo, exec_lo, s3
	s_cbranch_execnz .LBB54_109
; %bb.110:
	s_or_b32 exec_lo, exec_lo, s3
	v_mov_b32_e32 v8, 0
	ds_load_b128 v[8:11], v8 offset:384
	s_wait_dscnt 0x0
	v_mul_f64_e32 v[126:127], v[2:3], v[10:11]
	v_mul_f64_e32 v[12:13], v[4:5], v[10:11]
	s_delay_alu instid0(VALU_DEP_2) | instskip(NEXT) | instid1(VALU_DEP_2)
	v_fma_f64 v[10:11], v[4:5], v[8:9], -v[126:127]
	v_fmac_f64_e32 v[12:13], v[2:3], v[8:9]
	scratch_store_b128 off, v[10:13], off offset:384
.LBB54_111:
	s_wait_xcnt 0x0
	s_or_b32 exec_lo, exec_lo, s2
	s_wait_storecnt 0x0
	s_barrier_signal -1
	s_barrier_wait -1
	scratch_load_b128 v[2:5], off, s43
	s_mov_b32 s2, exec_lo
	s_wait_loadcnt 0x0
	ds_store_b128 v6, v[2:5]
	s_wait_dscnt 0x0
	s_barrier_signal -1
	s_barrier_wait -1
	v_cmpx_gt_u32_e32 25, v1
	s_cbranch_execz .LBB54_115
; %bb.112:
	v_dual_mov_b32 v10, v14 :: v_dual_add_nc_u32 v8, -1, v1
	v_mov_b64_e32 v[2:3], 0
	v_mov_b64_e32 v[4:5], 0
	v_add_nc_u32_e32 v9, 0x370, v14
	s_delay_alu instid0(VALU_DEP_4)
	v_or_b32_e32 v10, 8, v10
	s_mov_b32 s3, 0
.LBB54_113:                             ; =>This Inner Loop Header: Depth=1
	scratch_load_b128 v[126:129], v10, off offset:-8
	ds_load_b128 v[130:133], v9
	s_wait_xcnt 0x0
	v_dual_add_nc_u32 v9, 16, v9 :: v_dual_add_nc_u32 v10, 16, v10
	v_add_nc_u32_e32 v8, 1, v8
	s_delay_alu instid0(VALU_DEP_1) | instskip(SKIP_4) | instid1(VALU_DEP_2)
	v_cmp_lt_u32_e32 vcc_lo, 23, v8
	s_or_b32 s3, vcc_lo, s3
	s_wait_loadcnt_dscnt 0x0
	v_mul_f64_e32 v[12:13], v[132:133], v[128:129]
	v_mul_f64_e32 v[128:129], v[130:131], v[128:129]
	v_fma_f64 v[12:13], v[130:131], v[126:127], -v[12:13]
	s_delay_alu instid0(VALU_DEP_2) | instskip(NEXT) | instid1(VALU_DEP_2)
	v_fmac_f64_e32 v[128:129], v[132:133], v[126:127]
	v_add_f64_e32 v[4:5], v[4:5], v[12:13]
	s_delay_alu instid0(VALU_DEP_2)
	v_add_f64_e32 v[2:3], v[2:3], v[128:129]
	s_and_not1_b32 exec_lo, exec_lo, s3
	s_cbranch_execnz .LBB54_113
; %bb.114:
	s_or_b32 exec_lo, exec_lo, s3
	v_mov_b32_e32 v8, 0
	ds_load_b128 v[8:11], v8 offset:400
	s_wait_dscnt 0x0
	v_mul_f64_e32 v[126:127], v[2:3], v[10:11]
	v_mul_f64_e32 v[12:13], v[4:5], v[10:11]
	s_delay_alu instid0(VALU_DEP_2) | instskip(NEXT) | instid1(VALU_DEP_2)
	v_fma_f64 v[10:11], v[4:5], v[8:9], -v[126:127]
	v_fmac_f64_e32 v[12:13], v[2:3], v[8:9]
	scratch_store_b128 off, v[10:13], off offset:400
.LBB54_115:
	s_wait_xcnt 0x0
	s_or_b32 exec_lo, exec_lo, s2
	s_wait_storecnt 0x0
	s_barrier_signal -1
	s_barrier_wait -1
	scratch_load_b128 v[2:5], off, s45
	s_mov_b32 s2, exec_lo
	s_wait_loadcnt 0x0
	ds_store_b128 v6, v[2:5]
	s_wait_dscnt 0x0
	s_barrier_signal -1
	s_barrier_wait -1
	v_cmpx_gt_u32_e32 26, v1
	s_cbranch_execz .LBB54_119
; %bb.116:
	v_dual_mov_b32 v10, v14 :: v_dual_add_nc_u32 v8, -1, v1
	v_mov_b64_e32 v[2:3], 0
	v_mov_b64_e32 v[4:5], 0
	v_add_nc_u32_e32 v9, 0x370, v14
	s_delay_alu instid0(VALU_DEP_4)
	v_or_b32_e32 v10, 8, v10
	s_mov_b32 s3, 0
.LBB54_117:                             ; =>This Inner Loop Header: Depth=1
	scratch_load_b128 v[126:129], v10, off offset:-8
	ds_load_b128 v[130:133], v9
	s_wait_xcnt 0x0
	v_dual_add_nc_u32 v9, 16, v9 :: v_dual_add_nc_u32 v10, 16, v10
	v_add_nc_u32_e32 v8, 1, v8
	s_delay_alu instid0(VALU_DEP_1) | instskip(SKIP_4) | instid1(VALU_DEP_2)
	v_cmp_lt_u32_e32 vcc_lo, 24, v8
	s_or_b32 s3, vcc_lo, s3
	s_wait_loadcnt_dscnt 0x0
	v_mul_f64_e32 v[12:13], v[132:133], v[128:129]
	v_mul_f64_e32 v[128:129], v[130:131], v[128:129]
	v_fma_f64 v[12:13], v[130:131], v[126:127], -v[12:13]
	s_delay_alu instid0(VALU_DEP_2) | instskip(NEXT) | instid1(VALU_DEP_2)
	v_fmac_f64_e32 v[128:129], v[132:133], v[126:127]
	v_add_f64_e32 v[4:5], v[4:5], v[12:13]
	s_delay_alu instid0(VALU_DEP_2)
	v_add_f64_e32 v[2:3], v[2:3], v[128:129]
	s_and_not1_b32 exec_lo, exec_lo, s3
	s_cbranch_execnz .LBB54_117
; %bb.118:
	s_or_b32 exec_lo, exec_lo, s3
	v_mov_b32_e32 v8, 0
	ds_load_b128 v[8:11], v8 offset:416
	s_wait_dscnt 0x0
	v_mul_f64_e32 v[126:127], v[2:3], v[10:11]
	v_mul_f64_e32 v[12:13], v[4:5], v[10:11]
	s_delay_alu instid0(VALU_DEP_2) | instskip(NEXT) | instid1(VALU_DEP_2)
	v_fma_f64 v[10:11], v[4:5], v[8:9], -v[126:127]
	v_fmac_f64_e32 v[12:13], v[2:3], v[8:9]
	scratch_store_b128 off, v[10:13], off offset:416
.LBB54_119:
	s_wait_xcnt 0x0
	s_or_b32 exec_lo, exec_lo, s2
	s_wait_storecnt 0x0
	s_barrier_signal -1
	s_barrier_wait -1
	scratch_load_b128 v[2:5], off, s33
	s_mov_b32 s2, exec_lo
	s_wait_loadcnt 0x0
	ds_store_b128 v6, v[2:5]
	s_wait_dscnt 0x0
	s_barrier_signal -1
	s_barrier_wait -1
	v_cmpx_gt_u32_e32 27, v1
	s_cbranch_execz .LBB54_123
; %bb.120:
	v_dual_mov_b32 v10, v14 :: v_dual_add_nc_u32 v8, -1, v1
	v_mov_b64_e32 v[2:3], 0
	v_mov_b64_e32 v[4:5], 0
	v_add_nc_u32_e32 v9, 0x370, v14
	s_delay_alu instid0(VALU_DEP_4)
	v_or_b32_e32 v10, 8, v10
	s_mov_b32 s3, 0
.LBB54_121:                             ; =>This Inner Loop Header: Depth=1
	scratch_load_b128 v[126:129], v10, off offset:-8
	ds_load_b128 v[130:133], v9
	s_wait_xcnt 0x0
	v_dual_add_nc_u32 v9, 16, v9 :: v_dual_add_nc_u32 v10, 16, v10
	v_add_nc_u32_e32 v8, 1, v8
	s_delay_alu instid0(VALU_DEP_1) | instskip(SKIP_4) | instid1(VALU_DEP_2)
	v_cmp_lt_u32_e32 vcc_lo, 25, v8
	s_or_b32 s3, vcc_lo, s3
	s_wait_loadcnt_dscnt 0x0
	v_mul_f64_e32 v[12:13], v[132:133], v[128:129]
	v_mul_f64_e32 v[128:129], v[130:131], v[128:129]
	v_fma_f64 v[12:13], v[130:131], v[126:127], -v[12:13]
	s_delay_alu instid0(VALU_DEP_2) | instskip(NEXT) | instid1(VALU_DEP_2)
	v_fmac_f64_e32 v[128:129], v[132:133], v[126:127]
	v_add_f64_e32 v[4:5], v[4:5], v[12:13]
	s_delay_alu instid0(VALU_DEP_2)
	v_add_f64_e32 v[2:3], v[2:3], v[128:129]
	s_and_not1_b32 exec_lo, exec_lo, s3
	s_cbranch_execnz .LBB54_121
; %bb.122:
	s_or_b32 exec_lo, exec_lo, s3
	v_mov_b32_e32 v8, 0
	ds_load_b128 v[8:11], v8 offset:432
	s_wait_dscnt 0x0
	v_mul_f64_e32 v[126:127], v[2:3], v[10:11]
	v_mul_f64_e32 v[12:13], v[4:5], v[10:11]
	s_delay_alu instid0(VALU_DEP_2) | instskip(NEXT) | instid1(VALU_DEP_2)
	v_fma_f64 v[10:11], v[4:5], v[8:9], -v[126:127]
	v_fmac_f64_e32 v[12:13], v[2:3], v[8:9]
	scratch_store_b128 off, v[10:13], off offset:432
.LBB54_123:
	s_wait_xcnt 0x0
	s_or_b32 exec_lo, exec_lo, s2
	s_wait_storecnt 0x0
	s_barrier_signal -1
	s_barrier_wait -1
	scratch_load_b128 v[2:5], off, s38
	s_mov_b32 s2, exec_lo
	s_wait_loadcnt 0x0
	ds_store_b128 v6, v[2:5]
	s_wait_dscnt 0x0
	s_barrier_signal -1
	s_barrier_wait -1
	v_cmpx_gt_u32_e32 28, v1
	s_cbranch_execz .LBB54_127
; %bb.124:
	v_dual_mov_b32 v10, v14 :: v_dual_add_nc_u32 v8, -1, v1
	v_mov_b64_e32 v[2:3], 0
	v_mov_b64_e32 v[4:5], 0
	v_add_nc_u32_e32 v9, 0x370, v14
	s_delay_alu instid0(VALU_DEP_4)
	v_or_b32_e32 v10, 8, v10
	s_mov_b32 s3, 0
.LBB54_125:                             ; =>This Inner Loop Header: Depth=1
	scratch_load_b128 v[126:129], v10, off offset:-8
	ds_load_b128 v[130:133], v9
	s_wait_xcnt 0x0
	v_dual_add_nc_u32 v9, 16, v9 :: v_dual_add_nc_u32 v10, 16, v10
	v_add_nc_u32_e32 v8, 1, v8
	s_delay_alu instid0(VALU_DEP_1) | instskip(SKIP_4) | instid1(VALU_DEP_2)
	v_cmp_lt_u32_e32 vcc_lo, 26, v8
	s_or_b32 s3, vcc_lo, s3
	s_wait_loadcnt_dscnt 0x0
	v_mul_f64_e32 v[12:13], v[132:133], v[128:129]
	v_mul_f64_e32 v[128:129], v[130:131], v[128:129]
	v_fma_f64 v[12:13], v[130:131], v[126:127], -v[12:13]
	s_delay_alu instid0(VALU_DEP_2) | instskip(NEXT) | instid1(VALU_DEP_2)
	v_fmac_f64_e32 v[128:129], v[132:133], v[126:127]
	v_add_f64_e32 v[4:5], v[4:5], v[12:13]
	s_delay_alu instid0(VALU_DEP_2)
	v_add_f64_e32 v[2:3], v[2:3], v[128:129]
	s_and_not1_b32 exec_lo, exec_lo, s3
	s_cbranch_execnz .LBB54_125
; %bb.126:
	s_or_b32 exec_lo, exec_lo, s3
	v_mov_b32_e32 v8, 0
	ds_load_b128 v[8:11], v8 offset:448
	s_wait_dscnt 0x0
	v_mul_f64_e32 v[126:127], v[2:3], v[10:11]
	v_mul_f64_e32 v[12:13], v[4:5], v[10:11]
	s_delay_alu instid0(VALU_DEP_2) | instskip(NEXT) | instid1(VALU_DEP_2)
	v_fma_f64 v[10:11], v[4:5], v[8:9], -v[126:127]
	v_fmac_f64_e32 v[12:13], v[2:3], v[8:9]
	scratch_store_b128 off, v[10:13], off offset:448
.LBB54_127:
	s_wait_xcnt 0x0
	s_or_b32 exec_lo, exec_lo, s2
	s_wait_storecnt 0x0
	s_barrier_signal -1
	s_barrier_wait -1
	scratch_load_b128 v[2:5], off, s41
	s_mov_b32 s2, exec_lo
	s_wait_loadcnt 0x0
	ds_store_b128 v6, v[2:5]
	s_wait_dscnt 0x0
	s_barrier_signal -1
	s_barrier_wait -1
	v_cmpx_gt_u32_e32 29, v1
	s_cbranch_execz .LBB54_131
; %bb.128:
	v_dual_mov_b32 v10, v14 :: v_dual_add_nc_u32 v8, -1, v1
	v_mov_b64_e32 v[2:3], 0
	v_mov_b64_e32 v[4:5], 0
	v_add_nc_u32_e32 v9, 0x370, v14
	s_delay_alu instid0(VALU_DEP_4)
	v_or_b32_e32 v10, 8, v10
	s_mov_b32 s3, 0
.LBB54_129:                             ; =>This Inner Loop Header: Depth=1
	scratch_load_b128 v[126:129], v10, off offset:-8
	ds_load_b128 v[130:133], v9
	s_wait_xcnt 0x0
	v_dual_add_nc_u32 v9, 16, v9 :: v_dual_add_nc_u32 v10, 16, v10
	v_add_nc_u32_e32 v8, 1, v8
	s_delay_alu instid0(VALU_DEP_1) | instskip(SKIP_4) | instid1(VALU_DEP_2)
	v_cmp_lt_u32_e32 vcc_lo, 27, v8
	s_or_b32 s3, vcc_lo, s3
	s_wait_loadcnt_dscnt 0x0
	v_mul_f64_e32 v[12:13], v[132:133], v[128:129]
	v_mul_f64_e32 v[128:129], v[130:131], v[128:129]
	v_fma_f64 v[12:13], v[130:131], v[126:127], -v[12:13]
	s_delay_alu instid0(VALU_DEP_2) | instskip(NEXT) | instid1(VALU_DEP_2)
	v_fmac_f64_e32 v[128:129], v[132:133], v[126:127]
	v_add_f64_e32 v[4:5], v[4:5], v[12:13]
	s_delay_alu instid0(VALU_DEP_2)
	v_add_f64_e32 v[2:3], v[2:3], v[128:129]
	s_and_not1_b32 exec_lo, exec_lo, s3
	s_cbranch_execnz .LBB54_129
; %bb.130:
	s_or_b32 exec_lo, exec_lo, s3
	v_mov_b32_e32 v8, 0
	ds_load_b128 v[8:11], v8 offset:464
	s_wait_dscnt 0x0
	v_mul_f64_e32 v[126:127], v[2:3], v[10:11]
	v_mul_f64_e32 v[12:13], v[4:5], v[10:11]
	s_delay_alu instid0(VALU_DEP_2) | instskip(NEXT) | instid1(VALU_DEP_2)
	v_fma_f64 v[10:11], v[4:5], v[8:9], -v[126:127]
	v_fmac_f64_e32 v[12:13], v[2:3], v[8:9]
	scratch_store_b128 off, v[10:13], off offset:464
.LBB54_131:
	s_wait_xcnt 0x0
	s_or_b32 exec_lo, exec_lo, s2
	s_wait_storecnt 0x0
	s_barrier_signal -1
	s_barrier_wait -1
	scratch_load_b128 v[2:5], off, s44
	s_mov_b32 s2, exec_lo
	s_wait_loadcnt 0x0
	ds_store_b128 v6, v[2:5]
	s_wait_dscnt 0x0
	s_barrier_signal -1
	s_barrier_wait -1
	v_cmpx_gt_u32_e32 30, v1
	s_cbranch_execz .LBB54_135
; %bb.132:
	v_dual_mov_b32 v10, v14 :: v_dual_add_nc_u32 v8, -1, v1
	v_mov_b64_e32 v[2:3], 0
	v_mov_b64_e32 v[4:5], 0
	v_add_nc_u32_e32 v9, 0x370, v14
	s_delay_alu instid0(VALU_DEP_4)
	v_or_b32_e32 v10, 8, v10
	s_mov_b32 s3, 0
.LBB54_133:                             ; =>This Inner Loop Header: Depth=1
	scratch_load_b128 v[126:129], v10, off offset:-8
	ds_load_b128 v[130:133], v9
	s_wait_xcnt 0x0
	v_dual_add_nc_u32 v9, 16, v9 :: v_dual_add_nc_u32 v10, 16, v10
	v_add_nc_u32_e32 v8, 1, v8
	s_delay_alu instid0(VALU_DEP_1) | instskip(SKIP_4) | instid1(VALU_DEP_2)
	v_cmp_lt_u32_e32 vcc_lo, 28, v8
	s_or_b32 s3, vcc_lo, s3
	s_wait_loadcnt_dscnt 0x0
	v_mul_f64_e32 v[12:13], v[132:133], v[128:129]
	v_mul_f64_e32 v[128:129], v[130:131], v[128:129]
	v_fma_f64 v[12:13], v[130:131], v[126:127], -v[12:13]
	s_delay_alu instid0(VALU_DEP_2) | instskip(NEXT) | instid1(VALU_DEP_2)
	v_fmac_f64_e32 v[128:129], v[132:133], v[126:127]
	v_add_f64_e32 v[4:5], v[4:5], v[12:13]
	s_delay_alu instid0(VALU_DEP_2)
	v_add_f64_e32 v[2:3], v[2:3], v[128:129]
	s_and_not1_b32 exec_lo, exec_lo, s3
	s_cbranch_execnz .LBB54_133
; %bb.134:
	s_or_b32 exec_lo, exec_lo, s3
	v_mov_b32_e32 v8, 0
	ds_load_b128 v[8:11], v8 offset:480
	s_wait_dscnt 0x0
	v_mul_f64_e32 v[126:127], v[2:3], v[10:11]
	v_mul_f64_e32 v[12:13], v[4:5], v[10:11]
	s_delay_alu instid0(VALU_DEP_2) | instskip(NEXT) | instid1(VALU_DEP_2)
	v_fma_f64 v[10:11], v[4:5], v[8:9], -v[126:127]
	v_fmac_f64_e32 v[12:13], v[2:3], v[8:9]
	scratch_store_b128 off, v[10:13], off offset:480
.LBB54_135:
	s_wait_xcnt 0x0
	s_or_b32 exec_lo, exec_lo, s2
	s_wait_storecnt 0x0
	s_barrier_signal -1
	s_barrier_wait -1
	scratch_load_b128 v[2:5], off, s46
	s_mov_b32 s2, exec_lo
	s_wait_loadcnt 0x0
	ds_store_b128 v6, v[2:5]
	s_wait_dscnt 0x0
	s_barrier_signal -1
	s_barrier_wait -1
	v_cmpx_gt_u32_e32 31, v1
	s_cbranch_execz .LBB54_139
; %bb.136:
	v_dual_mov_b32 v10, v14 :: v_dual_add_nc_u32 v8, -1, v1
	v_mov_b64_e32 v[2:3], 0
	v_mov_b64_e32 v[4:5], 0
	v_add_nc_u32_e32 v9, 0x370, v14
	s_delay_alu instid0(VALU_DEP_4)
	v_or_b32_e32 v10, 8, v10
	s_mov_b32 s3, 0
.LBB54_137:                             ; =>This Inner Loop Header: Depth=1
	scratch_load_b128 v[126:129], v10, off offset:-8
	ds_load_b128 v[130:133], v9
	s_wait_xcnt 0x0
	v_dual_add_nc_u32 v9, 16, v9 :: v_dual_add_nc_u32 v10, 16, v10
	v_add_nc_u32_e32 v8, 1, v8
	s_delay_alu instid0(VALU_DEP_1) | instskip(SKIP_4) | instid1(VALU_DEP_2)
	v_cmp_lt_u32_e32 vcc_lo, 29, v8
	s_or_b32 s3, vcc_lo, s3
	s_wait_loadcnt_dscnt 0x0
	v_mul_f64_e32 v[12:13], v[132:133], v[128:129]
	v_mul_f64_e32 v[128:129], v[130:131], v[128:129]
	v_fma_f64 v[12:13], v[130:131], v[126:127], -v[12:13]
	s_delay_alu instid0(VALU_DEP_2) | instskip(NEXT) | instid1(VALU_DEP_2)
	v_fmac_f64_e32 v[128:129], v[132:133], v[126:127]
	v_add_f64_e32 v[4:5], v[4:5], v[12:13]
	s_delay_alu instid0(VALU_DEP_2)
	v_add_f64_e32 v[2:3], v[2:3], v[128:129]
	s_and_not1_b32 exec_lo, exec_lo, s3
	s_cbranch_execnz .LBB54_137
; %bb.138:
	s_or_b32 exec_lo, exec_lo, s3
	v_mov_b32_e32 v8, 0
	ds_load_b128 v[8:11], v8 offset:496
	s_wait_dscnt 0x0
	v_mul_f64_e32 v[126:127], v[2:3], v[10:11]
	v_mul_f64_e32 v[12:13], v[4:5], v[10:11]
	s_delay_alu instid0(VALU_DEP_2) | instskip(NEXT) | instid1(VALU_DEP_2)
	v_fma_f64 v[10:11], v[4:5], v[8:9], -v[126:127]
	v_fmac_f64_e32 v[12:13], v[2:3], v[8:9]
	scratch_store_b128 off, v[10:13], off offset:496
.LBB54_139:
	s_wait_xcnt 0x0
	s_or_b32 exec_lo, exec_lo, s2
	s_wait_storecnt 0x0
	s_barrier_signal -1
	s_barrier_wait -1
	scratch_load_b128 v[2:5], off, s47
	s_mov_b32 s2, exec_lo
	s_wait_loadcnt 0x0
	ds_store_b128 v6, v[2:5]
	s_wait_dscnt 0x0
	s_barrier_signal -1
	s_barrier_wait -1
	v_cmpx_gt_u32_e32 32, v1
	s_cbranch_execz .LBB54_143
; %bb.140:
	v_dual_mov_b32 v10, v14 :: v_dual_add_nc_u32 v8, -1, v1
	v_mov_b64_e32 v[2:3], 0
	v_mov_b64_e32 v[4:5], 0
	v_add_nc_u32_e32 v9, 0x370, v14
	s_delay_alu instid0(VALU_DEP_4)
	v_or_b32_e32 v10, 8, v10
	s_mov_b32 s3, 0
.LBB54_141:                             ; =>This Inner Loop Header: Depth=1
	scratch_load_b128 v[126:129], v10, off offset:-8
	ds_load_b128 v[130:133], v9
	s_wait_xcnt 0x0
	v_dual_add_nc_u32 v9, 16, v9 :: v_dual_add_nc_u32 v10, 16, v10
	v_add_nc_u32_e32 v8, 1, v8
	s_delay_alu instid0(VALU_DEP_1) | instskip(SKIP_4) | instid1(VALU_DEP_2)
	v_cmp_lt_u32_e32 vcc_lo, 30, v8
	s_or_b32 s3, vcc_lo, s3
	s_wait_loadcnt_dscnt 0x0
	v_mul_f64_e32 v[12:13], v[132:133], v[128:129]
	v_mul_f64_e32 v[128:129], v[130:131], v[128:129]
	v_fma_f64 v[12:13], v[130:131], v[126:127], -v[12:13]
	s_delay_alu instid0(VALU_DEP_2) | instskip(NEXT) | instid1(VALU_DEP_2)
	v_fmac_f64_e32 v[128:129], v[132:133], v[126:127]
	v_add_f64_e32 v[4:5], v[4:5], v[12:13]
	s_delay_alu instid0(VALU_DEP_2)
	v_add_f64_e32 v[2:3], v[2:3], v[128:129]
	s_and_not1_b32 exec_lo, exec_lo, s3
	s_cbranch_execnz .LBB54_141
; %bb.142:
	s_or_b32 exec_lo, exec_lo, s3
	v_mov_b32_e32 v8, 0
	ds_load_b128 v[8:11], v8 offset:512
	s_wait_dscnt 0x0
	v_mul_f64_e32 v[126:127], v[2:3], v[10:11]
	v_mul_f64_e32 v[12:13], v[4:5], v[10:11]
	s_delay_alu instid0(VALU_DEP_2) | instskip(NEXT) | instid1(VALU_DEP_2)
	v_fma_f64 v[10:11], v[4:5], v[8:9], -v[126:127]
	v_fmac_f64_e32 v[12:13], v[2:3], v[8:9]
	scratch_store_b128 off, v[10:13], off offset:512
.LBB54_143:
	s_wait_xcnt 0x0
	s_or_b32 exec_lo, exec_lo, s2
	s_wait_storecnt 0x0
	s_barrier_signal -1
	s_barrier_wait -1
	scratch_load_b128 v[2:5], off, s48
	s_mov_b32 s2, exec_lo
	s_wait_loadcnt 0x0
	ds_store_b128 v6, v[2:5]
	s_wait_dscnt 0x0
	s_barrier_signal -1
	s_barrier_wait -1
	v_cmpx_gt_u32_e32 33, v1
	s_cbranch_execz .LBB54_147
; %bb.144:
	v_dual_mov_b32 v10, v14 :: v_dual_add_nc_u32 v8, -1, v1
	v_mov_b64_e32 v[2:3], 0
	v_mov_b64_e32 v[4:5], 0
	v_add_nc_u32_e32 v9, 0x370, v14
	s_delay_alu instid0(VALU_DEP_4)
	v_or_b32_e32 v10, 8, v10
	s_mov_b32 s3, 0
.LBB54_145:                             ; =>This Inner Loop Header: Depth=1
	scratch_load_b128 v[126:129], v10, off offset:-8
	ds_load_b128 v[130:133], v9
	s_wait_xcnt 0x0
	v_dual_add_nc_u32 v9, 16, v9 :: v_dual_add_nc_u32 v10, 16, v10
	v_add_nc_u32_e32 v8, 1, v8
	s_delay_alu instid0(VALU_DEP_1) | instskip(SKIP_4) | instid1(VALU_DEP_2)
	v_cmp_lt_u32_e32 vcc_lo, 31, v8
	s_or_b32 s3, vcc_lo, s3
	s_wait_loadcnt_dscnt 0x0
	v_mul_f64_e32 v[12:13], v[132:133], v[128:129]
	v_mul_f64_e32 v[128:129], v[130:131], v[128:129]
	v_fma_f64 v[12:13], v[130:131], v[126:127], -v[12:13]
	s_delay_alu instid0(VALU_DEP_2) | instskip(NEXT) | instid1(VALU_DEP_2)
	v_fmac_f64_e32 v[128:129], v[132:133], v[126:127]
	v_add_f64_e32 v[4:5], v[4:5], v[12:13]
	s_delay_alu instid0(VALU_DEP_2)
	v_add_f64_e32 v[2:3], v[2:3], v[128:129]
	s_and_not1_b32 exec_lo, exec_lo, s3
	s_cbranch_execnz .LBB54_145
; %bb.146:
	s_or_b32 exec_lo, exec_lo, s3
	v_mov_b32_e32 v8, 0
	ds_load_b128 v[8:11], v8 offset:528
	s_wait_dscnt 0x0
	v_mul_f64_e32 v[126:127], v[2:3], v[10:11]
	v_mul_f64_e32 v[12:13], v[4:5], v[10:11]
	s_delay_alu instid0(VALU_DEP_2) | instskip(NEXT) | instid1(VALU_DEP_2)
	v_fma_f64 v[10:11], v[4:5], v[8:9], -v[126:127]
	v_fmac_f64_e32 v[12:13], v[2:3], v[8:9]
	scratch_store_b128 off, v[10:13], off offset:528
.LBB54_147:
	s_wait_xcnt 0x0
	s_or_b32 exec_lo, exec_lo, s2
	s_wait_storecnt 0x0
	s_barrier_signal -1
	s_barrier_wait -1
	scratch_load_b128 v[2:5], off, s42
	s_mov_b32 s2, exec_lo
	s_wait_loadcnt 0x0
	ds_store_b128 v6, v[2:5]
	s_wait_dscnt 0x0
	s_barrier_signal -1
	s_barrier_wait -1
	v_cmpx_gt_u32_e32 34, v1
	s_cbranch_execz .LBB54_151
; %bb.148:
	v_dual_mov_b32 v10, v14 :: v_dual_add_nc_u32 v8, -1, v1
	v_mov_b64_e32 v[2:3], 0
	v_mov_b64_e32 v[4:5], 0
	v_add_nc_u32_e32 v9, 0x370, v14
	s_delay_alu instid0(VALU_DEP_4)
	v_or_b32_e32 v10, 8, v10
	s_mov_b32 s3, 0
.LBB54_149:                             ; =>This Inner Loop Header: Depth=1
	scratch_load_b128 v[126:129], v10, off offset:-8
	ds_load_b128 v[130:133], v9
	s_wait_xcnt 0x0
	v_dual_add_nc_u32 v9, 16, v9 :: v_dual_add_nc_u32 v10, 16, v10
	v_add_nc_u32_e32 v8, 1, v8
	s_delay_alu instid0(VALU_DEP_1) | instskip(SKIP_4) | instid1(VALU_DEP_2)
	v_cmp_lt_u32_e32 vcc_lo, 32, v8
	s_or_b32 s3, vcc_lo, s3
	s_wait_loadcnt_dscnt 0x0
	v_mul_f64_e32 v[12:13], v[132:133], v[128:129]
	v_mul_f64_e32 v[128:129], v[130:131], v[128:129]
	v_fma_f64 v[12:13], v[130:131], v[126:127], -v[12:13]
	s_delay_alu instid0(VALU_DEP_2) | instskip(NEXT) | instid1(VALU_DEP_2)
	v_fmac_f64_e32 v[128:129], v[132:133], v[126:127]
	v_add_f64_e32 v[4:5], v[4:5], v[12:13]
	s_delay_alu instid0(VALU_DEP_2)
	v_add_f64_e32 v[2:3], v[2:3], v[128:129]
	s_and_not1_b32 exec_lo, exec_lo, s3
	s_cbranch_execnz .LBB54_149
; %bb.150:
	s_or_b32 exec_lo, exec_lo, s3
	v_mov_b32_e32 v8, 0
	ds_load_b128 v[8:11], v8 offset:544
	s_wait_dscnt 0x0
	v_mul_f64_e32 v[126:127], v[2:3], v[10:11]
	v_mul_f64_e32 v[12:13], v[4:5], v[10:11]
	s_delay_alu instid0(VALU_DEP_2) | instskip(NEXT) | instid1(VALU_DEP_2)
	v_fma_f64 v[10:11], v[4:5], v[8:9], -v[126:127]
	v_fmac_f64_e32 v[12:13], v[2:3], v[8:9]
	scratch_store_b128 off, v[10:13], off offset:544
.LBB54_151:
	s_wait_xcnt 0x0
	s_or_b32 exec_lo, exec_lo, s2
	s_wait_storecnt 0x0
	s_barrier_signal -1
	s_barrier_wait -1
	scratch_load_b128 v[2:5], off, s34
	s_mov_b32 s2, exec_lo
	s_wait_loadcnt 0x0
	ds_store_b128 v6, v[2:5]
	s_wait_dscnt 0x0
	s_barrier_signal -1
	s_barrier_wait -1
	v_cmpx_gt_u32_e32 35, v1
	s_cbranch_execz .LBB54_155
; %bb.152:
	v_dual_mov_b32 v10, v14 :: v_dual_add_nc_u32 v8, -1, v1
	v_mov_b64_e32 v[2:3], 0
	v_mov_b64_e32 v[4:5], 0
	v_add_nc_u32_e32 v9, 0x370, v14
	s_delay_alu instid0(VALU_DEP_4)
	v_or_b32_e32 v10, 8, v10
	s_mov_b32 s3, 0
.LBB54_153:                             ; =>This Inner Loop Header: Depth=1
	scratch_load_b128 v[126:129], v10, off offset:-8
	ds_load_b128 v[130:133], v9
	s_wait_xcnt 0x0
	v_dual_add_nc_u32 v9, 16, v9 :: v_dual_add_nc_u32 v10, 16, v10
	v_add_nc_u32_e32 v8, 1, v8
	s_delay_alu instid0(VALU_DEP_1) | instskip(SKIP_4) | instid1(VALU_DEP_2)
	v_cmp_lt_u32_e32 vcc_lo, 33, v8
	s_or_b32 s3, vcc_lo, s3
	s_wait_loadcnt_dscnt 0x0
	v_mul_f64_e32 v[12:13], v[132:133], v[128:129]
	v_mul_f64_e32 v[128:129], v[130:131], v[128:129]
	v_fma_f64 v[12:13], v[130:131], v[126:127], -v[12:13]
	s_delay_alu instid0(VALU_DEP_2) | instskip(NEXT) | instid1(VALU_DEP_2)
	v_fmac_f64_e32 v[128:129], v[132:133], v[126:127]
	v_add_f64_e32 v[4:5], v[4:5], v[12:13]
	s_delay_alu instid0(VALU_DEP_2)
	v_add_f64_e32 v[2:3], v[2:3], v[128:129]
	s_and_not1_b32 exec_lo, exec_lo, s3
	s_cbranch_execnz .LBB54_153
; %bb.154:
	s_or_b32 exec_lo, exec_lo, s3
	v_mov_b32_e32 v8, 0
	ds_load_b128 v[8:11], v8 offset:560
	s_wait_dscnt 0x0
	v_mul_f64_e32 v[126:127], v[2:3], v[10:11]
	v_mul_f64_e32 v[12:13], v[4:5], v[10:11]
	s_delay_alu instid0(VALU_DEP_2) | instskip(NEXT) | instid1(VALU_DEP_2)
	v_fma_f64 v[10:11], v[4:5], v[8:9], -v[126:127]
	v_fmac_f64_e32 v[12:13], v[2:3], v[8:9]
	scratch_store_b128 off, v[10:13], off offset:560
.LBB54_155:
	s_wait_xcnt 0x0
	s_or_b32 exec_lo, exec_lo, s2
	s_wait_storecnt 0x0
	s_barrier_signal -1
	s_barrier_wait -1
	scratch_load_b128 v[2:5], off, s37
	s_mov_b32 s2, exec_lo
	s_wait_loadcnt 0x0
	ds_store_b128 v6, v[2:5]
	s_wait_dscnt 0x0
	s_barrier_signal -1
	s_barrier_wait -1
	v_cmpx_gt_u32_e32 36, v1
	s_cbranch_execz .LBB54_159
; %bb.156:
	v_dual_mov_b32 v10, v14 :: v_dual_add_nc_u32 v8, -1, v1
	v_mov_b64_e32 v[2:3], 0
	v_mov_b64_e32 v[4:5], 0
	v_add_nc_u32_e32 v9, 0x370, v14
	s_delay_alu instid0(VALU_DEP_4)
	v_or_b32_e32 v10, 8, v10
	s_mov_b32 s3, 0
.LBB54_157:                             ; =>This Inner Loop Header: Depth=1
	scratch_load_b128 v[126:129], v10, off offset:-8
	ds_load_b128 v[130:133], v9
	s_wait_xcnt 0x0
	v_dual_add_nc_u32 v9, 16, v9 :: v_dual_add_nc_u32 v10, 16, v10
	v_add_nc_u32_e32 v8, 1, v8
	s_delay_alu instid0(VALU_DEP_1) | instskip(SKIP_4) | instid1(VALU_DEP_2)
	v_cmp_lt_u32_e32 vcc_lo, 34, v8
	s_or_b32 s3, vcc_lo, s3
	s_wait_loadcnt_dscnt 0x0
	v_mul_f64_e32 v[12:13], v[132:133], v[128:129]
	v_mul_f64_e32 v[128:129], v[130:131], v[128:129]
	v_fma_f64 v[12:13], v[130:131], v[126:127], -v[12:13]
	s_delay_alu instid0(VALU_DEP_2) | instskip(NEXT) | instid1(VALU_DEP_2)
	v_fmac_f64_e32 v[128:129], v[132:133], v[126:127]
	v_add_f64_e32 v[4:5], v[4:5], v[12:13]
	s_delay_alu instid0(VALU_DEP_2)
	v_add_f64_e32 v[2:3], v[2:3], v[128:129]
	s_and_not1_b32 exec_lo, exec_lo, s3
	s_cbranch_execnz .LBB54_157
; %bb.158:
	s_or_b32 exec_lo, exec_lo, s3
	v_mov_b32_e32 v8, 0
	ds_load_b128 v[8:11], v8 offset:576
	s_wait_dscnt 0x0
	v_mul_f64_e32 v[126:127], v[2:3], v[10:11]
	v_mul_f64_e32 v[12:13], v[4:5], v[10:11]
	s_delay_alu instid0(VALU_DEP_2) | instskip(NEXT) | instid1(VALU_DEP_2)
	v_fma_f64 v[10:11], v[4:5], v[8:9], -v[126:127]
	v_fmac_f64_e32 v[12:13], v[2:3], v[8:9]
	scratch_store_b128 off, v[10:13], off offset:576
.LBB54_159:
	s_wait_xcnt 0x0
	s_or_b32 exec_lo, exec_lo, s2
	s_wait_storecnt 0x0
	s_barrier_signal -1
	s_barrier_wait -1
	scratch_load_b128 v[2:5], off, s28
	s_mov_b32 s2, exec_lo
	s_wait_loadcnt 0x0
	ds_store_b128 v6, v[2:5]
	s_wait_dscnt 0x0
	s_barrier_signal -1
	s_barrier_wait -1
	v_cmpx_gt_u32_e32 37, v1
	s_cbranch_execz .LBB54_163
; %bb.160:
	v_dual_mov_b32 v10, v14 :: v_dual_add_nc_u32 v8, -1, v1
	v_mov_b64_e32 v[2:3], 0
	v_mov_b64_e32 v[4:5], 0
	v_add_nc_u32_e32 v9, 0x370, v14
	s_delay_alu instid0(VALU_DEP_4)
	v_or_b32_e32 v10, 8, v10
	s_mov_b32 s3, 0
.LBB54_161:                             ; =>This Inner Loop Header: Depth=1
	scratch_load_b128 v[126:129], v10, off offset:-8
	ds_load_b128 v[130:133], v9
	s_wait_xcnt 0x0
	v_dual_add_nc_u32 v9, 16, v9 :: v_dual_add_nc_u32 v10, 16, v10
	v_add_nc_u32_e32 v8, 1, v8
	s_delay_alu instid0(VALU_DEP_1) | instskip(SKIP_4) | instid1(VALU_DEP_2)
	v_cmp_lt_u32_e32 vcc_lo, 35, v8
	s_or_b32 s3, vcc_lo, s3
	s_wait_loadcnt_dscnt 0x0
	v_mul_f64_e32 v[12:13], v[132:133], v[128:129]
	v_mul_f64_e32 v[128:129], v[130:131], v[128:129]
	v_fma_f64 v[12:13], v[130:131], v[126:127], -v[12:13]
	s_delay_alu instid0(VALU_DEP_2) | instskip(NEXT) | instid1(VALU_DEP_2)
	v_fmac_f64_e32 v[128:129], v[132:133], v[126:127]
	v_add_f64_e32 v[4:5], v[4:5], v[12:13]
	s_delay_alu instid0(VALU_DEP_2)
	v_add_f64_e32 v[2:3], v[2:3], v[128:129]
	s_and_not1_b32 exec_lo, exec_lo, s3
	s_cbranch_execnz .LBB54_161
; %bb.162:
	s_or_b32 exec_lo, exec_lo, s3
	v_mov_b32_e32 v8, 0
	ds_load_b128 v[8:11], v8 offset:592
	s_wait_dscnt 0x0
	v_mul_f64_e32 v[126:127], v[2:3], v[10:11]
	v_mul_f64_e32 v[12:13], v[4:5], v[10:11]
	s_delay_alu instid0(VALU_DEP_2) | instskip(NEXT) | instid1(VALU_DEP_2)
	v_fma_f64 v[10:11], v[4:5], v[8:9], -v[126:127]
	v_fmac_f64_e32 v[12:13], v[2:3], v[8:9]
	scratch_store_b128 off, v[10:13], off offset:592
.LBB54_163:
	s_wait_xcnt 0x0
	s_or_b32 exec_lo, exec_lo, s2
	s_wait_storecnt 0x0
	s_barrier_signal -1
	s_barrier_wait -1
	scratch_load_b128 v[2:5], off, s29
	s_mov_b32 s2, exec_lo
	s_wait_loadcnt 0x0
	ds_store_b128 v6, v[2:5]
	s_wait_dscnt 0x0
	s_barrier_signal -1
	s_barrier_wait -1
	v_cmpx_gt_u32_e32 38, v1
	s_cbranch_execz .LBB54_167
; %bb.164:
	v_dual_mov_b32 v10, v14 :: v_dual_add_nc_u32 v8, -1, v1
	v_mov_b64_e32 v[2:3], 0
	v_mov_b64_e32 v[4:5], 0
	v_add_nc_u32_e32 v9, 0x370, v14
	s_delay_alu instid0(VALU_DEP_4)
	v_or_b32_e32 v10, 8, v10
	s_mov_b32 s3, 0
.LBB54_165:                             ; =>This Inner Loop Header: Depth=1
	scratch_load_b128 v[126:129], v10, off offset:-8
	ds_load_b128 v[130:133], v9
	s_wait_xcnt 0x0
	v_dual_add_nc_u32 v9, 16, v9 :: v_dual_add_nc_u32 v10, 16, v10
	v_add_nc_u32_e32 v8, 1, v8
	s_delay_alu instid0(VALU_DEP_1) | instskip(SKIP_4) | instid1(VALU_DEP_2)
	v_cmp_lt_u32_e32 vcc_lo, 36, v8
	s_or_b32 s3, vcc_lo, s3
	s_wait_loadcnt_dscnt 0x0
	v_mul_f64_e32 v[12:13], v[132:133], v[128:129]
	v_mul_f64_e32 v[128:129], v[130:131], v[128:129]
	v_fma_f64 v[12:13], v[130:131], v[126:127], -v[12:13]
	s_delay_alu instid0(VALU_DEP_2) | instskip(NEXT) | instid1(VALU_DEP_2)
	v_fmac_f64_e32 v[128:129], v[132:133], v[126:127]
	v_add_f64_e32 v[4:5], v[4:5], v[12:13]
	s_delay_alu instid0(VALU_DEP_2)
	v_add_f64_e32 v[2:3], v[2:3], v[128:129]
	s_and_not1_b32 exec_lo, exec_lo, s3
	s_cbranch_execnz .LBB54_165
; %bb.166:
	s_or_b32 exec_lo, exec_lo, s3
	v_mov_b32_e32 v8, 0
	ds_load_b128 v[8:11], v8 offset:608
	s_wait_dscnt 0x0
	v_mul_f64_e32 v[126:127], v[2:3], v[10:11]
	v_mul_f64_e32 v[12:13], v[4:5], v[10:11]
	s_delay_alu instid0(VALU_DEP_2) | instskip(NEXT) | instid1(VALU_DEP_2)
	v_fma_f64 v[10:11], v[4:5], v[8:9], -v[126:127]
	v_fmac_f64_e32 v[12:13], v[2:3], v[8:9]
	scratch_store_b128 off, v[10:13], off offset:608
.LBB54_167:
	s_wait_xcnt 0x0
	s_or_b32 exec_lo, exec_lo, s2
	s_wait_storecnt 0x0
	s_barrier_signal -1
	s_barrier_wait -1
	scratch_load_b128 v[2:5], off, s24
	s_mov_b32 s2, exec_lo
	s_wait_loadcnt 0x0
	ds_store_b128 v6, v[2:5]
	s_wait_dscnt 0x0
	s_barrier_signal -1
	s_barrier_wait -1
	v_cmpx_gt_u32_e32 39, v1
	s_cbranch_execz .LBB54_171
; %bb.168:
	v_dual_mov_b32 v10, v14 :: v_dual_add_nc_u32 v8, -1, v1
	v_mov_b64_e32 v[2:3], 0
	v_mov_b64_e32 v[4:5], 0
	v_add_nc_u32_e32 v9, 0x370, v14
	s_delay_alu instid0(VALU_DEP_4)
	v_or_b32_e32 v10, 8, v10
	s_mov_b32 s3, 0
.LBB54_169:                             ; =>This Inner Loop Header: Depth=1
	scratch_load_b128 v[126:129], v10, off offset:-8
	ds_load_b128 v[130:133], v9
	s_wait_xcnt 0x0
	v_dual_add_nc_u32 v9, 16, v9 :: v_dual_add_nc_u32 v10, 16, v10
	v_add_nc_u32_e32 v8, 1, v8
	s_delay_alu instid0(VALU_DEP_1) | instskip(SKIP_4) | instid1(VALU_DEP_2)
	v_cmp_lt_u32_e32 vcc_lo, 37, v8
	s_or_b32 s3, vcc_lo, s3
	s_wait_loadcnt_dscnt 0x0
	v_mul_f64_e32 v[12:13], v[132:133], v[128:129]
	v_mul_f64_e32 v[128:129], v[130:131], v[128:129]
	v_fma_f64 v[12:13], v[130:131], v[126:127], -v[12:13]
	s_delay_alu instid0(VALU_DEP_2) | instskip(NEXT) | instid1(VALU_DEP_2)
	v_fmac_f64_e32 v[128:129], v[132:133], v[126:127]
	v_add_f64_e32 v[4:5], v[4:5], v[12:13]
	s_delay_alu instid0(VALU_DEP_2)
	v_add_f64_e32 v[2:3], v[2:3], v[128:129]
	s_and_not1_b32 exec_lo, exec_lo, s3
	s_cbranch_execnz .LBB54_169
; %bb.170:
	s_or_b32 exec_lo, exec_lo, s3
	v_mov_b32_e32 v8, 0
	ds_load_b128 v[8:11], v8 offset:624
	s_wait_dscnt 0x0
	v_mul_f64_e32 v[126:127], v[2:3], v[10:11]
	v_mul_f64_e32 v[12:13], v[4:5], v[10:11]
	s_delay_alu instid0(VALU_DEP_2) | instskip(NEXT) | instid1(VALU_DEP_2)
	v_fma_f64 v[10:11], v[4:5], v[8:9], -v[126:127]
	v_fmac_f64_e32 v[12:13], v[2:3], v[8:9]
	scratch_store_b128 off, v[10:13], off offset:624
.LBB54_171:
	s_wait_xcnt 0x0
	s_or_b32 exec_lo, exec_lo, s2
	s_wait_storecnt 0x0
	s_barrier_signal -1
	s_barrier_wait -1
	scratch_load_b128 v[2:5], off, s25
	s_mov_b32 s2, exec_lo
	s_wait_loadcnt 0x0
	ds_store_b128 v6, v[2:5]
	s_wait_dscnt 0x0
	s_barrier_signal -1
	s_barrier_wait -1
	v_cmpx_gt_u32_e32 40, v1
	s_cbranch_execz .LBB54_175
; %bb.172:
	v_dual_mov_b32 v10, v14 :: v_dual_add_nc_u32 v8, -1, v1
	v_mov_b64_e32 v[2:3], 0
	v_mov_b64_e32 v[4:5], 0
	v_add_nc_u32_e32 v9, 0x370, v14
	s_delay_alu instid0(VALU_DEP_4)
	v_or_b32_e32 v10, 8, v10
	s_mov_b32 s3, 0
.LBB54_173:                             ; =>This Inner Loop Header: Depth=1
	scratch_load_b128 v[126:129], v10, off offset:-8
	ds_load_b128 v[130:133], v9
	s_wait_xcnt 0x0
	v_dual_add_nc_u32 v9, 16, v9 :: v_dual_add_nc_u32 v10, 16, v10
	v_add_nc_u32_e32 v8, 1, v8
	s_delay_alu instid0(VALU_DEP_1) | instskip(SKIP_4) | instid1(VALU_DEP_2)
	v_cmp_lt_u32_e32 vcc_lo, 38, v8
	s_or_b32 s3, vcc_lo, s3
	s_wait_loadcnt_dscnt 0x0
	v_mul_f64_e32 v[12:13], v[132:133], v[128:129]
	v_mul_f64_e32 v[128:129], v[130:131], v[128:129]
	v_fma_f64 v[12:13], v[130:131], v[126:127], -v[12:13]
	s_delay_alu instid0(VALU_DEP_2) | instskip(NEXT) | instid1(VALU_DEP_2)
	v_fmac_f64_e32 v[128:129], v[132:133], v[126:127]
	v_add_f64_e32 v[4:5], v[4:5], v[12:13]
	s_delay_alu instid0(VALU_DEP_2)
	v_add_f64_e32 v[2:3], v[2:3], v[128:129]
	s_and_not1_b32 exec_lo, exec_lo, s3
	s_cbranch_execnz .LBB54_173
; %bb.174:
	s_or_b32 exec_lo, exec_lo, s3
	v_mov_b32_e32 v8, 0
	ds_load_b128 v[8:11], v8 offset:640
	s_wait_dscnt 0x0
	v_mul_f64_e32 v[126:127], v[2:3], v[10:11]
	v_mul_f64_e32 v[12:13], v[4:5], v[10:11]
	s_delay_alu instid0(VALU_DEP_2) | instskip(NEXT) | instid1(VALU_DEP_2)
	v_fma_f64 v[10:11], v[4:5], v[8:9], -v[126:127]
	v_fmac_f64_e32 v[12:13], v[2:3], v[8:9]
	scratch_store_b128 off, v[10:13], off offset:640
.LBB54_175:
	s_wait_xcnt 0x0
	s_or_b32 exec_lo, exec_lo, s2
	s_wait_storecnt 0x0
	s_barrier_signal -1
	s_barrier_wait -1
	scratch_load_b128 v[2:5], off, s21
	s_mov_b32 s2, exec_lo
	s_wait_loadcnt 0x0
	ds_store_b128 v6, v[2:5]
	s_wait_dscnt 0x0
	s_barrier_signal -1
	s_barrier_wait -1
	v_cmpx_gt_u32_e32 41, v1
	s_cbranch_execz .LBB54_179
; %bb.176:
	v_dual_mov_b32 v10, v14 :: v_dual_add_nc_u32 v8, -1, v1
	v_mov_b64_e32 v[2:3], 0
	v_mov_b64_e32 v[4:5], 0
	v_add_nc_u32_e32 v9, 0x370, v14
	s_delay_alu instid0(VALU_DEP_4)
	v_or_b32_e32 v10, 8, v10
	s_mov_b32 s3, 0
.LBB54_177:                             ; =>This Inner Loop Header: Depth=1
	scratch_load_b128 v[126:129], v10, off offset:-8
	ds_load_b128 v[130:133], v9
	s_wait_xcnt 0x0
	v_dual_add_nc_u32 v9, 16, v9 :: v_dual_add_nc_u32 v10, 16, v10
	v_add_nc_u32_e32 v8, 1, v8
	s_delay_alu instid0(VALU_DEP_1) | instskip(SKIP_4) | instid1(VALU_DEP_2)
	v_cmp_lt_u32_e32 vcc_lo, 39, v8
	s_or_b32 s3, vcc_lo, s3
	s_wait_loadcnt_dscnt 0x0
	v_mul_f64_e32 v[12:13], v[132:133], v[128:129]
	v_mul_f64_e32 v[128:129], v[130:131], v[128:129]
	v_fma_f64 v[12:13], v[130:131], v[126:127], -v[12:13]
	s_delay_alu instid0(VALU_DEP_2) | instskip(NEXT) | instid1(VALU_DEP_2)
	v_fmac_f64_e32 v[128:129], v[132:133], v[126:127]
	v_add_f64_e32 v[4:5], v[4:5], v[12:13]
	s_delay_alu instid0(VALU_DEP_2)
	v_add_f64_e32 v[2:3], v[2:3], v[128:129]
	s_and_not1_b32 exec_lo, exec_lo, s3
	s_cbranch_execnz .LBB54_177
; %bb.178:
	s_or_b32 exec_lo, exec_lo, s3
	v_mov_b32_e32 v8, 0
	ds_load_b128 v[8:11], v8 offset:656
	s_wait_dscnt 0x0
	v_mul_f64_e32 v[126:127], v[2:3], v[10:11]
	v_mul_f64_e32 v[12:13], v[4:5], v[10:11]
	s_delay_alu instid0(VALU_DEP_2) | instskip(NEXT) | instid1(VALU_DEP_2)
	v_fma_f64 v[10:11], v[4:5], v[8:9], -v[126:127]
	v_fmac_f64_e32 v[12:13], v[2:3], v[8:9]
	scratch_store_b128 off, v[10:13], off offset:656
.LBB54_179:
	s_wait_xcnt 0x0
	s_or_b32 exec_lo, exec_lo, s2
	s_wait_storecnt 0x0
	s_barrier_signal -1
	s_barrier_wait -1
	scratch_load_b128 v[2:5], off, s22
	s_mov_b32 s2, exec_lo
	s_wait_loadcnt 0x0
	ds_store_b128 v6, v[2:5]
	s_wait_dscnt 0x0
	s_barrier_signal -1
	s_barrier_wait -1
	v_cmpx_gt_u32_e32 42, v1
	s_cbranch_execz .LBB54_183
; %bb.180:
	v_dual_mov_b32 v10, v14 :: v_dual_add_nc_u32 v8, -1, v1
	v_mov_b64_e32 v[2:3], 0
	v_mov_b64_e32 v[4:5], 0
	v_add_nc_u32_e32 v9, 0x370, v14
	s_delay_alu instid0(VALU_DEP_4)
	v_or_b32_e32 v10, 8, v10
	s_mov_b32 s3, 0
.LBB54_181:                             ; =>This Inner Loop Header: Depth=1
	scratch_load_b128 v[126:129], v10, off offset:-8
	ds_load_b128 v[130:133], v9
	s_wait_xcnt 0x0
	v_dual_add_nc_u32 v9, 16, v9 :: v_dual_add_nc_u32 v10, 16, v10
	v_add_nc_u32_e32 v8, 1, v8
	s_delay_alu instid0(VALU_DEP_1) | instskip(SKIP_4) | instid1(VALU_DEP_2)
	v_cmp_lt_u32_e32 vcc_lo, 40, v8
	s_or_b32 s3, vcc_lo, s3
	s_wait_loadcnt_dscnt 0x0
	v_mul_f64_e32 v[12:13], v[132:133], v[128:129]
	v_mul_f64_e32 v[128:129], v[130:131], v[128:129]
	v_fma_f64 v[12:13], v[130:131], v[126:127], -v[12:13]
	s_delay_alu instid0(VALU_DEP_2) | instskip(NEXT) | instid1(VALU_DEP_2)
	v_fmac_f64_e32 v[128:129], v[132:133], v[126:127]
	v_add_f64_e32 v[4:5], v[4:5], v[12:13]
	s_delay_alu instid0(VALU_DEP_2)
	v_add_f64_e32 v[2:3], v[2:3], v[128:129]
	s_and_not1_b32 exec_lo, exec_lo, s3
	s_cbranch_execnz .LBB54_181
; %bb.182:
	s_or_b32 exec_lo, exec_lo, s3
	v_mov_b32_e32 v8, 0
	ds_load_b128 v[8:11], v8 offset:672
	s_wait_dscnt 0x0
	v_mul_f64_e32 v[126:127], v[2:3], v[10:11]
	v_mul_f64_e32 v[12:13], v[4:5], v[10:11]
	s_delay_alu instid0(VALU_DEP_2) | instskip(NEXT) | instid1(VALU_DEP_2)
	v_fma_f64 v[10:11], v[4:5], v[8:9], -v[126:127]
	v_fmac_f64_e32 v[12:13], v[2:3], v[8:9]
	scratch_store_b128 off, v[10:13], off offset:672
.LBB54_183:
	s_wait_xcnt 0x0
	s_or_b32 exec_lo, exec_lo, s2
	s_wait_storecnt 0x0
	s_barrier_signal -1
	s_barrier_wait -1
	scratch_load_b128 v[2:5], off, s15
	s_mov_b32 s2, exec_lo
	s_wait_loadcnt 0x0
	ds_store_b128 v6, v[2:5]
	s_wait_dscnt 0x0
	s_barrier_signal -1
	s_barrier_wait -1
	v_cmpx_gt_u32_e32 43, v1
	s_cbranch_execz .LBB54_187
; %bb.184:
	v_dual_mov_b32 v10, v14 :: v_dual_add_nc_u32 v8, -1, v1
	v_mov_b64_e32 v[2:3], 0
	v_mov_b64_e32 v[4:5], 0
	v_add_nc_u32_e32 v9, 0x370, v14
	s_delay_alu instid0(VALU_DEP_4)
	v_or_b32_e32 v10, 8, v10
	s_mov_b32 s3, 0
.LBB54_185:                             ; =>This Inner Loop Header: Depth=1
	scratch_load_b128 v[126:129], v10, off offset:-8
	ds_load_b128 v[130:133], v9
	s_wait_xcnt 0x0
	v_dual_add_nc_u32 v9, 16, v9 :: v_dual_add_nc_u32 v10, 16, v10
	v_add_nc_u32_e32 v8, 1, v8
	s_delay_alu instid0(VALU_DEP_1) | instskip(SKIP_4) | instid1(VALU_DEP_2)
	v_cmp_lt_u32_e32 vcc_lo, 41, v8
	s_or_b32 s3, vcc_lo, s3
	s_wait_loadcnt_dscnt 0x0
	v_mul_f64_e32 v[12:13], v[132:133], v[128:129]
	v_mul_f64_e32 v[128:129], v[130:131], v[128:129]
	v_fma_f64 v[12:13], v[130:131], v[126:127], -v[12:13]
	s_delay_alu instid0(VALU_DEP_2) | instskip(NEXT) | instid1(VALU_DEP_2)
	v_fmac_f64_e32 v[128:129], v[132:133], v[126:127]
	v_add_f64_e32 v[4:5], v[4:5], v[12:13]
	s_delay_alu instid0(VALU_DEP_2)
	v_add_f64_e32 v[2:3], v[2:3], v[128:129]
	s_and_not1_b32 exec_lo, exec_lo, s3
	s_cbranch_execnz .LBB54_185
; %bb.186:
	s_or_b32 exec_lo, exec_lo, s3
	v_mov_b32_e32 v8, 0
	ds_load_b128 v[8:11], v8 offset:688
	s_wait_dscnt 0x0
	v_mul_f64_e32 v[126:127], v[2:3], v[10:11]
	v_mul_f64_e32 v[12:13], v[4:5], v[10:11]
	s_delay_alu instid0(VALU_DEP_2) | instskip(NEXT) | instid1(VALU_DEP_2)
	v_fma_f64 v[10:11], v[4:5], v[8:9], -v[126:127]
	v_fmac_f64_e32 v[12:13], v[2:3], v[8:9]
	scratch_store_b128 off, v[10:13], off offset:688
.LBB54_187:
	s_wait_xcnt 0x0
	s_or_b32 exec_lo, exec_lo, s2
	s_wait_storecnt 0x0
	s_barrier_signal -1
	s_barrier_wait -1
	scratch_load_b128 v[2:5], off, s20
	s_mov_b32 s2, exec_lo
	s_wait_loadcnt 0x0
	ds_store_b128 v6, v[2:5]
	s_wait_dscnt 0x0
	s_barrier_signal -1
	s_barrier_wait -1
	v_cmpx_gt_u32_e32 44, v1
	s_cbranch_execz .LBB54_191
; %bb.188:
	v_dual_mov_b32 v10, v14 :: v_dual_add_nc_u32 v8, -1, v1
	v_mov_b64_e32 v[2:3], 0
	v_mov_b64_e32 v[4:5], 0
	v_add_nc_u32_e32 v9, 0x370, v14
	s_delay_alu instid0(VALU_DEP_4)
	v_or_b32_e32 v10, 8, v10
	s_mov_b32 s3, 0
.LBB54_189:                             ; =>This Inner Loop Header: Depth=1
	scratch_load_b128 v[126:129], v10, off offset:-8
	ds_load_b128 v[130:133], v9
	s_wait_xcnt 0x0
	v_dual_add_nc_u32 v9, 16, v9 :: v_dual_add_nc_u32 v10, 16, v10
	v_add_nc_u32_e32 v8, 1, v8
	s_delay_alu instid0(VALU_DEP_1) | instskip(SKIP_4) | instid1(VALU_DEP_2)
	v_cmp_lt_u32_e32 vcc_lo, 42, v8
	s_or_b32 s3, vcc_lo, s3
	s_wait_loadcnt_dscnt 0x0
	v_mul_f64_e32 v[12:13], v[132:133], v[128:129]
	v_mul_f64_e32 v[128:129], v[130:131], v[128:129]
	v_fma_f64 v[12:13], v[130:131], v[126:127], -v[12:13]
	s_delay_alu instid0(VALU_DEP_2) | instskip(NEXT) | instid1(VALU_DEP_2)
	v_fmac_f64_e32 v[128:129], v[132:133], v[126:127]
	v_add_f64_e32 v[4:5], v[4:5], v[12:13]
	s_delay_alu instid0(VALU_DEP_2)
	v_add_f64_e32 v[2:3], v[2:3], v[128:129]
	s_and_not1_b32 exec_lo, exec_lo, s3
	s_cbranch_execnz .LBB54_189
; %bb.190:
	s_or_b32 exec_lo, exec_lo, s3
	v_mov_b32_e32 v8, 0
	ds_load_b128 v[8:11], v8 offset:704
	s_wait_dscnt 0x0
	v_mul_f64_e32 v[126:127], v[2:3], v[10:11]
	v_mul_f64_e32 v[12:13], v[4:5], v[10:11]
	s_delay_alu instid0(VALU_DEP_2) | instskip(NEXT) | instid1(VALU_DEP_2)
	v_fma_f64 v[10:11], v[4:5], v[8:9], -v[126:127]
	v_fmac_f64_e32 v[12:13], v[2:3], v[8:9]
	scratch_store_b128 off, v[10:13], off offset:704
.LBB54_191:
	s_wait_xcnt 0x0
	s_or_b32 exec_lo, exec_lo, s2
	s_wait_storecnt 0x0
	s_barrier_signal -1
	s_barrier_wait -1
	scratch_load_b128 v[2:5], off, s13
	s_mov_b32 s2, exec_lo
	s_wait_loadcnt 0x0
	ds_store_b128 v6, v[2:5]
	s_wait_dscnt 0x0
	s_barrier_signal -1
	s_barrier_wait -1
	v_cmpx_gt_u32_e32 45, v1
	s_cbranch_execz .LBB54_195
; %bb.192:
	v_dual_mov_b32 v10, v14 :: v_dual_add_nc_u32 v8, -1, v1
	v_mov_b64_e32 v[2:3], 0
	v_mov_b64_e32 v[4:5], 0
	v_add_nc_u32_e32 v9, 0x370, v14
	s_delay_alu instid0(VALU_DEP_4)
	v_or_b32_e32 v10, 8, v10
	s_mov_b32 s3, 0
.LBB54_193:                             ; =>This Inner Loop Header: Depth=1
	scratch_load_b128 v[126:129], v10, off offset:-8
	ds_load_b128 v[130:133], v9
	s_wait_xcnt 0x0
	v_dual_add_nc_u32 v9, 16, v9 :: v_dual_add_nc_u32 v10, 16, v10
	v_add_nc_u32_e32 v8, 1, v8
	s_delay_alu instid0(VALU_DEP_1) | instskip(SKIP_4) | instid1(VALU_DEP_2)
	v_cmp_lt_u32_e32 vcc_lo, 43, v8
	s_or_b32 s3, vcc_lo, s3
	s_wait_loadcnt_dscnt 0x0
	v_mul_f64_e32 v[12:13], v[132:133], v[128:129]
	v_mul_f64_e32 v[128:129], v[130:131], v[128:129]
	v_fma_f64 v[12:13], v[130:131], v[126:127], -v[12:13]
	s_delay_alu instid0(VALU_DEP_2) | instskip(NEXT) | instid1(VALU_DEP_2)
	v_fmac_f64_e32 v[128:129], v[132:133], v[126:127]
	v_add_f64_e32 v[4:5], v[4:5], v[12:13]
	s_delay_alu instid0(VALU_DEP_2)
	v_add_f64_e32 v[2:3], v[2:3], v[128:129]
	s_and_not1_b32 exec_lo, exec_lo, s3
	s_cbranch_execnz .LBB54_193
; %bb.194:
	s_or_b32 exec_lo, exec_lo, s3
	v_mov_b32_e32 v8, 0
	ds_load_b128 v[8:11], v8 offset:720
	s_wait_dscnt 0x0
	v_mul_f64_e32 v[126:127], v[2:3], v[10:11]
	v_mul_f64_e32 v[12:13], v[4:5], v[10:11]
	s_delay_alu instid0(VALU_DEP_2) | instskip(NEXT) | instid1(VALU_DEP_2)
	v_fma_f64 v[10:11], v[4:5], v[8:9], -v[126:127]
	v_fmac_f64_e32 v[12:13], v[2:3], v[8:9]
	scratch_store_b128 off, v[10:13], off offset:720
.LBB54_195:
	s_wait_xcnt 0x0
	s_or_b32 exec_lo, exec_lo, s2
	s_wait_storecnt 0x0
	s_barrier_signal -1
	s_barrier_wait -1
	scratch_load_b128 v[2:5], off, s14
	s_mov_b32 s2, exec_lo
	s_wait_loadcnt 0x0
	ds_store_b128 v6, v[2:5]
	s_wait_dscnt 0x0
	s_barrier_signal -1
	s_barrier_wait -1
	v_cmpx_gt_u32_e32 46, v1
	s_cbranch_execz .LBB54_199
; %bb.196:
	v_dual_mov_b32 v10, v14 :: v_dual_add_nc_u32 v8, -1, v1
	v_mov_b64_e32 v[2:3], 0
	v_mov_b64_e32 v[4:5], 0
	v_add_nc_u32_e32 v9, 0x370, v14
	s_delay_alu instid0(VALU_DEP_4)
	v_or_b32_e32 v10, 8, v10
	s_mov_b32 s3, 0
.LBB54_197:                             ; =>This Inner Loop Header: Depth=1
	scratch_load_b128 v[126:129], v10, off offset:-8
	ds_load_b128 v[130:133], v9
	s_wait_xcnt 0x0
	v_dual_add_nc_u32 v9, 16, v9 :: v_dual_add_nc_u32 v10, 16, v10
	v_add_nc_u32_e32 v8, 1, v8
	s_delay_alu instid0(VALU_DEP_1) | instskip(SKIP_4) | instid1(VALU_DEP_2)
	v_cmp_lt_u32_e32 vcc_lo, 44, v8
	s_or_b32 s3, vcc_lo, s3
	s_wait_loadcnt_dscnt 0x0
	v_mul_f64_e32 v[12:13], v[132:133], v[128:129]
	v_mul_f64_e32 v[128:129], v[130:131], v[128:129]
	v_fma_f64 v[12:13], v[130:131], v[126:127], -v[12:13]
	s_delay_alu instid0(VALU_DEP_2) | instskip(NEXT) | instid1(VALU_DEP_2)
	v_fmac_f64_e32 v[128:129], v[132:133], v[126:127]
	v_add_f64_e32 v[4:5], v[4:5], v[12:13]
	s_delay_alu instid0(VALU_DEP_2)
	v_add_f64_e32 v[2:3], v[2:3], v[128:129]
	s_and_not1_b32 exec_lo, exec_lo, s3
	s_cbranch_execnz .LBB54_197
; %bb.198:
	s_or_b32 exec_lo, exec_lo, s3
	v_mov_b32_e32 v8, 0
	ds_load_b128 v[8:11], v8 offset:736
	s_wait_dscnt 0x0
	v_mul_f64_e32 v[126:127], v[2:3], v[10:11]
	v_mul_f64_e32 v[12:13], v[4:5], v[10:11]
	s_delay_alu instid0(VALU_DEP_2) | instskip(NEXT) | instid1(VALU_DEP_2)
	v_fma_f64 v[10:11], v[4:5], v[8:9], -v[126:127]
	v_fmac_f64_e32 v[12:13], v[2:3], v[8:9]
	scratch_store_b128 off, v[10:13], off offset:736
.LBB54_199:
	s_wait_xcnt 0x0
	s_or_b32 exec_lo, exec_lo, s2
	s_wait_storecnt 0x0
	s_barrier_signal -1
	s_barrier_wait -1
	scratch_load_b128 v[2:5], off, s11
	s_mov_b32 s2, exec_lo
	s_wait_loadcnt 0x0
	ds_store_b128 v6, v[2:5]
	s_wait_dscnt 0x0
	s_barrier_signal -1
	s_barrier_wait -1
	v_cmpx_gt_u32_e32 47, v1
	s_cbranch_execz .LBB54_203
; %bb.200:
	v_dual_mov_b32 v10, v14 :: v_dual_add_nc_u32 v8, -1, v1
	v_mov_b64_e32 v[2:3], 0
	v_mov_b64_e32 v[4:5], 0
	v_add_nc_u32_e32 v9, 0x370, v14
	s_delay_alu instid0(VALU_DEP_4)
	v_or_b32_e32 v10, 8, v10
	s_mov_b32 s3, 0
.LBB54_201:                             ; =>This Inner Loop Header: Depth=1
	scratch_load_b128 v[126:129], v10, off offset:-8
	ds_load_b128 v[130:133], v9
	s_wait_xcnt 0x0
	v_dual_add_nc_u32 v9, 16, v9 :: v_dual_add_nc_u32 v10, 16, v10
	v_add_nc_u32_e32 v8, 1, v8
	s_delay_alu instid0(VALU_DEP_1) | instskip(SKIP_4) | instid1(VALU_DEP_2)
	v_cmp_lt_u32_e32 vcc_lo, 45, v8
	s_or_b32 s3, vcc_lo, s3
	s_wait_loadcnt_dscnt 0x0
	v_mul_f64_e32 v[12:13], v[132:133], v[128:129]
	v_mul_f64_e32 v[128:129], v[130:131], v[128:129]
	v_fma_f64 v[12:13], v[130:131], v[126:127], -v[12:13]
	s_delay_alu instid0(VALU_DEP_2) | instskip(NEXT) | instid1(VALU_DEP_2)
	v_fmac_f64_e32 v[128:129], v[132:133], v[126:127]
	v_add_f64_e32 v[4:5], v[4:5], v[12:13]
	s_delay_alu instid0(VALU_DEP_2)
	v_add_f64_e32 v[2:3], v[2:3], v[128:129]
	s_and_not1_b32 exec_lo, exec_lo, s3
	s_cbranch_execnz .LBB54_201
; %bb.202:
	s_or_b32 exec_lo, exec_lo, s3
	v_mov_b32_e32 v8, 0
	ds_load_b128 v[8:11], v8 offset:752
	s_wait_dscnt 0x0
	v_mul_f64_e32 v[126:127], v[2:3], v[10:11]
	v_mul_f64_e32 v[12:13], v[4:5], v[10:11]
	s_delay_alu instid0(VALU_DEP_2) | instskip(NEXT) | instid1(VALU_DEP_2)
	v_fma_f64 v[10:11], v[4:5], v[8:9], -v[126:127]
	v_fmac_f64_e32 v[12:13], v[2:3], v[8:9]
	scratch_store_b128 off, v[10:13], off offset:752
.LBB54_203:
	s_wait_xcnt 0x0
	s_or_b32 exec_lo, exec_lo, s2
	s_wait_storecnt 0x0
	s_barrier_signal -1
	s_barrier_wait -1
	scratch_load_b128 v[2:5], off, s12
	s_mov_b32 s2, exec_lo
	s_wait_loadcnt 0x0
	ds_store_b128 v6, v[2:5]
	s_wait_dscnt 0x0
	s_barrier_signal -1
	s_barrier_wait -1
	v_cmpx_gt_u32_e32 48, v1
	s_cbranch_execz .LBB54_207
; %bb.204:
	v_dual_mov_b32 v10, v14 :: v_dual_add_nc_u32 v8, -1, v1
	v_mov_b64_e32 v[2:3], 0
	v_mov_b64_e32 v[4:5], 0
	v_add_nc_u32_e32 v9, 0x370, v14
	s_delay_alu instid0(VALU_DEP_4)
	v_or_b32_e32 v10, 8, v10
	s_mov_b32 s3, 0
.LBB54_205:                             ; =>This Inner Loop Header: Depth=1
	scratch_load_b128 v[126:129], v10, off offset:-8
	ds_load_b128 v[130:133], v9
	s_wait_xcnt 0x0
	v_dual_add_nc_u32 v9, 16, v9 :: v_dual_add_nc_u32 v10, 16, v10
	v_add_nc_u32_e32 v8, 1, v8
	s_delay_alu instid0(VALU_DEP_1) | instskip(SKIP_4) | instid1(VALU_DEP_2)
	v_cmp_lt_u32_e32 vcc_lo, 46, v8
	s_or_b32 s3, vcc_lo, s3
	s_wait_loadcnt_dscnt 0x0
	v_mul_f64_e32 v[12:13], v[132:133], v[128:129]
	v_mul_f64_e32 v[128:129], v[130:131], v[128:129]
	v_fma_f64 v[12:13], v[130:131], v[126:127], -v[12:13]
	s_delay_alu instid0(VALU_DEP_2) | instskip(NEXT) | instid1(VALU_DEP_2)
	v_fmac_f64_e32 v[128:129], v[132:133], v[126:127]
	v_add_f64_e32 v[4:5], v[4:5], v[12:13]
	s_delay_alu instid0(VALU_DEP_2)
	v_add_f64_e32 v[2:3], v[2:3], v[128:129]
	s_and_not1_b32 exec_lo, exec_lo, s3
	s_cbranch_execnz .LBB54_205
; %bb.206:
	s_or_b32 exec_lo, exec_lo, s3
	v_mov_b32_e32 v8, 0
	ds_load_b128 v[8:11], v8 offset:768
	s_wait_dscnt 0x0
	v_mul_f64_e32 v[126:127], v[2:3], v[10:11]
	v_mul_f64_e32 v[12:13], v[4:5], v[10:11]
	s_delay_alu instid0(VALU_DEP_2) | instskip(NEXT) | instid1(VALU_DEP_2)
	v_fma_f64 v[10:11], v[4:5], v[8:9], -v[126:127]
	v_fmac_f64_e32 v[12:13], v[2:3], v[8:9]
	scratch_store_b128 off, v[10:13], off offset:768
.LBB54_207:
	s_wait_xcnt 0x0
	s_or_b32 exec_lo, exec_lo, s2
	s_wait_storecnt 0x0
	s_barrier_signal -1
	s_barrier_wait -1
	scratch_load_b128 v[2:5], off, s9
	s_mov_b32 s2, exec_lo
	s_wait_loadcnt 0x0
	ds_store_b128 v6, v[2:5]
	s_wait_dscnt 0x0
	s_barrier_signal -1
	s_barrier_wait -1
	v_cmpx_gt_u32_e32 49, v1
	s_cbranch_execz .LBB54_211
; %bb.208:
	v_dual_mov_b32 v10, v14 :: v_dual_add_nc_u32 v8, -1, v1
	v_mov_b64_e32 v[2:3], 0
	v_mov_b64_e32 v[4:5], 0
	v_add_nc_u32_e32 v9, 0x370, v14
	s_delay_alu instid0(VALU_DEP_4)
	v_or_b32_e32 v10, 8, v10
	s_mov_b32 s3, 0
.LBB54_209:                             ; =>This Inner Loop Header: Depth=1
	scratch_load_b128 v[126:129], v10, off offset:-8
	ds_load_b128 v[130:133], v9
	s_wait_xcnt 0x0
	v_dual_add_nc_u32 v9, 16, v9 :: v_dual_add_nc_u32 v10, 16, v10
	v_add_nc_u32_e32 v8, 1, v8
	s_delay_alu instid0(VALU_DEP_1) | instskip(SKIP_4) | instid1(VALU_DEP_2)
	v_cmp_lt_u32_e32 vcc_lo, 47, v8
	s_or_b32 s3, vcc_lo, s3
	s_wait_loadcnt_dscnt 0x0
	v_mul_f64_e32 v[12:13], v[132:133], v[128:129]
	v_mul_f64_e32 v[128:129], v[130:131], v[128:129]
	v_fma_f64 v[12:13], v[130:131], v[126:127], -v[12:13]
	s_delay_alu instid0(VALU_DEP_2) | instskip(NEXT) | instid1(VALU_DEP_2)
	v_fmac_f64_e32 v[128:129], v[132:133], v[126:127]
	v_add_f64_e32 v[4:5], v[4:5], v[12:13]
	s_delay_alu instid0(VALU_DEP_2)
	v_add_f64_e32 v[2:3], v[2:3], v[128:129]
	s_and_not1_b32 exec_lo, exec_lo, s3
	s_cbranch_execnz .LBB54_209
; %bb.210:
	s_or_b32 exec_lo, exec_lo, s3
	v_mov_b32_e32 v8, 0
	ds_load_b128 v[8:11], v8 offset:784
	s_wait_dscnt 0x0
	v_mul_f64_e32 v[126:127], v[2:3], v[10:11]
	v_mul_f64_e32 v[12:13], v[4:5], v[10:11]
	s_delay_alu instid0(VALU_DEP_2) | instskip(NEXT) | instid1(VALU_DEP_2)
	v_fma_f64 v[10:11], v[4:5], v[8:9], -v[126:127]
	v_fmac_f64_e32 v[12:13], v[2:3], v[8:9]
	scratch_store_b128 off, v[10:13], off offset:784
.LBB54_211:
	s_wait_xcnt 0x0
	s_or_b32 exec_lo, exec_lo, s2
	s_wait_storecnt 0x0
	s_barrier_signal -1
	s_barrier_wait -1
	scratch_load_b128 v[2:5], off, s10
	s_mov_b32 s2, exec_lo
	s_wait_loadcnt 0x0
	ds_store_b128 v6, v[2:5]
	s_wait_dscnt 0x0
	s_barrier_signal -1
	s_barrier_wait -1
	v_cmpx_gt_u32_e32 50, v1
	s_cbranch_execz .LBB54_215
; %bb.212:
	v_dual_mov_b32 v10, v14 :: v_dual_add_nc_u32 v8, -1, v1
	v_mov_b64_e32 v[2:3], 0
	v_mov_b64_e32 v[4:5], 0
	v_add_nc_u32_e32 v9, 0x370, v14
	s_delay_alu instid0(VALU_DEP_4)
	v_or_b32_e32 v10, 8, v10
	s_mov_b32 s3, 0
.LBB54_213:                             ; =>This Inner Loop Header: Depth=1
	scratch_load_b128 v[126:129], v10, off offset:-8
	ds_load_b128 v[130:133], v9
	s_wait_xcnt 0x0
	v_dual_add_nc_u32 v9, 16, v9 :: v_dual_add_nc_u32 v10, 16, v10
	v_add_nc_u32_e32 v8, 1, v8
	s_delay_alu instid0(VALU_DEP_1) | instskip(SKIP_4) | instid1(VALU_DEP_2)
	v_cmp_lt_u32_e32 vcc_lo, 48, v8
	s_or_b32 s3, vcc_lo, s3
	s_wait_loadcnt_dscnt 0x0
	v_mul_f64_e32 v[12:13], v[132:133], v[128:129]
	v_mul_f64_e32 v[128:129], v[130:131], v[128:129]
	v_fma_f64 v[12:13], v[130:131], v[126:127], -v[12:13]
	s_delay_alu instid0(VALU_DEP_2) | instskip(NEXT) | instid1(VALU_DEP_2)
	v_fmac_f64_e32 v[128:129], v[132:133], v[126:127]
	v_add_f64_e32 v[4:5], v[4:5], v[12:13]
	s_delay_alu instid0(VALU_DEP_2)
	v_add_f64_e32 v[2:3], v[2:3], v[128:129]
	s_and_not1_b32 exec_lo, exec_lo, s3
	s_cbranch_execnz .LBB54_213
; %bb.214:
	s_or_b32 exec_lo, exec_lo, s3
	v_mov_b32_e32 v8, 0
	ds_load_b128 v[8:11], v8 offset:800
	s_wait_dscnt 0x0
	v_mul_f64_e32 v[126:127], v[2:3], v[10:11]
	v_mul_f64_e32 v[12:13], v[4:5], v[10:11]
	s_delay_alu instid0(VALU_DEP_2) | instskip(NEXT) | instid1(VALU_DEP_2)
	v_fma_f64 v[10:11], v[4:5], v[8:9], -v[126:127]
	v_fmac_f64_e32 v[12:13], v[2:3], v[8:9]
	scratch_store_b128 off, v[10:13], off offset:800
.LBB54_215:
	s_wait_xcnt 0x0
	s_or_b32 exec_lo, exec_lo, s2
	s_wait_storecnt 0x0
	s_barrier_signal -1
	s_barrier_wait -1
	scratch_load_b128 v[2:5], off, s8
	s_mov_b32 s2, exec_lo
	s_wait_loadcnt 0x0
	ds_store_b128 v6, v[2:5]
	s_wait_dscnt 0x0
	s_barrier_signal -1
	s_barrier_wait -1
	v_cmpx_gt_u32_e32 51, v1
	s_cbranch_execz .LBB54_219
; %bb.216:
	v_dual_mov_b32 v10, v14 :: v_dual_add_nc_u32 v8, -1, v1
	v_mov_b64_e32 v[2:3], 0
	v_mov_b64_e32 v[4:5], 0
	v_add_nc_u32_e32 v9, 0x370, v14
	s_delay_alu instid0(VALU_DEP_4)
	v_or_b32_e32 v10, 8, v10
	s_mov_b32 s3, 0
.LBB54_217:                             ; =>This Inner Loop Header: Depth=1
	scratch_load_b128 v[126:129], v10, off offset:-8
	ds_load_b128 v[130:133], v9
	s_wait_xcnt 0x0
	v_dual_add_nc_u32 v9, 16, v9 :: v_dual_add_nc_u32 v10, 16, v10
	v_add_nc_u32_e32 v8, 1, v8
	s_delay_alu instid0(VALU_DEP_1) | instskip(SKIP_4) | instid1(VALU_DEP_2)
	v_cmp_lt_u32_e32 vcc_lo, 49, v8
	s_or_b32 s3, vcc_lo, s3
	s_wait_loadcnt_dscnt 0x0
	v_mul_f64_e32 v[12:13], v[132:133], v[128:129]
	v_mul_f64_e32 v[128:129], v[130:131], v[128:129]
	v_fma_f64 v[12:13], v[130:131], v[126:127], -v[12:13]
	s_delay_alu instid0(VALU_DEP_2) | instskip(NEXT) | instid1(VALU_DEP_2)
	v_fmac_f64_e32 v[128:129], v[132:133], v[126:127]
	v_add_f64_e32 v[4:5], v[4:5], v[12:13]
	s_delay_alu instid0(VALU_DEP_2)
	v_add_f64_e32 v[2:3], v[2:3], v[128:129]
	s_and_not1_b32 exec_lo, exec_lo, s3
	s_cbranch_execnz .LBB54_217
; %bb.218:
	s_or_b32 exec_lo, exec_lo, s3
	v_mov_b32_e32 v8, 0
	ds_load_b128 v[8:11], v8 offset:816
	s_wait_dscnt 0x0
	v_mul_f64_e32 v[126:127], v[2:3], v[10:11]
	v_mul_f64_e32 v[12:13], v[4:5], v[10:11]
	s_delay_alu instid0(VALU_DEP_2) | instskip(NEXT) | instid1(VALU_DEP_2)
	v_fma_f64 v[10:11], v[4:5], v[8:9], -v[126:127]
	v_fmac_f64_e32 v[12:13], v[2:3], v[8:9]
	scratch_store_b128 off, v[10:13], off offset:816
.LBB54_219:
	s_wait_xcnt 0x0
	s_or_b32 exec_lo, exec_lo, s2
	s_wait_storecnt 0x0
	s_barrier_signal -1
	s_barrier_wait -1
	scratch_load_b128 v[2:5], off, s31
	s_mov_b32 s2, exec_lo
	s_wait_loadcnt 0x0
	ds_store_b128 v6, v[2:5]
	s_wait_dscnt 0x0
	s_barrier_signal -1
	s_barrier_wait -1
	v_cmpx_gt_u32_e32 52, v1
	s_cbranch_execz .LBB54_223
; %bb.220:
	v_dual_mov_b32 v10, v14 :: v_dual_add_nc_u32 v8, -1, v1
	v_mov_b64_e32 v[2:3], 0
	v_mov_b64_e32 v[4:5], 0
	v_add_nc_u32_e32 v9, 0x370, v14
	s_delay_alu instid0(VALU_DEP_4)
	v_or_b32_e32 v10, 8, v10
	s_mov_b32 s3, 0
.LBB54_221:                             ; =>This Inner Loop Header: Depth=1
	scratch_load_b128 v[126:129], v10, off offset:-8
	ds_load_b128 v[130:133], v9
	s_wait_xcnt 0x0
	v_dual_add_nc_u32 v9, 16, v9 :: v_dual_add_nc_u32 v10, 16, v10
	v_add_nc_u32_e32 v8, 1, v8
	s_delay_alu instid0(VALU_DEP_1) | instskip(SKIP_4) | instid1(VALU_DEP_2)
	v_cmp_lt_u32_e32 vcc_lo, 50, v8
	s_or_b32 s3, vcc_lo, s3
	s_wait_loadcnt_dscnt 0x0
	v_mul_f64_e32 v[12:13], v[132:133], v[128:129]
	v_mul_f64_e32 v[128:129], v[130:131], v[128:129]
	v_fma_f64 v[12:13], v[130:131], v[126:127], -v[12:13]
	s_delay_alu instid0(VALU_DEP_2) | instskip(NEXT) | instid1(VALU_DEP_2)
	v_fmac_f64_e32 v[128:129], v[132:133], v[126:127]
	v_add_f64_e32 v[4:5], v[4:5], v[12:13]
	s_delay_alu instid0(VALU_DEP_2)
	v_add_f64_e32 v[2:3], v[2:3], v[128:129]
	s_and_not1_b32 exec_lo, exec_lo, s3
	s_cbranch_execnz .LBB54_221
; %bb.222:
	s_or_b32 exec_lo, exec_lo, s3
	v_mov_b32_e32 v8, 0
	ds_load_b128 v[8:11], v8 offset:832
	s_wait_dscnt 0x0
	v_mul_f64_e32 v[126:127], v[2:3], v[10:11]
	v_mul_f64_e32 v[12:13], v[4:5], v[10:11]
	s_delay_alu instid0(VALU_DEP_2) | instskip(NEXT) | instid1(VALU_DEP_2)
	v_fma_f64 v[10:11], v[4:5], v[8:9], -v[126:127]
	v_fmac_f64_e32 v[12:13], v[2:3], v[8:9]
	scratch_store_b128 off, v[10:13], off offset:832
.LBB54_223:
	s_wait_xcnt 0x0
	s_or_b32 exec_lo, exec_lo, s2
	s_wait_storecnt 0x0
	s_barrier_signal -1
	s_barrier_wait -1
	scratch_load_b128 v[2:5], off, s23
	s_mov_b32 s2, exec_lo
	s_wait_loadcnt 0x0
	ds_store_b128 v6, v[2:5]
	s_wait_dscnt 0x0
	s_barrier_signal -1
	s_barrier_wait -1
	v_cmpx_gt_u32_e32 53, v1
	s_cbranch_execz .LBB54_227
; %bb.224:
	v_dual_mov_b32 v10, v14 :: v_dual_add_nc_u32 v8, -1, v1
	v_mov_b64_e32 v[2:3], 0
	v_mov_b64_e32 v[4:5], 0
	v_add_nc_u32_e32 v9, 0x370, v14
	s_delay_alu instid0(VALU_DEP_4)
	v_or_b32_e32 v10, 8, v10
	s_mov_b32 s3, 0
.LBB54_225:                             ; =>This Inner Loop Header: Depth=1
	scratch_load_b128 v[126:129], v10, off offset:-8
	ds_load_b128 v[130:133], v9
	s_wait_xcnt 0x0
	v_dual_add_nc_u32 v9, 16, v9 :: v_dual_add_nc_u32 v10, 16, v10
	v_add_nc_u32_e32 v8, 1, v8
	s_delay_alu instid0(VALU_DEP_1) | instskip(SKIP_4) | instid1(VALU_DEP_2)
	v_cmp_lt_u32_e32 vcc_lo, 51, v8
	s_or_b32 s3, vcc_lo, s3
	s_wait_loadcnt_dscnt 0x0
	v_mul_f64_e32 v[12:13], v[132:133], v[128:129]
	v_mul_f64_e32 v[128:129], v[130:131], v[128:129]
	v_fma_f64 v[12:13], v[130:131], v[126:127], -v[12:13]
	s_delay_alu instid0(VALU_DEP_2) | instskip(NEXT) | instid1(VALU_DEP_2)
	v_fmac_f64_e32 v[128:129], v[132:133], v[126:127]
	v_add_f64_e32 v[4:5], v[4:5], v[12:13]
	s_delay_alu instid0(VALU_DEP_2)
	v_add_f64_e32 v[2:3], v[2:3], v[128:129]
	s_and_not1_b32 exec_lo, exec_lo, s3
	s_cbranch_execnz .LBB54_225
; %bb.226:
	s_or_b32 exec_lo, exec_lo, s3
	v_mov_b32_e32 v8, 0
	ds_load_b128 v[8:11], v8 offset:848
	s_wait_dscnt 0x0
	v_mul_f64_e32 v[126:127], v[2:3], v[10:11]
	v_mul_f64_e32 v[12:13], v[4:5], v[10:11]
	s_delay_alu instid0(VALU_DEP_2) | instskip(NEXT) | instid1(VALU_DEP_2)
	v_fma_f64 v[10:11], v[4:5], v[8:9], -v[126:127]
	v_fmac_f64_e32 v[12:13], v[2:3], v[8:9]
	scratch_store_b128 off, v[10:13], off offset:848
.LBB54_227:
	s_wait_xcnt 0x0
	s_or_b32 exec_lo, exec_lo, s2
	s_wait_storecnt 0x0
	s_barrier_signal -1
	s_barrier_wait -1
	scratch_load_b128 v[2:5], off, s26
	s_mov_b32 s2, exec_lo
	s_wait_loadcnt 0x0
	ds_store_b128 v6, v[2:5]
	s_wait_dscnt 0x0
	s_barrier_signal -1
	s_barrier_wait -1
	v_cmpx_ne_u32_e32 54, v1
	s_cbranch_execz .LBB54_231
; %bb.228:
	v_mov_b32_e32 v8, v14
	v_mov_b64_e32 v[2:3], 0
	v_mov_b64_e32 v[4:5], 0
	s_mov_b32 s3, 0
	s_delay_alu instid0(VALU_DEP_3)
	v_or_b32_e32 v8, 8, v8
.LBB54_229:                             ; =>This Inner Loop Header: Depth=1
	scratch_load_b128 v[10:13], v8, off offset:-8
	ds_load_b128 v[126:129], v6
	v_dual_add_nc_u32 v7, 1, v7 :: v_dual_add_nc_u32 v6, 16, v6
	s_wait_xcnt 0x0
	v_add_nc_u32_e32 v8, 16, v8
	s_delay_alu instid0(VALU_DEP_2) | instskip(SKIP_4) | instid1(VALU_DEP_2)
	v_cmp_lt_u32_e32 vcc_lo, 52, v7
	s_or_b32 s3, vcc_lo, s3
	s_wait_loadcnt_dscnt 0x0
	v_mul_f64_e32 v[14:15], v[128:129], v[12:13]
	v_mul_f64_e32 v[12:13], v[126:127], v[12:13]
	v_fma_f64 v[14:15], v[126:127], v[10:11], -v[14:15]
	s_delay_alu instid0(VALU_DEP_2) | instskip(NEXT) | instid1(VALU_DEP_2)
	v_fmac_f64_e32 v[12:13], v[128:129], v[10:11]
	v_add_f64_e32 v[4:5], v[4:5], v[14:15]
	s_delay_alu instid0(VALU_DEP_2)
	v_add_f64_e32 v[2:3], v[2:3], v[12:13]
	s_and_not1_b32 exec_lo, exec_lo, s3
	s_cbranch_execnz .LBB54_229
; %bb.230:
	s_or_b32 exec_lo, exec_lo, s3
	v_mov_b32_e32 v6, 0
	ds_load_b128 v[6:9], v6 offset:864
	s_wait_dscnt 0x0
	v_mul_f64_e32 v[12:13], v[2:3], v[8:9]
	v_mul_f64_e32 v[10:11], v[4:5], v[8:9]
	s_delay_alu instid0(VALU_DEP_2) | instskip(NEXT) | instid1(VALU_DEP_2)
	v_fma_f64 v[8:9], v[4:5], v[6:7], -v[12:13]
	v_fmac_f64_e32 v[10:11], v[2:3], v[6:7]
	scratch_store_b128 off, v[8:11], off offset:864
.LBB54_231:
	s_wait_xcnt 0x0
	s_or_b32 exec_lo, exec_lo, s2
	s_mov_b32 s3, -1
	s_wait_storecnt 0x0
	s_barrier_signal -1
	s_barrier_wait -1
.LBB54_232:
	s_and_b32 vcc_lo, exec_lo, s3
	s_cbranch_vccz .LBB54_234
; %bb.233:
	s_wait_xcnt 0x10
	v_mov_b32_e32 v2, 0
	s_lshl_b64 s[2:3], s[18:19], 2
	s_delay_alu instid0(SALU_CYCLE_1)
	s_add_nc_u64 s[2:3], s[6:7], s[2:3]
	global_load_b32 v2, v2, s[2:3]
	s_wait_loadcnt 0x0
	v_cmp_ne_u32_e32 vcc_lo, 0, v2
	s_cbranch_vccz .LBB54_235
.LBB54_234:
	s_sendmsg sendmsg(MSG_DEALLOC_VGPRS)
	s_endpgm
.LBB54_235:
	s_wait_xcnt 0xd
	v_lshl_add_u32 v126, v1, 4, 0x370
	s_wait_xcnt 0x0
	s_mov_b32 s2, exec_lo
	v_cmpx_eq_u32_e32 54, v1
	s_cbranch_execz .LBB54_237
; %bb.236:
	scratch_load_b128 v[2:5], off, s23
	v_mov_b32_e32 v6, 0
	s_delay_alu instid0(VALU_DEP_1)
	v_dual_mov_b32 v7, v6 :: v_dual_mov_b32 v8, v6
	v_mov_b32_e32 v9, v6
	scratch_store_b128 off, v[6:9], off offset:848
	s_wait_loadcnt 0x0
	ds_store_b128 v126, v[2:5]
.LBB54_237:
	s_wait_xcnt 0x0
	s_or_b32 exec_lo, exec_lo, s2
	s_wait_storecnt_dscnt 0x0
	s_barrier_signal -1
	s_barrier_wait -1
	s_clause 0x1
	scratch_load_b128 v[4:7], off, off offset:864
	scratch_load_b128 v[8:11], off, off offset:848
	v_mov_b32_e32 v2, 0
	s_mov_b32 s2, exec_lo
	ds_load_b128 v[12:15], v2 offset:1744
	s_wait_loadcnt_dscnt 0x100
	v_mul_f64_e32 v[128:129], v[14:15], v[6:7]
	v_mul_f64_e32 v[6:7], v[12:13], v[6:7]
	s_delay_alu instid0(VALU_DEP_2) | instskip(NEXT) | instid1(VALU_DEP_2)
	v_fma_f64 v[12:13], v[12:13], v[4:5], -v[128:129]
	v_fmac_f64_e32 v[6:7], v[14:15], v[4:5]
	s_delay_alu instid0(VALU_DEP_2) | instskip(NEXT) | instid1(VALU_DEP_2)
	v_add_f64_e32 v[4:5], 0, v[12:13]
	v_add_f64_e32 v[6:7], 0, v[6:7]
	s_wait_loadcnt 0x0
	s_delay_alu instid0(VALU_DEP_2) | instskip(NEXT) | instid1(VALU_DEP_2)
	v_add_f64_e64 v[4:5], v[8:9], -v[4:5]
	v_add_f64_e64 v[6:7], v[10:11], -v[6:7]
	scratch_store_b128 off, v[4:7], off offset:848
	s_wait_xcnt 0x0
	v_cmpx_lt_u32_e32 52, v1
	s_cbranch_execz .LBB54_239
; %bb.238:
	scratch_load_b128 v[6:9], off, s31
	v_dual_mov_b32 v3, v2 :: v_dual_mov_b32 v4, v2
	v_mov_b32_e32 v5, v2
	scratch_store_b128 off, v[2:5], off offset:832
	s_wait_loadcnt 0x0
	ds_store_b128 v126, v[6:9]
.LBB54_239:
	s_wait_xcnt 0x0
	s_or_b32 exec_lo, exec_lo, s2
	s_wait_storecnt_dscnt 0x0
	s_barrier_signal -1
	s_barrier_wait -1
	s_clause 0x2
	scratch_load_b128 v[4:7], off, off offset:848
	scratch_load_b128 v[8:11], off, off offset:864
	;; [unrolled: 1-line block ×3, first 2 shown]
	ds_load_b128 v[128:131], v2 offset:1728
	ds_load_b128 v[132:135], v2 offset:1744
	s_mov_b32 s2, exec_lo
	s_wait_loadcnt_dscnt 0x201
	v_mul_f64_e32 v[2:3], v[130:131], v[6:7]
	v_mul_f64_e32 v[6:7], v[128:129], v[6:7]
	s_wait_loadcnt_dscnt 0x100
	v_mul_f64_e32 v[136:137], v[132:133], v[10:11]
	v_mul_f64_e32 v[10:11], v[134:135], v[10:11]
	s_delay_alu instid0(VALU_DEP_4) | instskip(NEXT) | instid1(VALU_DEP_4)
	v_fma_f64 v[2:3], v[128:129], v[4:5], -v[2:3]
	v_fmac_f64_e32 v[6:7], v[130:131], v[4:5]
	s_delay_alu instid0(VALU_DEP_4) | instskip(NEXT) | instid1(VALU_DEP_4)
	v_fmac_f64_e32 v[136:137], v[134:135], v[8:9]
	v_fma_f64 v[4:5], v[132:133], v[8:9], -v[10:11]
	s_delay_alu instid0(VALU_DEP_4) | instskip(NEXT) | instid1(VALU_DEP_4)
	v_add_f64_e32 v[2:3], 0, v[2:3]
	v_add_f64_e32 v[6:7], 0, v[6:7]
	s_delay_alu instid0(VALU_DEP_2) | instskip(NEXT) | instid1(VALU_DEP_2)
	v_add_f64_e32 v[2:3], v[2:3], v[4:5]
	v_add_f64_e32 v[4:5], v[6:7], v[136:137]
	s_wait_loadcnt 0x0
	s_delay_alu instid0(VALU_DEP_2) | instskip(NEXT) | instid1(VALU_DEP_2)
	v_add_f64_e64 v[2:3], v[12:13], -v[2:3]
	v_add_f64_e64 v[4:5], v[14:15], -v[4:5]
	scratch_store_b128 off, v[2:5], off offset:832
	s_wait_xcnt 0x0
	v_cmpx_lt_u32_e32 51, v1
	s_cbranch_execz .LBB54_241
; %bb.240:
	scratch_load_b128 v[2:5], off, s8
	v_mov_b32_e32 v6, 0
	s_delay_alu instid0(VALU_DEP_1)
	v_dual_mov_b32 v7, v6 :: v_dual_mov_b32 v8, v6
	v_mov_b32_e32 v9, v6
	scratch_store_b128 off, v[6:9], off offset:816
	s_wait_loadcnt 0x0
	ds_store_b128 v126, v[2:5]
.LBB54_241:
	s_wait_xcnt 0x0
	s_or_b32 exec_lo, exec_lo, s2
	s_wait_storecnt_dscnt 0x0
	s_barrier_signal -1
	s_barrier_wait -1
	s_clause 0x3
	scratch_load_b128 v[4:7], off, off offset:832
	scratch_load_b128 v[8:11], off, off offset:848
	;; [unrolled: 1-line block ×4, first 2 shown]
	v_mov_b32_e32 v2, 0
	ds_load_b128 v[132:135], v2 offset:1712
	ds_load_b128 v[136:139], v2 offset:1728
	s_mov_b32 s2, exec_lo
	s_wait_loadcnt_dscnt 0x301
	v_mul_f64_e32 v[140:141], v[134:135], v[6:7]
	v_mul_f64_e32 v[142:143], v[132:133], v[6:7]
	s_wait_loadcnt_dscnt 0x200
	v_mul_f64_e32 v[144:145], v[136:137], v[10:11]
	v_mul_f64_e32 v[10:11], v[138:139], v[10:11]
	s_delay_alu instid0(VALU_DEP_4) | instskip(NEXT) | instid1(VALU_DEP_4)
	v_fma_f64 v[132:133], v[132:133], v[4:5], -v[140:141]
	v_fmac_f64_e32 v[142:143], v[134:135], v[4:5]
	ds_load_b128 v[4:7], v2 offset:1744
	v_fmac_f64_e32 v[144:145], v[138:139], v[8:9]
	v_fma_f64 v[8:9], v[136:137], v[8:9], -v[10:11]
	s_wait_loadcnt_dscnt 0x100
	v_mul_f64_e32 v[134:135], v[4:5], v[14:15]
	v_mul_f64_e32 v[14:15], v[6:7], v[14:15]
	v_add_f64_e32 v[10:11], 0, v[132:133]
	v_add_f64_e32 v[132:133], 0, v[142:143]
	s_delay_alu instid0(VALU_DEP_4) | instskip(NEXT) | instid1(VALU_DEP_4)
	v_fmac_f64_e32 v[134:135], v[6:7], v[12:13]
	v_fma_f64 v[4:5], v[4:5], v[12:13], -v[14:15]
	s_delay_alu instid0(VALU_DEP_4) | instskip(NEXT) | instid1(VALU_DEP_4)
	v_add_f64_e32 v[6:7], v[10:11], v[8:9]
	v_add_f64_e32 v[8:9], v[132:133], v[144:145]
	s_delay_alu instid0(VALU_DEP_2) | instskip(NEXT) | instid1(VALU_DEP_2)
	v_add_f64_e32 v[4:5], v[6:7], v[4:5]
	v_add_f64_e32 v[6:7], v[8:9], v[134:135]
	s_wait_loadcnt 0x0
	s_delay_alu instid0(VALU_DEP_2) | instskip(NEXT) | instid1(VALU_DEP_2)
	v_add_f64_e64 v[4:5], v[128:129], -v[4:5]
	v_add_f64_e64 v[6:7], v[130:131], -v[6:7]
	scratch_store_b128 off, v[4:7], off offset:816
	s_wait_xcnt 0x0
	v_cmpx_lt_u32_e32 50, v1
	s_cbranch_execz .LBB54_243
; %bb.242:
	scratch_load_b128 v[6:9], off, s10
	v_dual_mov_b32 v3, v2 :: v_dual_mov_b32 v4, v2
	v_mov_b32_e32 v5, v2
	scratch_store_b128 off, v[2:5], off offset:800
	s_wait_loadcnt 0x0
	ds_store_b128 v126, v[6:9]
.LBB54_243:
	s_wait_xcnt 0x0
	s_or_b32 exec_lo, exec_lo, s2
	s_wait_storecnt_dscnt 0x0
	s_barrier_signal -1
	s_barrier_wait -1
	s_clause 0x4
	scratch_load_b128 v[4:7], off, off offset:816
	scratch_load_b128 v[8:11], off, off offset:832
	;; [unrolled: 1-line block ×5, first 2 shown]
	ds_load_b128 v[136:139], v2 offset:1696
	ds_load_b128 v[140:143], v2 offset:1712
	s_mov_b32 s2, exec_lo
	s_wait_loadcnt_dscnt 0x401
	v_mul_f64_e32 v[144:145], v[138:139], v[6:7]
	v_mul_f64_e32 v[146:147], v[136:137], v[6:7]
	s_wait_loadcnt_dscnt 0x300
	v_mul_f64_e32 v[148:149], v[140:141], v[10:11]
	v_mul_f64_e32 v[10:11], v[142:143], v[10:11]
	s_delay_alu instid0(VALU_DEP_4) | instskip(NEXT) | instid1(VALU_DEP_4)
	v_fma_f64 v[144:145], v[136:137], v[4:5], -v[144:145]
	v_fmac_f64_e32 v[146:147], v[138:139], v[4:5]
	ds_load_b128 v[4:7], v2 offset:1728
	ds_load_b128 v[136:139], v2 offset:1744
	v_fmac_f64_e32 v[148:149], v[142:143], v[8:9]
	v_fma_f64 v[8:9], v[140:141], v[8:9], -v[10:11]
	s_wait_loadcnt_dscnt 0x201
	v_mul_f64_e32 v[2:3], v[4:5], v[14:15]
	v_mul_f64_e32 v[14:15], v[6:7], v[14:15]
	s_wait_loadcnt_dscnt 0x100
	v_mul_f64_e32 v[142:143], v[136:137], v[130:131]
	v_mul_f64_e32 v[130:131], v[138:139], v[130:131]
	v_add_f64_e32 v[10:11], 0, v[144:145]
	v_add_f64_e32 v[140:141], 0, v[146:147]
	v_fmac_f64_e32 v[2:3], v[6:7], v[12:13]
	v_fma_f64 v[4:5], v[4:5], v[12:13], -v[14:15]
	v_fmac_f64_e32 v[142:143], v[138:139], v[128:129]
	v_add_f64_e32 v[6:7], v[10:11], v[8:9]
	v_add_f64_e32 v[8:9], v[140:141], v[148:149]
	v_fma_f64 v[10:11], v[136:137], v[128:129], -v[130:131]
	s_delay_alu instid0(VALU_DEP_3) | instskip(NEXT) | instid1(VALU_DEP_3)
	v_add_f64_e32 v[4:5], v[6:7], v[4:5]
	v_add_f64_e32 v[2:3], v[8:9], v[2:3]
	s_delay_alu instid0(VALU_DEP_2) | instskip(NEXT) | instid1(VALU_DEP_2)
	v_add_f64_e32 v[4:5], v[4:5], v[10:11]
	v_add_f64_e32 v[6:7], v[2:3], v[142:143]
	s_wait_loadcnt 0x0
	s_delay_alu instid0(VALU_DEP_2) | instskip(NEXT) | instid1(VALU_DEP_2)
	v_add_f64_e64 v[2:3], v[132:133], -v[4:5]
	v_add_f64_e64 v[4:5], v[134:135], -v[6:7]
	scratch_store_b128 off, v[2:5], off offset:800
	s_wait_xcnt 0x0
	v_cmpx_lt_u32_e32 49, v1
	s_cbranch_execz .LBB54_245
; %bb.244:
	scratch_load_b128 v[2:5], off, s9
	v_mov_b32_e32 v6, 0
	s_delay_alu instid0(VALU_DEP_1)
	v_dual_mov_b32 v7, v6 :: v_dual_mov_b32 v8, v6
	v_mov_b32_e32 v9, v6
	scratch_store_b128 off, v[6:9], off offset:784
	s_wait_loadcnt 0x0
	ds_store_b128 v126, v[2:5]
.LBB54_245:
	s_wait_xcnt 0x0
	s_or_b32 exec_lo, exec_lo, s2
	s_wait_storecnt_dscnt 0x0
	s_barrier_signal -1
	s_barrier_wait -1
	s_clause 0x5
	scratch_load_b128 v[4:7], off, off offset:800
	scratch_load_b128 v[8:11], off, off offset:816
	;; [unrolled: 1-line block ×6, first 2 shown]
	v_mov_b32_e32 v2, 0
	ds_load_b128 v[140:143], v2 offset:1680
	ds_load_b128 v[144:147], v2 offset:1696
	s_mov_b32 s2, exec_lo
	s_wait_loadcnt_dscnt 0x501
	v_mul_f64_e32 v[148:149], v[142:143], v[6:7]
	v_mul_f64_e32 v[150:151], v[140:141], v[6:7]
	s_wait_loadcnt_dscnt 0x400
	v_mul_f64_e32 v[152:153], v[144:145], v[10:11]
	v_mul_f64_e32 v[10:11], v[146:147], v[10:11]
	s_delay_alu instid0(VALU_DEP_4) | instskip(NEXT) | instid1(VALU_DEP_4)
	v_fma_f64 v[148:149], v[140:141], v[4:5], -v[148:149]
	v_fmac_f64_e32 v[150:151], v[142:143], v[4:5]
	ds_load_b128 v[4:7], v2 offset:1712
	ds_load_b128 v[140:143], v2 offset:1728
	v_fmac_f64_e32 v[152:153], v[146:147], v[8:9]
	v_fma_f64 v[8:9], v[144:145], v[8:9], -v[10:11]
	s_wait_loadcnt_dscnt 0x301
	v_mul_f64_e32 v[154:155], v[4:5], v[14:15]
	v_mul_f64_e32 v[14:15], v[6:7], v[14:15]
	s_wait_loadcnt_dscnt 0x200
	v_mul_f64_e32 v[146:147], v[140:141], v[130:131]
	v_mul_f64_e32 v[130:131], v[142:143], v[130:131]
	v_add_f64_e32 v[10:11], 0, v[148:149]
	v_add_f64_e32 v[144:145], 0, v[150:151]
	v_fmac_f64_e32 v[154:155], v[6:7], v[12:13]
	v_fma_f64 v[12:13], v[4:5], v[12:13], -v[14:15]
	ds_load_b128 v[4:7], v2 offset:1744
	v_fmac_f64_e32 v[146:147], v[142:143], v[128:129]
	v_fma_f64 v[128:129], v[140:141], v[128:129], -v[130:131]
	v_add_f64_e32 v[8:9], v[10:11], v[8:9]
	v_add_f64_e32 v[10:11], v[144:145], v[152:153]
	s_wait_loadcnt_dscnt 0x100
	v_mul_f64_e32 v[14:15], v[4:5], v[134:135]
	v_mul_f64_e32 v[134:135], v[6:7], v[134:135]
	s_delay_alu instid0(VALU_DEP_4) | instskip(NEXT) | instid1(VALU_DEP_4)
	v_add_f64_e32 v[8:9], v[8:9], v[12:13]
	v_add_f64_e32 v[10:11], v[10:11], v[154:155]
	s_delay_alu instid0(VALU_DEP_4) | instskip(NEXT) | instid1(VALU_DEP_4)
	v_fmac_f64_e32 v[14:15], v[6:7], v[132:133]
	v_fma_f64 v[4:5], v[4:5], v[132:133], -v[134:135]
	s_delay_alu instid0(VALU_DEP_4) | instskip(NEXT) | instid1(VALU_DEP_4)
	v_add_f64_e32 v[6:7], v[8:9], v[128:129]
	v_add_f64_e32 v[8:9], v[10:11], v[146:147]
	s_delay_alu instid0(VALU_DEP_2) | instskip(NEXT) | instid1(VALU_DEP_2)
	v_add_f64_e32 v[4:5], v[6:7], v[4:5]
	v_add_f64_e32 v[6:7], v[8:9], v[14:15]
	s_wait_loadcnt 0x0
	s_delay_alu instid0(VALU_DEP_2) | instskip(NEXT) | instid1(VALU_DEP_2)
	v_add_f64_e64 v[4:5], v[136:137], -v[4:5]
	v_add_f64_e64 v[6:7], v[138:139], -v[6:7]
	scratch_store_b128 off, v[4:7], off offset:784
	s_wait_xcnt 0x0
	v_cmpx_lt_u32_e32 48, v1
	s_cbranch_execz .LBB54_247
; %bb.246:
	scratch_load_b128 v[6:9], off, s12
	v_dual_mov_b32 v3, v2 :: v_dual_mov_b32 v4, v2
	v_mov_b32_e32 v5, v2
	scratch_store_b128 off, v[2:5], off offset:768
	s_wait_loadcnt 0x0
	ds_store_b128 v126, v[6:9]
.LBB54_247:
	s_wait_xcnt 0x0
	s_or_b32 exec_lo, exec_lo, s2
	s_wait_storecnt_dscnt 0x0
	s_barrier_signal -1
	s_barrier_wait -1
	s_clause 0x6
	scratch_load_b128 v[4:7], off, off offset:784
	scratch_load_b128 v[8:11], off, off offset:800
	;; [unrolled: 1-line block ×7, first 2 shown]
	ds_load_b128 v[144:147], v2 offset:1664
	ds_load_b128 v[148:151], v2 offset:1680
	s_mov_b32 s2, exec_lo
	s_wait_loadcnt_dscnt 0x601
	v_mul_f64_e32 v[152:153], v[146:147], v[6:7]
	v_mul_f64_e32 v[154:155], v[144:145], v[6:7]
	s_wait_loadcnt_dscnt 0x500
	v_mul_f64_e32 v[156:157], v[148:149], v[10:11]
	v_mul_f64_e32 v[10:11], v[150:151], v[10:11]
	s_delay_alu instid0(VALU_DEP_4) | instskip(NEXT) | instid1(VALU_DEP_4)
	v_fma_f64 v[152:153], v[144:145], v[4:5], -v[152:153]
	v_fmac_f64_e32 v[154:155], v[146:147], v[4:5]
	ds_load_b128 v[4:7], v2 offset:1696
	ds_load_b128 v[144:147], v2 offset:1712
	v_fmac_f64_e32 v[156:157], v[150:151], v[8:9]
	v_fma_f64 v[8:9], v[148:149], v[8:9], -v[10:11]
	s_wait_loadcnt_dscnt 0x401
	v_mul_f64_e32 v[158:159], v[4:5], v[14:15]
	v_mul_f64_e32 v[14:15], v[6:7], v[14:15]
	s_wait_loadcnt_dscnt 0x300
	v_mul_f64_e32 v[150:151], v[144:145], v[130:131]
	v_mul_f64_e32 v[130:131], v[146:147], v[130:131]
	v_add_f64_e32 v[10:11], 0, v[152:153]
	v_add_f64_e32 v[148:149], 0, v[154:155]
	v_fmac_f64_e32 v[158:159], v[6:7], v[12:13]
	v_fma_f64 v[12:13], v[4:5], v[12:13], -v[14:15]
	v_fmac_f64_e32 v[150:151], v[146:147], v[128:129]
	v_fma_f64 v[128:129], v[144:145], v[128:129], -v[130:131]
	v_add_f64_e32 v[14:15], v[10:11], v[8:9]
	v_add_f64_e32 v[148:149], v[148:149], v[156:157]
	ds_load_b128 v[4:7], v2 offset:1728
	ds_load_b128 v[8:11], v2 offset:1744
	s_wait_loadcnt_dscnt 0x201
	v_mul_f64_e32 v[2:3], v[4:5], v[134:135]
	v_mul_f64_e32 v[134:135], v[6:7], v[134:135]
	s_wait_loadcnt_dscnt 0x100
	v_mul_f64_e32 v[130:131], v[8:9], v[138:139]
	v_mul_f64_e32 v[138:139], v[10:11], v[138:139]
	v_add_f64_e32 v[12:13], v[14:15], v[12:13]
	v_add_f64_e32 v[14:15], v[148:149], v[158:159]
	v_fmac_f64_e32 v[2:3], v[6:7], v[132:133]
	v_fma_f64 v[4:5], v[4:5], v[132:133], -v[134:135]
	v_fmac_f64_e32 v[130:131], v[10:11], v[136:137]
	v_fma_f64 v[8:9], v[8:9], v[136:137], -v[138:139]
	v_add_f64_e32 v[6:7], v[12:13], v[128:129]
	v_add_f64_e32 v[12:13], v[14:15], v[150:151]
	s_delay_alu instid0(VALU_DEP_2) | instskip(NEXT) | instid1(VALU_DEP_2)
	v_add_f64_e32 v[4:5], v[6:7], v[4:5]
	v_add_f64_e32 v[2:3], v[12:13], v[2:3]
	s_delay_alu instid0(VALU_DEP_2) | instskip(NEXT) | instid1(VALU_DEP_2)
	v_add_f64_e32 v[4:5], v[4:5], v[8:9]
	v_add_f64_e32 v[6:7], v[2:3], v[130:131]
	s_wait_loadcnt 0x0
	s_delay_alu instid0(VALU_DEP_2) | instskip(NEXT) | instid1(VALU_DEP_2)
	v_add_f64_e64 v[2:3], v[140:141], -v[4:5]
	v_add_f64_e64 v[4:5], v[142:143], -v[6:7]
	scratch_store_b128 off, v[2:5], off offset:768
	s_wait_xcnt 0x0
	v_cmpx_lt_u32_e32 47, v1
	s_cbranch_execz .LBB54_249
; %bb.248:
	scratch_load_b128 v[2:5], off, s11
	v_mov_b32_e32 v6, 0
	s_delay_alu instid0(VALU_DEP_1)
	v_dual_mov_b32 v7, v6 :: v_dual_mov_b32 v8, v6
	v_mov_b32_e32 v9, v6
	scratch_store_b128 off, v[6:9], off offset:752
	s_wait_loadcnt 0x0
	ds_store_b128 v126, v[2:5]
.LBB54_249:
	s_wait_xcnt 0x0
	s_or_b32 exec_lo, exec_lo, s2
	s_wait_storecnt_dscnt 0x0
	s_barrier_signal -1
	s_barrier_wait -1
	s_clause 0x7
	scratch_load_b128 v[4:7], off, off offset:768
	scratch_load_b128 v[8:11], off, off offset:784
	;; [unrolled: 1-line block ×8, first 2 shown]
	v_mov_b32_e32 v2, 0
	ds_load_b128 v[148:151], v2 offset:1648
	ds_load_b128 v[152:155], v2 offset:1664
	s_mov_b32 s2, exec_lo
	s_wait_loadcnt_dscnt 0x701
	v_mul_f64_e32 v[156:157], v[150:151], v[6:7]
	v_mul_f64_e32 v[158:159], v[148:149], v[6:7]
	s_wait_loadcnt_dscnt 0x600
	v_mul_f64_e32 v[160:161], v[152:153], v[10:11]
	v_mul_f64_e32 v[10:11], v[154:155], v[10:11]
	s_delay_alu instid0(VALU_DEP_4) | instskip(NEXT) | instid1(VALU_DEP_4)
	v_fma_f64 v[156:157], v[148:149], v[4:5], -v[156:157]
	v_fmac_f64_e32 v[158:159], v[150:151], v[4:5]
	ds_load_b128 v[4:7], v2 offset:1680
	ds_load_b128 v[148:151], v2 offset:1696
	v_fmac_f64_e32 v[160:161], v[154:155], v[8:9]
	v_fma_f64 v[8:9], v[152:153], v[8:9], -v[10:11]
	s_wait_loadcnt_dscnt 0x501
	v_mul_f64_e32 v[162:163], v[4:5], v[14:15]
	v_mul_f64_e32 v[14:15], v[6:7], v[14:15]
	s_wait_loadcnt_dscnt 0x400
	v_mul_f64_e32 v[154:155], v[148:149], v[130:131]
	v_mul_f64_e32 v[130:131], v[150:151], v[130:131]
	v_add_f64_e32 v[10:11], 0, v[156:157]
	v_add_f64_e32 v[152:153], 0, v[158:159]
	v_fmac_f64_e32 v[162:163], v[6:7], v[12:13]
	v_fma_f64 v[12:13], v[4:5], v[12:13], -v[14:15]
	v_fmac_f64_e32 v[154:155], v[150:151], v[128:129]
	v_fma_f64 v[128:129], v[148:149], v[128:129], -v[130:131]
	v_add_f64_e32 v[14:15], v[10:11], v[8:9]
	v_add_f64_e32 v[152:153], v[152:153], v[160:161]
	ds_load_b128 v[4:7], v2 offset:1712
	ds_load_b128 v[8:11], v2 offset:1728
	s_wait_loadcnt_dscnt 0x301
	v_mul_f64_e32 v[156:157], v[4:5], v[134:135]
	v_mul_f64_e32 v[134:135], v[6:7], v[134:135]
	s_wait_loadcnt_dscnt 0x200
	v_mul_f64_e32 v[130:131], v[8:9], v[138:139]
	v_mul_f64_e32 v[138:139], v[10:11], v[138:139]
	v_add_f64_e32 v[12:13], v[14:15], v[12:13]
	v_add_f64_e32 v[14:15], v[152:153], v[162:163]
	v_fmac_f64_e32 v[156:157], v[6:7], v[132:133]
	v_fma_f64 v[132:133], v[4:5], v[132:133], -v[134:135]
	ds_load_b128 v[4:7], v2 offset:1744
	v_fmac_f64_e32 v[130:131], v[10:11], v[136:137]
	v_fma_f64 v[8:9], v[8:9], v[136:137], -v[138:139]
	v_add_f64_e32 v[12:13], v[12:13], v[128:129]
	v_add_f64_e32 v[14:15], v[14:15], v[154:155]
	s_wait_loadcnt_dscnt 0x100
	v_mul_f64_e32 v[128:129], v[4:5], v[142:143]
	v_mul_f64_e32 v[134:135], v[6:7], v[142:143]
	s_delay_alu instid0(VALU_DEP_4) | instskip(NEXT) | instid1(VALU_DEP_4)
	v_add_f64_e32 v[10:11], v[12:13], v[132:133]
	v_add_f64_e32 v[12:13], v[14:15], v[156:157]
	s_delay_alu instid0(VALU_DEP_4) | instskip(NEXT) | instid1(VALU_DEP_4)
	v_fmac_f64_e32 v[128:129], v[6:7], v[140:141]
	v_fma_f64 v[4:5], v[4:5], v[140:141], -v[134:135]
	s_delay_alu instid0(VALU_DEP_4) | instskip(NEXT) | instid1(VALU_DEP_4)
	v_add_f64_e32 v[6:7], v[10:11], v[8:9]
	v_add_f64_e32 v[8:9], v[12:13], v[130:131]
	s_delay_alu instid0(VALU_DEP_2) | instskip(NEXT) | instid1(VALU_DEP_2)
	v_add_f64_e32 v[4:5], v[6:7], v[4:5]
	v_add_f64_e32 v[6:7], v[8:9], v[128:129]
	s_wait_loadcnt 0x0
	s_delay_alu instid0(VALU_DEP_2) | instskip(NEXT) | instid1(VALU_DEP_2)
	v_add_f64_e64 v[4:5], v[144:145], -v[4:5]
	v_add_f64_e64 v[6:7], v[146:147], -v[6:7]
	scratch_store_b128 off, v[4:7], off offset:752
	s_wait_xcnt 0x0
	v_cmpx_lt_u32_e32 46, v1
	s_cbranch_execz .LBB54_251
; %bb.250:
	scratch_load_b128 v[6:9], off, s14
	v_dual_mov_b32 v3, v2 :: v_dual_mov_b32 v4, v2
	v_mov_b32_e32 v5, v2
	scratch_store_b128 off, v[2:5], off offset:736
	s_wait_loadcnt 0x0
	ds_store_b128 v126, v[6:9]
.LBB54_251:
	s_wait_xcnt 0x0
	s_or_b32 exec_lo, exec_lo, s2
	s_wait_storecnt_dscnt 0x0
	s_barrier_signal -1
	s_barrier_wait -1
	s_clause 0x7
	scratch_load_b128 v[4:7], off, off offset:752
	scratch_load_b128 v[8:11], off, off offset:768
	scratch_load_b128 v[12:15], off, off offset:784
	scratch_load_b128 v[128:131], off, off offset:800
	scratch_load_b128 v[132:135], off, off offset:816
	scratch_load_b128 v[136:139], off, off offset:832
	scratch_load_b128 v[140:143], off, off offset:848
	scratch_load_b128 v[144:147], off, off offset:864
	ds_load_b128 v[148:151], v2 offset:1632
	ds_load_b128 v[152:155], v2 offset:1648
	scratch_load_b128 v[156:159], off, off offset:736
	s_mov_b32 s2, exec_lo
	s_wait_loadcnt_dscnt 0x801
	v_mul_f64_e32 v[160:161], v[150:151], v[6:7]
	v_mul_f64_e32 v[162:163], v[148:149], v[6:7]
	s_wait_loadcnt_dscnt 0x700
	v_mul_f64_e32 v[164:165], v[152:153], v[10:11]
	v_mul_f64_e32 v[10:11], v[154:155], v[10:11]
	s_delay_alu instid0(VALU_DEP_4) | instskip(NEXT) | instid1(VALU_DEP_4)
	v_fma_f64 v[160:161], v[148:149], v[4:5], -v[160:161]
	v_fmac_f64_e32 v[162:163], v[150:151], v[4:5]
	ds_load_b128 v[4:7], v2 offset:1664
	ds_load_b128 v[148:151], v2 offset:1680
	v_fmac_f64_e32 v[164:165], v[154:155], v[8:9]
	v_fma_f64 v[8:9], v[152:153], v[8:9], -v[10:11]
	s_wait_loadcnt_dscnt 0x601
	v_mul_f64_e32 v[166:167], v[4:5], v[14:15]
	v_mul_f64_e32 v[14:15], v[6:7], v[14:15]
	s_wait_loadcnt_dscnt 0x500
	v_mul_f64_e32 v[154:155], v[148:149], v[130:131]
	v_mul_f64_e32 v[130:131], v[150:151], v[130:131]
	v_add_f64_e32 v[10:11], 0, v[160:161]
	v_add_f64_e32 v[152:153], 0, v[162:163]
	v_fmac_f64_e32 v[166:167], v[6:7], v[12:13]
	v_fma_f64 v[12:13], v[4:5], v[12:13], -v[14:15]
	v_fmac_f64_e32 v[154:155], v[150:151], v[128:129]
	v_fma_f64 v[128:129], v[148:149], v[128:129], -v[130:131]
	v_add_f64_e32 v[14:15], v[10:11], v[8:9]
	v_add_f64_e32 v[152:153], v[152:153], v[164:165]
	ds_load_b128 v[4:7], v2 offset:1696
	ds_load_b128 v[8:11], v2 offset:1712
	s_wait_loadcnt_dscnt 0x401
	v_mul_f64_e32 v[160:161], v[4:5], v[134:135]
	v_mul_f64_e32 v[134:135], v[6:7], v[134:135]
	s_wait_loadcnt_dscnt 0x300
	v_mul_f64_e32 v[130:131], v[8:9], v[138:139]
	v_mul_f64_e32 v[138:139], v[10:11], v[138:139]
	v_add_f64_e32 v[12:13], v[14:15], v[12:13]
	v_add_f64_e32 v[14:15], v[152:153], v[166:167]
	v_fmac_f64_e32 v[160:161], v[6:7], v[132:133]
	v_fma_f64 v[132:133], v[4:5], v[132:133], -v[134:135]
	v_fmac_f64_e32 v[130:131], v[10:11], v[136:137]
	v_fma_f64 v[8:9], v[8:9], v[136:137], -v[138:139]
	v_add_f64_e32 v[128:129], v[12:13], v[128:129]
	v_add_f64_e32 v[134:135], v[14:15], v[154:155]
	ds_load_b128 v[4:7], v2 offset:1728
	ds_load_b128 v[12:15], v2 offset:1744
	s_wait_loadcnt_dscnt 0x201
	v_mul_f64_e32 v[2:3], v[4:5], v[142:143]
	v_mul_f64_e32 v[142:143], v[6:7], v[142:143]
	v_add_f64_e32 v[10:11], v[128:129], v[132:133]
	v_add_f64_e32 v[128:129], v[134:135], v[160:161]
	s_wait_loadcnt_dscnt 0x100
	v_mul_f64_e32 v[132:133], v[12:13], v[146:147]
	v_mul_f64_e32 v[134:135], v[14:15], v[146:147]
	v_fmac_f64_e32 v[2:3], v[6:7], v[140:141]
	v_fma_f64 v[4:5], v[4:5], v[140:141], -v[142:143]
	v_add_f64_e32 v[6:7], v[10:11], v[8:9]
	v_add_f64_e32 v[8:9], v[128:129], v[130:131]
	v_fmac_f64_e32 v[132:133], v[14:15], v[144:145]
	v_fma_f64 v[10:11], v[12:13], v[144:145], -v[134:135]
	s_delay_alu instid0(VALU_DEP_4) | instskip(NEXT) | instid1(VALU_DEP_4)
	v_add_f64_e32 v[4:5], v[6:7], v[4:5]
	v_add_f64_e32 v[2:3], v[8:9], v[2:3]
	s_delay_alu instid0(VALU_DEP_2) | instskip(NEXT) | instid1(VALU_DEP_2)
	v_add_f64_e32 v[4:5], v[4:5], v[10:11]
	v_add_f64_e32 v[6:7], v[2:3], v[132:133]
	s_wait_loadcnt 0x0
	s_delay_alu instid0(VALU_DEP_2) | instskip(NEXT) | instid1(VALU_DEP_2)
	v_add_f64_e64 v[2:3], v[156:157], -v[4:5]
	v_add_f64_e64 v[4:5], v[158:159], -v[6:7]
	scratch_store_b128 off, v[2:5], off offset:736
	s_wait_xcnt 0x0
	v_cmpx_lt_u32_e32 45, v1
	s_cbranch_execz .LBB54_253
; %bb.252:
	scratch_load_b128 v[2:5], off, s13
	v_mov_b32_e32 v6, 0
	s_delay_alu instid0(VALU_DEP_1)
	v_dual_mov_b32 v7, v6 :: v_dual_mov_b32 v8, v6
	v_mov_b32_e32 v9, v6
	scratch_store_b128 off, v[6:9], off offset:720
	s_wait_loadcnt 0x0
	ds_store_b128 v126, v[2:5]
.LBB54_253:
	s_wait_xcnt 0x0
	s_or_b32 exec_lo, exec_lo, s2
	s_wait_storecnt_dscnt 0x0
	s_barrier_signal -1
	s_barrier_wait -1
	s_clause 0x8
	scratch_load_b128 v[4:7], off, off offset:736
	scratch_load_b128 v[8:11], off, off offset:752
	;; [unrolled: 1-line block ×9, first 2 shown]
	v_mov_b32_e32 v2, 0
	scratch_load_b128 v[156:159], off, off offset:720
	s_mov_b32 s2, exec_lo
	ds_load_b128 v[152:155], v2 offset:1616
	ds_load_b128 v[160:163], v2 offset:1632
	s_wait_loadcnt_dscnt 0x901
	v_mul_f64_e32 v[164:165], v[154:155], v[6:7]
	v_mul_f64_e32 v[166:167], v[152:153], v[6:7]
	s_wait_loadcnt_dscnt 0x800
	v_mul_f64_e32 v[168:169], v[160:161], v[10:11]
	v_mul_f64_e32 v[10:11], v[162:163], v[10:11]
	s_delay_alu instid0(VALU_DEP_4) | instskip(NEXT) | instid1(VALU_DEP_4)
	v_fma_f64 v[164:165], v[152:153], v[4:5], -v[164:165]
	v_fmac_f64_e32 v[166:167], v[154:155], v[4:5]
	ds_load_b128 v[4:7], v2 offset:1648
	ds_load_b128 v[152:155], v2 offset:1664
	v_fmac_f64_e32 v[168:169], v[162:163], v[8:9]
	v_fma_f64 v[8:9], v[160:161], v[8:9], -v[10:11]
	s_wait_loadcnt_dscnt 0x701
	v_mul_f64_e32 v[170:171], v[4:5], v[14:15]
	v_mul_f64_e32 v[14:15], v[6:7], v[14:15]
	s_wait_loadcnt_dscnt 0x600
	v_mul_f64_e32 v[162:163], v[152:153], v[130:131]
	v_mul_f64_e32 v[130:131], v[154:155], v[130:131]
	v_add_f64_e32 v[10:11], 0, v[164:165]
	v_add_f64_e32 v[160:161], 0, v[166:167]
	v_fmac_f64_e32 v[170:171], v[6:7], v[12:13]
	v_fma_f64 v[12:13], v[4:5], v[12:13], -v[14:15]
	v_fmac_f64_e32 v[162:163], v[154:155], v[128:129]
	v_fma_f64 v[128:129], v[152:153], v[128:129], -v[130:131]
	v_add_f64_e32 v[14:15], v[10:11], v[8:9]
	v_add_f64_e32 v[160:161], v[160:161], v[168:169]
	ds_load_b128 v[4:7], v2 offset:1680
	ds_load_b128 v[8:11], v2 offset:1696
	s_wait_loadcnt_dscnt 0x501
	v_mul_f64_e32 v[164:165], v[4:5], v[134:135]
	v_mul_f64_e32 v[134:135], v[6:7], v[134:135]
	s_wait_loadcnt_dscnt 0x400
	v_mul_f64_e32 v[130:131], v[8:9], v[138:139]
	v_mul_f64_e32 v[138:139], v[10:11], v[138:139]
	v_add_f64_e32 v[12:13], v[14:15], v[12:13]
	v_add_f64_e32 v[14:15], v[160:161], v[170:171]
	v_fmac_f64_e32 v[164:165], v[6:7], v[132:133]
	v_fma_f64 v[132:133], v[4:5], v[132:133], -v[134:135]
	v_fmac_f64_e32 v[130:131], v[10:11], v[136:137]
	v_fma_f64 v[8:9], v[8:9], v[136:137], -v[138:139]
	v_add_f64_e32 v[128:129], v[12:13], v[128:129]
	v_add_f64_e32 v[134:135], v[14:15], v[162:163]
	ds_load_b128 v[4:7], v2 offset:1712
	ds_load_b128 v[12:15], v2 offset:1728
	s_wait_loadcnt_dscnt 0x301
	v_mul_f64_e32 v[152:153], v[4:5], v[142:143]
	v_mul_f64_e32 v[142:143], v[6:7], v[142:143]
	v_add_f64_e32 v[10:11], v[128:129], v[132:133]
	v_add_f64_e32 v[128:129], v[134:135], v[164:165]
	s_wait_loadcnt_dscnt 0x200
	v_mul_f64_e32 v[132:133], v[12:13], v[146:147]
	v_mul_f64_e32 v[134:135], v[14:15], v[146:147]
	v_fmac_f64_e32 v[152:153], v[6:7], v[140:141]
	v_fma_f64 v[136:137], v[4:5], v[140:141], -v[142:143]
	ds_load_b128 v[4:7], v2 offset:1744
	v_add_f64_e32 v[8:9], v[10:11], v[8:9]
	v_add_f64_e32 v[10:11], v[128:129], v[130:131]
	v_fmac_f64_e32 v[132:133], v[14:15], v[144:145]
	v_fma_f64 v[12:13], v[12:13], v[144:145], -v[134:135]
	s_wait_loadcnt_dscnt 0x100
	v_mul_f64_e32 v[128:129], v[4:5], v[150:151]
	v_mul_f64_e32 v[130:131], v[6:7], v[150:151]
	v_add_f64_e32 v[8:9], v[8:9], v[136:137]
	v_add_f64_e32 v[10:11], v[10:11], v[152:153]
	s_delay_alu instid0(VALU_DEP_4) | instskip(NEXT) | instid1(VALU_DEP_4)
	v_fmac_f64_e32 v[128:129], v[6:7], v[148:149]
	v_fma_f64 v[4:5], v[4:5], v[148:149], -v[130:131]
	s_delay_alu instid0(VALU_DEP_4) | instskip(NEXT) | instid1(VALU_DEP_4)
	v_add_f64_e32 v[6:7], v[8:9], v[12:13]
	v_add_f64_e32 v[8:9], v[10:11], v[132:133]
	s_delay_alu instid0(VALU_DEP_2) | instskip(NEXT) | instid1(VALU_DEP_2)
	v_add_f64_e32 v[4:5], v[6:7], v[4:5]
	v_add_f64_e32 v[6:7], v[8:9], v[128:129]
	s_wait_loadcnt 0x0
	s_delay_alu instid0(VALU_DEP_2) | instskip(NEXT) | instid1(VALU_DEP_2)
	v_add_f64_e64 v[4:5], v[156:157], -v[4:5]
	v_add_f64_e64 v[6:7], v[158:159], -v[6:7]
	scratch_store_b128 off, v[4:7], off offset:720
	s_wait_xcnt 0x0
	v_cmpx_lt_u32_e32 44, v1
	s_cbranch_execz .LBB54_255
; %bb.254:
	scratch_load_b128 v[6:9], off, s20
	v_dual_mov_b32 v3, v2 :: v_dual_mov_b32 v4, v2
	v_mov_b32_e32 v5, v2
	scratch_store_b128 off, v[2:5], off offset:704
	s_wait_loadcnt 0x0
	ds_store_b128 v126, v[6:9]
.LBB54_255:
	s_wait_xcnt 0x0
	s_or_b32 exec_lo, exec_lo, s2
	s_wait_storecnt_dscnt 0x0
	s_barrier_signal -1
	s_barrier_wait -1
	s_clause 0x9
	scratch_load_b128 v[4:7], off, off offset:720
	scratch_load_b128 v[8:11], off, off offset:736
	;; [unrolled: 1-line block ×10, first 2 shown]
	ds_load_b128 v[156:159], v2 offset:1600
	ds_load_b128 v[160:163], v2 offset:1616
	scratch_load_b128 v[164:167], off, off offset:704
	s_mov_b32 s2, exec_lo
	s_wait_loadcnt_dscnt 0xa01
	v_mul_f64_e32 v[168:169], v[158:159], v[6:7]
	v_mul_f64_e32 v[170:171], v[156:157], v[6:7]
	s_wait_loadcnt_dscnt 0x900
	v_mul_f64_e32 v[172:173], v[160:161], v[10:11]
	v_mul_f64_e32 v[10:11], v[162:163], v[10:11]
	s_delay_alu instid0(VALU_DEP_4) | instskip(NEXT) | instid1(VALU_DEP_4)
	v_fma_f64 v[168:169], v[156:157], v[4:5], -v[168:169]
	v_fmac_f64_e32 v[170:171], v[158:159], v[4:5]
	ds_load_b128 v[4:7], v2 offset:1632
	ds_load_b128 v[156:159], v2 offset:1648
	v_fmac_f64_e32 v[172:173], v[162:163], v[8:9]
	v_fma_f64 v[8:9], v[160:161], v[8:9], -v[10:11]
	s_wait_loadcnt_dscnt 0x801
	v_mul_f64_e32 v[174:175], v[4:5], v[14:15]
	v_mul_f64_e32 v[14:15], v[6:7], v[14:15]
	s_wait_loadcnt_dscnt 0x700
	v_mul_f64_e32 v[162:163], v[156:157], v[130:131]
	v_mul_f64_e32 v[130:131], v[158:159], v[130:131]
	v_add_f64_e32 v[10:11], 0, v[168:169]
	v_add_f64_e32 v[160:161], 0, v[170:171]
	v_fmac_f64_e32 v[174:175], v[6:7], v[12:13]
	v_fma_f64 v[12:13], v[4:5], v[12:13], -v[14:15]
	v_fmac_f64_e32 v[162:163], v[158:159], v[128:129]
	v_fma_f64 v[128:129], v[156:157], v[128:129], -v[130:131]
	v_add_f64_e32 v[14:15], v[10:11], v[8:9]
	v_add_f64_e32 v[160:161], v[160:161], v[172:173]
	ds_load_b128 v[4:7], v2 offset:1664
	ds_load_b128 v[8:11], v2 offset:1680
	s_wait_loadcnt_dscnt 0x601
	v_mul_f64_e32 v[168:169], v[4:5], v[134:135]
	v_mul_f64_e32 v[134:135], v[6:7], v[134:135]
	s_wait_loadcnt_dscnt 0x500
	v_mul_f64_e32 v[130:131], v[8:9], v[138:139]
	v_mul_f64_e32 v[138:139], v[10:11], v[138:139]
	v_add_f64_e32 v[12:13], v[14:15], v[12:13]
	v_add_f64_e32 v[14:15], v[160:161], v[174:175]
	v_fmac_f64_e32 v[168:169], v[6:7], v[132:133]
	v_fma_f64 v[132:133], v[4:5], v[132:133], -v[134:135]
	v_fmac_f64_e32 v[130:131], v[10:11], v[136:137]
	v_fma_f64 v[8:9], v[8:9], v[136:137], -v[138:139]
	v_add_f64_e32 v[128:129], v[12:13], v[128:129]
	v_add_f64_e32 v[134:135], v[14:15], v[162:163]
	ds_load_b128 v[4:7], v2 offset:1696
	ds_load_b128 v[12:15], v2 offset:1712
	s_wait_loadcnt_dscnt 0x401
	v_mul_f64_e32 v[156:157], v[4:5], v[142:143]
	v_mul_f64_e32 v[142:143], v[6:7], v[142:143]
	v_add_f64_e32 v[10:11], v[128:129], v[132:133]
	v_add_f64_e32 v[128:129], v[134:135], v[168:169]
	s_wait_loadcnt_dscnt 0x300
	v_mul_f64_e32 v[132:133], v[12:13], v[146:147]
	v_mul_f64_e32 v[134:135], v[14:15], v[146:147]
	v_fmac_f64_e32 v[156:157], v[6:7], v[140:141]
	v_fma_f64 v[136:137], v[4:5], v[140:141], -v[142:143]
	v_add_f64_e32 v[138:139], v[10:11], v[8:9]
	v_add_f64_e32 v[128:129], v[128:129], v[130:131]
	ds_load_b128 v[4:7], v2 offset:1728
	ds_load_b128 v[8:11], v2 offset:1744
	v_fmac_f64_e32 v[132:133], v[14:15], v[144:145]
	v_fma_f64 v[12:13], v[12:13], v[144:145], -v[134:135]
	s_wait_loadcnt_dscnt 0x201
	v_mul_f64_e32 v[2:3], v[4:5], v[150:151]
	v_mul_f64_e32 v[130:131], v[6:7], v[150:151]
	s_wait_loadcnt_dscnt 0x100
	v_mul_f64_e32 v[134:135], v[8:9], v[154:155]
	v_add_f64_e32 v[14:15], v[138:139], v[136:137]
	v_add_f64_e32 v[128:129], v[128:129], v[156:157]
	v_mul_f64_e32 v[136:137], v[10:11], v[154:155]
	v_fmac_f64_e32 v[2:3], v[6:7], v[148:149]
	v_fma_f64 v[4:5], v[4:5], v[148:149], -v[130:131]
	v_fmac_f64_e32 v[134:135], v[10:11], v[152:153]
	v_add_f64_e32 v[6:7], v[14:15], v[12:13]
	v_add_f64_e32 v[12:13], v[128:129], v[132:133]
	v_fma_f64 v[8:9], v[8:9], v[152:153], -v[136:137]
	s_delay_alu instid0(VALU_DEP_3) | instskip(NEXT) | instid1(VALU_DEP_3)
	v_add_f64_e32 v[4:5], v[6:7], v[4:5]
	v_add_f64_e32 v[2:3], v[12:13], v[2:3]
	s_delay_alu instid0(VALU_DEP_2) | instskip(NEXT) | instid1(VALU_DEP_2)
	v_add_f64_e32 v[4:5], v[4:5], v[8:9]
	v_add_f64_e32 v[6:7], v[2:3], v[134:135]
	s_wait_loadcnt 0x0
	s_delay_alu instid0(VALU_DEP_2) | instskip(NEXT) | instid1(VALU_DEP_2)
	v_add_f64_e64 v[2:3], v[164:165], -v[4:5]
	v_add_f64_e64 v[4:5], v[166:167], -v[6:7]
	scratch_store_b128 off, v[2:5], off offset:704
	s_wait_xcnt 0x0
	v_cmpx_lt_u32_e32 43, v1
	s_cbranch_execz .LBB54_257
; %bb.256:
	scratch_load_b128 v[2:5], off, s15
	v_mov_b32_e32 v6, 0
	s_delay_alu instid0(VALU_DEP_1)
	v_dual_mov_b32 v7, v6 :: v_dual_mov_b32 v8, v6
	v_mov_b32_e32 v9, v6
	scratch_store_b128 off, v[6:9], off offset:688
	s_wait_loadcnt 0x0
	ds_store_b128 v126, v[2:5]
.LBB54_257:
	s_wait_xcnt 0x0
	s_or_b32 exec_lo, exec_lo, s2
	s_wait_storecnt_dscnt 0x0
	s_barrier_signal -1
	s_barrier_wait -1
	s_clause 0x9
	scratch_load_b128 v[4:7], off, off offset:704
	scratch_load_b128 v[8:11], off, off offset:720
	;; [unrolled: 1-line block ×10, first 2 shown]
	v_mov_b32_e32 v2, 0
	s_mov_b32 s2, exec_lo
	ds_load_b128 v[156:159], v2 offset:1584
	s_clause 0x1
	scratch_load_b128 v[160:163], off, off offset:864
	scratch_load_b128 v[164:167], off, off offset:688
	s_wait_loadcnt_dscnt 0xb00
	v_mul_f64_e32 v[172:173], v[158:159], v[6:7]
	v_mul_f64_e32 v[174:175], v[156:157], v[6:7]
	ds_load_b128 v[168:171], v2 offset:1600
	s_wait_loadcnt_dscnt 0xa00
	v_mul_f64_e32 v[176:177], v[168:169], v[10:11]
	v_mul_f64_e32 v[10:11], v[170:171], v[10:11]
	v_fma_f64 v[172:173], v[156:157], v[4:5], -v[172:173]
	v_fmac_f64_e32 v[174:175], v[158:159], v[4:5]
	ds_load_b128 v[4:7], v2 offset:1616
	ds_load_b128 v[156:159], v2 offset:1632
	s_wait_loadcnt_dscnt 0x901
	v_mul_f64_e32 v[178:179], v[4:5], v[14:15]
	v_mul_f64_e32 v[14:15], v[6:7], v[14:15]
	v_fmac_f64_e32 v[176:177], v[170:171], v[8:9]
	v_fma_f64 v[8:9], v[168:169], v[8:9], -v[10:11]
	s_wait_loadcnt_dscnt 0x800
	v_mul_f64_e32 v[170:171], v[156:157], v[130:131]
	v_mul_f64_e32 v[130:131], v[158:159], v[130:131]
	v_add_f64_e32 v[10:11], 0, v[172:173]
	v_add_f64_e32 v[168:169], 0, v[174:175]
	v_fmac_f64_e32 v[178:179], v[6:7], v[12:13]
	v_fma_f64 v[12:13], v[4:5], v[12:13], -v[14:15]
	v_fmac_f64_e32 v[170:171], v[158:159], v[128:129]
	v_fma_f64 v[128:129], v[156:157], v[128:129], -v[130:131]
	v_add_f64_e32 v[14:15], v[10:11], v[8:9]
	v_add_f64_e32 v[168:169], v[168:169], v[176:177]
	ds_load_b128 v[4:7], v2 offset:1648
	ds_load_b128 v[8:11], v2 offset:1664
	s_wait_loadcnt_dscnt 0x701
	v_mul_f64_e32 v[172:173], v[4:5], v[134:135]
	v_mul_f64_e32 v[134:135], v[6:7], v[134:135]
	s_wait_loadcnt_dscnt 0x600
	v_mul_f64_e32 v[130:131], v[8:9], v[138:139]
	v_mul_f64_e32 v[138:139], v[10:11], v[138:139]
	v_add_f64_e32 v[12:13], v[14:15], v[12:13]
	v_add_f64_e32 v[14:15], v[168:169], v[178:179]
	v_fmac_f64_e32 v[172:173], v[6:7], v[132:133]
	v_fma_f64 v[132:133], v[4:5], v[132:133], -v[134:135]
	v_fmac_f64_e32 v[130:131], v[10:11], v[136:137]
	v_fma_f64 v[8:9], v[8:9], v[136:137], -v[138:139]
	v_add_f64_e32 v[128:129], v[12:13], v[128:129]
	v_add_f64_e32 v[134:135], v[14:15], v[170:171]
	ds_load_b128 v[4:7], v2 offset:1680
	ds_load_b128 v[12:15], v2 offset:1696
	s_wait_loadcnt_dscnt 0x501
	v_mul_f64_e32 v[156:157], v[4:5], v[142:143]
	v_mul_f64_e32 v[142:143], v[6:7], v[142:143]
	v_add_f64_e32 v[10:11], v[128:129], v[132:133]
	v_add_f64_e32 v[128:129], v[134:135], v[172:173]
	s_wait_loadcnt_dscnt 0x400
	v_mul_f64_e32 v[132:133], v[12:13], v[146:147]
	v_mul_f64_e32 v[134:135], v[14:15], v[146:147]
	v_fmac_f64_e32 v[156:157], v[6:7], v[140:141]
	v_fma_f64 v[136:137], v[4:5], v[140:141], -v[142:143]
	v_add_f64_e32 v[138:139], v[10:11], v[8:9]
	v_add_f64_e32 v[128:129], v[128:129], v[130:131]
	ds_load_b128 v[4:7], v2 offset:1712
	ds_load_b128 v[8:11], v2 offset:1728
	v_fmac_f64_e32 v[132:133], v[14:15], v[144:145]
	v_fma_f64 v[12:13], v[12:13], v[144:145], -v[134:135]
	s_wait_loadcnt_dscnt 0x301
	v_mul_f64_e32 v[130:131], v[4:5], v[150:151]
	v_mul_f64_e32 v[140:141], v[6:7], v[150:151]
	s_wait_loadcnt_dscnt 0x200
	v_mul_f64_e32 v[134:135], v[8:9], v[154:155]
	v_add_f64_e32 v[14:15], v[138:139], v[136:137]
	v_add_f64_e32 v[128:129], v[128:129], v[156:157]
	v_mul_f64_e32 v[136:137], v[10:11], v[154:155]
	v_fmac_f64_e32 v[130:131], v[6:7], v[148:149]
	v_fma_f64 v[138:139], v[4:5], v[148:149], -v[140:141]
	ds_load_b128 v[4:7], v2 offset:1744
	v_fmac_f64_e32 v[134:135], v[10:11], v[152:153]
	v_add_f64_e32 v[12:13], v[14:15], v[12:13]
	v_add_f64_e32 v[14:15], v[128:129], v[132:133]
	v_fma_f64 v[8:9], v[8:9], v[152:153], -v[136:137]
	s_wait_loadcnt_dscnt 0x100
	v_mul_f64_e32 v[128:129], v[4:5], v[162:163]
	v_mul_f64_e32 v[132:133], v[6:7], v[162:163]
	v_add_f64_e32 v[10:11], v[12:13], v[138:139]
	v_add_f64_e32 v[12:13], v[14:15], v[130:131]
	s_delay_alu instid0(VALU_DEP_4) | instskip(NEXT) | instid1(VALU_DEP_4)
	v_fmac_f64_e32 v[128:129], v[6:7], v[160:161]
	v_fma_f64 v[4:5], v[4:5], v[160:161], -v[132:133]
	s_delay_alu instid0(VALU_DEP_4) | instskip(NEXT) | instid1(VALU_DEP_4)
	v_add_f64_e32 v[6:7], v[10:11], v[8:9]
	v_add_f64_e32 v[8:9], v[12:13], v[134:135]
	s_delay_alu instid0(VALU_DEP_2) | instskip(NEXT) | instid1(VALU_DEP_2)
	v_add_f64_e32 v[4:5], v[6:7], v[4:5]
	v_add_f64_e32 v[6:7], v[8:9], v[128:129]
	s_wait_loadcnt 0x0
	s_delay_alu instid0(VALU_DEP_2) | instskip(NEXT) | instid1(VALU_DEP_2)
	v_add_f64_e64 v[4:5], v[164:165], -v[4:5]
	v_add_f64_e64 v[6:7], v[166:167], -v[6:7]
	scratch_store_b128 off, v[4:7], off offset:688
	s_wait_xcnt 0x0
	v_cmpx_lt_u32_e32 42, v1
	s_cbranch_execz .LBB54_259
; %bb.258:
	scratch_load_b128 v[6:9], off, s22
	v_dual_mov_b32 v3, v2 :: v_dual_mov_b32 v4, v2
	v_mov_b32_e32 v5, v2
	scratch_store_b128 off, v[2:5], off offset:672
	s_wait_loadcnt 0x0
	ds_store_b128 v126, v[6:9]
.LBB54_259:
	s_wait_xcnt 0x0
	s_or_b32 exec_lo, exec_lo, s2
	s_wait_storecnt_dscnt 0x0
	s_barrier_signal -1
	s_barrier_wait -1
	s_clause 0x9
	scratch_load_b128 v[4:7], off, off offset:688
	scratch_load_b128 v[8:11], off, off offset:704
	;; [unrolled: 1-line block ×10, first 2 shown]
	ds_load_b128 v[156:159], v2 offset:1568
	ds_load_b128 v[164:167], v2 offset:1584
	s_clause 0x2
	scratch_load_b128 v[160:163], off, off offset:848
	scratch_load_b128 v[168:171], off, off offset:672
	scratch_load_b128 v[172:175], off, off offset:864
	s_mov_b32 s2, exec_lo
	s_wait_loadcnt_dscnt 0xc01
	v_mul_f64_e32 v[176:177], v[158:159], v[6:7]
	v_mul_f64_e32 v[178:179], v[156:157], v[6:7]
	s_wait_loadcnt_dscnt 0xb00
	v_mul_f64_e32 v[180:181], v[164:165], v[10:11]
	v_mul_f64_e32 v[10:11], v[166:167], v[10:11]
	s_delay_alu instid0(VALU_DEP_4) | instskip(NEXT) | instid1(VALU_DEP_4)
	v_fma_f64 v[176:177], v[156:157], v[4:5], -v[176:177]
	v_fmac_f64_e32 v[178:179], v[158:159], v[4:5]
	ds_load_b128 v[4:7], v2 offset:1600
	ds_load_b128 v[156:159], v2 offset:1616
	v_fmac_f64_e32 v[180:181], v[166:167], v[8:9]
	v_fma_f64 v[8:9], v[164:165], v[8:9], -v[10:11]
	s_wait_loadcnt_dscnt 0xa01
	v_mul_f64_e32 v[182:183], v[4:5], v[14:15]
	v_mul_f64_e32 v[14:15], v[6:7], v[14:15]
	s_wait_loadcnt_dscnt 0x900
	v_mul_f64_e32 v[166:167], v[156:157], v[130:131]
	v_mul_f64_e32 v[130:131], v[158:159], v[130:131]
	v_add_f64_e32 v[10:11], 0, v[176:177]
	v_add_f64_e32 v[164:165], 0, v[178:179]
	v_fmac_f64_e32 v[182:183], v[6:7], v[12:13]
	v_fma_f64 v[12:13], v[4:5], v[12:13], -v[14:15]
	v_fmac_f64_e32 v[166:167], v[158:159], v[128:129]
	v_fma_f64 v[128:129], v[156:157], v[128:129], -v[130:131]
	v_add_f64_e32 v[14:15], v[10:11], v[8:9]
	v_add_f64_e32 v[164:165], v[164:165], v[180:181]
	ds_load_b128 v[4:7], v2 offset:1632
	ds_load_b128 v[8:11], v2 offset:1648
	s_wait_loadcnt_dscnt 0x801
	v_mul_f64_e32 v[176:177], v[4:5], v[134:135]
	v_mul_f64_e32 v[134:135], v[6:7], v[134:135]
	s_wait_loadcnt_dscnt 0x700
	v_mul_f64_e32 v[130:131], v[8:9], v[138:139]
	v_mul_f64_e32 v[138:139], v[10:11], v[138:139]
	v_add_f64_e32 v[12:13], v[14:15], v[12:13]
	v_add_f64_e32 v[14:15], v[164:165], v[182:183]
	v_fmac_f64_e32 v[176:177], v[6:7], v[132:133]
	v_fma_f64 v[132:133], v[4:5], v[132:133], -v[134:135]
	v_fmac_f64_e32 v[130:131], v[10:11], v[136:137]
	v_fma_f64 v[8:9], v[8:9], v[136:137], -v[138:139]
	v_add_f64_e32 v[128:129], v[12:13], v[128:129]
	v_add_f64_e32 v[134:135], v[14:15], v[166:167]
	ds_load_b128 v[4:7], v2 offset:1664
	ds_load_b128 v[12:15], v2 offset:1680
	s_wait_loadcnt_dscnt 0x601
	v_mul_f64_e32 v[156:157], v[4:5], v[142:143]
	v_mul_f64_e32 v[142:143], v[6:7], v[142:143]
	v_add_f64_e32 v[10:11], v[128:129], v[132:133]
	v_add_f64_e32 v[128:129], v[134:135], v[176:177]
	s_wait_loadcnt_dscnt 0x500
	v_mul_f64_e32 v[132:133], v[12:13], v[146:147]
	v_mul_f64_e32 v[134:135], v[14:15], v[146:147]
	v_fmac_f64_e32 v[156:157], v[6:7], v[140:141]
	v_fma_f64 v[136:137], v[4:5], v[140:141], -v[142:143]
	v_add_f64_e32 v[138:139], v[10:11], v[8:9]
	v_add_f64_e32 v[128:129], v[128:129], v[130:131]
	ds_load_b128 v[4:7], v2 offset:1696
	ds_load_b128 v[8:11], v2 offset:1712
	v_fmac_f64_e32 v[132:133], v[14:15], v[144:145]
	v_fma_f64 v[12:13], v[12:13], v[144:145], -v[134:135]
	s_wait_loadcnt_dscnt 0x401
	v_mul_f64_e32 v[130:131], v[4:5], v[150:151]
	v_mul_f64_e32 v[140:141], v[6:7], v[150:151]
	s_wait_loadcnt_dscnt 0x300
	v_mul_f64_e32 v[134:135], v[8:9], v[154:155]
	v_add_f64_e32 v[14:15], v[138:139], v[136:137]
	v_add_f64_e32 v[128:129], v[128:129], v[156:157]
	v_mul_f64_e32 v[136:137], v[10:11], v[154:155]
	v_fmac_f64_e32 v[130:131], v[6:7], v[148:149]
	v_fma_f64 v[138:139], v[4:5], v[148:149], -v[140:141]
	v_fmac_f64_e32 v[134:135], v[10:11], v[152:153]
	v_add_f64_e32 v[140:141], v[14:15], v[12:13]
	v_add_f64_e32 v[128:129], v[128:129], v[132:133]
	ds_load_b128 v[4:7], v2 offset:1728
	ds_load_b128 v[12:15], v2 offset:1744
	v_fma_f64 v[8:9], v[8:9], v[152:153], -v[136:137]
	s_wait_loadcnt_dscnt 0x201
	v_mul_f64_e32 v[2:3], v[4:5], v[162:163]
	v_mul_f64_e32 v[132:133], v[6:7], v[162:163]
	s_wait_loadcnt_dscnt 0x0
	v_mul_f64_e32 v[136:137], v[14:15], v[174:175]
	v_add_f64_e32 v[10:11], v[140:141], v[138:139]
	v_add_f64_e32 v[128:129], v[128:129], v[130:131]
	v_mul_f64_e32 v[130:131], v[12:13], v[174:175]
	v_fmac_f64_e32 v[2:3], v[6:7], v[160:161]
	v_fma_f64 v[4:5], v[4:5], v[160:161], -v[132:133]
	v_add_f64_e32 v[6:7], v[10:11], v[8:9]
	v_add_f64_e32 v[8:9], v[128:129], v[134:135]
	v_fmac_f64_e32 v[130:131], v[14:15], v[172:173]
	v_fma_f64 v[10:11], v[12:13], v[172:173], -v[136:137]
	s_delay_alu instid0(VALU_DEP_4) | instskip(NEXT) | instid1(VALU_DEP_4)
	v_add_f64_e32 v[4:5], v[6:7], v[4:5]
	v_add_f64_e32 v[2:3], v[8:9], v[2:3]
	s_delay_alu instid0(VALU_DEP_2) | instskip(NEXT) | instid1(VALU_DEP_2)
	v_add_f64_e32 v[4:5], v[4:5], v[10:11]
	v_add_f64_e32 v[6:7], v[2:3], v[130:131]
	s_delay_alu instid0(VALU_DEP_2) | instskip(NEXT) | instid1(VALU_DEP_2)
	v_add_f64_e64 v[2:3], v[168:169], -v[4:5]
	v_add_f64_e64 v[4:5], v[170:171], -v[6:7]
	scratch_store_b128 off, v[2:5], off offset:672
	s_wait_xcnt 0x0
	v_cmpx_lt_u32_e32 41, v1
	s_cbranch_execz .LBB54_261
; %bb.260:
	scratch_load_b128 v[2:5], off, s21
	v_mov_b32_e32 v6, 0
	s_delay_alu instid0(VALU_DEP_1)
	v_dual_mov_b32 v7, v6 :: v_dual_mov_b32 v8, v6
	v_mov_b32_e32 v9, v6
	scratch_store_b128 off, v[6:9], off offset:656
	s_wait_loadcnt 0x0
	ds_store_b128 v126, v[2:5]
.LBB54_261:
	s_wait_xcnt 0x0
	s_or_b32 exec_lo, exec_lo, s2
	s_wait_storecnt_dscnt 0x0
	s_barrier_signal -1
	s_barrier_wait -1
	s_clause 0x9
	scratch_load_b128 v[4:7], off, off offset:672
	scratch_load_b128 v[8:11], off, off offset:688
	;; [unrolled: 1-line block ×10, first 2 shown]
	v_mov_b32_e32 v2, 0
	s_mov_b32 s2, exec_lo
	ds_load_b128 v[156:159], v2 offset:1552
	s_clause 0x2
	scratch_load_b128 v[160:163], off, off offset:832
	scratch_load_b128 v[164:167], off, off offset:656
	;; [unrolled: 1-line block ×3, first 2 shown]
	s_wait_loadcnt_dscnt 0xc00
	v_mul_f64_e32 v[176:177], v[158:159], v[6:7]
	v_mul_f64_e32 v[180:181], v[156:157], v[6:7]
	ds_load_b128 v[168:171], v2 offset:1568
	v_fma_f64 v[184:185], v[156:157], v[4:5], -v[176:177]
	v_fmac_f64_e32 v[180:181], v[158:159], v[4:5]
	ds_load_b128 v[4:7], v2 offset:1584
	s_wait_loadcnt_dscnt 0xb01
	v_mul_f64_e32 v[182:183], v[168:169], v[10:11]
	v_mul_f64_e32 v[10:11], v[170:171], v[10:11]
	scratch_load_b128 v[156:159], off, off offset:864
	ds_load_b128 v[176:179], v2 offset:1600
	s_wait_loadcnt_dscnt 0xb01
	v_mul_f64_e32 v[186:187], v[4:5], v[14:15]
	v_mul_f64_e32 v[14:15], v[6:7], v[14:15]
	v_fmac_f64_e32 v[182:183], v[170:171], v[8:9]
	v_fma_f64 v[8:9], v[168:169], v[8:9], -v[10:11]
	v_add_f64_e32 v[10:11], 0, v[184:185]
	v_add_f64_e32 v[168:169], 0, v[180:181]
	s_wait_loadcnt_dscnt 0xa00
	v_mul_f64_e32 v[170:171], v[176:177], v[130:131]
	v_mul_f64_e32 v[130:131], v[178:179], v[130:131]
	v_fmac_f64_e32 v[186:187], v[6:7], v[12:13]
	v_fma_f64 v[12:13], v[4:5], v[12:13], -v[14:15]
	v_add_f64_e32 v[14:15], v[10:11], v[8:9]
	v_add_f64_e32 v[168:169], v[168:169], v[182:183]
	ds_load_b128 v[4:7], v2 offset:1616
	ds_load_b128 v[8:11], v2 offset:1632
	v_fmac_f64_e32 v[170:171], v[178:179], v[128:129]
	v_fma_f64 v[128:129], v[176:177], v[128:129], -v[130:131]
	s_wait_loadcnt_dscnt 0x901
	v_mul_f64_e32 v[180:181], v[4:5], v[134:135]
	v_mul_f64_e32 v[134:135], v[6:7], v[134:135]
	s_wait_loadcnt_dscnt 0x800
	v_mul_f64_e32 v[130:131], v[8:9], v[138:139]
	v_mul_f64_e32 v[138:139], v[10:11], v[138:139]
	v_add_f64_e32 v[12:13], v[14:15], v[12:13]
	v_add_f64_e32 v[14:15], v[168:169], v[186:187]
	v_fmac_f64_e32 v[180:181], v[6:7], v[132:133]
	v_fma_f64 v[132:133], v[4:5], v[132:133], -v[134:135]
	v_fmac_f64_e32 v[130:131], v[10:11], v[136:137]
	v_fma_f64 v[8:9], v[8:9], v[136:137], -v[138:139]
	v_add_f64_e32 v[128:129], v[12:13], v[128:129]
	v_add_f64_e32 v[134:135], v[14:15], v[170:171]
	ds_load_b128 v[4:7], v2 offset:1648
	ds_load_b128 v[12:15], v2 offset:1664
	s_wait_loadcnt_dscnt 0x701
	v_mul_f64_e32 v[168:169], v[4:5], v[142:143]
	v_mul_f64_e32 v[142:143], v[6:7], v[142:143]
	v_add_f64_e32 v[10:11], v[128:129], v[132:133]
	v_add_f64_e32 v[128:129], v[134:135], v[180:181]
	s_wait_loadcnt_dscnt 0x600
	v_mul_f64_e32 v[132:133], v[12:13], v[146:147]
	v_mul_f64_e32 v[134:135], v[14:15], v[146:147]
	v_fmac_f64_e32 v[168:169], v[6:7], v[140:141]
	v_fma_f64 v[136:137], v[4:5], v[140:141], -v[142:143]
	v_add_f64_e32 v[138:139], v[10:11], v[8:9]
	v_add_f64_e32 v[128:129], v[128:129], v[130:131]
	ds_load_b128 v[4:7], v2 offset:1680
	ds_load_b128 v[8:11], v2 offset:1696
	v_fmac_f64_e32 v[132:133], v[14:15], v[144:145]
	v_fma_f64 v[12:13], v[12:13], v[144:145], -v[134:135]
	s_wait_loadcnt_dscnt 0x501
	v_mul_f64_e32 v[130:131], v[4:5], v[150:151]
	v_mul_f64_e32 v[140:141], v[6:7], v[150:151]
	s_wait_loadcnt_dscnt 0x400
	v_mul_f64_e32 v[134:135], v[8:9], v[154:155]
	v_add_f64_e32 v[14:15], v[138:139], v[136:137]
	v_add_f64_e32 v[128:129], v[128:129], v[168:169]
	v_mul_f64_e32 v[136:137], v[10:11], v[154:155]
	v_fmac_f64_e32 v[130:131], v[6:7], v[148:149]
	v_fma_f64 v[138:139], v[4:5], v[148:149], -v[140:141]
	v_fmac_f64_e32 v[134:135], v[10:11], v[152:153]
	v_add_f64_e32 v[140:141], v[14:15], v[12:13]
	v_add_f64_e32 v[128:129], v[128:129], v[132:133]
	ds_load_b128 v[4:7], v2 offset:1712
	ds_load_b128 v[12:15], v2 offset:1728
	v_fma_f64 v[8:9], v[8:9], v[152:153], -v[136:137]
	s_wait_loadcnt_dscnt 0x301
	v_mul_f64_e32 v[132:133], v[4:5], v[162:163]
	v_mul_f64_e32 v[142:143], v[6:7], v[162:163]
	s_wait_loadcnt_dscnt 0x100
	v_mul_f64_e32 v[136:137], v[14:15], v[174:175]
	v_add_f64_e32 v[10:11], v[140:141], v[138:139]
	v_add_f64_e32 v[128:129], v[128:129], v[130:131]
	v_mul_f64_e32 v[130:131], v[12:13], v[174:175]
	v_fmac_f64_e32 v[132:133], v[6:7], v[160:161]
	v_fma_f64 v[138:139], v[4:5], v[160:161], -v[142:143]
	ds_load_b128 v[4:7], v2 offset:1744
	v_fma_f64 v[12:13], v[12:13], v[172:173], -v[136:137]
	v_add_f64_e32 v[8:9], v[10:11], v[8:9]
	v_add_f64_e32 v[10:11], v[128:129], v[134:135]
	v_fmac_f64_e32 v[130:131], v[14:15], v[172:173]
	s_wait_loadcnt_dscnt 0x0
	v_mul_f64_e32 v[128:129], v[4:5], v[158:159]
	v_mul_f64_e32 v[134:135], v[6:7], v[158:159]
	v_add_f64_e32 v[8:9], v[8:9], v[138:139]
	v_add_f64_e32 v[10:11], v[10:11], v[132:133]
	s_delay_alu instid0(VALU_DEP_4) | instskip(NEXT) | instid1(VALU_DEP_4)
	v_fmac_f64_e32 v[128:129], v[6:7], v[156:157]
	v_fma_f64 v[4:5], v[4:5], v[156:157], -v[134:135]
	s_delay_alu instid0(VALU_DEP_4) | instskip(NEXT) | instid1(VALU_DEP_4)
	v_add_f64_e32 v[6:7], v[8:9], v[12:13]
	v_add_f64_e32 v[8:9], v[10:11], v[130:131]
	s_delay_alu instid0(VALU_DEP_2) | instskip(NEXT) | instid1(VALU_DEP_2)
	v_add_f64_e32 v[4:5], v[6:7], v[4:5]
	v_add_f64_e32 v[6:7], v[8:9], v[128:129]
	s_delay_alu instid0(VALU_DEP_2) | instskip(NEXT) | instid1(VALU_DEP_2)
	v_add_f64_e64 v[4:5], v[164:165], -v[4:5]
	v_add_f64_e64 v[6:7], v[166:167], -v[6:7]
	scratch_store_b128 off, v[4:7], off offset:656
	s_wait_xcnt 0x0
	v_cmpx_lt_u32_e32 40, v1
	s_cbranch_execz .LBB54_263
; %bb.262:
	scratch_load_b128 v[6:9], off, s25
	v_dual_mov_b32 v3, v2 :: v_dual_mov_b32 v4, v2
	v_mov_b32_e32 v5, v2
	scratch_store_b128 off, v[2:5], off offset:640
	s_wait_loadcnt 0x0
	ds_store_b128 v126, v[6:9]
.LBB54_263:
	s_wait_xcnt 0x0
	s_or_b32 exec_lo, exec_lo, s2
	s_wait_storecnt_dscnt 0x0
	s_barrier_signal -1
	s_barrier_wait -1
	s_clause 0x9
	scratch_load_b128 v[4:7], off, off offset:656
	scratch_load_b128 v[8:11], off, off offset:672
	;; [unrolled: 1-line block ×10, first 2 shown]
	ds_load_b128 v[156:159], v2 offset:1536
	ds_load_b128 v[164:167], v2 offset:1552
	s_clause 0x2
	scratch_load_b128 v[160:163], off, off offset:816
	scratch_load_b128 v[168:171], off, off offset:640
	;; [unrolled: 1-line block ×3, first 2 shown]
	s_mov_b32 s2, exec_lo
	s_wait_loadcnt_dscnt 0xc01
	v_mul_f64_e32 v[176:177], v[158:159], v[6:7]
	v_mul_f64_e32 v[180:181], v[156:157], v[6:7]
	s_wait_loadcnt_dscnt 0xb00
	v_mul_f64_e32 v[182:183], v[164:165], v[10:11]
	v_mul_f64_e32 v[10:11], v[166:167], v[10:11]
	s_delay_alu instid0(VALU_DEP_4) | instskip(NEXT) | instid1(VALU_DEP_4)
	v_fma_f64 v[184:185], v[156:157], v[4:5], -v[176:177]
	v_fmac_f64_e32 v[180:181], v[158:159], v[4:5]
	ds_load_b128 v[4:7], v2 offset:1568
	ds_load_b128 v[156:159], v2 offset:1584
	scratch_load_b128 v[176:179], off, off offset:848
	v_fmac_f64_e32 v[182:183], v[166:167], v[8:9]
	v_fma_f64 v[164:165], v[164:165], v[8:9], -v[10:11]
	scratch_load_b128 v[8:11], off, off offset:864
	s_wait_loadcnt_dscnt 0xc01
	v_mul_f64_e32 v[186:187], v[4:5], v[14:15]
	v_mul_f64_e32 v[14:15], v[6:7], v[14:15]
	v_add_f64_e32 v[166:167], 0, v[184:185]
	v_add_f64_e32 v[180:181], 0, v[180:181]
	s_wait_loadcnt_dscnt 0xb00
	v_mul_f64_e32 v[184:185], v[156:157], v[130:131]
	v_mul_f64_e32 v[130:131], v[158:159], v[130:131]
	v_fmac_f64_e32 v[186:187], v[6:7], v[12:13]
	v_fma_f64 v[188:189], v[4:5], v[12:13], -v[14:15]
	ds_load_b128 v[4:7], v2 offset:1600
	ds_load_b128 v[12:15], v2 offset:1616
	v_add_f64_e32 v[164:165], v[166:167], v[164:165]
	v_add_f64_e32 v[166:167], v[180:181], v[182:183]
	v_fmac_f64_e32 v[184:185], v[158:159], v[128:129]
	v_fma_f64 v[128:129], v[156:157], v[128:129], -v[130:131]
	s_wait_loadcnt_dscnt 0xa01
	v_mul_f64_e32 v[180:181], v[4:5], v[134:135]
	v_mul_f64_e32 v[134:135], v[6:7], v[134:135]
	s_wait_loadcnt_dscnt 0x900
	v_mul_f64_e32 v[158:159], v[12:13], v[138:139]
	v_mul_f64_e32 v[138:139], v[14:15], v[138:139]
	v_add_f64_e32 v[130:131], v[164:165], v[188:189]
	v_add_f64_e32 v[156:157], v[166:167], v[186:187]
	v_fmac_f64_e32 v[180:181], v[6:7], v[132:133]
	v_fma_f64 v[132:133], v[4:5], v[132:133], -v[134:135]
	v_fmac_f64_e32 v[158:159], v[14:15], v[136:137]
	v_fma_f64 v[12:13], v[12:13], v[136:137], -v[138:139]
	v_add_f64_e32 v[134:135], v[130:131], v[128:129]
	v_add_f64_e32 v[156:157], v[156:157], v[184:185]
	ds_load_b128 v[4:7], v2 offset:1632
	ds_load_b128 v[128:131], v2 offset:1648
	s_wait_loadcnt_dscnt 0x801
	v_mul_f64_e32 v[164:165], v[4:5], v[142:143]
	v_mul_f64_e32 v[142:143], v[6:7], v[142:143]
	s_wait_loadcnt_dscnt 0x700
	v_mul_f64_e32 v[136:137], v[130:131], v[146:147]
	v_add_f64_e32 v[14:15], v[134:135], v[132:133]
	v_add_f64_e32 v[132:133], v[156:157], v[180:181]
	v_mul_f64_e32 v[134:135], v[128:129], v[146:147]
	v_fmac_f64_e32 v[164:165], v[6:7], v[140:141]
	v_fma_f64 v[138:139], v[4:5], v[140:141], -v[142:143]
	v_fma_f64 v[128:129], v[128:129], v[144:145], -v[136:137]
	v_add_f64_e32 v[140:141], v[14:15], v[12:13]
	v_add_f64_e32 v[132:133], v[132:133], v[158:159]
	ds_load_b128 v[4:7], v2 offset:1664
	ds_load_b128 v[12:15], v2 offset:1680
	v_fmac_f64_e32 v[134:135], v[130:131], v[144:145]
	s_wait_loadcnt_dscnt 0x601
	v_mul_f64_e32 v[142:143], v[4:5], v[150:151]
	v_mul_f64_e32 v[146:147], v[6:7], v[150:151]
	s_wait_loadcnt_dscnt 0x500
	v_mul_f64_e32 v[136:137], v[12:13], v[154:155]
	v_add_f64_e32 v[130:131], v[140:141], v[138:139]
	v_add_f64_e32 v[132:133], v[132:133], v[164:165]
	v_mul_f64_e32 v[138:139], v[14:15], v[154:155]
	v_fmac_f64_e32 v[142:143], v[6:7], v[148:149]
	v_fma_f64 v[140:141], v[4:5], v[148:149], -v[146:147]
	v_fmac_f64_e32 v[136:137], v[14:15], v[152:153]
	v_add_f64_e32 v[144:145], v[130:131], v[128:129]
	v_add_f64_e32 v[132:133], v[132:133], v[134:135]
	ds_load_b128 v[4:7], v2 offset:1696
	ds_load_b128 v[128:131], v2 offset:1712
	v_fma_f64 v[12:13], v[12:13], v[152:153], -v[138:139]
	s_wait_loadcnt_dscnt 0x401
	v_mul_f64_e32 v[134:135], v[4:5], v[162:163]
	v_mul_f64_e32 v[146:147], v[6:7], v[162:163]
	s_wait_loadcnt_dscnt 0x200
	v_mul_f64_e32 v[138:139], v[128:129], v[174:175]
	v_add_f64_e32 v[14:15], v[144:145], v[140:141]
	v_add_f64_e32 v[132:133], v[132:133], v[142:143]
	v_mul_f64_e32 v[140:141], v[130:131], v[174:175]
	v_fmac_f64_e32 v[134:135], v[6:7], v[160:161]
	v_fma_f64 v[142:143], v[4:5], v[160:161], -v[146:147]
	v_fmac_f64_e32 v[138:139], v[130:131], v[172:173]
	v_add_f64_e32 v[144:145], v[14:15], v[12:13]
	v_add_f64_e32 v[132:133], v[132:133], v[136:137]
	ds_load_b128 v[4:7], v2 offset:1728
	ds_load_b128 v[12:15], v2 offset:1744
	v_fma_f64 v[128:129], v[128:129], v[172:173], -v[140:141]
	s_wait_loadcnt_dscnt 0x101
	v_mul_f64_e32 v[2:3], v[4:5], v[178:179]
	v_mul_f64_e32 v[136:137], v[6:7], v[178:179]
	v_add_f64_e32 v[130:131], v[144:145], v[142:143]
	v_add_f64_e32 v[132:133], v[132:133], v[134:135]
	s_wait_loadcnt_dscnt 0x0
	v_mul_f64_e32 v[134:135], v[12:13], v[10:11]
	v_mul_f64_e32 v[10:11], v[14:15], v[10:11]
	v_fmac_f64_e32 v[2:3], v[6:7], v[176:177]
	v_fma_f64 v[4:5], v[4:5], v[176:177], -v[136:137]
	v_add_f64_e32 v[6:7], v[130:131], v[128:129]
	v_add_f64_e32 v[128:129], v[132:133], v[138:139]
	v_fmac_f64_e32 v[134:135], v[14:15], v[8:9]
	v_fma_f64 v[8:9], v[12:13], v[8:9], -v[10:11]
	s_delay_alu instid0(VALU_DEP_4) | instskip(NEXT) | instid1(VALU_DEP_4)
	v_add_f64_e32 v[4:5], v[6:7], v[4:5]
	v_add_f64_e32 v[2:3], v[128:129], v[2:3]
	s_delay_alu instid0(VALU_DEP_2) | instskip(NEXT) | instid1(VALU_DEP_2)
	v_add_f64_e32 v[4:5], v[4:5], v[8:9]
	v_add_f64_e32 v[6:7], v[2:3], v[134:135]
	s_delay_alu instid0(VALU_DEP_2) | instskip(NEXT) | instid1(VALU_DEP_2)
	v_add_f64_e64 v[2:3], v[168:169], -v[4:5]
	v_add_f64_e64 v[4:5], v[170:171], -v[6:7]
	scratch_store_b128 off, v[2:5], off offset:640
	s_wait_xcnt 0x0
	v_cmpx_lt_u32_e32 39, v1
	s_cbranch_execz .LBB54_265
; %bb.264:
	scratch_load_b128 v[2:5], off, s24
	v_mov_b32_e32 v6, 0
	s_delay_alu instid0(VALU_DEP_1)
	v_dual_mov_b32 v7, v6 :: v_dual_mov_b32 v8, v6
	v_mov_b32_e32 v9, v6
	scratch_store_b128 off, v[6:9], off offset:624
	s_wait_loadcnt 0x0
	ds_store_b128 v126, v[2:5]
.LBB54_265:
	s_wait_xcnt 0x0
	s_or_b32 exec_lo, exec_lo, s2
	s_wait_storecnt_dscnt 0x0
	s_barrier_signal -1
	s_barrier_wait -1
	s_clause 0x9
	scratch_load_b128 v[4:7], off, off offset:640
	scratch_load_b128 v[8:11], off, off offset:656
	;; [unrolled: 1-line block ×10, first 2 shown]
	v_mov_b32_e32 v2, 0
	s_mov_b32 s2, exec_lo
	ds_load_b128 v[156:159], v2 offset:1520
	s_clause 0x2
	scratch_load_b128 v[160:163], off, off offset:800
	scratch_load_b128 v[164:167], off, off offset:624
	;; [unrolled: 1-line block ×3, first 2 shown]
	s_wait_loadcnt_dscnt 0xc00
	v_mul_f64_e32 v[176:177], v[158:159], v[6:7]
	v_mul_f64_e32 v[180:181], v[156:157], v[6:7]
	ds_load_b128 v[168:171], v2 offset:1536
	v_fma_f64 v[184:185], v[156:157], v[4:5], -v[176:177]
	v_fmac_f64_e32 v[180:181], v[158:159], v[4:5]
	ds_load_b128 v[4:7], v2 offset:1552
	s_wait_loadcnt_dscnt 0xb01
	v_mul_f64_e32 v[182:183], v[168:169], v[10:11]
	v_mul_f64_e32 v[10:11], v[170:171], v[10:11]
	scratch_load_b128 v[156:159], off, off offset:832
	ds_load_b128 v[176:179], v2 offset:1568
	s_wait_loadcnt_dscnt 0xb01
	v_mul_f64_e32 v[186:187], v[4:5], v[14:15]
	v_mul_f64_e32 v[14:15], v[6:7], v[14:15]
	v_add_f64_e32 v[180:181], 0, v[180:181]
	v_fmac_f64_e32 v[182:183], v[170:171], v[8:9]
	v_fma_f64 v[168:169], v[168:169], v[8:9], -v[10:11]
	v_add_f64_e32 v[170:171], 0, v[184:185]
	scratch_load_b128 v[8:11], off, off offset:848
	v_fmac_f64_e32 v[186:187], v[6:7], v[12:13]
	v_fma_f64 v[188:189], v[4:5], v[12:13], -v[14:15]
	ds_load_b128 v[4:7], v2 offset:1584
	s_wait_loadcnt_dscnt 0xb01
	v_mul_f64_e32 v[184:185], v[176:177], v[130:131]
	v_mul_f64_e32 v[130:131], v[178:179], v[130:131]
	scratch_load_b128 v[12:15], off, off offset:864
	v_add_f64_e32 v[180:181], v[180:181], v[182:183]
	v_add_f64_e32 v[190:191], v[170:171], v[168:169]
	ds_load_b128 v[168:171], v2 offset:1600
	s_wait_loadcnt_dscnt 0xb01
	v_mul_f64_e32 v[182:183], v[4:5], v[134:135]
	v_mul_f64_e32 v[134:135], v[6:7], v[134:135]
	v_fmac_f64_e32 v[184:185], v[178:179], v[128:129]
	v_fma_f64 v[128:129], v[176:177], v[128:129], -v[130:131]
	s_wait_loadcnt_dscnt 0xa00
	v_mul_f64_e32 v[178:179], v[168:169], v[138:139]
	v_mul_f64_e32 v[138:139], v[170:171], v[138:139]
	v_add_f64_e32 v[176:177], v[180:181], v[186:187]
	v_add_f64_e32 v[130:131], v[190:191], v[188:189]
	v_fmac_f64_e32 v[182:183], v[6:7], v[132:133]
	v_fma_f64 v[132:133], v[4:5], v[132:133], -v[134:135]
	v_fmac_f64_e32 v[178:179], v[170:171], v[136:137]
	v_fma_f64 v[136:137], v[168:169], v[136:137], -v[138:139]
	v_add_f64_e32 v[176:177], v[176:177], v[184:185]
	v_add_f64_e32 v[134:135], v[130:131], v[128:129]
	ds_load_b128 v[4:7], v2 offset:1616
	ds_load_b128 v[128:131], v2 offset:1632
	s_wait_loadcnt_dscnt 0x901
	v_mul_f64_e32 v[180:181], v[4:5], v[142:143]
	v_mul_f64_e32 v[142:143], v[6:7], v[142:143]
	s_wait_loadcnt_dscnt 0x800
	v_mul_f64_e32 v[138:139], v[128:129], v[146:147]
	v_mul_f64_e32 v[146:147], v[130:131], v[146:147]
	v_add_f64_e32 v[132:133], v[134:135], v[132:133]
	v_add_f64_e32 v[134:135], v[176:177], v[182:183]
	v_fmac_f64_e32 v[180:181], v[6:7], v[140:141]
	v_fma_f64 v[140:141], v[4:5], v[140:141], -v[142:143]
	v_fmac_f64_e32 v[138:139], v[130:131], v[144:145]
	v_fma_f64 v[128:129], v[128:129], v[144:145], -v[146:147]
	v_add_f64_e32 v[136:137], v[132:133], v[136:137]
	v_add_f64_e32 v[142:143], v[134:135], v[178:179]
	ds_load_b128 v[4:7], v2 offset:1648
	ds_load_b128 v[132:135], v2 offset:1664
	s_wait_loadcnt_dscnt 0x701
	v_mul_f64_e32 v[168:169], v[4:5], v[150:151]
	v_mul_f64_e32 v[150:151], v[6:7], v[150:151]
	v_add_f64_e32 v[130:131], v[136:137], v[140:141]
	v_add_f64_e32 v[136:137], v[142:143], v[180:181]
	s_wait_loadcnt_dscnt 0x600
	v_mul_f64_e32 v[140:141], v[132:133], v[154:155]
	v_mul_f64_e32 v[142:143], v[134:135], v[154:155]
	v_fmac_f64_e32 v[168:169], v[6:7], v[148:149]
	v_fma_f64 v[144:145], v[4:5], v[148:149], -v[150:151]
	v_add_f64_e32 v[146:147], v[130:131], v[128:129]
	v_add_f64_e32 v[136:137], v[136:137], v[138:139]
	ds_load_b128 v[4:7], v2 offset:1680
	ds_load_b128 v[128:131], v2 offset:1696
	v_fmac_f64_e32 v[140:141], v[134:135], v[152:153]
	v_fma_f64 v[132:133], v[132:133], v[152:153], -v[142:143]
	s_wait_loadcnt_dscnt 0x501
	v_mul_f64_e32 v[138:139], v[4:5], v[162:163]
	v_mul_f64_e32 v[148:149], v[6:7], v[162:163]
	s_wait_loadcnt_dscnt 0x300
	v_mul_f64_e32 v[142:143], v[128:129], v[174:175]
	v_add_f64_e32 v[134:135], v[146:147], v[144:145]
	v_add_f64_e32 v[136:137], v[136:137], v[168:169]
	v_mul_f64_e32 v[144:145], v[130:131], v[174:175]
	v_fmac_f64_e32 v[138:139], v[6:7], v[160:161]
	v_fma_f64 v[146:147], v[4:5], v[160:161], -v[148:149]
	v_fmac_f64_e32 v[142:143], v[130:131], v[172:173]
	v_add_f64_e32 v[148:149], v[134:135], v[132:133]
	v_add_f64_e32 v[136:137], v[136:137], v[140:141]
	ds_load_b128 v[4:7], v2 offset:1712
	ds_load_b128 v[132:135], v2 offset:1728
	v_fma_f64 v[128:129], v[128:129], v[172:173], -v[144:145]
	s_wait_loadcnt_dscnt 0x201
	v_mul_f64_e32 v[140:141], v[4:5], v[158:159]
	v_mul_f64_e32 v[150:151], v[6:7], v[158:159]
	v_add_f64_e32 v[130:131], v[148:149], v[146:147]
	v_add_f64_e32 v[136:137], v[136:137], v[138:139]
	s_wait_loadcnt_dscnt 0x100
	v_mul_f64_e32 v[138:139], v[132:133], v[10:11]
	v_mul_f64_e32 v[10:11], v[134:135], v[10:11]
	v_fmac_f64_e32 v[140:141], v[6:7], v[156:157]
	v_fma_f64 v[144:145], v[4:5], v[156:157], -v[150:151]
	ds_load_b128 v[4:7], v2 offset:1744
	v_add_f64_e32 v[128:129], v[130:131], v[128:129]
	v_add_f64_e32 v[130:131], v[136:137], v[142:143]
	v_fmac_f64_e32 v[138:139], v[134:135], v[8:9]
	v_fma_f64 v[8:9], v[132:133], v[8:9], -v[10:11]
	s_wait_loadcnt_dscnt 0x0
	v_mul_f64_e32 v[136:137], v[4:5], v[14:15]
	v_mul_f64_e32 v[14:15], v[6:7], v[14:15]
	v_add_f64_e32 v[10:11], v[128:129], v[144:145]
	v_add_f64_e32 v[128:129], v[130:131], v[140:141]
	s_delay_alu instid0(VALU_DEP_4) | instskip(NEXT) | instid1(VALU_DEP_4)
	v_fmac_f64_e32 v[136:137], v[6:7], v[12:13]
	v_fma_f64 v[4:5], v[4:5], v[12:13], -v[14:15]
	s_delay_alu instid0(VALU_DEP_4) | instskip(NEXT) | instid1(VALU_DEP_4)
	v_add_f64_e32 v[6:7], v[10:11], v[8:9]
	v_add_f64_e32 v[8:9], v[128:129], v[138:139]
	s_delay_alu instid0(VALU_DEP_2) | instskip(NEXT) | instid1(VALU_DEP_2)
	v_add_f64_e32 v[4:5], v[6:7], v[4:5]
	v_add_f64_e32 v[6:7], v[8:9], v[136:137]
	s_delay_alu instid0(VALU_DEP_2) | instskip(NEXT) | instid1(VALU_DEP_2)
	v_add_f64_e64 v[4:5], v[164:165], -v[4:5]
	v_add_f64_e64 v[6:7], v[166:167], -v[6:7]
	scratch_store_b128 off, v[4:7], off offset:624
	s_wait_xcnt 0x0
	v_cmpx_lt_u32_e32 38, v1
	s_cbranch_execz .LBB54_267
; %bb.266:
	scratch_load_b128 v[6:9], off, s29
	v_dual_mov_b32 v3, v2 :: v_dual_mov_b32 v4, v2
	v_mov_b32_e32 v5, v2
	scratch_store_b128 off, v[2:5], off offset:608
	s_wait_loadcnt 0x0
	ds_store_b128 v126, v[6:9]
.LBB54_267:
	s_wait_xcnt 0x0
	s_or_b32 exec_lo, exec_lo, s2
	s_wait_storecnt_dscnt 0x0
	s_barrier_signal -1
	s_barrier_wait -1
	s_clause 0x9
	scratch_load_b128 v[4:7], off, off offset:624
	scratch_load_b128 v[8:11], off, off offset:640
	;; [unrolled: 1-line block ×10, first 2 shown]
	ds_load_b128 v[156:159], v2 offset:1504
	ds_load_b128 v[164:167], v2 offset:1520
	s_clause 0x2
	scratch_load_b128 v[160:163], off, off offset:784
	scratch_load_b128 v[168:171], off, off offset:608
	;; [unrolled: 1-line block ×3, first 2 shown]
	s_mov_b32 s2, exec_lo
	s_wait_loadcnt_dscnt 0xc01
	v_mul_f64_e32 v[176:177], v[158:159], v[6:7]
	v_mul_f64_e32 v[180:181], v[156:157], v[6:7]
	s_wait_loadcnt_dscnt 0xb00
	v_mul_f64_e32 v[182:183], v[164:165], v[10:11]
	v_mul_f64_e32 v[10:11], v[166:167], v[10:11]
	s_delay_alu instid0(VALU_DEP_4) | instskip(NEXT) | instid1(VALU_DEP_4)
	v_fma_f64 v[184:185], v[156:157], v[4:5], -v[176:177]
	v_fmac_f64_e32 v[180:181], v[158:159], v[4:5]
	ds_load_b128 v[4:7], v2 offset:1536
	ds_load_b128 v[156:159], v2 offset:1552
	scratch_load_b128 v[176:179], off, off offset:816
	v_fmac_f64_e32 v[182:183], v[166:167], v[8:9]
	v_fma_f64 v[164:165], v[164:165], v[8:9], -v[10:11]
	scratch_load_b128 v[8:11], off, off offset:832
	s_wait_loadcnt_dscnt 0xc01
	v_mul_f64_e32 v[186:187], v[4:5], v[14:15]
	v_mul_f64_e32 v[14:15], v[6:7], v[14:15]
	v_add_f64_e32 v[166:167], 0, v[184:185]
	v_add_f64_e32 v[180:181], 0, v[180:181]
	s_wait_loadcnt_dscnt 0xb00
	v_mul_f64_e32 v[184:185], v[156:157], v[130:131]
	v_mul_f64_e32 v[130:131], v[158:159], v[130:131]
	v_fmac_f64_e32 v[186:187], v[6:7], v[12:13]
	v_fma_f64 v[188:189], v[4:5], v[12:13], -v[14:15]
	ds_load_b128 v[4:7], v2 offset:1568
	ds_load_b128 v[12:15], v2 offset:1584
	v_add_f64_e32 v[190:191], v[166:167], v[164:165]
	v_add_f64_e32 v[180:181], v[180:181], v[182:183]
	scratch_load_b128 v[164:167], off, off offset:848
	v_fmac_f64_e32 v[184:185], v[158:159], v[128:129]
	v_fma_f64 v[156:157], v[156:157], v[128:129], -v[130:131]
	scratch_load_b128 v[128:131], off, off offset:864
	s_wait_loadcnt_dscnt 0xc01
	v_mul_f64_e32 v[182:183], v[4:5], v[134:135]
	v_mul_f64_e32 v[134:135], v[6:7], v[134:135]
	v_add_f64_e32 v[158:159], v[190:191], v[188:189]
	v_add_f64_e32 v[180:181], v[180:181], v[186:187]
	s_wait_loadcnt_dscnt 0xb00
	v_mul_f64_e32 v[186:187], v[12:13], v[138:139]
	v_mul_f64_e32 v[138:139], v[14:15], v[138:139]
	v_fmac_f64_e32 v[182:183], v[6:7], v[132:133]
	v_fma_f64 v[188:189], v[4:5], v[132:133], -v[134:135]
	ds_load_b128 v[4:7], v2 offset:1600
	ds_load_b128 v[132:135], v2 offset:1616
	v_add_f64_e32 v[156:157], v[158:159], v[156:157]
	v_add_f64_e32 v[158:159], v[180:181], v[184:185]
	s_wait_loadcnt_dscnt 0xa01
	v_mul_f64_e32 v[180:181], v[4:5], v[142:143]
	v_mul_f64_e32 v[142:143], v[6:7], v[142:143]
	v_fmac_f64_e32 v[186:187], v[14:15], v[136:137]
	v_fma_f64 v[12:13], v[12:13], v[136:137], -v[138:139]
	s_wait_loadcnt_dscnt 0x900
	v_mul_f64_e32 v[138:139], v[132:133], v[146:147]
	v_mul_f64_e32 v[146:147], v[134:135], v[146:147]
	v_add_f64_e32 v[14:15], v[156:157], v[188:189]
	v_add_f64_e32 v[136:137], v[158:159], v[182:183]
	v_fmac_f64_e32 v[180:181], v[6:7], v[140:141]
	v_fma_f64 v[140:141], v[4:5], v[140:141], -v[142:143]
	v_fmac_f64_e32 v[138:139], v[134:135], v[144:145]
	v_fma_f64 v[132:133], v[132:133], v[144:145], -v[146:147]
	v_add_f64_e32 v[142:143], v[14:15], v[12:13]
	v_add_f64_e32 v[136:137], v[136:137], v[186:187]
	ds_load_b128 v[4:7], v2 offset:1632
	ds_load_b128 v[12:15], v2 offset:1648
	s_wait_loadcnt_dscnt 0x801
	v_mul_f64_e32 v[156:157], v[4:5], v[150:151]
	v_mul_f64_e32 v[150:151], v[6:7], v[150:151]
	v_add_f64_e32 v[134:135], v[142:143], v[140:141]
	v_add_f64_e32 v[136:137], v[136:137], v[180:181]
	s_wait_loadcnt_dscnt 0x700
	v_mul_f64_e32 v[140:141], v[12:13], v[154:155]
	v_mul_f64_e32 v[142:143], v[14:15], v[154:155]
	v_fmac_f64_e32 v[156:157], v[6:7], v[148:149]
	v_fma_f64 v[144:145], v[4:5], v[148:149], -v[150:151]
	v_add_f64_e32 v[146:147], v[134:135], v[132:133]
	v_add_f64_e32 v[136:137], v[136:137], v[138:139]
	ds_load_b128 v[4:7], v2 offset:1664
	ds_load_b128 v[132:135], v2 offset:1680
	v_fmac_f64_e32 v[140:141], v[14:15], v[152:153]
	v_fma_f64 v[12:13], v[12:13], v[152:153], -v[142:143]
	s_wait_loadcnt_dscnt 0x601
	v_mul_f64_e32 v[138:139], v[4:5], v[162:163]
	v_mul_f64_e32 v[148:149], v[6:7], v[162:163]
	s_wait_loadcnt_dscnt 0x400
	v_mul_f64_e32 v[142:143], v[132:133], v[174:175]
	v_add_f64_e32 v[14:15], v[146:147], v[144:145]
	v_add_f64_e32 v[136:137], v[136:137], v[156:157]
	v_mul_f64_e32 v[144:145], v[134:135], v[174:175]
	v_fmac_f64_e32 v[138:139], v[6:7], v[160:161]
	v_fma_f64 v[146:147], v[4:5], v[160:161], -v[148:149]
	v_fmac_f64_e32 v[142:143], v[134:135], v[172:173]
	v_add_f64_e32 v[148:149], v[14:15], v[12:13]
	v_add_f64_e32 v[136:137], v[136:137], v[140:141]
	ds_load_b128 v[4:7], v2 offset:1696
	ds_load_b128 v[12:15], v2 offset:1712
	v_fma_f64 v[132:133], v[132:133], v[172:173], -v[144:145]
	s_wait_loadcnt_dscnt 0x301
	v_mul_f64_e32 v[140:141], v[4:5], v[178:179]
	v_mul_f64_e32 v[150:151], v[6:7], v[178:179]
	v_add_f64_e32 v[134:135], v[148:149], v[146:147]
	v_add_f64_e32 v[136:137], v[136:137], v[138:139]
	s_wait_loadcnt_dscnt 0x200
	v_mul_f64_e32 v[138:139], v[12:13], v[10:11]
	v_mul_f64_e32 v[10:11], v[14:15], v[10:11]
	v_fmac_f64_e32 v[140:141], v[6:7], v[176:177]
	v_fma_f64 v[144:145], v[4:5], v[176:177], -v[150:151]
	v_add_f64_e32 v[146:147], v[134:135], v[132:133]
	v_add_f64_e32 v[136:137], v[136:137], v[142:143]
	ds_load_b128 v[4:7], v2 offset:1728
	ds_load_b128 v[132:135], v2 offset:1744
	v_fmac_f64_e32 v[138:139], v[14:15], v[8:9]
	v_fma_f64 v[8:9], v[12:13], v[8:9], -v[10:11]
	s_wait_loadcnt_dscnt 0x101
	v_mul_f64_e32 v[2:3], v[4:5], v[166:167]
	v_mul_f64_e32 v[142:143], v[6:7], v[166:167]
	s_wait_loadcnt_dscnt 0x0
	v_mul_f64_e32 v[14:15], v[132:133], v[130:131]
	v_mul_f64_e32 v[130:131], v[134:135], v[130:131]
	v_add_f64_e32 v[10:11], v[146:147], v[144:145]
	v_add_f64_e32 v[12:13], v[136:137], v[140:141]
	v_fmac_f64_e32 v[2:3], v[6:7], v[164:165]
	v_fma_f64 v[4:5], v[4:5], v[164:165], -v[142:143]
	v_fmac_f64_e32 v[14:15], v[134:135], v[128:129]
	v_add_f64_e32 v[6:7], v[10:11], v[8:9]
	v_add_f64_e32 v[8:9], v[12:13], v[138:139]
	v_fma_f64 v[10:11], v[132:133], v[128:129], -v[130:131]
	s_delay_alu instid0(VALU_DEP_3) | instskip(NEXT) | instid1(VALU_DEP_3)
	v_add_f64_e32 v[4:5], v[6:7], v[4:5]
	v_add_f64_e32 v[2:3], v[8:9], v[2:3]
	s_delay_alu instid0(VALU_DEP_2) | instskip(NEXT) | instid1(VALU_DEP_2)
	v_add_f64_e32 v[4:5], v[4:5], v[10:11]
	v_add_f64_e32 v[6:7], v[2:3], v[14:15]
	s_delay_alu instid0(VALU_DEP_2) | instskip(NEXT) | instid1(VALU_DEP_2)
	v_add_f64_e64 v[2:3], v[168:169], -v[4:5]
	v_add_f64_e64 v[4:5], v[170:171], -v[6:7]
	scratch_store_b128 off, v[2:5], off offset:608
	s_wait_xcnt 0x0
	v_cmpx_lt_u32_e32 37, v1
	s_cbranch_execz .LBB54_269
; %bb.268:
	scratch_load_b128 v[2:5], off, s28
	v_mov_b32_e32 v6, 0
	s_delay_alu instid0(VALU_DEP_1)
	v_dual_mov_b32 v7, v6 :: v_dual_mov_b32 v8, v6
	v_mov_b32_e32 v9, v6
	scratch_store_b128 off, v[6:9], off offset:592
	s_wait_loadcnt 0x0
	ds_store_b128 v126, v[2:5]
.LBB54_269:
	s_wait_xcnt 0x0
	s_or_b32 exec_lo, exec_lo, s2
	s_wait_storecnt_dscnt 0x0
	s_barrier_signal -1
	s_barrier_wait -1
	s_clause 0x9
	scratch_load_b128 v[4:7], off, off offset:608
	scratch_load_b128 v[8:11], off, off offset:624
	;; [unrolled: 1-line block ×10, first 2 shown]
	v_mov_b32_e32 v2, 0
	s_mov_b32 s2, exec_lo
	ds_load_b128 v[156:159], v2 offset:1488
	s_clause 0x2
	scratch_load_b128 v[160:163], off, off offset:768
	scratch_load_b128 v[164:167], off, off offset:592
	;; [unrolled: 1-line block ×3, first 2 shown]
	s_wait_loadcnt_dscnt 0xc00
	v_mul_f64_e32 v[176:177], v[158:159], v[6:7]
	v_mul_f64_e32 v[180:181], v[156:157], v[6:7]
	ds_load_b128 v[168:171], v2 offset:1504
	v_fma_f64 v[184:185], v[156:157], v[4:5], -v[176:177]
	v_fmac_f64_e32 v[180:181], v[158:159], v[4:5]
	ds_load_b128 v[4:7], v2 offset:1520
	s_wait_loadcnt_dscnt 0xb01
	v_mul_f64_e32 v[182:183], v[168:169], v[10:11]
	v_mul_f64_e32 v[10:11], v[170:171], v[10:11]
	scratch_load_b128 v[156:159], off, off offset:800
	ds_load_b128 v[176:179], v2 offset:1536
	s_wait_loadcnt_dscnt 0xb01
	v_mul_f64_e32 v[186:187], v[4:5], v[14:15]
	v_mul_f64_e32 v[14:15], v[6:7], v[14:15]
	v_add_f64_e32 v[180:181], 0, v[180:181]
	v_fmac_f64_e32 v[182:183], v[170:171], v[8:9]
	v_fma_f64 v[168:169], v[168:169], v[8:9], -v[10:11]
	v_add_f64_e32 v[170:171], 0, v[184:185]
	scratch_load_b128 v[8:11], off, off offset:816
	v_fmac_f64_e32 v[186:187], v[6:7], v[12:13]
	v_fma_f64 v[188:189], v[4:5], v[12:13], -v[14:15]
	ds_load_b128 v[4:7], v2 offset:1552
	s_wait_loadcnt_dscnt 0xb01
	v_mul_f64_e32 v[184:185], v[176:177], v[130:131]
	v_mul_f64_e32 v[130:131], v[178:179], v[130:131]
	scratch_load_b128 v[12:15], off, off offset:832
	v_add_f64_e32 v[180:181], v[180:181], v[182:183]
	v_add_f64_e32 v[190:191], v[170:171], v[168:169]
	ds_load_b128 v[168:171], v2 offset:1568
	s_wait_loadcnt_dscnt 0xb01
	v_mul_f64_e32 v[182:183], v[4:5], v[134:135]
	v_mul_f64_e32 v[134:135], v[6:7], v[134:135]
	v_fmac_f64_e32 v[184:185], v[178:179], v[128:129]
	v_fma_f64 v[176:177], v[176:177], v[128:129], -v[130:131]
	scratch_load_b128 v[128:131], off, off offset:848
	v_add_f64_e32 v[180:181], v[180:181], v[186:187]
	v_add_f64_e32 v[178:179], v[190:191], v[188:189]
	v_fmac_f64_e32 v[182:183], v[6:7], v[132:133]
	v_fma_f64 v[188:189], v[4:5], v[132:133], -v[134:135]
	ds_load_b128 v[4:7], v2 offset:1584
	s_wait_loadcnt_dscnt 0xb01
	v_mul_f64_e32 v[186:187], v[168:169], v[138:139]
	v_mul_f64_e32 v[138:139], v[170:171], v[138:139]
	scratch_load_b128 v[132:135], off, off offset:864
	v_add_f64_e32 v[180:181], v[180:181], v[184:185]
	s_wait_loadcnt_dscnt 0xb00
	v_mul_f64_e32 v[184:185], v[4:5], v[142:143]
	v_add_f64_e32 v[190:191], v[178:179], v[176:177]
	v_mul_f64_e32 v[142:143], v[6:7], v[142:143]
	ds_load_b128 v[176:179], v2 offset:1600
	v_fmac_f64_e32 v[186:187], v[170:171], v[136:137]
	v_fma_f64 v[136:137], v[168:169], v[136:137], -v[138:139]
	s_wait_loadcnt_dscnt 0xa00
	v_mul_f64_e32 v[170:171], v[176:177], v[146:147]
	v_mul_f64_e32 v[146:147], v[178:179], v[146:147]
	v_add_f64_e32 v[168:169], v[180:181], v[182:183]
	v_fmac_f64_e32 v[184:185], v[6:7], v[140:141]
	v_add_f64_e32 v[138:139], v[190:191], v[188:189]
	v_fma_f64 v[140:141], v[4:5], v[140:141], -v[142:143]
	v_fmac_f64_e32 v[170:171], v[178:179], v[144:145]
	v_fma_f64 v[144:145], v[176:177], v[144:145], -v[146:147]
	v_add_f64_e32 v[168:169], v[168:169], v[186:187]
	v_add_f64_e32 v[142:143], v[138:139], v[136:137]
	ds_load_b128 v[4:7], v2 offset:1616
	ds_load_b128 v[136:139], v2 offset:1632
	s_wait_loadcnt_dscnt 0x901
	v_mul_f64_e32 v[180:181], v[4:5], v[150:151]
	v_mul_f64_e32 v[150:151], v[6:7], v[150:151]
	s_wait_loadcnt_dscnt 0x800
	v_mul_f64_e32 v[146:147], v[136:137], v[154:155]
	v_mul_f64_e32 v[154:155], v[138:139], v[154:155]
	v_add_f64_e32 v[140:141], v[142:143], v[140:141]
	v_add_f64_e32 v[142:143], v[168:169], v[184:185]
	v_fmac_f64_e32 v[180:181], v[6:7], v[148:149]
	v_fma_f64 v[148:149], v[4:5], v[148:149], -v[150:151]
	v_fmac_f64_e32 v[146:147], v[138:139], v[152:153]
	v_fma_f64 v[136:137], v[136:137], v[152:153], -v[154:155]
	v_add_f64_e32 v[144:145], v[140:141], v[144:145]
	v_add_f64_e32 v[150:151], v[142:143], v[170:171]
	ds_load_b128 v[4:7], v2 offset:1648
	ds_load_b128 v[140:143], v2 offset:1664
	s_wait_loadcnt_dscnt 0x701
	v_mul_f64_e32 v[168:169], v[4:5], v[162:163]
	v_mul_f64_e32 v[162:163], v[6:7], v[162:163]
	v_add_f64_e32 v[138:139], v[144:145], v[148:149]
	v_add_f64_e32 v[144:145], v[150:151], v[180:181]
	s_wait_loadcnt_dscnt 0x500
	v_mul_f64_e32 v[148:149], v[140:141], v[174:175]
	v_mul_f64_e32 v[150:151], v[142:143], v[174:175]
	v_fmac_f64_e32 v[168:169], v[6:7], v[160:161]
	v_fma_f64 v[152:153], v[4:5], v[160:161], -v[162:163]
	v_add_f64_e32 v[154:155], v[138:139], v[136:137]
	v_add_f64_e32 v[144:145], v[144:145], v[146:147]
	ds_load_b128 v[4:7], v2 offset:1680
	ds_load_b128 v[136:139], v2 offset:1696
	v_fmac_f64_e32 v[148:149], v[142:143], v[172:173]
	v_fma_f64 v[140:141], v[140:141], v[172:173], -v[150:151]
	s_wait_loadcnt_dscnt 0x401
	v_mul_f64_e32 v[146:147], v[4:5], v[158:159]
	v_mul_f64_e32 v[158:159], v[6:7], v[158:159]
	v_add_f64_e32 v[142:143], v[154:155], v[152:153]
	v_add_f64_e32 v[144:145], v[144:145], v[168:169]
	s_wait_loadcnt_dscnt 0x300
	v_mul_f64_e32 v[150:151], v[136:137], v[10:11]
	v_mul_f64_e32 v[10:11], v[138:139], v[10:11]
	v_fmac_f64_e32 v[146:147], v[6:7], v[156:157]
	v_fma_f64 v[152:153], v[4:5], v[156:157], -v[158:159]
	v_add_f64_e32 v[154:155], v[142:143], v[140:141]
	v_add_f64_e32 v[144:145], v[144:145], v[148:149]
	ds_load_b128 v[4:7], v2 offset:1712
	ds_load_b128 v[140:143], v2 offset:1728
	v_fmac_f64_e32 v[150:151], v[138:139], v[8:9]
	v_fma_f64 v[8:9], v[136:137], v[8:9], -v[10:11]
	s_wait_loadcnt_dscnt 0x201
	v_mul_f64_e32 v[148:149], v[4:5], v[14:15]
	v_mul_f64_e32 v[14:15], v[6:7], v[14:15]
	s_wait_loadcnt_dscnt 0x100
	v_mul_f64_e32 v[138:139], v[140:141], v[130:131]
	v_mul_f64_e32 v[130:131], v[142:143], v[130:131]
	v_add_f64_e32 v[10:11], v[154:155], v[152:153]
	v_add_f64_e32 v[136:137], v[144:145], v[146:147]
	v_fmac_f64_e32 v[148:149], v[6:7], v[12:13]
	v_fma_f64 v[12:13], v[4:5], v[12:13], -v[14:15]
	ds_load_b128 v[4:7], v2 offset:1744
	v_fmac_f64_e32 v[138:139], v[142:143], v[128:129]
	v_fma_f64 v[128:129], v[140:141], v[128:129], -v[130:131]
	v_add_f64_e32 v[8:9], v[10:11], v[8:9]
	v_add_f64_e32 v[10:11], v[136:137], v[150:151]
	s_wait_loadcnt_dscnt 0x0
	v_mul_f64_e32 v[14:15], v[4:5], v[134:135]
	v_mul_f64_e32 v[134:135], v[6:7], v[134:135]
	s_delay_alu instid0(VALU_DEP_4) | instskip(NEXT) | instid1(VALU_DEP_4)
	v_add_f64_e32 v[8:9], v[8:9], v[12:13]
	v_add_f64_e32 v[10:11], v[10:11], v[148:149]
	s_delay_alu instid0(VALU_DEP_4) | instskip(NEXT) | instid1(VALU_DEP_4)
	v_fmac_f64_e32 v[14:15], v[6:7], v[132:133]
	v_fma_f64 v[4:5], v[4:5], v[132:133], -v[134:135]
	s_delay_alu instid0(VALU_DEP_4) | instskip(NEXT) | instid1(VALU_DEP_4)
	v_add_f64_e32 v[6:7], v[8:9], v[128:129]
	v_add_f64_e32 v[8:9], v[10:11], v[138:139]
	s_delay_alu instid0(VALU_DEP_2) | instskip(NEXT) | instid1(VALU_DEP_2)
	v_add_f64_e32 v[4:5], v[6:7], v[4:5]
	v_add_f64_e32 v[6:7], v[8:9], v[14:15]
	s_delay_alu instid0(VALU_DEP_2) | instskip(NEXT) | instid1(VALU_DEP_2)
	v_add_f64_e64 v[4:5], v[164:165], -v[4:5]
	v_add_f64_e64 v[6:7], v[166:167], -v[6:7]
	scratch_store_b128 off, v[4:7], off offset:592
	s_wait_xcnt 0x0
	v_cmpx_lt_u32_e32 36, v1
	s_cbranch_execz .LBB54_271
; %bb.270:
	scratch_load_b128 v[6:9], off, s37
	v_dual_mov_b32 v3, v2 :: v_dual_mov_b32 v4, v2
	v_mov_b32_e32 v5, v2
	scratch_store_b128 off, v[2:5], off offset:576
	s_wait_loadcnt 0x0
	ds_store_b128 v126, v[6:9]
.LBB54_271:
	s_wait_xcnt 0x0
	s_or_b32 exec_lo, exec_lo, s2
	s_wait_storecnt_dscnt 0x0
	s_barrier_signal -1
	s_barrier_wait -1
	s_clause 0x9
	scratch_load_b128 v[4:7], off, off offset:592
	scratch_load_b128 v[8:11], off, off offset:608
	;; [unrolled: 1-line block ×10, first 2 shown]
	ds_load_b128 v[156:159], v2 offset:1472
	ds_load_b128 v[164:167], v2 offset:1488
	s_clause 0x2
	scratch_load_b128 v[160:163], off, off offset:752
	scratch_load_b128 v[168:171], off, off offset:576
	;; [unrolled: 1-line block ×3, first 2 shown]
	s_mov_b32 s2, exec_lo
	s_wait_loadcnt_dscnt 0xc01
	v_mul_f64_e32 v[176:177], v[158:159], v[6:7]
	v_mul_f64_e32 v[180:181], v[156:157], v[6:7]
	s_wait_loadcnt_dscnt 0xb00
	v_mul_f64_e32 v[182:183], v[164:165], v[10:11]
	v_mul_f64_e32 v[10:11], v[166:167], v[10:11]
	s_delay_alu instid0(VALU_DEP_4) | instskip(NEXT) | instid1(VALU_DEP_4)
	v_fma_f64 v[184:185], v[156:157], v[4:5], -v[176:177]
	v_fmac_f64_e32 v[180:181], v[158:159], v[4:5]
	ds_load_b128 v[4:7], v2 offset:1504
	ds_load_b128 v[156:159], v2 offset:1520
	scratch_load_b128 v[176:179], off, off offset:784
	v_fmac_f64_e32 v[182:183], v[166:167], v[8:9]
	v_fma_f64 v[164:165], v[164:165], v[8:9], -v[10:11]
	scratch_load_b128 v[8:11], off, off offset:800
	s_wait_loadcnt_dscnt 0xc01
	v_mul_f64_e32 v[186:187], v[4:5], v[14:15]
	v_mul_f64_e32 v[14:15], v[6:7], v[14:15]
	v_add_f64_e32 v[166:167], 0, v[184:185]
	v_add_f64_e32 v[180:181], 0, v[180:181]
	s_wait_loadcnt_dscnt 0xb00
	v_mul_f64_e32 v[184:185], v[156:157], v[130:131]
	v_mul_f64_e32 v[130:131], v[158:159], v[130:131]
	v_fmac_f64_e32 v[186:187], v[6:7], v[12:13]
	v_fma_f64 v[188:189], v[4:5], v[12:13], -v[14:15]
	ds_load_b128 v[4:7], v2 offset:1536
	ds_load_b128 v[12:15], v2 offset:1552
	v_add_f64_e32 v[190:191], v[166:167], v[164:165]
	v_add_f64_e32 v[180:181], v[180:181], v[182:183]
	scratch_load_b128 v[164:167], off, off offset:816
	v_fmac_f64_e32 v[184:185], v[158:159], v[128:129]
	v_fma_f64 v[156:157], v[156:157], v[128:129], -v[130:131]
	scratch_load_b128 v[128:131], off, off offset:832
	s_wait_loadcnt_dscnt 0xc01
	v_mul_f64_e32 v[182:183], v[4:5], v[134:135]
	v_mul_f64_e32 v[134:135], v[6:7], v[134:135]
	v_add_f64_e32 v[158:159], v[190:191], v[188:189]
	v_add_f64_e32 v[180:181], v[180:181], v[186:187]
	s_wait_loadcnt_dscnt 0xb00
	v_mul_f64_e32 v[186:187], v[12:13], v[138:139]
	v_mul_f64_e32 v[138:139], v[14:15], v[138:139]
	v_fmac_f64_e32 v[182:183], v[6:7], v[132:133]
	v_fma_f64 v[188:189], v[4:5], v[132:133], -v[134:135]
	ds_load_b128 v[4:7], v2 offset:1568
	ds_load_b128 v[132:135], v2 offset:1584
	v_add_f64_e32 v[190:191], v[158:159], v[156:157]
	v_add_f64_e32 v[180:181], v[180:181], v[184:185]
	scratch_load_b128 v[156:159], off, off offset:848
	s_wait_loadcnt_dscnt 0xb01
	v_mul_f64_e32 v[184:185], v[4:5], v[142:143]
	v_mul_f64_e32 v[142:143], v[6:7], v[142:143]
	v_fmac_f64_e32 v[186:187], v[14:15], v[136:137]
	v_fma_f64 v[136:137], v[12:13], v[136:137], -v[138:139]
	scratch_load_b128 v[12:15], off, off offset:864
	v_add_f64_e32 v[138:139], v[190:191], v[188:189]
	v_add_f64_e32 v[180:181], v[180:181], v[182:183]
	s_wait_loadcnt_dscnt 0xb00
	v_mul_f64_e32 v[182:183], v[132:133], v[146:147]
	v_mul_f64_e32 v[146:147], v[134:135], v[146:147]
	v_fmac_f64_e32 v[184:185], v[6:7], v[140:141]
	v_fma_f64 v[140:141], v[4:5], v[140:141], -v[142:143]
	v_add_f64_e32 v[142:143], v[138:139], v[136:137]
	v_add_f64_e32 v[180:181], v[180:181], v[186:187]
	ds_load_b128 v[4:7], v2 offset:1600
	ds_load_b128 v[136:139], v2 offset:1616
	v_fmac_f64_e32 v[182:183], v[134:135], v[144:145]
	v_fma_f64 v[132:133], v[132:133], v[144:145], -v[146:147]
	s_wait_loadcnt_dscnt 0xa01
	v_mul_f64_e32 v[186:187], v[4:5], v[150:151]
	v_mul_f64_e32 v[150:151], v[6:7], v[150:151]
	s_wait_loadcnt_dscnt 0x900
	v_mul_f64_e32 v[144:145], v[138:139], v[154:155]
	v_add_f64_e32 v[134:135], v[142:143], v[140:141]
	v_add_f64_e32 v[140:141], v[180:181], v[184:185]
	v_mul_f64_e32 v[142:143], v[136:137], v[154:155]
	v_fmac_f64_e32 v[186:187], v[6:7], v[148:149]
	v_fma_f64 v[146:147], v[4:5], v[148:149], -v[150:151]
	v_fma_f64 v[136:137], v[136:137], v[152:153], -v[144:145]
	v_add_f64_e32 v[148:149], v[134:135], v[132:133]
	v_add_f64_e32 v[140:141], v[140:141], v[182:183]
	ds_load_b128 v[4:7], v2 offset:1632
	ds_load_b128 v[132:135], v2 offset:1648
	v_fmac_f64_e32 v[142:143], v[138:139], v[152:153]
	s_wait_loadcnt_dscnt 0x801
	v_mul_f64_e32 v[150:151], v[4:5], v[162:163]
	v_mul_f64_e32 v[154:155], v[6:7], v[162:163]
	s_wait_loadcnt_dscnt 0x600
	v_mul_f64_e32 v[144:145], v[132:133], v[174:175]
	v_add_f64_e32 v[138:139], v[148:149], v[146:147]
	v_add_f64_e32 v[140:141], v[140:141], v[186:187]
	v_mul_f64_e32 v[146:147], v[134:135], v[174:175]
	v_fmac_f64_e32 v[150:151], v[6:7], v[160:161]
	v_fma_f64 v[148:149], v[4:5], v[160:161], -v[154:155]
	v_fmac_f64_e32 v[144:145], v[134:135], v[172:173]
	v_add_f64_e32 v[152:153], v[138:139], v[136:137]
	v_add_f64_e32 v[140:141], v[140:141], v[142:143]
	ds_load_b128 v[4:7], v2 offset:1664
	ds_load_b128 v[136:139], v2 offset:1680
	v_fma_f64 v[132:133], v[132:133], v[172:173], -v[146:147]
	s_wait_loadcnt_dscnt 0x501
	v_mul_f64_e32 v[142:143], v[4:5], v[178:179]
	v_mul_f64_e32 v[154:155], v[6:7], v[178:179]
	s_wait_loadcnt_dscnt 0x400
	v_mul_f64_e32 v[146:147], v[136:137], v[10:11]
	v_mul_f64_e32 v[10:11], v[138:139], v[10:11]
	v_add_f64_e32 v[134:135], v[152:153], v[148:149]
	v_add_f64_e32 v[140:141], v[140:141], v[150:151]
	v_fmac_f64_e32 v[142:143], v[6:7], v[176:177]
	v_fma_f64 v[148:149], v[4:5], v[176:177], -v[154:155]
	v_fmac_f64_e32 v[146:147], v[138:139], v[8:9]
	v_fma_f64 v[8:9], v[136:137], v[8:9], -v[10:11]
	v_add_f64_e32 v[150:151], v[134:135], v[132:133]
	v_add_f64_e32 v[140:141], v[140:141], v[144:145]
	ds_load_b128 v[4:7], v2 offset:1696
	ds_load_b128 v[132:135], v2 offset:1712
	s_wait_loadcnt_dscnt 0x301
	v_mul_f64_e32 v[144:145], v[4:5], v[166:167]
	v_mul_f64_e32 v[152:153], v[6:7], v[166:167]
	s_wait_loadcnt_dscnt 0x200
	v_mul_f64_e32 v[138:139], v[132:133], v[130:131]
	v_mul_f64_e32 v[130:131], v[134:135], v[130:131]
	v_add_f64_e32 v[10:11], v[150:151], v[148:149]
	v_add_f64_e32 v[136:137], v[140:141], v[142:143]
	v_fmac_f64_e32 v[144:145], v[6:7], v[164:165]
	v_fma_f64 v[140:141], v[4:5], v[164:165], -v[152:153]
	v_fmac_f64_e32 v[138:139], v[134:135], v[128:129]
	v_fma_f64 v[128:129], v[132:133], v[128:129], -v[130:131]
	v_add_f64_e32 v[142:143], v[10:11], v[8:9]
	v_add_f64_e32 v[136:137], v[136:137], v[146:147]
	ds_load_b128 v[4:7], v2 offset:1728
	ds_load_b128 v[8:11], v2 offset:1744
	s_wait_loadcnt_dscnt 0x101
	v_mul_f64_e32 v[2:3], v[4:5], v[158:159]
	v_mul_f64_e32 v[146:147], v[6:7], v[158:159]
	s_wait_loadcnt_dscnt 0x0
	v_mul_f64_e32 v[134:135], v[8:9], v[14:15]
	v_mul_f64_e32 v[14:15], v[10:11], v[14:15]
	v_add_f64_e32 v[130:131], v[142:143], v[140:141]
	v_add_f64_e32 v[132:133], v[136:137], v[144:145]
	v_fmac_f64_e32 v[2:3], v[6:7], v[156:157]
	v_fma_f64 v[4:5], v[4:5], v[156:157], -v[146:147]
	v_fmac_f64_e32 v[134:135], v[10:11], v[12:13]
	v_fma_f64 v[8:9], v[8:9], v[12:13], -v[14:15]
	v_add_f64_e32 v[6:7], v[130:131], v[128:129]
	v_add_f64_e32 v[128:129], v[132:133], v[138:139]
	s_delay_alu instid0(VALU_DEP_2) | instskip(NEXT) | instid1(VALU_DEP_2)
	v_add_f64_e32 v[4:5], v[6:7], v[4:5]
	v_add_f64_e32 v[2:3], v[128:129], v[2:3]
	s_delay_alu instid0(VALU_DEP_2) | instskip(NEXT) | instid1(VALU_DEP_2)
	;; [unrolled: 3-line block ×3, first 2 shown]
	v_add_f64_e64 v[2:3], v[168:169], -v[4:5]
	v_add_f64_e64 v[4:5], v[170:171], -v[6:7]
	scratch_store_b128 off, v[2:5], off offset:576
	s_wait_xcnt 0x0
	v_cmpx_lt_u32_e32 35, v1
	s_cbranch_execz .LBB54_273
; %bb.272:
	scratch_load_b128 v[2:5], off, s34
	v_mov_b32_e32 v6, 0
	s_delay_alu instid0(VALU_DEP_1)
	v_dual_mov_b32 v7, v6 :: v_dual_mov_b32 v8, v6
	v_mov_b32_e32 v9, v6
	scratch_store_b128 off, v[6:9], off offset:560
	s_wait_loadcnt 0x0
	ds_store_b128 v126, v[2:5]
.LBB54_273:
	s_wait_xcnt 0x0
	s_or_b32 exec_lo, exec_lo, s2
	s_wait_storecnt_dscnt 0x0
	s_barrier_signal -1
	s_barrier_wait -1
	s_clause 0x9
	scratch_load_b128 v[4:7], off, off offset:576
	scratch_load_b128 v[8:11], off, off offset:592
	;; [unrolled: 1-line block ×10, first 2 shown]
	v_mov_b32_e32 v2, 0
	s_mov_b32 s2, exec_lo
	ds_load_b128 v[156:159], v2 offset:1456
	s_clause 0x2
	scratch_load_b128 v[160:163], off, off offset:736
	scratch_load_b128 v[164:167], off, off offset:560
	;; [unrolled: 1-line block ×3, first 2 shown]
	s_wait_loadcnt_dscnt 0xc00
	v_mul_f64_e32 v[176:177], v[158:159], v[6:7]
	v_mul_f64_e32 v[180:181], v[156:157], v[6:7]
	ds_load_b128 v[168:171], v2 offset:1472
	v_fma_f64 v[184:185], v[156:157], v[4:5], -v[176:177]
	v_fmac_f64_e32 v[180:181], v[158:159], v[4:5]
	ds_load_b128 v[4:7], v2 offset:1488
	s_wait_loadcnt_dscnt 0xb01
	v_mul_f64_e32 v[182:183], v[168:169], v[10:11]
	v_mul_f64_e32 v[10:11], v[170:171], v[10:11]
	scratch_load_b128 v[156:159], off, off offset:768
	ds_load_b128 v[176:179], v2 offset:1504
	s_wait_loadcnt_dscnt 0xb01
	v_mul_f64_e32 v[186:187], v[4:5], v[14:15]
	v_mul_f64_e32 v[14:15], v[6:7], v[14:15]
	v_add_f64_e32 v[180:181], 0, v[180:181]
	v_fmac_f64_e32 v[182:183], v[170:171], v[8:9]
	v_fma_f64 v[168:169], v[168:169], v[8:9], -v[10:11]
	v_add_f64_e32 v[170:171], 0, v[184:185]
	scratch_load_b128 v[8:11], off, off offset:784
	v_fmac_f64_e32 v[186:187], v[6:7], v[12:13]
	v_fma_f64 v[188:189], v[4:5], v[12:13], -v[14:15]
	ds_load_b128 v[4:7], v2 offset:1520
	s_wait_loadcnt_dscnt 0xb01
	v_mul_f64_e32 v[184:185], v[176:177], v[130:131]
	v_mul_f64_e32 v[130:131], v[178:179], v[130:131]
	scratch_load_b128 v[12:15], off, off offset:800
	v_add_f64_e32 v[180:181], v[180:181], v[182:183]
	v_add_f64_e32 v[190:191], v[170:171], v[168:169]
	ds_load_b128 v[168:171], v2 offset:1536
	s_wait_loadcnt_dscnt 0xb01
	v_mul_f64_e32 v[182:183], v[4:5], v[134:135]
	v_mul_f64_e32 v[134:135], v[6:7], v[134:135]
	v_fmac_f64_e32 v[184:185], v[178:179], v[128:129]
	v_fma_f64 v[176:177], v[176:177], v[128:129], -v[130:131]
	scratch_load_b128 v[128:131], off, off offset:816
	v_add_f64_e32 v[180:181], v[180:181], v[186:187]
	v_add_f64_e32 v[178:179], v[190:191], v[188:189]
	v_fmac_f64_e32 v[182:183], v[6:7], v[132:133]
	v_fma_f64 v[188:189], v[4:5], v[132:133], -v[134:135]
	ds_load_b128 v[4:7], v2 offset:1552
	s_wait_loadcnt_dscnt 0xb01
	v_mul_f64_e32 v[186:187], v[168:169], v[138:139]
	v_mul_f64_e32 v[138:139], v[170:171], v[138:139]
	scratch_load_b128 v[132:135], off, off offset:832
	v_add_f64_e32 v[180:181], v[180:181], v[184:185]
	s_wait_loadcnt_dscnt 0xb00
	v_mul_f64_e32 v[184:185], v[4:5], v[142:143]
	v_add_f64_e32 v[190:191], v[178:179], v[176:177]
	v_mul_f64_e32 v[142:143], v[6:7], v[142:143]
	ds_load_b128 v[176:179], v2 offset:1568
	v_fmac_f64_e32 v[186:187], v[170:171], v[136:137]
	v_fma_f64 v[168:169], v[168:169], v[136:137], -v[138:139]
	scratch_load_b128 v[136:139], off, off offset:848
	v_add_f64_e32 v[180:181], v[180:181], v[182:183]
	v_fmac_f64_e32 v[184:185], v[6:7], v[140:141]
	v_add_f64_e32 v[170:171], v[190:191], v[188:189]
	v_fma_f64 v[188:189], v[4:5], v[140:141], -v[142:143]
	ds_load_b128 v[4:7], v2 offset:1584
	s_wait_loadcnt_dscnt 0xb01
	v_mul_f64_e32 v[182:183], v[176:177], v[146:147]
	v_mul_f64_e32 v[146:147], v[178:179], v[146:147]
	scratch_load_b128 v[140:143], off, off offset:864
	v_add_f64_e32 v[180:181], v[180:181], v[186:187]
	s_wait_loadcnt_dscnt 0xb00
	v_mul_f64_e32 v[186:187], v[4:5], v[150:151]
	v_add_f64_e32 v[190:191], v[170:171], v[168:169]
	v_mul_f64_e32 v[150:151], v[6:7], v[150:151]
	ds_load_b128 v[168:171], v2 offset:1600
	v_fmac_f64_e32 v[182:183], v[178:179], v[144:145]
	v_fma_f64 v[144:145], v[176:177], v[144:145], -v[146:147]
	s_wait_loadcnt_dscnt 0xa00
	v_mul_f64_e32 v[178:179], v[168:169], v[154:155]
	v_mul_f64_e32 v[154:155], v[170:171], v[154:155]
	v_add_f64_e32 v[176:177], v[180:181], v[184:185]
	v_fmac_f64_e32 v[186:187], v[6:7], v[148:149]
	v_add_f64_e32 v[146:147], v[190:191], v[188:189]
	v_fma_f64 v[148:149], v[4:5], v[148:149], -v[150:151]
	v_fmac_f64_e32 v[178:179], v[170:171], v[152:153]
	v_fma_f64 v[152:153], v[168:169], v[152:153], -v[154:155]
	v_add_f64_e32 v[176:177], v[176:177], v[182:183]
	v_add_f64_e32 v[150:151], v[146:147], v[144:145]
	ds_load_b128 v[4:7], v2 offset:1616
	ds_load_b128 v[144:147], v2 offset:1632
	s_wait_loadcnt_dscnt 0x901
	v_mul_f64_e32 v[180:181], v[4:5], v[162:163]
	v_mul_f64_e32 v[162:163], v[6:7], v[162:163]
	s_wait_loadcnt_dscnt 0x700
	v_mul_f64_e32 v[154:155], v[144:145], v[174:175]
	v_mul_f64_e32 v[168:169], v[146:147], v[174:175]
	v_add_f64_e32 v[148:149], v[150:151], v[148:149]
	v_add_f64_e32 v[150:151], v[176:177], v[186:187]
	v_fmac_f64_e32 v[180:181], v[6:7], v[160:161]
	v_fma_f64 v[160:161], v[4:5], v[160:161], -v[162:163]
	v_fmac_f64_e32 v[154:155], v[146:147], v[172:173]
	v_fma_f64 v[144:145], v[144:145], v[172:173], -v[168:169]
	v_add_f64_e32 v[152:153], v[148:149], v[152:153]
	v_add_f64_e32 v[162:163], v[150:151], v[178:179]
	ds_load_b128 v[4:7], v2 offset:1648
	ds_load_b128 v[148:151], v2 offset:1664
	s_wait_loadcnt_dscnt 0x601
	v_mul_f64_e32 v[170:171], v[4:5], v[158:159]
	v_mul_f64_e32 v[158:159], v[6:7], v[158:159]
	v_add_f64_e32 v[146:147], v[152:153], v[160:161]
	v_add_f64_e32 v[152:153], v[162:163], v[180:181]
	s_wait_loadcnt_dscnt 0x500
	v_mul_f64_e32 v[160:161], v[148:149], v[10:11]
	v_mul_f64_e32 v[10:11], v[150:151], v[10:11]
	v_fmac_f64_e32 v[170:171], v[6:7], v[156:157]
	v_fma_f64 v[156:157], v[4:5], v[156:157], -v[158:159]
	v_add_f64_e32 v[158:159], v[146:147], v[144:145]
	v_add_f64_e32 v[152:153], v[152:153], v[154:155]
	ds_load_b128 v[4:7], v2 offset:1680
	ds_load_b128 v[144:147], v2 offset:1696
	v_fmac_f64_e32 v[160:161], v[150:151], v[8:9]
	v_fma_f64 v[8:9], v[148:149], v[8:9], -v[10:11]
	s_wait_loadcnt_dscnt 0x401
	v_mul_f64_e32 v[154:155], v[4:5], v[14:15]
	v_mul_f64_e32 v[14:15], v[6:7], v[14:15]
	s_wait_loadcnt_dscnt 0x300
	v_mul_f64_e32 v[150:151], v[144:145], v[130:131]
	v_mul_f64_e32 v[130:131], v[146:147], v[130:131]
	v_add_f64_e32 v[10:11], v[158:159], v[156:157]
	v_add_f64_e32 v[148:149], v[152:153], v[170:171]
	v_fmac_f64_e32 v[154:155], v[6:7], v[12:13]
	v_fma_f64 v[12:13], v[4:5], v[12:13], -v[14:15]
	v_fmac_f64_e32 v[150:151], v[146:147], v[128:129]
	v_fma_f64 v[128:129], v[144:145], v[128:129], -v[130:131]
	v_add_f64_e32 v[14:15], v[10:11], v[8:9]
	v_add_f64_e32 v[148:149], v[148:149], v[160:161]
	ds_load_b128 v[4:7], v2 offset:1712
	ds_load_b128 v[8:11], v2 offset:1728
	s_wait_loadcnt_dscnt 0x201
	v_mul_f64_e32 v[152:153], v[4:5], v[134:135]
	v_mul_f64_e32 v[134:135], v[6:7], v[134:135]
	s_wait_loadcnt_dscnt 0x100
	v_mul_f64_e32 v[130:131], v[8:9], v[138:139]
	v_mul_f64_e32 v[138:139], v[10:11], v[138:139]
	v_add_f64_e32 v[12:13], v[14:15], v[12:13]
	v_add_f64_e32 v[14:15], v[148:149], v[154:155]
	v_fmac_f64_e32 v[152:153], v[6:7], v[132:133]
	v_fma_f64 v[132:133], v[4:5], v[132:133], -v[134:135]
	ds_load_b128 v[4:7], v2 offset:1744
	v_fmac_f64_e32 v[130:131], v[10:11], v[136:137]
	v_fma_f64 v[8:9], v[8:9], v[136:137], -v[138:139]
	v_add_f64_e32 v[12:13], v[12:13], v[128:129]
	v_add_f64_e32 v[14:15], v[14:15], v[150:151]
	s_wait_loadcnt_dscnt 0x0
	v_mul_f64_e32 v[128:129], v[4:5], v[142:143]
	v_mul_f64_e32 v[134:135], v[6:7], v[142:143]
	s_delay_alu instid0(VALU_DEP_4) | instskip(NEXT) | instid1(VALU_DEP_4)
	v_add_f64_e32 v[10:11], v[12:13], v[132:133]
	v_add_f64_e32 v[12:13], v[14:15], v[152:153]
	s_delay_alu instid0(VALU_DEP_4) | instskip(NEXT) | instid1(VALU_DEP_4)
	v_fmac_f64_e32 v[128:129], v[6:7], v[140:141]
	v_fma_f64 v[4:5], v[4:5], v[140:141], -v[134:135]
	s_delay_alu instid0(VALU_DEP_4) | instskip(NEXT) | instid1(VALU_DEP_4)
	v_add_f64_e32 v[6:7], v[10:11], v[8:9]
	v_add_f64_e32 v[8:9], v[12:13], v[130:131]
	s_delay_alu instid0(VALU_DEP_2) | instskip(NEXT) | instid1(VALU_DEP_2)
	v_add_f64_e32 v[4:5], v[6:7], v[4:5]
	v_add_f64_e32 v[6:7], v[8:9], v[128:129]
	s_delay_alu instid0(VALU_DEP_2) | instskip(NEXT) | instid1(VALU_DEP_2)
	v_add_f64_e64 v[4:5], v[164:165], -v[4:5]
	v_add_f64_e64 v[6:7], v[166:167], -v[6:7]
	scratch_store_b128 off, v[4:7], off offset:560
	s_wait_xcnt 0x0
	v_cmpx_lt_u32_e32 34, v1
	s_cbranch_execz .LBB54_275
; %bb.274:
	scratch_load_b128 v[6:9], off, s42
	v_dual_mov_b32 v3, v2 :: v_dual_mov_b32 v4, v2
	v_mov_b32_e32 v5, v2
	scratch_store_b128 off, v[2:5], off offset:544
	s_wait_loadcnt 0x0
	ds_store_b128 v126, v[6:9]
.LBB54_275:
	s_wait_xcnt 0x0
	s_or_b32 exec_lo, exec_lo, s2
	s_wait_storecnt_dscnt 0x0
	s_barrier_signal -1
	s_barrier_wait -1
	s_clause 0x9
	scratch_load_b128 v[4:7], off, off offset:560
	scratch_load_b128 v[8:11], off, off offset:576
	;; [unrolled: 1-line block ×10, first 2 shown]
	ds_load_b128 v[156:159], v2 offset:1440
	ds_load_b128 v[164:167], v2 offset:1456
	s_clause 0x2
	scratch_load_b128 v[160:163], off, off offset:720
	scratch_load_b128 v[168:171], off, off offset:544
	;; [unrolled: 1-line block ×3, first 2 shown]
	s_mov_b32 s2, exec_lo
	s_wait_loadcnt_dscnt 0xc01
	v_mul_f64_e32 v[176:177], v[158:159], v[6:7]
	v_mul_f64_e32 v[180:181], v[156:157], v[6:7]
	s_wait_loadcnt_dscnt 0xb00
	v_mul_f64_e32 v[182:183], v[164:165], v[10:11]
	v_mul_f64_e32 v[10:11], v[166:167], v[10:11]
	s_delay_alu instid0(VALU_DEP_4) | instskip(NEXT) | instid1(VALU_DEP_4)
	v_fma_f64 v[184:185], v[156:157], v[4:5], -v[176:177]
	v_fmac_f64_e32 v[180:181], v[158:159], v[4:5]
	ds_load_b128 v[4:7], v2 offset:1472
	ds_load_b128 v[156:159], v2 offset:1488
	scratch_load_b128 v[176:179], off, off offset:752
	v_fmac_f64_e32 v[182:183], v[166:167], v[8:9]
	v_fma_f64 v[164:165], v[164:165], v[8:9], -v[10:11]
	scratch_load_b128 v[8:11], off, off offset:768
	s_wait_loadcnt_dscnt 0xc01
	v_mul_f64_e32 v[186:187], v[4:5], v[14:15]
	v_mul_f64_e32 v[14:15], v[6:7], v[14:15]
	v_add_f64_e32 v[166:167], 0, v[184:185]
	v_add_f64_e32 v[180:181], 0, v[180:181]
	s_wait_loadcnt_dscnt 0xb00
	v_mul_f64_e32 v[184:185], v[156:157], v[130:131]
	v_mul_f64_e32 v[130:131], v[158:159], v[130:131]
	v_fmac_f64_e32 v[186:187], v[6:7], v[12:13]
	v_fma_f64 v[188:189], v[4:5], v[12:13], -v[14:15]
	ds_load_b128 v[4:7], v2 offset:1504
	ds_load_b128 v[12:15], v2 offset:1520
	v_add_f64_e32 v[190:191], v[166:167], v[164:165]
	v_add_f64_e32 v[180:181], v[180:181], v[182:183]
	scratch_load_b128 v[164:167], off, off offset:784
	v_fmac_f64_e32 v[184:185], v[158:159], v[128:129]
	v_fma_f64 v[156:157], v[156:157], v[128:129], -v[130:131]
	scratch_load_b128 v[128:131], off, off offset:800
	s_wait_loadcnt_dscnt 0xc01
	v_mul_f64_e32 v[182:183], v[4:5], v[134:135]
	v_mul_f64_e32 v[134:135], v[6:7], v[134:135]
	v_add_f64_e32 v[158:159], v[190:191], v[188:189]
	v_add_f64_e32 v[180:181], v[180:181], v[186:187]
	s_wait_loadcnt_dscnt 0xb00
	v_mul_f64_e32 v[186:187], v[12:13], v[138:139]
	v_mul_f64_e32 v[138:139], v[14:15], v[138:139]
	v_fmac_f64_e32 v[182:183], v[6:7], v[132:133]
	v_fma_f64 v[188:189], v[4:5], v[132:133], -v[134:135]
	ds_load_b128 v[4:7], v2 offset:1536
	ds_load_b128 v[132:135], v2 offset:1552
	v_add_f64_e32 v[190:191], v[158:159], v[156:157]
	v_add_f64_e32 v[180:181], v[180:181], v[184:185]
	scratch_load_b128 v[156:159], off, off offset:816
	s_wait_loadcnt_dscnt 0xb01
	v_mul_f64_e32 v[184:185], v[4:5], v[142:143]
	v_mul_f64_e32 v[142:143], v[6:7], v[142:143]
	v_fmac_f64_e32 v[186:187], v[14:15], v[136:137]
	v_fma_f64 v[136:137], v[12:13], v[136:137], -v[138:139]
	scratch_load_b128 v[12:15], off, off offset:832
	v_add_f64_e32 v[138:139], v[190:191], v[188:189]
	v_add_f64_e32 v[180:181], v[180:181], v[182:183]
	s_wait_loadcnt_dscnt 0xb00
	v_mul_f64_e32 v[182:183], v[132:133], v[146:147]
	v_mul_f64_e32 v[146:147], v[134:135], v[146:147]
	v_fmac_f64_e32 v[184:185], v[6:7], v[140:141]
	v_fma_f64 v[188:189], v[4:5], v[140:141], -v[142:143]
	v_add_f64_e32 v[190:191], v[138:139], v[136:137]
	v_add_f64_e32 v[180:181], v[180:181], v[186:187]
	ds_load_b128 v[4:7], v2 offset:1568
	ds_load_b128 v[136:139], v2 offset:1584
	scratch_load_b128 v[140:143], off, off offset:848
	v_fmac_f64_e32 v[182:183], v[134:135], v[144:145]
	v_fma_f64 v[144:145], v[132:133], v[144:145], -v[146:147]
	scratch_load_b128 v[132:135], off, off offset:864
	s_wait_loadcnt_dscnt 0xc01
	v_mul_f64_e32 v[186:187], v[4:5], v[150:151]
	v_mul_f64_e32 v[150:151], v[6:7], v[150:151]
	v_add_f64_e32 v[146:147], v[190:191], v[188:189]
	v_add_f64_e32 v[180:181], v[180:181], v[184:185]
	s_wait_loadcnt_dscnt 0xb00
	v_mul_f64_e32 v[184:185], v[136:137], v[154:155]
	v_mul_f64_e32 v[154:155], v[138:139], v[154:155]
	v_fmac_f64_e32 v[186:187], v[6:7], v[148:149]
	v_fma_f64 v[148:149], v[4:5], v[148:149], -v[150:151]
	v_add_f64_e32 v[150:151], v[146:147], v[144:145]
	v_add_f64_e32 v[180:181], v[180:181], v[182:183]
	ds_load_b128 v[4:7], v2 offset:1600
	ds_load_b128 v[144:147], v2 offset:1616
	v_fmac_f64_e32 v[184:185], v[138:139], v[152:153]
	v_fma_f64 v[136:137], v[136:137], v[152:153], -v[154:155]
	s_wait_loadcnt_dscnt 0xa01
	v_mul_f64_e32 v[182:183], v[4:5], v[162:163]
	v_mul_f64_e32 v[162:163], v[6:7], v[162:163]
	s_wait_loadcnt_dscnt 0x800
	v_mul_f64_e32 v[152:153], v[146:147], v[174:175]
	v_add_f64_e32 v[138:139], v[150:151], v[148:149]
	v_add_f64_e32 v[148:149], v[180:181], v[186:187]
	v_mul_f64_e32 v[150:151], v[144:145], v[174:175]
	v_fmac_f64_e32 v[182:183], v[6:7], v[160:161]
	v_fma_f64 v[154:155], v[4:5], v[160:161], -v[162:163]
	v_fma_f64 v[144:145], v[144:145], v[172:173], -v[152:153]
	v_add_f64_e32 v[160:161], v[138:139], v[136:137]
	v_add_f64_e32 v[148:149], v[148:149], v[184:185]
	ds_load_b128 v[4:7], v2 offset:1632
	ds_load_b128 v[136:139], v2 offset:1648
	v_fmac_f64_e32 v[150:151], v[146:147], v[172:173]
	s_wait_loadcnt_dscnt 0x701
	v_mul_f64_e32 v[162:163], v[4:5], v[178:179]
	v_mul_f64_e32 v[174:175], v[6:7], v[178:179]
	s_wait_loadcnt_dscnt 0x600
	v_mul_f64_e32 v[152:153], v[136:137], v[10:11]
	v_mul_f64_e32 v[10:11], v[138:139], v[10:11]
	v_add_f64_e32 v[146:147], v[160:161], v[154:155]
	v_add_f64_e32 v[148:149], v[148:149], v[182:183]
	v_fmac_f64_e32 v[162:163], v[6:7], v[176:177]
	v_fma_f64 v[154:155], v[4:5], v[176:177], -v[174:175]
	v_fmac_f64_e32 v[152:153], v[138:139], v[8:9]
	v_fma_f64 v[8:9], v[136:137], v[8:9], -v[10:11]
	v_add_f64_e32 v[160:161], v[146:147], v[144:145]
	v_add_f64_e32 v[148:149], v[148:149], v[150:151]
	ds_load_b128 v[4:7], v2 offset:1664
	ds_load_b128 v[144:147], v2 offset:1680
	s_wait_loadcnt_dscnt 0x501
	v_mul_f64_e32 v[150:151], v[4:5], v[166:167]
	v_mul_f64_e32 v[166:167], v[6:7], v[166:167]
	s_wait_loadcnt_dscnt 0x400
	v_mul_f64_e32 v[138:139], v[144:145], v[130:131]
	v_mul_f64_e32 v[130:131], v[146:147], v[130:131]
	v_add_f64_e32 v[10:11], v[160:161], v[154:155]
	v_add_f64_e32 v[136:137], v[148:149], v[162:163]
	v_fmac_f64_e32 v[150:151], v[6:7], v[164:165]
	v_fma_f64 v[148:149], v[4:5], v[164:165], -v[166:167]
	v_fmac_f64_e32 v[138:139], v[146:147], v[128:129]
	v_fma_f64 v[128:129], v[144:145], v[128:129], -v[130:131]
	v_add_f64_e32 v[154:155], v[10:11], v[8:9]
	v_add_f64_e32 v[136:137], v[136:137], v[152:153]
	ds_load_b128 v[4:7], v2 offset:1696
	ds_load_b128 v[8:11], v2 offset:1712
	;; [unrolled: 16-line block ×3, first 2 shown]
	s_wait_loadcnt_dscnt 0x101
	v_mul_f64_e32 v[2:3], v[4:5], v[142:143]
	v_mul_f64_e32 v[138:139], v[6:7], v[142:143]
	s_wait_loadcnt_dscnt 0x0
	v_mul_f64_e32 v[14:15], v[128:129], v[134:135]
	v_mul_f64_e32 v[134:135], v[130:131], v[134:135]
	v_add_f64_e32 v[10:11], v[148:149], v[146:147]
	v_add_f64_e32 v[12:13], v[136:137], v[152:153]
	v_fmac_f64_e32 v[2:3], v[6:7], v[140:141]
	v_fma_f64 v[4:5], v[4:5], v[140:141], -v[138:139]
	v_fmac_f64_e32 v[14:15], v[130:131], v[132:133]
	v_add_f64_e32 v[6:7], v[10:11], v[8:9]
	v_add_f64_e32 v[8:9], v[12:13], v[144:145]
	v_fma_f64 v[10:11], v[128:129], v[132:133], -v[134:135]
	s_delay_alu instid0(VALU_DEP_3) | instskip(NEXT) | instid1(VALU_DEP_3)
	v_add_f64_e32 v[4:5], v[6:7], v[4:5]
	v_add_f64_e32 v[2:3], v[8:9], v[2:3]
	s_delay_alu instid0(VALU_DEP_2) | instskip(NEXT) | instid1(VALU_DEP_2)
	v_add_f64_e32 v[4:5], v[4:5], v[10:11]
	v_add_f64_e32 v[6:7], v[2:3], v[14:15]
	s_delay_alu instid0(VALU_DEP_2) | instskip(NEXT) | instid1(VALU_DEP_2)
	v_add_f64_e64 v[2:3], v[168:169], -v[4:5]
	v_add_f64_e64 v[4:5], v[170:171], -v[6:7]
	scratch_store_b128 off, v[2:5], off offset:544
	s_wait_xcnt 0x0
	v_cmpx_lt_u32_e32 33, v1
	s_cbranch_execz .LBB54_277
; %bb.276:
	scratch_load_b128 v[2:5], off, s48
	v_mov_b32_e32 v6, 0
	s_delay_alu instid0(VALU_DEP_1)
	v_dual_mov_b32 v7, v6 :: v_dual_mov_b32 v8, v6
	v_mov_b32_e32 v9, v6
	scratch_store_b128 off, v[6:9], off offset:528
	s_wait_loadcnt 0x0
	ds_store_b128 v126, v[2:5]
.LBB54_277:
	s_wait_xcnt 0x0
	s_or_b32 exec_lo, exec_lo, s2
	s_wait_storecnt_dscnt 0x0
	s_barrier_signal -1
	s_barrier_wait -1
	s_clause 0x9
	scratch_load_b128 v[4:7], off, off offset:544
	scratch_load_b128 v[8:11], off, off offset:560
	;; [unrolled: 1-line block ×10, first 2 shown]
	v_mov_b32_e32 v2, 0
	s_mov_b32 s2, exec_lo
	ds_load_b128 v[156:159], v2 offset:1424
	s_clause 0x2
	scratch_load_b128 v[160:163], off, off offset:704
	scratch_load_b128 v[164:167], off, off offset:528
	;; [unrolled: 1-line block ×3, first 2 shown]
	s_wait_loadcnt_dscnt 0xc00
	v_mul_f64_e32 v[176:177], v[158:159], v[6:7]
	v_mul_f64_e32 v[180:181], v[156:157], v[6:7]
	ds_load_b128 v[168:171], v2 offset:1440
	v_fma_f64 v[184:185], v[156:157], v[4:5], -v[176:177]
	v_fmac_f64_e32 v[180:181], v[158:159], v[4:5]
	ds_load_b128 v[4:7], v2 offset:1456
	s_wait_loadcnt_dscnt 0xb01
	v_mul_f64_e32 v[182:183], v[168:169], v[10:11]
	v_mul_f64_e32 v[10:11], v[170:171], v[10:11]
	scratch_load_b128 v[156:159], off, off offset:736
	ds_load_b128 v[176:179], v2 offset:1472
	s_wait_loadcnt_dscnt 0xb01
	v_mul_f64_e32 v[186:187], v[4:5], v[14:15]
	v_mul_f64_e32 v[14:15], v[6:7], v[14:15]
	v_add_f64_e32 v[180:181], 0, v[180:181]
	v_fmac_f64_e32 v[182:183], v[170:171], v[8:9]
	v_fma_f64 v[168:169], v[168:169], v[8:9], -v[10:11]
	v_add_f64_e32 v[170:171], 0, v[184:185]
	scratch_load_b128 v[8:11], off, off offset:752
	v_fmac_f64_e32 v[186:187], v[6:7], v[12:13]
	v_fma_f64 v[188:189], v[4:5], v[12:13], -v[14:15]
	ds_load_b128 v[4:7], v2 offset:1488
	s_wait_loadcnt_dscnt 0xb01
	v_mul_f64_e32 v[184:185], v[176:177], v[130:131]
	v_mul_f64_e32 v[130:131], v[178:179], v[130:131]
	scratch_load_b128 v[12:15], off, off offset:768
	v_add_f64_e32 v[180:181], v[180:181], v[182:183]
	v_add_f64_e32 v[190:191], v[170:171], v[168:169]
	ds_load_b128 v[168:171], v2 offset:1504
	s_wait_loadcnt_dscnt 0xb01
	v_mul_f64_e32 v[182:183], v[4:5], v[134:135]
	v_mul_f64_e32 v[134:135], v[6:7], v[134:135]
	v_fmac_f64_e32 v[184:185], v[178:179], v[128:129]
	v_fma_f64 v[176:177], v[176:177], v[128:129], -v[130:131]
	scratch_load_b128 v[128:131], off, off offset:784
	v_add_f64_e32 v[180:181], v[180:181], v[186:187]
	v_add_f64_e32 v[178:179], v[190:191], v[188:189]
	v_fmac_f64_e32 v[182:183], v[6:7], v[132:133]
	v_fma_f64 v[188:189], v[4:5], v[132:133], -v[134:135]
	ds_load_b128 v[4:7], v2 offset:1520
	s_wait_loadcnt_dscnt 0xb01
	v_mul_f64_e32 v[186:187], v[168:169], v[138:139]
	v_mul_f64_e32 v[138:139], v[170:171], v[138:139]
	scratch_load_b128 v[132:135], off, off offset:800
	v_add_f64_e32 v[180:181], v[180:181], v[184:185]
	s_wait_loadcnt_dscnt 0xb00
	v_mul_f64_e32 v[184:185], v[4:5], v[142:143]
	v_add_f64_e32 v[190:191], v[178:179], v[176:177]
	v_mul_f64_e32 v[142:143], v[6:7], v[142:143]
	ds_load_b128 v[176:179], v2 offset:1536
	v_fmac_f64_e32 v[186:187], v[170:171], v[136:137]
	v_fma_f64 v[168:169], v[168:169], v[136:137], -v[138:139]
	scratch_load_b128 v[136:139], off, off offset:816
	v_add_f64_e32 v[180:181], v[180:181], v[182:183]
	v_fmac_f64_e32 v[184:185], v[6:7], v[140:141]
	v_add_f64_e32 v[170:171], v[190:191], v[188:189]
	v_fma_f64 v[188:189], v[4:5], v[140:141], -v[142:143]
	ds_load_b128 v[4:7], v2 offset:1552
	s_wait_loadcnt_dscnt 0xb01
	v_mul_f64_e32 v[182:183], v[176:177], v[146:147]
	v_mul_f64_e32 v[146:147], v[178:179], v[146:147]
	scratch_load_b128 v[140:143], off, off offset:832
	v_add_f64_e32 v[180:181], v[180:181], v[186:187]
	s_wait_loadcnt_dscnt 0xb00
	v_mul_f64_e32 v[186:187], v[4:5], v[150:151]
	v_add_f64_e32 v[190:191], v[170:171], v[168:169]
	v_mul_f64_e32 v[150:151], v[6:7], v[150:151]
	ds_load_b128 v[168:171], v2 offset:1568
	v_fmac_f64_e32 v[182:183], v[178:179], v[144:145]
	v_fma_f64 v[176:177], v[176:177], v[144:145], -v[146:147]
	scratch_load_b128 v[144:147], off, off offset:848
	v_add_f64_e32 v[180:181], v[180:181], v[184:185]
	v_fmac_f64_e32 v[186:187], v[6:7], v[148:149]
	v_add_f64_e32 v[178:179], v[190:191], v[188:189]
	v_fma_f64 v[188:189], v[4:5], v[148:149], -v[150:151]
	ds_load_b128 v[4:7], v2 offset:1584
	s_wait_loadcnt_dscnt 0xb01
	v_mul_f64_e32 v[184:185], v[168:169], v[154:155]
	v_mul_f64_e32 v[154:155], v[170:171], v[154:155]
	scratch_load_b128 v[148:151], off, off offset:864
	v_add_f64_e32 v[180:181], v[180:181], v[182:183]
	s_wait_loadcnt_dscnt 0xb00
	v_mul_f64_e32 v[182:183], v[4:5], v[162:163]
	v_add_f64_e32 v[190:191], v[178:179], v[176:177]
	v_mul_f64_e32 v[162:163], v[6:7], v[162:163]
	ds_load_b128 v[176:179], v2 offset:1600
	v_fmac_f64_e32 v[184:185], v[170:171], v[152:153]
	v_fma_f64 v[152:153], v[168:169], v[152:153], -v[154:155]
	s_wait_loadcnt_dscnt 0x900
	v_mul_f64_e32 v[170:171], v[176:177], v[174:175]
	v_mul_f64_e32 v[174:175], v[178:179], v[174:175]
	v_add_f64_e32 v[168:169], v[180:181], v[186:187]
	v_fmac_f64_e32 v[182:183], v[6:7], v[160:161]
	v_add_f64_e32 v[154:155], v[190:191], v[188:189]
	v_fma_f64 v[160:161], v[4:5], v[160:161], -v[162:163]
	v_fmac_f64_e32 v[170:171], v[178:179], v[172:173]
	v_fma_f64 v[172:173], v[176:177], v[172:173], -v[174:175]
	v_add_f64_e32 v[168:169], v[168:169], v[184:185]
	v_add_f64_e32 v[162:163], v[154:155], v[152:153]
	ds_load_b128 v[4:7], v2 offset:1616
	ds_load_b128 v[152:155], v2 offset:1632
	s_wait_loadcnt_dscnt 0x801
	v_mul_f64_e32 v[180:181], v[4:5], v[158:159]
	v_mul_f64_e32 v[158:159], v[6:7], v[158:159]
	v_add_f64_e32 v[160:161], v[162:163], v[160:161]
	v_add_f64_e32 v[162:163], v[168:169], v[182:183]
	s_wait_loadcnt_dscnt 0x700
	v_mul_f64_e32 v[168:169], v[152:153], v[10:11]
	v_mul_f64_e32 v[10:11], v[154:155], v[10:11]
	v_fmac_f64_e32 v[180:181], v[6:7], v[156:157]
	v_fma_f64 v[174:175], v[4:5], v[156:157], -v[158:159]
	ds_load_b128 v[4:7], v2 offset:1648
	ds_load_b128 v[156:159], v2 offset:1664
	v_add_f64_e32 v[160:161], v[160:161], v[172:173]
	v_add_f64_e32 v[162:163], v[162:163], v[170:171]
	v_fmac_f64_e32 v[168:169], v[154:155], v[8:9]
	v_fma_f64 v[8:9], v[152:153], v[8:9], -v[10:11]
	s_wait_loadcnt_dscnt 0x601
	v_mul_f64_e32 v[170:171], v[4:5], v[14:15]
	v_mul_f64_e32 v[14:15], v[6:7], v[14:15]
	s_wait_loadcnt_dscnt 0x500
	v_mul_f64_e32 v[154:155], v[156:157], v[130:131]
	v_mul_f64_e32 v[130:131], v[158:159], v[130:131]
	v_add_f64_e32 v[10:11], v[160:161], v[174:175]
	v_add_f64_e32 v[152:153], v[162:163], v[180:181]
	v_fmac_f64_e32 v[170:171], v[6:7], v[12:13]
	v_fma_f64 v[12:13], v[4:5], v[12:13], -v[14:15]
	v_fmac_f64_e32 v[154:155], v[158:159], v[128:129]
	v_fma_f64 v[128:129], v[156:157], v[128:129], -v[130:131]
	v_add_f64_e32 v[14:15], v[10:11], v[8:9]
	v_add_f64_e32 v[152:153], v[152:153], v[168:169]
	ds_load_b128 v[4:7], v2 offset:1680
	ds_load_b128 v[8:11], v2 offset:1696
	s_wait_loadcnt_dscnt 0x401
	v_mul_f64_e32 v[160:161], v[4:5], v[134:135]
	v_mul_f64_e32 v[134:135], v[6:7], v[134:135]
	s_wait_loadcnt_dscnt 0x300
	v_mul_f64_e32 v[130:131], v[8:9], v[138:139]
	v_mul_f64_e32 v[138:139], v[10:11], v[138:139]
	v_add_f64_e32 v[12:13], v[14:15], v[12:13]
	v_add_f64_e32 v[14:15], v[152:153], v[170:171]
	v_fmac_f64_e32 v[160:161], v[6:7], v[132:133]
	v_fma_f64 v[132:133], v[4:5], v[132:133], -v[134:135]
	v_fmac_f64_e32 v[130:131], v[10:11], v[136:137]
	v_fma_f64 v[8:9], v[8:9], v[136:137], -v[138:139]
	v_add_f64_e32 v[128:129], v[12:13], v[128:129]
	v_add_f64_e32 v[134:135], v[14:15], v[154:155]
	ds_load_b128 v[4:7], v2 offset:1712
	ds_load_b128 v[12:15], v2 offset:1728
	s_wait_loadcnt_dscnt 0x201
	v_mul_f64_e32 v[152:153], v[4:5], v[142:143]
	v_mul_f64_e32 v[142:143], v[6:7], v[142:143]
	v_add_f64_e32 v[10:11], v[128:129], v[132:133]
	v_add_f64_e32 v[128:129], v[134:135], v[160:161]
	s_wait_loadcnt_dscnt 0x100
	v_mul_f64_e32 v[132:133], v[12:13], v[146:147]
	v_mul_f64_e32 v[134:135], v[14:15], v[146:147]
	v_fmac_f64_e32 v[152:153], v[6:7], v[140:141]
	v_fma_f64 v[136:137], v[4:5], v[140:141], -v[142:143]
	ds_load_b128 v[4:7], v2 offset:1744
	v_add_f64_e32 v[8:9], v[10:11], v[8:9]
	v_add_f64_e32 v[10:11], v[128:129], v[130:131]
	v_fmac_f64_e32 v[132:133], v[14:15], v[144:145]
	v_fma_f64 v[12:13], v[12:13], v[144:145], -v[134:135]
	s_wait_loadcnt_dscnt 0x0
	v_mul_f64_e32 v[128:129], v[4:5], v[150:151]
	v_mul_f64_e32 v[130:131], v[6:7], v[150:151]
	v_add_f64_e32 v[8:9], v[8:9], v[136:137]
	v_add_f64_e32 v[10:11], v[10:11], v[152:153]
	s_delay_alu instid0(VALU_DEP_4) | instskip(NEXT) | instid1(VALU_DEP_4)
	v_fmac_f64_e32 v[128:129], v[6:7], v[148:149]
	v_fma_f64 v[4:5], v[4:5], v[148:149], -v[130:131]
	s_delay_alu instid0(VALU_DEP_4) | instskip(NEXT) | instid1(VALU_DEP_4)
	v_add_f64_e32 v[6:7], v[8:9], v[12:13]
	v_add_f64_e32 v[8:9], v[10:11], v[132:133]
	s_delay_alu instid0(VALU_DEP_2) | instskip(NEXT) | instid1(VALU_DEP_2)
	v_add_f64_e32 v[4:5], v[6:7], v[4:5]
	v_add_f64_e32 v[6:7], v[8:9], v[128:129]
	s_delay_alu instid0(VALU_DEP_2) | instskip(NEXT) | instid1(VALU_DEP_2)
	v_add_f64_e64 v[4:5], v[164:165], -v[4:5]
	v_add_f64_e64 v[6:7], v[166:167], -v[6:7]
	scratch_store_b128 off, v[4:7], off offset:528
	s_wait_xcnt 0x0
	v_cmpx_lt_u32_e32 32, v1
	s_cbranch_execz .LBB54_279
; %bb.278:
	scratch_load_b128 v[6:9], off, s47
	v_dual_mov_b32 v3, v2 :: v_dual_mov_b32 v4, v2
	v_mov_b32_e32 v5, v2
	scratch_store_b128 off, v[2:5], off offset:512
	s_wait_loadcnt 0x0
	ds_store_b128 v126, v[6:9]
.LBB54_279:
	s_wait_xcnt 0x0
	s_or_b32 exec_lo, exec_lo, s2
	s_wait_storecnt_dscnt 0x0
	s_barrier_signal -1
	s_barrier_wait -1
	s_clause 0x9
	scratch_load_b128 v[4:7], off, off offset:528
	scratch_load_b128 v[8:11], off, off offset:544
	;; [unrolled: 1-line block ×10, first 2 shown]
	ds_load_b128 v[156:159], v2 offset:1408
	ds_load_b128 v[164:167], v2 offset:1424
	s_clause 0x2
	scratch_load_b128 v[160:163], off, off offset:688
	scratch_load_b128 v[168:171], off, off offset:512
	;; [unrolled: 1-line block ×3, first 2 shown]
	s_mov_b32 s2, exec_lo
	s_wait_loadcnt_dscnt 0xc01
	v_mul_f64_e32 v[176:177], v[158:159], v[6:7]
	v_mul_f64_e32 v[180:181], v[156:157], v[6:7]
	s_wait_loadcnt_dscnt 0xb00
	v_mul_f64_e32 v[182:183], v[164:165], v[10:11]
	v_mul_f64_e32 v[10:11], v[166:167], v[10:11]
	s_delay_alu instid0(VALU_DEP_4) | instskip(NEXT) | instid1(VALU_DEP_4)
	v_fma_f64 v[184:185], v[156:157], v[4:5], -v[176:177]
	v_fmac_f64_e32 v[180:181], v[158:159], v[4:5]
	ds_load_b128 v[4:7], v2 offset:1440
	ds_load_b128 v[156:159], v2 offset:1456
	scratch_load_b128 v[176:179], off, off offset:720
	v_fmac_f64_e32 v[182:183], v[166:167], v[8:9]
	v_fma_f64 v[164:165], v[164:165], v[8:9], -v[10:11]
	scratch_load_b128 v[8:11], off, off offset:736
	s_wait_loadcnt_dscnt 0xc01
	v_mul_f64_e32 v[186:187], v[4:5], v[14:15]
	v_mul_f64_e32 v[14:15], v[6:7], v[14:15]
	v_add_f64_e32 v[166:167], 0, v[184:185]
	v_add_f64_e32 v[180:181], 0, v[180:181]
	s_wait_loadcnt_dscnt 0xb00
	v_mul_f64_e32 v[184:185], v[156:157], v[130:131]
	v_mul_f64_e32 v[130:131], v[158:159], v[130:131]
	v_fmac_f64_e32 v[186:187], v[6:7], v[12:13]
	v_fma_f64 v[188:189], v[4:5], v[12:13], -v[14:15]
	ds_load_b128 v[4:7], v2 offset:1472
	ds_load_b128 v[12:15], v2 offset:1488
	v_add_f64_e32 v[190:191], v[166:167], v[164:165]
	v_add_f64_e32 v[180:181], v[180:181], v[182:183]
	scratch_load_b128 v[164:167], off, off offset:752
	v_fmac_f64_e32 v[184:185], v[158:159], v[128:129]
	v_fma_f64 v[156:157], v[156:157], v[128:129], -v[130:131]
	scratch_load_b128 v[128:131], off, off offset:768
	s_wait_loadcnt_dscnt 0xc01
	v_mul_f64_e32 v[182:183], v[4:5], v[134:135]
	v_mul_f64_e32 v[134:135], v[6:7], v[134:135]
	v_add_f64_e32 v[158:159], v[190:191], v[188:189]
	v_add_f64_e32 v[180:181], v[180:181], v[186:187]
	s_wait_loadcnt_dscnt 0xb00
	v_mul_f64_e32 v[186:187], v[12:13], v[138:139]
	v_mul_f64_e32 v[138:139], v[14:15], v[138:139]
	v_fmac_f64_e32 v[182:183], v[6:7], v[132:133]
	v_fma_f64 v[188:189], v[4:5], v[132:133], -v[134:135]
	ds_load_b128 v[4:7], v2 offset:1504
	ds_load_b128 v[132:135], v2 offset:1520
	v_add_f64_e32 v[190:191], v[158:159], v[156:157]
	v_add_f64_e32 v[180:181], v[180:181], v[184:185]
	scratch_load_b128 v[156:159], off, off offset:784
	s_wait_loadcnt_dscnt 0xb01
	v_mul_f64_e32 v[184:185], v[4:5], v[142:143]
	v_mul_f64_e32 v[142:143], v[6:7], v[142:143]
	v_fmac_f64_e32 v[186:187], v[14:15], v[136:137]
	v_fma_f64 v[136:137], v[12:13], v[136:137], -v[138:139]
	scratch_load_b128 v[12:15], off, off offset:800
	v_add_f64_e32 v[138:139], v[190:191], v[188:189]
	v_add_f64_e32 v[180:181], v[180:181], v[182:183]
	s_wait_loadcnt_dscnt 0xb00
	v_mul_f64_e32 v[182:183], v[132:133], v[146:147]
	v_mul_f64_e32 v[146:147], v[134:135], v[146:147]
	v_fmac_f64_e32 v[184:185], v[6:7], v[140:141]
	v_fma_f64 v[188:189], v[4:5], v[140:141], -v[142:143]
	v_add_f64_e32 v[190:191], v[138:139], v[136:137]
	v_add_f64_e32 v[180:181], v[180:181], v[186:187]
	ds_load_b128 v[4:7], v2 offset:1536
	ds_load_b128 v[136:139], v2 offset:1552
	scratch_load_b128 v[140:143], off, off offset:816
	v_fmac_f64_e32 v[182:183], v[134:135], v[144:145]
	v_fma_f64 v[144:145], v[132:133], v[144:145], -v[146:147]
	scratch_load_b128 v[132:135], off, off offset:832
	s_wait_loadcnt_dscnt 0xc01
	v_mul_f64_e32 v[186:187], v[4:5], v[150:151]
	v_mul_f64_e32 v[150:151], v[6:7], v[150:151]
	v_add_f64_e32 v[146:147], v[190:191], v[188:189]
	v_add_f64_e32 v[180:181], v[180:181], v[184:185]
	s_wait_loadcnt_dscnt 0xb00
	v_mul_f64_e32 v[184:185], v[136:137], v[154:155]
	v_mul_f64_e32 v[154:155], v[138:139], v[154:155]
	v_fmac_f64_e32 v[186:187], v[6:7], v[148:149]
	v_fma_f64 v[188:189], v[4:5], v[148:149], -v[150:151]
	v_add_f64_e32 v[190:191], v[146:147], v[144:145]
	v_add_f64_e32 v[180:181], v[180:181], v[182:183]
	ds_load_b128 v[4:7], v2 offset:1568
	ds_load_b128 v[144:147], v2 offset:1584
	scratch_load_b128 v[148:151], off, off offset:848
	v_fmac_f64_e32 v[184:185], v[138:139], v[152:153]
	v_fma_f64 v[152:153], v[136:137], v[152:153], -v[154:155]
	scratch_load_b128 v[136:139], off, off offset:864
	s_wait_loadcnt_dscnt 0xc01
	v_mul_f64_e32 v[182:183], v[4:5], v[162:163]
	v_mul_f64_e32 v[162:163], v[6:7], v[162:163]
	v_add_f64_e32 v[154:155], v[190:191], v[188:189]
	v_add_f64_e32 v[180:181], v[180:181], v[186:187]
	s_wait_loadcnt_dscnt 0xa00
	v_mul_f64_e32 v[186:187], v[144:145], v[174:175]
	v_mul_f64_e32 v[174:175], v[146:147], v[174:175]
	v_fmac_f64_e32 v[182:183], v[6:7], v[160:161]
	v_fma_f64 v[160:161], v[4:5], v[160:161], -v[162:163]
	v_add_f64_e32 v[162:163], v[154:155], v[152:153]
	v_add_f64_e32 v[180:181], v[180:181], v[184:185]
	ds_load_b128 v[4:7], v2 offset:1600
	ds_load_b128 v[152:155], v2 offset:1616
	v_fmac_f64_e32 v[186:187], v[146:147], v[172:173]
	v_fma_f64 v[144:145], v[144:145], v[172:173], -v[174:175]
	s_wait_loadcnt_dscnt 0x901
	v_mul_f64_e32 v[184:185], v[4:5], v[178:179]
	v_mul_f64_e32 v[178:179], v[6:7], v[178:179]
	v_add_f64_e32 v[146:147], v[162:163], v[160:161]
	v_add_f64_e32 v[160:161], v[180:181], v[182:183]
	s_wait_loadcnt_dscnt 0x800
	v_mul_f64_e32 v[162:163], v[152:153], v[10:11]
	v_mul_f64_e32 v[10:11], v[154:155], v[10:11]
	v_fmac_f64_e32 v[184:185], v[6:7], v[176:177]
	v_fma_f64 v[172:173], v[4:5], v[176:177], -v[178:179]
	v_add_f64_e32 v[174:175], v[146:147], v[144:145]
	v_add_f64_e32 v[160:161], v[160:161], v[186:187]
	ds_load_b128 v[4:7], v2 offset:1632
	ds_load_b128 v[144:147], v2 offset:1648
	v_fmac_f64_e32 v[162:163], v[154:155], v[8:9]
	v_fma_f64 v[8:9], v[152:153], v[8:9], -v[10:11]
	s_wait_loadcnt_dscnt 0x701
	v_mul_f64_e32 v[176:177], v[4:5], v[166:167]
	v_mul_f64_e32 v[166:167], v[6:7], v[166:167]
	s_wait_loadcnt_dscnt 0x600
	v_mul_f64_e32 v[154:155], v[144:145], v[130:131]
	v_mul_f64_e32 v[130:131], v[146:147], v[130:131]
	v_add_f64_e32 v[10:11], v[174:175], v[172:173]
	v_add_f64_e32 v[152:153], v[160:161], v[184:185]
	v_fmac_f64_e32 v[176:177], v[6:7], v[164:165]
	v_fma_f64 v[160:161], v[4:5], v[164:165], -v[166:167]
	v_fmac_f64_e32 v[154:155], v[146:147], v[128:129]
	v_fma_f64 v[128:129], v[144:145], v[128:129], -v[130:131]
	v_add_f64_e32 v[164:165], v[10:11], v[8:9]
	v_add_f64_e32 v[152:153], v[152:153], v[162:163]
	ds_load_b128 v[4:7], v2 offset:1664
	ds_load_b128 v[8:11], v2 offset:1680
	s_wait_loadcnt_dscnt 0x501
	v_mul_f64_e32 v[162:163], v[4:5], v[158:159]
	v_mul_f64_e32 v[158:159], v[6:7], v[158:159]
	s_wait_loadcnt_dscnt 0x400
	v_mul_f64_e32 v[146:147], v[8:9], v[14:15]
	v_mul_f64_e32 v[14:15], v[10:11], v[14:15]
	v_add_f64_e32 v[130:131], v[164:165], v[160:161]
	v_add_f64_e32 v[144:145], v[152:153], v[176:177]
	v_fmac_f64_e32 v[162:163], v[6:7], v[156:157]
	v_fma_f64 v[152:153], v[4:5], v[156:157], -v[158:159]
	v_fmac_f64_e32 v[146:147], v[10:11], v[12:13]
	v_fma_f64 v[8:9], v[8:9], v[12:13], -v[14:15]
	v_add_f64_e32 v[156:157], v[130:131], v[128:129]
	v_add_f64_e32 v[144:145], v[144:145], v[154:155]
	ds_load_b128 v[4:7], v2 offset:1696
	ds_load_b128 v[128:131], v2 offset:1712
	;; [unrolled: 16-line block ×3, first 2 shown]
	s_wait_loadcnt_dscnt 0x101
	v_mul_f64_e32 v[2:3], v[4:5], v[150:151]
	v_mul_f64_e32 v[144:145], v[6:7], v[150:151]
	s_wait_loadcnt_dscnt 0x0
	v_mul_f64_e32 v[132:133], v[8:9], v[138:139]
	v_mul_f64_e32 v[134:135], v[10:11], v[138:139]
	v_add_f64_e32 v[130:131], v[142:143], v[140:141]
	v_add_f64_e32 v[12:13], v[12:13], v[154:155]
	v_fmac_f64_e32 v[2:3], v[6:7], v[148:149]
	v_fma_f64 v[4:5], v[4:5], v[148:149], -v[144:145]
	v_fmac_f64_e32 v[132:133], v[10:11], v[136:137]
	v_fma_f64 v[8:9], v[8:9], v[136:137], -v[134:135]
	v_add_f64_e32 v[6:7], v[130:131], v[128:129]
	v_add_f64_e32 v[12:13], v[12:13], v[14:15]
	s_delay_alu instid0(VALU_DEP_2) | instskip(NEXT) | instid1(VALU_DEP_2)
	v_add_f64_e32 v[4:5], v[6:7], v[4:5]
	v_add_f64_e32 v[2:3], v[12:13], v[2:3]
	s_delay_alu instid0(VALU_DEP_2) | instskip(NEXT) | instid1(VALU_DEP_2)
	;; [unrolled: 3-line block ×3, first 2 shown]
	v_add_f64_e64 v[2:3], v[168:169], -v[4:5]
	v_add_f64_e64 v[4:5], v[170:171], -v[6:7]
	scratch_store_b128 off, v[2:5], off offset:512
	s_wait_xcnt 0x0
	v_cmpx_lt_u32_e32 31, v1
	s_cbranch_execz .LBB54_281
; %bb.280:
	scratch_load_b128 v[2:5], off, s46
	v_mov_b32_e32 v6, 0
	s_delay_alu instid0(VALU_DEP_1)
	v_dual_mov_b32 v7, v6 :: v_dual_mov_b32 v8, v6
	v_mov_b32_e32 v9, v6
	scratch_store_b128 off, v[6:9], off offset:496
	s_wait_loadcnt 0x0
	ds_store_b128 v126, v[2:5]
.LBB54_281:
	s_wait_xcnt 0x0
	s_or_b32 exec_lo, exec_lo, s2
	s_wait_storecnt_dscnt 0x0
	s_barrier_signal -1
	s_barrier_wait -1
	s_clause 0x9
	scratch_load_b128 v[4:7], off, off offset:512
	scratch_load_b128 v[8:11], off, off offset:528
	;; [unrolled: 1-line block ×10, first 2 shown]
	v_mov_b32_e32 v2, 0
	s_mov_b32 s2, exec_lo
	ds_load_b128 v[156:159], v2 offset:1392
	s_clause 0x2
	scratch_load_b128 v[160:163], off, off offset:672
	scratch_load_b128 v[164:167], off, off offset:496
	;; [unrolled: 1-line block ×3, first 2 shown]
	s_wait_loadcnt_dscnt 0xc00
	v_mul_f64_e32 v[176:177], v[158:159], v[6:7]
	v_mul_f64_e32 v[180:181], v[156:157], v[6:7]
	ds_load_b128 v[168:171], v2 offset:1408
	v_fma_f64 v[184:185], v[156:157], v[4:5], -v[176:177]
	v_fmac_f64_e32 v[180:181], v[158:159], v[4:5]
	ds_load_b128 v[4:7], v2 offset:1424
	s_wait_loadcnt_dscnt 0xb01
	v_mul_f64_e32 v[182:183], v[168:169], v[10:11]
	v_mul_f64_e32 v[10:11], v[170:171], v[10:11]
	scratch_load_b128 v[156:159], off, off offset:704
	ds_load_b128 v[176:179], v2 offset:1440
	s_wait_loadcnt_dscnt 0xb01
	v_mul_f64_e32 v[186:187], v[4:5], v[14:15]
	v_mul_f64_e32 v[14:15], v[6:7], v[14:15]
	v_add_f64_e32 v[180:181], 0, v[180:181]
	v_fmac_f64_e32 v[182:183], v[170:171], v[8:9]
	v_fma_f64 v[168:169], v[168:169], v[8:9], -v[10:11]
	v_add_f64_e32 v[170:171], 0, v[184:185]
	scratch_load_b128 v[8:11], off, off offset:720
	v_fmac_f64_e32 v[186:187], v[6:7], v[12:13]
	v_fma_f64 v[188:189], v[4:5], v[12:13], -v[14:15]
	ds_load_b128 v[4:7], v2 offset:1456
	s_wait_loadcnt_dscnt 0xb01
	v_mul_f64_e32 v[184:185], v[176:177], v[130:131]
	v_mul_f64_e32 v[130:131], v[178:179], v[130:131]
	scratch_load_b128 v[12:15], off, off offset:736
	v_add_f64_e32 v[180:181], v[180:181], v[182:183]
	v_add_f64_e32 v[190:191], v[170:171], v[168:169]
	ds_load_b128 v[168:171], v2 offset:1472
	s_wait_loadcnt_dscnt 0xb01
	v_mul_f64_e32 v[182:183], v[4:5], v[134:135]
	v_mul_f64_e32 v[134:135], v[6:7], v[134:135]
	v_fmac_f64_e32 v[184:185], v[178:179], v[128:129]
	v_fma_f64 v[176:177], v[176:177], v[128:129], -v[130:131]
	scratch_load_b128 v[128:131], off, off offset:752
	v_add_f64_e32 v[180:181], v[180:181], v[186:187]
	v_add_f64_e32 v[178:179], v[190:191], v[188:189]
	v_fmac_f64_e32 v[182:183], v[6:7], v[132:133]
	v_fma_f64 v[188:189], v[4:5], v[132:133], -v[134:135]
	ds_load_b128 v[4:7], v2 offset:1488
	s_wait_loadcnt_dscnt 0xb01
	v_mul_f64_e32 v[186:187], v[168:169], v[138:139]
	v_mul_f64_e32 v[138:139], v[170:171], v[138:139]
	scratch_load_b128 v[132:135], off, off offset:768
	v_add_f64_e32 v[180:181], v[180:181], v[184:185]
	s_wait_loadcnt_dscnt 0xb00
	v_mul_f64_e32 v[184:185], v[4:5], v[142:143]
	v_add_f64_e32 v[190:191], v[178:179], v[176:177]
	v_mul_f64_e32 v[142:143], v[6:7], v[142:143]
	ds_load_b128 v[176:179], v2 offset:1504
	v_fmac_f64_e32 v[186:187], v[170:171], v[136:137]
	v_fma_f64 v[168:169], v[168:169], v[136:137], -v[138:139]
	scratch_load_b128 v[136:139], off, off offset:784
	v_add_f64_e32 v[180:181], v[180:181], v[182:183]
	v_fmac_f64_e32 v[184:185], v[6:7], v[140:141]
	v_add_f64_e32 v[170:171], v[190:191], v[188:189]
	v_fma_f64 v[188:189], v[4:5], v[140:141], -v[142:143]
	ds_load_b128 v[4:7], v2 offset:1520
	s_wait_loadcnt_dscnt 0xb01
	v_mul_f64_e32 v[182:183], v[176:177], v[146:147]
	v_mul_f64_e32 v[146:147], v[178:179], v[146:147]
	scratch_load_b128 v[140:143], off, off offset:800
	v_add_f64_e32 v[180:181], v[180:181], v[186:187]
	s_wait_loadcnt_dscnt 0xb00
	v_mul_f64_e32 v[186:187], v[4:5], v[150:151]
	v_add_f64_e32 v[190:191], v[170:171], v[168:169]
	v_mul_f64_e32 v[150:151], v[6:7], v[150:151]
	ds_load_b128 v[168:171], v2 offset:1536
	v_fmac_f64_e32 v[182:183], v[178:179], v[144:145]
	v_fma_f64 v[176:177], v[176:177], v[144:145], -v[146:147]
	scratch_load_b128 v[144:147], off, off offset:816
	v_add_f64_e32 v[180:181], v[180:181], v[184:185]
	v_fmac_f64_e32 v[186:187], v[6:7], v[148:149]
	v_add_f64_e32 v[178:179], v[190:191], v[188:189]
	;; [unrolled: 18-line block ×3, first 2 shown]
	v_fma_f64 v[188:189], v[4:5], v[160:161], -v[162:163]
	ds_load_b128 v[4:7], v2 offset:1584
	s_wait_loadcnt_dscnt 0xa01
	v_mul_f64_e32 v[186:187], v[176:177], v[174:175]
	v_mul_f64_e32 v[174:175], v[178:179], v[174:175]
	scratch_load_b128 v[160:163], off, off offset:864
	v_add_f64_e32 v[180:181], v[180:181], v[184:185]
	v_add_f64_e32 v[190:191], v[170:171], v[168:169]
	s_wait_loadcnt_dscnt 0xa00
	v_mul_f64_e32 v[184:185], v[4:5], v[158:159]
	v_mul_f64_e32 v[158:159], v[6:7], v[158:159]
	v_fmac_f64_e32 v[186:187], v[178:179], v[172:173]
	v_fma_f64 v[172:173], v[176:177], v[172:173], -v[174:175]
	ds_load_b128 v[168:171], v2 offset:1600
	v_add_f64_e32 v[176:177], v[180:181], v[182:183]
	v_add_f64_e32 v[174:175], v[190:191], v[188:189]
	s_wait_loadcnt_dscnt 0x900
	v_mul_f64_e32 v[178:179], v[168:169], v[10:11]
	v_mul_f64_e32 v[10:11], v[170:171], v[10:11]
	v_fmac_f64_e32 v[184:185], v[6:7], v[156:157]
	v_fma_f64 v[180:181], v[4:5], v[156:157], -v[158:159]
	ds_load_b128 v[4:7], v2 offset:1616
	ds_load_b128 v[156:159], v2 offset:1632
	v_add_f64_e32 v[172:173], v[174:175], v[172:173]
	v_add_f64_e32 v[174:175], v[176:177], v[186:187]
	s_wait_loadcnt_dscnt 0x801
	v_mul_f64_e32 v[176:177], v[4:5], v[14:15]
	v_mul_f64_e32 v[14:15], v[6:7], v[14:15]
	v_fmac_f64_e32 v[178:179], v[170:171], v[8:9]
	v_fma_f64 v[8:9], v[168:169], v[8:9], -v[10:11]
	s_wait_loadcnt_dscnt 0x700
	v_mul_f64_e32 v[170:171], v[156:157], v[130:131]
	v_mul_f64_e32 v[130:131], v[158:159], v[130:131]
	v_add_f64_e32 v[10:11], v[172:173], v[180:181]
	v_add_f64_e32 v[168:169], v[174:175], v[184:185]
	v_fmac_f64_e32 v[176:177], v[6:7], v[12:13]
	v_fma_f64 v[12:13], v[4:5], v[12:13], -v[14:15]
	v_fmac_f64_e32 v[170:171], v[158:159], v[128:129]
	v_fma_f64 v[128:129], v[156:157], v[128:129], -v[130:131]
	v_add_f64_e32 v[14:15], v[10:11], v[8:9]
	v_add_f64_e32 v[168:169], v[168:169], v[178:179]
	ds_load_b128 v[4:7], v2 offset:1648
	ds_load_b128 v[8:11], v2 offset:1664
	s_wait_loadcnt_dscnt 0x601
	v_mul_f64_e32 v[172:173], v[4:5], v[134:135]
	v_mul_f64_e32 v[134:135], v[6:7], v[134:135]
	s_wait_loadcnt_dscnt 0x500
	v_mul_f64_e32 v[130:131], v[8:9], v[138:139]
	v_mul_f64_e32 v[138:139], v[10:11], v[138:139]
	v_add_f64_e32 v[12:13], v[14:15], v[12:13]
	v_add_f64_e32 v[14:15], v[168:169], v[176:177]
	v_fmac_f64_e32 v[172:173], v[6:7], v[132:133]
	v_fma_f64 v[132:133], v[4:5], v[132:133], -v[134:135]
	v_fmac_f64_e32 v[130:131], v[10:11], v[136:137]
	v_fma_f64 v[8:9], v[8:9], v[136:137], -v[138:139]
	v_add_f64_e32 v[128:129], v[12:13], v[128:129]
	v_add_f64_e32 v[134:135], v[14:15], v[170:171]
	ds_load_b128 v[4:7], v2 offset:1680
	ds_load_b128 v[12:15], v2 offset:1696
	s_wait_loadcnt_dscnt 0x401
	v_mul_f64_e32 v[156:157], v[4:5], v[142:143]
	v_mul_f64_e32 v[142:143], v[6:7], v[142:143]
	v_add_f64_e32 v[10:11], v[128:129], v[132:133]
	v_add_f64_e32 v[128:129], v[134:135], v[172:173]
	s_wait_loadcnt_dscnt 0x300
	v_mul_f64_e32 v[132:133], v[12:13], v[146:147]
	v_mul_f64_e32 v[134:135], v[14:15], v[146:147]
	v_fmac_f64_e32 v[156:157], v[6:7], v[140:141]
	v_fma_f64 v[136:137], v[4:5], v[140:141], -v[142:143]
	v_add_f64_e32 v[138:139], v[10:11], v[8:9]
	v_add_f64_e32 v[128:129], v[128:129], v[130:131]
	ds_load_b128 v[4:7], v2 offset:1712
	ds_load_b128 v[8:11], v2 offset:1728
	v_fmac_f64_e32 v[132:133], v[14:15], v[144:145]
	v_fma_f64 v[12:13], v[12:13], v[144:145], -v[134:135]
	s_wait_loadcnt_dscnt 0x201
	v_mul_f64_e32 v[130:131], v[4:5], v[150:151]
	v_mul_f64_e32 v[140:141], v[6:7], v[150:151]
	s_wait_loadcnt_dscnt 0x100
	v_mul_f64_e32 v[134:135], v[8:9], v[154:155]
	v_add_f64_e32 v[14:15], v[138:139], v[136:137]
	v_add_f64_e32 v[128:129], v[128:129], v[156:157]
	v_mul_f64_e32 v[136:137], v[10:11], v[154:155]
	v_fmac_f64_e32 v[130:131], v[6:7], v[148:149]
	v_fma_f64 v[138:139], v[4:5], v[148:149], -v[140:141]
	ds_load_b128 v[4:7], v2 offset:1744
	v_fmac_f64_e32 v[134:135], v[10:11], v[152:153]
	v_add_f64_e32 v[12:13], v[14:15], v[12:13]
	v_add_f64_e32 v[14:15], v[128:129], v[132:133]
	v_fma_f64 v[8:9], v[8:9], v[152:153], -v[136:137]
	s_wait_loadcnt_dscnt 0x0
	v_mul_f64_e32 v[128:129], v[4:5], v[162:163]
	v_mul_f64_e32 v[132:133], v[6:7], v[162:163]
	v_add_f64_e32 v[10:11], v[12:13], v[138:139]
	v_add_f64_e32 v[12:13], v[14:15], v[130:131]
	s_delay_alu instid0(VALU_DEP_4) | instskip(NEXT) | instid1(VALU_DEP_4)
	v_fmac_f64_e32 v[128:129], v[6:7], v[160:161]
	v_fma_f64 v[4:5], v[4:5], v[160:161], -v[132:133]
	s_delay_alu instid0(VALU_DEP_4) | instskip(NEXT) | instid1(VALU_DEP_4)
	v_add_f64_e32 v[6:7], v[10:11], v[8:9]
	v_add_f64_e32 v[8:9], v[12:13], v[134:135]
	s_delay_alu instid0(VALU_DEP_2) | instskip(NEXT) | instid1(VALU_DEP_2)
	v_add_f64_e32 v[4:5], v[6:7], v[4:5]
	v_add_f64_e32 v[6:7], v[8:9], v[128:129]
	s_delay_alu instid0(VALU_DEP_2) | instskip(NEXT) | instid1(VALU_DEP_2)
	v_add_f64_e64 v[4:5], v[164:165], -v[4:5]
	v_add_f64_e64 v[6:7], v[166:167], -v[6:7]
	scratch_store_b128 off, v[4:7], off offset:496
	s_wait_xcnt 0x0
	v_cmpx_lt_u32_e32 30, v1
	s_cbranch_execz .LBB54_283
; %bb.282:
	scratch_load_b128 v[6:9], off, s44
	v_dual_mov_b32 v3, v2 :: v_dual_mov_b32 v4, v2
	v_mov_b32_e32 v5, v2
	scratch_store_b128 off, v[2:5], off offset:480
	s_wait_loadcnt 0x0
	ds_store_b128 v126, v[6:9]
.LBB54_283:
	s_wait_xcnt 0x0
	s_or_b32 exec_lo, exec_lo, s2
	s_wait_storecnt_dscnt 0x0
	s_barrier_signal -1
	s_barrier_wait -1
	s_clause 0x9
	scratch_load_b128 v[4:7], off, off offset:496
	scratch_load_b128 v[8:11], off, off offset:512
	;; [unrolled: 1-line block ×10, first 2 shown]
	ds_load_b128 v[156:159], v2 offset:1376
	ds_load_b128 v[164:167], v2 offset:1392
	s_clause 0x2
	scratch_load_b128 v[160:163], off, off offset:656
	scratch_load_b128 v[168:171], off, off offset:480
	;; [unrolled: 1-line block ×3, first 2 shown]
	s_mov_b32 s2, exec_lo
	s_wait_loadcnt_dscnt 0xc01
	v_mul_f64_e32 v[176:177], v[158:159], v[6:7]
	v_mul_f64_e32 v[180:181], v[156:157], v[6:7]
	s_wait_loadcnt_dscnt 0xb00
	v_mul_f64_e32 v[182:183], v[164:165], v[10:11]
	v_mul_f64_e32 v[10:11], v[166:167], v[10:11]
	s_delay_alu instid0(VALU_DEP_4) | instskip(NEXT) | instid1(VALU_DEP_4)
	v_fma_f64 v[184:185], v[156:157], v[4:5], -v[176:177]
	v_fmac_f64_e32 v[180:181], v[158:159], v[4:5]
	ds_load_b128 v[4:7], v2 offset:1408
	ds_load_b128 v[156:159], v2 offset:1424
	scratch_load_b128 v[176:179], off, off offset:688
	v_fmac_f64_e32 v[182:183], v[166:167], v[8:9]
	v_fma_f64 v[164:165], v[164:165], v[8:9], -v[10:11]
	scratch_load_b128 v[8:11], off, off offset:704
	s_wait_loadcnt_dscnt 0xc01
	v_mul_f64_e32 v[186:187], v[4:5], v[14:15]
	v_mul_f64_e32 v[14:15], v[6:7], v[14:15]
	v_add_f64_e32 v[166:167], 0, v[184:185]
	v_add_f64_e32 v[180:181], 0, v[180:181]
	s_wait_loadcnt_dscnt 0xb00
	v_mul_f64_e32 v[184:185], v[156:157], v[130:131]
	v_mul_f64_e32 v[130:131], v[158:159], v[130:131]
	v_fmac_f64_e32 v[186:187], v[6:7], v[12:13]
	v_fma_f64 v[188:189], v[4:5], v[12:13], -v[14:15]
	ds_load_b128 v[4:7], v2 offset:1440
	ds_load_b128 v[12:15], v2 offset:1456
	v_add_f64_e32 v[190:191], v[166:167], v[164:165]
	v_add_f64_e32 v[180:181], v[180:181], v[182:183]
	scratch_load_b128 v[164:167], off, off offset:720
	v_fmac_f64_e32 v[184:185], v[158:159], v[128:129]
	v_fma_f64 v[156:157], v[156:157], v[128:129], -v[130:131]
	scratch_load_b128 v[128:131], off, off offset:736
	s_wait_loadcnt_dscnt 0xc01
	v_mul_f64_e32 v[182:183], v[4:5], v[134:135]
	v_mul_f64_e32 v[134:135], v[6:7], v[134:135]
	v_add_f64_e32 v[158:159], v[190:191], v[188:189]
	v_add_f64_e32 v[180:181], v[180:181], v[186:187]
	s_wait_loadcnt_dscnt 0xb00
	v_mul_f64_e32 v[186:187], v[12:13], v[138:139]
	v_mul_f64_e32 v[138:139], v[14:15], v[138:139]
	v_fmac_f64_e32 v[182:183], v[6:7], v[132:133]
	v_fma_f64 v[188:189], v[4:5], v[132:133], -v[134:135]
	ds_load_b128 v[4:7], v2 offset:1472
	ds_load_b128 v[132:135], v2 offset:1488
	v_add_f64_e32 v[190:191], v[158:159], v[156:157]
	v_add_f64_e32 v[180:181], v[180:181], v[184:185]
	scratch_load_b128 v[156:159], off, off offset:752
	s_wait_loadcnt_dscnt 0xb01
	v_mul_f64_e32 v[184:185], v[4:5], v[142:143]
	v_mul_f64_e32 v[142:143], v[6:7], v[142:143]
	v_fmac_f64_e32 v[186:187], v[14:15], v[136:137]
	v_fma_f64 v[136:137], v[12:13], v[136:137], -v[138:139]
	scratch_load_b128 v[12:15], off, off offset:768
	v_add_f64_e32 v[138:139], v[190:191], v[188:189]
	v_add_f64_e32 v[180:181], v[180:181], v[182:183]
	s_wait_loadcnt_dscnt 0xb00
	v_mul_f64_e32 v[182:183], v[132:133], v[146:147]
	v_mul_f64_e32 v[146:147], v[134:135], v[146:147]
	v_fmac_f64_e32 v[184:185], v[6:7], v[140:141]
	v_fma_f64 v[188:189], v[4:5], v[140:141], -v[142:143]
	v_add_f64_e32 v[190:191], v[138:139], v[136:137]
	v_add_f64_e32 v[180:181], v[180:181], v[186:187]
	ds_load_b128 v[4:7], v2 offset:1504
	ds_load_b128 v[136:139], v2 offset:1520
	scratch_load_b128 v[140:143], off, off offset:784
	v_fmac_f64_e32 v[182:183], v[134:135], v[144:145]
	v_fma_f64 v[144:145], v[132:133], v[144:145], -v[146:147]
	scratch_load_b128 v[132:135], off, off offset:800
	s_wait_loadcnt_dscnt 0xc01
	v_mul_f64_e32 v[186:187], v[4:5], v[150:151]
	v_mul_f64_e32 v[150:151], v[6:7], v[150:151]
	v_add_f64_e32 v[146:147], v[190:191], v[188:189]
	v_add_f64_e32 v[180:181], v[180:181], v[184:185]
	s_wait_loadcnt_dscnt 0xb00
	v_mul_f64_e32 v[184:185], v[136:137], v[154:155]
	v_mul_f64_e32 v[154:155], v[138:139], v[154:155]
	v_fmac_f64_e32 v[186:187], v[6:7], v[148:149]
	v_fma_f64 v[188:189], v[4:5], v[148:149], -v[150:151]
	v_add_f64_e32 v[190:191], v[146:147], v[144:145]
	v_add_f64_e32 v[180:181], v[180:181], v[182:183]
	ds_load_b128 v[4:7], v2 offset:1536
	ds_load_b128 v[144:147], v2 offset:1552
	scratch_load_b128 v[148:151], off, off offset:816
	v_fmac_f64_e32 v[184:185], v[138:139], v[152:153]
	v_fma_f64 v[152:153], v[136:137], v[152:153], -v[154:155]
	scratch_load_b128 v[136:139], off, off offset:832
	s_wait_loadcnt_dscnt 0xc01
	v_mul_f64_e32 v[182:183], v[4:5], v[162:163]
	v_mul_f64_e32 v[162:163], v[6:7], v[162:163]
	;; [unrolled: 18-line block ×3, first 2 shown]
	v_add_f64_e32 v[174:175], v[190:191], v[188:189]
	v_add_f64_e32 v[180:181], v[180:181], v[182:183]
	s_wait_loadcnt_dscnt 0xa00
	v_mul_f64_e32 v[182:183], v[152:153], v[10:11]
	v_mul_f64_e32 v[10:11], v[154:155], v[10:11]
	v_fmac_f64_e32 v[184:185], v[6:7], v[176:177]
	v_fma_f64 v[176:177], v[4:5], v[176:177], -v[178:179]
	v_add_f64_e32 v[178:179], v[174:175], v[172:173]
	v_add_f64_e32 v[180:181], v[180:181], v[186:187]
	ds_load_b128 v[4:7], v2 offset:1600
	ds_load_b128 v[172:175], v2 offset:1616
	v_fmac_f64_e32 v[182:183], v[154:155], v[8:9]
	v_fma_f64 v[8:9], v[152:153], v[8:9], -v[10:11]
	s_wait_loadcnt_dscnt 0x901
	v_mul_f64_e32 v[186:187], v[4:5], v[166:167]
	v_mul_f64_e32 v[166:167], v[6:7], v[166:167]
	s_wait_loadcnt_dscnt 0x800
	v_mul_f64_e32 v[154:155], v[172:173], v[130:131]
	v_mul_f64_e32 v[130:131], v[174:175], v[130:131]
	v_add_f64_e32 v[10:11], v[178:179], v[176:177]
	v_add_f64_e32 v[152:153], v[180:181], v[184:185]
	v_fmac_f64_e32 v[186:187], v[6:7], v[164:165]
	v_fma_f64 v[164:165], v[4:5], v[164:165], -v[166:167]
	v_fmac_f64_e32 v[154:155], v[174:175], v[128:129]
	v_fma_f64 v[128:129], v[172:173], v[128:129], -v[130:131]
	v_add_f64_e32 v[166:167], v[10:11], v[8:9]
	v_add_f64_e32 v[152:153], v[152:153], v[182:183]
	ds_load_b128 v[4:7], v2 offset:1632
	ds_load_b128 v[8:11], v2 offset:1648
	s_wait_loadcnt_dscnt 0x701
	v_mul_f64_e32 v[176:177], v[4:5], v[158:159]
	v_mul_f64_e32 v[158:159], v[6:7], v[158:159]
	v_add_f64_e32 v[130:131], v[166:167], v[164:165]
	v_add_f64_e32 v[152:153], v[152:153], v[186:187]
	s_wait_loadcnt_dscnt 0x600
	v_mul_f64_e32 v[164:165], v[8:9], v[14:15]
	v_mul_f64_e32 v[14:15], v[10:11], v[14:15]
	v_fmac_f64_e32 v[176:177], v[6:7], v[156:157]
	v_fma_f64 v[156:157], v[4:5], v[156:157], -v[158:159]
	v_add_f64_e32 v[158:159], v[130:131], v[128:129]
	v_add_f64_e32 v[152:153], v[152:153], v[154:155]
	ds_load_b128 v[4:7], v2 offset:1664
	ds_load_b128 v[128:131], v2 offset:1680
	v_fmac_f64_e32 v[164:165], v[10:11], v[12:13]
	v_fma_f64 v[8:9], v[8:9], v[12:13], -v[14:15]
	s_wait_loadcnt_dscnt 0x501
	v_mul_f64_e32 v[154:155], v[4:5], v[142:143]
	v_mul_f64_e32 v[142:143], v[6:7], v[142:143]
	s_wait_loadcnt_dscnt 0x400
	v_mul_f64_e32 v[14:15], v[128:129], v[134:135]
	v_mul_f64_e32 v[134:135], v[130:131], v[134:135]
	v_add_f64_e32 v[10:11], v[158:159], v[156:157]
	v_add_f64_e32 v[12:13], v[152:153], v[176:177]
	v_fmac_f64_e32 v[154:155], v[6:7], v[140:141]
	v_fma_f64 v[140:141], v[4:5], v[140:141], -v[142:143]
	v_fmac_f64_e32 v[14:15], v[130:131], v[132:133]
	v_fma_f64 v[128:129], v[128:129], v[132:133], -v[134:135]
	v_add_f64_e32 v[142:143], v[10:11], v[8:9]
	v_add_f64_e32 v[12:13], v[12:13], v[164:165]
	ds_load_b128 v[4:7], v2 offset:1696
	ds_load_b128 v[8:11], v2 offset:1712
	s_wait_loadcnt_dscnt 0x301
	v_mul_f64_e32 v[152:153], v[4:5], v[150:151]
	v_mul_f64_e32 v[150:151], v[6:7], v[150:151]
	s_wait_loadcnt_dscnt 0x200
	v_mul_f64_e32 v[132:133], v[8:9], v[138:139]
	v_mul_f64_e32 v[134:135], v[10:11], v[138:139]
	v_add_f64_e32 v[130:131], v[142:143], v[140:141]
	v_add_f64_e32 v[12:13], v[12:13], v[154:155]
	v_fmac_f64_e32 v[152:153], v[6:7], v[148:149]
	v_fma_f64 v[138:139], v[4:5], v[148:149], -v[150:151]
	v_fmac_f64_e32 v[132:133], v[10:11], v[136:137]
	v_fma_f64 v[8:9], v[8:9], v[136:137], -v[134:135]
	v_add_f64_e32 v[128:129], v[130:131], v[128:129]
	v_add_f64_e32 v[130:131], v[12:13], v[14:15]
	ds_load_b128 v[4:7], v2 offset:1728
	ds_load_b128 v[12:15], v2 offset:1744
	s_wait_loadcnt_dscnt 0x101
	v_mul_f64_e32 v[2:3], v[4:5], v[162:163]
	v_mul_f64_e32 v[140:141], v[6:7], v[162:163]
	s_wait_loadcnt_dscnt 0x0
	v_mul_f64_e32 v[134:135], v[14:15], v[146:147]
	v_add_f64_e32 v[10:11], v[128:129], v[138:139]
	v_add_f64_e32 v[128:129], v[130:131], v[152:153]
	v_mul_f64_e32 v[130:131], v[12:13], v[146:147]
	v_fmac_f64_e32 v[2:3], v[6:7], v[160:161]
	v_fma_f64 v[4:5], v[4:5], v[160:161], -v[140:141]
	v_add_f64_e32 v[6:7], v[10:11], v[8:9]
	v_add_f64_e32 v[8:9], v[128:129], v[132:133]
	v_fmac_f64_e32 v[130:131], v[14:15], v[144:145]
	v_fma_f64 v[10:11], v[12:13], v[144:145], -v[134:135]
	s_delay_alu instid0(VALU_DEP_4) | instskip(NEXT) | instid1(VALU_DEP_4)
	v_add_f64_e32 v[4:5], v[6:7], v[4:5]
	v_add_f64_e32 v[2:3], v[8:9], v[2:3]
	s_delay_alu instid0(VALU_DEP_2) | instskip(NEXT) | instid1(VALU_DEP_2)
	v_add_f64_e32 v[4:5], v[4:5], v[10:11]
	v_add_f64_e32 v[6:7], v[2:3], v[130:131]
	s_delay_alu instid0(VALU_DEP_2) | instskip(NEXT) | instid1(VALU_DEP_2)
	v_add_f64_e64 v[2:3], v[168:169], -v[4:5]
	v_add_f64_e64 v[4:5], v[170:171], -v[6:7]
	scratch_store_b128 off, v[2:5], off offset:480
	s_wait_xcnt 0x0
	v_cmpx_lt_u32_e32 29, v1
	s_cbranch_execz .LBB54_285
; %bb.284:
	scratch_load_b128 v[2:5], off, s41
	v_mov_b32_e32 v6, 0
	s_delay_alu instid0(VALU_DEP_1)
	v_dual_mov_b32 v7, v6 :: v_dual_mov_b32 v8, v6
	v_mov_b32_e32 v9, v6
	scratch_store_b128 off, v[6:9], off offset:464
	s_wait_loadcnt 0x0
	ds_store_b128 v126, v[2:5]
.LBB54_285:
	s_wait_xcnt 0x0
	s_or_b32 exec_lo, exec_lo, s2
	s_wait_storecnt_dscnt 0x0
	s_barrier_signal -1
	s_barrier_wait -1
	s_clause 0x9
	scratch_load_b128 v[4:7], off, off offset:480
	scratch_load_b128 v[8:11], off, off offset:496
	;; [unrolled: 1-line block ×10, first 2 shown]
	v_mov_b32_e32 v2, 0
	s_mov_b32 s2, exec_lo
	ds_load_b128 v[156:159], v2 offset:1360
	s_clause 0x2
	scratch_load_b128 v[160:163], off, off offset:640
	scratch_load_b128 v[164:167], off, off offset:464
	;; [unrolled: 1-line block ×3, first 2 shown]
	s_wait_loadcnt_dscnt 0xc00
	v_mul_f64_e32 v[176:177], v[158:159], v[6:7]
	v_mul_f64_e32 v[180:181], v[156:157], v[6:7]
	ds_load_b128 v[168:171], v2 offset:1376
	v_fma_f64 v[184:185], v[156:157], v[4:5], -v[176:177]
	v_fmac_f64_e32 v[180:181], v[158:159], v[4:5]
	ds_load_b128 v[4:7], v2 offset:1392
	s_wait_loadcnt_dscnt 0xb01
	v_mul_f64_e32 v[182:183], v[168:169], v[10:11]
	v_mul_f64_e32 v[10:11], v[170:171], v[10:11]
	scratch_load_b128 v[156:159], off, off offset:672
	ds_load_b128 v[176:179], v2 offset:1408
	s_wait_loadcnt_dscnt 0xb01
	v_mul_f64_e32 v[186:187], v[4:5], v[14:15]
	v_mul_f64_e32 v[14:15], v[6:7], v[14:15]
	v_add_f64_e32 v[180:181], 0, v[180:181]
	v_fmac_f64_e32 v[182:183], v[170:171], v[8:9]
	v_fma_f64 v[168:169], v[168:169], v[8:9], -v[10:11]
	v_add_f64_e32 v[170:171], 0, v[184:185]
	scratch_load_b128 v[8:11], off, off offset:688
	v_fmac_f64_e32 v[186:187], v[6:7], v[12:13]
	v_fma_f64 v[188:189], v[4:5], v[12:13], -v[14:15]
	ds_load_b128 v[4:7], v2 offset:1424
	s_wait_loadcnt_dscnt 0xb01
	v_mul_f64_e32 v[184:185], v[176:177], v[130:131]
	v_mul_f64_e32 v[130:131], v[178:179], v[130:131]
	scratch_load_b128 v[12:15], off, off offset:704
	v_add_f64_e32 v[180:181], v[180:181], v[182:183]
	v_add_f64_e32 v[190:191], v[170:171], v[168:169]
	ds_load_b128 v[168:171], v2 offset:1440
	s_wait_loadcnt_dscnt 0xb01
	v_mul_f64_e32 v[182:183], v[4:5], v[134:135]
	v_mul_f64_e32 v[134:135], v[6:7], v[134:135]
	v_fmac_f64_e32 v[184:185], v[178:179], v[128:129]
	v_fma_f64 v[176:177], v[176:177], v[128:129], -v[130:131]
	scratch_load_b128 v[128:131], off, off offset:720
	v_add_f64_e32 v[180:181], v[180:181], v[186:187]
	v_add_f64_e32 v[178:179], v[190:191], v[188:189]
	v_fmac_f64_e32 v[182:183], v[6:7], v[132:133]
	v_fma_f64 v[188:189], v[4:5], v[132:133], -v[134:135]
	ds_load_b128 v[4:7], v2 offset:1456
	s_wait_loadcnt_dscnt 0xb01
	v_mul_f64_e32 v[186:187], v[168:169], v[138:139]
	v_mul_f64_e32 v[138:139], v[170:171], v[138:139]
	scratch_load_b128 v[132:135], off, off offset:736
	v_add_f64_e32 v[180:181], v[180:181], v[184:185]
	s_wait_loadcnt_dscnt 0xb00
	v_mul_f64_e32 v[184:185], v[4:5], v[142:143]
	v_add_f64_e32 v[190:191], v[178:179], v[176:177]
	v_mul_f64_e32 v[142:143], v[6:7], v[142:143]
	ds_load_b128 v[176:179], v2 offset:1472
	v_fmac_f64_e32 v[186:187], v[170:171], v[136:137]
	v_fma_f64 v[168:169], v[168:169], v[136:137], -v[138:139]
	scratch_load_b128 v[136:139], off, off offset:752
	v_add_f64_e32 v[180:181], v[180:181], v[182:183]
	v_fmac_f64_e32 v[184:185], v[6:7], v[140:141]
	v_add_f64_e32 v[170:171], v[190:191], v[188:189]
	v_fma_f64 v[188:189], v[4:5], v[140:141], -v[142:143]
	ds_load_b128 v[4:7], v2 offset:1488
	s_wait_loadcnt_dscnt 0xb01
	v_mul_f64_e32 v[182:183], v[176:177], v[146:147]
	v_mul_f64_e32 v[146:147], v[178:179], v[146:147]
	scratch_load_b128 v[140:143], off, off offset:768
	v_add_f64_e32 v[180:181], v[180:181], v[186:187]
	s_wait_loadcnt_dscnt 0xb00
	v_mul_f64_e32 v[186:187], v[4:5], v[150:151]
	v_add_f64_e32 v[190:191], v[170:171], v[168:169]
	v_mul_f64_e32 v[150:151], v[6:7], v[150:151]
	ds_load_b128 v[168:171], v2 offset:1504
	v_fmac_f64_e32 v[182:183], v[178:179], v[144:145]
	v_fma_f64 v[176:177], v[176:177], v[144:145], -v[146:147]
	scratch_load_b128 v[144:147], off, off offset:784
	v_add_f64_e32 v[180:181], v[180:181], v[184:185]
	v_fmac_f64_e32 v[186:187], v[6:7], v[148:149]
	v_add_f64_e32 v[178:179], v[190:191], v[188:189]
	;; [unrolled: 18-line block ×3, first 2 shown]
	v_fma_f64 v[188:189], v[4:5], v[160:161], -v[162:163]
	ds_load_b128 v[4:7], v2 offset:1552
	s_wait_loadcnt_dscnt 0xa01
	v_mul_f64_e32 v[186:187], v[176:177], v[174:175]
	v_mul_f64_e32 v[174:175], v[178:179], v[174:175]
	scratch_load_b128 v[160:163], off, off offset:832
	v_add_f64_e32 v[180:181], v[180:181], v[184:185]
	v_add_f64_e32 v[190:191], v[170:171], v[168:169]
	s_wait_loadcnt_dscnt 0xa00
	v_mul_f64_e32 v[184:185], v[4:5], v[158:159]
	v_mul_f64_e32 v[158:159], v[6:7], v[158:159]
	v_fmac_f64_e32 v[186:187], v[178:179], v[172:173]
	v_fma_f64 v[176:177], v[176:177], v[172:173], -v[174:175]
	ds_load_b128 v[168:171], v2 offset:1568
	scratch_load_b128 v[172:175], off, off offset:848
	v_add_f64_e32 v[180:181], v[180:181], v[182:183]
	v_add_f64_e32 v[178:179], v[190:191], v[188:189]
	v_fmac_f64_e32 v[184:185], v[6:7], v[156:157]
	v_fma_f64 v[188:189], v[4:5], v[156:157], -v[158:159]
	ds_load_b128 v[4:7], v2 offset:1584
	s_wait_loadcnt_dscnt 0xa01
	v_mul_f64_e32 v[182:183], v[168:169], v[10:11]
	v_mul_f64_e32 v[10:11], v[170:171], v[10:11]
	scratch_load_b128 v[156:159], off, off offset:864
	v_add_f64_e32 v[180:181], v[180:181], v[186:187]
	s_wait_loadcnt_dscnt 0xa00
	v_mul_f64_e32 v[186:187], v[4:5], v[14:15]
	v_add_f64_e32 v[190:191], v[178:179], v[176:177]
	v_mul_f64_e32 v[14:15], v[6:7], v[14:15]
	ds_load_b128 v[176:179], v2 offset:1600
	v_fmac_f64_e32 v[182:183], v[170:171], v[8:9]
	v_fma_f64 v[8:9], v[168:169], v[8:9], -v[10:11]
	s_wait_loadcnt_dscnt 0x900
	v_mul_f64_e32 v[170:171], v[176:177], v[130:131]
	v_mul_f64_e32 v[130:131], v[178:179], v[130:131]
	v_add_f64_e32 v[168:169], v[180:181], v[184:185]
	v_fmac_f64_e32 v[186:187], v[6:7], v[12:13]
	v_add_f64_e32 v[10:11], v[190:191], v[188:189]
	v_fma_f64 v[12:13], v[4:5], v[12:13], -v[14:15]
	v_fmac_f64_e32 v[170:171], v[178:179], v[128:129]
	v_fma_f64 v[128:129], v[176:177], v[128:129], -v[130:131]
	v_add_f64_e32 v[168:169], v[168:169], v[182:183]
	v_add_f64_e32 v[14:15], v[10:11], v[8:9]
	ds_load_b128 v[4:7], v2 offset:1616
	ds_load_b128 v[8:11], v2 offset:1632
	s_wait_loadcnt_dscnt 0x801
	v_mul_f64_e32 v[180:181], v[4:5], v[134:135]
	v_mul_f64_e32 v[134:135], v[6:7], v[134:135]
	s_wait_loadcnt_dscnt 0x700
	v_mul_f64_e32 v[130:131], v[8:9], v[138:139]
	v_mul_f64_e32 v[138:139], v[10:11], v[138:139]
	v_add_f64_e32 v[12:13], v[14:15], v[12:13]
	v_add_f64_e32 v[14:15], v[168:169], v[186:187]
	v_fmac_f64_e32 v[180:181], v[6:7], v[132:133]
	v_fma_f64 v[132:133], v[4:5], v[132:133], -v[134:135]
	v_fmac_f64_e32 v[130:131], v[10:11], v[136:137]
	v_fma_f64 v[8:9], v[8:9], v[136:137], -v[138:139]
	v_add_f64_e32 v[128:129], v[12:13], v[128:129]
	v_add_f64_e32 v[134:135], v[14:15], v[170:171]
	ds_load_b128 v[4:7], v2 offset:1648
	ds_load_b128 v[12:15], v2 offset:1664
	s_wait_loadcnt_dscnt 0x601
	v_mul_f64_e32 v[168:169], v[4:5], v[142:143]
	v_mul_f64_e32 v[142:143], v[6:7], v[142:143]
	v_add_f64_e32 v[10:11], v[128:129], v[132:133]
	v_add_f64_e32 v[128:129], v[134:135], v[180:181]
	s_wait_loadcnt_dscnt 0x500
	v_mul_f64_e32 v[132:133], v[12:13], v[146:147]
	v_mul_f64_e32 v[134:135], v[14:15], v[146:147]
	v_fmac_f64_e32 v[168:169], v[6:7], v[140:141]
	v_fma_f64 v[136:137], v[4:5], v[140:141], -v[142:143]
	v_add_f64_e32 v[138:139], v[10:11], v[8:9]
	v_add_f64_e32 v[128:129], v[128:129], v[130:131]
	ds_load_b128 v[4:7], v2 offset:1680
	ds_load_b128 v[8:11], v2 offset:1696
	v_fmac_f64_e32 v[132:133], v[14:15], v[144:145]
	v_fma_f64 v[12:13], v[12:13], v[144:145], -v[134:135]
	s_wait_loadcnt_dscnt 0x401
	v_mul_f64_e32 v[130:131], v[4:5], v[150:151]
	v_mul_f64_e32 v[140:141], v[6:7], v[150:151]
	s_wait_loadcnt_dscnt 0x300
	v_mul_f64_e32 v[134:135], v[8:9], v[154:155]
	v_add_f64_e32 v[14:15], v[138:139], v[136:137]
	v_add_f64_e32 v[128:129], v[128:129], v[168:169]
	v_mul_f64_e32 v[136:137], v[10:11], v[154:155]
	v_fmac_f64_e32 v[130:131], v[6:7], v[148:149]
	v_fma_f64 v[138:139], v[4:5], v[148:149], -v[140:141]
	v_fmac_f64_e32 v[134:135], v[10:11], v[152:153]
	v_add_f64_e32 v[140:141], v[14:15], v[12:13]
	v_add_f64_e32 v[128:129], v[128:129], v[132:133]
	ds_load_b128 v[4:7], v2 offset:1712
	ds_load_b128 v[12:15], v2 offset:1728
	v_fma_f64 v[8:9], v[8:9], v[152:153], -v[136:137]
	s_wait_loadcnt_dscnt 0x201
	v_mul_f64_e32 v[132:133], v[4:5], v[162:163]
	v_mul_f64_e32 v[142:143], v[6:7], v[162:163]
	s_wait_loadcnt_dscnt 0x100
	v_mul_f64_e32 v[136:137], v[14:15], v[174:175]
	v_add_f64_e32 v[10:11], v[140:141], v[138:139]
	v_add_f64_e32 v[128:129], v[128:129], v[130:131]
	v_mul_f64_e32 v[130:131], v[12:13], v[174:175]
	v_fmac_f64_e32 v[132:133], v[6:7], v[160:161]
	v_fma_f64 v[138:139], v[4:5], v[160:161], -v[142:143]
	ds_load_b128 v[4:7], v2 offset:1744
	v_fma_f64 v[12:13], v[12:13], v[172:173], -v[136:137]
	v_add_f64_e32 v[8:9], v[10:11], v[8:9]
	v_add_f64_e32 v[10:11], v[128:129], v[134:135]
	v_fmac_f64_e32 v[130:131], v[14:15], v[172:173]
	s_wait_loadcnt_dscnt 0x0
	v_mul_f64_e32 v[128:129], v[4:5], v[158:159]
	v_mul_f64_e32 v[134:135], v[6:7], v[158:159]
	v_add_f64_e32 v[8:9], v[8:9], v[138:139]
	v_add_f64_e32 v[10:11], v[10:11], v[132:133]
	s_delay_alu instid0(VALU_DEP_4) | instskip(NEXT) | instid1(VALU_DEP_4)
	v_fmac_f64_e32 v[128:129], v[6:7], v[156:157]
	v_fma_f64 v[4:5], v[4:5], v[156:157], -v[134:135]
	s_delay_alu instid0(VALU_DEP_4) | instskip(NEXT) | instid1(VALU_DEP_4)
	v_add_f64_e32 v[6:7], v[8:9], v[12:13]
	v_add_f64_e32 v[8:9], v[10:11], v[130:131]
	s_delay_alu instid0(VALU_DEP_2) | instskip(NEXT) | instid1(VALU_DEP_2)
	v_add_f64_e32 v[4:5], v[6:7], v[4:5]
	v_add_f64_e32 v[6:7], v[8:9], v[128:129]
	s_delay_alu instid0(VALU_DEP_2) | instskip(NEXT) | instid1(VALU_DEP_2)
	v_add_f64_e64 v[4:5], v[164:165], -v[4:5]
	v_add_f64_e64 v[6:7], v[166:167], -v[6:7]
	scratch_store_b128 off, v[4:7], off offset:464
	s_wait_xcnt 0x0
	v_cmpx_lt_u32_e32 28, v1
	s_cbranch_execz .LBB54_287
; %bb.286:
	scratch_load_b128 v[6:9], off, s38
	v_dual_mov_b32 v3, v2 :: v_dual_mov_b32 v4, v2
	v_mov_b32_e32 v5, v2
	scratch_store_b128 off, v[2:5], off offset:448
	s_wait_loadcnt 0x0
	ds_store_b128 v126, v[6:9]
.LBB54_287:
	s_wait_xcnt 0x0
	s_or_b32 exec_lo, exec_lo, s2
	s_wait_storecnt_dscnt 0x0
	s_barrier_signal -1
	s_barrier_wait -1
	s_clause 0x9
	scratch_load_b128 v[4:7], off, off offset:464
	scratch_load_b128 v[8:11], off, off offset:480
	scratch_load_b128 v[12:15], off, off offset:496
	scratch_load_b128 v[128:131], off, off offset:512
	scratch_load_b128 v[132:135], off, off offset:528
	scratch_load_b128 v[136:139], off, off offset:544
	scratch_load_b128 v[140:143], off, off offset:560
	scratch_load_b128 v[144:147], off, off offset:576
	scratch_load_b128 v[148:151], off, off offset:592
	scratch_load_b128 v[152:155], off, off offset:608
	ds_load_b128 v[156:159], v2 offset:1344
	ds_load_b128 v[164:167], v2 offset:1360
	s_clause 0x2
	scratch_load_b128 v[160:163], off, off offset:624
	scratch_load_b128 v[168:171], off, off offset:448
	;; [unrolled: 1-line block ×3, first 2 shown]
	s_mov_b32 s2, exec_lo
	s_wait_loadcnt_dscnt 0xc01
	v_mul_f64_e32 v[176:177], v[158:159], v[6:7]
	v_mul_f64_e32 v[180:181], v[156:157], v[6:7]
	s_wait_loadcnt_dscnt 0xb00
	v_mul_f64_e32 v[182:183], v[164:165], v[10:11]
	v_mul_f64_e32 v[10:11], v[166:167], v[10:11]
	s_delay_alu instid0(VALU_DEP_4) | instskip(NEXT) | instid1(VALU_DEP_4)
	v_fma_f64 v[184:185], v[156:157], v[4:5], -v[176:177]
	v_fmac_f64_e32 v[180:181], v[158:159], v[4:5]
	ds_load_b128 v[4:7], v2 offset:1376
	ds_load_b128 v[156:159], v2 offset:1392
	scratch_load_b128 v[176:179], off, off offset:656
	v_fmac_f64_e32 v[182:183], v[166:167], v[8:9]
	v_fma_f64 v[164:165], v[164:165], v[8:9], -v[10:11]
	scratch_load_b128 v[8:11], off, off offset:672
	s_wait_loadcnt_dscnt 0xc01
	v_mul_f64_e32 v[186:187], v[4:5], v[14:15]
	v_mul_f64_e32 v[14:15], v[6:7], v[14:15]
	v_add_f64_e32 v[166:167], 0, v[184:185]
	v_add_f64_e32 v[180:181], 0, v[180:181]
	s_wait_loadcnt_dscnt 0xb00
	v_mul_f64_e32 v[184:185], v[156:157], v[130:131]
	v_mul_f64_e32 v[130:131], v[158:159], v[130:131]
	v_fmac_f64_e32 v[186:187], v[6:7], v[12:13]
	v_fma_f64 v[188:189], v[4:5], v[12:13], -v[14:15]
	ds_load_b128 v[4:7], v2 offset:1408
	ds_load_b128 v[12:15], v2 offset:1424
	v_add_f64_e32 v[190:191], v[166:167], v[164:165]
	v_add_f64_e32 v[180:181], v[180:181], v[182:183]
	scratch_load_b128 v[164:167], off, off offset:688
	v_fmac_f64_e32 v[184:185], v[158:159], v[128:129]
	v_fma_f64 v[156:157], v[156:157], v[128:129], -v[130:131]
	scratch_load_b128 v[128:131], off, off offset:704
	s_wait_loadcnt_dscnt 0xc01
	v_mul_f64_e32 v[182:183], v[4:5], v[134:135]
	v_mul_f64_e32 v[134:135], v[6:7], v[134:135]
	v_add_f64_e32 v[158:159], v[190:191], v[188:189]
	v_add_f64_e32 v[180:181], v[180:181], v[186:187]
	s_wait_loadcnt_dscnt 0xb00
	v_mul_f64_e32 v[186:187], v[12:13], v[138:139]
	v_mul_f64_e32 v[138:139], v[14:15], v[138:139]
	v_fmac_f64_e32 v[182:183], v[6:7], v[132:133]
	v_fma_f64 v[188:189], v[4:5], v[132:133], -v[134:135]
	ds_load_b128 v[4:7], v2 offset:1440
	ds_load_b128 v[132:135], v2 offset:1456
	v_add_f64_e32 v[190:191], v[158:159], v[156:157]
	v_add_f64_e32 v[180:181], v[180:181], v[184:185]
	scratch_load_b128 v[156:159], off, off offset:720
	s_wait_loadcnt_dscnt 0xb01
	v_mul_f64_e32 v[184:185], v[4:5], v[142:143]
	v_mul_f64_e32 v[142:143], v[6:7], v[142:143]
	v_fmac_f64_e32 v[186:187], v[14:15], v[136:137]
	v_fma_f64 v[136:137], v[12:13], v[136:137], -v[138:139]
	scratch_load_b128 v[12:15], off, off offset:736
	v_add_f64_e32 v[138:139], v[190:191], v[188:189]
	v_add_f64_e32 v[180:181], v[180:181], v[182:183]
	s_wait_loadcnt_dscnt 0xb00
	v_mul_f64_e32 v[182:183], v[132:133], v[146:147]
	v_mul_f64_e32 v[146:147], v[134:135], v[146:147]
	v_fmac_f64_e32 v[184:185], v[6:7], v[140:141]
	v_fma_f64 v[188:189], v[4:5], v[140:141], -v[142:143]
	v_add_f64_e32 v[190:191], v[138:139], v[136:137]
	v_add_f64_e32 v[180:181], v[180:181], v[186:187]
	ds_load_b128 v[4:7], v2 offset:1472
	ds_load_b128 v[136:139], v2 offset:1488
	scratch_load_b128 v[140:143], off, off offset:752
	v_fmac_f64_e32 v[182:183], v[134:135], v[144:145]
	v_fma_f64 v[144:145], v[132:133], v[144:145], -v[146:147]
	scratch_load_b128 v[132:135], off, off offset:768
	s_wait_loadcnt_dscnt 0xc01
	v_mul_f64_e32 v[186:187], v[4:5], v[150:151]
	v_mul_f64_e32 v[150:151], v[6:7], v[150:151]
	v_add_f64_e32 v[146:147], v[190:191], v[188:189]
	v_add_f64_e32 v[180:181], v[180:181], v[184:185]
	s_wait_loadcnt_dscnt 0xb00
	v_mul_f64_e32 v[184:185], v[136:137], v[154:155]
	v_mul_f64_e32 v[154:155], v[138:139], v[154:155]
	v_fmac_f64_e32 v[186:187], v[6:7], v[148:149]
	v_fma_f64 v[188:189], v[4:5], v[148:149], -v[150:151]
	v_add_f64_e32 v[190:191], v[146:147], v[144:145]
	v_add_f64_e32 v[180:181], v[180:181], v[182:183]
	ds_load_b128 v[4:7], v2 offset:1504
	ds_load_b128 v[144:147], v2 offset:1520
	scratch_load_b128 v[148:151], off, off offset:784
	v_fmac_f64_e32 v[184:185], v[138:139], v[152:153]
	v_fma_f64 v[152:153], v[136:137], v[152:153], -v[154:155]
	scratch_load_b128 v[136:139], off, off offset:800
	s_wait_loadcnt_dscnt 0xc01
	v_mul_f64_e32 v[182:183], v[4:5], v[162:163]
	v_mul_f64_e32 v[162:163], v[6:7], v[162:163]
	;; [unrolled: 18-line block ×4, first 2 shown]
	v_add_f64_e32 v[154:155], v[190:191], v[188:189]
	v_add_f64_e32 v[180:181], v[180:181], v[184:185]
	s_wait_loadcnt_dscnt 0xa00
	v_mul_f64_e32 v[184:185], v[172:173], v[130:131]
	v_mul_f64_e32 v[130:131], v[174:175], v[130:131]
	v_fmac_f64_e32 v[186:187], v[6:7], v[164:165]
	v_fma_f64 v[164:165], v[4:5], v[164:165], -v[166:167]
	v_add_f64_e32 v[166:167], v[154:155], v[152:153]
	v_add_f64_e32 v[180:181], v[180:181], v[182:183]
	ds_load_b128 v[4:7], v2 offset:1600
	ds_load_b128 v[152:155], v2 offset:1616
	v_fmac_f64_e32 v[184:185], v[174:175], v[128:129]
	v_fma_f64 v[128:129], v[172:173], v[128:129], -v[130:131]
	s_wait_loadcnt_dscnt 0x901
	v_mul_f64_e32 v[182:183], v[4:5], v[158:159]
	v_mul_f64_e32 v[158:159], v[6:7], v[158:159]
	v_add_f64_e32 v[130:131], v[166:167], v[164:165]
	v_add_f64_e32 v[164:165], v[180:181], v[186:187]
	s_wait_loadcnt_dscnt 0x800
	v_mul_f64_e32 v[166:167], v[152:153], v[14:15]
	v_mul_f64_e32 v[14:15], v[154:155], v[14:15]
	v_fmac_f64_e32 v[182:183], v[6:7], v[156:157]
	v_fma_f64 v[156:157], v[4:5], v[156:157], -v[158:159]
	v_add_f64_e32 v[158:159], v[130:131], v[128:129]
	v_add_f64_e32 v[164:165], v[164:165], v[184:185]
	ds_load_b128 v[4:7], v2 offset:1632
	ds_load_b128 v[128:131], v2 offset:1648
	v_fmac_f64_e32 v[166:167], v[154:155], v[12:13]
	v_fma_f64 v[12:13], v[152:153], v[12:13], -v[14:15]
	s_wait_loadcnt_dscnt 0x701
	v_mul_f64_e32 v[172:173], v[4:5], v[142:143]
	v_mul_f64_e32 v[142:143], v[6:7], v[142:143]
	s_wait_loadcnt_dscnt 0x600
	v_mul_f64_e32 v[154:155], v[128:129], v[134:135]
	v_mul_f64_e32 v[134:135], v[130:131], v[134:135]
	v_add_f64_e32 v[14:15], v[158:159], v[156:157]
	v_add_f64_e32 v[152:153], v[164:165], v[182:183]
	v_fmac_f64_e32 v[172:173], v[6:7], v[140:141]
	v_fma_f64 v[140:141], v[4:5], v[140:141], -v[142:143]
	v_fmac_f64_e32 v[154:155], v[130:131], v[132:133]
	v_fma_f64 v[128:129], v[128:129], v[132:133], -v[134:135]
	v_add_f64_e32 v[142:143], v[14:15], v[12:13]
	v_add_f64_e32 v[152:153], v[152:153], v[166:167]
	ds_load_b128 v[4:7], v2 offset:1664
	ds_load_b128 v[12:15], v2 offset:1680
	s_wait_loadcnt_dscnt 0x501
	v_mul_f64_e32 v[156:157], v[4:5], v[150:151]
	v_mul_f64_e32 v[150:151], v[6:7], v[150:151]
	s_wait_loadcnt_dscnt 0x400
	v_mul_f64_e32 v[134:135], v[12:13], v[138:139]
	v_mul_f64_e32 v[138:139], v[14:15], v[138:139]
	v_add_f64_e32 v[130:131], v[142:143], v[140:141]
	v_add_f64_e32 v[132:133], v[152:153], v[172:173]
	v_fmac_f64_e32 v[156:157], v[6:7], v[148:149]
	v_fma_f64 v[140:141], v[4:5], v[148:149], -v[150:151]
	v_fmac_f64_e32 v[134:135], v[14:15], v[136:137]
	v_fma_f64 v[12:13], v[12:13], v[136:137], -v[138:139]
	v_add_f64_e32 v[142:143], v[130:131], v[128:129]
	v_add_f64_e32 v[132:133], v[132:133], v[154:155]
	ds_load_b128 v[4:7], v2 offset:1696
	ds_load_b128 v[128:131], v2 offset:1712
	;; [unrolled: 16-line block ×3, first 2 shown]
	s_wait_loadcnt_dscnt 0x101
	v_mul_f64_e32 v[2:3], v[4:5], v[178:179]
	v_mul_f64_e32 v[134:135], v[6:7], v[178:179]
	s_wait_loadcnt_dscnt 0x0
	v_mul_f64_e32 v[138:139], v[12:13], v[10:11]
	v_mul_f64_e32 v[10:11], v[14:15], v[10:11]
	v_add_f64_e32 v[130:131], v[142:143], v[140:141]
	v_add_f64_e32 v[132:133], v[132:133], v[148:149]
	v_fmac_f64_e32 v[2:3], v[6:7], v[176:177]
	v_fma_f64 v[4:5], v[4:5], v[176:177], -v[134:135]
	v_fmac_f64_e32 v[138:139], v[14:15], v[8:9]
	v_fma_f64 v[8:9], v[12:13], v[8:9], -v[10:11]
	v_add_f64_e32 v[6:7], v[130:131], v[128:129]
	v_add_f64_e32 v[128:129], v[132:133], v[136:137]
	s_delay_alu instid0(VALU_DEP_2) | instskip(NEXT) | instid1(VALU_DEP_2)
	v_add_f64_e32 v[4:5], v[6:7], v[4:5]
	v_add_f64_e32 v[2:3], v[128:129], v[2:3]
	s_delay_alu instid0(VALU_DEP_2) | instskip(NEXT) | instid1(VALU_DEP_2)
	;; [unrolled: 3-line block ×3, first 2 shown]
	v_add_f64_e64 v[2:3], v[168:169], -v[4:5]
	v_add_f64_e64 v[4:5], v[170:171], -v[6:7]
	scratch_store_b128 off, v[2:5], off offset:448
	s_wait_xcnt 0x0
	v_cmpx_lt_u32_e32 27, v1
	s_cbranch_execz .LBB54_289
; %bb.288:
	scratch_load_b128 v[2:5], off, s33
	v_mov_b32_e32 v6, 0
	s_delay_alu instid0(VALU_DEP_1)
	v_dual_mov_b32 v7, v6 :: v_dual_mov_b32 v8, v6
	v_mov_b32_e32 v9, v6
	scratch_store_b128 off, v[6:9], off offset:432
	s_wait_loadcnt 0x0
	ds_store_b128 v126, v[2:5]
.LBB54_289:
	s_wait_xcnt 0x0
	s_or_b32 exec_lo, exec_lo, s2
	s_wait_storecnt_dscnt 0x0
	s_barrier_signal -1
	s_barrier_wait -1
	s_clause 0x9
	scratch_load_b128 v[4:7], off, off offset:448
	scratch_load_b128 v[8:11], off, off offset:464
	;; [unrolled: 1-line block ×10, first 2 shown]
	v_mov_b32_e32 v2, 0
	s_mov_b32 s2, exec_lo
	ds_load_b128 v[156:159], v2 offset:1328
	s_clause 0x2
	scratch_load_b128 v[160:163], off, off offset:608
	scratch_load_b128 v[164:167], off, off offset:432
	scratch_load_b128 v[172:175], off, off offset:624
	s_wait_loadcnt_dscnt 0xc00
	v_mul_f64_e32 v[176:177], v[158:159], v[6:7]
	v_mul_f64_e32 v[180:181], v[156:157], v[6:7]
	ds_load_b128 v[168:171], v2 offset:1344
	v_fma_f64 v[184:185], v[156:157], v[4:5], -v[176:177]
	v_fmac_f64_e32 v[180:181], v[158:159], v[4:5]
	ds_load_b128 v[4:7], v2 offset:1360
	s_wait_loadcnt_dscnt 0xb01
	v_mul_f64_e32 v[182:183], v[168:169], v[10:11]
	v_mul_f64_e32 v[10:11], v[170:171], v[10:11]
	scratch_load_b128 v[156:159], off, off offset:640
	ds_load_b128 v[176:179], v2 offset:1376
	s_wait_loadcnt_dscnt 0xb01
	v_mul_f64_e32 v[186:187], v[4:5], v[14:15]
	v_mul_f64_e32 v[14:15], v[6:7], v[14:15]
	v_add_f64_e32 v[180:181], 0, v[180:181]
	v_fmac_f64_e32 v[182:183], v[170:171], v[8:9]
	v_fma_f64 v[168:169], v[168:169], v[8:9], -v[10:11]
	v_add_f64_e32 v[170:171], 0, v[184:185]
	scratch_load_b128 v[8:11], off, off offset:656
	v_fmac_f64_e32 v[186:187], v[6:7], v[12:13]
	v_fma_f64 v[188:189], v[4:5], v[12:13], -v[14:15]
	ds_load_b128 v[4:7], v2 offset:1392
	s_wait_loadcnt_dscnt 0xb01
	v_mul_f64_e32 v[184:185], v[176:177], v[130:131]
	v_mul_f64_e32 v[130:131], v[178:179], v[130:131]
	scratch_load_b128 v[12:15], off, off offset:672
	v_add_f64_e32 v[180:181], v[180:181], v[182:183]
	v_add_f64_e32 v[190:191], v[170:171], v[168:169]
	ds_load_b128 v[168:171], v2 offset:1408
	s_wait_loadcnt_dscnt 0xb01
	v_mul_f64_e32 v[182:183], v[4:5], v[134:135]
	v_mul_f64_e32 v[134:135], v[6:7], v[134:135]
	v_fmac_f64_e32 v[184:185], v[178:179], v[128:129]
	v_fma_f64 v[176:177], v[176:177], v[128:129], -v[130:131]
	scratch_load_b128 v[128:131], off, off offset:688
	v_add_f64_e32 v[180:181], v[180:181], v[186:187]
	v_add_f64_e32 v[178:179], v[190:191], v[188:189]
	v_fmac_f64_e32 v[182:183], v[6:7], v[132:133]
	v_fma_f64 v[188:189], v[4:5], v[132:133], -v[134:135]
	ds_load_b128 v[4:7], v2 offset:1424
	s_wait_loadcnt_dscnt 0xb01
	v_mul_f64_e32 v[186:187], v[168:169], v[138:139]
	v_mul_f64_e32 v[138:139], v[170:171], v[138:139]
	scratch_load_b128 v[132:135], off, off offset:704
	v_add_f64_e32 v[180:181], v[180:181], v[184:185]
	s_wait_loadcnt_dscnt 0xb00
	v_mul_f64_e32 v[184:185], v[4:5], v[142:143]
	v_add_f64_e32 v[190:191], v[178:179], v[176:177]
	v_mul_f64_e32 v[142:143], v[6:7], v[142:143]
	ds_load_b128 v[176:179], v2 offset:1440
	v_fmac_f64_e32 v[186:187], v[170:171], v[136:137]
	v_fma_f64 v[168:169], v[168:169], v[136:137], -v[138:139]
	scratch_load_b128 v[136:139], off, off offset:720
	v_add_f64_e32 v[180:181], v[180:181], v[182:183]
	v_fmac_f64_e32 v[184:185], v[6:7], v[140:141]
	v_add_f64_e32 v[170:171], v[190:191], v[188:189]
	v_fma_f64 v[188:189], v[4:5], v[140:141], -v[142:143]
	ds_load_b128 v[4:7], v2 offset:1456
	s_wait_loadcnt_dscnt 0xb01
	v_mul_f64_e32 v[182:183], v[176:177], v[146:147]
	v_mul_f64_e32 v[146:147], v[178:179], v[146:147]
	scratch_load_b128 v[140:143], off, off offset:736
	v_add_f64_e32 v[180:181], v[180:181], v[186:187]
	s_wait_loadcnt_dscnt 0xb00
	v_mul_f64_e32 v[186:187], v[4:5], v[150:151]
	v_add_f64_e32 v[190:191], v[170:171], v[168:169]
	v_mul_f64_e32 v[150:151], v[6:7], v[150:151]
	ds_load_b128 v[168:171], v2 offset:1472
	v_fmac_f64_e32 v[182:183], v[178:179], v[144:145]
	v_fma_f64 v[176:177], v[176:177], v[144:145], -v[146:147]
	scratch_load_b128 v[144:147], off, off offset:752
	v_add_f64_e32 v[180:181], v[180:181], v[184:185]
	v_fmac_f64_e32 v[186:187], v[6:7], v[148:149]
	v_add_f64_e32 v[178:179], v[190:191], v[188:189]
	;; [unrolled: 18-line block ×3, first 2 shown]
	v_fma_f64 v[188:189], v[4:5], v[160:161], -v[162:163]
	ds_load_b128 v[4:7], v2 offset:1520
	s_wait_loadcnt_dscnt 0xa01
	v_mul_f64_e32 v[186:187], v[176:177], v[174:175]
	v_mul_f64_e32 v[174:175], v[178:179], v[174:175]
	scratch_load_b128 v[160:163], off, off offset:800
	v_add_f64_e32 v[180:181], v[180:181], v[184:185]
	v_add_f64_e32 v[190:191], v[170:171], v[168:169]
	s_wait_loadcnt_dscnt 0xa00
	v_mul_f64_e32 v[184:185], v[4:5], v[158:159]
	v_mul_f64_e32 v[158:159], v[6:7], v[158:159]
	v_fmac_f64_e32 v[186:187], v[178:179], v[172:173]
	v_fma_f64 v[176:177], v[176:177], v[172:173], -v[174:175]
	ds_load_b128 v[168:171], v2 offset:1536
	scratch_load_b128 v[172:175], off, off offset:816
	v_add_f64_e32 v[180:181], v[180:181], v[182:183]
	v_add_f64_e32 v[178:179], v[190:191], v[188:189]
	v_fmac_f64_e32 v[184:185], v[6:7], v[156:157]
	v_fma_f64 v[188:189], v[4:5], v[156:157], -v[158:159]
	ds_load_b128 v[4:7], v2 offset:1552
	s_wait_loadcnt_dscnt 0xa01
	v_mul_f64_e32 v[182:183], v[168:169], v[10:11]
	v_mul_f64_e32 v[10:11], v[170:171], v[10:11]
	scratch_load_b128 v[156:159], off, off offset:832
	v_add_f64_e32 v[180:181], v[180:181], v[186:187]
	s_wait_loadcnt_dscnt 0xa00
	v_mul_f64_e32 v[186:187], v[4:5], v[14:15]
	v_add_f64_e32 v[190:191], v[178:179], v[176:177]
	v_mul_f64_e32 v[14:15], v[6:7], v[14:15]
	ds_load_b128 v[176:179], v2 offset:1568
	v_fmac_f64_e32 v[182:183], v[170:171], v[8:9]
	v_fma_f64 v[168:169], v[168:169], v[8:9], -v[10:11]
	scratch_load_b128 v[8:11], off, off offset:848
	v_add_f64_e32 v[180:181], v[180:181], v[184:185]
	v_fmac_f64_e32 v[186:187], v[6:7], v[12:13]
	v_add_f64_e32 v[170:171], v[190:191], v[188:189]
	v_fma_f64 v[188:189], v[4:5], v[12:13], -v[14:15]
	ds_load_b128 v[4:7], v2 offset:1584
	s_wait_loadcnt_dscnt 0xa01
	v_mul_f64_e32 v[184:185], v[176:177], v[130:131]
	v_mul_f64_e32 v[130:131], v[178:179], v[130:131]
	scratch_load_b128 v[12:15], off, off offset:864
	v_add_f64_e32 v[180:181], v[180:181], v[182:183]
	s_wait_loadcnt_dscnt 0xa00
	v_mul_f64_e32 v[182:183], v[4:5], v[134:135]
	v_add_f64_e32 v[190:191], v[170:171], v[168:169]
	v_mul_f64_e32 v[134:135], v[6:7], v[134:135]
	ds_load_b128 v[168:171], v2 offset:1600
	v_fmac_f64_e32 v[184:185], v[178:179], v[128:129]
	v_fma_f64 v[128:129], v[176:177], v[128:129], -v[130:131]
	s_wait_loadcnt_dscnt 0x900
	v_mul_f64_e32 v[178:179], v[168:169], v[138:139]
	v_mul_f64_e32 v[138:139], v[170:171], v[138:139]
	v_add_f64_e32 v[176:177], v[180:181], v[186:187]
	v_fmac_f64_e32 v[182:183], v[6:7], v[132:133]
	v_add_f64_e32 v[130:131], v[190:191], v[188:189]
	v_fma_f64 v[132:133], v[4:5], v[132:133], -v[134:135]
	v_fmac_f64_e32 v[178:179], v[170:171], v[136:137]
	v_fma_f64 v[136:137], v[168:169], v[136:137], -v[138:139]
	v_add_f64_e32 v[176:177], v[176:177], v[184:185]
	v_add_f64_e32 v[134:135], v[130:131], v[128:129]
	ds_load_b128 v[4:7], v2 offset:1616
	ds_load_b128 v[128:131], v2 offset:1632
	s_wait_loadcnt_dscnt 0x801
	v_mul_f64_e32 v[180:181], v[4:5], v[142:143]
	v_mul_f64_e32 v[142:143], v[6:7], v[142:143]
	s_wait_loadcnt_dscnt 0x700
	v_mul_f64_e32 v[138:139], v[128:129], v[146:147]
	v_mul_f64_e32 v[146:147], v[130:131], v[146:147]
	v_add_f64_e32 v[132:133], v[134:135], v[132:133]
	v_add_f64_e32 v[134:135], v[176:177], v[182:183]
	v_fmac_f64_e32 v[180:181], v[6:7], v[140:141]
	v_fma_f64 v[140:141], v[4:5], v[140:141], -v[142:143]
	v_fmac_f64_e32 v[138:139], v[130:131], v[144:145]
	v_fma_f64 v[128:129], v[128:129], v[144:145], -v[146:147]
	v_add_f64_e32 v[136:137], v[132:133], v[136:137]
	v_add_f64_e32 v[142:143], v[134:135], v[178:179]
	ds_load_b128 v[4:7], v2 offset:1648
	ds_load_b128 v[132:135], v2 offset:1664
	s_wait_loadcnt_dscnt 0x601
	v_mul_f64_e32 v[168:169], v[4:5], v[150:151]
	v_mul_f64_e32 v[150:151], v[6:7], v[150:151]
	v_add_f64_e32 v[130:131], v[136:137], v[140:141]
	v_add_f64_e32 v[136:137], v[142:143], v[180:181]
	s_wait_loadcnt_dscnt 0x500
	v_mul_f64_e32 v[140:141], v[132:133], v[154:155]
	v_mul_f64_e32 v[142:143], v[134:135], v[154:155]
	v_fmac_f64_e32 v[168:169], v[6:7], v[148:149]
	v_fma_f64 v[144:145], v[4:5], v[148:149], -v[150:151]
	v_add_f64_e32 v[146:147], v[130:131], v[128:129]
	v_add_f64_e32 v[136:137], v[136:137], v[138:139]
	ds_load_b128 v[4:7], v2 offset:1680
	ds_load_b128 v[128:131], v2 offset:1696
	v_fmac_f64_e32 v[140:141], v[134:135], v[152:153]
	v_fma_f64 v[132:133], v[132:133], v[152:153], -v[142:143]
	s_wait_loadcnt_dscnt 0x401
	v_mul_f64_e32 v[138:139], v[4:5], v[162:163]
	v_mul_f64_e32 v[148:149], v[6:7], v[162:163]
	s_wait_loadcnt_dscnt 0x300
	v_mul_f64_e32 v[142:143], v[128:129], v[174:175]
	v_add_f64_e32 v[134:135], v[146:147], v[144:145]
	v_add_f64_e32 v[136:137], v[136:137], v[168:169]
	v_mul_f64_e32 v[144:145], v[130:131], v[174:175]
	v_fmac_f64_e32 v[138:139], v[6:7], v[160:161]
	v_fma_f64 v[146:147], v[4:5], v[160:161], -v[148:149]
	v_fmac_f64_e32 v[142:143], v[130:131], v[172:173]
	v_add_f64_e32 v[148:149], v[134:135], v[132:133]
	v_add_f64_e32 v[136:137], v[136:137], v[140:141]
	ds_load_b128 v[4:7], v2 offset:1712
	ds_load_b128 v[132:135], v2 offset:1728
	v_fma_f64 v[128:129], v[128:129], v[172:173], -v[144:145]
	s_wait_loadcnt_dscnt 0x201
	v_mul_f64_e32 v[140:141], v[4:5], v[158:159]
	v_mul_f64_e32 v[150:151], v[6:7], v[158:159]
	v_add_f64_e32 v[130:131], v[148:149], v[146:147]
	v_add_f64_e32 v[136:137], v[136:137], v[138:139]
	s_wait_loadcnt_dscnt 0x100
	v_mul_f64_e32 v[138:139], v[132:133], v[10:11]
	v_mul_f64_e32 v[10:11], v[134:135], v[10:11]
	v_fmac_f64_e32 v[140:141], v[6:7], v[156:157]
	v_fma_f64 v[144:145], v[4:5], v[156:157], -v[150:151]
	ds_load_b128 v[4:7], v2 offset:1744
	v_add_f64_e32 v[128:129], v[130:131], v[128:129]
	v_add_f64_e32 v[130:131], v[136:137], v[142:143]
	v_fmac_f64_e32 v[138:139], v[134:135], v[8:9]
	v_fma_f64 v[8:9], v[132:133], v[8:9], -v[10:11]
	s_wait_loadcnt_dscnt 0x0
	v_mul_f64_e32 v[136:137], v[4:5], v[14:15]
	v_mul_f64_e32 v[14:15], v[6:7], v[14:15]
	v_add_f64_e32 v[10:11], v[128:129], v[144:145]
	v_add_f64_e32 v[128:129], v[130:131], v[140:141]
	s_delay_alu instid0(VALU_DEP_4) | instskip(NEXT) | instid1(VALU_DEP_4)
	v_fmac_f64_e32 v[136:137], v[6:7], v[12:13]
	v_fma_f64 v[4:5], v[4:5], v[12:13], -v[14:15]
	s_delay_alu instid0(VALU_DEP_4) | instskip(NEXT) | instid1(VALU_DEP_4)
	v_add_f64_e32 v[6:7], v[10:11], v[8:9]
	v_add_f64_e32 v[8:9], v[128:129], v[138:139]
	s_delay_alu instid0(VALU_DEP_2) | instskip(NEXT) | instid1(VALU_DEP_2)
	v_add_f64_e32 v[4:5], v[6:7], v[4:5]
	v_add_f64_e32 v[6:7], v[8:9], v[136:137]
	s_delay_alu instid0(VALU_DEP_2) | instskip(NEXT) | instid1(VALU_DEP_2)
	v_add_f64_e64 v[4:5], v[164:165], -v[4:5]
	v_add_f64_e64 v[6:7], v[166:167], -v[6:7]
	scratch_store_b128 off, v[4:7], off offset:432
	s_wait_xcnt 0x0
	v_cmpx_lt_u32_e32 26, v1
	s_cbranch_execz .LBB54_291
; %bb.290:
	scratch_load_b128 v[6:9], off, s45
	v_dual_mov_b32 v3, v2 :: v_dual_mov_b32 v4, v2
	v_mov_b32_e32 v5, v2
	scratch_store_b128 off, v[2:5], off offset:416
	s_wait_loadcnt 0x0
	ds_store_b128 v126, v[6:9]
.LBB54_291:
	s_wait_xcnt 0x0
	s_or_b32 exec_lo, exec_lo, s2
	s_wait_storecnt_dscnt 0x0
	s_barrier_signal -1
	s_barrier_wait -1
	s_clause 0x9
	scratch_load_b128 v[4:7], off, off offset:432
	scratch_load_b128 v[8:11], off, off offset:448
	;; [unrolled: 1-line block ×10, first 2 shown]
	ds_load_b128 v[156:159], v2 offset:1312
	ds_load_b128 v[164:167], v2 offset:1328
	s_clause 0x2
	scratch_load_b128 v[160:163], off, off offset:592
	scratch_load_b128 v[168:171], off, off offset:416
	;; [unrolled: 1-line block ×3, first 2 shown]
	s_mov_b32 s2, exec_lo
	s_wait_loadcnt_dscnt 0xc01
	v_mul_f64_e32 v[176:177], v[158:159], v[6:7]
	v_mul_f64_e32 v[180:181], v[156:157], v[6:7]
	s_wait_loadcnt_dscnt 0xb00
	v_mul_f64_e32 v[182:183], v[164:165], v[10:11]
	v_mul_f64_e32 v[10:11], v[166:167], v[10:11]
	s_delay_alu instid0(VALU_DEP_4) | instskip(NEXT) | instid1(VALU_DEP_4)
	v_fma_f64 v[184:185], v[156:157], v[4:5], -v[176:177]
	v_fmac_f64_e32 v[180:181], v[158:159], v[4:5]
	ds_load_b128 v[4:7], v2 offset:1344
	ds_load_b128 v[156:159], v2 offset:1360
	scratch_load_b128 v[176:179], off, off offset:624
	v_fmac_f64_e32 v[182:183], v[166:167], v[8:9]
	v_fma_f64 v[164:165], v[164:165], v[8:9], -v[10:11]
	scratch_load_b128 v[8:11], off, off offset:640
	s_wait_loadcnt_dscnt 0xc01
	v_mul_f64_e32 v[186:187], v[4:5], v[14:15]
	v_mul_f64_e32 v[14:15], v[6:7], v[14:15]
	v_add_f64_e32 v[166:167], 0, v[184:185]
	v_add_f64_e32 v[180:181], 0, v[180:181]
	s_wait_loadcnt_dscnt 0xb00
	v_mul_f64_e32 v[184:185], v[156:157], v[130:131]
	v_mul_f64_e32 v[130:131], v[158:159], v[130:131]
	v_fmac_f64_e32 v[186:187], v[6:7], v[12:13]
	v_fma_f64 v[188:189], v[4:5], v[12:13], -v[14:15]
	ds_load_b128 v[4:7], v2 offset:1376
	ds_load_b128 v[12:15], v2 offset:1392
	v_add_f64_e32 v[190:191], v[166:167], v[164:165]
	v_add_f64_e32 v[180:181], v[180:181], v[182:183]
	scratch_load_b128 v[164:167], off, off offset:656
	v_fmac_f64_e32 v[184:185], v[158:159], v[128:129]
	v_fma_f64 v[156:157], v[156:157], v[128:129], -v[130:131]
	scratch_load_b128 v[128:131], off, off offset:672
	s_wait_loadcnt_dscnt 0xc01
	v_mul_f64_e32 v[182:183], v[4:5], v[134:135]
	v_mul_f64_e32 v[134:135], v[6:7], v[134:135]
	v_add_f64_e32 v[158:159], v[190:191], v[188:189]
	v_add_f64_e32 v[180:181], v[180:181], v[186:187]
	s_wait_loadcnt_dscnt 0xb00
	v_mul_f64_e32 v[186:187], v[12:13], v[138:139]
	v_mul_f64_e32 v[138:139], v[14:15], v[138:139]
	v_fmac_f64_e32 v[182:183], v[6:7], v[132:133]
	v_fma_f64 v[188:189], v[4:5], v[132:133], -v[134:135]
	ds_load_b128 v[4:7], v2 offset:1408
	ds_load_b128 v[132:135], v2 offset:1424
	v_add_f64_e32 v[190:191], v[158:159], v[156:157]
	v_add_f64_e32 v[180:181], v[180:181], v[184:185]
	scratch_load_b128 v[156:159], off, off offset:688
	s_wait_loadcnt_dscnt 0xb01
	v_mul_f64_e32 v[184:185], v[4:5], v[142:143]
	v_mul_f64_e32 v[142:143], v[6:7], v[142:143]
	v_fmac_f64_e32 v[186:187], v[14:15], v[136:137]
	v_fma_f64 v[136:137], v[12:13], v[136:137], -v[138:139]
	scratch_load_b128 v[12:15], off, off offset:704
	v_add_f64_e32 v[138:139], v[190:191], v[188:189]
	v_add_f64_e32 v[180:181], v[180:181], v[182:183]
	s_wait_loadcnt_dscnt 0xb00
	v_mul_f64_e32 v[182:183], v[132:133], v[146:147]
	v_mul_f64_e32 v[146:147], v[134:135], v[146:147]
	v_fmac_f64_e32 v[184:185], v[6:7], v[140:141]
	v_fma_f64 v[188:189], v[4:5], v[140:141], -v[142:143]
	v_add_f64_e32 v[190:191], v[138:139], v[136:137]
	v_add_f64_e32 v[180:181], v[180:181], v[186:187]
	ds_load_b128 v[4:7], v2 offset:1440
	ds_load_b128 v[136:139], v2 offset:1456
	scratch_load_b128 v[140:143], off, off offset:720
	v_fmac_f64_e32 v[182:183], v[134:135], v[144:145]
	v_fma_f64 v[144:145], v[132:133], v[144:145], -v[146:147]
	scratch_load_b128 v[132:135], off, off offset:736
	s_wait_loadcnt_dscnt 0xc01
	v_mul_f64_e32 v[186:187], v[4:5], v[150:151]
	v_mul_f64_e32 v[150:151], v[6:7], v[150:151]
	v_add_f64_e32 v[146:147], v[190:191], v[188:189]
	v_add_f64_e32 v[180:181], v[180:181], v[184:185]
	s_wait_loadcnt_dscnt 0xb00
	v_mul_f64_e32 v[184:185], v[136:137], v[154:155]
	v_mul_f64_e32 v[154:155], v[138:139], v[154:155]
	v_fmac_f64_e32 v[186:187], v[6:7], v[148:149]
	v_fma_f64 v[188:189], v[4:5], v[148:149], -v[150:151]
	v_add_f64_e32 v[190:191], v[146:147], v[144:145]
	v_add_f64_e32 v[180:181], v[180:181], v[182:183]
	ds_load_b128 v[4:7], v2 offset:1472
	ds_load_b128 v[144:147], v2 offset:1488
	scratch_load_b128 v[148:151], off, off offset:752
	v_fmac_f64_e32 v[184:185], v[138:139], v[152:153]
	v_fma_f64 v[152:153], v[136:137], v[152:153], -v[154:155]
	scratch_load_b128 v[136:139], off, off offset:768
	s_wait_loadcnt_dscnt 0xc01
	v_mul_f64_e32 v[182:183], v[4:5], v[162:163]
	v_mul_f64_e32 v[162:163], v[6:7], v[162:163]
	;; [unrolled: 18-line block ×5, first 2 shown]
	v_add_f64_e32 v[174:175], v[190:191], v[188:189]
	v_add_f64_e32 v[180:181], v[180:181], v[186:187]
	s_wait_loadcnt_dscnt 0xa00
	v_mul_f64_e32 v[186:187], v[152:153], v[14:15]
	v_mul_f64_e32 v[14:15], v[154:155], v[14:15]
	v_fmac_f64_e32 v[182:183], v[6:7], v[156:157]
	v_fma_f64 v[188:189], v[4:5], v[156:157], -v[158:159]
	ds_load_b128 v[4:7], v2 offset:1600
	ds_load_b128 v[156:159], v2 offset:1616
	v_add_f64_e32 v[172:173], v[174:175], v[172:173]
	v_add_f64_e32 v[174:175], v[180:181], v[184:185]
	v_fmac_f64_e32 v[186:187], v[154:155], v[12:13]
	v_fma_f64 v[12:13], v[152:153], v[12:13], -v[14:15]
	s_wait_loadcnt_dscnt 0x901
	v_mul_f64_e32 v[180:181], v[4:5], v[142:143]
	v_mul_f64_e32 v[142:143], v[6:7], v[142:143]
	s_wait_loadcnt_dscnt 0x800
	v_mul_f64_e32 v[154:155], v[156:157], v[134:135]
	v_mul_f64_e32 v[134:135], v[158:159], v[134:135]
	v_add_f64_e32 v[14:15], v[172:173], v[188:189]
	v_add_f64_e32 v[152:153], v[174:175], v[182:183]
	v_fmac_f64_e32 v[180:181], v[6:7], v[140:141]
	v_fma_f64 v[140:141], v[4:5], v[140:141], -v[142:143]
	v_fmac_f64_e32 v[154:155], v[158:159], v[132:133]
	v_fma_f64 v[132:133], v[156:157], v[132:133], -v[134:135]
	v_add_f64_e32 v[142:143], v[14:15], v[12:13]
	v_add_f64_e32 v[152:153], v[152:153], v[186:187]
	ds_load_b128 v[4:7], v2 offset:1632
	ds_load_b128 v[12:15], v2 offset:1648
	s_wait_loadcnt_dscnt 0x701
	v_mul_f64_e32 v[172:173], v[4:5], v[150:151]
	v_mul_f64_e32 v[150:151], v[6:7], v[150:151]
	v_add_f64_e32 v[134:135], v[142:143], v[140:141]
	v_add_f64_e32 v[140:141], v[152:153], v[180:181]
	s_wait_loadcnt_dscnt 0x600
	v_mul_f64_e32 v[142:143], v[12:13], v[138:139]
	v_mul_f64_e32 v[138:139], v[14:15], v[138:139]
	v_fmac_f64_e32 v[172:173], v[6:7], v[148:149]
	v_fma_f64 v[148:149], v[4:5], v[148:149], -v[150:151]
	v_add_f64_e32 v[150:151], v[134:135], v[132:133]
	v_add_f64_e32 v[140:141], v[140:141], v[154:155]
	ds_load_b128 v[4:7], v2 offset:1664
	ds_load_b128 v[132:135], v2 offset:1680
	v_fmac_f64_e32 v[142:143], v[14:15], v[136:137]
	v_fma_f64 v[12:13], v[12:13], v[136:137], -v[138:139]
	s_wait_loadcnt_dscnt 0x501
	v_mul_f64_e32 v[152:153], v[4:5], v[162:163]
	v_mul_f64_e32 v[154:155], v[6:7], v[162:163]
	s_wait_loadcnt_dscnt 0x400
	v_mul_f64_e32 v[138:139], v[132:133], v[146:147]
	v_add_f64_e32 v[14:15], v[150:151], v[148:149]
	v_add_f64_e32 v[136:137], v[140:141], v[172:173]
	v_mul_f64_e32 v[140:141], v[134:135], v[146:147]
	v_fmac_f64_e32 v[152:153], v[6:7], v[160:161]
	v_fma_f64 v[146:147], v[4:5], v[160:161], -v[154:155]
	v_fmac_f64_e32 v[138:139], v[134:135], v[144:145]
	v_add_f64_e32 v[148:149], v[14:15], v[12:13]
	v_add_f64_e32 v[136:137], v[136:137], v[142:143]
	ds_load_b128 v[4:7], v2 offset:1696
	ds_load_b128 v[12:15], v2 offset:1712
	v_fma_f64 v[132:133], v[132:133], v[144:145], -v[140:141]
	s_wait_loadcnt_dscnt 0x301
	v_mul_f64_e32 v[142:143], v[4:5], v[178:179]
	v_mul_f64_e32 v[150:151], v[6:7], v[178:179]
	s_wait_loadcnt_dscnt 0x200
	v_mul_f64_e32 v[140:141], v[12:13], v[10:11]
	v_mul_f64_e32 v[10:11], v[14:15], v[10:11]
	v_add_f64_e32 v[134:135], v[148:149], v[146:147]
	v_add_f64_e32 v[136:137], v[136:137], v[152:153]
	v_fmac_f64_e32 v[142:143], v[6:7], v[176:177]
	v_fma_f64 v[144:145], v[4:5], v[176:177], -v[150:151]
	v_fmac_f64_e32 v[140:141], v[14:15], v[8:9]
	v_fma_f64 v[8:9], v[12:13], v[8:9], -v[10:11]
	v_add_f64_e32 v[146:147], v[134:135], v[132:133]
	v_add_f64_e32 v[136:137], v[136:137], v[138:139]
	ds_load_b128 v[4:7], v2 offset:1728
	ds_load_b128 v[132:135], v2 offset:1744
	s_wait_loadcnt_dscnt 0x101
	v_mul_f64_e32 v[2:3], v[4:5], v[166:167]
	v_mul_f64_e32 v[138:139], v[6:7], v[166:167]
	s_wait_loadcnt_dscnt 0x0
	v_mul_f64_e32 v[14:15], v[132:133], v[130:131]
	v_mul_f64_e32 v[130:131], v[134:135], v[130:131]
	v_add_f64_e32 v[10:11], v[146:147], v[144:145]
	v_add_f64_e32 v[12:13], v[136:137], v[142:143]
	v_fmac_f64_e32 v[2:3], v[6:7], v[164:165]
	v_fma_f64 v[4:5], v[4:5], v[164:165], -v[138:139]
	v_fmac_f64_e32 v[14:15], v[134:135], v[128:129]
	v_add_f64_e32 v[6:7], v[10:11], v[8:9]
	v_add_f64_e32 v[8:9], v[12:13], v[140:141]
	v_fma_f64 v[10:11], v[132:133], v[128:129], -v[130:131]
	s_delay_alu instid0(VALU_DEP_3) | instskip(NEXT) | instid1(VALU_DEP_3)
	v_add_f64_e32 v[4:5], v[6:7], v[4:5]
	v_add_f64_e32 v[2:3], v[8:9], v[2:3]
	s_delay_alu instid0(VALU_DEP_2) | instskip(NEXT) | instid1(VALU_DEP_2)
	v_add_f64_e32 v[4:5], v[4:5], v[10:11]
	v_add_f64_e32 v[6:7], v[2:3], v[14:15]
	s_delay_alu instid0(VALU_DEP_2) | instskip(NEXT) | instid1(VALU_DEP_2)
	v_add_f64_e64 v[2:3], v[168:169], -v[4:5]
	v_add_f64_e64 v[4:5], v[170:171], -v[6:7]
	scratch_store_b128 off, v[2:5], off offset:416
	s_wait_xcnt 0x0
	v_cmpx_lt_u32_e32 25, v1
	s_cbranch_execz .LBB54_293
; %bb.292:
	scratch_load_b128 v[2:5], off, s43
	v_mov_b32_e32 v6, 0
	s_delay_alu instid0(VALU_DEP_1)
	v_dual_mov_b32 v7, v6 :: v_dual_mov_b32 v8, v6
	v_mov_b32_e32 v9, v6
	scratch_store_b128 off, v[6:9], off offset:400
	s_wait_loadcnt 0x0
	ds_store_b128 v126, v[2:5]
.LBB54_293:
	s_wait_xcnt 0x0
	s_or_b32 exec_lo, exec_lo, s2
	s_wait_storecnt_dscnt 0x0
	s_barrier_signal -1
	s_barrier_wait -1
	s_clause 0x9
	scratch_load_b128 v[4:7], off, off offset:416
	scratch_load_b128 v[8:11], off, off offset:432
	;; [unrolled: 1-line block ×10, first 2 shown]
	v_mov_b32_e32 v2, 0
	s_mov_b32 s2, exec_lo
	ds_load_b128 v[156:159], v2 offset:1296
	s_clause 0x2
	scratch_load_b128 v[160:163], off, off offset:576
	scratch_load_b128 v[164:167], off, off offset:400
	;; [unrolled: 1-line block ×3, first 2 shown]
	s_wait_loadcnt_dscnt 0xc00
	v_mul_f64_e32 v[176:177], v[158:159], v[6:7]
	v_mul_f64_e32 v[180:181], v[156:157], v[6:7]
	ds_load_b128 v[168:171], v2 offset:1312
	v_fma_f64 v[184:185], v[156:157], v[4:5], -v[176:177]
	v_fmac_f64_e32 v[180:181], v[158:159], v[4:5]
	ds_load_b128 v[4:7], v2 offset:1328
	s_wait_loadcnt_dscnt 0xb01
	v_mul_f64_e32 v[182:183], v[168:169], v[10:11]
	v_mul_f64_e32 v[10:11], v[170:171], v[10:11]
	scratch_load_b128 v[156:159], off, off offset:608
	ds_load_b128 v[176:179], v2 offset:1344
	s_wait_loadcnt_dscnt 0xb01
	v_mul_f64_e32 v[186:187], v[4:5], v[14:15]
	v_mul_f64_e32 v[14:15], v[6:7], v[14:15]
	v_add_f64_e32 v[180:181], 0, v[180:181]
	v_fmac_f64_e32 v[182:183], v[170:171], v[8:9]
	v_fma_f64 v[168:169], v[168:169], v[8:9], -v[10:11]
	v_add_f64_e32 v[170:171], 0, v[184:185]
	scratch_load_b128 v[8:11], off, off offset:624
	v_fmac_f64_e32 v[186:187], v[6:7], v[12:13]
	v_fma_f64 v[188:189], v[4:5], v[12:13], -v[14:15]
	ds_load_b128 v[4:7], v2 offset:1360
	s_wait_loadcnt_dscnt 0xb01
	v_mul_f64_e32 v[184:185], v[176:177], v[130:131]
	v_mul_f64_e32 v[130:131], v[178:179], v[130:131]
	scratch_load_b128 v[12:15], off, off offset:640
	v_add_f64_e32 v[180:181], v[180:181], v[182:183]
	v_add_f64_e32 v[190:191], v[170:171], v[168:169]
	ds_load_b128 v[168:171], v2 offset:1376
	s_wait_loadcnt_dscnt 0xb01
	v_mul_f64_e32 v[182:183], v[4:5], v[134:135]
	v_mul_f64_e32 v[134:135], v[6:7], v[134:135]
	v_fmac_f64_e32 v[184:185], v[178:179], v[128:129]
	v_fma_f64 v[176:177], v[176:177], v[128:129], -v[130:131]
	scratch_load_b128 v[128:131], off, off offset:656
	v_add_f64_e32 v[180:181], v[180:181], v[186:187]
	v_add_f64_e32 v[178:179], v[190:191], v[188:189]
	v_fmac_f64_e32 v[182:183], v[6:7], v[132:133]
	v_fma_f64 v[188:189], v[4:5], v[132:133], -v[134:135]
	ds_load_b128 v[4:7], v2 offset:1392
	s_wait_loadcnt_dscnt 0xb01
	v_mul_f64_e32 v[186:187], v[168:169], v[138:139]
	v_mul_f64_e32 v[138:139], v[170:171], v[138:139]
	scratch_load_b128 v[132:135], off, off offset:672
	v_add_f64_e32 v[180:181], v[180:181], v[184:185]
	s_wait_loadcnt_dscnt 0xb00
	v_mul_f64_e32 v[184:185], v[4:5], v[142:143]
	v_add_f64_e32 v[190:191], v[178:179], v[176:177]
	v_mul_f64_e32 v[142:143], v[6:7], v[142:143]
	ds_load_b128 v[176:179], v2 offset:1408
	v_fmac_f64_e32 v[186:187], v[170:171], v[136:137]
	v_fma_f64 v[168:169], v[168:169], v[136:137], -v[138:139]
	scratch_load_b128 v[136:139], off, off offset:688
	v_add_f64_e32 v[180:181], v[180:181], v[182:183]
	v_fmac_f64_e32 v[184:185], v[6:7], v[140:141]
	v_add_f64_e32 v[170:171], v[190:191], v[188:189]
	v_fma_f64 v[188:189], v[4:5], v[140:141], -v[142:143]
	ds_load_b128 v[4:7], v2 offset:1424
	s_wait_loadcnt_dscnt 0xb01
	v_mul_f64_e32 v[182:183], v[176:177], v[146:147]
	v_mul_f64_e32 v[146:147], v[178:179], v[146:147]
	scratch_load_b128 v[140:143], off, off offset:704
	v_add_f64_e32 v[180:181], v[180:181], v[186:187]
	s_wait_loadcnt_dscnt 0xb00
	v_mul_f64_e32 v[186:187], v[4:5], v[150:151]
	v_add_f64_e32 v[190:191], v[170:171], v[168:169]
	v_mul_f64_e32 v[150:151], v[6:7], v[150:151]
	ds_load_b128 v[168:171], v2 offset:1440
	v_fmac_f64_e32 v[182:183], v[178:179], v[144:145]
	v_fma_f64 v[176:177], v[176:177], v[144:145], -v[146:147]
	scratch_load_b128 v[144:147], off, off offset:720
	v_add_f64_e32 v[180:181], v[180:181], v[184:185]
	v_fmac_f64_e32 v[186:187], v[6:7], v[148:149]
	v_add_f64_e32 v[178:179], v[190:191], v[188:189]
	;; [unrolled: 18-line block ×3, first 2 shown]
	v_fma_f64 v[188:189], v[4:5], v[160:161], -v[162:163]
	ds_load_b128 v[4:7], v2 offset:1488
	s_wait_loadcnt_dscnt 0xa01
	v_mul_f64_e32 v[186:187], v[176:177], v[174:175]
	v_mul_f64_e32 v[174:175], v[178:179], v[174:175]
	scratch_load_b128 v[160:163], off, off offset:768
	v_add_f64_e32 v[180:181], v[180:181], v[184:185]
	v_add_f64_e32 v[190:191], v[170:171], v[168:169]
	s_wait_loadcnt_dscnt 0xa00
	v_mul_f64_e32 v[184:185], v[4:5], v[158:159]
	v_mul_f64_e32 v[158:159], v[6:7], v[158:159]
	v_fmac_f64_e32 v[186:187], v[178:179], v[172:173]
	v_fma_f64 v[176:177], v[176:177], v[172:173], -v[174:175]
	ds_load_b128 v[168:171], v2 offset:1504
	scratch_load_b128 v[172:175], off, off offset:784
	v_add_f64_e32 v[180:181], v[180:181], v[182:183]
	v_add_f64_e32 v[178:179], v[190:191], v[188:189]
	v_fmac_f64_e32 v[184:185], v[6:7], v[156:157]
	v_fma_f64 v[188:189], v[4:5], v[156:157], -v[158:159]
	ds_load_b128 v[4:7], v2 offset:1520
	s_wait_loadcnt_dscnt 0xa01
	v_mul_f64_e32 v[182:183], v[168:169], v[10:11]
	v_mul_f64_e32 v[10:11], v[170:171], v[10:11]
	scratch_load_b128 v[156:159], off, off offset:800
	v_add_f64_e32 v[180:181], v[180:181], v[186:187]
	s_wait_loadcnt_dscnt 0xa00
	v_mul_f64_e32 v[186:187], v[4:5], v[14:15]
	v_add_f64_e32 v[190:191], v[178:179], v[176:177]
	v_mul_f64_e32 v[14:15], v[6:7], v[14:15]
	ds_load_b128 v[176:179], v2 offset:1536
	v_fmac_f64_e32 v[182:183], v[170:171], v[8:9]
	v_fma_f64 v[168:169], v[168:169], v[8:9], -v[10:11]
	scratch_load_b128 v[8:11], off, off offset:816
	v_add_f64_e32 v[180:181], v[180:181], v[184:185]
	v_fmac_f64_e32 v[186:187], v[6:7], v[12:13]
	v_add_f64_e32 v[170:171], v[190:191], v[188:189]
	v_fma_f64 v[188:189], v[4:5], v[12:13], -v[14:15]
	ds_load_b128 v[4:7], v2 offset:1552
	s_wait_loadcnt_dscnt 0xa01
	v_mul_f64_e32 v[184:185], v[176:177], v[130:131]
	v_mul_f64_e32 v[130:131], v[178:179], v[130:131]
	scratch_load_b128 v[12:15], off, off offset:832
	v_add_f64_e32 v[180:181], v[180:181], v[182:183]
	s_wait_loadcnt_dscnt 0xa00
	v_mul_f64_e32 v[182:183], v[4:5], v[134:135]
	v_add_f64_e32 v[190:191], v[170:171], v[168:169]
	v_mul_f64_e32 v[134:135], v[6:7], v[134:135]
	ds_load_b128 v[168:171], v2 offset:1568
	v_fmac_f64_e32 v[184:185], v[178:179], v[128:129]
	v_fma_f64 v[176:177], v[176:177], v[128:129], -v[130:131]
	scratch_load_b128 v[128:131], off, off offset:848
	v_add_f64_e32 v[180:181], v[180:181], v[186:187]
	v_fmac_f64_e32 v[182:183], v[6:7], v[132:133]
	v_add_f64_e32 v[178:179], v[190:191], v[188:189]
	v_fma_f64 v[188:189], v[4:5], v[132:133], -v[134:135]
	ds_load_b128 v[4:7], v2 offset:1584
	s_wait_loadcnt_dscnt 0xa01
	v_mul_f64_e32 v[186:187], v[168:169], v[138:139]
	v_mul_f64_e32 v[138:139], v[170:171], v[138:139]
	scratch_load_b128 v[132:135], off, off offset:864
	v_add_f64_e32 v[180:181], v[180:181], v[184:185]
	s_wait_loadcnt_dscnt 0xa00
	v_mul_f64_e32 v[184:185], v[4:5], v[142:143]
	v_add_f64_e32 v[190:191], v[178:179], v[176:177]
	v_mul_f64_e32 v[142:143], v[6:7], v[142:143]
	ds_load_b128 v[176:179], v2 offset:1600
	v_fmac_f64_e32 v[186:187], v[170:171], v[136:137]
	v_fma_f64 v[136:137], v[168:169], v[136:137], -v[138:139]
	s_wait_loadcnt_dscnt 0x900
	v_mul_f64_e32 v[170:171], v[176:177], v[146:147]
	v_mul_f64_e32 v[146:147], v[178:179], v[146:147]
	v_add_f64_e32 v[168:169], v[180:181], v[182:183]
	v_fmac_f64_e32 v[184:185], v[6:7], v[140:141]
	v_add_f64_e32 v[138:139], v[190:191], v[188:189]
	v_fma_f64 v[140:141], v[4:5], v[140:141], -v[142:143]
	v_fmac_f64_e32 v[170:171], v[178:179], v[144:145]
	v_fma_f64 v[144:145], v[176:177], v[144:145], -v[146:147]
	v_add_f64_e32 v[168:169], v[168:169], v[186:187]
	v_add_f64_e32 v[142:143], v[138:139], v[136:137]
	ds_load_b128 v[4:7], v2 offset:1616
	ds_load_b128 v[136:139], v2 offset:1632
	s_wait_loadcnt_dscnt 0x801
	v_mul_f64_e32 v[180:181], v[4:5], v[150:151]
	v_mul_f64_e32 v[150:151], v[6:7], v[150:151]
	s_wait_loadcnt_dscnt 0x700
	v_mul_f64_e32 v[146:147], v[136:137], v[154:155]
	v_mul_f64_e32 v[154:155], v[138:139], v[154:155]
	v_add_f64_e32 v[140:141], v[142:143], v[140:141]
	v_add_f64_e32 v[142:143], v[168:169], v[184:185]
	v_fmac_f64_e32 v[180:181], v[6:7], v[148:149]
	v_fma_f64 v[148:149], v[4:5], v[148:149], -v[150:151]
	v_fmac_f64_e32 v[146:147], v[138:139], v[152:153]
	v_fma_f64 v[136:137], v[136:137], v[152:153], -v[154:155]
	v_add_f64_e32 v[144:145], v[140:141], v[144:145]
	v_add_f64_e32 v[150:151], v[142:143], v[170:171]
	ds_load_b128 v[4:7], v2 offset:1648
	ds_load_b128 v[140:143], v2 offset:1664
	s_wait_loadcnt_dscnt 0x601
	v_mul_f64_e32 v[168:169], v[4:5], v[162:163]
	v_mul_f64_e32 v[162:163], v[6:7], v[162:163]
	v_add_f64_e32 v[138:139], v[144:145], v[148:149]
	v_add_f64_e32 v[144:145], v[150:151], v[180:181]
	s_wait_loadcnt_dscnt 0x500
	v_mul_f64_e32 v[148:149], v[140:141], v[174:175]
	v_mul_f64_e32 v[150:151], v[142:143], v[174:175]
	v_fmac_f64_e32 v[168:169], v[6:7], v[160:161]
	v_fma_f64 v[152:153], v[4:5], v[160:161], -v[162:163]
	v_add_f64_e32 v[154:155], v[138:139], v[136:137]
	v_add_f64_e32 v[144:145], v[144:145], v[146:147]
	ds_load_b128 v[4:7], v2 offset:1680
	ds_load_b128 v[136:139], v2 offset:1696
	v_fmac_f64_e32 v[148:149], v[142:143], v[172:173]
	v_fma_f64 v[140:141], v[140:141], v[172:173], -v[150:151]
	s_wait_loadcnt_dscnt 0x401
	v_mul_f64_e32 v[146:147], v[4:5], v[158:159]
	v_mul_f64_e32 v[158:159], v[6:7], v[158:159]
	s_wait_loadcnt_dscnt 0x300
	v_mul_f64_e32 v[150:151], v[136:137], v[10:11]
	v_mul_f64_e32 v[10:11], v[138:139], v[10:11]
	v_add_f64_e32 v[142:143], v[154:155], v[152:153]
	v_add_f64_e32 v[144:145], v[144:145], v[168:169]
	v_fmac_f64_e32 v[146:147], v[6:7], v[156:157]
	v_fma_f64 v[152:153], v[4:5], v[156:157], -v[158:159]
	v_fmac_f64_e32 v[150:151], v[138:139], v[8:9]
	v_fma_f64 v[8:9], v[136:137], v[8:9], -v[10:11]
	v_add_f64_e32 v[154:155], v[142:143], v[140:141]
	v_add_f64_e32 v[144:145], v[144:145], v[148:149]
	ds_load_b128 v[4:7], v2 offset:1712
	ds_load_b128 v[140:143], v2 offset:1728
	s_wait_loadcnt_dscnt 0x201
	v_mul_f64_e32 v[148:149], v[4:5], v[14:15]
	v_mul_f64_e32 v[14:15], v[6:7], v[14:15]
	s_wait_loadcnt_dscnt 0x100
	v_mul_f64_e32 v[138:139], v[140:141], v[130:131]
	v_mul_f64_e32 v[130:131], v[142:143], v[130:131]
	v_add_f64_e32 v[10:11], v[154:155], v[152:153]
	v_add_f64_e32 v[136:137], v[144:145], v[146:147]
	v_fmac_f64_e32 v[148:149], v[6:7], v[12:13]
	v_fma_f64 v[12:13], v[4:5], v[12:13], -v[14:15]
	ds_load_b128 v[4:7], v2 offset:1744
	v_fmac_f64_e32 v[138:139], v[142:143], v[128:129]
	v_fma_f64 v[128:129], v[140:141], v[128:129], -v[130:131]
	v_add_f64_e32 v[8:9], v[10:11], v[8:9]
	v_add_f64_e32 v[10:11], v[136:137], v[150:151]
	s_wait_loadcnt_dscnt 0x0
	v_mul_f64_e32 v[14:15], v[4:5], v[134:135]
	v_mul_f64_e32 v[134:135], v[6:7], v[134:135]
	s_delay_alu instid0(VALU_DEP_4) | instskip(NEXT) | instid1(VALU_DEP_4)
	v_add_f64_e32 v[8:9], v[8:9], v[12:13]
	v_add_f64_e32 v[10:11], v[10:11], v[148:149]
	s_delay_alu instid0(VALU_DEP_4) | instskip(NEXT) | instid1(VALU_DEP_4)
	v_fmac_f64_e32 v[14:15], v[6:7], v[132:133]
	v_fma_f64 v[4:5], v[4:5], v[132:133], -v[134:135]
	s_delay_alu instid0(VALU_DEP_4) | instskip(NEXT) | instid1(VALU_DEP_4)
	v_add_f64_e32 v[6:7], v[8:9], v[128:129]
	v_add_f64_e32 v[8:9], v[10:11], v[138:139]
	s_delay_alu instid0(VALU_DEP_2) | instskip(NEXT) | instid1(VALU_DEP_2)
	v_add_f64_e32 v[4:5], v[6:7], v[4:5]
	v_add_f64_e32 v[6:7], v[8:9], v[14:15]
	s_delay_alu instid0(VALU_DEP_2) | instskip(NEXT) | instid1(VALU_DEP_2)
	v_add_f64_e64 v[4:5], v[164:165], -v[4:5]
	v_add_f64_e64 v[6:7], v[166:167], -v[6:7]
	scratch_store_b128 off, v[4:7], off offset:400
	s_wait_xcnt 0x0
	v_cmpx_lt_u32_e32 24, v1
	s_cbranch_execz .LBB54_295
; %bb.294:
	scratch_load_b128 v[6:9], off, s39
	v_dual_mov_b32 v3, v2 :: v_dual_mov_b32 v4, v2
	v_mov_b32_e32 v5, v2
	scratch_store_b128 off, v[2:5], off offset:384
	s_wait_loadcnt 0x0
	ds_store_b128 v126, v[6:9]
.LBB54_295:
	s_wait_xcnt 0x0
	s_or_b32 exec_lo, exec_lo, s2
	s_wait_storecnt_dscnt 0x0
	s_barrier_signal -1
	s_barrier_wait -1
	s_clause 0x9
	scratch_load_b128 v[4:7], off, off offset:400
	scratch_load_b128 v[8:11], off, off offset:416
	;; [unrolled: 1-line block ×10, first 2 shown]
	ds_load_b128 v[156:159], v2 offset:1280
	ds_load_b128 v[164:167], v2 offset:1296
	s_clause 0x2
	scratch_load_b128 v[160:163], off, off offset:560
	scratch_load_b128 v[168:171], off, off offset:384
	;; [unrolled: 1-line block ×3, first 2 shown]
	s_mov_b32 s2, exec_lo
	s_wait_loadcnt_dscnt 0xc01
	v_mul_f64_e32 v[176:177], v[158:159], v[6:7]
	v_mul_f64_e32 v[180:181], v[156:157], v[6:7]
	s_wait_loadcnt_dscnt 0xb00
	v_mul_f64_e32 v[182:183], v[164:165], v[10:11]
	v_mul_f64_e32 v[10:11], v[166:167], v[10:11]
	s_delay_alu instid0(VALU_DEP_4) | instskip(NEXT) | instid1(VALU_DEP_4)
	v_fma_f64 v[184:185], v[156:157], v[4:5], -v[176:177]
	v_fmac_f64_e32 v[180:181], v[158:159], v[4:5]
	ds_load_b128 v[4:7], v2 offset:1312
	ds_load_b128 v[156:159], v2 offset:1328
	scratch_load_b128 v[176:179], off, off offset:592
	v_fmac_f64_e32 v[182:183], v[166:167], v[8:9]
	v_fma_f64 v[164:165], v[164:165], v[8:9], -v[10:11]
	scratch_load_b128 v[8:11], off, off offset:608
	s_wait_loadcnt_dscnt 0xc01
	v_mul_f64_e32 v[186:187], v[4:5], v[14:15]
	v_mul_f64_e32 v[14:15], v[6:7], v[14:15]
	v_add_f64_e32 v[166:167], 0, v[184:185]
	v_add_f64_e32 v[180:181], 0, v[180:181]
	s_wait_loadcnt_dscnt 0xb00
	v_mul_f64_e32 v[184:185], v[156:157], v[130:131]
	v_mul_f64_e32 v[130:131], v[158:159], v[130:131]
	v_fmac_f64_e32 v[186:187], v[6:7], v[12:13]
	v_fma_f64 v[188:189], v[4:5], v[12:13], -v[14:15]
	ds_load_b128 v[4:7], v2 offset:1344
	ds_load_b128 v[12:15], v2 offset:1360
	v_add_f64_e32 v[190:191], v[166:167], v[164:165]
	v_add_f64_e32 v[180:181], v[180:181], v[182:183]
	scratch_load_b128 v[164:167], off, off offset:624
	v_fmac_f64_e32 v[184:185], v[158:159], v[128:129]
	v_fma_f64 v[156:157], v[156:157], v[128:129], -v[130:131]
	scratch_load_b128 v[128:131], off, off offset:640
	s_wait_loadcnt_dscnt 0xc01
	v_mul_f64_e32 v[182:183], v[4:5], v[134:135]
	v_mul_f64_e32 v[134:135], v[6:7], v[134:135]
	v_add_f64_e32 v[158:159], v[190:191], v[188:189]
	v_add_f64_e32 v[180:181], v[180:181], v[186:187]
	s_wait_loadcnt_dscnt 0xb00
	v_mul_f64_e32 v[186:187], v[12:13], v[138:139]
	v_mul_f64_e32 v[138:139], v[14:15], v[138:139]
	v_fmac_f64_e32 v[182:183], v[6:7], v[132:133]
	v_fma_f64 v[188:189], v[4:5], v[132:133], -v[134:135]
	ds_load_b128 v[4:7], v2 offset:1376
	ds_load_b128 v[132:135], v2 offset:1392
	v_add_f64_e32 v[190:191], v[158:159], v[156:157]
	v_add_f64_e32 v[180:181], v[180:181], v[184:185]
	scratch_load_b128 v[156:159], off, off offset:656
	s_wait_loadcnt_dscnt 0xb01
	v_mul_f64_e32 v[184:185], v[4:5], v[142:143]
	v_mul_f64_e32 v[142:143], v[6:7], v[142:143]
	v_fmac_f64_e32 v[186:187], v[14:15], v[136:137]
	v_fma_f64 v[136:137], v[12:13], v[136:137], -v[138:139]
	scratch_load_b128 v[12:15], off, off offset:672
	v_add_f64_e32 v[138:139], v[190:191], v[188:189]
	v_add_f64_e32 v[180:181], v[180:181], v[182:183]
	s_wait_loadcnt_dscnt 0xb00
	v_mul_f64_e32 v[182:183], v[132:133], v[146:147]
	v_mul_f64_e32 v[146:147], v[134:135], v[146:147]
	v_fmac_f64_e32 v[184:185], v[6:7], v[140:141]
	v_fma_f64 v[188:189], v[4:5], v[140:141], -v[142:143]
	v_add_f64_e32 v[190:191], v[138:139], v[136:137]
	v_add_f64_e32 v[180:181], v[180:181], v[186:187]
	ds_load_b128 v[4:7], v2 offset:1408
	ds_load_b128 v[136:139], v2 offset:1424
	scratch_load_b128 v[140:143], off, off offset:688
	v_fmac_f64_e32 v[182:183], v[134:135], v[144:145]
	v_fma_f64 v[144:145], v[132:133], v[144:145], -v[146:147]
	scratch_load_b128 v[132:135], off, off offset:704
	s_wait_loadcnt_dscnt 0xc01
	v_mul_f64_e32 v[186:187], v[4:5], v[150:151]
	v_mul_f64_e32 v[150:151], v[6:7], v[150:151]
	v_add_f64_e32 v[146:147], v[190:191], v[188:189]
	v_add_f64_e32 v[180:181], v[180:181], v[184:185]
	s_wait_loadcnt_dscnt 0xb00
	v_mul_f64_e32 v[184:185], v[136:137], v[154:155]
	v_mul_f64_e32 v[154:155], v[138:139], v[154:155]
	v_fmac_f64_e32 v[186:187], v[6:7], v[148:149]
	v_fma_f64 v[188:189], v[4:5], v[148:149], -v[150:151]
	v_add_f64_e32 v[190:191], v[146:147], v[144:145]
	v_add_f64_e32 v[180:181], v[180:181], v[182:183]
	ds_load_b128 v[4:7], v2 offset:1440
	ds_load_b128 v[144:147], v2 offset:1456
	scratch_load_b128 v[148:151], off, off offset:720
	v_fmac_f64_e32 v[184:185], v[138:139], v[152:153]
	v_fma_f64 v[152:153], v[136:137], v[152:153], -v[154:155]
	scratch_load_b128 v[136:139], off, off offset:736
	s_wait_loadcnt_dscnt 0xc01
	v_mul_f64_e32 v[182:183], v[4:5], v[162:163]
	v_mul_f64_e32 v[162:163], v[6:7], v[162:163]
	;; [unrolled: 18-line block ×5, first 2 shown]
	v_add_f64_e32 v[174:175], v[190:191], v[188:189]
	v_add_f64_e32 v[180:181], v[180:181], v[186:187]
	s_wait_loadcnt_dscnt 0xa00
	v_mul_f64_e32 v[186:187], v[152:153], v[14:15]
	v_mul_f64_e32 v[14:15], v[154:155], v[14:15]
	v_fmac_f64_e32 v[182:183], v[6:7], v[156:157]
	v_fma_f64 v[188:189], v[4:5], v[156:157], -v[158:159]
	ds_load_b128 v[4:7], v2 offset:1568
	ds_load_b128 v[156:159], v2 offset:1584
	v_add_f64_e32 v[190:191], v[174:175], v[172:173]
	v_add_f64_e32 v[180:181], v[180:181], v[184:185]
	scratch_load_b128 v[172:175], off, off offset:848
	v_fmac_f64_e32 v[186:187], v[154:155], v[12:13]
	v_fma_f64 v[152:153], v[152:153], v[12:13], -v[14:15]
	scratch_load_b128 v[12:15], off, off offset:864
	s_wait_loadcnt_dscnt 0xb01
	v_mul_f64_e32 v[184:185], v[4:5], v[142:143]
	v_mul_f64_e32 v[142:143], v[6:7], v[142:143]
	v_add_f64_e32 v[154:155], v[190:191], v[188:189]
	v_add_f64_e32 v[180:181], v[180:181], v[182:183]
	s_wait_loadcnt_dscnt 0xa00
	v_mul_f64_e32 v[182:183], v[156:157], v[134:135]
	v_mul_f64_e32 v[134:135], v[158:159], v[134:135]
	v_fmac_f64_e32 v[184:185], v[6:7], v[140:141]
	v_fma_f64 v[188:189], v[4:5], v[140:141], -v[142:143]
	ds_load_b128 v[4:7], v2 offset:1600
	ds_load_b128 v[140:143], v2 offset:1616
	v_add_f64_e32 v[152:153], v[154:155], v[152:153]
	v_add_f64_e32 v[154:155], v[180:181], v[186:187]
	v_fmac_f64_e32 v[182:183], v[158:159], v[132:133]
	s_wait_loadcnt_dscnt 0x901
	v_mul_f64_e32 v[180:181], v[4:5], v[150:151]
	v_mul_f64_e32 v[150:151], v[6:7], v[150:151]
	v_fma_f64 v[132:133], v[156:157], v[132:133], -v[134:135]
	v_add_f64_e32 v[134:135], v[152:153], v[188:189]
	v_add_f64_e32 v[152:153], v[154:155], v[184:185]
	s_wait_loadcnt_dscnt 0x800
	v_mul_f64_e32 v[154:155], v[140:141], v[138:139]
	v_mul_f64_e32 v[138:139], v[142:143], v[138:139]
	v_fmac_f64_e32 v[180:181], v[6:7], v[148:149]
	v_fma_f64 v[148:149], v[4:5], v[148:149], -v[150:151]
	v_add_f64_e32 v[150:151], v[134:135], v[132:133]
	v_add_f64_e32 v[152:153], v[152:153], v[182:183]
	ds_load_b128 v[4:7], v2 offset:1632
	ds_load_b128 v[132:135], v2 offset:1648
	v_fmac_f64_e32 v[154:155], v[142:143], v[136:137]
	v_fma_f64 v[136:137], v[140:141], v[136:137], -v[138:139]
	s_wait_loadcnt_dscnt 0x701
	v_mul_f64_e32 v[156:157], v[4:5], v[162:163]
	v_mul_f64_e32 v[158:159], v[6:7], v[162:163]
	s_wait_loadcnt_dscnt 0x600
	v_mul_f64_e32 v[142:143], v[132:133], v[146:147]
	v_mul_f64_e32 v[146:147], v[134:135], v[146:147]
	v_add_f64_e32 v[138:139], v[150:151], v[148:149]
	v_add_f64_e32 v[140:141], v[152:153], v[180:181]
	v_fmac_f64_e32 v[156:157], v[6:7], v[160:161]
	v_fma_f64 v[148:149], v[4:5], v[160:161], -v[158:159]
	v_fmac_f64_e32 v[142:143], v[134:135], v[144:145]
	v_fma_f64 v[132:133], v[132:133], v[144:145], -v[146:147]
	v_add_f64_e32 v[150:151], v[138:139], v[136:137]
	v_add_f64_e32 v[140:141], v[140:141], v[154:155]
	ds_load_b128 v[4:7], v2 offset:1664
	ds_load_b128 v[136:139], v2 offset:1680
	s_wait_loadcnt_dscnt 0x501
	v_mul_f64_e32 v[152:153], v[4:5], v[178:179]
	v_mul_f64_e32 v[154:155], v[6:7], v[178:179]
	s_wait_loadcnt_dscnt 0x400
	v_mul_f64_e32 v[144:145], v[136:137], v[10:11]
	v_mul_f64_e32 v[10:11], v[138:139], v[10:11]
	v_add_f64_e32 v[134:135], v[150:151], v[148:149]
	v_add_f64_e32 v[140:141], v[140:141], v[156:157]
	v_fmac_f64_e32 v[152:153], v[6:7], v[176:177]
	v_fma_f64 v[146:147], v[4:5], v[176:177], -v[154:155]
	v_fmac_f64_e32 v[144:145], v[138:139], v[8:9]
	v_fma_f64 v[8:9], v[136:137], v[8:9], -v[10:11]
	v_add_f64_e32 v[148:149], v[134:135], v[132:133]
	v_add_f64_e32 v[140:141], v[140:141], v[142:143]
	ds_load_b128 v[4:7], v2 offset:1696
	ds_load_b128 v[132:135], v2 offset:1712
	s_wait_loadcnt_dscnt 0x301
	v_mul_f64_e32 v[142:143], v[4:5], v[166:167]
	v_mul_f64_e32 v[150:151], v[6:7], v[166:167]
	s_wait_loadcnt_dscnt 0x200
	v_mul_f64_e32 v[138:139], v[132:133], v[130:131]
	v_mul_f64_e32 v[130:131], v[134:135], v[130:131]
	v_add_f64_e32 v[10:11], v[148:149], v[146:147]
	v_add_f64_e32 v[136:137], v[140:141], v[152:153]
	v_fmac_f64_e32 v[142:143], v[6:7], v[164:165]
	v_fma_f64 v[140:141], v[4:5], v[164:165], -v[150:151]
	v_fmac_f64_e32 v[138:139], v[134:135], v[128:129]
	v_fma_f64 v[128:129], v[132:133], v[128:129], -v[130:131]
	v_add_f64_e32 v[146:147], v[10:11], v[8:9]
	v_add_f64_e32 v[136:137], v[136:137], v[144:145]
	ds_load_b128 v[4:7], v2 offset:1728
	ds_load_b128 v[8:11], v2 offset:1744
	s_wait_loadcnt_dscnt 0x101
	v_mul_f64_e32 v[2:3], v[4:5], v[174:175]
	v_mul_f64_e32 v[144:145], v[6:7], v[174:175]
	s_wait_loadcnt_dscnt 0x0
	v_mul_f64_e32 v[134:135], v[8:9], v[14:15]
	v_mul_f64_e32 v[14:15], v[10:11], v[14:15]
	v_add_f64_e32 v[130:131], v[146:147], v[140:141]
	v_add_f64_e32 v[132:133], v[136:137], v[142:143]
	v_fmac_f64_e32 v[2:3], v[6:7], v[172:173]
	v_fma_f64 v[4:5], v[4:5], v[172:173], -v[144:145]
	v_fmac_f64_e32 v[134:135], v[10:11], v[12:13]
	v_fma_f64 v[8:9], v[8:9], v[12:13], -v[14:15]
	v_add_f64_e32 v[6:7], v[130:131], v[128:129]
	v_add_f64_e32 v[128:129], v[132:133], v[138:139]
	s_delay_alu instid0(VALU_DEP_2) | instskip(NEXT) | instid1(VALU_DEP_2)
	v_add_f64_e32 v[4:5], v[6:7], v[4:5]
	v_add_f64_e32 v[2:3], v[128:129], v[2:3]
	s_delay_alu instid0(VALU_DEP_2) | instskip(NEXT) | instid1(VALU_DEP_2)
	;; [unrolled: 3-line block ×3, first 2 shown]
	v_add_f64_e64 v[2:3], v[168:169], -v[4:5]
	v_add_f64_e64 v[4:5], v[170:171], -v[6:7]
	scratch_store_b128 off, v[2:5], off offset:384
	s_wait_xcnt 0x0
	v_cmpx_lt_u32_e32 23, v1
	s_cbranch_execz .LBB54_297
; %bb.296:
	scratch_load_b128 v[2:5], off, s35
	v_mov_b32_e32 v6, 0
	s_delay_alu instid0(VALU_DEP_1)
	v_dual_mov_b32 v7, v6 :: v_dual_mov_b32 v8, v6
	v_mov_b32_e32 v9, v6
	scratch_store_b128 off, v[6:9], off offset:368
	s_wait_loadcnt 0x0
	ds_store_b128 v126, v[2:5]
.LBB54_297:
	s_wait_xcnt 0x0
	s_or_b32 exec_lo, exec_lo, s2
	s_wait_storecnt_dscnt 0x0
	s_barrier_signal -1
	s_barrier_wait -1
	s_clause 0x9
	scratch_load_b128 v[4:7], off, off offset:384
	scratch_load_b128 v[8:11], off, off offset:400
	;; [unrolled: 1-line block ×10, first 2 shown]
	v_mov_b32_e32 v2, 0
	s_mov_b32 s2, exec_lo
	ds_load_b128 v[156:159], v2 offset:1264
	s_clause 0x2
	scratch_load_b128 v[160:163], off, off offset:544
	scratch_load_b128 v[164:167], off, off offset:368
	;; [unrolled: 1-line block ×3, first 2 shown]
	s_wait_loadcnt_dscnt 0xc00
	v_mul_f64_e32 v[176:177], v[158:159], v[6:7]
	v_mul_f64_e32 v[180:181], v[156:157], v[6:7]
	ds_load_b128 v[168:171], v2 offset:1280
	v_fma_f64 v[184:185], v[156:157], v[4:5], -v[176:177]
	v_fmac_f64_e32 v[180:181], v[158:159], v[4:5]
	ds_load_b128 v[4:7], v2 offset:1296
	s_wait_loadcnt_dscnt 0xb01
	v_mul_f64_e32 v[182:183], v[168:169], v[10:11]
	v_mul_f64_e32 v[10:11], v[170:171], v[10:11]
	scratch_load_b128 v[156:159], off, off offset:576
	ds_load_b128 v[176:179], v2 offset:1312
	s_wait_loadcnt_dscnt 0xb01
	v_mul_f64_e32 v[186:187], v[4:5], v[14:15]
	v_mul_f64_e32 v[14:15], v[6:7], v[14:15]
	v_add_f64_e32 v[180:181], 0, v[180:181]
	v_fmac_f64_e32 v[182:183], v[170:171], v[8:9]
	v_fma_f64 v[168:169], v[168:169], v[8:9], -v[10:11]
	v_add_f64_e32 v[170:171], 0, v[184:185]
	scratch_load_b128 v[8:11], off, off offset:592
	v_fmac_f64_e32 v[186:187], v[6:7], v[12:13]
	v_fma_f64 v[188:189], v[4:5], v[12:13], -v[14:15]
	ds_load_b128 v[4:7], v2 offset:1328
	s_wait_loadcnt_dscnt 0xb01
	v_mul_f64_e32 v[184:185], v[176:177], v[130:131]
	v_mul_f64_e32 v[130:131], v[178:179], v[130:131]
	scratch_load_b128 v[12:15], off, off offset:608
	v_add_f64_e32 v[180:181], v[180:181], v[182:183]
	v_add_f64_e32 v[190:191], v[170:171], v[168:169]
	ds_load_b128 v[168:171], v2 offset:1344
	s_wait_loadcnt_dscnt 0xb01
	v_mul_f64_e32 v[182:183], v[4:5], v[134:135]
	v_mul_f64_e32 v[134:135], v[6:7], v[134:135]
	v_fmac_f64_e32 v[184:185], v[178:179], v[128:129]
	v_fma_f64 v[176:177], v[176:177], v[128:129], -v[130:131]
	scratch_load_b128 v[128:131], off, off offset:624
	v_add_f64_e32 v[180:181], v[180:181], v[186:187]
	v_add_f64_e32 v[178:179], v[190:191], v[188:189]
	v_fmac_f64_e32 v[182:183], v[6:7], v[132:133]
	v_fma_f64 v[188:189], v[4:5], v[132:133], -v[134:135]
	ds_load_b128 v[4:7], v2 offset:1360
	s_wait_loadcnt_dscnt 0xb01
	v_mul_f64_e32 v[186:187], v[168:169], v[138:139]
	v_mul_f64_e32 v[138:139], v[170:171], v[138:139]
	scratch_load_b128 v[132:135], off, off offset:640
	v_add_f64_e32 v[180:181], v[180:181], v[184:185]
	s_wait_loadcnt_dscnt 0xb00
	v_mul_f64_e32 v[184:185], v[4:5], v[142:143]
	v_add_f64_e32 v[190:191], v[178:179], v[176:177]
	v_mul_f64_e32 v[142:143], v[6:7], v[142:143]
	ds_load_b128 v[176:179], v2 offset:1376
	v_fmac_f64_e32 v[186:187], v[170:171], v[136:137]
	v_fma_f64 v[168:169], v[168:169], v[136:137], -v[138:139]
	scratch_load_b128 v[136:139], off, off offset:656
	v_add_f64_e32 v[180:181], v[180:181], v[182:183]
	v_fmac_f64_e32 v[184:185], v[6:7], v[140:141]
	v_add_f64_e32 v[170:171], v[190:191], v[188:189]
	v_fma_f64 v[188:189], v[4:5], v[140:141], -v[142:143]
	ds_load_b128 v[4:7], v2 offset:1392
	s_wait_loadcnt_dscnt 0xb01
	v_mul_f64_e32 v[182:183], v[176:177], v[146:147]
	v_mul_f64_e32 v[146:147], v[178:179], v[146:147]
	scratch_load_b128 v[140:143], off, off offset:672
	v_add_f64_e32 v[180:181], v[180:181], v[186:187]
	s_wait_loadcnt_dscnt 0xb00
	v_mul_f64_e32 v[186:187], v[4:5], v[150:151]
	v_add_f64_e32 v[190:191], v[170:171], v[168:169]
	v_mul_f64_e32 v[150:151], v[6:7], v[150:151]
	ds_load_b128 v[168:171], v2 offset:1408
	v_fmac_f64_e32 v[182:183], v[178:179], v[144:145]
	v_fma_f64 v[176:177], v[176:177], v[144:145], -v[146:147]
	scratch_load_b128 v[144:147], off, off offset:688
	v_add_f64_e32 v[180:181], v[180:181], v[184:185]
	v_fmac_f64_e32 v[186:187], v[6:7], v[148:149]
	v_add_f64_e32 v[178:179], v[190:191], v[188:189]
	;; [unrolled: 18-line block ×3, first 2 shown]
	v_fma_f64 v[188:189], v[4:5], v[160:161], -v[162:163]
	ds_load_b128 v[4:7], v2 offset:1456
	s_wait_loadcnt_dscnt 0xa01
	v_mul_f64_e32 v[186:187], v[176:177], v[174:175]
	v_mul_f64_e32 v[174:175], v[178:179], v[174:175]
	scratch_load_b128 v[160:163], off, off offset:736
	v_add_f64_e32 v[180:181], v[180:181], v[184:185]
	v_add_f64_e32 v[190:191], v[170:171], v[168:169]
	s_wait_loadcnt_dscnt 0xa00
	v_mul_f64_e32 v[184:185], v[4:5], v[158:159]
	v_mul_f64_e32 v[158:159], v[6:7], v[158:159]
	v_fmac_f64_e32 v[186:187], v[178:179], v[172:173]
	v_fma_f64 v[176:177], v[176:177], v[172:173], -v[174:175]
	ds_load_b128 v[168:171], v2 offset:1472
	scratch_load_b128 v[172:175], off, off offset:752
	v_add_f64_e32 v[180:181], v[180:181], v[182:183]
	v_add_f64_e32 v[178:179], v[190:191], v[188:189]
	v_fmac_f64_e32 v[184:185], v[6:7], v[156:157]
	v_fma_f64 v[188:189], v[4:5], v[156:157], -v[158:159]
	ds_load_b128 v[4:7], v2 offset:1488
	s_wait_loadcnt_dscnt 0xa01
	v_mul_f64_e32 v[182:183], v[168:169], v[10:11]
	v_mul_f64_e32 v[10:11], v[170:171], v[10:11]
	scratch_load_b128 v[156:159], off, off offset:768
	v_add_f64_e32 v[180:181], v[180:181], v[186:187]
	s_wait_loadcnt_dscnt 0xa00
	v_mul_f64_e32 v[186:187], v[4:5], v[14:15]
	v_add_f64_e32 v[190:191], v[178:179], v[176:177]
	v_mul_f64_e32 v[14:15], v[6:7], v[14:15]
	ds_load_b128 v[176:179], v2 offset:1504
	v_fmac_f64_e32 v[182:183], v[170:171], v[8:9]
	v_fma_f64 v[168:169], v[168:169], v[8:9], -v[10:11]
	scratch_load_b128 v[8:11], off, off offset:784
	v_add_f64_e32 v[180:181], v[180:181], v[184:185]
	v_fmac_f64_e32 v[186:187], v[6:7], v[12:13]
	v_add_f64_e32 v[170:171], v[190:191], v[188:189]
	v_fma_f64 v[188:189], v[4:5], v[12:13], -v[14:15]
	ds_load_b128 v[4:7], v2 offset:1520
	s_wait_loadcnt_dscnt 0xa01
	v_mul_f64_e32 v[184:185], v[176:177], v[130:131]
	v_mul_f64_e32 v[130:131], v[178:179], v[130:131]
	scratch_load_b128 v[12:15], off, off offset:800
	v_add_f64_e32 v[180:181], v[180:181], v[182:183]
	s_wait_loadcnt_dscnt 0xa00
	v_mul_f64_e32 v[182:183], v[4:5], v[134:135]
	v_add_f64_e32 v[190:191], v[170:171], v[168:169]
	v_mul_f64_e32 v[134:135], v[6:7], v[134:135]
	ds_load_b128 v[168:171], v2 offset:1536
	v_fmac_f64_e32 v[184:185], v[178:179], v[128:129]
	v_fma_f64 v[176:177], v[176:177], v[128:129], -v[130:131]
	scratch_load_b128 v[128:131], off, off offset:816
	v_add_f64_e32 v[180:181], v[180:181], v[186:187]
	v_fmac_f64_e32 v[182:183], v[6:7], v[132:133]
	v_add_f64_e32 v[178:179], v[190:191], v[188:189]
	;; [unrolled: 18-line block ×3, first 2 shown]
	v_fma_f64 v[188:189], v[4:5], v[140:141], -v[142:143]
	ds_load_b128 v[4:7], v2 offset:1584
	s_wait_loadcnt_dscnt 0xa01
	v_mul_f64_e32 v[182:183], v[176:177], v[146:147]
	v_mul_f64_e32 v[146:147], v[178:179], v[146:147]
	scratch_load_b128 v[140:143], off, off offset:864
	v_add_f64_e32 v[180:181], v[180:181], v[186:187]
	s_wait_loadcnt_dscnt 0xa00
	v_mul_f64_e32 v[186:187], v[4:5], v[150:151]
	v_add_f64_e32 v[190:191], v[170:171], v[168:169]
	v_mul_f64_e32 v[150:151], v[6:7], v[150:151]
	ds_load_b128 v[168:171], v2 offset:1600
	v_fmac_f64_e32 v[182:183], v[178:179], v[144:145]
	v_fma_f64 v[144:145], v[176:177], v[144:145], -v[146:147]
	s_wait_loadcnt_dscnt 0x900
	v_mul_f64_e32 v[178:179], v[168:169], v[154:155]
	v_mul_f64_e32 v[154:155], v[170:171], v[154:155]
	v_add_f64_e32 v[176:177], v[180:181], v[184:185]
	v_fmac_f64_e32 v[186:187], v[6:7], v[148:149]
	v_add_f64_e32 v[146:147], v[190:191], v[188:189]
	v_fma_f64 v[148:149], v[4:5], v[148:149], -v[150:151]
	v_fmac_f64_e32 v[178:179], v[170:171], v[152:153]
	v_fma_f64 v[152:153], v[168:169], v[152:153], -v[154:155]
	v_add_f64_e32 v[176:177], v[176:177], v[182:183]
	v_add_f64_e32 v[150:151], v[146:147], v[144:145]
	ds_load_b128 v[4:7], v2 offset:1616
	ds_load_b128 v[144:147], v2 offset:1632
	s_wait_loadcnt_dscnt 0x801
	v_mul_f64_e32 v[180:181], v[4:5], v[162:163]
	v_mul_f64_e32 v[162:163], v[6:7], v[162:163]
	s_wait_loadcnt_dscnt 0x700
	v_mul_f64_e32 v[154:155], v[144:145], v[174:175]
	v_mul_f64_e32 v[168:169], v[146:147], v[174:175]
	v_add_f64_e32 v[148:149], v[150:151], v[148:149]
	v_add_f64_e32 v[150:151], v[176:177], v[186:187]
	v_fmac_f64_e32 v[180:181], v[6:7], v[160:161]
	v_fma_f64 v[160:161], v[4:5], v[160:161], -v[162:163]
	v_fmac_f64_e32 v[154:155], v[146:147], v[172:173]
	v_fma_f64 v[144:145], v[144:145], v[172:173], -v[168:169]
	v_add_f64_e32 v[152:153], v[148:149], v[152:153]
	v_add_f64_e32 v[162:163], v[150:151], v[178:179]
	ds_load_b128 v[4:7], v2 offset:1648
	ds_load_b128 v[148:151], v2 offset:1664
	s_wait_loadcnt_dscnt 0x601
	v_mul_f64_e32 v[170:171], v[4:5], v[158:159]
	v_mul_f64_e32 v[158:159], v[6:7], v[158:159]
	v_add_f64_e32 v[146:147], v[152:153], v[160:161]
	v_add_f64_e32 v[152:153], v[162:163], v[180:181]
	s_wait_loadcnt_dscnt 0x500
	v_mul_f64_e32 v[160:161], v[148:149], v[10:11]
	v_mul_f64_e32 v[10:11], v[150:151], v[10:11]
	v_fmac_f64_e32 v[170:171], v[6:7], v[156:157]
	v_fma_f64 v[156:157], v[4:5], v[156:157], -v[158:159]
	v_add_f64_e32 v[158:159], v[146:147], v[144:145]
	v_add_f64_e32 v[152:153], v[152:153], v[154:155]
	ds_load_b128 v[4:7], v2 offset:1680
	ds_load_b128 v[144:147], v2 offset:1696
	v_fmac_f64_e32 v[160:161], v[150:151], v[8:9]
	v_fma_f64 v[8:9], v[148:149], v[8:9], -v[10:11]
	s_wait_loadcnt_dscnt 0x401
	v_mul_f64_e32 v[154:155], v[4:5], v[14:15]
	v_mul_f64_e32 v[14:15], v[6:7], v[14:15]
	s_wait_loadcnt_dscnt 0x300
	v_mul_f64_e32 v[150:151], v[144:145], v[130:131]
	v_mul_f64_e32 v[130:131], v[146:147], v[130:131]
	v_add_f64_e32 v[10:11], v[158:159], v[156:157]
	v_add_f64_e32 v[148:149], v[152:153], v[170:171]
	v_fmac_f64_e32 v[154:155], v[6:7], v[12:13]
	v_fma_f64 v[12:13], v[4:5], v[12:13], -v[14:15]
	v_fmac_f64_e32 v[150:151], v[146:147], v[128:129]
	v_fma_f64 v[128:129], v[144:145], v[128:129], -v[130:131]
	v_add_f64_e32 v[14:15], v[10:11], v[8:9]
	v_add_f64_e32 v[148:149], v[148:149], v[160:161]
	ds_load_b128 v[4:7], v2 offset:1712
	ds_load_b128 v[8:11], v2 offset:1728
	s_wait_loadcnt_dscnt 0x201
	v_mul_f64_e32 v[152:153], v[4:5], v[134:135]
	v_mul_f64_e32 v[134:135], v[6:7], v[134:135]
	s_wait_loadcnt_dscnt 0x100
	v_mul_f64_e32 v[130:131], v[8:9], v[138:139]
	v_mul_f64_e32 v[138:139], v[10:11], v[138:139]
	v_add_f64_e32 v[12:13], v[14:15], v[12:13]
	v_add_f64_e32 v[14:15], v[148:149], v[154:155]
	v_fmac_f64_e32 v[152:153], v[6:7], v[132:133]
	v_fma_f64 v[132:133], v[4:5], v[132:133], -v[134:135]
	ds_load_b128 v[4:7], v2 offset:1744
	v_fmac_f64_e32 v[130:131], v[10:11], v[136:137]
	v_fma_f64 v[8:9], v[8:9], v[136:137], -v[138:139]
	v_add_f64_e32 v[12:13], v[12:13], v[128:129]
	v_add_f64_e32 v[14:15], v[14:15], v[150:151]
	s_wait_loadcnt_dscnt 0x0
	v_mul_f64_e32 v[128:129], v[4:5], v[142:143]
	v_mul_f64_e32 v[134:135], v[6:7], v[142:143]
	s_delay_alu instid0(VALU_DEP_4) | instskip(NEXT) | instid1(VALU_DEP_4)
	v_add_f64_e32 v[10:11], v[12:13], v[132:133]
	v_add_f64_e32 v[12:13], v[14:15], v[152:153]
	s_delay_alu instid0(VALU_DEP_4) | instskip(NEXT) | instid1(VALU_DEP_4)
	v_fmac_f64_e32 v[128:129], v[6:7], v[140:141]
	v_fma_f64 v[4:5], v[4:5], v[140:141], -v[134:135]
	s_delay_alu instid0(VALU_DEP_4) | instskip(NEXT) | instid1(VALU_DEP_4)
	v_add_f64_e32 v[6:7], v[10:11], v[8:9]
	v_add_f64_e32 v[8:9], v[12:13], v[130:131]
	s_delay_alu instid0(VALU_DEP_2) | instskip(NEXT) | instid1(VALU_DEP_2)
	v_add_f64_e32 v[4:5], v[6:7], v[4:5]
	v_add_f64_e32 v[6:7], v[8:9], v[128:129]
	s_delay_alu instid0(VALU_DEP_2) | instskip(NEXT) | instid1(VALU_DEP_2)
	v_add_f64_e64 v[4:5], v[164:165], -v[4:5]
	v_add_f64_e64 v[6:7], v[166:167], -v[6:7]
	scratch_store_b128 off, v[4:7], off offset:368
	s_wait_xcnt 0x0
	v_cmpx_lt_u32_e32 22, v1
	s_cbranch_execz .LBB54_299
; %bb.298:
	scratch_load_b128 v[6:9], off, s30
	v_dual_mov_b32 v3, v2 :: v_dual_mov_b32 v4, v2
	v_mov_b32_e32 v5, v2
	scratch_store_b128 off, v[2:5], off offset:352
	s_wait_loadcnt 0x0
	ds_store_b128 v126, v[6:9]
.LBB54_299:
	s_wait_xcnt 0x0
	s_or_b32 exec_lo, exec_lo, s2
	s_wait_storecnt_dscnt 0x0
	s_barrier_signal -1
	s_barrier_wait -1
	s_clause 0x9
	scratch_load_b128 v[4:7], off, off offset:368
	scratch_load_b128 v[8:11], off, off offset:384
	scratch_load_b128 v[12:15], off, off offset:400
	scratch_load_b128 v[128:131], off, off offset:416
	scratch_load_b128 v[132:135], off, off offset:432
	scratch_load_b128 v[136:139], off, off offset:448
	scratch_load_b128 v[140:143], off, off offset:464
	scratch_load_b128 v[144:147], off, off offset:480
	scratch_load_b128 v[148:151], off, off offset:496
	scratch_load_b128 v[152:155], off, off offset:512
	ds_load_b128 v[156:159], v2 offset:1248
	ds_load_b128 v[164:167], v2 offset:1264
	s_clause 0x2
	scratch_load_b128 v[160:163], off, off offset:528
	scratch_load_b128 v[168:171], off, off offset:352
	;; [unrolled: 1-line block ×3, first 2 shown]
	s_mov_b32 s2, exec_lo
	s_wait_loadcnt_dscnt 0xc01
	v_mul_f64_e32 v[176:177], v[158:159], v[6:7]
	v_mul_f64_e32 v[180:181], v[156:157], v[6:7]
	s_wait_loadcnt_dscnt 0xb00
	v_mul_f64_e32 v[182:183], v[164:165], v[10:11]
	v_mul_f64_e32 v[10:11], v[166:167], v[10:11]
	s_delay_alu instid0(VALU_DEP_4) | instskip(NEXT) | instid1(VALU_DEP_4)
	v_fma_f64 v[184:185], v[156:157], v[4:5], -v[176:177]
	v_fmac_f64_e32 v[180:181], v[158:159], v[4:5]
	ds_load_b128 v[4:7], v2 offset:1280
	ds_load_b128 v[156:159], v2 offset:1296
	scratch_load_b128 v[176:179], off, off offset:560
	v_fmac_f64_e32 v[182:183], v[166:167], v[8:9]
	v_fma_f64 v[164:165], v[164:165], v[8:9], -v[10:11]
	scratch_load_b128 v[8:11], off, off offset:576
	s_wait_loadcnt_dscnt 0xc01
	v_mul_f64_e32 v[186:187], v[4:5], v[14:15]
	v_mul_f64_e32 v[14:15], v[6:7], v[14:15]
	v_add_f64_e32 v[166:167], 0, v[184:185]
	v_add_f64_e32 v[180:181], 0, v[180:181]
	s_wait_loadcnt_dscnt 0xb00
	v_mul_f64_e32 v[184:185], v[156:157], v[130:131]
	v_mul_f64_e32 v[130:131], v[158:159], v[130:131]
	v_fmac_f64_e32 v[186:187], v[6:7], v[12:13]
	v_fma_f64 v[188:189], v[4:5], v[12:13], -v[14:15]
	ds_load_b128 v[4:7], v2 offset:1312
	ds_load_b128 v[12:15], v2 offset:1328
	v_add_f64_e32 v[190:191], v[166:167], v[164:165]
	v_add_f64_e32 v[180:181], v[180:181], v[182:183]
	scratch_load_b128 v[164:167], off, off offset:592
	v_fmac_f64_e32 v[184:185], v[158:159], v[128:129]
	v_fma_f64 v[156:157], v[156:157], v[128:129], -v[130:131]
	scratch_load_b128 v[128:131], off, off offset:608
	s_wait_loadcnt_dscnt 0xc01
	v_mul_f64_e32 v[182:183], v[4:5], v[134:135]
	v_mul_f64_e32 v[134:135], v[6:7], v[134:135]
	v_add_f64_e32 v[158:159], v[190:191], v[188:189]
	v_add_f64_e32 v[180:181], v[180:181], v[186:187]
	s_wait_loadcnt_dscnt 0xb00
	v_mul_f64_e32 v[186:187], v[12:13], v[138:139]
	v_mul_f64_e32 v[138:139], v[14:15], v[138:139]
	v_fmac_f64_e32 v[182:183], v[6:7], v[132:133]
	v_fma_f64 v[188:189], v[4:5], v[132:133], -v[134:135]
	ds_load_b128 v[4:7], v2 offset:1344
	ds_load_b128 v[132:135], v2 offset:1360
	v_add_f64_e32 v[190:191], v[158:159], v[156:157]
	v_add_f64_e32 v[180:181], v[180:181], v[184:185]
	scratch_load_b128 v[156:159], off, off offset:624
	s_wait_loadcnt_dscnt 0xb01
	v_mul_f64_e32 v[184:185], v[4:5], v[142:143]
	v_mul_f64_e32 v[142:143], v[6:7], v[142:143]
	v_fmac_f64_e32 v[186:187], v[14:15], v[136:137]
	v_fma_f64 v[136:137], v[12:13], v[136:137], -v[138:139]
	scratch_load_b128 v[12:15], off, off offset:640
	v_add_f64_e32 v[138:139], v[190:191], v[188:189]
	v_add_f64_e32 v[180:181], v[180:181], v[182:183]
	s_wait_loadcnt_dscnt 0xb00
	v_mul_f64_e32 v[182:183], v[132:133], v[146:147]
	v_mul_f64_e32 v[146:147], v[134:135], v[146:147]
	v_fmac_f64_e32 v[184:185], v[6:7], v[140:141]
	v_fma_f64 v[188:189], v[4:5], v[140:141], -v[142:143]
	v_add_f64_e32 v[190:191], v[138:139], v[136:137]
	v_add_f64_e32 v[180:181], v[180:181], v[186:187]
	ds_load_b128 v[4:7], v2 offset:1376
	ds_load_b128 v[136:139], v2 offset:1392
	scratch_load_b128 v[140:143], off, off offset:656
	v_fmac_f64_e32 v[182:183], v[134:135], v[144:145]
	v_fma_f64 v[144:145], v[132:133], v[144:145], -v[146:147]
	scratch_load_b128 v[132:135], off, off offset:672
	s_wait_loadcnt_dscnt 0xc01
	v_mul_f64_e32 v[186:187], v[4:5], v[150:151]
	v_mul_f64_e32 v[150:151], v[6:7], v[150:151]
	v_add_f64_e32 v[146:147], v[190:191], v[188:189]
	v_add_f64_e32 v[180:181], v[180:181], v[184:185]
	s_wait_loadcnt_dscnt 0xb00
	v_mul_f64_e32 v[184:185], v[136:137], v[154:155]
	v_mul_f64_e32 v[154:155], v[138:139], v[154:155]
	v_fmac_f64_e32 v[186:187], v[6:7], v[148:149]
	v_fma_f64 v[188:189], v[4:5], v[148:149], -v[150:151]
	v_add_f64_e32 v[190:191], v[146:147], v[144:145]
	v_add_f64_e32 v[180:181], v[180:181], v[182:183]
	ds_load_b128 v[4:7], v2 offset:1408
	ds_load_b128 v[144:147], v2 offset:1424
	scratch_load_b128 v[148:151], off, off offset:688
	v_fmac_f64_e32 v[184:185], v[138:139], v[152:153]
	v_fma_f64 v[152:153], v[136:137], v[152:153], -v[154:155]
	scratch_load_b128 v[136:139], off, off offset:704
	s_wait_loadcnt_dscnt 0xc01
	v_mul_f64_e32 v[182:183], v[4:5], v[162:163]
	v_mul_f64_e32 v[162:163], v[6:7], v[162:163]
	;; [unrolled: 18-line block ×5, first 2 shown]
	v_add_f64_e32 v[174:175], v[190:191], v[188:189]
	v_add_f64_e32 v[180:181], v[180:181], v[186:187]
	s_wait_loadcnt_dscnt 0xa00
	v_mul_f64_e32 v[186:187], v[152:153], v[14:15]
	v_mul_f64_e32 v[14:15], v[154:155], v[14:15]
	v_fmac_f64_e32 v[182:183], v[6:7], v[156:157]
	v_fma_f64 v[188:189], v[4:5], v[156:157], -v[158:159]
	ds_load_b128 v[4:7], v2 offset:1536
	ds_load_b128 v[156:159], v2 offset:1552
	v_add_f64_e32 v[190:191], v[174:175], v[172:173]
	v_add_f64_e32 v[180:181], v[180:181], v[184:185]
	scratch_load_b128 v[172:175], off, off offset:816
	v_fmac_f64_e32 v[186:187], v[154:155], v[12:13]
	v_fma_f64 v[152:153], v[152:153], v[12:13], -v[14:15]
	scratch_load_b128 v[12:15], off, off offset:832
	s_wait_loadcnt_dscnt 0xb01
	v_mul_f64_e32 v[184:185], v[4:5], v[142:143]
	v_mul_f64_e32 v[142:143], v[6:7], v[142:143]
	v_add_f64_e32 v[154:155], v[190:191], v[188:189]
	v_add_f64_e32 v[180:181], v[180:181], v[182:183]
	s_wait_loadcnt_dscnt 0xa00
	v_mul_f64_e32 v[182:183], v[156:157], v[134:135]
	v_mul_f64_e32 v[134:135], v[158:159], v[134:135]
	v_fmac_f64_e32 v[184:185], v[6:7], v[140:141]
	v_fma_f64 v[188:189], v[4:5], v[140:141], -v[142:143]
	ds_load_b128 v[4:7], v2 offset:1568
	ds_load_b128 v[140:143], v2 offset:1584
	v_add_f64_e32 v[190:191], v[154:155], v[152:153]
	v_add_f64_e32 v[180:181], v[180:181], v[186:187]
	scratch_load_b128 v[152:155], off, off offset:848
	s_wait_loadcnt_dscnt 0xa01
	v_mul_f64_e32 v[186:187], v[4:5], v[150:151]
	v_mul_f64_e32 v[150:151], v[6:7], v[150:151]
	v_fmac_f64_e32 v[182:183], v[158:159], v[132:133]
	v_fma_f64 v[156:157], v[156:157], v[132:133], -v[134:135]
	scratch_load_b128 v[132:135], off, off offset:864
	v_add_f64_e32 v[158:159], v[190:191], v[188:189]
	v_add_f64_e32 v[180:181], v[180:181], v[184:185]
	s_wait_loadcnt_dscnt 0xa00
	v_mul_f64_e32 v[184:185], v[140:141], v[138:139]
	v_mul_f64_e32 v[138:139], v[142:143], v[138:139]
	v_fmac_f64_e32 v[186:187], v[6:7], v[148:149]
	v_fma_f64 v[188:189], v[4:5], v[148:149], -v[150:151]
	ds_load_b128 v[4:7], v2 offset:1600
	ds_load_b128 v[148:151], v2 offset:1616
	v_add_f64_e32 v[156:157], v[158:159], v[156:157]
	v_add_f64_e32 v[158:159], v[180:181], v[182:183]
	v_fmac_f64_e32 v[184:185], v[142:143], v[136:137]
	s_wait_loadcnt_dscnt 0x901
	v_mul_f64_e32 v[180:181], v[4:5], v[162:163]
	v_mul_f64_e32 v[162:163], v[6:7], v[162:163]
	v_fma_f64 v[136:137], v[140:141], v[136:137], -v[138:139]
	s_wait_loadcnt_dscnt 0x800
	v_mul_f64_e32 v[142:143], v[148:149], v[146:147]
	v_mul_f64_e32 v[146:147], v[150:151], v[146:147]
	v_add_f64_e32 v[138:139], v[156:157], v[188:189]
	v_add_f64_e32 v[140:141], v[158:159], v[186:187]
	v_fmac_f64_e32 v[180:181], v[6:7], v[160:161]
	v_fma_f64 v[156:157], v[4:5], v[160:161], -v[162:163]
	v_fmac_f64_e32 v[142:143], v[150:151], v[144:145]
	v_fma_f64 v[144:145], v[148:149], v[144:145], -v[146:147]
	v_add_f64_e32 v[158:159], v[138:139], v[136:137]
	v_add_f64_e32 v[140:141], v[140:141], v[184:185]
	ds_load_b128 v[4:7], v2 offset:1632
	ds_load_b128 v[136:139], v2 offset:1648
	s_wait_loadcnt_dscnt 0x701
	v_mul_f64_e32 v[160:161], v[4:5], v[178:179]
	v_mul_f64_e32 v[162:163], v[6:7], v[178:179]
	s_wait_loadcnt_dscnt 0x600
	v_mul_f64_e32 v[148:149], v[136:137], v[10:11]
	v_mul_f64_e32 v[10:11], v[138:139], v[10:11]
	v_add_f64_e32 v[146:147], v[158:159], v[156:157]
	v_add_f64_e32 v[140:141], v[140:141], v[180:181]
	v_fmac_f64_e32 v[160:161], v[6:7], v[176:177]
	v_fma_f64 v[150:151], v[4:5], v[176:177], -v[162:163]
	v_fmac_f64_e32 v[148:149], v[138:139], v[8:9]
	v_fma_f64 v[8:9], v[136:137], v[8:9], -v[10:11]
	v_add_f64_e32 v[144:145], v[146:147], v[144:145]
	v_add_f64_e32 v[146:147], v[140:141], v[142:143]
	ds_load_b128 v[4:7], v2 offset:1664
	ds_load_b128 v[140:143], v2 offset:1680
	s_wait_loadcnt_dscnt 0x501
	v_mul_f64_e32 v[156:157], v[4:5], v[166:167]
	v_mul_f64_e32 v[158:159], v[6:7], v[166:167]
	;; [unrolled: 16-line block ×4, first 2 shown]
	s_wait_loadcnt_dscnt 0x0
	v_mul_f64_e32 v[14:15], v[128:129], v[134:135]
	v_mul_f64_e32 v[134:135], v[130:131], v[134:135]
	v_add_f64_e32 v[10:11], v[144:145], v[142:143]
	v_add_f64_e32 v[12:13], v[136:137], v[148:149]
	v_fmac_f64_e32 v[2:3], v[6:7], v[152:153]
	v_fma_f64 v[4:5], v[4:5], v[152:153], -v[138:139]
	v_fmac_f64_e32 v[14:15], v[130:131], v[132:133]
	v_add_f64_e32 v[6:7], v[10:11], v[8:9]
	v_add_f64_e32 v[8:9], v[12:13], v[140:141]
	v_fma_f64 v[10:11], v[128:129], v[132:133], -v[134:135]
	s_delay_alu instid0(VALU_DEP_3) | instskip(NEXT) | instid1(VALU_DEP_3)
	v_add_f64_e32 v[4:5], v[6:7], v[4:5]
	v_add_f64_e32 v[2:3], v[8:9], v[2:3]
	s_delay_alu instid0(VALU_DEP_2) | instskip(NEXT) | instid1(VALU_DEP_2)
	v_add_f64_e32 v[4:5], v[4:5], v[10:11]
	v_add_f64_e32 v[6:7], v[2:3], v[14:15]
	s_delay_alu instid0(VALU_DEP_2) | instskip(NEXT) | instid1(VALU_DEP_2)
	v_add_f64_e64 v[2:3], v[168:169], -v[4:5]
	v_add_f64_e64 v[4:5], v[170:171], -v[6:7]
	scratch_store_b128 off, v[2:5], off offset:352
	s_wait_xcnt 0x0
	v_cmpx_lt_u32_e32 21, v1
	s_cbranch_execz .LBB54_301
; %bb.300:
	scratch_load_b128 v[2:5], off, s27
	v_mov_b32_e32 v6, 0
	s_delay_alu instid0(VALU_DEP_1)
	v_dual_mov_b32 v7, v6 :: v_dual_mov_b32 v8, v6
	v_mov_b32_e32 v9, v6
	scratch_store_b128 off, v[6:9], off offset:336
	s_wait_loadcnt 0x0
	ds_store_b128 v126, v[2:5]
.LBB54_301:
	s_wait_xcnt 0x0
	s_or_b32 exec_lo, exec_lo, s2
	s_wait_storecnt_dscnt 0x0
	s_barrier_signal -1
	s_barrier_wait -1
	s_clause 0x9
	scratch_load_b128 v[4:7], off, off offset:352
	scratch_load_b128 v[8:11], off, off offset:368
	;; [unrolled: 1-line block ×10, first 2 shown]
	v_mov_b32_e32 v2, 0
	s_mov_b32 s2, exec_lo
	ds_load_b128 v[156:159], v2 offset:1232
	s_clause 0x2
	scratch_load_b128 v[160:163], off, off offset:512
	scratch_load_b128 v[164:167], off, off offset:336
	;; [unrolled: 1-line block ×3, first 2 shown]
	s_wait_loadcnt_dscnt 0xc00
	v_mul_f64_e32 v[176:177], v[158:159], v[6:7]
	v_mul_f64_e32 v[180:181], v[156:157], v[6:7]
	ds_load_b128 v[168:171], v2 offset:1248
	v_fma_f64 v[184:185], v[156:157], v[4:5], -v[176:177]
	v_fmac_f64_e32 v[180:181], v[158:159], v[4:5]
	ds_load_b128 v[4:7], v2 offset:1264
	s_wait_loadcnt_dscnt 0xb01
	v_mul_f64_e32 v[182:183], v[168:169], v[10:11]
	v_mul_f64_e32 v[10:11], v[170:171], v[10:11]
	scratch_load_b128 v[156:159], off, off offset:544
	ds_load_b128 v[176:179], v2 offset:1280
	s_wait_loadcnt_dscnt 0xb01
	v_mul_f64_e32 v[186:187], v[4:5], v[14:15]
	v_mul_f64_e32 v[14:15], v[6:7], v[14:15]
	v_add_f64_e32 v[180:181], 0, v[180:181]
	v_fmac_f64_e32 v[182:183], v[170:171], v[8:9]
	v_fma_f64 v[168:169], v[168:169], v[8:9], -v[10:11]
	v_add_f64_e32 v[170:171], 0, v[184:185]
	scratch_load_b128 v[8:11], off, off offset:560
	v_fmac_f64_e32 v[186:187], v[6:7], v[12:13]
	v_fma_f64 v[188:189], v[4:5], v[12:13], -v[14:15]
	ds_load_b128 v[4:7], v2 offset:1296
	s_wait_loadcnt_dscnt 0xb01
	v_mul_f64_e32 v[184:185], v[176:177], v[130:131]
	v_mul_f64_e32 v[130:131], v[178:179], v[130:131]
	scratch_load_b128 v[12:15], off, off offset:576
	v_add_f64_e32 v[180:181], v[180:181], v[182:183]
	v_add_f64_e32 v[190:191], v[170:171], v[168:169]
	ds_load_b128 v[168:171], v2 offset:1312
	s_wait_loadcnt_dscnt 0xb01
	v_mul_f64_e32 v[182:183], v[4:5], v[134:135]
	v_mul_f64_e32 v[134:135], v[6:7], v[134:135]
	v_fmac_f64_e32 v[184:185], v[178:179], v[128:129]
	v_fma_f64 v[176:177], v[176:177], v[128:129], -v[130:131]
	scratch_load_b128 v[128:131], off, off offset:592
	v_add_f64_e32 v[180:181], v[180:181], v[186:187]
	v_add_f64_e32 v[178:179], v[190:191], v[188:189]
	v_fmac_f64_e32 v[182:183], v[6:7], v[132:133]
	v_fma_f64 v[188:189], v[4:5], v[132:133], -v[134:135]
	ds_load_b128 v[4:7], v2 offset:1328
	s_wait_loadcnt_dscnt 0xb01
	v_mul_f64_e32 v[186:187], v[168:169], v[138:139]
	v_mul_f64_e32 v[138:139], v[170:171], v[138:139]
	scratch_load_b128 v[132:135], off, off offset:608
	v_add_f64_e32 v[180:181], v[180:181], v[184:185]
	s_wait_loadcnt_dscnt 0xb00
	v_mul_f64_e32 v[184:185], v[4:5], v[142:143]
	v_add_f64_e32 v[190:191], v[178:179], v[176:177]
	v_mul_f64_e32 v[142:143], v[6:7], v[142:143]
	ds_load_b128 v[176:179], v2 offset:1344
	v_fmac_f64_e32 v[186:187], v[170:171], v[136:137]
	v_fma_f64 v[168:169], v[168:169], v[136:137], -v[138:139]
	scratch_load_b128 v[136:139], off, off offset:624
	v_add_f64_e32 v[180:181], v[180:181], v[182:183]
	v_fmac_f64_e32 v[184:185], v[6:7], v[140:141]
	v_add_f64_e32 v[170:171], v[190:191], v[188:189]
	v_fma_f64 v[188:189], v[4:5], v[140:141], -v[142:143]
	ds_load_b128 v[4:7], v2 offset:1360
	s_wait_loadcnt_dscnt 0xb01
	v_mul_f64_e32 v[182:183], v[176:177], v[146:147]
	v_mul_f64_e32 v[146:147], v[178:179], v[146:147]
	scratch_load_b128 v[140:143], off, off offset:640
	v_add_f64_e32 v[180:181], v[180:181], v[186:187]
	s_wait_loadcnt_dscnt 0xb00
	v_mul_f64_e32 v[186:187], v[4:5], v[150:151]
	v_add_f64_e32 v[190:191], v[170:171], v[168:169]
	v_mul_f64_e32 v[150:151], v[6:7], v[150:151]
	ds_load_b128 v[168:171], v2 offset:1376
	v_fmac_f64_e32 v[182:183], v[178:179], v[144:145]
	v_fma_f64 v[176:177], v[176:177], v[144:145], -v[146:147]
	scratch_load_b128 v[144:147], off, off offset:656
	v_add_f64_e32 v[180:181], v[180:181], v[184:185]
	v_fmac_f64_e32 v[186:187], v[6:7], v[148:149]
	v_add_f64_e32 v[178:179], v[190:191], v[188:189]
	;; [unrolled: 18-line block ×3, first 2 shown]
	v_fma_f64 v[188:189], v[4:5], v[160:161], -v[162:163]
	ds_load_b128 v[4:7], v2 offset:1424
	s_wait_loadcnt_dscnt 0xa01
	v_mul_f64_e32 v[186:187], v[176:177], v[174:175]
	v_mul_f64_e32 v[174:175], v[178:179], v[174:175]
	scratch_load_b128 v[160:163], off, off offset:704
	v_add_f64_e32 v[180:181], v[180:181], v[184:185]
	v_add_f64_e32 v[190:191], v[170:171], v[168:169]
	s_wait_loadcnt_dscnt 0xa00
	v_mul_f64_e32 v[184:185], v[4:5], v[158:159]
	v_mul_f64_e32 v[158:159], v[6:7], v[158:159]
	v_fmac_f64_e32 v[186:187], v[178:179], v[172:173]
	v_fma_f64 v[176:177], v[176:177], v[172:173], -v[174:175]
	ds_load_b128 v[168:171], v2 offset:1440
	scratch_load_b128 v[172:175], off, off offset:720
	v_add_f64_e32 v[180:181], v[180:181], v[182:183]
	v_add_f64_e32 v[178:179], v[190:191], v[188:189]
	v_fmac_f64_e32 v[184:185], v[6:7], v[156:157]
	v_fma_f64 v[188:189], v[4:5], v[156:157], -v[158:159]
	ds_load_b128 v[4:7], v2 offset:1456
	s_wait_loadcnt_dscnt 0xa01
	v_mul_f64_e32 v[182:183], v[168:169], v[10:11]
	v_mul_f64_e32 v[10:11], v[170:171], v[10:11]
	scratch_load_b128 v[156:159], off, off offset:736
	v_add_f64_e32 v[180:181], v[180:181], v[186:187]
	s_wait_loadcnt_dscnt 0xa00
	v_mul_f64_e32 v[186:187], v[4:5], v[14:15]
	v_add_f64_e32 v[190:191], v[178:179], v[176:177]
	v_mul_f64_e32 v[14:15], v[6:7], v[14:15]
	ds_load_b128 v[176:179], v2 offset:1472
	v_fmac_f64_e32 v[182:183], v[170:171], v[8:9]
	v_fma_f64 v[168:169], v[168:169], v[8:9], -v[10:11]
	scratch_load_b128 v[8:11], off, off offset:752
	v_add_f64_e32 v[180:181], v[180:181], v[184:185]
	v_fmac_f64_e32 v[186:187], v[6:7], v[12:13]
	v_add_f64_e32 v[170:171], v[190:191], v[188:189]
	v_fma_f64 v[188:189], v[4:5], v[12:13], -v[14:15]
	ds_load_b128 v[4:7], v2 offset:1488
	s_wait_loadcnt_dscnt 0xa01
	v_mul_f64_e32 v[184:185], v[176:177], v[130:131]
	v_mul_f64_e32 v[130:131], v[178:179], v[130:131]
	scratch_load_b128 v[12:15], off, off offset:768
	v_add_f64_e32 v[180:181], v[180:181], v[182:183]
	s_wait_loadcnt_dscnt 0xa00
	v_mul_f64_e32 v[182:183], v[4:5], v[134:135]
	v_add_f64_e32 v[190:191], v[170:171], v[168:169]
	v_mul_f64_e32 v[134:135], v[6:7], v[134:135]
	ds_load_b128 v[168:171], v2 offset:1504
	v_fmac_f64_e32 v[184:185], v[178:179], v[128:129]
	v_fma_f64 v[176:177], v[176:177], v[128:129], -v[130:131]
	scratch_load_b128 v[128:131], off, off offset:784
	v_add_f64_e32 v[180:181], v[180:181], v[186:187]
	v_fmac_f64_e32 v[182:183], v[6:7], v[132:133]
	v_add_f64_e32 v[178:179], v[190:191], v[188:189]
	;; [unrolled: 18-line block ×4, first 2 shown]
	v_fma_f64 v[188:189], v[4:5], v[148:149], -v[150:151]
	ds_load_b128 v[4:7], v2 offset:1584
	s_wait_loadcnt_dscnt 0xa01
	v_mul_f64_e32 v[184:185], v[168:169], v[154:155]
	v_mul_f64_e32 v[154:155], v[170:171], v[154:155]
	scratch_load_b128 v[148:151], off, off offset:864
	v_add_f64_e32 v[180:181], v[180:181], v[182:183]
	s_wait_loadcnt_dscnt 0xa00
	v_mul_f64_e32 v[182:183], v[4:5], v[162:163]
	v_add_f64_e32 v[190:191], v[178:179], v[176:177]
	v_mul_f64_e32 v[162:163], v[6:7], v[162:163]
	ds_load_b128 v[176:179], v2 offset:1600
	v_fmac_f64_e32 v[184:185], v[170:171], v[152:153]
	v_fma_f64 v[152:153], v[168:169], v[152:153], -v[154:155]
	s_wait_loadcnt_dscnt 0x900
	v_mul_f64_e32 v[170:171], v[176:177], v[174:175]
	v_mul_f64_e32 v[174:175], v[178:179], v[174:175]
	v_add_f64_e32 v[168:169], v[180:181], v[186:187]
	v_fmac_f64_e32 v[182:183], v[6:7], v[160:161]
	v_add_f64_e32 v[154:155], v[190:191], v[188:189]
	v_fma_f64 v[160:161], v[4:5], v[160:161], -v[162:163]
	v_fmac_f64_e32 v[170:171], v[178:179], v[172:173]
	v_fma_f64 v[172:173], v[176:177], v[172:173], -v[174:175]
	v_add_f64_e32 v[168:169], v[168:169], v[184:185]
	v_add_f64_e32 v[162:163], v[154:155], v[152:153]
	ds_load_b128 v[4:7], v2 offset:1616
	ds_load_b128 v[152:155], v2 offset:1632
	s_wait_loadcnt_dscnt 0x801
	v_mul_f64_e32 v[180:181], v[4:5], v[158:159]
	v_mul_f64_e32 v[158:159], v[6:7], v[158:159]
	v_add_f64_e32 v[160:161], v[162:163], v[160:161]
	v_add_f64_e32 v[162:163], v[168:169], v[182:183]
	s_wait_loadcnt_dscnt 0x700
	v_mul_f64_e32 v[168:169], v[152:153], v[10:11]
	v_mul_f64_e32 v[10:11], v[154:155], v[10:11]
	v_fmac_f64_e32 v[180:181], v[6:7], v[156:157]
	v_fma_f64 v[174:175], v[4:5], v[156:157], -v[158:159]
	ds_load_b128 v[4:7], v2 offset:1648
	ds_load_b128 v[156:159], v2 offset:1664
	v_add_f64_e32 v[160:161], v[160:161], v[172:173]
	v_add_f64_e32 v[162:163], v[162:163], v[170:171]
	v_fmac_f64_e32 v[168:169], v[154:155], v[8:9]
	v_fma_f64 v[8:9], v[152:153], v[8:9], -v[10:11]
	s_wait_loadcnt_dscnt 0x601
	v_mul_f64_e32 v[170:171], v[4:5], v[14:15]
	v_mul_f64_e32 v[14:15], v[6:7], v[14:15]
	s_wait_loadcnt_dscnt 0x500
	v_mul_f64_e32 v[154:155], v[156:157], v[130:131]
	v_mul_f64_e32 v[130:131], v[158:159], v[130:131]
	v_add_f64_e32 v[10:11], v[160:161], v[174:175]
	v_add_f64_e32 v[152:153], v[162:163], v[180:181]
	v_fmac_f64_e32 v[170:171], v[6:7], v[12:13]
	v_fma_f64 v[12:13], v[4:5], v[12:13], -v[14:15]
	v_fmac_f64_e32 v[154:155], v[158:159], v[128:129]
	v_fma_f64 v[128:129], v[156:157], v[128:129], -v[130:131]
	v_add_f64_e32 v[14:15], v[10:11], v[8:9]
	v_add_f64_e32 v[152:153], v[152:153], v[168:169]
	ds_load_b128 v[4:7], v2 offset:1680
	ds_load_b128 v[8:11], v2 offset:1696
	s_wait_loadcnt_dscnt 0x401
	v_mul_f64_e32 v[160:161], v[4:5], v[134:135]
	v_mul_f64_e32 v[134:135], v[6:7], v[134:135]
	s_wait_loadcnt_dscnt 0x300
	v_mul_f64_e32 v[130:131], v[8:9], v[138:139]
	v_mul_f64_e32 v[138:139], v[10:11], v[138:139]
	v_add_f64_e32 v[12:13], v[14:15], v[12:13]
	v_add_f64_e32 v[14:15], v[152:153], v[170:171]
	v_fmac_f64_e32 v[160:161], v[6:7], v[132:133]
	v_fma_f64 v[132:133], v[4:5], v[132:133], -v[134:135]
	v_fmac_f64_e32 v[130:131], v[10:11], v[136:137]
	v_fma_f64 v[8:9], v[8:9], v[136:137], -v[138:139]
	v_add_f64_e32 v[128:129], v[12:13], v[128:129]
	v_add_f64_e32 v[134:135], v[14:15], v[154:155]
	ds_load_b128 v[4:7], v2 offset:1712
	ds_load_b128 v[12:15], v2 offset:1728
	s_wait_loadcnt_dscnt 0x201
	v_mul_f64_e32 v[152:153], v[4:5], v[142:143]
	v_mul_f64_e32 v[142:143], v[6:7], v[142:143]
	v_add_f64_e32 v[10:11], v[128:129], v[132:133]
	v_add_f64_e32 v[128:129], v[134:135], v[160:161]
	s_wait_loadcnt_dscnt 0x100
	v_mul_f64_e32 v[132:133], v[12:13], v[146:147]
	v_mul_f64_e32 v[134:135], v[14:15], v[146:147]
	v_fmac_f64_e32 v[152:153], v[6:7], v[140:141]
	v_fma_f64 v[136:137], v[4:5], v[140:141], -v[142:143]
	ds_load_b128 v[4:7], v2 offset:1744
	v_add_f64_e32 v[8:9], v[10:11], v[8:9]
	v_add_f64_e32 v[10:11], v[128:129], v[130:131]
	v_fmac_f64_e32 v[132:133], v[14:15], v[144:145]
	v_fma_f64 v[12:13], v[12:13], v[144:145], -v[134:135]
	s_wait_loadcnt_dscnt 0x0
	v_mul_f64_e32 v[128:129], v[4:5], v[150:151]
	v_mul_f64_e32 v[130:131], v[6:7], v[150:151]
	v_add_f64_e32 v[8:9], v[8:9], v[136:137]
	v_add_f64_e32 v[10:11], v[10:11], v[152:153]
	s_delay_alu instid0(VALU_DEP_4) | instskip(NEXT) | instid1(VALU_DEP_4)
	v_fmac_f64_e32 v[128:129], v[6:7], v[148:149]
	v_fma_f64 v[4:5], v[4:5], v[148:149], -v[130:131]
	s_delay_alu instid0(VALU_DEP_4) | instskip(NEXT) | instid1(VALU_DEP_4)
	v_add_f64_e32 v[6:7], v[8:9], v[12:13]
	v_add_f64_e32 v[8:9], v[10:11], v[132:133]
	s_delay_alu instid0(VALU_DEP_2) | instskip(NEXT) | instid1(VALU_DEP_2)
	v_add_f64_e32 v[4:5], v[6:7], v[4:5]
	v_add_f64_e32 v[6:7], v[8:9], v[128:129]
	s_delay_alu instid0(VALU_DEP_2) | instskip(NEXT) | instid1(VALU_DEP_2)
	v_add_f64_e64 v[4:5], v[164:165], -v[4:5]
	v_add_f64_e64 v[6:7], v[166:167], -v[6:7]
	scratch_store_b128 off, v[4:7], off offset:336
	s_wait_xcnt 0x0
	v_cmpx_lt_u32_e32 20, v1
	s_cbranch_execz .LBB54_303
; %bb.302:
	scratch_load_b128 v[6:9], off, s40
	v_dual_mov_b32 v3, v2 :: v_dual_mov_b32 v4, v2
	v_mov_b32_e32 v5, v2
	scratch_store_b128 off, v[2:5], off offset:320
	s_wait_loadcnt 0x0
	ds_store_b128 v126, v[6:9]
.LBB54_303:
	s_wait_xcnt 0x0
	s_or_b32 exec_lo, exec_lo, s2
	s_wait_storecnt_dscnt 0x0
	s_barrier_signal -1
	s_barrier_wait -1
	s_clause 0x9
	scratch_load_b128 v[4:7], off, off offset:336
	scratch_load_b128 v[8:11], off, off offset:352
	;; [unrolled: 1-line block ×10, first 2 shown]
	ds_load_b128 v[156:159], v2 offset:1216
	ds_load_b128 v[164:167], v2 offset:1232
	s_clause 0x2
	scratch_load_b128 v[160:163], off, off offset:496
	scratch_load_b128 v[168:171], off, off offset:320
	scratch_load_b128 v[172:175], off, off offset:512
	s_mov_b32 s2, exec_lo
	s_wait_loadcnt_dscnt 0xc01
	v_mul_f64_e32 v[176:177], v[158:159], v[6:7]
	v_mul_f64_e32 v[180:181], v[156:157], v[6:7]
	s_wait_loadcnt_dscnt 0xb00
	v_mul_f64_e32 v[182:183], v[164:165], v[10:11]
	v_mul_f64_e32 v[10:11], v[166:167], v[10:11]
	s_delay_alu instid0(VALU_DEP_4) | instskip(NEXT) | instid1(VALU_DEP_4)
	v_fma_f64 v[184:185], v[156:157], v[4:5], -v[176:177]
	v_fmac_f64_e32 v[180:181], v[158:159], v[4:5]
	ds_load_b128 v[4:7], v2 offset:1248
	ds_load_b128 v[156:159], v2 offset:1264
	scratch_load_b128 v[176:179], off, off offset:528
	v_fmac_f64_e32 v[182:183], v[166:167], v[8:9]
	v_fma_f64 v[164:165], v[164:165], v[8:9], -v[10:11]
	scratch_load_b128 v[8:11], off, off offset:544
	s_wait_loadcnt_dscnt 0xc01
	v_mul_f64_e32 v[186:187], v[4:5], v[14:15]
	v_mul_f64_e32 v[14:15], v[6:7], v[14:15]
	v_add_f64_e32 v[166:167], 0, v[184:185]
	v_add_f64_e32 v[180:181], 0, v[180:181]
	s_wait_loadcnt_dscnt 0xb00
	v_mul_f64_e32 v[184:185], v[156:157], v[130:131]
	v_mul_f64_e32 v[130:131], v[158:159], v[130:131]
	v_fmac_f64_e32 v[186:187], v[6:7], v[12:13]
	v_fma_f64 v[188:189], v[4:5], v[12:13], -v[14:15]
	ds_load_b128 v[4:7], v2 offset:1280
	ds_load_b128 v[12:15], v2 offset:1296
	v_add_f64_e32 v[190:191], v[166:167], v[164:165]
	v_add_f64_e32 v[180:181], v[180:181], v[182:183]
	scratch_load_b128 v[164:167], off, off offset:560
	v_fmac_f64_e32 v[184:185], v[158:159], v[128:129]
	v_fma_f64 v[156:157], v[156:157], v[128:129], -v[130:131]
	scratch_load_b128 v[128:131], off, off offset:576
	s_wait_loadcnt_dscnt 0xc01
	v_mul_f64_e32 v[182:183], v[4:5], v[134:135]
	v_mul_f64_e32 v[134:135], v[6:7], v[134:135]
	v_add_f64_e32 v[158:159], v[190:191], v[188:189]
	v_add_f64_e32 v[180:181], v[180:181], v[186:187]
	s_wait_loadcnt_dscnt 0xb00
	v_mul_f64_e32 v[186:187], v[12:13], v[138:139]
	v_mul_f64_e32 v[138:139], v[14:15], v[138:139]
	v_fmac_f64_e32 v[182:183], v[6:7], v[132:133]
	v_fma_f64 v[188:189], v[4:5], v[132:133], -v[134:135]
	ds_load_b128 v[4:7], v2 offset:1312
	ds_load_b128 v[132:135], v2 offset:1328
	v_add_f64_e32 v[190:191], v[158:159], v[156:157]
	v_add_f64_e32 v[180:181], v[180:181], v[184:185]
	scratch_load_b128 v[156:159], off, off offset:592
	s_wait_loadcnt_dscnt 0xb01
	v_mul_f64_e32 v[184:185], v[4:5], v[142:143]
	v_mul_f64_e32 v[142:143], v[6:7], v[142:143]
	v_fmac_f64_e32 v[186:187], v[14:15], v[136:137]
	v_fma_f64 v[136:137], v[12:13], v[136:137], -v[138:139]
	scratch_load_b128 v[12:15], off, off offset:608
	v_add_f64_e32 v[138:139], v[190:191], v[188:189]
	v_add_f64_e32 v[180:181], v[180:181], v[182:183]
	s_wait_loadcnt_dscnt 0xb00
	v_mul_f64_e32 v[182:183], v[132:133], v[146:147]
	v_mul_f64_e32 v[146:147], v[134:135], v[146:147]
	v_fmac_f64_e32 v[184:185], v[6:7], v[140:141]
	v_fma_f64 v[188:189], v[4:5], v[140:141], -v[142:143]
	v_add_f64_e32 v[190:191], v[138:139], v[136:137]
	v_add_f64_e32 v[180:181], v[180:181], v[186:187]
	ds_load_b128 v[4:7], v2 offset:1344
	ds_load_b128 v[136:139], v2 offset:1360
	scratch_load_b128 v[140:143], off, off offset:624
	v_fmac_f64_e32 v[182:183], v[134:135], v[144:145]
	v_fma_f64 v[144:145], v[132:133], v[144:145], -v[146:147]
	scratch_load_b128 v[132:135], off, off offset:640
	s_wait_loadcnt_dscnt 0xc01
	v_mul_f64_e32 v[186:187], v[4:5], v[150:151]
	v_mul_f64_e32 v[150:151], v[6:7], v[150:151]
	v_add_f64_e32 v[146:147], v[190:191], v[188:189]
	v_add_f64_e32 v[180:181], v[180:181], v[184:185]
	s_wait_loadcnt_dscnt 0xb00
	v_mul_f64_e32 v[184:185], v[136:137], v[154:155]
	v_mul_f64_e32 v[154:155], v[138:139], v[154:155]
	v_fmac_f64_e32 v[186:187], v[6:7], v[148:149]
	v_fma_f64 v[188:189], v[4:5], v[148:149], -v[150:151]
	v_add_f64_e32 v[190:191], v[146:147], v[144:145]
	v_add_f64_e32 v[180:181], v[180:181], v[182:183]
	ds_load_b128 v[4:7], v2 offset:1376
	ds_load_b128 v[144:147], v2 offset:1392
	scratch_load_b128 v[148:151], off, off offset:656
	v_fmac_f64_e32 v[184:185], v[138:139], v[152:153]
	v_fma_f64 v[152:153], v[136:137], v[152:153], -v[154:155]
	scratch_load_b128 v[136:139], off, off offset:672
	s_wait_loadcnt_dscnt 0xc01
	v_mul_f64_e32 v[182:183], v[4:5], v[162:163]
	v_mul_f64_e32 v[162:163], v[6:7], v[162:163]
	;; [unrolled: 18-line block ×5, first 2 shown]
	v_add_f64_e32 v[174:175], v[190:191], v[188:189]
	v_add_f64_e32 v[180:181], v[180:181], v[186:187]
	s_wait_loadcnt_dscnt 0xa00
	v_mul_f64_e32 v[186:187], v[152:153], v[14:15]
	v_mul_f64_e32 v[14:15], v[154:155], v[14:15]
	v_fmac_f64_e32 v[182:183], v[6:7], v[156:157]
	v_fma_f64 v[188:189], v[4:5], v[156:157], -v[158:159]
	ds_load_b128 v[4:7], v2 offset:1504
	ds_load_b128 v[156:159], v2 offset:1520
	v_add_f64_e32 v[190:191], v[174:175], v[172:173]
	v_add_f64_e32 v[180:181], v[180:181], v[184:185]
	scratch_load_b128 v[172:175], off, off offset:784
	v_fmac_f64_e32 v[186:187], v[154:155], v[12:13]
	v_fma_f64 v[152:153], v[152:153], v[12:13], -v[14:15]
	scratch_load_b128 v[12:15], off, off offset:800
	s_wait_loadcnt_dscnt 0xb01
	v_mul_f64_e32 v[184:185], v[4:5], v[142:143]
	v_mul_f64_e32 v[142:143], v[6:7], v[142:143]
	v_add_f64_e32 v[154:155], v[190:191], v[188:189]
	v_add_f64_e32 v[180:181], v[180:181], v[182:183]
	s_wait_loadcnt_dscnt 0xa00
	v_mul_f64_e32 v[182:183], v[156:157], v[134:135]
	v_mul_f64_e32 v[134:135], v[158:159], v[134:135]
	v_fmac_f64_e32 v[184:185], v[6:7], v[140:141]
	v_fma_f64 v[188:189], v[4:5], v[140:141], -v[142:143]
	ds_load_b128 v[4:7], v2 offset:1536
	ds_load_b128 v[140:143], v2 offset:1552
	v_add_f64_e32 v[190:191], v[154:155], v[152:153]
	v_add_f64_e32 v[180:181], v[180:181], v[186:187]
	scratch_load_b128 v[152:155], off, off offset:816
	s_wait_loadcnt_dscnt 0xa01
	v_mul_f64_e32 v[186:187], v[4:5], v[150:151]
	v_mul_f64_e32 v[150:151], v[6:7], v[150:151]
	v_fmac_f64_e32 v[182:183], v[158:159], v[132:133]
	v_fma_f64 v[156:157], v[156:157], v[132:133], -v[134:135]
	scratch_load_b128 v[132:135], off, off offset:832
	v_add_f64_e32 v[158:159], v[190:191], v[188:189]
	v_add_f64_e32 v[180:181], v[180:181], v[184:185]
	s_wait_loadcnt_dscnt 0xa00
	v_mul_f64_e32 v[184:185], v[140:141], v[138:139]
	v_mul_f64_e32 v[138:139], v[142:143], v[138:139]
	v_fmac_f64_e32 v[186:187], v[6:7], v[148:149]
	v_fma_f64 v[188:189], v[4:5], v[148:149], -v[150:151]
	ds_load_b128 v[4:7], v2 offset:1568
	ds_load_b128 v[148:151], v2 offset:1584
	v_add_f64_e32 v[190:191], v[158:159], v[156:157]
	v_add_f64_e32 v[180:181], v[180:181], v[182:183]
	scratch_load_b128 v[156:159], off, off offset:848
	s_wait_loadcnt_dscnt 0xa01
	v_mul_f64_e32 v[182:183], v[4:5], v[162:163]
	v_mul_f64_e32 v[162:163], v[6:7], v[162:163]
	v_fmac_f64_e32 v[184:185], v[142:143], v[136:137]
	v_fma_f64 v[140:141], v[140:141], v[136:137], -v[138:139]
	scratch_load_b128 v[136:139], off, off offset:864
	v_add_f64_e32 v[142:143], v[190:191], v[188:189]
	v_add_f64_e32 v[180:181], v[180:181], v[186:187]
	s_wait_loadcnt_dscnt 0xa00
	v_mul_f64_e32 v[186:187], v[148:149], v[146:147]
	v_mul_f64_e32 v[146:147], v[150:151], v[146:147]
	v_fmac_f64_e32 v[182:183], v[6:7], v[160:161]
	v_fma_f64 v[160:161], v[4:5], v[160:161], -v[162:163]
	v_add_f64_e32 v[162:163], v[142:143], v[140:141]
	v_add_f64_e32 v[180:181], v[180:181], v[184:185]
	ds_load_b128 v[4:7], v2 offset:1600
	ds_load_b128 v[140:143], v2 offset:1616
	v_fmac_f64_e32 v[186:187], v[150:151], v[144:145]
	v_fma_f64 v[144:145], v[148:149], v[144:145], -v[146:147]
	s_wait_loadcnt_dscnt 0x901
	v_mul_f64_e32 v[184:185], v[4:5], v[178:179]
	v_mul_f64_e32 v[178:179], v[6:7], v[178:179]
	s_wait_loadcnt_dscnt 0x800
	v_mul_f64_e32 v[150:151], v[140:141], v[10:11]
	v_mul_f64_e32 v[10:11], v[142:143], v[10:11]
	v_add_f64_e32 v[146:147], v[162:163], v[160:161]
	v_add_f64_e32 v[148:149], v[180:181], v[182:183]
	v_fmac_f64_e32 v[184:185], v[6:7], v[176:177]
	v_fma_f64 v[160:161], v[4:5], v[176:177], -v[178:179]
	v_fmac_f64_e32 v[150:151], v[142:143], v[8:9]
	v_fma_f64 v[8:9], v[140:141], v[8:9], -v[10:11]
	v_add_f64_e32 v[162:163], v[146:147], v[144:145]
	v_add_f64_e32 v[148:149], v[148:149], v[186:187]
	ds_load_b128 v[4:7], v2 offset:1632
	ds_load_b128 v[144:147], v2 offset:1648
	s_wait_loadcnt_dscnt 0x701
	v_mul_f64_e32 v[176:177], v[4:5], v[166:167]
	v_mul_f64_e32 v[166:167], v[6:7], v[166:167]
	s_wait_loadcnt_dscnt 0x600
	v_mul_f64_e32 v[142:143], v[144:145], v[130:131]
	v_mul_f64_e32 v[130:131], v[146:147], v[130:131]
	v_add_f64_e32 v[10:11], v[162:163], v[160:161]
	v_add_f64_e32 v[140:141], v[148:149], v[184:185]
	v_fmac_f64_e32 v[176:177], v[6:7], v[164:165]
	v_fma_f64 v[148:149], v[4:5], v[164:165], -v[166:167]
	v_fmac_f64_e32 v[142:143], v[146:147], v[128:129]
	v_fma_f64 v[128:129], v[144:145], v[128:129], -v[130:131]
	v_add_f64_e32 v[160:161], v[10:11], v[8:9]
	v_add_f64_e32 v[140:141], v[140:141], v[150:151]
	ds_load_b128 v[4:7], v2 offset:1664
	ds_load_b128 v[8:11], v2 offset:1680
	s_wait_loadcnt_dscnt 0x501
	v_mul_f64_e32 v[150:151], v[4:5], v[174:175]
	v_mul_f64_e32 v[162:163], v[6:7], v[174:175]
	s_wait_loadcnt_dscnt 0x400
	v_mul_f64_e32 v[144:145], v[8:9], v[14:15]
	v_mul_f64_e32 v[14:15], v[10:11], v[14:15]
	v_add_f64_e32 v[130:131], v[160:161], v[148:149]
	v_add_f64_e32 v[140:141], v[140:141], v[176:177]
	v_fmac_f64_e32 v[150:151], v[6:7], v[172:173]
	v_fma_f64 v[146:147], v[4:5], v[172:173], -v[162:163]
	v_fmac_f64_e32 v[144:145], v[10:11], v[12:13]
	v_fma_f64 v[8:9], v[8:9], v[12:13], -v[14:15]
	v_add_f64_e32 v[148:149], v[130:131], v[128:129]
	v_add_f64_e32 v[140:141], v[140:141], v[142:143]
	ds_load_b128 v[4:7], v2 offset:1696
	ds_load_b128 v[128:131], v2 offset:1712
	s_wait_loadcnt_dscnt 0x301
	v_mul_f64_e32 v[142:143], v[4:5], v[154:155]
	v_mul_f64_e32 v[154:155], v[6:7], v[154:155]
	s_wait_loadcnt_dscnt 0x200
	v_mul_f64_e32 v[14:15], v[128:129], v[134:135]
	v_mul_f64_e32 v[134:135], v[130:131], v[134:135]
	v_add_f64_e32 v[10:11], v[148:149], v[146:147]
	v_add_f64_e32 v[12:13], v[140:141], v[150:151]
	v_fmac_f64_e32 v[142:143], v[6:7], v[152:153]
	v_fma_f64 v[140:141], v[4:5], v[152:153], -v[154:155]
	v_fmac_f64_e32 v[14:15], v[130:131], v[132:133]
	v_fma_f64 v[128:129], v[128:129], v[132:133], -v[134:135]
	v_add_f64_e32 v[146:147], v[10:11], v[8:9]
	v_add_f64_e32 v[12:13], v[12:13], v[144:145]
	ds_load_b128 v[4:7], v2 offset:1728
	ds_load_b128 v[8:11], v2 offset:1744
	s_wait_loadcnt_dscnt 0x101
	v_mul_f64_e32 v[2:3], v[4:5], v[158:159]
	v_mul_f64_e32 v[144:145], v[6:7], v[158:159]
	s_wait_loadcnt_dscnt 0x0
	v_mul_f64_e32 v[132:133], v[8:9], v[138:139]
	v_mul_f64_e32 v[134:135], v[10:11], v[138:139]
	v_add_f64_e32 v[130:131], v[146:147], v[140:141]
	v_add_f64_e32 v[12:13], v[12:13], v[142:143]
	v_fmac_f64_e32 v[2:3], v[6:7], v[156:157]
	v_fma_f64 v[4:5], v[4:5], v[156:157], -v[144:145]
	v_fmac_f64_e32 v[132:133], v[10:11], v[136:137]
	v_fma_f64 v[8:9], v[8:9], v[136:137], -v[134:135]
	v_add_f64_e32 v[6:7], v[130:131], v[128:129]
	v_add_f64_e32 v[12:13], v[12:13], v[14:15]
	s_delay_alu instid0(VALU_DEP_2) | instskip(NEXT) | instid1(VALU_DEP_2)
	v_add_f64_e32 v[4:5], v[6:7], v[4:5]
	v_add_f64_e32 v[2:3], v[12:13], v[2:3]
	s_delay_alu instid0(VALU_DEP_2) | instskip(NEXT) | instid1(VALU_DEP_2)
	;; [unrolled: 3-line block ×3, first 2 shown]
	v_add_f64_e64 v[2:3], v[168:169], -v[4:5]
	v_add_f64_e64 v[4:5], v[170:171], -v[6:7]
	scratch_store_b128 off, v[2:5], off offset:320
	s_wait_xcnt 0x0
	v_cmpx_lt_u32_e32 19, v1
	s_cbranch_execz .LBB54_305
; %bb.304:
	scratch_load_b128 v[2:5], off, s36
	v_mov_b32_e32 v6, 0
	s_delay_alu instid0(VALU_DEP_1)
	v_dual_mov_b32 v7, v6 :: v_dual_mov_b32 v8, v6
	v_mov_b32_e32 v9, v6
	scratch_store_b128 off, v[6:9], off offset:304
	s_wait_loadcnt 0x0
	ds_store_b128 v126, v[2:5]
.LBB54_305:
	s_wait_xcnt 0x0
	s_or_b32 exec_lo, exec_lo, s2
	s_wait_storecnt_dscnt 0x0
	s_barrier_signal -1
	s_barrier_wait -1
	s_clause 0x9
	scratch_load_b128 v[4:7], off, off offset:320
	scratch_load_b128 v[8:11], off, off offset:336
	scratch_load_b128 v[12:15], off, off offset:352
	scratch_load_b128 v[128:131], off, off offset:368
	scratch_load_b128 v[132:135], off, off offset:384
	scratch_load_b128 v[136:139], off, off offset:400
	scratch_load_b128 v[140:143], off, off offset:416
	scratch_load_b128 v[144:147], off, off offset:432
	scratch_load_b128 v[148:151], off, off offset:448
	scratch_load_b128 v[152:155], off, off offset:464
	v_mov_b32_e32 v2, 0
	s_mov_b32 s2, exec_lo
	ds_load_b128 v[156:159], v2 offset:1200
	s_clause 0x2
	scratch_load_b128 v[160:163], off, off offset:480
	scratch_load_b128 v[164:167], off, off offset:304
	;; [unrolled: 1-line block ×3, first 2 shown]
	s_wait_loadcnt_dscnt 0xc00
	v_mul_f64_e32 v[176:177], v[158:159], v[6:7]
	v_mul_f64_e32 v[180:181], v[156:157], v[6:7]
	ds_load_b128 v[168:171], v2 offset:1216
	v_fma_f64 v[184:185], v[156:157], v[4:5], -v[176:177]
	v_fmac_f64_e32 v[180:181], v[158:159], v[4:5]
	ds_load_b128 v[4:7], v2 offset:1232
	s_wait_loadcnt_dscnt 0xb01
	v_mul_f64_e32 v[182:183], v[168:169], v[10:11]
	v_mul_f64_e32 v[10:11], v[170:171], v[10:11]
	scratch_load_b128 v[156:159], off, off offset:512
	ds_load_b128 v[176:179], v2 offset:1248
	s_wait_loadcnt_dscnt 0xb01
	v_mul_f64_e32 v[186:187], v[4:5], v[14:15]
	v_mul_f64_e32 v[14:15], v[6:7], v[14:15]
	v_add_f64_e32 v[180:181], 0, v[180:181]
	v_fmac_f64_e32 v[182:183], v[170:171], v[8:9]
	v_fma_f64 v[168:169], v[168:169], v[8:9], -v[10:11]
	v_add_f64_e32 v[170:171], 0, v[184:185]
	scratch_load_b128 v[8:11], off, off offset:528
	v_fmac_f64_e32 v[186:187], v[6:7], v[12:13]
	v_fma_f64 v[188:189], v[4:5], v[12:13], -v[14:15]
	ds_load_b128 v[4:7], v2 offset:1264
	s_wait_loadcnt_dscnt 0xb01
	v_mul_f64_e32 v[184:185], v[176:177], v[130:131]
	v_mul_f64_e32 v[130:131], v[178:179], v[130:131]
	scratch_load_b128 v[12:15], off, off offset:544
	v_add_f64_e32 v[180:181], v[180:181], v[182:183]
	v_add_f64_e32 v[190:191], v[170:171], v[168:169]
	ds_load_b128 v[168:171], v2 offset:1280
	s_wait_loadcnt_dscnt 0xb01
	v_mul_f64_e32 v[182:183], v[4:5], v[134:135]
	v_mul_f64_e32 v[134:135], v[6:7], v[134:135]
	v_fmac_f64_e32 v[184:185], v[178:179], v[128:129]
	v_fma_f64 v[176:177], v[176:177], v[128:129], -v[130:131]
	scratch_load_b128 v[128:131], off, off offset:560
	v_add_f64_e32 v[180:181], v[180:181], v[186:187]
	v_add_f64_e32 v[178:179], v[190:191], v[188:189]
	v_fmac_f64_e32 v[182:183], v[6:7], v[132:133]
	v_fma_f64 v[188:189], v[4:5], v[132:133], -v[134:135]
	ds_load_b128 v[4:7], v2 offset:1296
	s_wait_loadcnt_dscnt 0xb01
	v_mul_f64_e32 v[186:187], v[168:169], v[138:139]
	v_mul_f64_e32 v[138:139], v[170:171], v[138:139]
	scratch_load_b128 v[132:135], off, off offset:576
	v_add_f64_e32 v[180:181], v[180:181], v[184:185]
	s_wait_loadcnt_dscnt 0xb00
	v_mul_f64_e32 v[184:185], v[4:5], v[142:143]
	v_add_f64_e32 v[190:191], v[178:179], v[176:177]
	v_mul_f64_e32 v[142:143], v[6:7], v[142:143]
	ds_load_b128 v[176:179], v2 offset:1312
	v_fmac_f64_e32 v[186:187], v[170:171], v[136:137]
	v_fma_f64 v[168:169], v[168:169], v[136:137], -v[138:139]
	scratch_load_b128 v[136:139], off, off offset:592
	v_add_f64_e32 v[180:181], v[180:181], v[182:183]
	v_fmac_f64_e32 v[184:185], v[6:7], v[140:141]
	v_add_f64_e32 v[170:171], v[190:191], v[188:189]
	v_fma_f64 v[188:189], v[4:5], v[140:141], -v[142:143]
	ds_load_b128 v[4:7], v2 offset:1328
	s_wait_loadcnt_dscnt 0xb01
	v_mul_f64_e32 v[182:183], v[176:177], v[146:147]
	v_mul_f64_e32 v[146:147], v[178:179], v[146:147]
	scratch_load_b128 v[140:143], off, off offset:608
	v_add_f64_e32 v[180:181], v[180:181], v[186:187]
	s_wait_loadcnt_dscnt 0xb00
	v_mul_f64_e32 v[186:187], v[4:5], v[150:151]
	v_add_f64_e32 v[190:191], v[170:171], v[168:169]
	v_mul_f64_e32 v[150:151], v[6:7], v[150:151]
	ds_load_b128 v[168:171], v2 offset:1344
	v_fmac_f64_e32 v[182:183], v[178:179], v[144:145]
	v_fma_f64 v[176:177], v[176:177], v[144:145], -v[146:147]
	scratch_load_b128 v[144:147], off, off offset:624
	v_add_f64_e32 v[180:181], v[180:181], v[184:185]
	v_fmac_f64_e32 v[186:187], v[6:7], v[148:149]
	v_add_f64_e32 v[178:179], v[190:191], v[188:189]
	v_fma_f64 v[188:189], v[4:5], v[148:149], -v[150:151]
	ds_load_b128 v[4:7], v2 offset:1360
	s_wait_loadcnt_dscnt 0xb01
	v_mul_f64_e32 v[184:185], v[168:169], v[154:155]
	v_mul_f64_e32 v[154:155], v[170:171], v[154:155]
	scratch_load_b128 v[148:151], off, off offset:640
	v_add_f64_e32 v[180:181], v[180:181], v[182:183]
	s_wait_loadcnt_dscnt 0xb00
	v_mul_f64_e32 v[182:183], v[4:5], v[162:163]
	v_add_f64_e32 v[190:191], v[178:179], v[176:177]
	v_mul_f64_e32 v[162:163], v[6:7], v[162:163]
	ds_load_b128 v[176:179], v2 offset:1376
	v_fmac_f64_e32 v[184:185], v[170:171], v[152:153]
	v_fma_f64 v[168:169], v[168:169], v[152:153], -v[154:155]
	scratch_load_b128 v[152:155], off, off offset:656
	v_add_f64_e32 v[180:181], v[180:181], v[186:187]
	v_fmac_f64_e32 v[182:183], v[6:7], v[160:161]
	v_add_f64_e32 v[170:171], v[190:191], v[188:189]
	v_fma_f64 v[188:189], v[4:5], v[160:161], -v[162:163]
	ds_load_b128 v[4:7], v2 offset:1392
	s_wait_loadcnt_dscnt 0xa01
	v_mul_f64_e32 v[186:187], v[176:177], v[174:175]
	v_mul_f64_e32 v[174:175], v[178:179], v[174:175]
	scratch_load_b128 v[160:163], off, off offset:672
	v_add_f64_e32 v[180:181], v[180:181], v[184:185]
	v_add_f64_e32 v[190:191], v[170:171], v[168:169]
	s_wait_loadcnt_dscnt 0xa00
	v_mul_f64_e32 v[184:185], v[4:5], v[158:159]
	v_mul_f64_e32 v[158:159], v[6:7], v[158:159]
	v_fmac_f64_e32 v[186:187], v[178:179], v[172:173]
	v_fma_f64 v[176:177], v[176:177], v[172:173], -v[174:175]
	ds_load_b128 v[168:171], v2 offset:1408
	scratch_load_b128 v[172:175], off, off offset:688
	v_add_f64_e32 v[180:181], v[180:181], v[182:183]
	v_add_f64_e32 v[178:179], v[190:191], v[188:189]
	v_fmac_f64_e32 v[184:185], v[6:7], v[156:157]
	v_fma_f64 v[188:189], v[4:5], v[156:157], -v[158:159]
	ds_load_b128 v[4:7], v2 offset:1424
	s_wait_loadcnt_dscnt 0xa01
	v_mul_f64_e32 v[182:183], v[168:169], v[10:11]
	v_mul_f64_e32 v[10:11], v[170:171], v[10:11]
	scratch_load_b128 v[156:159], off, off offset:704
	v_add_f64_e32 v[180:181], v[180:181], v[186:187]
	s_wait_loadcnt_dscnt 0xa00
	v_mul_f64_e32 v[186:187], v[4:5], v[14:15]
	v_add_f64_e32 v[190:191], v[178:179], v[176:177]
	v_mul_f64_e32 v[14:15], v[6:7], v[14:15]
	ds_load_b128 v[176:179], v2 offset:1440
	v_fmac_f64_e32 v[182:183], v[170:171], v[8:9]
	v_fma_f64 v[168:169], v[168:169], v[8:9], -v[10:11]
	scratch_load_b128 v[8:11], off, off offset:720
	v_add_f64_e32 v[180:181], v[180:181], v[184:185]
	v_fmac_f64_e32 v[186:187], v[6:7], v[12:13]
	v_add_f64_e32 v[170:171], v[190:191], v[188:189]
	v_fma_f64 v[188:189], v[4:5], v[12:13], -v[14:15]
	ds_load_b128 v[4:7], v2 offset:1456
	s_wait_loadcnt_dscnt 0xa01
	v_mul_f64_e32 v[184:185], v[176:177], v[130:131]
	v_mul_f64_e32 v[130:131], v[178:179], v[130:131]
	scratch_load_b128 v[12:15], off, off offset:736
	v_add_f64_e32 v[180:181], v[180:181], v[182:183]
	s_wait_loadcnt_dscnt 0xa00
	v_mul_f64_e32 v[182:183], v[4:5], v[134:135]
	v_add_f64_e32 v[190:191], v[170:171], v[168:169]
	v_mul_f64_e32 v[134:135], v[6:7], v[134:135]
	ds_load_b128 v[168:171], v2 offset:1472
	v_fmac_f64_e32 v[184:185], v[178:179], v[128:129]
	v_fma_f64 v[176:177], v[176:177], v[128:129], -v[130:131]
	scratch_load_b128 v[128:131], off, off offset:752
	v_add_f64_e32 v[180:181], v[180:181], v[186:187]
	v_fmac_f64_e32 v[182:183], v[6:7], v[132:133]
	v_add_f64_e32 v[178:179], v[190:191], v[188:189]
	;; [unrolled: 18-line block ×5, first 2 shown]
	v_fma_f64 v[188:189], v[4:5], v[160:161], -v[162:163]
	ds_load_b128 v[4:7], v2 offset:1584
	s_wait_loadcnt_dscnt 0xa01
	v_mul_f64_e32 v[186:187], v[176:177], v[174:175]
	v_mul_f64_e32 v[174:175], v[178:179], v[174:175]
	scratch_load_b128 v[160:163], off, off offset:864
	v_add_f64_e32 v[180:181], v[180:181], v[184:185]
	s_wait_loadcnt_dscnt 0xa00
	v_mul_f64_e32 v[184:185], v[4:5], v[158:159]
	v_add_f64_e32 v[190:191], v[170:171], v[168:169]
	v_mul_f64_e32 v[158:159], v[6:7], v[158:159]
	ds_load_b128 v[168:171], v2 offset:1600
	v_fmac_f64_e32 v[186:187], v[178:179], v[172:173]
	v_fma_f64 v[172:173], v[176:177], v[172:173], -v[174:175]
	s_wait_loadcnt_dscnt 0x900
	v_mul_f64_e32 v[178:179], v[168:169], v[10:11]
	v_mul_f64_e32 v[10:11], v[170:171], v[10:11]
	v_add_f64_e32 v[176:177], v[180:181], v[182:183]
	v_fmac_f64_e32 v[184:185], v[6:7], v[156:157]
	v_add_f64_e32 v[174:175], v[190:191], v[188:189]
	v_fma_f64 v[180:181], v[4:5], v[156:157], -v[158:159]
	ds_load_b128 v[4:7], v2 offset:1616
	ds_load_b128 v[156:159], v2 offset:1632
	v_fmac_f64_e32 v[178:179], v[170:171], v[8:9]
	v_fma_f64 v[8:9], v[168:169], v[8:9], -v[10:11]
	v_add_f64_e32 v[172:173], v[174:175], v[172:173]
	v_add_f64_e32 v[174:175], v[176:177], v[186:187]
	s_wait_loadcnt_dscnt 0x801
	v_mul_f64_e32 v[176:177], v[4:5], v[14:15]
	v_mul_f64_e32 v[14:15], v[6:7], v[14:15]
	s_wait_loadcnt_dscnt 0x700
	v_mul_f64_e32 v[170:171], v[156:157], v[130:131]
	v_mul_f64_e32 v[130:131], v[158:159], v[130:131]
	v_add_f64_e32 v[10:11], v[172:173], v[180:181]
	v_add_f64_e32 v[168:169], v[174:175], v[184:185]
	v_fmac_f64_e32 v[176:177], v[6:7], v[12:13]
	v_fma_f64 v[12:13], v[4:5], v[12:13], -v[14:15]
	v_fmac_f64_e32 v[170:171], v[158:159], v[128:129]
	v_fma_f64 v[128:129], v[156:157], v[128:129], -v[130:131]
	v_add_f64_e32 v[14:15], v[10:11], v[8:9]
	v_add_f64_e32 v[168:169], v[168:169], v[178:179]
	ds_load_b128 v[4:7], v2 offset:1648
	ds_load_b128 v[8:11], v2 offset:1664
	s_wait_loadcnt_dscnt 0x601
	v_mul_f64_e32 v[172:173], v[4:5], v[134:135]
	v_mul_f64_e32 v[134:135], v[6:7], v[134:135]
	s_wait_loadcnt_dscnt 0x500
	v_mul_f64_e32 v[130:131], v[8:9], v[138:139]
	v_mul_f64_e32 v[138:139], v[10:11], v[138:139]
	v_add_f64_e32 v[12:13], v[14:15], v[12:13]
	v_add_f64_e32 v[14:15], v[168:169], v[176:177]
	v_fmac_f64_e32 v[172:173], v[6:7], v[132:133]
	v_fma_f64 v[132:133], v[4:5], v[132:133], -v[134:135]
	v_fmac_f64_e32 v[130:131], v[10:11], v[136:137]
	v_fma_f64 v[8:9], v[8:9], v[136:137], -v[138:139]
	v_add_f64_e32 v[128:129], v[12:13], v[128:129]
	v_add_f64_e32 v[134:135], v[14:15], v[170:171]
	ds_load_b128 v[4:7], v2 offset:1680
	ds_load_b128 v[12:15], v2 offset:1696
	s_wait_loadcnt_dscnt 0x401
	v_mul_f64_e32 v[156:157], v[4:5], v[142:143]
	v_mul_f64_e32 v[142:143], v[6:7], v[142:143]
	v_add_f64_e32 v[10:11], v[128:129], v[132:133]
	v_add_f64_e32 v[128:129], v[134:135], v[172:173]
	s_wait_loadcnt_dscnt 0x300
	v_mul_f64_e32 v[132:133], v[12:13], v[146:147]
	v_mul_f64_e32 v[134:135], v[14:15], v[146:147]
	v_fmac_f64_e32 v[156:157], v[6:7], v[140:141]
	v_fma_f64 v[136:137], v[4:5], v[140:141], -v[142:143]
	v_add_f64_e32 v[138:139], v[10:11], v[8:9]
	v_add_f64_e32 v[128:129], v[128:129], v[130:131]
	ds_load_b128 v[4:7], v2 offset:1712
	ds_load_b128 v[8:11], v2 offset:1728
	v_fmac_f64_e32 v[132:133], v[14:15], v[144:145]
	v_fma_f64 v[12:13], v[12:13], v[144:145], -v[134:135]
	s_wait_loadcnt_dscnt 0x201
	v_mul_f64_e32 v[130:131], v[4:5], v[150:151]
	v_mul_f64_e32 v[140:141], v[6:7], v[150:151]
	s_wait_loadcnt_dscnt 0x100
	v_mul_f64_e32 v[134:135], v[8:9], v[154:155]
	v_add_f64_e32 v[14:15], v[138:139], v[136:137]
	v_add_f64_e32 v[128:129], v[128:129], v[156:157]
	v_mul_f64_e32 v[136:137], v[10:11], v[154:155]
	v_fmac_f64_e32 v[130:131], v[6:7], v[148:149]
	v_fma_f64 v[138:139], v[4:5], v[148:149], -v[140:141]
	ds_load_b128 v[4:7], v2 offset:1744
	v_fmac_f64_e32 v[134:135], v[10:11], v[152:153]
	v_add_f64_e32 v[12:13], v[14:15], v[12:13]
	v_add_f64_e32 v[14:15], v[128:129], v[132:133]
	v_fma_f64 v[8:9], v[8:9], v[152:153], -v[136:137]
	s_wait_loadcnt_dscnt 0x0
	v_mul_f64_e32 v[128:129], v[4:5], v[162:163]
	v_mul_f64_e32 v[132:133], v[6:7], v[162:163]
	v_add_f64_e32 v[10:11], v[12:13], v[138:139]
	v_add_f64_e32 v[12:13], v[14:15], v[130:131]
	s_delay_alu instid0(VALU_DEP_4) | instskip(NEXT) | instid1(VALU_DEP_4)
	v_fmac_f64_e32 v[128:129], v[6:7], v[160:161]
	v_fma_f64 v[4:5], v[4:5], v[160:161], -v[132:133]
	s_delay_alu instid0(VALU_DEP_4) | instskip(NEXT) | instid1(VALU_DEP_4)
	v_add_f64_e32 v[6:7], v[10:11], v[8:9]
	v_add_f64_e32 v[8:9], v[12:13], v[134:135]
	s_delay_alu instid0(VALU_DEP_2) | instskip(NEXT) | instid1(VALU_DEP_2)
	v_add_f64_e32 v[4:5], v[6:7], v[4:5]
	v_add_f64_e32 v[6:7], v[8:9], v[128:129]
	s_delay_alu instid0(VALU_DEP_2) | instskip(NEXT) | instid1(VALU_DEP_2)
	v_add_f64_e64 v[4:5], v[164:165], -v[4:5]
	v_add_f64_e64 v[6:7], v[166:167], -v[6:7]
	scratch_store_b128 off, v[4:7], off offset:304
	s_wait_xcnt 0x0
	v_cmpx_lt_u32_e32 18, v1
	s_cbranch_execz .LBB54_307
; %bb.306:
	scratch_load_b128 v[6:9], off, s65
	v_dual_mov_b32 v3, v2 :: v_dual_mov_b32 v4, v2
	v_mov_b32_e32 v5, v2
	scratch_store_b128 off, v[2:5], off offset:288
	s_wait_loadcnt 0x0
	ds_store_b128 v126, v[6:9]
.LBB54_307:
	s_wait_xcnt 0x0
	s_or_b32 exec_lo, exec_lo, s2
	s_wait_storecnt_dscnt 0x0
	s_barrier_signal -1
	s_barrier_wait -1
	s_clause 0x9
	scratch_load_b128 v[4:7], off, off offset:304
	scratch_load_b128 v[8:11], off, off offset:320
	;; [unrolled: 1-line block ×10, first 2 shown]
	ds_load_b128 v[156:159], v2 offset:1184
	ds_load_b128 v[164:167], v2 offset:1200
	s_clause 0x2
	scratch_load_b128 v[160:163], off, off offset:464
	scratch_load_b128 v[168:171], off, off offset:288
	;; [unrolled: 1-line block ×3, first 2 shown]
	s_mov_b32 s2, exec_lo
	s_wait_loadcnt_dscnt 0xc01
	v_mul_f64_e32 v[176:177], v[158:159], v[6:7]
	v_mul_f64_e32 v[180:181], v[156:157], v[6:7]
	s_wait_loadcnt_dscnt 0xb00
	v_mul_f64_e32 v[182:183], v[164:165], v[10:11]
	v_mul_f64_e32 v[10:11], v[166:167], v[10:11]
	s_delay_alu instid0(VALU_DEP_4) | instskip(NEXT) | instid1(VALU_DEP_4)
	v_fma_f64 v[184:185], v[156:157], v[4:5], -v[176:177]
	v_fmac_f64_e32 v[180:181], v[158:159], v[4:5]
	ds_load_b128 v[4:7], v2 offset:1216
	ds_load_b128 v[156:159], v2 offset:1232
	scratch_load_b128 v[176:179], off, off offset:496
	v_fmac_f64_e32 v[182:183], v[166:167], v[8:9]
	v_fma_f64 v[164:165], v[164:165], v[8:9], -v[10:11]
	scratch_load_b128 v[8:11], off, off offset:512
	s_wait_loadcnt_dscnt 0xc01
	v_mul_f64_e32 v[186:187], v[4:5], v[14:15]
	v_mul_f64_e32 v[14:15], v[6:7], v[14:15]
	v_add_f64_e32 v[166:167], 0, v[184:185]
	v_add_f64_e32 v[180:181], 0, v[180:181]
	s_wait_loadcnt_dscnt 0xb00
	v_mul_f64_e32 v[184:185], v[156:157], v[130:131]
	v_mul_f64_e32 v[130:131], v[158:159], v[130:131]
	v_fmac_f64_e32 v[186:187], v[6:7], v[12:13]
	v_fma_f64 v[188:189], v[4:5], v[12:13], -v[14:15]
	ds_load_b128 v[4:7], v2 offset:1248
	ds_load_b128 v[12:15], v2 offset:1264
	v_add_f64_e32 v[190:191], v[166:167], v[164:165]
	v_add_f64_e32 v[180:181], v[180:181], v[182:183]
	scratch_load_b128 v[164:167], off, off offset:528
	v_fmac_f64_e32 v[184:185], v[158:159], v[128:129]
	v_fma_f64 v[156:157], v[156:157], v[128:129], -v[130:131]
	scratch_load_b128 v[128:131], off, off offset:544
	s_wait_loadcnt_dscnt 0xc01
	v_mul_f64_e32 v[182:183], v[4:5], v[134:135]
	v_mul_f64_e32 v[134:135], v[6:7], v[134:135]
	v_add_f64_e32 v[158:159], v[190:191], v[188:189]
	v_add_f64_e32 v[180:181], v[180:181], v[186:187]
	s_wait_loadcnt_dscnt 0xb00
	v_mul_f64_e32 v[186:187], v[12:13], v[138:139]
	v_mul_f64_e32 v[138:139], v[14:15], v[138:139]
	v_fmac_f64_e32 v[182:183], v[6:7], v[132:133]
	v_fma_f64 v[188:189], v[4:5], v[132:133], -v[134:135]
	ds_load_b128 v[4:7], v2 offset:1280
	ds_load_b128 v[132:135], v2 offset:1296
	v_add_f64_e32 v[190:191], v[158:159], v[156:157]
	v_add_f64_e32 v[180:181], v[180:181], v[184:185]
	scratch_load_b128 v[156:159], off, off offset:560
	s_wait_loadcnt_dscnt 0xb01
	v_mul_f64_e32 v[184:185], v[4:5], v[142:143]
	v_mul_f64_e32 v[142:143], v[6:7], v[142:143]
	v_fmac_f64_e32 v[186:187], v[14:15], v[136:137]
	v_fma_f64 v[136:137], v[12:13], v[136:137], -v[138:139]
	scratch_load_b128 v[12:15], off, off offset:576
	v_add_f64_e32 v[138:139], v[190:191], v[188:189]
	v_add_f64_e32 v[180:181], v[180:181], v[182:183]
	s_wait_loadcnt_dscnt 0xb00
	v_mul_f64_e32 v[182:183], v[132:133], v[146:147]
	v_mul_f64_e32 v[146:147], v[134:135], v[146:147]
	v_fmac_f64_e32 v[184:185], v[6:7], v[140:141]
	v_fma_f64 v[188:189], v[4:5], v[140:141], -v[142:143]
	v_add_f64_e32 v[190:191], v[138:139], v[136:137]
	v_add_f64_e32 v[180:181], v[180:181], v[186:187]
	ds_load_b128 v[4:7], v2 offset:1312
	ds_load_b128 v[136:139], v2 offset:1328
	scratch_load_b128 v[140:143], off, off offset:592
	v_fmac_f64_e32 v[182:183], v[134:135], v[144:145]
	v_fma_f64 v[144:145], v[132:133], v[144:145], -v[146:147]
	scratch_load_b128 v[132:135], off, off offset:608
	s_wait_loadcnt_dscnt 0xc01
	v_mul_f64_e32 v[186:187], v[4:5], v[150:151]
	v_mul_f64_e32 v[150:151], v[6:7], v[150:151]
	v_add_f64_e32 v[146:147], v[190:191], v[188:189]
	v_add_f64_e32 v[180:181], v[180:181], v[184:185]
	s_wait_loadcnt_dscnt 0xb00
	v_mul_f64_e32 v[184:185], v[136:137], v[154:155]
	v_mul_f64_e32 v[154:155], v[138:139], v[154:155]
	v_fmac_f64_e32 v[186:187], v[6:7], v[148:149]
	v_fma_f64 v[188:189], v[4:5], v[148:149], -v[150:151]
	v_add_f64_e32 v[190:191], v[146:147], v[144:145]
	v_add_f64_e32 v[180:181], v[180:181], v[182:183]
	ds_load_b128 v[4:7], v2 offset:1344
	ds_load_b128 v[144:147], v2 offset:1360
	scratch_load_b128 v[148:151], off, off offset:624
	v_fmac_f64_e32 v[184:185], v[138:139], v[152:153]
	v_fma_f64 v[152:153], v[136:137], v[152:153], -v[154:155]
	scratch_load_b128 v[136:139], off, off offset:640
	s_wait_loadcnt_dscnt 0xc01
	v_mul_f64_e32 v[182:183], v[4:5], v[162:163]
	v_mul_f64_e32 v[162:163], v[6:7], v[162:163]
	;; [unrolled: 18-line block ×5, first 2 shown]
	v_add_f64_e32 v[174:175], v[190:191], v[188:189]
	v_add_f64_e32 v[180:181], v[180:181], v[186:187]
	s_wait_loadcnt_dscnt 0xa00
	v_mul_f64_e32 v[186:187], v[152:153], v[14:15]
	v_mul_f64_e32 v[14:15], v[154:155], v[14:15]
	v_fmac_f64_e32 v[182:183], v[6:7], v[156:157]
	v_fma_f64 v[188:189], v[4:5], v[156:157], -v[158:159]
	ds_load_b128 v[4:7], v2 offset:1472
	ds_load_b128 v[156:159], v2 offset:1488
	v_add_f64_e32 v[190:191], v[174:175], v[172:173]
	v_add_f64_e32 v[180:181], v[180:181], v[184:185]
	scratch_load_b128 v[172:175], off, off offset:752
	v_fmac_f64_e32 v[186:187], v[154:155], v[12:13]
	v_fma_f64 v[152:153], v[152:153], v[12:13], -v[14:15]
	scratch_load_b128 v[12:15], off, off offset:768
	s_wait_loadcnt_dscnt 0xb01
	v_mul_f64_e32 v[184:185], v[4:5], v[142:143]
	v_mul_f64_e32 v[142:143], v[6:7], v[142:143]
	v_add_f64_e32 v[154:155], v[190:191], v[188:189]
	v_add_f64_e32 v[180:181], v[180:181], v[182:183]
	s_wait_loadcnt_dscnt 0xa00
	v_mul_f64_e32 v[182:183], v[156:157], v[134:135]
	v_mul_f64_e32 v[134:135], v[158:159], v[134:135]
	v_fmac_f64_e32 v[184:185], v[6:7], v[140:141]
	v_fma_f64 v[188:189], v[4:5], v[140:141], -v[142:143]
	ds_load_b128 v[4:7], v2 offset:1504
	ds_load_b128 v[140:143], v2 offset:1520
	v_add_f64_e32 v[190:191], v[154:155], v[152:153]
	v_add_f64_e32 v[180:181], v[180:181], v[186:187]
	scratch_load_b128 v[152:155], off, off offset:784
	s_wait_loadcnt_dscnt 0xa01
	v_mul_f64_e32 v[186:187], v[4:5], v[150:151]
	v_mul_f64_e32 v[150:151], v[6:7], v[150:151]
	v_fmac_f64_e32 v[182:183], v[158:159], v[132:133]
	v_fma_f64 v[156:157], v[156:157], v[132:133], -v[134:135]
	scratch_load_b128 v[132:135], off, off offset:800
	v_add_f64_e32 v[158:159], v[190:191], v[188:189]
	v_add_f64_e32 v[180:181], v[180:181], v[184:185]
	s_wait_loadcnt_dscnt 0xa00
	v_mul_f64_e32 v[184:185], v[140:141], v[138:139]
	v_mul_f64_e32 v[138:139], v[142:143], v[138:139]
	v_fmac_f64_e32 v[186:187], v[6:7], v[148:149]
	v_fma_f64 v[188:189], v[4:5], v[148:149], -v[150:151]
	ds_load_b128 v[4:7], v2 offset:1536
	ds_load_b128 v[148:151], v2 offset:1552
	v_add_f64_e32 v[190:191], v[158:159], v[156:157]
	v_add_f64_e32 v[180:181], v[180:181], v[182:183]
	scratch_load_b128 v[156:159], off, off offset:816
	s_wait_loadcnt_dscnt 0xa01
	v_mul_f64_e32 v[182:183], v[4:5], v[162:163]
	v_mul_f64_e32 v[162:163], v[6:7], v[162:163]
	v_fmac_f64_e32 v[184:185], v[142:143], v[136:137]
	v_fma_f64 v[140:141], v[140:141], v[136:137], -v[138:139]
	scratch_load_b128 v[136:139], off, off offset:832
	v_add_f64_e32 v[142:143], v[190:191], v[188:189]
	v_add_f64_e32 v[180:181], v[180:181], v[186:187]
	s_wait_loadcnt_dscnt 0xa00
	v_mul_f64_e32 v[186:187], v[148:149], v[146:147]
	v_mul_f64_e32 v[146:147], v[150:151], v[146:147]
	v_fmac_f64_e32 v[182:183], v[6:7], v[160:161]
	v_fma_f64 v[188:189], v[4:5], v[160:161], -v[162:163]
	v_add_f64_e32 v[190:191], v[142:143], v[140:141]
	v_add_f64_e32 v[180:181], v[180:181], v[184:185]
	ds_load_b128 v[4:7], v2 offset:1568
	ds_load_b128 v[140:143], v2 offset:1584
	scratch_load_b128 v[160:163], off, off offset:848
	v_fmac_f64_e32 v[186:187], v[150:151], v[144:145]
	v_fma_f64 v[148:149], v[148:149], v[144:145], -v[146:147]
	scratch_load_b128 v[144:147], off, off offset:864
	s_wait_loadcnt_dscnt 0xb01
	v_mul_f64_e32 v[184:185], v[4:5], v[178:179]
	v_mul_f64_e32 v[178:179], v[6:7], v[178:179]
	v_add_f64_e32 v[150:151], v[190:191], v[188:189]
	v_add_f64_e32 v[180:181], v[180:181], v[182:183]
	s_wait_loadcnt_dscnt 0xa00
	v_mul_f64_e32 v[182:183], v[140:141], v[10:11]
	v_mul_f64_e32 v[10:11], v[142:143], v[10:11]
	v_fmac_f64_e32 v[184:185], v[6:7], v[176:177]
	v_fma_f64 v[176:177], v[4:5], v[176:177], -v[178:179]
	v_add_f64_e32 v[178:179], v[150:151], v[148:149]
	v_add_f64_e32 v[180:181], v[180:181], v[186:187]
	ds_load_b128 v[4:7], v2 offset:1600
	ds_load_b128 v[148:151], v2 offset:1616
	v_fmac_f64_e32 v[182:183], v[142:143], v[8:9]
	v_fma_f64 v[8:9], v[140:141], v[8:9], -v[10:11]
	s_wait_loadcnt_dscnt 0x901
	v_mul_f64_e32 v[186:187], v[4:5], v[166:167]
	v_mul_f64_e32 v[166:167], v[6:7], v[166:167]
	s_wait_loadcnt_dscnt 0x800
	v_mul_f64_e32 v[142:143], v[148:149], v[130:131]
	v_mul_f64_e32 v[130:131], v[150:151], v[130:131]
	v_add_f64_e32 v[10:11], v[178:179], v[176:177]
	v_add_f64_e32 v[140:141], v[180:181], v[184:185]
	v_fmac_f64_e32 v[186:187], v[6:7], v[164:165]
	v_fma_f64 v[164:165], v[4:5], v[164:165], -v[166:167]
	v_fmac_f64_e32 v[142:143], v[150:151], v[128:129]
	v_fma_f64 v[128:129], v[148:149], v[128:129], -v[130:131]
	v_add_f64_e32 v[166:167], v[10:11], v[8:9]
	v_add_f64_e32 v[140:141], v[140:141], v[182:183]
	ds_load_b128 v[4:7], v2 offset:1632
	ds_load_b128 v[8:11], v2 offset:1648
	s_wait_loadcnt_dscnt 0x701
	v_mul_f64_e32 v[176:177], v[4:5], v[174:175]
	v_mul_f64_e32 v[174:175], v[6:7], v[174:175]
	s_wait_loadcnt_dscnt 0x600
	v_mul_f64_e32 v[148:149], v[8:9], v[14:15]
	v_mul_f64_e32 v[14:15], v[10:11], v[14:15]
	v_add_f64_e32 v[130:131], v[166:167], v[164:165]
	v_add_f64_e32 v[140:141], v[140:141], v[186:187]
	v_fmac_f64_e32 v[176:177], v[6:7], v[172:173]
	v_fma_f64 v[150:151], v[4:5], v[172:173], -v[174:175]
	v_fmac_f64_e32 v[148:149], v[10:11], v[12:13]
	v_fma_f64 v[8:9], v[8:9], v[12:13], -v[14:15]
	v_add_f64_e32 v[164:165], v[130:131], v[128:129]
	v_add_f64_e32 v[140:141], v[140:141], v[142:143]
	ds_load_b128 v[4:7], v2 offset:1664
	ds_load_b128 v[128:131], v2 offset:1680
	;; [unrolled: 16-line block ×4, first 2 shown]
	s_wait_loadcnt_dscnt 0x101
	v_mul_f64_e32 v[2:3], v[4:5], v[162:163]
	v_mul_f64_e32 v[140:141], v[6:7], v[162:163]
	s_wait_loadcnt_dscnt 0x0
	v_mul_f64_e32 v[134:135], v[14:15], v[146:147]
	v_add_f64_e32 v[10:11], v[128:129], v[138:139]
	v_add_f64_e32 v[128:129], v[130:131], v[148:149]
	v_mul_f64_e32 v[130:131], v[12:13], v[146:147]
	v_fmac_f64_e32 v[2:3], v[6:7], v[160:161]
	v_fma_f64 v[4:5], v[4:5], v[160:161], -v[140:141]
	v_add_f64_e32 v[6:7], v[10:11], v[8:9]
	v_add_f64_e32 v[8:9], v[128:129], v[132:133]
	v_fmac_f64_e32 v[130:131], v[14:15], v[144:145]
	v_fma_f64 v[10:11], v[12:13], v[144:145], -v[134:135]
	s_delay_alu instid0(VALU_DEP_4) | instskip(NEXT) | instid1(VALU_DEP_4)
	v_add_f64_e32 v[4:5], v[6:7], v[4:5]
	v_add_f64_e32 v[2:3], v[8:9], v[2:3]
	s_delay_alu instid0(VALU_DEP_2) | instskip(NEXT) | instid1(VALU_DEP_2)
	v_add_f64_e32 v[4:5], v[4:5], v[10:11]
	v_add_f64_e32 v[6:7], v[2:3], v[130:131]
	s_delay_alu instid0(VALU_DEP_2) | instskip(NEXT) | instid1(VALU_DEP_2)
	v_add_f64_e64 v[2:3], v[168:169], -v[4:5]
	v_add_f64_e64 v[4:5], v[170:171], -v[6:7]
	scratch_store_b128 off, v[2:5], off offset:288
	s_wait_xcnt 0x0
	v_cmpx_lt_u32_e32 17, v1
	s_cbranch_execz .LBB54_309
; %bb.308:
	scratch_load_b128 v[2:5], off, s63
	v_mov_b32_e32 v6, 0
	s_delay_alu instid0(VALU_DEP_1)
	v_dual_mov_b32 v7, v6 :: v_dual_mov_b32 v8, v6
	v_mov_b32_e32 v9, v6
	scratch_store_b128 off, v[6:9], off offset:272
	s_wait_loadcnt 0x0
	ds_store_b128 v126, v[2:5]
.LBB54_309:
	s_wait_xcnt 0x0
	s_or_b32 exec_lo, exec_lo, s2
	s_wait_storecnt_dscnt 0x0
	s_barrier_signal -1
	s_barrier_wait -1
	s_clause 0x9
	scratch_load_b128 v[4:7], off, off offset:288
	scratch_load_b128 v[8:11], off, off offset:304
	scratch_load_b128 v[12:15], off, off offset:320
	scratch_load_b128 v[128:131], off, off offset:336
	scratch_load_b128 v[132:135], off, off offset:352
	scratch_load_b128 v[136:139], off, off offset:368
	scratch_load_b128 v[140:143], off, off offset:384
	scratch_load_b128 v[144:147], off, off offset:400
	scratch_load_b128 v[148:151], off, off offset:416
	scratch_load_b128 v[152:155], off, off offset:432
	v_mov_b32_e32 v2, 0
	s_mov_b32 s2, exec_lo
	ds_load_b128 v[156:159], v2 offset:1168
	s_clause 0x2
	scratch_load_b128 v[160:163], off, off offset:448
	scratch_load_b128 v[164:167], off, off offset:272
	;; [unrolled: 1-line block ×3, first 2 shown]
	s_wait_loadcnt_dscnt 0xc00
	v_mul_f64_e32 v[176:177], v[158:159], v[6:7]
	v_mul_f64_e32 v[180:181], v[156:157], v[6:7]
	ds_load_b128 v[168:171], v2 offset:1184
	v_fma_f64 v[184:185], v[156:157], v[4:5], -v[176:177]
	v_fmac_f64_e32 v[180:181], v[158:159], v[4:5]
	ds_load_b128 v[4:7], v2 offset:1200
	s_wait_loadcnt_dscnt 0xb01
	v_mul_f64_e32 v[182:183], v[168:169], v[10:11]
	v_mul_f64_e32 v[10:11], v[170:171], v[10:11]
	scratch_load_b128 v[156:159], off, off offset:480
	ds_load_b128 v[176:179], v2 offset:1216
	s_wait_loadcnt_dscnt 0xb01
	v_mul_f64_e32 v[186:187], v[4:5], v[14:15]
	v_mul_f64_e32 v[14:15], v[6:7], v[14:15]
	v_add_f64_e32 v[180:181], 0, v[180:181]
	v_fmac_f64_e32 v[182:183], v[170:171], v[8:9]
	v_fma_f64 v[168:169], v[168:169], v[8:9], -v[10:11]
	v_add_f64_e32 v[170:171], 0, v[184:185]
	scratch_load_b128 v[8:11], off, off offset:496
	v_fmac_f64_e32 v[186:187], v[6:7], v[12:13]
	v_fma_f64 v[188:189], v[4:5], v[12:13], -v[14:15]
	ds_load_b128 v[4:7], v2 offset:1232
	s_wait_loadcnt_dscnt 0xb01
	v_mul_f64_e32 v[184:185], v[176:177], v[130:131]
	v_mul_f64_e32 v[130:131], v[178:179], v[130:131]
	scratch_load_b128 v[12:15], off, off offset:512
	v_add_f64_e32 v[180:181], v[180:181], v[182:183]
	v_add_f64_e32 v[190:191], v[170:171], v[168:169]
	ds_load_b128 v[168:171], v2 offset:1248
	s_wait_loadcnt_dscnt 0xb01
	v_mul_f64_e32 v[182:183], v[4:5], v[134:135]
	v_mul_f64_e32 v[134:135], v[6:7], v[134:135]
	v_fmac_f64_e32 v[184:185], v[178:179], v[128:129]
	v_fma_f64 v[176:177], v[176:177], v[128:129], -v[130:131]
	scratch_load_b128 v[128:131], off, off offset:528
	v_add_f64_e32 v[180:181], v[180:181], v[186:187]
	v_add_f64_e32 v[178:179], v[190:191], v[188:189]
	v_fmac_f64_e32 v[182:183], v[6:7], v[132:133]
	v_fma_f64 v[188:189], v[4:5], v[132:133], -v[134:135]
	ds_load_b128 v[4:7], v2 offset:1264
	s_wait_loadcnt_dscnt 0xb01
	v_mul_f64_e32 v[186:187], v[168:169], v[138:139]
	v_mul_f64_e32 v[138:139], v[170:171], v[138:139]
	scratch_load_b128 v[132:135], off, off offset:544
	v_add_f64_e32 v[180:181], v[180:181], v[184:185]
	s_wait_loadcnt_dscnt 0xb00
	v_mul_f64_e32 v[184:185], v[4:5], v[142:143]
	v_add_f64_e32 v[190:191], v[178:179], v[176:177]
	v_mul_f64_e32 v[142:143], v[6:7], v[142:143]
	ds_load_b128 v[176:179], v2 offset:1280
	v_fmac_f64_e32 v[186:187], v[170:171], v[136:137]
	v_fma_f64 v[168:169], v[168:169], v[136:137], -v[138:139]
	scratch_load_b128 v[136:139], off, off offset:560
	v_add_f64_e32 v[180:181], v[180:181], v[182:183]
	v_fmac_f64_e32 v[184:185], v[6:7], v[140:141]
	v_add_f64_e32 v[170:171], v[190:191], v[188:189]
	v_fma_f64 v[188:189], v[4:5], v[140:141], -v[142:143]
	ds_load_b128 v[4:7], v2 offset:1296
	s_wait_loadcnt_dscnt 0xb01
	v_mul_f64_e32 v[182:183], v[176:177], v[146:147]
	v_mul_f64_e32 v[146:147], v[178:179], v[146:147]
	scratch_load_b128 v[140:143], off, off offset:576
	v_add_f64_e32 v[180:181], v[180:181], v[186:187]
	s_wait_loadcnt_dscnt 0xb00
	v_mul_f64_e32 v[186:187], v[4:5], v[150:151]
	v_add_f64_e32 v[190:191], v[170:171], v[168:169]
	v_mul_f64_e32 v[150:151], v[6:7], v[150:151]
	ds_load_b128 v[168:171], v2 offset:1312
	v_fmac_f64_e32 v[182:183], v[178:179], v[144:145]
	v_fma_f64 v[176:177], v[176:177], v[144:145], -v[146:147]
	scratch_load_b128 v[144:147], off, off offset:592
	v_add_f64_e32 v[180:181], v[180:181], v[184:185]
	v_fmac_f64_e32 v[186:187], v[6:7], v[148:149]
	v_add_f64_e32 v[178:179], v[190:191], v[188:189]
	;; [unrolled: 18-line block ×3, first 2 shown]
	v_fma_f64 v[188:189], v[4:5], v[160:161], -v[162:163]
	ds_load_b128 v[4:7], v2 offset:1360
	s_wait_loadcnt_dscnt 0xa01
	v_mul_f64_e32 v[186:187], v[176:177], v[174:175]
	v_mul_f64_e32 v[174:175], v[178:179], v[174:175]
	scratch_load_b128 v[160:163], off, off offset:640
	v_add_f64_e32 v[180:181], v[180:181], v[184:185]
	v_add_f64_e32 v[190:191], v[170:171], v[168:169]
	s_wait_loadcnt_dscnt 0xa00
	v_mul_f64_e32 v[184:185], v[4:5], v[158:159]
	v_mul_f64_e32 v[158:159], v[6:7], v[158:159]
	v_fmac_f64_e32 v[186:187], v[178:179], v[172:173]
	v_fma_f64 v[176:177], v[176:177], v[172:173], -v[174:175]
	ds_load_b128 v[168:171], v2 offset:1376
	scratch_load_b128 v[172:175], off, off offset:656
	v_add_f64_e32 v[180:181], v[180:181], v[182:183]
	v_add_f64_e32 v[178:179], v[190:191], v[188:189]
	v_fmac_f64_e32 v[184:185], v[6:7], v[156:157]
	v_fma_f64 v[188:189], v[4:5], v[156:157], -v[158:159]
	ds_load_b128 v[4:7], v2 offset:1392
	s_wait_loadcnt_dscnt 0xa01
	v_mul_f64_e32 v[182:183], v[168:169], v[10:11]
	v_mul_f64_e32 v[10:11], v[170:171], v[10:11]
	scratch_load_b128 v[156:159], off, off offset:672
	v_add_f64_e32 v[180:181], v[180:181], v[186:187]
	s_wait_loadcnt_dscnt 0xa00
	v_mul_f64_e32 v[186:187], v[4:5], v[14:15]
	v_add_f64_e32 v[190:191], v[178:179], v[176:177]
	v_mul_f64_e32 v[14:15], v[6:7], v[14:15]
	ds_load_b128 v[176:179], v2 offset:1408
	v_fmac_f64_e32 v[182:183], v[170:171], v[8:9]
	v_fma_f64 v[168:169], v[168:169], v[8:9], -v[10:11]
	scratch_load_b128 v[8:11], off, off offset:688
	v_add_f64_e32 v[180:181], v[180:181], v[184:185]
	v_fmac_f64_e32 v[186:187], v[6:7], v[12:13]
	v_add_f64_e32 v[170:171], v[190:191], v[188:189]
	v_fma_f64 v[188:189], v[4:5], v[12:13], -v[14:15]
	ds_load_b128 v[4:7], v2 offset:1424
	s_wait_loadcnt_dscnt 0xa01
	v_mul_f64_e32 v[184:185], v[176:177], v[130:131]
	v_mul_f64_e32 v[130:131], v[178:179], v[130:131]
	scratch_load_b128 v[12:15], off, off offset:704
	v_add_f64_e32 v[180:181], v[180:181], v[182:183]
	s_wait_loadcnt_dscnt 0xa00
	v_mul_f64_e32 v[182:183], v[4:5], v[134:135]
	v_add_f64_e32 v[190:191], v[170:171], v[168:169]
	v_mul_f64_e32 v[134:135], v[6:7], v[134:135]
	ds_load_b128 v[168:171], v2 offset:1440
	v_fmac_f64_e32 v[184:185], v[178:179], v[128:129]
	v_fma_f64 v[176:177], v[176:177], v[128:129], -v[130:131]
	scratch_load_b128 v[128:131], off, off offset:720
	v_add_f64_e32 v[180:181], v[180:181], v[186:187]
	v_fmac_f64_e32 v[182:183], v[6:7], v[132:133]
	v_add_f64_e32 v[178:179], v[190:191], v[188:189]
	;; [unrolled: 18-line block ×6, first 2 shown]
	v_fma_f64 v[188:189], v[4:5], v[156:157], -v[158:159]
	ds_load_b128 v[4:7], v2 offset:1584
	s_wait_loadcnt_dscnt 0xa01
	v_mul_f64_e32 v[182:183], v[168:169], v[10:11]
	v_mul_f64_e32 v[10:11], v[170:171], v[10:11]
	scratch_load_b128 v[156:159], off, off offset:864
	v_add_f64_e32 v[180:181], v[180:181], v[186:187]
	s_wait_loadcnt_dscnt 0xa00
	v_mul_f64_e32 v[186:187], v[4:5], v[14:15]
	v_add_f64_e32 v[190:191], v[178:179], v[176:177]
	v_mul_f64_e32 v[14:15], v[6:7], v[14:15]
	ds_load_b128 v[176:179], v2 offset:1600
	v_fmac_f64_e32 v[182:183], v[170:171], v[8:9]
	v_fma_f64 v[8:9], v[168:169], v[8:9], -v[10:11]
	s_wait_loadcnt_dscnt 0x900
	v_mul_f64_e32 v[170:171], v[176:177], v[130:131]
	v_mul_f64_e32 v[130:131], v[178:179], v[130:131]
	v_add_f64_e32 v[168:169], v[180:181], v[184:185]
	v_fmac_f64_e32 v[186:187], v[6:7], v[12:13]
	v_add_f64_e32 v[10:11], v[190:191], v[188:189]
	v_fma_f64 v[12:13], v[4:5], v[12:13], -v[14:15]
	v_fmac_f64_e32 v[170:171], v[178:179], v[128:129]
	v_fma_f64 v[128:129], v[176:177], v[128:129], -v[130:131]
	v_add_f64_e32 v[168:169], v[168:169], v[182:183]
	v_add_f64_e32 v[14:15], v[10:11], v[8:9]
	ds_load_b128 v[4:7], v2 offset:1616
	ds_load_b128 v[8:11], v2 offset:1632
	s_wait_loadcnt_dscnt 0x801
	v_mul_f64_e32 v[180:181], v[4:5], v[134:135]
	v_mul_f64_e32 v[134:135], v[6:7], v[134:135]
	s_wait_loadcnt_dscnt 0x700
	v_mul_f64_e32 v[130:131], v[8:9], v[138:139]
	v_mul_f64_e32 v[138:139], v[10:11], v[138:139]
	v_add_f64_e32 v[12:13], v[14:15], v[12:13]
	v_add_f64_e32 v[14:15], v[168:169], v[186:187]
	v_fmac_f64_e32 v[180:181], v[6:7], v[132:133]
	v_fma_f64 v[132:133], v[4:5], v[132:133], -v[134:135]
	v_fmac_f64_e32 v[130:131], v[10:11], v[136:137]
	v_fma_f64 v[8:9], v[8:9], v[136:137], -v[138:139]
	v_add_f64_e32 v[128:129], v[12:13], v[128:129]
	v_add_f64_e32 v[134:135], v[14:15], v[170:171]
	ds_load_b128 v[4:7], v2 offset:1648
	ds_load_b128 v[12:15], v2 offset:1664
	s_wait_loadcnt_dscnt 0x601
	v_mul_f64_e32 v[168:169], v[4:5], v[142:143]
	v_mul_f64_e32 v[142:143], v[6:7], v[142:143]
	v_add_f64_e32 v[10:11], v[128:129], v[132:133]
	v_add_f64_e32 v[128:129], v[134:135], v[180:181]
	s_wait_loadcnt_dscnt 0x500
	v_mul_f64_e32 v[132:133], v[12:13], v[146:147]
	v_mul_f64_e32 v[134:135], v[14:15], v[146:147]
	v_fmac_f64_e32 v[168:169], v[6:7], v[140:141]
	v_fma_f64 v[136:137], v[4:5], v[140:141], -v[142:143]
	v_add_f64_e32 v[138:139], v[10:11], v[8:9]
	v_add_f64_e32 v[128:129], v[128:129], v[130:131]
	ds_load_b128 v[4:7], v2 offset:1680
	ds_load_b128 v[8:11], v2 offset:1696
	v_fmac_f64_e32 v[132:133], v[14:15], v[144:145]
	v_fma_f64 v[12:13], v[12:13], v[144:145], -v[134:135]
	s_wait_loadcnt_dscnt 0x401
	v_mul_f64_e32 v[130:131], v[4:5], v[150:151]
	v_mul_f64_e32 v[140:141], v[6:7], v[150:151]
	s_wait_loadcnt_dscnt 0x300
	v_mul_f64_e32 v[134:135], v[8:9], v[154:155]
	v_add_f64_e32 v[14:15], v[138:139], v[136:137]
	v_add_f64_e32 v[128:129], v[128:129], v[168:169]
	v_mul_f64_e32 v[136:137], v[10:11], v[154:155]
	v_fmac_f64_e32 v[130:131], v[6:7], v[148:149]
	v_fma_f64 v[138:139], v[4:5], v[148:149], -v[140:141]
	v_fmac_f64_e32 v[134:135], v[10:11], v[152:153]
	v_add_f64_e32 v[140:141], v[14:15], v[12:13]
	v_add_f64_e32 v[128:129], v[128:129], v[132:133]
	ds_load_b128 v[4:7], v2 offset:1712
	ds_load_b128 v[12:15], v2 offset:1728
	v_fma_f64 v[8:9], v[8:9], v[152:153], -v[136:137]
	s_wait_loadcnt_dscnt 0x201
	v_mul_f64_e32 v[132:133], v[4:5], v[162:163]
	v_mul_f64_e32 v[142:143], v[6:7], v[162:163]
	s_wait_loadcnt_dscnt 0x100
	v_mul_f64_e32 v[136:137], v[14:15], v[174:175]
	v_add_f64_e32 v[10:11], v[140:141], v[138:139]
	v_add_f64_e32 v[128:129], v[128:129], v[130:131]
	v_mul_f64_e32 v[130:131], v[12:13], v[174:175]
	v_fmac_f64_e32 v[132:133], v[6:7], v[160:161]
	v_fma_f64 v[138:139], v[4:5], v[160:161], -v[142:143]
	ds_load_b128 v[4:7], v2 offset:1744
	v_fma_f64 v[12:13], v[12:13], v[172:173], -v[136:137]
	v_add_f64_e32 v[8:9], v[10:11], v[8:9]
	v_add_f64_e32 v[10:11], v[128:129], v[134:135]
	v_fmac_f64_e32 v[130:131], v[14:15], v[172:173]
	s_wait_loadcnt_dscnt 0x0
	v_mul_f64_e32 v[128:129], v[4:5], v[158:159]
	v_mul_f64_e32 v[134:135], v[6:7], v[158:159]
	v_add_f64_e32 v[8:9], v[8:9], v[138:139]
	v_add_f64_e32 v[10:11], v[10:11], v[132:133]
	s_delay_alu instid0(VALU_DEP_4) | instskip(NEXT) | instid1(VALU_DEP_4)
	v_fmac_f64_e32 v[128:129], v[6:7], v[156:157]
	v_fma_f64 v[4:5], v[4:5], v[156:157], -v[134:135]
	s_delay_alu instid0(VALU_DEP_4) | instskip(NEXT) | instid1(VALU_DEP_4)
	v_add_f64_e32 v[6:7], v[8:9], v[12:13]
	v_add_f64_e32 v[8:9], v[10:11], v[130:131]
	s_delay_alu instid0(VALU_DEP_2) | instskip(NEXT) | instid1(VALU_DEP_2)
	v_add_f64_e32 v[4:5], v[6:7], v[4:5]
	v_add_f64_e32 v[6:7], v[8:9], v[128:129]
	s_delay_alu instid0(VALU_DEP_2) | instskip(NEXT) | instid1(VALU_DEP_2)
	v_add_f64_e64 v[4:5], v[164:165], -v[4:5]
	v_add_f64_e64 v[6:7], v[166:167], -v[6:7]
	scratch_store_b128 off, v[4:7], off offset:272
	s_wait_xcnt 0x0
	v_cmpx_lt_u32_e32 16, v1
	s_cbranch_execz .LBB54_311
; %bb.310:
	scratch_load_b128 v[6:9], off, s60
	v_dual_mov_b32 v3, v2 :: v_dual_mov_b32 v4, v2
	v_mov_b32_e32 v5, v2
	scratch_store_b128 off, v[2:5], off offset:256
	s_wait_loadcnt 0x0
	ds_store_b128 v126, v[6:9]
.LBB54_311:
	s_wait_xcnt 0x0
	s_or_b32 exec_lo, exec_lo, s2
	s_wait_storecnt_dscnt 0x0
	s_barrier_signal -1
	s_barrier_wait -1
	s_clause 0x9
	scratch_load_b128 v[4:7], off, off offset:272
	scratch_load_b128 v[8:11], off, off offset:288
	;; [unrolled: 1-line block ×10, first 2 shown]
	ds_load_b128 v[156:159], v2 offset:1152
	ds_load_b128 v[164:167], v2 offset:1168
	s_clause 0x2
	scratch_load_b128 v[160:163], off, off offset:432
	scratch_load_b128 v[168:171], off, off offset:256
	;; [unrolled: 1-line block ×3, first 2 shown]
	s_mov_b32 s2, exec_lo
	s_wait_loadcnt_dscnt 0xc01
	v_mul_f64_e32 v[176:177], v[158:159], v[6:7]
	v_mul_f64_e32 v[180:181], v[156:157], v[6:7]
	s_wait_loadcnt_dscnt 0xb00
	v_mul_f64_e32 v[182:183], v[164:165], v[10:11]
	v_mul_f64_e32 v[10:11], v[166:167], v[10:11]
	s_delay_alu instid0(VALU_DEP_4) | instskip(NEXT) | instid1(VALU_DEP_4)
	v_fma_f64 v[184:185], v[156:157], v[4:5], -v[176:177]
	v_fmac_f64_e32 v[180:181], v[158:159], v[4:5]
	ds_load_b128 v[4:7], v2 offset:1184
	ds_load_b128 v[156:159], v2 offset:1200
	scratch_load_b128 v[176:179], off, off offset:464
	v_fmac_f64_e32 v[182:183], v[166:167], v[8:9]
	v_fma_f64 v[164:165], v[164:165], v[8:9], -v[10:11]
	scratch_load_b128 v[8:11], off, off offset:480
	s_wait_loadcnt_dscnt 0xc01
	v_mul_f64_e32 v[186:187], v[4:5], v[14:15]
	v_mul_f64_e32 v[14:15], v[6:7], v[14:15]
	v_add_f64_e32 v[166:167], 0, v[184:185]
	v_add_f64_e32 v[180:181], 0, v[180:181]
	s_wait_loadcnt_dscnt 0xb00
	v_mul_f64_e32 v[184:185], v[156:157], v[130:131]
	v_mul_f64_e32 v[130:131], v[158:159], v[130:131]
	v_fmac_f64_e32 v[186:187], v[6:7], v[12:13]
	v_fma_f64 v[188:189], v[4:5], v[12:13], -v[14:15]
	ds_load_b128 v[4:7], v2 offset:1216
	ds_load_b128 v[12:15], v2 offset:1232
	v_add_f64_e32 v[190:191], v[166:167], v[164:165]
	v_add_f64_e32 v[180:181], v[180:181], v[182:183]
	scratch_load_b128 v[164:167], off, off offset:496
	v_fmac_f64_e32 v[184:185], v[158:159], v[128:129]
	v_fma_f64 v[156:157], v[156:157], v[128:129], -v[130:131]
	scratch_load_b128 v[128:131], off, off offset:512
	s_wait_loadcnt_dscnt 0xc01
	v_mul_f64_e32 v[182:183], v[4:5], v[134:135]
	v_mul_f64_e32 v[134:135], v[6:7], v[134:135]
	v_add_f64_e32 v[158:159], v[190:191], v[188:189]
	v_add_f64_e32 v[180:181], v[180:181], v[186:187]
	s_wait_loadcnt_dscnt 0xb00
	v_mul_f64_e32 v[186:187], v[12:13], v[138:139]
	v_mul_f64_e32 v[138:139], v[14:15], v[138:139]
	v_fmac_f64_e32 v[182:183], v[6:7], v[132:133]
	v_fma_f64 v[188:189], v[4:5], v[132:133], -v[134:135]
	ds_load_b128 v[4:7], v2 offset:1248
	ds_load_b128 v[132:135], v2 offset:1264
	v_add_f64_e32 v[190:191], v[158:159], v[156:157]
	v_add_f64_e32 v[180:181], v[180:181], v[184:185]
	scratch_load_b128 v[156:159], off, off offset:528
	s_wait_loadcnt_dscnt 0xb01
	v_mul_f64_e32 v[184:185], v[4:5], v[142:143]
	v_mul_f64_e32 v[142:143], v[6:7], v[142:143]
	v_fmac_f64_e32 v[186:187], v[14:15], v[136:137]
	v_fma_f64 v[136:137], v[12:13], v[136:137], -v[138:139]
	scratch_load_b128 v[12:15], off, off offset:544
	v_add_f64_e32 v[138:139], v[190:191], v[188:189]
	v_add_f64_e32 v[180:181], v[180:181], v[182:183]
	s_wait_loadcnt_dscnt 0xb00
	v_mul_f64_e32 v[182:183], v[132:133], v[146:147]
	v_mul_f64_e32 v[146:147], v[134:135], v[146:147]
	v_fmac_f64_e32 v[184:185], v[6:7], v[140:141]
	v_fma_f64 v[188:189], v[4:5], v[140:141], -v[142:143]
	v_add_f64_e32 v[190:191], v[138:139], v[136:137]
	v_add_f64_e32 v[180:181], v[180:181], v[186:187]
	ds_load_b128 v[4:7], v2 offset:1280
	ds_load_b128 v[136:139], v2 offset:1296
	scratch_load_b128 v[140:143], off, off offset:560
	v_fmac_f64_e32 v[182:183], v[134:135], v[144:145]
	v_fma_f64 v[144:145], v[132:133], v[144:145], -v[146:147]
	scratch_load_b128 v[132:135], off, off offset:576
	s_wait_loadcnt_dscnt 0xc01
	v_mul_f64_e32 v[186:187], v[4:5], v[150:151]
	v_mul_f64_e32 v[150:151], v[6:7], v[150:151]
	v_add_f64_e32 v[146:147], v[190:191], v[188:189]
	v_add_f64_e32 v[180:181], v[180:181], v[184:185]
	s_wait_loadcnt_dscnt 0xb00
	v_mul_f64_e32 v[184:185], v[136:137], v[154:155]
	v_mul_f64_e32 v[154:155], v[138:139], v[154:155]
	v_fmac_f64_e32 v[186:187], v[6:7], v[148:149]
	v_fma_f64 v[188:189], v[4:5], v[148:149], -v[150:151]
	v_add_f64_e32 v[190:191], v[146:147], v[144:145]
	v_add_f64_e32 v[180:181], v[180:181], v[182:183]
	ds_load_b128 v[4:7], v2 offset:1312
	ds_load_b128 v[144:147], v2 offset:1328
	scratch_load_b128 v[148:151], off, off offset:592
	v_fmac_f64_e32 v[184:185], v[138:139], v[152:153]
	v_fma_f64 v[152:153], v[136:137], v[152:153], -v[154:155]
	scratch_load_b128 v[136:139], off, off offset:608
	s_wait_loadcnt_dscnt 0xc01
	v_mul_f64_e32 v[182:183], v[4:5], v[162:163]
	v_mul_f64_e32 v[162:163], v[6:7], v[162:163]
	;; [unrolled: 18-line block ×5, first 2 shown]
	v_add_f64_e32 v[174:175], v[190:191], v[188:189]
	v_add_f64_e32 v[180:181], v[180:181], v[186:187]
	s_wait_loadcnt_dscnt 0xa00
	v_mul_f64_e32 v[186:187], v[152:153], v[14:15]
	v_mul_f64_e32 v[14:15], v[154:155], v[14:15]
	v_fmac_f64_e32 v[182:183], v[6:7], v[156:157]
	v_fma_f64 v[188:189], v[4:5], v[156:157], -v[158:159]
	ds_load_b128 v[4:7], v2 offset:1440
	ds_load_b128 v[156:159], v2 offset:1456
	v_add_f64_e32 v[190:191], v[174:175], v[172:173]
	v_add_f64_e32 v[180:181], v[180:181], v[184:185]
	scratch_load_b128 v[172:175], off, off offset:720
	v_fmac_f64_e32 v[186:187], v[154:155], v[12:13]
	v_fma_f64 v[152:153], v[152:153], v[12:13], -v[14:15]
	scratch_load_b128 v[12:15], off, off offset:736
	s_wait_loadcnt_dscnt 0xb01
	v_mul_f64_e32 v[184:185], v[4:5], v[142:143]
	v_mul_f64_e32 v[142:143], v[6:7], v[142:143]
	v_add_f64_e32 v[154:155], v[190:191], v[188:189]
	v_add_f64_e32 v[180:181], v[180:181], v[182:183]
	s_wait_loadcnt_dscnt 0xa00
	v_mul_f64_e32 v[182:183], v[156:157], v[134:135]
	v_mul_f64_e32 v[134:135], v[158:159], v[134:135]
	v_fmac_f64_e32 v[184:185], v[6:7], v[140:141]
	v_fma_f64 v[188:189], v[4:5], v[140:141], -v[142:143]
	ds_load_b128 v[4:7], v2 offset:1472
	ds_load_b128 v[140:143], v2 offset:1488
	v_add_f64_e32 v[190:191], v[154:155], v[152:153]
	v_add_f64_e32 v[180:181], v[180:181], v[186:187]
	scratch_load_b128 v[152:155], off, off offset:752
	s_wait_loadcnt_dscnt 0xa01
	v_mul_f64_e32 v[186:187], v[4:5], v[150:151]
	v_mul_f64_e32 v[150:151], v[6:7], v[150:151]
	v_fmac_f64_e32 v[182:183], v[158:159], v[132:133]
	v_fma_f64 v[156:157], v[156:157], v[132:133], -v[134:135]
	scratch_load_b128 v[132:135], off, off offset:768
	v_add_f64_e32 v[158:159], v[190:191], v[188:189]
	v_add_f64_e32 v[180:181], v[180:181], v[184:185]
	s_wait_loadcnt_dscnt 0xa00
	v_mul_f64_e32 v[184:185], v[140:141], v[138:139]
	v_mul_f64_e32 v[138:139], v[142:143], v[138:139]
	v_fmac_f64_e32 v[186:187], v[6:7], v[148:149]
	v_fma_f64 v[188:189], v[4:5], v[148:149], -v[150:151]
	ds_load_b128 v[4:7], v2 offset:1504
	ds_load_b128 v[148:151], v2 offset:1520
	v_add_f64_e32 v[190:191], v[158:159], v[156:157]
	v_add_f64_e32 v[180:181], v[180:181], v[182:183]
	scratch_load_b128 v[156:159], off, off offset:784
	s_wait_loadcnt_dscnt 0xa01
	v_mul_f64_e32 v[182:183], v[4:5], v[162:163]
	v_mul_f64_e32 v[162:163], v[6:7], v[162:163]
	v_fmac_f64_e32 v[184:185], v[142:143], v[136:137]
	v_fma_f64 v[140:141], v[140:141], v[136:137], -v[138:139]
	scratch_load_b128 v[136:139], off, off offset:800
	v_add_f64_e32 v[142:143], v[190:191], v[188:189]
	v_add_f64_e32 v[180:181], v[180:181], v[186:187]
	s_wait_loadcnt_dscnt 0xa00
	v_mul_f64_e32 v[186:187], v[148:149], v[146:147]
	v_mul_f64_e32 v[146:147], v[150:151], v[146:147]
	v_fmac_f64_e32 v[182:183], v[6:7], v[160:161]
	v_fma_f64 v[188:189], v[4:5], v[160:161], -v[162:163]
	v_add_f64_e32 v[190:191], v[142:143], v[140:141]
	v_add_f64_e32 v[180:181], v[180:181], v[184:185]
	ds_load_b128 v[4:7], v2 offset:1536
	ds_load_b128 v[140:143], v2 offset:1552
	scratch_load_b128 v[160:163], off, off offset:816
	v_fmac_f64_e32 v[186:187], v[150:151], v[144:145]
	v_fma_f64 v[148:149], v[148:149], v[144:145], -v[146:147]
	scratch_load_b128 v[144:147], off, off offset:832
	s_wait_loadcnt_dscnt 0xb01
	v_mul_f64_e32 v[184:185], v[4:5], v[178:179]
	v_mul_f64_e32 v[178:179], v[6:7], v[178:179]
	v_add_f64_e32 v[150:151], v[190:191], v[188:189]
	v_add_f64_e32 v[180:181], v[180:181], v[182:183]
	s_wait_loadcnt_dscnt 0xa00
	v_mul_f64_e32 v[182:183], v[140:141], v[10:11]
	v_mul_f64_e32 v[10:11], v[142:143], v[10:11]
	v_fmac_f64_e32 v[184:185], v[6:7], v[176:177]
	v_fma_f64 v[188:189], v[4:5], v[176:177], -v[178:179]
	v_add_f64_e32 v[190:191], v[150:151], v[148:149]
	v_add_f64_e32 v[180:181], v[180:181], v[186:187]
	ds_load_b128 v[4:7], v2 offset:1568
	ds_load_b128 v[148:151], v2 offset:1584
	scratch_load_b128 v[176:179], off, off offset:848
	v_fmac_f64_e32 v[182:183], v[142:143], v[8:9]
	v_fma_f64 v[140:141], v[140:141], v[8:9], -v[10:11]
	scratch_load_b128 v[8:11], off, off offset:864
	s_wait_loadcnt_dscnt 0xb01
	v_mul_f64_e32 v[186:187], v[4:5], v[166:167]
	v_mul_f64_e32 v[166:167], v[6:7], v[166:167]
	v_add_f64_e32 v[142:143], v[190:191], v[188:189]
	v_add_f64_e32 v[180:181], v[180:181], v[184:185]
	s_wait_loadcnt_dscnt 0xa00
	v_mul_f64_e32 v[184:185], v[148:149], v[130:131]
	v_mul_f64_e32 v[130:131], v[150:151], v[130:131]
	v_fmac_f64_e32 v[186:187], v[6:7], v[164:165]
	v_fma_f64 v[164:165], v[4:5], v[164:165], -v[166:167]
	v_add_f64_e32 v[166:167], v[142:143], v[140:141]
	v_add_f64_e32 v[180:181], v[180:181], v[182:183]
	ds_load_b128 v[4:7], v2 offset:1600
	ds_load_b128 v[140:143], v2 offset:1616
	v_fmac_f64_e32 v[184:185], v[150:151], v[128:129]
	v_fma_f64 v[128:129], v[148:149], v[128:129], -v[130:131]
	s_wait_loadcnt_dscnt 0x901
	v_mul_f64_e32 v[182:183], v[4:5], v[174:175]
	v_mul_f64_e32 v[174:175], v[6:7], v[174:175]
	s_wait_loadcnt_dscnt 0x800
	v_mul_f64_e32 v[150:151], v[140:141], v[14:15]
	v_mul_f64_e32 v[14:15], v[142:143], v[14:15]
	v_add_f64_e32 v[130:131], v[166:167], v[164:165]
	v_add_f64_e32 v[148:149], v[180:181], v[186:187]
	v_fmac_f64_e32 v[182:183], v[6:7], v[172:173]
	v_fma_f64 v[164:165], v[4:5], v[172:173], -v[174:175]
	v_fmac_f64_e32 v[150:151], v[142:143], v[12:13]
	v_fma_f64 v[12:13], v[140:141], v[12:13], -v[14:15]
	v_add_f64_e32 v[166:167], v[130:131], v[128:129]
	v_add_f64_e32 v[148:149], v[148:149], v[184:185]
	ds_load_b128 v[4:7], v2 offset:1632
	ds_load_b128 v[128:131], v2 offset:1648
	s_wait_loadcnt_dscnt 0x701
	v_mul_f64_e32 v[172:173], v[4:5], v[154:155]
	v_mul_f64_e32 v[154:155], v[6:7], v[154:155]
	s_wait_loadcnt_dscnt 0x600
	v_mul_f64_e32 v[142:143], v[128:129], v[134:135]
	v_mul_f64_e32 v[134:135], v[130:131], v[134:135]
	v_add_f64_e32 v[14:15], v[166:167], v[164:165]
	v_add_f64_e32 v[140:141], v[148:149], v[182:183]
	v_fmac_f64_e32 v[172:173], v[6:7], v[152:153]
	v_fma_f64 v[148:149], v[4:5], v[152:153], -v[154:155]
	v_fmac_f64_e32 v[142:143], v[130:131], v[132:133]
	v_fma_f64 v[128:129], v[128:129], v[132:133], -v[134:135]
	v_add_f64_e32 v[152:153], v[14:15], v[12:13]
	v_add_f64_e32 v[140:141], v[140:141], v[150:151]
	ds_load_b128 v[4:7], v2 offset:1664
	ds_load_b128 v[12:15], v2 offset:1680
	;; [unrolled: 16-line block ×4, first 2 shown]
	s_wait_loadcnt_dscnt 0x101
	v_mul_f64_e32 v[2:3], v[4:5], v[178:179]
	v_mul_f64_e32 v[134:135], v[6:7], v[178:179]
	s_wait_loadcnt_dscnt 0x0
	v_mul_f64_e32 v[138:139], v[12:13], v[10:11]
	v_mul_f64_e32 v[10:11], v[14:15], v[10:11]
	v_add_f64_e32 v[130:131], v[146:147], v[140:141]
	v_add_f64_e32 v[132:133], v[132:133], v[142:143]
	v_fmac_f64_e32 v[2:3], v[6:7], v[176:177]
	v_fma_f64 v[4:5], v[4:5], v[176:177], -v[134:135]
	v_fmac_f64_e32 v[138:139], v[14:15], v[8:9]
	v_fma_f64 v[8:9], v[12:13], v[8:9], -v[10:11]
	v_add_f64_e32 v[6:7], v[130:131], v[128:129]
	v_add_f64_e32 v[128:129], v[132:133], v[136:137]
	s_delay_alu instid0(VALU_DEP_2) | instskip(NEXT) | instid1(VALU_DEP_2)
	v_add_f64_e32 v[4:5], v[6:7], v[4:5]
	v_add_f64_e32 v[2:3], v[128:129], v[2:3]
	s_delay_alu instid0(VALU_DEP_2) | instskip(NEXT) | instid1(VALU_DEP_2)
	;; [unrolled: 3-line block ×3, first 2 shown]
	v_add_f64_e64 v[2:3], v[168:169], -v[4:5]
	v_add_f64_e64 v[4:5], v[170:171], -v[6:7]
	scratch_store_b128 off, v[2:5], off offset:256
	s_wait_xcnt 0x0
	v_cmpx_lt_u32_e32 15, v1
	s_cbranch_execz .LBB54_313
; %bb.312:
	scratch_load_b128 v[2:5], off, s57
	v_mov_b32_e32 v6, 0
	s_delay_alu instid0(VALU_DEP_1)
	v_dual_mov_b32 v7, v6 :: v_dual_mov_b32 v8, v6
	v_mov_b32_e32 v9, v6
	scratch_store_b128 off, v[6:9], off offset:240
	s_wait_loadcnt 0x0
	ds_store_b128 v126, v[2:5]
.LBB54_313:
	s_wait_xcnt 0x0
	s_or_b32 exec_lo, exec_lo, s2
	s_wait_storecnt_dscnt 0x0
	s_barrier_signal -1
	s_barrier_wait -1
	s_clause 0x9
	scratch_load_b128 v[4:7], off, off offset:256
	scratch_load_b128 v[8:11], off, off offset:272
	;; [unrolled: 1-line block ×10, first 2 shown]
	v_mov_b32_e32 v2, 0
	s_mov_b32 s2, exec_lo
	ds_load_b128 v[156:159], v2 offset:1136
	s_clause 0x2
	scratch_load_b128 v[160:163], off, off offset:416
	scratch_load_b128 v[164:167], off, off offset:240
	;; [unrolled: 1-line block ×3, first 2 shown]
	s_wait_loadcnt_dscnt 0xc00
	v_mul_f64_e32 v[176:177], v[158:159], v[6:7]
	v_mul_f64_e32 v[180:181], v[156:157], v[6:7]
	ds_load_b128 v[168:171], v2 offset:1152
	v_fma_f64 v[184:185], v[156:157], v[4:5], -v[176:177]
	v_fmac_f64_e32 v[180:181], v[158:159], v[4:5]
	ds_load_b128 v[4:7], v2 offset:1168
	s_wait_loadcnt_dscnt 0xb01
	v_mul_f64_e32 v[182:183], v[168:169], v[10:11]
	v_mul_f64_e32 v[10:11], v[170:171], v[10:11]
	scratch_load_b128 v[156:159], off, off offset:448
	ds_load_b128 v[176:179], v2 offset:1184
	s_wait_loadcnt_dscnt 0xb01
	v_mul_f64_e32 v[186:187], v[4:5], v[14:15]
	v_mul_f64_e32 v[14:15], v[6:7], v[14:15]
	v_add_f64_e32 v[180:181], 0, v[180:181]
	v_fmac_f64_e32 v[182:183], v[170:171], v[8:9]
	v_fma_f64 v[168:169], v[168:169], v[8:9], -v[10:11]
	v_add_f64_e32 v[170:171], 0, v[184:185]
	scratch_load_b128 v[8:11], off, off offset:464
	v_fmac_f64_e32 v[186:187], v[6:7], v[12:13]
	v_fma_f64 v[188:189], v[4:5], v[12:13], -v[14:15]
	ds_load_b128 v[4:7], v2 offset:1200
	s_wait_loadcnt_dscnt 0xb01
	v_mul_f64_e32 v[184:185], v[176:177], v[130:131]
	v_mul_f64_e32 v[130:131], v[178:179], v[130:131]
	scratch_load_b128 v[12:15], off, off offset:480
	v_add_f64_e32 v[180:181], v[180:181], v[182:183]
	v_add_f64_e32 v[190:191], v[170:171], v[168:169]
	ds_load_b128 v[168:171], v2 offset:1216
	s_wait_loadcnt_dscnt 0xb01
	v_mul_f64_e32 v[182:183], v[4:5], v[134:135]
	v_mul_f64_e32 v[134:135], v[6:7], v[134:135]
	v_fmac_f64_e32 v[184:185], v[178:179], v[128:129]
	v_fma_f64 v[176:177], v[176:177], v[128:129], -v[130:131]
	scratch_load_b128 v[128:131], off, off offset:496
	v_add_f64_e32 v[180:181], v[180:181], v[186:187]
	v_add_f64_e32 v[178:179], v[190:191], v[188:189]
	v_fmac_f64_e32 v[182:183], v[6:7], v[132:133]
	v_fma_f64 v[188:189], v[4:5], v[132:133], -v[134:135]
	ds_load_b128 v[4:7], v2 offset:1232
	s_wait_loadcnt_dscnt 0xb01
	v_mul_f64_e32 v[186:187], v[168:169], v[138:139]
	v_mul_f64_e32 v[138:139], v[170:171], v[138:139]
	scratch_load_b128 v[132:135], off, off offset:512
	v_add_f64_e32 v[180:181], v[180:181], v[184:185]
	s_wait_loadcnt_dscnt 0xb00
	v_mul_f64_e32 v[184:185], v[4:5], v[142:143]
	v_add_f64_e32 v[190:191], v[178:179], v[176:177]
	v_mul_f64_e32 v[142:143], v[6:7], v[142:143]
	ds_load_b128 v[176:179], v2 offset:1248
	v_fmac_f64_e32 v[186:187], v[170:171], v[136:137]
	v_fma_f64 v[168:169], v[168:169], v[136:137], -v[138:139]
	scratch_load_b128 v[136:139], off, off offset:528
	v_add_f64_e32 v[180:181], v[180:181], v[182:183]
	v_fmac_f64_e32 v[184:185], v[6:7], v[140:141]
	v_add_f64_e32 v[170:171], v[190:191], v[188:189]
	v_fma_f64 v[188:189], v[4:5], v[140:141], -v[142:143]
	ds_load_b128 v[4:7], v2 offset:1264
	s_wait_loadcnt_dscnt 0xb01
	v_mul_f64_e32 v[182:183], v[176:177], v[146:147]
	v_mul_f64_e32 v[146:147], v[178:179], v[146:147]
	scratch_load_b128 v[140:143], off, off offset:544
	v_add_f64_e32 v[180:181], v[180:181], v[186:187]
	s_wait_loadcnt_dscnt 0xb00
	v_mul_f64_e32 v[186:187], v[4:5], v[150:151]
	v_add_f64_e32 v[190:191], v[170:171], v[168:169]
	v_mul_f64_e32 v[150:151], v[6:7], v[150:151]
	ds_load_b128 v[168:171], v2 offset:1280
	v_fmac_f64_e32 v[182:183], v[178:179], v[144:145]
	v_fma_f64 v[176:177], v[176:177], v[144:145], -v[146:147]
	scratch_load_b128 v[144:147], off, off offset:560
	v_add_f64_e32 v[180:181], v[180:181], v[184:185]
	v_fmac_f64_e32 v[186:187], v[6:7], v[148:149]
	v_add_f64_e32 v[178:179], v[190:191], v[188:189]
	;; [unrolled: 18-line block ×3, first 2 shown]
	v_fma_f64 v[188:189], v[4:5], v[160:161], -v[162:163]
	ds_load_b128 v[4:7], v2 offset:1328
	s_wait_loadcnt_dscnt 0xa01
	v_mul_f64_e32 v[186:187], v[176:177], v[174:175]
	v_mul_f64_e32 v[174:175], v[178:179], v[174:175]
	scratch_load_b128 v[160:163], off, off offset:608
	v_add_f64_e32 v[180:181], v[180:181], v[184:185]
	v_add_f64_e32 v[190:191], v[170:171], v[168:169]
	s_wait_loadcnt_dscnt 0xa00
	v_mul_f64_e32 v[184:185], v[4:5], v[158:159]
	v_mul_f64_e32 v[158:159], v[6:7], v[158:159]
	v_fmac_f64_e32 v[186:187], v[178:179], v[172:173]
	v_fma_f64 v[176:177], v[176:177], v[172:173], -v[174:175]
	ds_load_b128 v[168:171], v2 offset:1344
	scratch_load_b128 v[172:175], off, off offset:624
	v_add_f64_e32 v[180:181], v[180:181], v[182:183]
	v_add_f64_e32 v[178:179], v[190:191], v[188:189]
	v_fmac_f64_e32 v[184:185], v[6:7], v[156:157]
	v_fma_f64 v[188:189], v[4:5], v[156:157], -v[158:159]
	ds_load_b128 v[4:7], v2 offset:1360
	s_wait_loadcnt_dscnt 0xa01
	v_mul_f64_e32 v[182:183], v[168:169], v[10:11]
	v_mul_f64_e32 v[10:11], v[170:171], v[10:11]
	scratch_load_b128 v[156:159], off, off offset:640
	v_add_f64_e32 v[180:181], v[180:181], v[186:187]
	s_wait_loadcnt_dscnt 0xa00
	v_mul_f64_e32 v[186:187], v[4:5], v[14:15]
	v_add_f64_e32 v[190:191], v[178:179], v[176:177]
	v_mul_f64_e32 v[14:15], v[6:7], v[14:15]
	ds_load_b128 v[176:179], v2 offset:1376
	v_fmac_f64_e32 v[182:183], v[170:171], v[8:9]
	v_fma_f64 v[168:169], v[168:169], v[8:9], -v[10:11]
	scratch_load_b128 v[8:11], off, off offset:656
	v_add_f64_e32 v[180:181], v[180:181], v[184:185]
	v_fmac_f64_e32 v[186:187], v[6:7], v[12:13]
	v_add_f64_e32 v[170:171], v[190:191], v[188:189]
	v_fma_f64 v[188:189], v[4:5], v[12:13], -v[14:15]
	ds_load_b128 v[4:7], v2 offset:1392
	s_wait_loadcnt_dscnt 0xa01
	v_mul_f64_e32 v[184:185], v[176:177], v[130:131]
	v_mul_f64_e32 v[130:131], v[178:179], v[130:131]
	scratch_load_b128 v[12:15], off, off offset:672
	v_add_f64_e32 v[180:181], v[180:181], v[182:183]
	s_wait_loadcnt_dscnt 0xa00
	v_mul_f64_e32 v[182:183], v[4:5], v[134:135]
	v_add_f64_e32 v[190:191], v[170:171], v[168:169]
	v_mul_f64_e32 v[134:135], v[6:7], v[134:135]
	ds_load_b128 v[168:171], v2 offset:1408
	v_fmac_f64_e32 v[184:185], v[178:179], v[128:129]
	v_fma_f64 v[176:177], v[176:177], v[128:129], -v[130:131]
	scratch_load_b128 v[128:131], off, off offset:688
	v_add_f64_e32 v[180:181], v[180:181], v[186:187]
	v_fmac_f64_e32 v[182:183], v[6:7], v[132:133]
	v_add_f64_e32 v[178:179], v[190:191], v[188:189]
	;; [unrolled: 18-line block ×7, first 2 shown]
	v_fma_f64 v[188:189], v[4:5], v[12:13], -v[14:15]
	ds_load_b128 v[4:7], v2 offset:1584
	s_wait_loadcnt_dscnt 0xa01
	v_mul_f64_e32 v[184:185], v[176:177], v[130:131]
	v_mul_f64_e32 v[130:131], v[178:179], v[130:131]
	scratch_load_b128 v[12:15], off, off offset:864
	v_add_f64_e32 v[180:181], v[180:181], v[182:183]
	s_wait_loadcnt_dscnt 0xa00
	v_mul_f64_e32 v[182:183], v[4:5], v[134:135]
	v_add_f64_e32 v[190:191], v[170:171], v[168:169]
	v_mul_f64_e32 v[134:135], v[6:7], v[134:135]
	ds_load_b128 v[168:171], v2 offset:1600
	v_fmac_f64_e32 v[184:185], v[178:179], v[128:129]
	v_fma_f64 v[128:129], v[176:177], v[128:129], -v[130:131]
	s_wait_loadcnt_dscnt 0x900
	v_mul_f64_e32 v[178:179], v[168:169], v[138:139]
	v_mul_f64_e32 v[138:139], v[170:171], v[138:139]
	v_add_f64_e32 v[176:177], v[180:181], v[186:187]
	v_fmac_f64_e32 v[182:183], v[6:7], v[132:133]
	v_add_f64_e32 v[130:131], v[190:191], v[188:189]
	v_fma_f64 v[132:133], v[4:5], v[132:133], -v[134:135]
	v_fmac_f64_e32 v[178:179], v[170:171], v[136:137]
	v_fma_f64 v[136:137], v[168:169], v[136:137], -v[138:139]
	v_add_f64_e32 v[176:177], v[176:177], v[184:185]
	v_add_f64_e32 v[134:135], v[130:131], v[128:129]
	ds_load_b128 v[4:7], v2 offset:1616
	ds_load_b128 v[128:131], v2 offset:1632
	s_wait_loadcnt_dscnt 0x801
	v_mul_f64_e32 v[180:181], v[4:5], v[142:143]
	v_mul_f64_e32 v[142:143], v[6:7], v[142:143]
	s_wait_loadcnt_dscnt 0x700
	v_mul_f64_e32 v[138:139], v[128:129], v[146:147]
	v_mul_f64_e32 v[146:147], v[130:131], v[146:147]
	v_add_f64_e32 v[132:133], v[134:135], v[132:133]
	v_add_f64_e32 v[134:135], v[176:177], v[182:183]
	v_fmac_f64_e32 v[180:181], v[6:7], v[140:141]
	v_fma_f64 v[140:141], v[4:5], v[140:141], -v[142:143]
	v_fmac_f64_e32 v[138:139], v[130:131], v[144:145]
	v_fma_f64 v[128:129], v[128:129], v[144:145], -v[146:147]
	v_add_f64_e32 v[136:137], v[132:133], v[136:137]
	v_add_f64_e32 v[142:143], v[134:135], v[178:179]
	ds_load_b128 v[4:7], v2 offset:1648
	ds_load_b128 v[132:135], v2 offset:1664
	s_wait_loadcnt_dscnt 0x601
	v_mul_f64_e32 v[168:169], v[4:5], v[150:151]
	v_mul_f64_e32 v[150:151], v[6:7], v[150:151]
	v_add_f64_e32 v[130:131], v[136:137], v[140:141]
	v_add_f64_e32 v[136:137], v[142:143], v[180:181]
	s_wait_loadcnt_dscnt 0x500
	v_mul_f64_e32 v[140:141], v[132:133], v[154:155]
	v_mul_f64_e32 v[142:143], v[134:135], v[154:155]
	v_fmac_f64_e32 v[168:169], v[6:7], v[148:149]
	v_fma_f64 v[144:145], v[4:5], v[148:149], -v[150:151]
	v_add_f64_e32 v[146:147], v[130:131], v[128:129]
	v_add_f64_e32 v[136:137], v[136:137], v[138:139]
	ds_load_b128 v[4:7], v2 offset:1680
	ds_load_b128 v[128:131], v2 offset:1696
	v_fmac_f64_e32 v[140:141], v[134:135], v[152:153]
	v_fma_f64 v[132:133], v[132:133], v[152:153], -v[142:143]
	s_wait_loadcnt_dscnt 0x401
	v_mul_f64_e32 v[138:139], v[4:5], v[162:163]
	v_mul_f64_e32 v[148:149], v[6:7], v[162:163]
	s_wait_loadcnt_dscnt 0x300
	v_mul_f64_e32 v[142:143], v[128:129], v[174:175]
	v_add_f64_e32 v[134:135], v[146:147], v[144:145]
	v_add_f64_e32 v[136:137], v[136:137], v[168:169]
	v_mul_f64_e32 v[144:145], v[130:131], v[174:175]
	v_fmac_f64_e32 v[138:139], v[6:7], v[160:161]
	v_fma_f64 v[146:147], v[4:5], v[160:161], -v[148:149]
	v_fmac_f64_e32 v[142:143], v[130:131], v[172:173]
	v_add_f64_e32 v[148:149], v[134:135], v[132:133]
	v_add_f64_e32 v[136:137], v[136:137], v[140:141]
	ds_load_b128 v[4:7], v2 offset:1712
	ds_load_b128 v[132:135], v2 offset:1728
	v_fma_f64 v[128:129], v[128:129], v[172:173], -v[144:145]
	s_wait_loadcnt_dscnt 0x201
	v_mul_f64_e32 v[140:141], v[4:5], v[158:159]
	v_mul_f64_e32 v[150:151], v[6:7], v[158:159]
	v_add_f64_e32 v[130:131], v[148:149], v[146:147]
	v_add_f64_e32 v[136:137], v[136:137], v[138:139]
	s_wait_loadcnt_dscnt 0x100
	v_mul_f64_e32 v[138:139], v[132:133], v[10:11]
	v_mul_f64_e32 v[10:11], v[134:135], v[10:11]
	v_fmac_f64_e32 v[140:141], v[6:7], v[156:157]
	v_fma_f64 v[144:145], v[4:5], v[156:157], -v[150:151]
	ds_load_b128 v[4:7], v2 offset:1744
	v_add_f64_e32 v[128:129], v[130:131], v[128:129]
	v_add_f64_e32 v[130:131], v[136:137], v[142:143]
	v_fmac_f64_e32 v[138:139], v[134:135], v[8:9]
	v_fma_f64 v[8:9], v[132:133], v[8:9], -v[10:11]
	s_wait_loadcnt_dscnt 0x0
	v_mul_f64_e32 v[136:137], v[4:5], v[14:15]
	v_mul_f64_e32 v[14:15], v[6:7], v[14:15]
	v_add_f64_e32 v[10:11], v[128:129], v[144:145]
	v_add_f64_e32 v[128:129], v[130:131], v[140:141]
	s_delay_alu instid0(VALU_DEP_4) | instskip(NEXT) | instid1(VALU_DEP_4)
	v_fmac_f64_e32 v[136:137], v[6:7], v[12:13]
	v_fma_f64 v[4:5], v[4:5], v[12:13], -v[14:15]
	s_delay_alu instid0(VALU_DEP_4) | instskip(NEXT) | instid1(VALU_DEP_4)
	v_add_f64_e32 v[6:7], v[10:11], v[8:9]
	v_add_f64_e32 v[8:9], v[128:129], v[138:139]
	s_delay_alu instid0(VALU_DEP_2) | instskip(NEXT) | instid1(VALU_DEP_2)
	v_add_f64_e32 v[4:5], v[6:7], v[4:5]
	v_add_f64_e32 v[6:7], v[8:9], v[136:137]
	s_delay_alu instid0(VALU_DEP_2) | instskip(NEXT) | instid1(VALU_DEP_2)
	v_add_f64_e64 v[4:5], v[164:165], -v[4:5]
	v_add_f64_e64 v[6:7], v[166:167], -v[6:7]
	scratch_store_b128 off, v[4:7], off offset:240
	s_wait_xcnt 0x0
	v_cmpx_lt_u32_e32 14, v1
	s_cbranch_execz .LBB54_315
; %bb.314:
	scratch_load_b128 v[6:9], off, s66
	v_dual_mov_b32 v3, v2 :: v_dual_mov_b32 v4, v2
	v_mov_b32_e32 v5, v2
	scratch_store_b128 off, v[2:5], off offset:224
	s_wait_loadcnt 0x0
	ds_store_b128 v126, v[6:9]
.LBB54_315:
	s_wait_xcnt 0x0
	s_or_b32 exec_lo, exec_lo, s2
	s_wait_storecnt_dscnt 0x0
	s_barrier_signal -1
	s_barrier_wait -1
	s_clause 0x9
	scratch_load_b128 v[4:7], off, off offset:240
	scratch_load_b128 v[8:11], off, off offset:256
	;; [unrolled: 1-line block ×10, first 2 shown]
	ds_load_b128 v[156:159], v2 offset:1120
	ds_load_b128 v[164:167], v2 offset:1136
	s_clause 0x2
	scratch_load_b128 v[160:163], off, off offset:400
	scratch_load_b128 v[168:171], off, off offset:224
	;; [unrolled: 1-line block ×3, first 2 shown]
	s_mov_b32 s2, exec_lo
	s_wait_loadcnt_dscnt 0xc01
	v_mul_f64_e32 v[176:177], v[158:159], v[6:7]
	v_mul_f64_e32 v[180:181], v[156:157], v[6:7]
	s_wait_loadcnt_dscnt 0xb00
	v_mul_f64_e32 v[182:183], v[164:165], v[10:11]
	v_mul_f64_e32 v[10:11], v[166:167], v[10:11]
	s_delay_alu instid0(VALU_DEP_4) | instskip(NEXT) | instid1(VALU_DEP_4)
	v_fma_f64 v[184:185], v[156:157], v[4:5], -v[176:177]
	v_fmac_f64_e32 v[180:181], v[158:159], v[4:5]
	ds_load_b128 v[4:7], v2 offset:1152
	ds_load_b128 v[156:159], v2 offset:1168
	scratch_load_b128 v[176:179], off, off offset:432
	v_fmac_f64_e32 v[182:183], v[166:167], v[8:9]
	v_fma_f64 v[164:165], v[164:165], v[8:9], -v[10:11]
	scratch_load_b128 v[8:11], off, off offset:448
	s_wait_loadcnt_dscnt 0xc01
	v_mul_f64_e32 v[186:187], v[4:5], v[14:15]
	v_mul_f64_e32 v[14:15], v[6:7], v[14:15]
	v_add_f64_e32 v[166:167], 0, v[184:185]
	v_add_f64_e32 v[180:181], 0, v[180:181]
	s_wait_loadcnt_dscnt 0xb00
	v_mul_f64_e32 v[184:185], v[156:157], v[130:131]
	v_mul_f64_e32 v[130:131], v[158:159], v[130:131]
	v_fmac_f64_e32 v[186:187], v[6:7], v[12:13]
	v_fma_f64 v[188:189], v[4:5], v[12:13], -v[14:15]
	ds_load_b128 v[4:7], v2 offset:1184
	ds_load_b128 v[12:15], v2 offset:1200
	v_add_f64_e32 v[190:191], v[166:167], v[164:165]
	v_add_f64_e32 v[180:181], v[180:181], v[182:183]
	scratch_load_b128 v[164:167], off, off offset:464
	v_fmac_f64_e32 v[184:185], v[158:159], v[128:129]
	v_fma_f64 v[156:157], v[156:157], v[128:129], -v[130:131]
	scratch_load_b128 v[128:131], off, off offset:480
	s_wait_loadcnt_dscnt 0xc01
	v_mul_f64_e32 v[182:183], v[4:5], v[134:135]
	v_mul_f64_e32 v[134:135], v[6:7], v[134:135]
	v_add_f64_e32 v[158:159], v[190:191], v[188:189]
	v_add_f64_e32 v[180:181], v[180:181], v[186:187]
	s_wait_loadcnt_dscnt 0xb00
	v_mul_f64_e32 v[186:187], v[12:13], v[138:139]
	v_mul_f64_e32 v[138:139], v[14:15], v[138:139]
	v_fmac_f64_e32 v[182:183], v[6:7], v[132:133]
	v_fma_f64 v[188:189], v[4:5], v[132:133], -v[134:135]
	ds_load_b128 v[4:7], v2 offset:1216
	ds_load_b128 v[132:135], v2 offset:1232
	v_add_f64_e32 v[190:191], v[158:159], v[156:157]
	v_add_f64_e32 v[180:181], v[180:181], v[184:185]
	scratch_load_b128 v[156:159], off, off offset:496
	s_wait_loadcnt_dscnt 0xb01
	v_mul_f64_e32 v[184:185], v[4:5], v[142:143]
	v_mul_f64_e32 v[142:143], v[6:7], v[142:143]
	v_fmac_f64_e32 v[186:187], v[14:15], v[136:137]
	v_fma_f64 v[136:137], v[12:13], v[136:137], -v[138:139]
	scratch_load_b128 v[12:15], off, off offset:512
	v_add_f64_e32 v[138:139], v[190:191], v[188:189]
	v_add_f64_e32 v[180:181], v[180:181], v[182:183]
	s_wait_loadcnt_dscnt 0xb00
	v_mul_f64_e32 v[182:183], v[132:133], v[146:147]
	v_mul_f64_e32 v[146:147], v[134:135], v[146:147]
	v_fmac_f64_e32 v[184:185], v[6:7], v[140:141]
	v_fma_f64 v[188:189], v[4:5], v[140:141], -v[142:143]
	v_add_f64_e32 v[190:191], v[138:139], v[136:137]
	v_add_f64_e32 v[180:181], v[180:181], v[186:187]
	ds_load_b128 v[4:7], v2 offset:1248
	ds_load_b128 v[136:139], v2 offset:1264
	scratch_load_b128 v[140:143], off, off offset:528
	v_fmac_f64_e32 v[182:183], v[134:135], v[144:145]
	v_fma_f64 v[144:145], v[132:133], v[144:145], -v[146:147]
	scratch_load_b128 v[132:135], off, off offset:544
	s_wait_loadcnt_dscnt 0xc01
	v_mul_f64_e32 v[186:187], v[4:5], v[150:151]
	v_mul_f64_e32 v[150:151], v[6:7], v[150:151]
	v_add_f64_e32 v[146:147], v[190:191], v[188:189]
	v_add_f64_e32 v[180:181], v[180:181], v[184:185]
	s_wait_loadcnt_dscnt 0xb00
	v_mul_f64_e32 v[184:185], v[136:137], v[154:155]
	v_mul_f64_e32 v[154:155], v[138:139], v[154:155]
	v_fmac_f64_e32 v[186:187], v[6:7], v[148:149]
	v_fma_f64 v[188:189], v[4:5], v[148:149], -v[150:151]
	v_add_f64_e32 v[190:191], v[146:147], v[144:145]
	v_add_f64_e32 v[180:181], v[180:181], v[182:183]
	ds_load_b128 v[4:7], v2 offset:1280
	ds_load_b128 v[144:147], v2 offset:1296
	scratch_load_b128 v[148:151], off, off offset:560
	v_fmac_f64_e32 v[184:185], v[138:139], v[152:153]
	v_fma_f64 v[152:153], v[136:137], v[152:153], -v[154:155]
	scratch_load_b128 v[136:139], off, off offset:576
	s_wait_loadcnt_dscnt 0xc01
	v_mul_f64_e32 v[182:183], v[4:5], v[162:163]
	v_mul_f64_e32 v[162:163], v[6:7], v[162:163]
	;; [unrolled: 18-line block ×5, first 2 shown]
	v_add_f64_e32 v[174:175], v[190:191], v[188:189]
	v_add_f64_e32 v[180:181], v[180:181], v[186:187]
	s_wait_loadcnt_dscnt 0xa00
	v_mul_f64_e32 v[186:187], v[152:153], v[14:15]
	v_mul_f64_e32 v[14:15], v[154:155], v[14:15]
	v_fmac_f64_e32 v[182:183], v[6:7], v[156:157]
	v_fma_f64 v[188:189], v[4:5], v[156:157], -v[158:159]
	ds_load_b128 v[4:7], v2 offset:1408
	ds_load_b128 v[156:159], v2 offset:1424
	v_add_f64_e32 v[190:191], v[174:175], v[172:173]
	v_add_f64_e32 v[180:181], v[180:181], v[184:185]
	scratch_load_b128 v[172:175], off, off offset:688
	v_fmac_f64_e32 v[186:187], v[154:155], v[12:13]
	v_fma_f64 v[152:153], v[152:153], v[12:13], -v[14:15]
	scratch_load_b128 v[12:15], off, off offset:704
	s_wait_loadcnt_dscnt 0xb01
	v_mul_f64_e32 v[184:185], v[4:5], v[142:143]
	v_mul_f64_e32 v[142:143], v[6:7], v[142:143]
	v_add_f64_e32 v[154:155], v[190:191], v[188:189]
	v_add_f64_e32 v[180:181], v[180:181], v[182:183]
	s_wait_loadcnt_dscnt 0xa00
	v_mul_f64_e32 v[182:183], v[156:157], v[134:135]
	v_mul_f64_e32 v[134:135], v[158:159], v[134:135]
	v_fmac_f64_e32 v[184:185], v[6:7], v[140:141]
	v_fma_f64 v[188:189], v[4:5], v[140:141], -v[142:143]
	ds_load_b128 v[4:7], v2 offset:1440
	ds_load_b128 v[140:143], v2 offset:1456
	v_add_f64_e32 v[190:191], v[154:155], v[152:153]
	v_add_f64_e32 v[180:181], v[180:181], v[186:187]
	scratch_load_b128 v[152:155], off, off offset:720
	s_wait_loadcnt_dscnt 0xa01
	v_mul_f64_e32 v[186:187], v[4:5], v[150:151]
	v_mul_f64_e32 v[150:151], v[6:7], v[150:151]
	v_fmac_f64_e32 v[182:183], v[158:159], v[132:133]
	v_fma_f64 v[156:157], v[156:157], v[132:133], -v[134:135]
	scratch_load_b128 v[132:135], off, off offset:736
	v_add_f64_e32 v[158:159], v[190:191], v[188:189]
	v_add_f64_e32 v[180:181], v[180:181], v[184:185]
	s_wait_loadcnt_dscnt 0xa00
	v_mul_f64_e32 v[184:185], v[140:141], v[138:139]
	v_mul_f64_e32 v[138:139], v[142:143], v[138:139]
	v_fmac_f64_e32 v[186:187], v[6:7], v[148:149]
	v_fma_f64 v[188:189], v[4:5], v[148:149], -v[150:151]
	ds_load_b128 v[4:7], v2 offset:1472
	ds_load_b128 v[148:151], v2 offset:1488
	v_add_f64_e32 v[190:191], v[158:159], v[156:157]
	v_add_f64_e32 v[180:181], v[180:181], v[182:183]
	scratch_load_b128 v[156:159], off, off offset:752
	s_wait_loadcnt_dscnt 0xa01
	v_mul_f64_e32 v[182:183], v[4:5], v[162:163]
	v_mul_f64_e32 v[162:163], v[6:7], v[162:163]
	v_fmac_f64_e32 v[184:185], v[142:143], v[136:137]
	v_fma_f64 v[140:141], v[140:141], v[136:137], -v[138:139]
	scratch_load_b128 v[136:139], off, off offset:768
	v_add_f64_e32 v[142:143], v[190:191], v[188:189]
	v_add_f64_e32 v[180:181], v[180:181], v[186:187]
	s_wait_loadcnt_dscnt 0xa00
	v_mul_f64_e32 v[186:187], v[148:149], v[146:147]
	v_mul_f64_e32 v[146:147], v[150:151], v[146:147]
	v_fmac_f64_e32 v[182:183], v[6:7], v[160:161]
	v_fma_f64 v[188:189], v[4:5], v[160:161], -v[162:163]
	v_add_f64_e32 v[190:191], v[142:143], v[140:141]
	v_add_f64_e32 v[180:181], v[180:181], v[184:185]
	ds_load_b128 v[4:7], v2 offset:1504
	ds_load_b128 v[140:143], v2 offset:1520
	scratch_load_b128 v[160:163], off, off offset:784
	v_fmac_f64_e32 v[186:187], v[150:151], v[144:145]
	v_fma_f64 v[148:149], v[148:149], v[144:145], -v[146:147]
	scratch_load_b128 v[144:147], off, off offset:800
	s_wait_loadcnt_dscnt 0xb01
	v_mul_f64_e32 v[184:185], v[4:5], v[178:179]
	v_mul_f64_e32 v[178:179], v[6:7], v[178:179]
	v_add_f64_e32 v[150:151], v[190:191], v[188:189]
	v_add_f64_e32 v[180:181], v[180:181], v[182:183]
	s_wait_loadcnt_dscnt 0xa00
	v_mul_f64_e32 v[182:183], v[140:141], v[10:11]
	v_mul_f64_e32 v[10:11], v[142:143], v[10:11]
	v_fmac_f64_e32 v[184:185], v[6:7], v[176:177]
	v_fma_f64 v[188:189], v[4:5], v[176:177], -v[178:179]
	v_add_f64_e32 v[190:191], v[150:151], v[148:149]
	v_add_f64_e32 v[180:181], v[180:181], v[186:187]
	ds_load_b128 v[4:7], v2 offset:1536
	ds_load_b128 v[148:151], v2 offset:1552
	scratch_load_b128 v[176:179], off, off offset:816
	v_fmac_f64_e32 v[182:183], v[142:143], v[8:9]
	v_fma_f64 v[140:141], v[140:141], v[8:9], -v[10:11]
	scratch_load_b128 v[8:11], off, off offset:832
	s_wait_loadcnt_dscnt 0xb01
	v_mul_f64_e32 v[186:187], v[4:5], v[166:167]
	v_mul_f64_e32 v[166:167], v[6:7], v[166:167]
	;; [unrolled: 18-line block ×3, first 2 shown]
	v_add_f64_e32 v[150:151], v[190:191], v[188:189]
	v_add_f64_e32 v[180:181], v[180:181], v[186:187]
	s_wait_loadcnt_dscnt 0xa00
	v_mul_f64_e32 v[186:187], v[140:141], v[14:15]
	v_mul_f64_e32 v[14:15], v[142:143], v[14:15]
	v_fmac_f64_e32 v[182:183], v[6:7], v[172:173]
	v_fma_f64 v[172:173], v[4:5], v[172:173], -v[174:175]
	v_add_f64_e32 v[174:175], v[150:151], v[148:149]
	v_add_f64_e32 v[180:181], v[180:181], v[184:185]
	ds_load_b128 v[4:7], v2 offset:1600
	ds_load_b128 v[148:151], v2 offset:1616
	v_fmac_f64_e32 v[186:187], v[142:143], v[12:13]
	v_fma_f64 v[12:13], v[140:141], v[12:13], -v[14:15]
	s_wait_loadcnt_dscnt 0x901
	v_mul_f64_e32 v[184:185], v[4:5], v[154:155]
	v_mul_f64_e32 v[154:155], v[6:7], v[154:155]
	s_wait_loadcnt_dscnt 0x800
	v_mul_f64_e32 v[142:143], v[148:149], v[134:135]
	v_mul_f64_e32 v[134:135], v[150:151], v[134:135]
	v_add_f64_e32 v[14:15], v[174:175], v[172:173]
	v_add_f64_e32 v[140:141], v[180:181], v[182:183]
	v_fmac_f64_e32 v[184:185], v[6:7], v[152:153]
	v_fma_f64 v[152:153], v[4:5], v[152:153], -v[154:155]
	v_fmac_f64_e32 v[142:143], v[150:151], v[132:133]
	v_fma_f64 v[132:133], v[148:149], v[132:133], -v[134:135]
	v_add_f64_e32 v[154:155], v[14:15], v[12:13]
	v_add_f64_e32 v[140:141], v[140:141], v[186:187]
	ds_load_b128 v[4:7], v2 offset:1632
	ds_load_b128 v[12:15], v2 offset:1648
	s_wait_loadcnt_dscnt 0x701
	v_mul_f64_e32 v[172:173], v[4:5], v[158:159]
	v_mul_f64_e32 v[158:159], v[6:7], v[158:159]
	s_wait_loadcnt_dscnt 0x600
	v_mul_f64_e32 v[148:149], v[12:13], v[138:139]
	v_mul_f64_e32 v[138:139], v[14:15], v[138:139]
	v_add_f64_e32 v[134:135], v[154:155], v[152:153]
	v_add_f64_e32 v[140:141], v[140:141], v[184:185]
	v_fmac_f64_e32 v[172:173], v[6:7], v[156:157]
	v_fma_f64 v[150:151], v[4:5], v[156:157], -v[158:159]
	v_fmac_f64_e32 v[148:149], v[14:15], v[136:137]
	v_fma_f64 v[12:13], v[12:13], v[136:137], -v[138:139]
	v_add_f64_e32 v[152:153], v[134:135], v[132:133]
	v_add_f64_e32 v[140:141], v[140:141], v[142:143]
	ds_load_b128 v[4:7], v2 offset:1664
	ds_load_b128 v[132:135], v2 offset:1680
	s_wait_loadcnt_dscnt 0x501
	v_mul_f64_e32 v[142:143], v[4:5], v[162:163]
	v_mul_f64_e32 v[154:155], v[6:7], v[162:163]
	s_wait_loadcnt_dscnt 0x400
	v_mul_f64_e32 v[138:139], v[132:133], v[146:147]
	v_add_f64_e32 v[14:15], v[152:153], v[150:151]
	v_add_f64_e32 v[136:137], v[140:141], v[172:173]
	v_mul_f64_e32 v[140:141], v[134:135], v[146:147]
	v_fmac_f64_e32 v[142:143], v[6:7], v[160:161]
	v_fma_f64 v[146:147], v[4:5], v[160:161], -v[154:155]
	v_fmac_f64_e32 v[138:139], v[134:135], v[144:145]
	v_add_f64_e32 v[150:151], v[14:15], v[12:13]
	v_add_f64_e32 v[136:137], v[136:137], v[148:149]
	ds_load_b128 v[4:7], v2 offset:1696
	ds_load_b128 v[12:15], v2 offset:1712
	v_fma_f64 v[132:133], v[132:133], v[144:145], -v[140:141]
	s_wait_loadcnt_dscnt 0x301
	v_mul_f64_e32 v[148:149], v[4:5], v[178:179]
	v_mul_f64_e32 v[152:153], v[6:7], v[178:179]
	s_wait_loadcnt_dscnt 0x200
	v_mul_f64_e32 v[140:141], v[12:13], v[10:11]
	v_mul_f64_e32 v[10:11], v[14:15], v[10:11]
	v_add_f64_e32 v[134:135], v[150:151], v[146:147]
	v_add_f64_e32 v[136:137], v[136:137], v[142:143]
	v_fmac_f64_e32 v[148:149], v[6:7], v[176:177]
	v_fma_f64 v[142:143], v[4:5], v[176:177], -v[152:153]
	v_fmac_f64_e32 v[140:141], v[14:15], v[8:9]
	v_fma_f64 v[8:9], v[12:13], v[8:9], -v[10:11]
	v_add_f64_e32 v[144:145], v[134:135], v[132:133]
	v_add_f64_e32 v[136:137], v[136:137], v[138:139]
	ds_load_b128 v[4:7], v2 offset:1728
	ds_load_b128 v[132:135], v2 offset:1744
	s_wait_loadcnt_dscnt 0x101
	v_mul_f64_e32 v[2:3], v[4:5], v[166:167]
	v_mul_f64_e32 v[138:139], v[6:7], v[166:167]
	s_wait_loadcnt_dscnt 0x0
	v_mul_f64_e32 v[14:15], v[132:133], v[130:131]
	v_mul_f64_e32 v[130:131], v[134:135], v[130:131]
	v_add_f64_e32 v[10:11], v[144:145], v[142:143]
	v_add_f64_e32 v[12:13], v[136:137], v[148:149]
	v_fmac_f64_e32 v[2:3], v[6:7], v[164:165]
	v_fma_f64 v[4:5], v[4:5], v[164:165], -v[138:139]
	v_fmac_f64_e32 v[14:15], v[134:135], v[128:129]
	v_add_f64_e32 v[6:7], v[10:11], v[8:9]
	v_add_f64_e32 v[8:9], v[12:13], v[140:141]
	v_fma_f64 v[10:11], v[132:133], v[128:129], -v[130:131]
	s_delay_alu instid0(VALU_DEP_3) | instskip(NEXT) | instid1(VALU_DEP_3)
	v_add_f64_e32 v[4:5], v[6:7], v[4:5]
	v_add_f64_e32 v[2:3], v[8:9], v[2:3]
	s_delay_alu instid0(VALU_DEP_2) | instskip(NEXT) | instid1(VALU_DEP_2)
	v_add_f64_e32 v[4:5], v[4:5], v[10:11]
	v_add_f64_e32 v[6:7], v[2:3], v[14:15]
	s_delay_alu instid0(VALU_DEP_2) | instskip(NEXT) | instid1(VALU_DEP_2)
	v_add_f64_e64 v[2:3], v[168:169], -v[4:5]
	v_add_f64_e64 v[4:5], v[170:171], -v[6:7]
	scratch_store_b128 off, v[2:5], off offset:224
	s_wait_xcnt 0x0
	v_cmpx_lt_u32_e32 13, v1
	s_cbranch_execz .LBB54_317
; %bb.316:
	scratch_load_b128 v[2:5], off, s64
	v_mov_b32_e32 v6, 0
	s_delay_alu instid0(VALU_DEP_1)
	v_dual_mov_b32 v7, v6 :: v_dual_mov_b32 v8, v6
	v_mov_b32_e32 v9, v6
	scratch_store_b128 off, v[6:9], off offset:208
	s_wait_loadcnt 0x0
	ds_store_b128 v126, v[2:5]
.LBB54_317:
	s_wait_xcnt 0x0
	s_or_b32 exec_lo, exec_lo, s2
	s_wait_storecnt_dscnt 0x0
	s_barrier_signal -1
	s_barrier_wait -1
	s_clause 0x9
	scratch_load_b128 v[4:7], off, off offset:224
	scratch_load_b128 v[8:11], off, off offset:240
	scratch_load_b128 v[12:15], off, off offset:256
	scratch_load_b128 v[128:131], off, off offset:272
	scratch_load_b128 v[132:135], off, off offset:288
	scratch_load_b128 v[136:139], off, off offset:304
	scratch_load_b128 v[140:143], off, off offset:320
	scratch_load_b128 v[144:147], off, off offset:336
	scratch_load_b128 v[148:151], off, off offset:352
	scratch_load_b128 v[152:155], off, off offset:368
	v_mov_b32_e32 v2, 0
	s_mov_b32 s2, exec_lo
	ds_load_b128 v[156:159], v2 offset:1104
	s_clause 0x2
	scratch_load_b128 v[160:163], off, off offset:384
	scratch_load_b128 v[164:167], off, off offset:208
	;; [unrolled: 1-line block ×3, first 2 shown]
	s_wait_loadcnt_dscnt 0xc00
	v_mul_f64_e32 v[176:177], v[158:159], v[6:7]
	v_mul_f64_e32 v[180:181], v[156:157], v[6:7]
	ds_load_b128 v[168:171], v2 offset:1120
	v_fma_f64 v[184:185], v[156:157], v[4:5], -v[176:177]
	v_fmac_f64_e32 v[180:181], v[158:159], v[4:5]
	ds_load_b128 v[4:7], v2 offset:1136
	s_wait_loadcnt_dscnt 0xb01
	v_mul_f64_e32 v[182:183], v[168:169], v[10:11]
	v_mul_f64_e32 v[10:11], v[170:171], v[10:11]
	scratch_load_b128 v[156:159], off, off offset:416
	ds_load_b128 v[176:179], v2 offset:1152
	s_wait_loadcnt_dscnt 0xb01
	v_mul_f64_e32 v[186:187], v[4:5], v[14:15]
	v_mul_f64_e32 v[14:15], v[6:7], v[14:15]
	v_add_f64_e32 v[180:181], 0, v[180:181]
	v_fmac_f64_e32 v[182:183], v[170:171], v[8:9]
	v_fma_f64 v[168:169], v[168:169], v[8:9], -v[10:11]
	v_add_f64_e32 v[170:171], 0, v[184:185]
	scratch_load_b128 v[8:11], off, off offset:432
	v_fmac_f64_e32 v[186:187], v[6:7], v[12:13]
	v_fma_f64 v[188:189], v[4:5], v[12:13], -v[14:15]
	ds_load_b128 v[4:7], v2 offset:1168
	s_wait_loadcnt_dscnt 0xb01
	v_mul_f64_e32 v[184:185], v[176:177], v[130:131]
	v_mul_f64_e32 v[130:131], v[178:179], v[130:131]
	scratch_load_b128 v[12:15], off, off offset:448
	v_add_f64_e32 v[180:181], v[180:181], v[182:183]
	v_add_f64_e32 v[190:191], v[170:171], v[168:169]
	ds_load_b128 v[168:171], v2 offset:1184
	s_wait_loadcnt_dscnt 0xb01
	v_mul_f64_e32 v[182:183], v[4:5], v[134:135]
	v_mul_f64_e32 v[134:135], v[6:7], v[134:135]
	v_fmac_f64_e32 v[184:185], v[178:179], v[128:129]
	v_fma_f64 v[176:177], v[176:177], v[128:129], -v[130:131]
	scratch_load_b128 v[128:131], off, off offset:464
	v_add_f64_e32 v[180:181], v[180:181], v[186:187]
	v_add_f64_e32 v[178:179], v[190:191], v[188:189]
	v_fmac_f64_e32 v[182:183], v[6:7], v[132:133]
	v_fma_f64 v[188:189], v[4:5], v[132:133], -v[134:135]
	ds_load_b128 v[4:7], v2 offset:1200
	s_wait_loadcnt_dscnt 0xb01
	v_mul_f64_e32 v[186:187], v[168:169], v[138:139]
	v_mul_f64_e32 v[138:139], v[170:171], v[138:139]
	scratch_load_b128 v[132:135], off, off offset:480
	v_add_f64_e32 v[180:181], v[180:181], v[184:185]
	s_wait_loadcnt_dscnt 0xb00
	v_mul_f64_e32 v[184:185], v[4:5], v[142:143]
	v_add_f64_e32 v[190:191], v[178:179], v[176:177]
	v_mul_f64_e32 v[142:143], v[6:7], v[142:143]
	ds_load_b128 v[176:179], v2 offset:1216
	v_fmac_f64_e32 v[186:187], v[170:171], v[136:137]
	v_fma_f64 v[168:169], v[168:169], v[136:137], -v[138:139]
	scratch_load_b128 v[136:139], off, off offset:496
	v_add_f64_e32 v[180:181], v[180:181], v[182:183]
	v_fmac_f64_e32 v[184:185], v[6:7], v[140:141]
	v_add_f64_e32 v[170:171], v[190:191], v[188:189]
	v_fma_f64 v[188:189], v[4:5], v[140:141], -v[142:143]
	ds_load_b128 v[4:7], v2 offset:1232
	s_wait_loadcnt_dscnt 0xb01
	v_mul_f64_e32 v[182:183], v[176:177], v[146:147]
	v_mul_f64_e32 v[146:147], v[178:179], v[146:147]
	scratch_load_b128 v[140:143], off, off offset:512
	v_add_f64_e32 v[180:181], v[180:181], v[186:187]
	s_wait_loadcnt_dscnt 0xb00
	v_mul_f64_e32 v[186:187], v[4:5], v[150:151]
	v_add_f64_e32 v[190:191], v[170:171], v[168:169]
	v_mul_f64_e32 v[150:151], v[6:7], v[150:151]
	ds_load_b128 v[168:171], v2 offset:1248
	v_fmac_f64_e32 v[182:183], v[178:179], v[144:145]
	v_fma_f64 v[176:177], v[176:177], v[144:145], -v[146:147]
	scratch_load_b128 v[144:147], off, off offset:528
	v_add_f64_e32 v[180:181], v[180:181], v[184:185]
	v_fmac_f64_e32 v[186:187], v[6:7], v[148:149]
	v_add_f64_e32 v[178:179], v[190:191], v[188:189]
	;; [unrolled: 18-line block ×3, first 2 shown]
	v_fma_f64 v[188:189], v[4:5], v[160:161], -v[162:163]
	ds_load_b128 v[4:7], v2 offset:1296
	s_wait_loadcnt_dscnt 0xa01
	v_mul_f64_e32 v[186:187], v[176:177], v[174:175]
	v_mul_f64_e32 v[174:175], v[178:179], v[174:175]
	scratch_load_b128 v[160:163], off, off offset:576
	v_add_f64_e32 v[180:181], v[180:181], v[184:185]
	v_add_f64_e32 v[190:191], v[170:171], v[168:169]
	s_wait_loadcnt_dscnt 0xa00
	v_mul_f64_e32 v[184:185], v[4:5], v[158:159]
	v_mul_f64_e32 v[158:159], v[6:7], v[158:159]
	v_fmac_f64_e32 v[186:187], v[178:179], v[172:173]
	v_fma_f64 v[176:177], v[176:177], v[172:173], -v[174:175]
	ds_load_b128 v[168:171], v2 offset:1312
	scratch_load_b128 v[172:175], off, off offset:592
	v_add_f64_e32 v[180:181], v[180:181], v[182:183]
	v_add_f64_e32 v[178:179], v[190:191], v[188:189]
	v_fmac_f64_e32 v[184:185], v[6:7], v[156:157]
	v_fma_f64 v[188:189], v[4:5], v[156:157], -v[158:159]
	ds_load_b128 v[4:7], v2 offset:1328
	s_wait_loadcnt_dscnt 0xa01
	v_mul_f64_e32 v[182:183], v[168:169], v[10:11]
	v_mul_f64_e32 v[10:11], v[170:171], v[10:11]
	scratch_load_b128 v[156:159], off, off offset:608
	v_add_f64_e32 v[180:181], v[180:181], v[186:187]
	s_wait_loadcnt_dscnt 0xa00
	v_mul_f64_e32 v[186:187], v[4:5], v[14:15]
	v_add_f64_e32 v[190:191], v[178:179], v[176:177]
	v_mul_f64_e32 v[14:15], v[6:7], v[14:15]
	ds_load_b128 v[176:179], v2 offset:1344
	v_fmac_f64_e32 v[182:183], v[170:171], v[8:9]
	v_fma_f64 v[168:169], v[168:169], v[8:9], -v[10:11]
	scratch_load_b128 v[8:11], off, off offset:624
	v_add_f64_e32 v[180:181], v[180:181], v[184:185]
	v_fmac_f64_e32 v[186:187], v[6:7], v[12:13]
	v_add_f64_e32 v[170:171], v[190:191], v[188:189]
	v_fma_f64 v[188:189], v[4:5], v[12:13], -v[14:15]
	ds_load_b128 v[4:7], v2 offset:1360
	s_wait_loadcnt_dscnt 0xa01
	v_mul_f64_e32 v[184:185], v[176:177], v[130:131]
	v_mul_f64_e32 v[130:131], v[178:179], v[130:131]
	scratch_load_b128 v[12:15], off, off offset:640
	v_add_f64_e32 v[180:181], v[180:181], v[182:183]
	s_wait_loadcnt_dscnt 0xa00
	v_mul_f64_e32 v[182:183], v[4:5], v[134:135]
	v_add_f64_e32 v[190:191], v[170:171], v[168:169]
	v_mul_f64_e32 v[134:135], v[6:7], v[134:135]
	ds_load_b128 v[168:171], v2 offset:1376
	v_fmac_f64_e32 v[184:185], v[178:179], v[128:129]
	v_fma_f64 v[176:177], v[176:177], v[128:129], -v[130:131]
	scratch_load_b128 v[128:131], off, off offset:656
	v_add_f64_e32 v[180:181], v[180:181], v[186:187]
	v_fmac_f64_e32 v[182:183], v[6:7], v[132:133]
	v_add_f64_e32 v[178:179], v[190:191], v[188:189]
	;; [unrolled: 18-line block ×8, first 2 shown]
	v_fma_f64 v[188:189], v[4:5], v[132:133], -v[134:135]
	ds_load_b128 v[4:7], v2 offset:1584
	s_wait_loadcnt_dscnt 0xa01
	v_mul_f64_e32 v[186:187], v[168:169], v[138:139]
	v_mul_f64_e32 v[138:139], v[170:171], v[138:139]
	scratch_load_b128 v[132:135], off, off offset:864
	v_add_f64_e32 v[180:181], v[180:181], v[184:185]
	s_wait_loadcnt_dscnt 0xa00
	v_mul_f64_e32 v[184:185], v[4:5], v[142:143]
	v_add_f64_e32 v[190:191], v[178:179], v[176:177]
	v_mul_f64_e32 v[142:143], v[6:7], v[142:143]
	ds_load_b128 v[176:179], v2 offset:1600
	v_fmac_f64_e32 v[186:187], v[170:171], v[136:137]
	v_fma_f64 v[136:137], v[168:169], v[136:137], -v[138:139]
	s_wait_loadcnt_dscnt 0x900
	v_mul_f64_e32 v[170:171], v[176:177], v[146:147]
	v_mul_f64_e32 v[146:147], v[178:179], v[146:147]
	v_add_f64_e32 v[168:169], v[180:181], v[182:183]
	v_fmac_f64_e32 v[184:185], v[6:7], v[140:141]
	v_add_f64_e32 v[138:139], v[190:191], v[188:189]
	v_fma_f64 v[140:141], v[4:5], v[140:141], -v[142:143]
	v_fmac_f64_e32 v[170:171], v[178:179], v[144:145]
	v_fma_f64 v[144:145], v[176:177], v[144:145], -v[146:147]
	v_add_f64_e32 v[168:169], v[168:169], v[186:187]
	v_add_f64_e32 v[142:143], v[138:139], v[136:137]
	ds_load_b128 v[4:7], v2 offset:1616
	ds_load_b128 v[136:139], v2 offset:1632
	s_wait_loadcnt_dscnt 0x801
	v_mul_f64_e32 v[180:181], v[4:5], v[150:151]
	v_mul_f64_e32 v[150:151], v[6:7], v[150:151]
	s_wait_loadcnt_dscnt 0x700
	v_mul_f64_e32 v[146:147], v[136:137], v[154:155]
	v_mul_f64_e32 v[154:155], v[138:139], v[154:155]
	v_add_f64_e32 v[140:141], v[142:143], v[140:141]
	v_add_f64_e32 v[142:143], v[168:169], v[184:185]
	v_fmac_f64_e32 v[180:181], v[6:7], v[148:149]
	v_fma_f64 v[148:149], v[4:5], v[148:149], -v[150:151]
	v_fmac_f64_e32 v[146:147], v[138:139], v[152:153]
	v_fma_f64 v[136:137], v[136:137], v[152:153], -v[154:155]
	v_add_f64_e32 v[144:145], v[140:141], v[144:145]
	v_add_f64_e32 v[150:151], v[142:143], v[170:171]
	ds_load_b128 v[4:7], v2 offset:1648
	ds_load_b128 v[140:143], v2 offset:1664
	s_wait_loadcnt_dscnt 0x601
	v_mul_f64_e32 v[168:169], v[4:5], v[162:163]
	v_mul_f64_e32 v[162:163], v[6:7], v[162:163]
	v_add_f64_e32 v[138:139], v[144:145], v[148:149]
	v_add_f64_e32 v[144:145], v[150:151], v[180:181]
	s_wait_loadcnt_dscnt 0x500
	v_mul_f64_e32 v[148:149], v[140:141], v[174:175]
	v_mul_f64_e32 v[150:151], v[142:143], v[174:175]
	v_fmac_f64_e32 v[168:169], v[6:7], v[160:161]
	v_fma_f64 v[152:153], v[4:5], v[160:161], -v[162:163]
	v_add_f64_e32 v[154:155], v[138:139], v[136:137]
	v_add_f64_e32 v[144:145], v[144:145], v[146:147]
	ds_load_b128 v[4:7], v2 offset:1680
	ds_load_b128 v[136:139], v2 offset:1696
	v_fmac_f64_e32 v[148:149], v[142:143], v[172:173]
	v_fma_f64 v[140:141], v[140:141], v[172:173], -v[150:151]
	s_wait_loadcnt_dscnt 0x401
	v_mul_f64_e32 v[146:147], v[4:5], v[158:159]
	v_mul_f64_e32 v[158:159], v[6:7], v[158:159]
	s_wait_loadcnt_dscnt 0x300
	v_mul_f64_e32 v[150:151], v[136:137], v[10:11]
	v_mul_f64_e32 v[10:11], v[138:139], v[10:11]
	v_add_f64_e32 v[142:143], v[154:155], v[152:153]
	v_add_f64_e32 v[144:145], v[144:145], v[168:169]
	v_fmac_f64_e32 v[146:147], v[6:7], v[156:157]
	v_fma_f64 v[152:153], v[4:5], v[156:157], -v[158:159]
	v_fmac_f64_e32 v[150:151], v[138:139], v[8:9]
	v_fma_f64 v[8:9], v[136:137], v[8:9], -v[10:11]
	v_add_f64_e32 v[154:155], v[142:143], v[140:141]
	v_add_f64_e32 v[144:145], v[144:145], v[148:149]
	ds_load_b128 v[4:7], v2 offset:1712
	ds_load_b128 v[140:143], v2 offset:1728
	s_wait_loadcnt_dscnt 0x201
	v_mul_f64_e32 v[148:149], v[4:5], v[14:15]
	v_mul_f64_e32 v[14:15], v[6:7], v[14:15]
	s_wait_loadcnt_dscnt 0x100
	v_mul_f64_e32 v[138:139], v[140:141], v[130:131]
	v_mul_f64_e32 v[130:131], v[142:143], v[130:131]
	v_add_f64_e32 v[10:11], v[154:155], v[152:153]
	v_add_f64_e32 v[136:137], v[144:145], v[146:147]
	v_fmac_f64_e32 v[148:149], v[6:7], v[12:13]
	v_fma_f64 v[12:13], v[4:5], v[12:13], -v[14:15]
	ds_load_b128 v[4:7], v2 offset:1744
	v_fmac_f64_e32 v[138:139], v[142:143], v[128:129]
	v_fma_f64 v[128:129], v[140:141], v[128:129], -v[130:131]
	v_add_f64_e32 v[8:9], v[10:11], v[8:9]
	v_add_f64_e32 v[10:11], v[136:137], v[150:151]
	s_wait_loadcnt_dscnt 0x0
	v_mul_f64_e32 v[14:15], v[4:5], v[134:135]
	v_mul_f64_e32 v[134:135], v[6:7], v[134:135]
	s_delay_alu instid0(VALU_DEP_4) | instskip(NEXT) | instid1(VALU_DEP_4)
	v_add_f64_e32 v[8:9], v[8:9], v[12:13]
	v_add_f64_e32 v[10:11], v[10:11], v[148:149]
	s_delay_alu instid0(VALU_DEP_4) | instskip(NEXT) | instid1(VALU_DEP_4)
	v_fmac_f64_e32 v[14:15], v[6:7], v[132:133]
	v_fma_f64 v[4:5], v[4:5], v[132:133], -v[134:135]
	s_delay_alu instid0(VALU_DEP_4) | instskip(NEXT) | instid1(VALU_DEP_4)
	v_add_f64_e32 v[6:7], v[8:9], v[128:129]
	v_add_f64_e32 v[8:9], v[10:11], v[138:139]
	s_delay_alu instid0(VALU_DEP_2) | instskip(NEXT) | instid1(VALU_DEP_2)
	v_add_f64_e32 v[4:5], v[6:7], v[4:5]
	v_add_f64_e32 v[6:7], v[8:9], v[14:15]
	s_delay_alu instid0(VALU_DEP_2) | instskip(NEXT) | instid1(VALU_DEP_2)
	v_add_f64_e64 v[4:5], v[164:165], -v[4:5]
	v_add_f64_e64 v[6:7], v[166:167], -v[6:7]
	scratch_store_b128 off, v[4:7], off offset:208
	s_wait_xcnt 0x0
	v_cmpx_lt_u32_e32 12, v1
	s_cbranch_execz .LBB54_319
; %bb.318:
	scratch_load_b128 v[6:9], off, s62
	v_dual_mov_b32 v3, v2 :: v_dual_mov_b32 v4, v2
	v_mov_b32_e32 v5, v2
	scratch_store_b128 off, v[2:5], off offset:192
	s_wait_loadcnt 0x0
	ds_store_b128 v126, v[6:9]
.LBB54_319:
	s_wait_xcnt 0x0
	s_or_b32 exec_lo, exec_lo, s2
	s_wait_storecnt_dscnt 0x0
	s_barrier_signal -1
	s_barrier_wait -1
	s_clause 0x9
	scratch_load_b128 v[4:7], off, off offset:208
	scratch_load_b128 v[8:11], off, off offset:224
	scratch_load_b128 v[12:15], off, off offset:240
	scratch_load_b128 v[128:131], off, off offset:256
	scratch_load_b128 v[132:135], off, off offset:272
	scratch_load_b128 v[136:139], off, off offset:288
	scratch_load_b128 v[140:143], off, off offset:304
	scratch_load_b128 v[144:147], off, off offset:320
	scratch_load_b128 v[148:151], off, off offset:336
	scratch_load_b128 v[152:155], off, off offset:352
	ds_load_b128 v[156:159], v2 offset:1088
	ds_load_b128 v[164:167], v2 offset:1104
	s_clause 0x2
	scratch_load_b128 v[160:163], off, off offset:368
	scratch_load_b128 v[168:171], off, off offset:192
	scratch_load_b128 v[172:175], off, off offset:384
	s_mov_b32 s2, exec_lo
	s_wait_loadcnt_dscnt 0xc01
	v_mul_f64_e32 v[176:177], v[158:159], v[6:7]
	v_mul_f64_e32 v[180:181], v[156:157], v[6:7]
	s_wait_loadcnt_dscnt 0xb00
	v_mul_f64_e32 v[182:183], v[164:165], v[10:11]
	v_mul_f64_e32 v[10:11], v[166:167], v[10:11]
	s_delay_alu instid0(VALU_DEP_4) | instskip(NEXT) | instid1(VALU_DEP_4)
	v_fma_f64 v[184:185], v[156:157], v[4:5], -v[176:177]
	v_fmac_f64_e32 v[180:181], v[158:159], v[4:5]
	ds_load_b128 v[4:7], v2 offset:1120
	ds_load_b128 v[156:159], v2 offset:1136
	scratch_load_b128 v[176:179], off, off offset:400
	v_fmac_f64_e32 v[182:183], v[166:167], v[8:9]
	v_fma_f64 v[164:165], v[164:165], v[8:9], -v[10:11]
	scratch_load_b128 v[8:11], off, off offset:416
	s_wait_loadcnt_dscnt 0xc01
	v_mul_f64_e32 v[186:187], v[4:5], v[14:15]
	v_mul_f64_e32 v[14:15], v[6:7], v[14:15]
	v_add_f64_e32 v[166:167], 0, v[184:185]
	v_add_f64_e32 v[180:181], 0, v[180:181]
	s_wait_loadcnt_dscnt 0xb00
	v_mul_f64_e32 v[184:185], v[156:157], v[130:131]
	v_mul_f64_e32 v[130:131], v[158:159], v[130:131]
	v_fmac_f64_e32 v[186:187], v[6:7], v[12:13]
	v_fma_f64 v[188:189], v[4:5], v[12:13], -v[14:15]
	ds_load_b128 v[4:7], v2 offset:1152
	ds_load_b128 v[12:15], v2 offset:1168
	v_add_f64_e32 v[190:191], v[166:167], v[164:165]
	v_add_f64_e32 v[180:181], v[180:181], v[182:183]
	scratch_load_b128 v[164:167], off, off offset:432
	v_fmac_f64_e32 v[184:185], v[158:159], v[128:129]
	v_fma_f64 v[156:157], v[156:157], v[128:129], -v[130:131]
	scratch_load_b128 v[128:131], off, off offset:448
	s_wait_loadcnt_dscnt 0xc01
	v_mul_f64_e32 v[182:183], v[4:5], v[134:135]
	v_mul_f64_e32 v[134:135], v[6:7], v[134:135]
	v_add_f64_e32 v[158:159], v[190:191], v[188:189]
	v_add_f64_e32 v[180:181], v[180:181], v[186:187]
	s_wait_loadcnt_dscnt 0xb00
	v_mul_f64_e32 v[186:187], v[12:13], v[138:139]
	v_mul_f64_e32 v[138:139], v[14:15], v[138:139]
	v_fmac_f64_e32 v[182:183], v[6:7], v[132:133]
	v_fma_f64 v[188:189], v[4:5], v[132:133], -v[134:135]
	ds_load_b128 v[4:7], v2 offset:1184
	ds_load_b128 v[132:135], v2 offset:1200
	v_add_f64_e32 v[190:191], v[158:159], v[156:157]
	v_add_f64_e32 v[180:181], v[180:181], v[184:185]
	scratch_load_b128 v[156:159], off, off offset:464
	s_wait_loadcnt_dscnt 0xb01
	v_mul_f64_e32 v[184:185], v[4:5], v[142:143]
	v_mul_f64_e32 v[142:143], v[6:7], v[142:143]
	v_fmac_f64_e32 v[186:187], v[14:15], v[136:137]
	v_fma_f64 v[136:137], v[12:13], v[136:137], -v[138:139]
	scratch_load_b128 v[12:15], off, off offset:480
	v_add_f64_e32 v[138:139], v[190:191], v[188:189]
	v_add_f64_e32 v[180:181], v[180:181], v[182:183]
	s_wait_loadcnt_dscnt 0xb00
	v_mul_f64_e32 v[182:183], v[132:133], v[146:147]
	v_mul_f64_e32 v[146:147], v[134:135], v[146:147]
	v_fmac_f64_e32 v[184:185], v[6:7], v[140:141]
	v_fma_f64 v[188:189], v[4:5], v[140:141], -v[142:143]
	v_add_f64_e32 v[190:191], v[138:139], v[136:137]
	v_add_f64_e32 v[180:181], v[180:181], v[186:187]
	ds_load_b128 v[4:7], v2 offset:1216
	ds_load_b128 v[136:139], v2 offset:1232
	scratch_load_b128 v[140:143], off, off offset:496
	v_fmac_f64_e32 v[182:183], v[134:135], v[144:145]
	v_fma_f64 v[144:145], v[132:133], v[144:145], -v[146:147]
	scratch_load_b128 v[132:135], off, off offset:512
	s_wait_loadcnt_dscnt 0xc01
	v_mul_f64_e32 v[186:187], v[4:5], v[150:151]
	v_mul_f64_e32 v[150:151], v[6:7], v[150:151]
	v_add_f64_e32 v[146:147], v[190:191], v[188:189]
	v_add_f64_e32 v[180:181], v[180:181], v[184:185]
	s_wait_loadcnt_dscnt 0xb00
	v_mul_f64_e32 v[184:185], v[136:137], v[154:155]
	v_mul_f64_e32 v[154:155], v[138:139], v[154:155]
	v_fmac_f64_e32 v[186:187], v[6:7], v[148:149]
	v_fma_f64 v[188:189], v[4:5], v[148:149], -v[150:151]
	v_add_f64_e32 v[190:191], v[146:147], v[144:145]
	v_add_f64_e32 v[180:181], v[180:181], v[182:183]
	ds_load_b128 v[4:7], v2 offset:1248
	ds_load_b128 v[144:147], v2 offset:1264
	scratch_load_b128 v[148:151], off, off offset:528
	v_fmac_f64_e32 v[184:185], v[138:139], v[152:153]
	v_fma_f64 v[152:153], v[136:137], v[152:153], -v[154:155]
	scratch_load_b128 v[136:139], off, off offset:544
	s_wait_loadcnt_dscnt 0xc01
	v_mul_f64_e32 v[182:183], v[4:5], v[162:163]
	v_mul_f64_e32 v[162:163], v[6:7], v[162:163]
	;; [unrolled: 18-line block ×5, first 2 shown]
	v_add_f64_e32 v[174:175], v[190:191], v[188:189]
	v_add_f64_e32 v[180:181], v[180:181], v[186:187]
	s_wait_loadcnt_dscnt 0xa00
	v_mul_f64_e32 v[186:187], v[152:153], v[14:15]
	v_mul_f64_e32 v[14:15], v[154:155], v[14:15]
	v_fmac_f64_e32 v[182:183], v[6:7], v[156:157]
	v_fma_f64 v[188:189], v[4:5], v[156:157], -v[158:159]
	ds_load_b128 v[4:7], v2 offset:1376
	ds_load_b128 v[156:159], v2 offset:1392
	v_add_f64_e32 v[190:191], v[174:175], v[172:173]
	v_add_f64_e32 v[180:181], v[180:181], v[184:185]
	scratch_load_b128 v[172:175], off, off offset:656
	v_fmac_f64_e32 v[186:187], v[154:155], v[12:13]
	v_fma_f64 v[152:153], v[152:153], v[12:13], -v[14:15]
	scratch_load_b128 v[12:15], off, off offset:672
	s_wait_loadcnt_dscnt 0xb01
	v_mul_f64_e32 v[184:185], v[4:5], v[142:143]
	v_mul_f64_e32 v[142:143], v[6:7], v[142:143]
	v_add_f64_e32 v[154:155], v[190:191], v[188:189]
	v_add_f64_e32 v[180:181], v[180:181], v[182:183]
	s_wait_loadcnt_dscnt 0xa00
	v_mul_f64_e32 v[182:183], v[156:157], v[134:135]
	v_mul_f64_e32 v[134:135], v[158:159], v[134:135]
	v_fmac_f64_e32 v[184:185], v[6:7], v[140:141]
	v_fma_f64 v[188:189], v[4:5], v[140:141], -v[142:143]
	ds_load_b128 v[4:7], v2 offset:1408
	ds_load_b128 v[140:143], v2 offset:1424
	v_add_f64_e32 v[190:191], v[154:155], v[152:153]
	v_add_f64_e32 v[180:181], v[180:181], v[186:187]
	scratch_load_b128 v[152:155], off, off offset:688
	s_wait_loadcnt_dscnt 0xa01
	v_mul_f64_e32 v[186:187], v[4:5], v[150:151]
	v_mul_f64_e32 v[150:151], v[6:7], v[150:151]
	v_fmac_f64_e32 v[182:183], v[158:159], v[132:133]
	v_fma_f64 v[156:157], v[156:157], v[132:133], -v[134:135]
	scratch_load_b128 v[132:135], off, off offset:704
	v_add_f64_e32 v[158:159], v[190:191], v[188:189]
	v_add_f64_e32 v[180:181], v[180:181], v[184:185]
	s_wait_loadcnt_dscnt 0xa00
	v_mul_f64_e32 v[184:185], v[140:141], v[138:139]
	v_mul_f64_e32 v[138:139], v[142:143], v[138:139]
	v_fmac_f64_e32 v[186:187], v[6:7], v[148:149]
	v_fma_f64 v[188:189], v[4:5], v[148:149], -v[150:151]
	ds_load_b128 v[4:7], v2 offset:1440
	ds_load_b128 v[148:151], v2 offset:1456
	v_add_f64_e32 v[190:191], v[158:159], v[156:157]
	v_add_f64_e32 v[180:181], v[180:181], v[182:183]
	scratch_load_b128 v[156:159], off, off offset:720
	s_wait_loadcnt_dscnt 0xa01
	v_mul_f64_e32 v[182:183], v[4:5], v[162:163]
	v_mul_f64_e32 v[162:163], v[6:7], v[162:163]
	v_fmac_f64_e32 v[184:185], v[142:143], v[136:137]
	v_fma_f64 v[140:141], v[140:141], v[136:137], -v[138:139]
	scratch_load_b128 v[136:139], off, off offset:736
	v_add_f64_e32 v[142:143], v[190:191], v[188:189]
	v_add_f64_e32 v[180:181], v[180:181], v[186:187]
	s_wait_loadcnt_dscnt 0xa00
	v_mul_f64_e32 v[186:187], v[148:149], v[146:147]
	v_mul_f64_e32 v[146:147], v[150:151], v[146:147]
	v_fmac_f64_e32 v[182:183], v[6:7], v[160:161]
	v_fma_f64 v[188:189], v[4:5], v[160:161], -v[162:163]
	v_add_f64_e32 v[190:191], v[142:143], v[140:141]
	v_add_f64_e32 v[180:181], v[180:181], v[184:185]
	ds_load_b128 v[4:7], v2 offset:1472
	ds_load_b128 v[140:143], v2 offset:1488
	scratch_load_b128 v[160:163], off, off offset:752
	v_fmac_f64_e32 v[186:187], v[150:151], v[144:145]
	v_fma_f64 v[148:149], v[148:149], v[144:145], -v[146:147]
	scratch_load_b128 v[144:147], off, off offset:768
	s_wait_loadcnt_dscnt 0xb01
	v_mul_f64_e32 v[184:185], v[4:5], v[178:179]
	v_mul_f64_e32 v[178:179], v[6:7], v[178:179]
	v_add_f64_e32 v[150:151], v[190:191], v[188:189]
	v_add_f64_e32 v[180:181], v[180:181], v[182:183]
	s_wait_loadcnt_dscnt 0xa00
	v_mul_f64_e32 v[182:183], v[140:141], v[10:11]
	v_mul_f64_e32 v[10:11], v[142:143], v[10:11]
	v_fmac_f64_e32 v[184:185], v[6:7], v[176:177]
	v_fma_f64 v[188:189], v[4:5], v[176:177], -v[178:179]
	v_add_f64_e32 v[190:191], v[150:151], v[148:149]
	v_add_f64_e32 v[180:181], v[180:181], v[186:187]
	ds_load_b128 v[4:7], v2 offset:1504
	ds_load_b128 v[148:151], v2 offset:1520
	scratch_load_b128 v[176:179], off, off offset:784
	v_fmac_f64_e32 v[182:183], v[142:143], v[8:9]
	v_fma_f64 v[140:141], v[140:141], v[8:9], -v[10:11]
	scratch_load_b128 v[8:11], off, off offset:800
	s_wait_loadcnt_dscnt 0xb01
	v_mul_f64_e32 v[186:187], v[4:5], v[166:167]
	v_mul_f64_e32 v[166:167], v[6:7], v[166:167]
	;; [unrolled: 18-line block ×4, first 2 shown]
	v_add_f64_e32 v[142:143], v[190:191], v[188:189]
	v_add_f64_e32 v[180:181], v[180:181], v[182:183]
	s_wait_loadcnt_dscnt 0xa00
	v_mul_f64_e32 v[182:183], v[148:149], v[134:135]
	v_mul_f64_e32 v[134:135], v[150:151], v[134:135]
	v_fmac_f64_e32 v[184:185], v[6:7], v[152:153]
	v_fma_f64 v[152:153], v[4:5], v[152:153], -v[154:155]
	v_add_f64_e32 v[154:155], v[142:143], v[140:141]
	v_add_f64_e32 v[180:181], v[180:181], v[186:187]
	ds_load_b128 v[4:7], v2 offset:1600
	ds_load_b128 v[140:143], v2 offset:1616
	v_fmac_f64_e32 v[182:183], v[150:151], v[132:133]
	v_fma_f64 v[132:133], v[148:149], v[132:133], -v[134:135]
	s_wait_loadcnt_dscnt 0x901
	v_mul_f64_e32 v[186:187], v[4:5], v[158:159]
	v_mul_f64_e32 v[158:159], v[6:7], v[158:159]
	s_wait_loadcnt_dscnt 0x800
	v_mul_f64_e32 v[150:151], v[140:141], v[138:139]
	v_mul_f64_e32 v[138:139], v[142:143], v[138:139]
	v_add_f64_e32 v[134:135], v[154:155], v[152:153]
	v_add_f64_e32 v[148:149], v[180:181], v[184:185]
	v_fmac_f64_e32 v[186:187], v[6:7], v[156:157]
	v_fma_f64 v[152:153], v[4:5], v[156:157], -v[158:159]
	v_fmac_f64_e32 v[150:151], v[142:143], v[136:137]
	v_fma_f64 v[136:137], v[140:141], v[136:137], -v[138:139]
	v_add_f64_e32 v[154:155], v[134:135], v[132:133]
	v_add_f64_e32 v[148:149], v[148:149], v[182:183]
	ds_load_b128 v[4:7], v2 offset:1632
	ds_load_b128 v[132:135], v2 offset:1648
	s_wait_loadcnt_dscnt 0x701
	v_mul_f64_e32 v[156:157], v[4:5], v[162:163]
	v_mul_f64_e32 v[158:159], v[6:7], v[162:163]
	s_wait_loadcnt_dscnt 0x600
	v_mul_f64_e32 v[142:143], v[132:133], v[146:147]
	v_mul_f64_e32 v[146:147], v[134:135], v[146:147]
	v_add_f64_e32 v[138:139], v[154:155], v[152:153]
	v_add_f64_e32 v[140:141], v[148:149], v[186:187]
	v_fmac_f64_e32 v[156:157], v[6:7], v[160:161]
	v_fma_f64 v[148:149], v[4:5], v[160:161], -v[158:159]
	v_fmac_f64_e32 v[142:143], v[134:135], v[144:145]
	v_fma_f64 v[132:133], v[132:133], v[144:145], -v[146:147]
	v_add_f64_e32 v[152:153], v[138:139], v[136:137]
	v_add_f64_e32 v[140:141], v[140:141], v[150:151]
	ds_load_b128 v[4:7], v2 offset:1664
	ds_load_b128 v[136:139], v2 offset:1680
	;; [unrolled: 16-line block ×4, first 2 shown]
	s_wait_loadcnt_dscnt 0x101
	v_mul_f64_e32 v[2:3], v[4:5], v[174:175]
	v_mul_f64_e32 v[144:145], v[6:7], v[174:175]
	s_wait_loadcnt_dscnt 0x0
	v_mul_f64_e32 v[134:135], v[8:9], v[14:15]
	v_mul_f64_e32 v[14:15], v[10:11], v[14:15]
	v_add_f64_e32 v[130:131], v[146:147], v[140:141]
	v_add_f64_e32 v[132:133], v[136:137], v[142:143]
	v_fmac_f64_e32 v[2:3], v[6:7], v[172:173]
	v_fma_f64 v[4:5], v[4:5], v[172:173], -v[144:145]
	v_fmac_f64_e32 v[134:135], v[10:11], v[12:13]
	v_fma_f64 v[8:9], v[8:9], v[12:13], -v[14:15]
	v_add_f64_e32 v[6:7], v[130:131], v[128:129]
	v_add_f64_e32 v[128:129], v[132:133], v[138:139]
	s_delay_alu instid0(VALU_DEP_2) | instskip(NEXT) | instid1(VALU_DEP_2)
	v_add_f64_e32 v[4:5], v[6:7], v[4:5]
	v_add_f64_e32 v[2:3], v[128:129], v[2:3]
	s_delay_alu instid0(VALU_DEP_2) | instskip(NEXT) | instid1(VALU_DEP_2)
	;; [unrolled: 3-line block ×3, first 2 shown]
	v_add_f64_e64 v[2:3], v[168:169], -v[4:5]
	v_add_f64_e64 v[4:5], v[170:171], -v[6:7]
	scratch_store_b128 off, v[2:5], off offset:192
	s_wait_xcnt 0x0
	v_cmpx_lt_u32_e32 11, v1
	s_cbranch_execz .LBB54_321
; %bb.320:
	scratch_load_b128 v[2:5], off, s59
	v_mov_b32_e32 v6, 0
	s_delay_alu instid0(VALU_DEP_1)
	v_dual_mov_b32 v7, v6 :: v_dual_mov_b32 v8, v6
	v_mov_b32_e32 v9, v6
	scratch_store_b128 off, v[6:9], off offset:176
	s_wait_loadcnt 0x0
	ds_store_b128 v126, v[2:5]
.LBB54_321:
	s_wait_xcnt 0x0
	s_or_b32 exec_lo, exec_lo, s2
	s_wait_storecnt_dscnt 0x0
	s_barrier_signal -1
	s_barrier_wait -1
	s_clause 0x9
	scratch_load_b128 v[4:7], off, off offset:192
	scratch_load_b128 v[8:11], off, off offset:208
	;; [unrolled: 1-line block ×10, first 2 shown]
	v_mov_b32_e32 v2, 0
	s_mov_b32 s2, exec_lo
	ds_load_b128 v[156:159], v2 offset:1072
	s_clause 0x2
	scratch_load_b128 v[160:163], off, off offset:352
	scratch_load_b128 v[164:167], off, off offset:176
	;; [unrolled: 1-line block ×3, first 2 shown]
	s_wait_loadcnt_dscnt 0xc00
	v_mul_f64_e32 v[176:177], v[158:159], v[6:7]
	v_mul_f64_e32 v[180:181], v[156:157], v[6:7]
	ds_load_b128 v[168:171], v2 offset:1088
	v_fma_f64 v[184:185], v[156:157], v[4:5], -v[176:177]
	v_fmac_f64_e32 v[180:181], v[158:159], v[4:5]
	ds_load_b128 v[4:7], v2 offset:1104
	s_wait_loadcnt_dscnt 0xb01
	v_mul_f64_e32 v[182:183], v[168:169], v[10:11]
	v_mul_f64_e32 v[10:11], v[170:171], v[10:11]
	scratch_load_b128 v[156:159], off, off offset:384
	ds_load_b128 v[176:179], v2 offset:1120
	s_wait_loadcnt_dscnt 0xb01
	v_mul_f64_e32 v[186:187], v[4:5], v[14:15]
	v_mul_f64_e32 v[14:15], v[6:7], v[14:15]
	v_add_f64_e32 v[180:181], 0, v[180:181]
	v_fmac_f64_e32 v[182:183], v[170:171], v[8:9]
	v_fma_f64 v[168:169], v[168:169], v[8:9], -v[10:11]
	v_add_f64_e32 v[170:171], 0, v[184:185]
	scratch_load_b128 v[8:11], off, off offset:400
	v_fmac_f64_e32 v[186:187], v[6:7], v[12:13]
	v_fma_f64 v[188:189], v[4:5], v[12:13], -v[14:15]
	ds_load_b128 v[4:7], v2 offset:1136
	s_wait_loadcnt_dscnt 0xb01
	v_mul_f64_e32 v[184:185], v[176:177], v[130:131]
	v_mul_f64_e32 v[130:131], v[178:179], v[130:131]
	scratch_load_b128 v[12:15], off, off offset:416
	v_add_f64_e32 v[180:181], v[180:181], v[182:183]
	v_add_f64_e32 v[190:191], v[170:171], v[168:169]
	ds_load_b128 v[168:171], v2 offset:1152
	s_wait_loadcnt_dscnt 0xb01
	v_mul_f64_e32 v[182:183], v[4:5], v[134:135]
	v_mul_f64_e32 v[134:135], v[6:7], v[134:135]
	v_fmac_f64_e32 v[184:185], v[178:179], v[128:129]
	v_fma_f64 v[176:177], v[176:177], v[128:129], -v[130:131]
	scratch_load_b128 v[128:131], off, off offset:432
	v_add_f64_e32 v[180:181], v[180:181], v[186:187]
	v_add_f64_e32 v[178:179], v[190:191], v[188:189]
	v_fmac_f64_e32 v[182:183], v[6:7], v[132:133]
	v_fma_f64 v[188:189], v[4:5], v[132:133], -v[134:135]
	ds_load_b128 v[4:7], v2 offset:1168
	s_wait_loadcnt_dscnt 0xb01
	v_mul_f64_e32 v[186:187], v[168:169], v[138:139]
	v_mul_f64_e32 v[138:139], v[170:171], v[138:139]
	scratch_load_b128 v[132:135], off, off offset:448
	v_add_f64_e32 v[180:181], v[180:181], v[184:185]
	s_wait_loadcnt_dscnt 0xb00
	v_mul_f64_e32 v[184:185], v[4:5], v[142:143]
	v_add_f64_e32 v[190:191], v[178:179], v[176:177]
	v_mul_f64_e32 v[142:143], v[6:7], v[142:143]
	ds_load_b128 v[176:179], v2 offset:1184
	v_fmac_f64_e32 v[186:187], v[170:171], v[136:137]
	v_fma_f64 v[168:169], v[168:169], v[136:137], -v[138:139]
	scratch_load_b128 v[136:139], off, off offset:464
	v_add_f64_e32 v[180:181], v[180:181], v[182:183]
	v_fmac_f64_e32 v[184:185], v[6:7], v[140:141]
	v_add_f64_e32 v[170:171], v[190:191], v[188:189]
	v_fma_f64 v[188:189], v[4:5], v[140:141], -v[142:143]
	ds_load_b128 v[4:7], v2 offset:1200
	s_wait_loadcnt_dscnt 0xb01
	v_mul_f64_e32 v[182:183], v[176:177], v[146:147]
	v_mul_f64_e32 v[146:147], v[178:179], v[146:147]
	scratch_load_b128 v[140:143], off, off offset:480
	v_add_f64_e32 v[180:181], v[180:181], v[186:187]
	s_wait_loadcnt_dscnt 0xb00
	v_mul_f64_e32 v[186:187], v[4:5], v[150:151]
	v_add_f64_e32 v[190:191], v[170:171], v[168:169]
	v_mul_f64_e32 v[150:151], v[6:7], v[150:151]
	ds_load_b128 v[168:171], v2 offset:1216
	v_fmac_f64_e32 v[182:183], v[178:179], v[144:145]
	v_fma_f64 v[176:177], v[176:177], v[144:145], -v[146:147]
	scratch_load_b128 v[144:147], off, off offset:496
	v_add_f64_e32 v[180:181], v[180:181], v[184:185]
	v_fmac_f64_e32 v[186:187], v[6:7], v[148:149]
	v_add_f64_e32 v[178:179], v[190:191], v[188:189]
	;; [unrolled: 18-line block ×3, first 2 shown]
	v_fma_f64 v[188:189], v[4:5], v[160:161], -v[162:163]
	ds_load_b128 v[4:7], v2 offset:1264
	s_wait_loadcnt_dscnt 0xa01
	v_mul_f64_e32 v[186:187], v[176:177], v[174:175]
	v_mul_f64_e32 v[174:175], v[178:179], v[174:175]
	scratch_load_b128 v[160:163], off, off offset:544
	v_add_f64_e32 v[180:181], v[180:181], v[184:185]
	v_add_f64_e32 v[190:191], v[170:171], v[168:169]
	s_wait_loadcnt_dscnt 0xa00
	v_mul_f64_e32 v[184:185], v[4:5], v[158:159]
	v_mul_f64_e32 v[158:159], v[6:7], v[158:159]
	v_fmac_f64_e32 v[186:187], v[178:179], v[172:173]
	v_fma_f64 v[176:177], v[176:177], v[172:173], -v[174:175]
	ds_load_b128 v[168:171], v2 offset:1280
	scratch_load_b128 v[172:175], off, off offset:560
	v_add_f64_e32 v[180:181], v[180:181], v[182:183]
	v_add_f64_e32 v[178:179], v[190:191], v[188:189]
	v_fmac_f64_e32 v[184:185], v[6:7], v[156:157]
	v_fma_f64 v[188:189], v[4:5], v[156:157], -v[158:159]
	ds_load_b128 v[4:7], v2 offset:1296
	s_wait_loadcnt_dscnt 0xa01
	v_mul_f64_e32 v[182:183], v[168:169], v[10:11]
	v_mul_f64_e32 v[10:11], v[170:171], v[10:11]
	scratch_load_b128 v[156:159], off, off offset:576
	v_add_f64_e32 v[180:181], v[180:181], v[186:187]
	s_wait_loadcnt_dscnt 0xa00
	v_mul_f64_e32 v[186:187], v[4:5], v[14:15]
	v_add_f64_e32 v[190:191], v[178:179], v[176:177]
	v_mul_f64_e32 v[14:15], v[6:7], v[14:15]
	ds_load_b128 v[176:179], v2 offset:1312
	v_fmac_f64_e32 v[182:183], v[170:171], v[8:9]
	v_fma_f64 v[168:169], v[168:169], v[8:9], -v[10:11]
	scratch_load_b128 v[8:11], off, off offset:592
	v_add_f64_e32 v[180:181], v[180:181], v[184:185]
	v_fmac_f64_e32 v[186:187], v[6:7], v[12:13]
	v_add_f64_e32 v[170:171], v[190:191], v[188:189]
	v_fma_f64 v[188:189], v[4:5], v[12:13], -v[14:15]
	ds_load_b128 v[4:7], v2 offset:1328
	s_wait_loadcnt_dscnt 0xa01
	v_mul_f64_e32 v[184:185], v[176:177], v[130:131]
	v_mul_f64_e32 v[130:131], v[178:179], v[130:131]
	scratch_load_b128 v[12:15], off, off offset:608
	v_add_f64_e32 v[180:181], v[180:181], v[182:183]
	s_wait_loadcnt_dscnt 0xa00
	v_mul_f64_e32 v[182:183], v[4:5], v[134:135]
	v_add_f64_e32 v[190:191], v[170:171], v[168:169]
	v_mul_f64_e32 v[134:135], v[6:7], v[134:135]
	ds_load_b128 v[168:171], v2 offset:1344
	v_fmac_f64_e32 v[184:185], v[178:179], v[128:129]
	v_fma_f64 v[176:177], v[176:177], v[128:129], -v[130:131]
	scratch_load_b128 v[128:131], off, off offset:624
	v_add_f64_e32 v[180:181], v[180:181], v[186:187]
	v_fmac_f64_e32 v[182:183], v[6:7], v[132:133]
	v_add_f64_e32 v[178:179], v[190:191], v[188:189]
	;; [unrolled: 18-line block ×9, first 2 shown]
	v_fma_f64 v[188:189], v[4:5], v[140:141], -v[142:143]
	ds_load_b128 v[4:7], v2 offset:1584
	s_wait_loadcnt_dscnt 0xa01
	v_mul_f64_e32 v[182:183], v[176:177], v[146:147]
	v_mul_f64_e32 v[146:147], v[178:179], v[146:147]
	scratch_load_b128 v[140:143], off, off offset:864
	v_add_f64_e32 v[180:181], v[180:181], v[186:187]
	s_wait_loadcnt_dscnt 0xa00
	v_mul_f64_e32 v[186:187], v[4:5], v[150:151]
	v_add_f64_e32 v[190:191], v[170:171], v[168:169]
	v_mul_f64_e32 v[150:151], v[6:7], v[150:151]
	ds_load_b128 v[168:171], v2 offset:1600
	v_fmac_f64_e32 v[182:183], v[178:179], v[144:145]
	v_fma_f64 v[144:145], v[176:177], v[144:145], -v[146:147]
	s_wait_loadcnt_dscnt 0x900
	v_mul_f64_e32 v[178:179], v[168:169], v[154:155]
	v_mul_f64_e32 v[154:155], v[170:171], v[154:155]
	v_add_f64_e32 v[176:177], v[180:181], v[184:185]
	v_fmac_f64_e32 v[186:187], v[6:7], v[148:149]
	v_add_f64_e32 v[146:147], v[190:191], v[188:189]
	v_fma_f64 v[148:149], v[4:5], v[148:149], -v[150:151]
	v_fmac_f64_e32 v[178:179], v[170:171], v[152:153]
	v_fma_f64 v[152:153], v[168:169], v[152:153], -v[154:155]
	v_add_f64_e32 v[176:177], v[176:177], v[182:183]
	v_add_f64_e32 v[150:151], v[146:147], v[144:145]
	ds_load_b128 v[4:7], v2 offset:1616
	ds_load_b128 v[144:147], v2 offset:1632
	s_wait_loadcnt_dscnt 0x801
	v_mul_f64_e32 v[180:181], v[4:5], v[162:163]
	v_mul_f64_e32 v[162:163], v[6:7], v[162:163]
	s_wait_loadcnt_dscnt 0x700
	v_mul_f64_e32 v[154:155], v[144:145], v[174:175]
	v_mul_f64_e32 v[168:169], v[146:147], v[174:175]
	v_add_f64_e32 v[148:149], v[150:151], v[148:149]
	v_add_f64_e32 v[150:151], v[176:177], v[186:187]
	v_fmac_f64_e32 v[180:181], v[6:7], v[160:161]
	v_fma_f64 v[160:161], v[4:5], v[160:161], -v[162:163]
	v_fmac_f64_e32 v[154:155], v[146:147], v[172:173]
	v_fma_f64 v[144:145], v[144:145], v[172:173], -v[168:169]
	v_add_f64_e32 v[152:153], v[148:149], v[152:153]
	v_add_f64_e32 v[162:163], v[150:151], v[178:179]
	ds_load_b128 v[4:7], v2 offset:1648
	ds_load_b128 v[148:151], v2 offset:1664
	s_wait_loadcnt_dscnt 0x601
	v_mul_f64_e32 v[170:171], v[4:5], v[158:159]
	v_mul_f64_e32 v[158:159], v[6:7], v[158:159]
	v_add_f64_e32 v[146:147], v[152:153], v[160:161]
	v_add_f64_e32 v[152:153], v[162:163], v[180:181]
	s_wait_loadcnt_dscnt 0x500
	v_mul_f64_e32 v[160:161], v[148:149], v[10:11]
	v_mul_f64_e32 v[10:11], v[150:151], v[10:11]
	v_fmac_f64_e32 v[170:171], v[6:7], v[156:157]
	v_fma_f64 v[156:157], v[4:5], v[156:157], -v[158:159]
	v_add_f64_e32 v[158:159], v[146:147], v[144:145]
	v_add_f64_e32 v[152:153], v[152:153], v[154:155]
	ds_load_b128 v[4:7], v2 offset:1680
	ds_load_b128 v[144:147], v2 offset:1696
	v_fmac_f64_e32 v[160:161], v[150:151], v[8:9]
	v_fma_f64 v[8:9], v[148:149], v[8:9], -v[10:11]
	s_wait_loadcnt_dscnt 0x401
	v_mul_f64_e32 v[154:155], v[4:5], v[14:15]
	v_mul_f64_e32 v[14:15], v[6:7], v[14:15]
	s_wait_loadcnt_dscnt 0x300
	v_mul_f64_e32 v[150:151], v[144:145], v[130:131]
	v_mul_f64_e32 v[130:131], v[146:147], v[130:131]
	v_add_f64_e32 v[10:11], v[158:159], v[156:157]
	v_add_f64_e32 v[148:149], v[152:153], v[170:171]
	v_fmac_f64_e32 v[154:155], v[6:7], v[12:13]
	v_fma_f64 v[12:13], v[4:5], v[12:13], -v[14:15]
	v_fmac_f64_e32 v[150:151], v[146:147], v[128:129]
	v_fma_f64 v[128:129], v[144:145], v[128:129], -v[130:131]
	v_add_f64_e32 v[14:15], v[10:11], v[8:9]
	v_add_f64_e32 v[148:149], v[148:149], v[160:161]
	ds_load_b128 v[4:7], v2 offset:1712
	ds_load_b128 v[8:11], v2 offset:1728
	s_wait_loadcnt_dscnt 0x201
	v_mul_f64_e32 v[152:153], v[4:5], v[134:135]
	v_mul_f64_e32 v[134:135], v[6:7], v[134:135]
	s_wait_loadcnt_dscnt 0x100
	v_mul_f64_e32 v[130:131], v[8:9], v[138:139]
	v_mul_f64_e32 v[138:139], v[10:11], v[138:139]
	v_add_f64_e32 v[12:13], v[14:15], v[12:13]
	v_add_f64_e32 v[14:15], v[148:149], v[154:155]
	v_fmac_f64_e32 v[152:153], v[6:7], v[132:133]
	v_fma_f64 v[132:133], v[4:5], v[132:133], -v[134:135]
	ds_load_b128 v[4:7], v2 offset:1744
	v_fmac_f64_e32 v[130:131], v[10:11], v[136:137]
	v_fma_f64 v[8:9], v[8:9], v[136:137], -v[138:139]
	v_add_f64_e32 v[12:13], v[12:13], v[128:129]
	v_add_f64_e32 v[14:15], v[14:15], v[150:151]
	s_wait_loadcnt_dscnt 0x0
	v_mul_f64_e32 v[128:129], v[4:5], v[142:143]
	v_mul_f64_e32 v[134:135], v[6:7], v[142:143]
	s_delay_alu instid0(VALU_DEP_4) | instskip(NEXT) | instid1(VALU_DEP_4)
	v_add_f64_e32 v[10:11], v[12:13], v[132:133]
	v_add_f64_e32 v[12:13], v[14:15], v[152:153]
	s_delay_alu instid0(VALU_DEP_4) | instskip(NEXT) | instid1(VALU_DEP_4)
	v_fmac_f64_e32 v[128:129], v[6:7], v[140:141]
	v_fma_f64 v[4:5], v[4:5], v[140:141], -v[134:135]
	s_delay_alu instid0(VALU_DEP_4) | instskip(NEXT) | instid1(VALU_DEP_4)
	v_add_f64_e32 v[6:7], v[10:11], v[8:9]
	v_add_f64_e32 v[8:9], v[12:13], v[130:131]
	s_delay_alu instid0(VALU_DEP_2) | instskip(NEXT) | instid1(VALU_DEP_2)
	v_add_f64_e32 v[4:5], v[6:7], v[4:5]
	v_add_f64_e32 v[6:7], v[8:9], v[128:129]
	s_delay_alu instid0(VALU_DEP_2) | instskip(NEXT) | instid1(VALU_DEP_2)
	v_add_f64_e64 v[4:5], v[164:165], -v[4:5]
	v_add_f64_e64 v[6:7], v[166:167], -v[6:7]
	scratch_store_b128 off, v[4:7], off offset:176
	s_wait_xcnt 0x0
	v_cmpx_lt_u32_e32 10, v1
	s_cbranch_execz .LBB54_323
; %bb.322:
	scratch_load_b128 v[6:9], off, s56
	v_dual_mov_b32 v3, v2 :: v_dual_mov_b32 v4, v2
	v_mov_b32_e32 v5, v2
	scratch_store_b128 off, v[2:5], off offset:160
	s_wait_loadcnt 0x0
	ds_store_b128 v126, v[6:9]
.LBB54_323:
	s_wait_xcnt 0x0
	s_or_b32 exec_lo, exec_lo, s2
	s_wait_storecnt_dscnt 0x0
	s_barrier_signal -1
	s_barrier_wait -1
	s_clause 0x9
	scratch_load_b128 v[4:7], off, off offset:176
	scratch_load_b128 v[8:11], off, off offset:192
	;; [unrolled: 1-line block ×10, first 2 shown]
	ds_load_b128 v[156:159], v2 offset:1056
	ds_load_b128 v[164:167], v2 offset:1072
	s_clause 0x2
	scratch_load_b128 v[160:163], off, off offset:336
	scratch_load_b128 v[168:171], off, off offset:160
	;; [unrolled: 1-line block ×3, first 2 shown]
	s_mov_b32 s2, exec_lo
	s_wait_loadcnt_dscnt 0xc01
	v_mul_f64_e32 v[176:177], v[158:159], v[6:7]
	v_mul_f64_e32 v[180:181], v[156:157], v[6:7]
	s_wait_loadcnt_dscnt 0xb00
	v_mul_f64_e32 v[182:183], v[164:165], v[10:11]
	v_mul_f64_e32 v[10:11], v[166:167], v[10:11]
	s_delay_alu instid0(VALU_DEP_4) | instskip(NEXT) | instid1(VALU_DEP_4)
	v_fma_f64 v[184:185], v[156:157], v[4:5], -v[176:177]
	v_fmac_f64_e32 v[180:181], v[158:159], v[4:5]
	ds_load_b128 v[4:7], v2 offset:1088
	ds_load_b128 v[156:159], v2 offset:1104
	scratch_load_b128 v[176:179], off, off offset:368
	v_fmac_f64_e32 v[182:183], v[166:167], v[8:9]
	v_fma_f64 v[164:165], v[164:165], v[8:9], -v[10:11]
	scratch_load_b128 v[8:11], off, off offset:384
	s_wait_loadcnt_dscnt 0xc01
	v_mul_f64_e32 v[186:187], v[4:5], v[14:15]
	v_mul_f64_e32 v[14:15], v[6:7], v[14:15]
	v_add_f64_e32 v[166:167], 0, v[184:185]
	v_add_f64_e32 v[180:181], 0, v[180:181]
	s_wait_loadcnt_dscnt 0xb00
	v_mul_f64_e32 v[184:185], v[156:157], v[130:131]
	v_mul_f64_e32 v[130:131], v[158:159], v[130:131]
	v_fmac_f64_e32 v[186:187], v[6:7], v[12:13]
	v_fma_f64 v[188:189], v[4:5], v[12:13], -v[14:15]
	ds_load_b128 v[4:7], v2 offset:1120
	ds_load_b128 v[12:15], v2 offset:1136
	v_add_f64_e32 v[190:191], v[166:167], v[164:165]
	v_add_f64_e32 v[180:181], v[180:181], v[182:183]
	scratch_load_b128 v[164:167], off, off offset:400
	v_fmac_f64_e32 v[184:185], v[158:159], v[128:129]
	v_fma_f64 v[156:157], v[156:157], v[128:129], -v[130:131]
	scratch_load_b128 v[128:131], off, off offset:416
	s_wait_loadcnt_dscnt 0xc01
	v_mul_f64_e32 v[182:183], v[4:5], v[134:135]
	v_mul_f64_e32 v[134:135], v[6:7], v[134:135]
	v_add_f64_e32 v[158:159], v[190:191], v[188:189]
	v_add_f64_e32 v[180:181], v[180:181], v[186:187]
	s_wait_loadcnt_dscnt 0xb00
	v_mul_f64_e32 v[186:187], v[12:13], v[138:139]
	v_mul_f64_e32 v[138:139], v[14:15], v[138:139]
	v_fmac_f64_e32 v[182:183], v[6:7], v[132:133]
	v_fma_f64 v[188:189], v[4:5], v[132:133], -v[134:135]
	ds_load_b128 v[4:7], v2 offset:1152
	ds_load_b128 v[132:135], v2 offset:1168
	v_add_f64_e32 v[190:191], v[158:159], v[156:157]
	v_add_f64_e32 v[180:181], v[180:181], v[184:185]
	scratch_load_b128 v[156:159], off, off offset:432
	s_wait_loadcnt_dscnt 0xb01
	v_mul_f64_e32 v[184:185], v[4:5], v[142:143]
	v_mul_f64_e32 v[142:143], v[6:7], v[142:143]
	v_fmac_f64_e32 v[186:187], v[14:15], v[136:137]
	v_fma_f64 v[136:137], v[12:13], v[136:137], -v[138:139]
	scratch_load_b128 v[12:15], off, off offset:448
	v_add_f64_e32 v[138:139], v[190:191], v[188:189]
	v_add_f64_e32 v[180:181], v[180:181], v[182:183]
	s_wait_loadcnt_dscnt 0xb00
	v_mul_f64_e32 v[182:183], v[132:133], v[146:147]
	v_mul_f64_e32 v[146:147], v[134:135], v[146:147]
	v_fmac_f64_e32 v[184:185], v[6:7], v[140:141]
	v_fma_f64 v[188:189], v[4:5], v[140:141], -v[142:143]
	v_add_f64_e32 v[190:191], v[138:139], v[136:137]
	v_add_f64_e32 v[180:181], v[180:181], v[186:187]
	ds_load_b128 v[4:7], v2 offset:1184
	ds_load_b128 v[136:139], v2 offset:1200
	scratch_load_b128 v[140:143], off, off offset:464
	v_fmac_f64_e32 v[182:183], v[134:135], v[144:145]
	v_fma_f64 v[144:145], v[132:133], v[144:145], -v[146:147]
	scratch_load_b128 v[132:135], off, off offset:480
	s_wait_loadcnt_dscnt 0xc01
	v_mul_f64_e32 v[186:187], v[4:5], v[150:151]
	v_mul_f64_e32 v[150:151], v[6:7], v[150:151]
	v_add_f64_e32 v[146:147], v[190:191], v[188:189]
	v_add_f64_e32 v[180:181], v[180:181], v[184:185]
	s_wait_loadcnt_dscnt 0xb00
	v_mul_f64_e32 v[184:185], v[136:137], v[154:155]
	v_mul_f64_e32 v[154:155], v[138:139], v[154:155]
	v_fmac_f64_e32 v[186:187], v[6:7], v[148:149]
	v_fma_f64 v[188:189], v[4:5], v[148:149], -v[150:151]
	v_add_f64_e32 v[190:191], v[146:147], v[144:145]
	v_add_f64_e32 v[180:181], v[180:181], v[182:183]
	ds_load_b128 v[4:7], v2 offset:1216
	ds_load_b128 v[144:147], v2 offset:1232
	scratch_load_b128 v[148:151], off, off offset:496
	v_fmac_f64_e32 v[184:185], v[138:139], v[152:153]
	v_fma_f64 v[152:153], v[136:137], v[152:153], -v[154:155]
	scratch_load_b128 v[136:139], off, off offset:512
	s_wait_loadcnt_dscnt 0xc01
	v_mul_f64_e32 v[182:183], v[4:5], v[162:163]
	v_mul_f64_e32 v[162:163], v[6:7], v[162:163]
	;; [unrolled: 18-line block ×5, first 2 shown]
	v_add_f64_e32 v[174:175], v[190:191], v[188:189]
	v_add_f64_e32 v[180:181], v[180:181], v[186:187]
	s_wait_loadcnt_dscnt 0xa00
	v_mul_f64_e32 v[186:187], v[152:153], v[14:15]
	v_mul_f64_e32 v[14:15], v[154:155], v[14:15]
	v_fmac_f64_e32 v[182:183], v[6:7], v[156:157]
	v_fma_f64 v[188:189], v[4:5], v[156:157], -v[158:159]
	ds_load_b128 v[4:7], v2 offset:1344
	ds_load_b128 v[156:159], v2 offset:1360
	v_add_f64_e32 v[190:191], v[174:175], v[172:173]
	v_add_f64_e32 v[180:181], v[180:181], v[184:185]
	scratch_load_b128 v[172:175], off, off offset:624
	v_fmac_f64_e32 v[186:187], v[154:155], v[12:13]
	v_fma_f64 v[152:153], v[152:153], v[12:13], -v[14:15]
	scratch_load_b128 v[12:15], off, off offset:640
	s_wait_loadcnt_dscnt 0xb01
	v_mul_f64_e32 v[184:185], v[4:5], v[142:143]
	v_mul_f64_e32 v[142:143], v[6:7], v[142:143]
	v_add_f64_e32 v[154:155], v[190:191], v[188:189]
	v_add_f64_e32 v[180:181], v[180:181], v[182:183]
	s_wait_loadcnt_dscnt 0xa00
	v_mul_f64_e32 v[182:183], v[156:157], v[134:135]
	v_mul_f64_e32 v[134:135], v[158:159], v[134:135]
	v_fmac_f64_e32 v[184:185], v[6:7], v[140:141]
	v_fma_f64 v[188:189], v[4:5], v[140:141], -v[142:143]
	ds_load_b128 v[4:7], v2 offset:1376
	ds_load_b128 v[140:143], v2 offset:1392
	v_add_f64_e32 v[190:191], v[154:155], v[152:153]
	v_add_f64_e32 v[180:181], v[180:181], v[186:187]
	scratch_load_b128 v[152:155], off, off offset:656
	s_wait_loadcnt_dscnt 0xa01
	v_mul_f64_e32 v[186:187], v[4:5], v[150:151]
	v_mul_f64_e32 v[150:151], v[6:7], v[150:151]
	v_fmac_f64_e32 v[182:183], v[158:159], v[132:133]
	v_fma_f64 v[156:157], v[156:157], v[132:133], -v[134:135]
	scratch_load_b128 v[132:135], off, off offset:672
	v_add_f64_e32 v[158:159], v[190:191], v[188:189]
	v_add_f64_e32 v[180:181], v[180:181], v[184:185]
	s_wait_loadcnt_dscnt 0xa00
	v_mul_f64_e32 v[184:185], v[140:141], v[138:139]
	v_mul_f64_e32 v[138:139], v[142:143], v[138:139]
	v_fmac_f64_e32 v[186:187], v[6:7], v[148:149]
	v_fma_f64 v[188:189], v[4:5], v[148:149], -v[150:151]
	ds_load_b128 v[4:7], v2 offset:1408
	ds_load_b128 v[148:151], v2 offset:1424
	v_add_f64_e32 v[190:191], v[158:159], v[156:157]
	v_add_f64_e32 v[180:181], v[180:181], v[182:183]
	scratch_load_b128 v[156:159], off, off offset:688
	s_wait_loadcnt_dscnt 0xa01
	v_mul_f64_e32 v[182:183], v[4:5], v[162:163]
	v_mul_f64_e32 v[162:163], v[6:7], v[162:163]
	v_fmac_f64_e32 v[184:185], v[142:143], v[136:137]
	v_fma_f64 v[140:141], v[140:141], v[136:137], -v[138:139]
	scratch_load_b128 v[136:139], off, off offset:704
	v_add_f64_e32 v[142:143], v[190:191], v[188:189]
	v_add_f64_e32 v[180:181], v[180:181], v[186:187]
	s_wait_loadcnt_dscnt 0xa00
	v_mul_f64_e32 v[186:187], v[148:149], v[146:147]
	v_mul_f64_e32 v[146:147], v[150:151], v[146:147]
	v_fmac_f64_e32 v[182:183], v[6:7], v[160:161]
	v_fma_f64 v[188:189], v[4:5], v[160:161], -v[162:163]
	v_add_f64_e32 v[190:191], v[142:143], v[140:141]
	v_add_f64_e32 v[180:181], v[180:181], v[184:185]
	ds_load_b128 v[4:7], v2 offset:1440
	ds_load_b128 v[140:143], v2 offset:1456
	scratch_load_b128 v[160:163], off, off offset:720
	v_fmac_f64_e32 v[186:187], v[150:151], v[144:145]
	v_fma_f64 v[148:149], v[148:149], v[144:145], -v[146:147]
	scratch_load_b128 v[144:147], off, off offset:736
	s_wait_loadcnt_dscnt 0xb01
	v_mul_f64_e32 v[184:185], v[4:5], v[178:179]
	v_mul_f64_e32 v[178:179], v[6:7], v[178:179]
	v_add_f64_e32 v[150:151], v[190:191], v[188:189]
	v_add_f64_e32 v[180:181], v[180:181], v[182:183]
	s_wait_loadcnt_dscnt 0xa00
	v_mul_f64_e32 v[182:183], v[140:141], v[10:11]
	v_mul_f64_e32 v[10:11], v[142:143], v[10:11]
	v_fmac_f64_e32 v[184:185], v[6:7], v[176:177]
	v_fma_f64 v[188:189], v[4:5], v[176:177], -v[178:179]
	v_add_f64_e32 v[190:191], v[150:151], v[148:149]
	v_add_f64_e32 v[180:181], v[180:181], v[186:187]
	ds_load_b128 v[4:7], v2 offset:1472
	ds_load_b128 v[148:151], v2 offset:1488
	scratch_load_b128 v[176:179], off, off offset:752
	v_fmac_f64_e32 v[182:183], v[142:143], v[8:9]
	v_fma_f64 v[140:141], v[140:141], v[8:9], -v[10:11]
	scratch_load_b128 v[8:11], off, off offset:768
	s_wait_loadcnt_dscnt 0xb01
	v_mul_f64_e32 v[186:187], v[4:5], v[166:167]
	v_mul_f64_e32 v[166:167], v[6:7], v[166:167]
	;; [unrolled: 18-line block ×5, first 2 shown]
	v_add_f64_e32 v[150:151], v[190:191], v[188:189]
	v_add_f64_e32 v[180:181], v[180:181], v[184:185]
	s_wait_loadcnt_dscnt 0xa00
	v_mul_f64_e32 v[184:185], v[140:141], v[138:139]
	v_mul_f64_e32 v[138:139], v[142:143], v[138:139]
	v_fmac_f64_e32 v[186:187], v[6:7], v[156:157]
	v_fma_f64 v[156:157], v[4:5], v[156:157], -v[158:159]
	v_add_f64_e32 v[158:159], v[150:151], v[148:149]
	v_add_f64_e32 v[180:181], v[180:181], v[182:183]
	ds_load_b128 v[4:7], v2 offset:1600
	ds_load_b128 v[148:151], v2 offset:1616
	v_fmac_f64_e32 v[184:185], v[142:143], v[136:137]
	v_fma_f64 v[136:137], v[140:141], v[136:137], -v[138:139]
	s_wait_loadcnt_dscnt 0x901
	v_mul_f64_e32 v[182:183], v[4:5], v[162:163]
	v_mul_f64_e32 v[162:163], v[6:7], v[162:163]
	s_wait_loadcnt_dscnt 0x800
	v_mul_f64_e32 v[142:143], v[148:149], v[146:147]
	v_mul_f64_e32 v[146:147], v[150:151], v[146:147]
	v_add_f64_e32 v[138:139], v[158:159], v[156:157]
	v_add_f64_e32 v[140:141], v[180:181], v[186:187]
	v_fmac_f64_e32 v[182:183], v[6:7], v[160:161]
	v_fma_f64 v[156:157], v[4:5], v[160:161], -v[162:163]
	v_fmac_f64_e32 v[142:143], v[150:151], v[144:145]
	v_fma_f64 v[144:145], v[148:149], v[144:145], -v[146:147]
	v_add_f64_e32 v[158:159], v[138:139], v[136:137]
	v_add_f64_e32 v[140:141], v[140:141], v[184:185]
	ds_load_b128 v[4:7], v2 offset:1632
	ds_load_b128 v[136:139], v2 offset:1648
	s_wait_loadcnt_dscnt 0x701
	v_mul_f64_e32 v[160:161], v[4:5], v[178:179]
	v_mul_f64_e32 v[162:163], v[6:7], v[178:179]
	s_wait_loadcnt_dscnt 0x600
	v_mul_f64_e32 v[148:149], v[136:137], v[10:11]
	v_mul_f64_e32 v[10:11], v[138:139], v[10:11]
	v_add_f64_e32 v[146:147], v[158:159], v[156:157]
	v_add_f64_e32 v[140:141], v[140:141], v[182:183]
	v_fmac_f64_e32 v[160:161], v[6:7], v[176:177]
	v_fma_f64 v[150:151], v[4:5], v[176:177], -v[162:163]
	v_fmac_f64_e32 v[148:149], v[138:139], v[8:9]
	v_fma_f64 v[8:9], v[136:137], v[8:9], -v[10:11]
	v_add_f64_e32 v[144:145], v[146:147], v[144:145]
	v_add_f64_e32 v[146:147], v[140:141], v[142:143]
	ds_load_b128 v[4:7], v2 offset:1664
	ds_load_b128 v[140:143], v2 offset:1680
	;; [unrolled: 16-line block ×4, first 2 shown]
	s_wait_loadcnt_dscnt 0x101
	v_mul_f64_e32 v[2:3], v[4:5], v[154:155]
	v_mul_f64_e32 v[138:139], v[6:7], v[154:155]
	s_wait_loadcnt_dscnt 0x0
	v_mul_f64_e32 v[14:15], v[128:129], v[134:135]
	v_mul_f64_e32 v[134:135], v[130:131], v[134:135]
	v_add_f64_e32 v[10:11], v[144:145], v[142:143]
	v_add_f64_e32 v[12:13], v[136:137], v[148:149]
	v_fmac_f64_e32 v[2:3], v[6:7], v[152:153]
	v_fma_f64 v[4:5], v[4:5], v[152:153], -v[138:139]
	v_fmac_f64_e32 v[14:15], v[130:131], v[132:133]
	v_add_f64_e32 v[6:7], v[10:11], v[8:9]
	v_add_f64_e32 v[8:9], v[12:13], v[140:141]
	v_fma_f64 v[10:11], v[128:129], v[132:133], -v[134:135]
	s_delay_alu instid0(VALU_DEP_3) | instskip(NEXT) | instid1(VALU_DEP_3)
	v_add_f64_e32 v[4:5], v[6:7], v[4:5]
	v_add_f64_e32 v[2:3], v[8:9], v[2:3]
	s_delay_alu instid0(VALU_DEP_2) | instskip(NEXT) | instid1(VALU_DEP_2)
	v_add_f64_e32 v[4:5], v[4:5], v[10:11]
	v_add_f64_e32 v[6:7], v[2:3], v[14:15]
	s_delay_alu instid0(VALU_DEP_2) | instskip(NEXT) | instid1(VALU_DEP_2)
	v_add_f64_e64 v[2:3], v[168:169], -v[4:5]
	v_add_f64_e64 v[4:5], v[170:171], -v[6:7]
	scratch_store_b128 off, v[2:5], off offset:160
	s_wait_xcnt 0x0
	v_cmpx_lt_u32_e32 9, v1
	s_cbranch_execz .LBB54_325
; %bb.324:
	scratch_load_b128 v[2:5], off, s54
	v_mov_b32_e32 v6, 0
	s_delay_alu instid0(VALU_DEP_1)
	v_dual_mov_b32 v7, v6 :: v_dual_mov_b32 v8, v6
	v_mov_b32_e32 v9, v6
	scratch_store_b128 off, v[6:9], off offset:144
	s_wait_loadcnt 0x0
	ds_store_b128 v126, v[2:5]
.LBB54_325:
	s_wait_xcnt 0x0
	s_or_b32 exec_lo, exec_lo, s2
	s_wait_storecnt_dscnt 0x0
	s_barrier_signal -1
	s_barrier_wait -1
	s_clause 0x9
	scratch_load_b128 v[4:7], off, off offset:160
	scratch_load_b128 v[8:11], off, off offset:176
	;; [unrolled: 1-line block ×10, first 2 shown]
	v_mov_b32_e32 v2, 0
	s_mov_b32 s2, exec_lo
	ds_load_b128 v[156:159], v2 offset:1040
	s_clause 0x2
	scratch_load_b128 v[160:163], off, off offset:320
	scratch_load_b128 v[164:167], off, off offset:144
	;; [unrolled: 1-line block ×3, first 2 shown]
	s_wait_loadcnt_dscnt 0xc00
	v_mul_f64_e32 v[176:177], v[158:159], v[6:7]
	v_mul_f64_e32 v[180:181], v[156:157], v[6:7]
	ds_load_b128 v[168:171], v2 offset:1056
	v_fma_f64 v[184:185], v[156:157], v[4:5], -v[176:177]
	v_fmac_f64_e32 v[180:181], v[158:159], v[4:5]
	ds_load_b128 v[4:7], v2 offset:1072
	s_wait_loadcnt_dscnt 0xb01
	v_mul_f64_e32 v[182:183], v[168:169], v[10:11]
	v_mul_f64_e32 v[10:11], v[170:171], v[10:11]
	scratch_load_b128 v[156:159], off, off offset:352
	ds_load_b128 v[176:179], v2 offset:1088
	s_wait_loadcnt_dscnt 0xb01
	v_mul_f64_e32 v[186:187], v[4:5], v[14:15]
	v_mul_f64_e32 v[14:15], v[6:7], v[14:15]
	v_add_f64_e32 v[180:181], 0, v[180:181]
	v_fmac_f64_e32 v[182:183], v[170:171], v[8:9]
	v_fma_f64 v[168:169], v[168:169], v[8:9], -v[10:11]
	v_add_f64_e32 v[170:171], 0, v[184:185]
	scratch_load_b128 v[8:11], off, off offset:368
	v_fmac_f64_e32 v[186:187], v[6:7], v[12:13]
	v_fma_f64 v[188:189], v[4:5], v[12:13], -v[14:15]
	ds_load_b128 v[4:7], v2 offset:1104
	s_wait_loadcnt_dscnt 0xb01
	v_mul_f64_e32 v[184:185], v[176:177], v[130:131]
	v_mul_f64_e32 v[130:131], v[178:179], v[130:131]
	scratch_load_b128 v[12:15], off, off offset:384
	v_add_f64_e32 v[180:181], v[180:181], v[182:183]
	v_add_f64_e32 v[190:191], v[170:171], v[168:169]
	ds_load_b128 v[168:171], v2 offset:1120
	s_wait_loadcnt_dscnt 0xb01
	v_mul_f64_e32 v[182:183], v[4:5], v[134:135]
	v_mul_f64_e32 v[134:135], v[6:7], v[134:135]
	v_fmac_f64_e32 v[184:185], v[178:179], v[128:129]
	v_fma_f64 v[176:177], v[176:177], v[128:129], -v[130:131]
	scratch_load_b128 v[128:131], off, off offset:400
	v_add_f64_e32 v[180:181], v[180:181], v[186:187]
	v_add_f64_e32 v[178:179], v[190:191], v[188:189]
	v_fmac_f64_e32 v[182:183], v[6:7], v[132:133]
	v_fma_f64 v[188:189], v[4:5], v[132:133], -v[134:135]
	ds_load_b128 v[4:7], v2 offset:1136
	s_wait_loadcnt_dscnt 0xb01
	v_mul_f64_e32 v[186:187], v[168:169], v[138:139]
	v_mul_f64_e32 v[138:139], v[170:171], v[138:139]
	scratch_load_b128 v[132:135], off, off offset:416
	v_add_f64_e32 v[180:181], v[180:181], v[184:185]
	s_wait_loadcnt_dscnt 0xb00
	v_mul_f64_e32 v[184:185], v[4:5], v[142:143]
	v_add_f64_e32 v[190:191], v[178:179], v[176:177]
	v_mul_f64_e32 v[142:143], v[6:7], v[142:143]
	ds_load_b128 v[176:179], v2 offset:1152
	v_fmac_f64_e32 v[186:187], v[170:171], v[136:137]
	v_fma_f64 v[168:169], v[168:169], v[136:137], -v[138:139]
	scratch_load_b128 v[136:139], off, off offset:432
	v_add_f64_e32 v[180:181], v[180:181], v[182:183]
	v_fmac_f64_e32 v[184:185], v[6:7], v[140:141]
	v_add_f64_e32 v[170:171], v[190:191], v[188:189]
	v_fma_f64 v[188:189], v[4:5], v[140:141], -v[142:143]
	ds_load_b128 v[4:7], v2 offset:1168
	s_wait_loadcnt_dscnt 0xb01
	v_mul_f64_e32 v[182:183], v[176:177], v[146:147]
	v_mul_f64_e32 v[146:147], v[178:179], v[146:147]
	scratch_load_b128 v[140:143], off, off offset:448
	v_add_f64_e32 v[180:181], v[180:181], v[186:187]
	s_wait_loadcnt_dscnt 0xb00
	v_mul_f64_e32 v[186:187], v[4:5], v[150:151]
	v_add_f64_e32 v[190:191], v[170:171], v[168:169]
	v_mul_f64_e32 v[150:151], v[6:7], v[150:151]
	ds_load_b128 v[168:171], v2 offset:1184
	v_fmac_f64_e32 v[182:183], v[178:179], v[144:145]
	v_fma_f64 v[176:177], v[176:177], v[144:145], -v[146:147]
	scratch_load_b128 v[144:147], off, off offset:464
	v_add_f64_e32 v[180:181], v[180:181], v[184:185]
	v_fmac_f64_e32 v[186:187], v[6:7], v[148:149]
	v_add_f64_e32 v[178:179], v[190:191], v[188:189]
	;; [unrolled: 18-line block ×3, first 2 shown]
	v_fma_f64 v[188:189], v[4:5], v[160:161], -v[162:163]
	ds_load_b128 v[4:7], v2 offset:1232
	s_wait_loadcnt_dscnt 0xa01
	v_mul_f64_e32 v[186:187], v[176:177], v[174:175]
	v_mul_f64_e32 v[174:175], v[178:179], v[174:175]
	scratch_load_b128 v[160:163], off, off offset:512
	v_add_f64_e32 v[180:181], v[180:181], v[184:185]
	v_add_f64_e32 v[190:191], v[170:171], v[168:169]
	s_wait_loadcnt_dscnt 0xa00
	v_mul_f64_e32 v[184:185], v[4:5], v[158:159]
	v_mul_f64_e32 v[158:159], v[6:7], v[158:159]
	v_fmac_f64_e32 v[186:187], v[178:179], v[172:173]
	v_fma_f64 v[176:177], v[176:177], v[172:173], -v[174:175]
	ds_load_b128 v[168:171], v2 offset:1248
	scratch_load_b128 v[172:175], off, off offset:528
	v_add_f64_e32 v[180:181], v[180:181], v[182:183]
	v_add_f64_e32 v[178:179], v[190:191], v[188:189]
	v_fmac_f64_e32 v[184:185], v[6:7], v[156:157]
	v_fma_f64 v[188:189], v[4:5], v[156:157], -v[158:159]
	ds_load_b128 v[4:7], v2 offset:1264
	s_wait_loadcnt_dscnt 0xa01
	v_mul_f64_e32 v[182:183], v[168:169], v[10:11]
	v_mul_f64_e32 v[10:11], v[170:171], v[10:11]
	scratch_load_b128 v[156:159], off, off offset:544
	v_add_f64_e32 v[180:181], v[180:181], v[186:187]
	s_wait_loadcnt_dscnt 0xa00
	v_mul_f64_e32 v[186:187], v[4:5], v[14:15]
	v_add_f64_e32 v[190:191], v[178:179], v[176:177]
	v_mul_f64_e32 v[14:15], v[6:7], v[14:15]
	ds_load_b128 v[176:179], v2 offset:1280
	v_fmac_f64_e32 v[182:183], v[170:171], v[8:9]
	v_fma_f64 v[168:169], v[168:169], v[8:9], -v[10:11]
	scratch_load_b128 v[8:11], off, off offset:560
	v_add_f64_e32 v[180:181], v[180:181], v[184:185]
	v_fmac_f64_e32 v[186:187], v[6:7], v[12:13]
	v_add_f64_e32 v[170:171], v[190:191], v[188:189]
	v_fma_f64 v[188:189], v[4:5], v[12:13], -v[14:15]
	ds_load_b128 v[4:7], v2 offset:1296
	s_wait_loadcnt_dscnt 0xa01
	v_mul_f64_e32 v[184:185], v[176:177], v[130:131]
	v_mul_f64_e32 v[130:131], v[178:179], v[130:131]
	scratch_load_b128 v[12:15], off, off offset:576
	v_add_f64_e32 v[180:181], v[180:181], v[182:183]
	s_wait_loadcnt_dscnt 0xa00
	v_mul_f64_e32 v[182:183], v[4:5], v[134:135]
	v_add_f64_e32 v[190:191], v[170:171], v[168:169]
	v_mul_f64_e32 v[134:135], v[6:7], v[134:135]
	ds_load_b128 v[168:171], v2 offset:1312
	v_fmac_f64_e32 v[184:185], v[178:179], v[128:129]
	v_fma_f64 v[176:177], v[176:177], v[128:129], -v[130:131]
	scratch_load_b128 v[128:131], off, off offset:592
	v_add_f64_e32 v[180:181], v[180:181], v[186:187]
	v_fmac_f64_e32 v[182:183], v[6:7], v[132:133]
	v_add_f64_e32 v[178:179], v[190:191], v[188:189]
	;; [unrolled: 18-line block ×10, first 2 shown]
	v_fma_f64 v[188:189], v[4:5], v[148:149], -v[150:151]
	ds_load_b128 v[4:7], v2 offset:1584
	s_wait_loadcnt_dscnt 0xa01
	v_mul_f64_e32 v[184:185], v[168:169], v[154:155]
	v_mul_f64_e32 v[154:155], v[170:171], v[154:155]
	scratch_load_b128 v[148:151], off, off offset:864
	v_add_f64_e32 v[180:181], v[180:181], v[182:183]
	s_wait_loadcnt_dscnt 0xa00
	v_mul_f64_e32 v[182:183], v[4:5], v[162:163]
	v_add_f64_e32 v[190:191], v[178:179], v[176:177]
	v_mul_f64_e32 v[162:163], v[6:7], v[162:163]
	ds_load_b128 v[176:179], v2 offset:1600
	v_fmac_f64_e32 v[184:185], v[170:171], v[152:153]
	v_fma_f64 v[152:153], v[168:169], v[152:153], -v[154:155]
	s_wait_loadcnt_dscnt 0x900
	v_mul_f64_e32 v[170:171], v[176:177], v[174:175]
	v_mul_f64_e32 v[174:175], v[178:179], v[174:175]
	v_add_f64_e32 v[168:169], v[180:181], v[186:187]
	v_fmac_f64_e32 v[182:183], v[6:7], v[160:161]
	v_add_f64_e32 v[154:155], v[190:191], v[188:189]
	v_fma_f64 v[160:161], v[4:5], v[160:161], -v[162:163]
	v_fmac_f64_e32 v[170:171], v[178:179], v[172:173]
	v_fma_f64 v[172:173], v[176:177], v[172:173], -v[174:175]
	v_add_f64_e32 v[168:169], v[168:169], v[184:185]
	v_add_f64_e32 v[162:163], v[154:155], v[152:153]
	ds_load_b128 v[4:7], v2 offset:1616
	ds_load_b128 v[152:155], v2 offset:1632
	s_wait_loadcnt_dscnt 0x801
	v_mul_f64_e32 v[180:181], v[4:5], v[158:159]
	v_mul_f64_e32 v[158:159], v[6:7], v[158:159]
	v_add_f64_e32 v[160:161], v[162:163], v[160:161]
	v_add_f64_e32 v[162:163], v[168:169], v[182:183]
	s_wait_loadcnt_dscnt 0x700
	v_mul_f64_e32 v[168:169], v[152:153], v[10:11]
	v_mul_f64_e32 v[10:11], v[154:155], v[10:11]
	v_fmac_f64_e32 v[180:181], v[6:7], v[156:157]
	v_fma_f64 v[174:175], v[4:5], v[156:157], -v[158:159]
	ds_load_b128 v[4:7], v2 offset:1648
	ds_load_b128 v[156:159], v2 offset:1664
	v_add_f64_e32 v[160:161], v[160:161], v[172:173]
	v_add_f64_e32 v[162:163], v[162:163], v[170:171]
	v_fmac_f64_e32 v[168:169], v[154:155], v[8:9]
	v_fma_f64 v[8:9], v[152:153], v[8:9], -v[10:11]
	s_wait_loadcnt_dscnt 0x601
	v_mul_f64_e32 v[170:171], v[4:5], v[14:15]
	v_mul_f64_e32 v[14:15], v[6:7], v[14:15]
	s_wait_loadcnt_dscnt 0x500
	v_mul_f64_e32 v[154:155], v[156:157], v[130:131]
	v_mul_f64_e32 v[130:131], v[158:159], v[130:131]
	v_add_f64_e32 v[10:11], v[160:161], v[174:175]
	v_add_f64_e32 v[152:153], v[162:163], v[180:181]
	v_fmac_f64_e32 v[170:171], v[6:7], v[12:13]
	v_fma_f64 v[12:13], v[4:5], v[12:13], -v[14:15]
	v_fmac_f64_e32 v[154:155], v[158:159], v[128:129]
	v_fma_f64 v[128:129], v[156:157], v[128:129], -v[130:131]
	v_add_f64_e32 v[14:15], v[10:11], v[8:9]
	v_add_f64_e32 v[152:153], v[152:153], v[168:169]
	ds_load_b128 v[4:7], v2 offset:1680
	ds_load_b128 v[8:11], v2 offset:1696
	s_wait_loadcnt_dscnt 0x401
	v_mul_f64_e32 v[160:161], v[4:5], v[134:135]
	v_mul_f64_e32 v[134:135], v[6:7], v[134:135]
	s_wait_loadcnt_dscnt 0x300
	v_mul_f64_e32 v[130:131], v[8:9], v[138:139]
	v_mul_f64_e32 v[138:139], v[10:11], v[138:139]
	v_add_f64_e32 v[12:13], v[14:15], v[12:13]
	v_add_f64_e32 v[14:15], v[152:153], v[170:171]
	v_fmac_f64_e32 v[160:161], v[6:7], v[132:133]
	v_fma_f64 v[132:133], v[4:5], v[132:133], -v[134:135]
	v_fmac_f64_e32 v[130:131], v[10:11], v[136:137]
	v_fma_f64 v[8:9], v[8:9], v[136:137], -v[138:139]
	v_add_f64_e32 v[128:129], v[12:13], v[128:129]
	v_add_f64_e32 v[134:135], v[14:15], v[154:155]
	ds_load_b128 v[4:7], v2 offset:1712
	ds_load_b128 v[12:15], v2 offset:1728
	s_wait_loadcnt_dscnt 0x201
	v_mul_f64_e32 v[152:153], v[4:5], v[142:143]
	v_mul_f64_e32 v[142:143], v[6:7], v[142:143]
	v_add_f64_e32 v[10:11], v[128:129], v[132:133]
	v_add_f64_e32 v[128:129], v[134:135], v[160:161]
	s_wait_loadcnt_dscnt 0x100
	v_mul_f64_e32 v[132:133], v[12:13], v[146:147]
	v_mul_f64_e32 v[134:135], v[14:15], v[146:147]
	v_fmac_f64_e32 v[152:153], v[6:7], v[140:141]
	v_fma_f64 v[136:137], v[4:5], v[140:141], -v[142:143]
	ds_load_b128 v[4:7], v2 offset:1744
	v_add_f64_e32 v[8:9], v[10:11], v[8:9]
	v_add_f64_e32 v[10:11], v[128:129], v[130:131]
	v_fmac_f64_e32 v[132:133], v[14:15], v[144:145]
	v_fma_f64 v[12:13], v[12:13], v[144:145], -v[134:135]
	s_wait_loadcnt_dscnt 0x0
	v_mul_f64_e32 v[128:129], v[4:5], v[150:151]
	v_mul_f64_e32 v[130:131], v[6:7], v[150:151]
	v_add_f64_e32 v[8:9], v[8:9], v[136:137]
	v_add_f64_e32 v[10:11], v[10:11], v[152:153]
	s_delay_alu instid0(VALU_DEP_4) | instskip(NEXT) | instid1(VALU_DEP_4)
	v_fmac_f64_e32 v[128:129], v[6:7], v[148:149]
	v_fma_f64 v[4:5], v[4:5], v[148:149], -v[130:131]
	s_delay_alu instid0(VALU_DEP_4) | instskip(NEXT) | instid1(VALU_DEP_4)
	v_add_f64_e32 v[6:7], v[8:9], v[12:13]
	v_add_f64_e32 v[8:9], v[10:11], v[132:133]
	s_delay_alu instid0(VALU_DEP_2) | instskip(NEXT) | instid1(VALU_DEP_2)
	v_add_f64_e32 v[4:5], v[6:7], v[4:5]
	v_add_f64_e32 v[6:7], v[8:9], v[128:129]
	s_delay_alu instid0(VALU_DEP_2) | instskip(NEXT) | instid1(VALU_DEP_2)
	v_add_f64_e64 v[4:5], v[164:165], -v[4:5]
	v_add_f64_e64 v[6:7], v[166:167], -v[6:7]
	scratch_store_b128 off, v[4:7], off offset:144
	s_wait_xcnt 0x0
	v_cmpx_lt_u32_e32 8, v1
	s_cbranch_execz .LBB54_327
; %bb.326:
	scratch_load_b128 v[6:9], off, s53
	v_dual_mov_b32 v3, v2 :: v_dual_mov_b32 v4, v2
	v_mov_b32_e32 v5, v2
	scratch_store_b128 off, v[2:5], off offset:128
	s_wait_loadcnt 0x0
	ds_store_b128 v126, v[6:9]
.LBB54_327:
	s_wait_xcnt 0x0
	s_or_b32 exec_lo, exec_lo, s2
	s_wait_storecnt_dscnt 0x0
	s_barrier_signal -1
	s_barrier_wait -1
	s_clause 0x9
	scratch_load_b128 v[4:7], off, off offset:144
	scratch_load_b128 v[8:11], off, off offset:160
	;; [unrolled: 1-line block ×10, first 2 shown]
	ds_load_b128 v[156:159], v2 offset:1024
	ds_load_b128 v[164:167], v2 offset:1040
	s_clause 0x2
	scratch_load_b128 v[160:163], off, off offset:304
	scratch_load_b128 v[168:171], off, off offset:128
	;; [unrolled: 1-line block ×3, first 2 shown]
	s_mov_b32 s2, exec_lo
	s_wait_loadcnt_dscnt 0xc01
	v_mul_f64_e32 v[176:177], v[158:159], v[6:7]
	v_mul_f64_e32 v[180:181], v[156:157], v[6:7]
	s_wait_loadcnt_dscnt 0xb00
	v_mul_f64_e32 v[182:183], v[164:165], v[10:11]
	v_mul_f64_e32 v[10:11], v[166:167], v[10:11]
	s_delay_alu instid0(VALU_DEP_4) | instskip(NEXT) | instid1(VALU_DEP_4)
	v_fma_f64 v[184:185], v[156:157], v[4:5], -v[176:177]
	v_fmac_f64_e32 v[180:181], v[158:159], v[4:5]
	ds_load_b128 v[4:7], v2 offset:1056
	ds_load_b128 v[156:159], v2 offset:1072
	scratch_load_b128 v[176:179], off, off offset:336
	v_fmac_f64_e32 v[182:183], v[166:167], v[8:9]
	v_fma_f64 v[164:165], v[164:165], v[8:9], -v[10:11]
	scratch_load_b128 v[8:11], off, off offset:352
	s_wait_loadcnt_dscnt 0xc01
	v_mul_f64_e32 v[186:187], v[4:5], v[14:15]
	v_mul_f64_e32 v[14:15], v[6:7], v[14:15]
	v_add_f64_e32 v[166:167], 0, v[184:185]
	v_add_f64_e32 v[180:181], 0, v[180:181]
	s_wait_loadcnt_dscnt 0xb00
	v_mul_f64_e32 v[184:185], v[156:157], v[130:131]
	v_mul_f64_e32 v[130:131], v[158:159], v[130:131]
	v_fmac_f64_e32 v[186:187], v[6:7], v[12:13]
	v_fma_f64 v[188:189], v[4:5], v[12:13], -v[14:15]
	ds_load_b128 v[4:7], v2 offset:1088
	ds_load_b128 v[12:15], v2 offset:1104
	v_add_f64_e32 v[190:191], v[166:167], v[164:165]
	v_add_f64_e32 v[180:181], v[180:181], v[182:183]
	scratch_load_b128 v[164:167], off, off offset:368
	v_fmac_f64_e32 v[184:185], v[158:159], v[128:129]
	v_fma_f64 v[156:157], v[156:157], v[128:129], -v[130:131]
	scratch_load_b128 v[128:131], off, off offset:384
	s_wait_loadcnt_dscnt 0xc01
	v_mul_f64_e32 v[182:183], v[4:5], v[134:135]
	v_mul_f64_e32 v[134:135], v[6:7], v[134:135]
	v_add_f64_e32 v[158:159], v[190:191], v[188:189]
	v_add_f64_e32 v[180:181], v[180:181], v[186:187]
	s_wait_loadcnt_dscnt 0xb00
	v_mul_f64_e32 v[186:187], v[12:13], v[138:139]
	v_mul_f64_e32 v[138:139], v[14:15], v[138:139]
	v_fmac_f64_e32 v[182:183], v[6:7], v[132:133]
	v_fma_f64 v[188:189], v[4:5], v[132:133], -v[134:135]
	ds_load_b128 v[4:7], v2 offset:1120
	ds_load_b128 v[132:135], v2 offset:1136
	v_add_f64_e32 v[190:191], v[158:159], v[156:157]
	v_add_f64_e32 v[180:181], v[180:181], v[184:185]
	scratch_load_b128 v[156:159], off, off offset:400
	s_wait_loadcnt_dscnt 0xb01
	v_mul_f64_e32 v[184:185], v[4:5], v[142:143]
	v_mul_f64_e32 v[142:143], v[6:7], v[142:143]
	v_fmac_f64_e32 v[186:187], v[14:15], v[136:137]
	v_fma_f64 v[136:137], v[12:13], v[136:137], -v[138:139]
	scratch_load_b128 v[12:15], off, off offset:416
	v_add_f64_e32 v[138:139], v[190:191], v[188:189]
	v_add_f64_e32 v[180:181], v[180:181], v[182:183]
	s_wait_loadcnt_dscnt 0xb00
	v_mul_f64_e32 v[182:183], v[132:133], v[146:147]
	v_mul_f64_e32 v[146:147], v[134:135], v[146:147]
	v_fmac_f64_e32 v[184:185], v[6:7], v[140:141]
	v_fma_f64 v[188:189], v[4:5], v[140:141], -v[142:143]
	v_add_f64_e32 v[190:191], v[138:139], v[136:137]
	v_add_f64_e32 v[180:181], v[180:181], v[186:187]
	ds_load_b128 v[4:7], v2 offset:1152
	ds_load_b128 v[136:139], v2 offset:1168
	scratch_load_b128 v[140:143], off, off offset:432
	v_fmac_f64_e32 v[182:183], v[134:135], v[144:145]
	v_fma_f64 v[144:145], v[132:133], v[144:145], -v[146:147]
	scratch_load_b128 v[132:135], off, off offset:448
	s_wait_loadcnt_dscnt 0xc01
	v_mul_f64_e32 v[186:187], v[4:5], v[150:151]
	v_mul_f64_e32 v[150:151], v[6:7], v[150:151]
	v_add_f64_e32 v[146:147], v[190:191], v[188:189]
	v_add_f64_e32 v[180:181], v[180:181], v[184:185]
	s_wait_loadcnt_dscnt 0xb00
	v_mul_f64_e32 v[184:185], v[136:137], v[154:155]
	v_mul_f64_e32 v[154:155], v[138:139], v[154:155]
	v_fmac_f64_e32 v[186:187], v[6:7], v[148:149]
	v_fma_f64 v[188:189], v[4:5], v[148:149], -v[150:151]
	v_add_f64_e32 v[190:191], v[146:147], v[144:145]
	v_add_f64_e32 v[180:181], v[180:181], v[182:183]
	ds_load_b128 v[4:7], v2 offset:1184
	ds_load_b128 v[144:147], v2 offset:1200
	scratch_load_b128 v[148:151], off, off offset:464
	v_fmac_f64_e32 v[184:185], v[138:139], v[152:153]
	v_fma_f64 v[152:153], v[136:137], v[152:153], -v[154:155]
	scratch_load_b128 v[136:139], off, off offset:480
	s_wait_loadcnt_dscnt 0xc01
	v_mul_f64_e32 v[182:183], v[4:5], v[162:163]
	v_mul_f64_e32 v[162:163], v[6:7], v[162:163]
	;; [unrolled: 18-line block ×5, first 2 shown]
	v_add_f64_e32 v[174:175], v[190:191], v[188:189]
	v_add_f64_e32 v[180:181], v[180:181], v[186:187]
	s_wait_loadcnt_dscnt 0xa00
	v_mul_f64_e32 v[186:187], v[152:153], v[14:15]
	v_mul_f64_e32 v[14:15], v[154:155], v[14:15]
	v_fmac_f64_e32 v[182:183], v[6:7], v[156:157]
	v_fma_f64 v[188:189], v[4:5], v[156:157], -v[158:159]
	ds_load_b128 v[4:7], v2 offset:1312
	ds_load_b128 v[156:159], v2 offset:1328
	v_add_f64_e32 v[190:191], v[174:175], v[172:173]
	v_add_f64_e32 v[180:181], v[180:181], v[184:185]
	scratch_load_b128 v[172:175], off, off offset:592
	v_fmac_f64_e32 v[186:187], v[154:155], v[12:13]
	v_fma_f64 v[152:153], v[152:153], v[12:13], -v[14:15]
	scratch_load_b128 v[12:15], off, off offset:608
	s_wait_loadcnt_dscnt 0xb01
	v_mul_f64_e32 v[184:185], v[4:5], v[142:143]
	v_mul_f64_e32 v[142:143], v[6:7], v[142:143]
	v_add_f64_e32 v[154:155], v[190:191], v[188:189]
	v_add_f64_e32 v[180:181], v[180:181], v[182:183]
	s_wait_loadcnt_dscnt 0xa00
	v_mul_f64_e32 v[182:183], v[156:157], v[134:135]
	v_mul_f64_e32 v[134:135], v[158:159], v[134:135]
	v_fmac_f64_e32 v[184:185], v[6:7], v[140:141]
	v_fma_f64 v[188:189], v[4:5], v[140:141], -v[142:143]
	ds_load_b128 v[4:7], v2 offset:1344
	ds_load_b128 v[140:143], v2 offset:1360
	v_add_f64_e32 v[190:191], v[154:155], v[152:153]
	v_add_f64_e32 v[180:181], v[180:181], v[186:187]
	scratch_load_b128 v[152:155], off, off offset:624
	s_wait_loadcnt_dscnt 0xa01
	v_mul_f64_e32 v[186:187], v[4:5], v[150:151]
	v_mul_f64_e32 v[150:151], v[6:7], v[150:151]
	v_fmac_f64_e32 v[182:183], v[158:159], v[132:133]
	v_fma_f64 v[156:157], v[156:157], v[132:133], -v[134:135]
	scratch_load_b128 v[132:135], off, off offset:640
	v_add_f64_e32 v[158:159], v[190:191], v[188:189]
	v_add_f64_e32 v[180:181], v[180:181], v[184:185]
	s_wait_loadcnt_dscnt 0xa00
	v_mul_f64_e32 v[184:185], v[140:141], v[138:139]
	v_mul_f64_e32 v[138:139], v[142:143], v[138:139]
	v_fmac_f64_e32 v[186:187], v[6:7], v[148:149]
	v_fma_f64 v[188:189], v[4:5], v[148:149], -v[150:151]
	ds_load_b128 v[4:7], v2 offset:1376
	ds_load_b128 v[148:151], v2 offset:1392
	v_add_f64_e32 v[190:191], v[158:159], v[156:157]
	v_add_f64_e32 v[180:181], v[180:181], v[182:183]
	scratch_load_b128 v[156:159], off, off offset:656
	s_wait_loadcnt_dscnt 0xa01
	v_mul_f64_e32 v[182:183], v[4:5], v[162:163]
	v_mul_f64_e32 v[162:163], v[6:7], v[162:163]
	v_fmac_f64_e32 v[184:185], v[142:143], v[136:137]
	v_fma_f64 v[140:141], v[140:141], v[136:137], -v[138:139]
	scratch_load_b128 v[136:139], off, off offset:672
	v_add_f64_e32 v[142:143], v[190:191], v[188:189]
	v_add_f64_e32 v[180:181], v[180:181], v[186:187]
	s_wait_loadcnt_dscnt 0xa00
	v_mul_f64_e32 v[186:187], v[148:149], v[146:147]
	v_mul_f64_e32 v[146:147], v[150:151], v[146:147]
	v_fmac_f64_e32 v[182:183], v[6:7], v[160:161]
	v_fma_f64 v[188:189], v[4:5], v[160:161], -v[162:163]
	v_add_f64_e32 v[190:191], v[142:143], v[140:141]
	v_add_f64_e32 v[180:181], v[180:181], v[184:185]
	ds_load_b128 v[4:7], v2 offset:1408
	ds_load_b128 v[140:143], v2 offset:1424
	scratch_load_b128 v[160:163], off, off offset:688
	v_fmac_f64_e32 v[186:187], v[150:151], v[144:145]
	v_fma_f64 v[148:149], v[148:149], v[144:145], -v[146:147]
	scratch_load_b128 v[144:147], off, off offset:704
	s_wait_loadcnt_dscnt 0xb01
	v_mul_f64_e32 v[184:185], v[4:5], v[178:179]
	v_mul_f64_e32 v[178:179], v[6:7], v[178:179]
	v_add_f64_e32 v[150:151], v[190:191], v[188:189]
	v_add_f64_e32 v[180:181], v[180:181], v[182:183]
	s_wait_loadcnt_dscnt 0xa00
	v_mul_f64_e32 v[182:183], v[140:141], v[10:11]
	v_mul_f64_e32 v[10:11], v[142:143], v[10:11]
	v_fmac_f64_e32 v[184:185], v[6:7], v[176:177]
	v_fma_f64 v[188:189], v[4:5], v[176:177], -v[178:179]
	v_add_f64_e32 v[190:191], v[150:151], v[148:149]
	v_add_f64_e32 v[180:181], v[180:181], v[186:187]
	ds_load_b128 v[4:7], v2 offset:1440
	ds_load_b128 v[148:151], v2 offset:1456
	scratch_load_b128 v[176:179], off, off offset:720
	v_fmac_f64_e32 v[182:183], v[142:143], v[8:9]
	v_fma_f64 v[140:141], v[140:141], v[8:9], -v[10:11]
	scratch_load_b128 v[8:11], off, off offset:736
	s_wait_loadcnt_dscnt 0xb01
	v_mul_f64_e32 v[186:187], v[4:5], v[166:167]
	v_mul_f64_e32 v[166:167], v[6:7], v[166:167]
	;; [unrolled: 18-line block ×6, first 2 shown]
	v_add_f64_e32 v[142:143], v[190:191], v[188:189]
	v_add_f64_e32 v[180:181], v[180:181], v[186:187]
	s_wait_loadcnt_dscnt 0xa00
	v_mul_f64_e32 v[186:187], v[148:149], v[146:147]
	v_mul_f64_e32 v[146:147], v[150:151], v[146:147]
	v_fmac_f64_e32 v[182:183], v[6:7], v[160:161]
	v_fma_f64 v[160:161], v[4:5], v[160:161], -v[162:163]
	v_add_f64_e32 v[162:163], v[142:143], v[140:141]
	v_add_f64_e32 v[180:181], v[180:181], v[184:185]
	ds_load_b128 v[4:7], v2 offset:1600
	ds_load_b128 v[140:143], v2 offset:1616
	v_fmac_f64_e32 v[186:187], v[150:151], v[144:145]
	v_fma_f64 v[144:145], v[148:149], v[144:145], -v[146:147]
	s_wait_loadcnt_dscnt 0x901
	v_mul_f64_e32 v[184:185], v[4:5], v[178:179]
	v_mul_f64_e32 v[178:179], v[6:7], v[178:179]
	s_wait_loadcnt_dscnt 0x800
	v_mul_f64_e32 v[150:151], v[140:141], v[10:11]
	v_mul_f64_e32 v[10:11], v[142:143], v[10:11]
	v_add_f64_e32 v[146:147], v[162:163], v[160:161]
	v_add_f64_e32 v[148:149], v[180:181], v[182:183]
	v_fmac_f64_e32 v[184:185], v[6:7], v[176:177]
	v_fma_f64 v[160:161], v[4:5], v[176:177], -v[178:179]
	v_fmac_f64_e32 v[150:151], v[142:143], v[8:9]
	v_fma_f64 v[8:9], v[140:141], v[8:9], -v[10:11]
	v_add_f64_e32 v[162:163], v[146:147], v[144:145]
	v_add_f64_e32 v[148:149], v[148:149], v[186:187]
	ds_load_b128 v[4:7], v2 offset:1632
	ds_load_b128 v[144:147], v2 offset:1648
	s_wait_loadcnt_dscnt 0x701
	v_mul_f64_e32 v[176:177], v[4:5], v[166:167]
	v_mul_f64_e32 v[166:167], v[6:7], v[166:167]
	s_wait_loadcnt_dscnt 0x600
	v_mul_f64_e32 v[142:143], v[144:145], v[130:131]
	v_mul_f64_e32 v[130:131], v[146:147], v[130:131]
	v_add_f64_e32 v[10:11], v[162:163], v[160:161]
	v_add_f64_e32 v[140:141], v[148:149], v[184:185]
	v_fmac_f64_e32 v[176:177], v[6:7], v[164:165]
	v_fma_f64 v[148:149], v[4:5], v[164:165], -v[166:167]
	v_fmac_f64_e32 v[142:143], v[146:147], v[128:129]
	v_fma_f64 v[128:129], v[144:145], v[128:129], -v[130:131]
	v_add_f64_e32 v[160:161], v[10:11], v[8:9]
	v_add_f64_e32 v[140:141], v[140:141], v[150:151]
	ds_load_b128 v[4:7], v2 offset:1664
	ds_load_b128 v[8:11], v2 offset:1680
	;; [unrolled: 16-line block ×4, first 2 shown]
	s_wait_loadcnt_dscnt 0x101
	v_mul_f64_e32 v[2:3], v[4:5], v[158:159]
	v_mul_f64_e32 v[144:145], v[6:7], v[158:159]
	s_wait_loadcnt_dscnt 0x0
	v_mul_f64_e32 v[132:133], v[8:9], v[138:139]
	v_mul_f64_e32 v[134:135], v[10:11], v[138:139]
	v_add_f64_e32 v[130:131], v[146:147], v[140:141]
	v_add_f64_e32 v[12:13], v[12:13], v[142:143]
	v_fmac_f64_e32 v[2:3], v[6:7], v[156:157]
	v_fma_f64 v[4:5], v[4:5], v[156:157], -v[144:145]
	v_fmac_f64_e32 v[132:133], v[10:11], v[136:137]
	v_fma_f64 v[8:9], v[8:9], v[136:137], -v[134:135]
	v_add_f64_e32 v[6:7], v[130:131], v[128:129]
	v_add_f64_e32 v[12:13], v[12:13], v[14:15]
	s_delay_alu instid0(VALU_DEP_2) | instskip(NEXT) | instid1(VALU_DEP_2)
	v_add_f64_e32 v[4:5], v[6:7], v[4:5]
	v_add_f64_e32 v[2:3], v[12:13], v[2:3]
	s_delay_alu instid0(VALU_DEP_2) | instskip(NEXT) | instid1(VALU_DEP_2)
	;; [unrolled: 3-line block ×3, first 2 shown]
	v_add_f64_e64 v[2:3], v[168:169], -v[4:5]
	v_add_f64_e64 v[4:5], v[170:171], -v[6:7]
	scratch_store_b128 off, v[2:5], off offset:128
	s_wait_xcnt 0x0
	v_cmpx_lt_u32_e32 7, v1
	s_cbranch_execz .LBB54_329
; %bb.328:
	scratch_load_b128 v[2:5], off, s61
	v_mov_b32_e32 v6, 0
	s_delay_alu instid0(VALU_DEP_1)
	v_dual_mov_b32 v7, v6 :: v_dual_mov_b32 v8, v6
	v_mov_b32_e32 v9, v6
	scratch_store_b128 off, v[6:9], off offset:112
	s_wait_loadcnt 0x0
	ds_store_b128 v126, v[2:5]
.LBB54_329:
	s_wait_xcnt 0x0
	s_or_b32 exec_lo, exec_lo, s2
	s_wait_storecnt_dscnt 0x0
	s_barrier_signal -1
	s_barrier_wait -1
	s_clause 0x9
	scratch_load_b128 v[4:7], off, off offset:128
	scratch_load_b128 v[8:11], off, off offset:144
	;; [unrolled: 1-line block ×10, first 2 shown]
	v_mov_b32_e32 v2, 0
	s_mov_b32 s2, exec_lo
	ds_load_b128 v[156:159], v2 offset:1008
	s_clause 0x2
	scratch_load_b128 v[160:163], off, off offset:288
	scratch_load_b128 v[164:167], off, off offset:112
	;; [unrolled: 1-line block ×3, first 2 shown]
	s_wait_loadcnt_dscnt 0xc00
	v_mul_f64_e32 v[176:177], v[158:159], v[6:7]
	v_mul_f64_e32 v[180:181], v[156:157], v[6:7]
	ds_load_b128 v[168:171], v2 offset:1024
	v_fma_f64 v[184:185], v[156:157], v[4:5], -v[176:177]
	v_fmac_f64_e32 v[180:181], v[158:159], v[4:5]
	ds_load_b128 v[4:7], v2 offset:1040
	s_wait_loadcnt_dscnt 0xb01
	v_mul_f64_e32 v[182:183], v[168:169], v[10:11]
	v_mul_f64_e32 v[10:11], v[170:171], v[10:11]
	scratch_load_b128 v[156:159], off, off offset:320
	ds_load_b128 v[176:179], v2 offset:1056
	s_wait_loadcnt_dscnt 0xb01
	v_mul_f64_e32 v[186:187], v[4:5], v[14:15]
	v_mul_f64_e32 v[14:15], v[6:7], v[14:15]
	v_add_f64_e32 v[180:181], 0, v[180:181]
	v_fmac_f64_e32 v[182:183], v[170:171], v[8:9]
	v_fma_f64 v[168:169], v[168:169], v[8:9], -v[10:11]
	v_add_f64_e32 v[170:171], 0, v[184:185]
	scratch_load_b128 v[8:11], off, off offset:336
	v_fmac_f64_e32 v[186:187], v[6:7], v[12:13]
	v_fma_f64 v[188:189], v[4:5], v[12:13], -v[14:15]
	ds_load_b128 v[4:7], v2 offset:1072
	s_wait_loadcnt_dscnt 0xb01
	v_mul_f64_e32 v[184:185], v[176:177], v[130:131]
	v_mul_f64_e32 v[130:131], v[178:179], v[130:131]
	scratch_load_b128 v[12:15], off, off offset:352
	v_add_f64_e32 v[180:181], v[180:181], v[182:183]
	v_add_f64_e32 v[190:191], v[170:171], v[168:169]
	ds_load_b128 v[168:171], v2 offset:1088
	s_wait_loadcnt_dscnt 0xb01
	v_mul_f64_e32 v[182:183], v[4:5], v[134:135]
	v_mul_f64_e32 v[134:135], v[6:7], v[134:135]
	v_fmac_f64_e32 v[184:185], v[178:179], v[128:129]
	v_fma_f64 v[176:177], v[176:177], v[128:129], -v[130:131]
	scratch_load_b128 v[128:131], off, off offset:368
	v_add_f64_e32 v[180:181], v[180:181], v[186:187]
	v_add_f64_e32 v[178:179], v[190:191], v[188:189]
	v_fmac_f64_e32 v[182:183], v[6:7], v[132:133]
	v_fma_f64 v[188:189], v[4:5], v[132:133], -v[134:135]
	ds_load_b128 v[4:7], v2 offset:1104
	s_wait_loadcnt_dscnt 0xb01
	v_mul_f64_e32 v[186:187], v[168:169], v[138:139]
	v_mul_f64_e32 v[138:139], v[170:171], v[138:139]
	scratch_load_b128 v[132:135], off, off offset:384
	v_add_f64_e32 v[180:181], v[180:181], v[184:185]
	s_wait_loadcnt_dscnt 0xb00
	v_mul_f64_e32 v[184:185], v[4:5], v[142:143]
	v_add_f64_e32 v[190:191], v[178:179], v[176:177]
	v_mul_f64_e32 v[142:143], v[6:7], v[142:143]
	ds_load_b128 v[176:179], v2 offset:1120
	v_fmac_f64_e32 v[186:187], v[170:171], v[136:137]
	v_fma_f64 v[168:169], v[168:169], v[136:137], -v[138:139]
	scratch_load_b128 v[136:139], off, off offset:400
	v_add_f64_e32 v[180:181], v[180:181], v[182:183]
	v_fmac_f64_e32 v[184:185], v[6:7], v[140:141]
	v_add_f64_e32 v[170:171], v[190:191], v[188:189]
	v_fma_f64 v[188:189], v[4:5], v[140:141], -v[142:143]
	ds_load_b128 v[4:7], v2 offset:1136
	s_wait_loadcnt_dscnt 0xb01
	v_mul_f64_e32 v[182:183], v[176:177], v[146:147]
	v_mul_f64_e32 v[146:147], v[178:179], v[146:147]
	scratch_load_b128 v[140:143], off, off offset:416
	v_add_f64_e32 v[180:181], v[180:181], v[186:187]
	s_wait_loadcnt_dscnt 0xb00
	v_mul_f64_e32 v[186:187], v[4:5], v[150:151]
	v_add_f64_e32 v[190:191], v[170:171], v[168:169]
	v_mul_f64_e32 v[150:151], v[6:7], v[150:151]
	ds_load_b128 v[168:171], v2 offset:1152
	v_fmac_f64_e32 v[182:183], v[178:179], v[144:145]
	v_fma_f64 v[176:177], v[176:177], v[144:145], -v[146:147]
	scratch_load_b128 v[144:147], off, off offset:432
	v_add_f64_e32 v[180:181], v[180:181], v[184:185]
	v_fmac_f64_e32 v[186:187], v[6:7], v[148:149]
	v_add_f64_e32 v[178:179], v[190:191], v[188:189]
	;; [unrolled: 18-line block ×3, first 2 shown]
	v_fma_f64 v[188:189], v[4:5], v[160:161], -v[162:163]
	ds_load_b128 v[4:7], v2 offset:1200
	s_wait_loadcnt_dscnt 0xa01
	v_mul_f64_e32 v[186:187], v[176:177], v[174:175]
	v_mul_f64_e32 v[174:175], v[178:179], v[174:175]
	scratch_load_b128 v[160:163], off, off offset:480
	v_add_f64_e32 v[180:181], v[180:181], v[184:185]
	v_add_f64_e32 v[190:191], v[170:171], v[168:169]
	s_wait_loadcnt_dscnt 0xa00
	v_mul_f64_e32 v[184:185], v[4:5], v[158:159]
	v_mul_f64_e32 v[158:159], v[6:7], v[158:159]
	v_fmac_f64_e32 v[186:187], v[178:179], v[172:173]
	v_fma_f64 v[176:177], v[176:177], v[172:173], -v[174:175]
	ds_load_b128 v[168:171], v2 offset:1216
	scratch_load_b128 v[172:175], off, off offset:496
	v_add_f64_e32 v[180:181], v[180:181], v[182:183]
	v_add_f64_e32 v[178:179], v[190:191], v[188:189]
	v_fmac_f64_e32 v[184:185], v[6:7], v[156:157]
	v_fma_f64 v[188:189], v[4:5], v[156:157], -v[158:159]
	ds_load_b128 v[4:7], v2 offset:1232
	s_wait_loadcnt_dscnt 0xa01
	v_mul_f64_e32 v[182:183], v[168:169], v[10:11]
	v_mul_f64_e32 v[10:11], v[170:171], v[10:11]
	scratch_load_b128 v[156:159], off, off offset:512
	v_add_f64_e32 v[180:181], v[180:181], v[186:187]
	s_wait_loadcnt_dscnt 0xa00
	v_mul_f64_e32 v[186:187], v[4:5], v[14:15]
	v_add_f64_e32 v[190:191], v[178:179], v[176:177]
	v_mul_f64_e32 v[14:15], v[6:7], v[14:15]
	ds_load_b128 v[176:179], v2 offset:1248
	v_fmac_f64_e32 v[182:183], v[170:171], v[8:9]
	v_fma_f64 v[168:169], v[168:169], v[8:9], -v[10:11]
	scratch_load_b128 v[8:11], off, off offset:528
	v_add_f64_e32 v[180:181], v[180:181], v[184:185]
	v_fmac_f64_e32 v[186:187], v[6:7], v[12:13]
	v_add_f64_e32 v[170:171], v[190:191], v[188:189]
	v_fma_f64 v[188:189], v[4:5], v[12:13], -v[14:15]
	ds_load_b128 v[4:7], v2 offset:1264
	s_wait_loadcnt_dscnt 0xa01
	v_mul_f64_e32 v[184:185], v[176:177], v[130:131]
	v_mul_f64_e32 v[130:131], v[178:179], v[130:131]
	scratch_load_b128 v[12:15], off, off offset:544
	v_add_f64_e32 v[180:181], v[180:181], v[182:183]
	s_wait_loadcnt_dscnt 0xa00
	v_mul_f64_e32 v[182:183], v[4:5], v[134:135]
	v_add_f64_e32 v[190:191], v[170:171], v[168:169]
	v_mul_f64_e32 v[134:135], v[6:7], v[134:135]
	ds_load_b128 v[168:171], v2 offset:1280
	v_fmac_f64_e32 v[184:185], v[178:179], v[128:129]
	v_fma_f64 v[176:177], v[176:177], v[128:129], -v[130:131]
	scratch_load_b128 v[128:131], off, off offset:560
	v_add_f64_e32 v[180:181], v[180:181], v[186:187]
	v_fmac_f64_e32 v[182:183], v[6:7], v[132:133]
	v_add_f64_e32 v[178:179], v[190:191], v[188:189]
	;; [unrolled: 18-line block ×11, first 2 shown]
	v_fma_f64 v[188:189], v[4:5], v[160:161], -v[162:163]
	ds_load_b128 v[4:7], v2 offset:1584
	s_wait_loadcnt_dscnt 0xa01
	v_mul_f64_e32 v[186:187], v[176:177], v[174:175]
	v_mul_f64_e32 v[174:175], v[178:179], v[174:175]
	scratch_load_b128 v[160:163], off, off offset:864
	v_add_f64_e32 v[180:181], v[180:181], v[184:185]
	s_wait_loadcnt_dscnt 0xa00
	v_mul_f64_e32 v[184:185], v[4:5], v[158:159]
	v_add_f64_e32 v[190:191], v[170:171], v[168:169]
	v_mul_f64_e32 v[158:159], v[6:7], v[158:159]
	ds_load_b128 v[168:171], v2 offset:1600
	v_fmac_f64_e32 v[186:187], v[178:179], v[172:173]
	v_fma_f64 v[172:173], v[176:177], v[172:173], -v[174:175]
	s_wait_loadcnt_dscnt 0x900
	v_mul_f64_e32 v[178:179], v[168:169], v[10:11]
	v_mul_f64_e32 v[10:11], v[170:171], v[10:11]
	v_add_f64_e32 v[176:177], v[180:181], v[182:183]
	v_fmac_f64_e32 v[184:185], v[6:7], v[156:157]
	v_add_f64_e32 v[174:175], v[190:191], v[188:189]
	v_fma_f64 v[180:181], v[4:5], v[156:157], -v[158:159]
	ds_load_b128 v[4:7], v2 offset:1616
	ds_load_b128 v[156:159], v2 offset:1632
	v_fmac_f64_e32 v[178:179], v[170:171], v[8:9]
	v_fma_f64 v[8:9], v[168:169], v[8:9], -v[10:11]
	v_add_f64_e32 v[172:173], v[174:175], v[172:173]
	v_add_f64_e32 v[174:175], v[176:177], v[186:187]
	s_wait_loadcnt_dscnt 0x801
	v_mul_f64_e32 v[176:177], v[4:5], v[14:15]
	v_mul_f64_e32 v[14:15], v[6:7], v[14:15]
	s_wait_loadcnt_dscnt 0x700
	v_mul_f64_e32 v[170:171], v[156:157], v[130:131]
	v_mul_f64_e32 v[130:131], v[158:159], v[130:131]
	v_add_f64_e32 v[10:11], v[172:173], v[180:181]
	v_add_f64_e32 v[168:169], v[174:175], v[184:185]
	v_fmac_f64_e32 v[176:177], v[6:7], v[12:13]
	v_fma_f64 v[12:13], v[4:5], v[12:13], -v[14:15]
	v_fmac_f64_e32 v[170:171], v[158:159], v[128:129]
	v_fma_f64 v[128:129], v[156:157], v[128:129], -v[130:131]
	v_add_f64_e32 v[14:15], v[10:11], v[8:9]
	v_add_f64_e32 v[168:169], v[168:169], v[178:179]
	ds_load_b128 v[4:7], v2 offset:1648
	ds_load_b128 v[8:11], v2 offset:1664
	s_wait_loadcnt_dscnt 0x601
	v_mul_f64_e32 v[172:173], v[4:5], v[134:135]
	v_mul_f64_e32 v[134:135], v[6:7], v[134:135]
	s_wait_loadcnt_dscnt 0x500
	v_mul_f64_e32 v[130:131], v[8:9], v[138:139]
	v_mul_f64_e32 v[138:139], v[10:11], v[138:139]
	v_add_f64_e32 v[12:13], v[14:15], v[12:13]
	v_add_f64_e32 v[14:15], v[168:169], v[176:177]
	v_fmac_f64_e32 v[172:173], v[6:7], v[132:133]
	v_fma_f64 v[132:133], v[4:5], v[132:133], -v[134:135]
	v_fmac_f64_e32 v[130:131], v[10:11], v[136:137]
	v_fma_f64 v[8:9], v[8:9], v[136:137], -v[138:139]
	v_add_f64_e32 v[128:129], v[12:13], v[128:129]
	v_add_f64_e32 v[134:135], v[14:15], v[170:171]
	ds_load_b128 v[4:7], v2 offset:1680
	ds_load_b128 v[12:15], v2 offset:1696
	s_wait_loadcnt_dscnt 0x401
	v_mul_f64_e32 v[156:157], v[4:5], v[142:143]
	v_mul_f64_e32 v[142:143], v[6:7], v[142:143]
	v_add_f64_e32 v[10:11], v[128:129], v[132:133]
	v_add_f64_e32 v[128:129], v[134:135], v[172:173]
	s_wait_loadcnt_dscnt 0x300
	v_mul_f64_e32 v[132:133], v[12:13], v[146:147]
	v_mul_f64_e32 v[134:135], v[14:15], v[146:147]
	v_fmac_f64_e32 v[156:157], v[6:7], v[140:141]
	v_fma_f64 v[136:137], v[4:5], v[140:141], -v[142:143]
	v_add_f64_e32 v[138:139], v[10:11], v[8:9]
	v_add_f64_e32 v[128:129], v[128:129], v[130:131]
	ds_load_b128 v[4:7], v2 offset:1712
	ds_load_b128 v[8:11], v2 offset:1728
	v_fmac_f64_e32 v[132:133], v[14:15], v[144:145]
	v_fma_f64 v[12:13], v[12:13], v[144:145], -v[134:135]
	s_wait_loadcnt_dscnt 0x201
	v_mul_f64_e32 v[130:131], v[4:5], v[150:151]
	v_mul_f64_e32 v[140:141], v[6:7], v[150:151]
	s_wait_loadcnt_dscnt 0x100
	v_mul_f64_e32 v[134:135], v[8:9], v[154:155]
	v_add_f64_e32 v[14:15], v[138:139], v[136:137]
	v_add_f64_e32 v[128:129], v[128:129], v[156:157]
	v_mul_f64_e32 v[136:137], v[10:11], v[154:155]
	v_fmac_f64_e32 v[130:131], v[6:7], v[148:149]
	v_fma_f64 v[138:139], v[4:5], v[148:149], -v[140:141]
	ds_load_b128 v[4:7], v2 offset:1744
	v_fmac_f64_e32 v[134:135], v[10:11], v[152:153]
	v_add_f64_e32 v[12:13], v[14:15], v[12:13]
	v_add_f64_e32 v[14:15], v[128:129], v[132:133]
	v_fma_f64 v[8:9], v[8:9], v[152:153], -v[136:137]
	s_wait_loadcnt_dscnt 0x0
	v_mul_f64_e32 v[128:129], v[4:5], v[162:163]
	v_mul_f64_e32 v[132:133], v[6:7], v[162:163]
	v_add_f64_e32 v[10:11], v[12:13], v[138:139]
	v_add_f64_e32 v[12:13], v[14:15], v[130:131]
	s_delay_alu instid0(VALU_DEP_4) | instskip(NEXT) | instid1(VALU_DEP_4)
	v_fmac_f64_e32 v[128:129], v[6:7], v[160:161]
	v_fma_f64 v[4:5], v[4:5], v[160:161], -v[132:133]
	s_delay_alu instid0(VALU_DEP_4) | instskip(NEXT) | instid1(VALU_DEP_4)
	v_add_f64_e32 v[6:7], v[10:11], v[8:9]
	v_add_f64_e32 v[8:9], v[12:13], v[134:135]
	s_delay_alu instid0(VALU_DEP_2) | instskip(NEXT) | instid1(VALU_DEP_2)
	v_add_f64_e32 v[4:5], v[6:7], v[4:5]
	v_add_f64_e32 v[6:7], v[8:9], v[128:129]
	s_delay_alu instid0(VALU_DEP_2) | instskip(NEXT) | instid1(VALU_DEP_2)
	v_add_f64_e64 v[4:5], v[164:165], -v[4:5]
	v_add_f64_e64 v[6:7], v[166:167], -v[6:7]
	scratch_store_b128 off, v[4:7], off offset:112
	s_wait_xcnt 0x0
	v_cmpx_lt_u32_e32 6, v1
	s_cbranch_execz .LBB54_331
; %bb.330:
	scratch_load_b128 v[6:9], off, s58
	v_dual_mov_b32 v3, v2 :: v_dual_mov_b32 v4, v2
	v_mov_b32_e32 v5, v2
	scratch_store_b128 off, v[2:5], off offset:96
	s_wait_loadcnt 0x0
	ds_store_b128 v126, v[6:9]
.LBB54_331:
	s_wait_xcnt 0x0
	s_or_b32 exec_lo, exec_lo, s2
	s_wait_storecnt_dscnt 0x0
	s_barrier_signal -1
	s_barrier_wait -1
	s_clause 0x9
	scratch_load_b128 v[4:7], off, off offset:112
	scratch_load_b128 v[8:11], off, off offset:128
	;; [unrolled: 1-line block ×10, first 2 shown]
	ds_load_b128 v[156:159], v2 offset:992
	ds_load_b128 v[164:167], v2 offset:1008
	s_clause 0x2
	scratch_load_b128 v[160:163], off, off offset:272
	scratch_load_b128 v[168:171], off, off offset:96
	;; [unrolled: 1-line block ×3, first 2 shown]
	s_mov_b32 s2, exec_lo
	s_wait_loadcnt_dscnt 0xc01
	v_mul_f64_e32 v[176:177], v[158:159], v[6:7]
	v_mul_f64_e32 v[180:181], v[156:157], v[6:7]
	s_wait_loadcnt_dscnt 0xb00
	v_mul_f64_e32 v[182:183], v[164:165], v[10:11]
	v_mul_f64_e32 v[10:11], v[166:167], v[10:11]
	s_delay_alu instid0(VALU_DEP_4) | instskip(NEXT) | instid1(VALU_DEP_4)
	v_fma_f64 v[184:185], v[156:157], v[4:5], -v[176:177]
	v_fmac_f64_e32 v[180:181], v[158:159], v[4:5]
	ds_load_b128 v[4:7], v2 offset:1024
	ds_load_b128 v[156:159], v2 offset:1040
	scratch_load_b128 v[176:179], off, off offset:304
	v_fmac_f64_e32 v[182:183], v[166:167], v[8:9]
	v_fma_f64 v[164:165], v[164:165], v[8:9], -v[10:11]
	scratch_load_b128 v[8:11], off, off offset:320
	s_wait_loadcnt_dscnt 0xc01
	v_mul_f64_e32 v[186:187], v[4:5], v[14:15]
	v_mul_f64_e32 v[14:15], v[6:7], v[14:15]
	v_add_f64_e32 v[166:167], 0, v[184:185]
	v_add_f64_e32 v[180:181], 0, v[180:181]
	s_wait_loadcnt_dscnt 0xb00
	v_mul_f64_e32 v[184:185], v[156:157], v[130:131]
	v_mul_f64_e32 v[130:131], v[158:159], v[130:131]
	v_fmac_f64_e32 v[186:187], v[6:7], v[12:13]
	v_fma_f64 v[188:189], v[4:5], v[12:13], -v[14:15]
	ds_load_b128 v[4:7], v2 offset:1056
	ds_load_b128 v[12:15], v2 offset:1072
	v_add_f64_e32 v[190:191], v[166:167], v[164:165]
	v_add_f64_e32 v[180:181], v[180:181], v[182:183]
	scratch_load_b128 v[164:167], off, off offset:336
	v_fmac_f64_e32 v[184:185], v[158:159], v[128:129]
	v_fma_f64 v[156:157], v[156:157], v[128:129], -v[130:131]
	scratch_load_b128 v[128:131], off, off offset:352
	s_wait_loadcnt_dscnt 0xc01
	v_mul_f64_e32 v[182:183], v[4:5], v[134:135]
	v_mul_f64_e32 v[134:135], v[6:7], v[134:135]
	v_add_f64_e32 v[158:159], v[190:191], v[188:189]
	v_add_f64_e32 v[180:181], v[180:181], v[186:187]
	s_wait_loadcnt_dscnt 0xb00
	v_mul_f64_e32 v[186:187], v[12:13], v[138:139]
	v_mul_f64_e32 v[138:139], v[14:15], v[138:139]
	v_fmac_f64_e32 v[182:183], v[6:7], v[132:133]
	v_fma_f64 v[188:189], v[4:5], v[132:133], -v[134:135]
	ds_load_b128 v[4:7], v2 offset:1088
	ds_load_b128 v[132:135], v2 offset:1104
	v_add_f64_e32 v[190:191], v[158:159], v[156:157]
	v_add_f64_e32 v[180:181], v[180:181], v[184:185]
	scratch_load_b128 v[156:159], off, off offset:368
	s_wait_loadcnt_dscnt 0xb01
	v_mul_f64_e32 v[184:185], v[4:5], v[142:143]
	v_mul_f64_e32 v[142:143], v[6:7], v[142:143]
	v_fmac_f64_e32 v[186:187], v[14:15], v[136:137]
	v_fma_f64 v[136:137], v[12:13], v[136:137], -v[138:139]
	scratch_load_b128 v[12:15], off, off offset:384
	v_add_f64_e32 v[138:139], v[190:191], v[188:189]
	v_add_f64_e32 v[180:181], v[180:181], v[182:183]
	s_wait_loadcnt_dscnt 0xb00
	v_mul_f64_e32 v[182:183], v[132:133], v[146:147]
	v_mul_f64_e32 v[146:147], v[134:135], v[146:147]
	v_fmac_f64_e32 v[184:185], v[6:7], v[140:141]
	v_fma_f64 v[188:189], v[4:5], v[140:141], -v[142:143]
	v_add_f64_e32 v[190:191], v[138:139], v[136:137]
	v_add_f64_e32 v[180:181], v[180:181], v[186:187]
	ds_load_b128 v[4:7], v2 offset:1120
	ds_load_b128 v[136:139], v2 offset:1136
	scratch_load_b128 v[140:143], off, off offset:400
	v_fmac_f64_e32 v[182:183], v[134:135], v[144:145]
	v_fma_f64 v[144:145], v[132:133], v[144:145], -v[146:147]
	scratch_load_b128 v[132:135], off, off offset:416
	s_wait_loadcnt_dscnt 0xc01
	v_mul_f64_e32 v[186:187], v[4:5], v[150:151]
	v_mul_f64_e32 v[150:151], v[6:7], v[150:151]
	v_add_f64_e32 v[146:147], v[190:191], v[188:189]
	v_add_f64_e32 v[180:181], v[180:181], v[184:185]
	s_wait_loadcnt_dscnt 0xb00
	v_mul_f64_e32 v[184:185], v[136:137], v[154:155]
	v_mul_f64_e32 v[154:155], v[138:139], v[154:155]
	v_fmac_f64_e32 v[186:187], v[6:7], v[148:149]
	v_fma_f64 v[188:189], v[4:5], v[148:149], -v[150:151]
	v_add_f64_e32 v[190:191], v[146:147], v[144:145]
	v_add_f64_e32 v[180:181], v[180:181], v[182:183]
	ds_load_b128 v[4:7], v2 offset:1152
	ds_load_b128 v[144:147], v2 offset:1168
	scratch_load_b128 v[148:151], off, off offset:432
	v_fmac_f64_e32 v[184:185], v[138:139], v[152:153]
	v_fma_f64 v[152:153], v[136:137], v[152:153], -v[154:155]
	scratch_load_b128 v[136:139], off, off offset:448
	s_wait_loadcnt_dscnt 0xc01
	v_mul_f64_e32 v[182:183], v[4:5], v[162:163]
	v_mul_f64_e32 v[162:163], v[6:7], v[162:163]
	;; [unrolled: 18-line block ×5, first 2 shown]
	v_add_f64_e32 v[174:175], v[190:191], v[188:189]
	v_add_f64_e32 v[180:181], v[180:181], v[186:187]
	s_wait_loadcnt_dscnt 0xa00
	v_mul_f64_e32 v[186:187], v[152:153], v[14:15]
	v_mul_f64_e32 v[14:15], v[154:155], v[14:15]
	v_fmac_f64_e32 v[182:183], v[6:7], v[156:157]
	v_fma_f64 v[188:189], v[4:5], v[156:157], -v[158:159]
	ds_load_b128 v[4:7], v2 offset:1280
	ds_load_b128 v[156:159], v2 offset:1296
	v_add_f64_e32 v[190:191], v[174:175], v[172:173]
	v_add_f64_e32 v[180:181], v[180:181], v[184:185]
	scratch_load_b128 v[172:175], off, off offset:560
	v_fmac_f64_e32 v[186:187], v[154:155], v[12:13]
	v_fma_f64 v[152:153], v[152:153], v[12:13], -v[14:15]
	scratch_load_b128 v[12:15], off, off offset:576
	s_wait_loadcnt_dscnt 0xb01
	v_mul_f64_e32 v[184:185], v[4:5], v[142:143]
	v_mul_f64_e32 v[142:143], v[6:7], v[142:143]
	v_add_f64_e32 v[154:155], v[190:191], v[188:189]
	v_add_f64_e32 v[180:181], v[180:181], v[182:183]
	s_wait_loadcnt_dscnt 0xa00
	v_mul_f64_e32 v[182:183], v[156:157], v[134:135]
	v_mul_f64_e32 v[134:135], v[158:159], v[134:135]
	v_fmac_f64_e32 v[184:185], v[6:7], v[140:141]
	v_fma_f64 v[188:189], v[4:5], v[140:141], -v[142:143]
	ds_load_b128 v[4:7], v2 offset:1312
	ds_load_b128 v[140:143], v2 offset:1328
	v_add_f64_e32 v[190:191], v[154:155], v[152:153]
	v_add_f64_e32 v[180:181], v[180:181], v[186:187]
	scratch_load_b128 v[152:155], off, off offset:592
	s_wait_loadcnt_dscnt 0xa01
	v_mul_f64_e32 v[186:187], v[4:5], v[150:151]
	v_mul_f64_e32 v[150:151], v[6:7], v[150:151]
	v_fmac_f64_e32 v[182:183], v[158:159], v[132:133]
	v_fma_f64 v[156:157], v[156:157], v[132:133], -v[134:135]
	scratch_load_b128 v[132:135], off, off offset:608
	v_add_f64_e32 v[158:159], v[190:191], v[188:189]
	v_add_f64_e32 v[180:181], v[180:181], v[184:185]
	s_wait_loadcnt_dscnt 0xa00
	v_mul_f64_e32 v[184:185], v[140:141], v[138:139]
	v_mul_f64_e32 v[138:139], v[142:143], v[138:139]
	v_fmac_f64_e32 v[186:187], v[6:7], v[148:149]
	v_fma_f64 v[188:189], v[4:5], v[148:149], -v[150:151]
	ds_load_b128 v[4:7], v2 offset:1344
	ds_load_b128 v[148:151], v2 offset:1360
	v_add_f64_e32 v[190:191], v[158:159], v[156:157]
	v_add_f64_e32 v[180:181], v[180:181], v[182:183]
	scratch_load_b128 v[156:159], off, off offset:624
	s_wait_loadcnt_dscnt 0xa01
	v_mul_f64_e32 v[182:183], v[4:5], v[162:163]
	v_mul_f64_e32 v[162:163], v[6:7], v[162:163]
	v_fmac_f64_e32 v[184:185], v[142:143], v[136:137]
	v_fma_f64 v[140:141], v[140:141], v[136:137], -v[138:139]
	scratch_load_b128 v[136:139], off, off offset:640
	v_add_f64_e32 v[142:143], v[190:191], v[188:189]
	v_add_f64_e32 v[180:181], v[180:181], v[186:187]
	s_wait_loadcnt_dscnt 0xa00
	v_mul_f64_e32 v[186:187], v[148:149], v[146:147]
	v_mul_f64_e32 v[146:147], v[150:151], v[146:147]
	v_fmac_f64_e32 v[182:183], v[6:7], v[160:161]
	v_fma_f64 v[188:189], v[4:5], v[160:161], -v[162:163]
	v_add_f64_e32 v[190:191], v[142:143], v[140:141]
	v_add_f64_e32 v[180:181], v[180:181], v[184:185]
	ds_load_b128 v[4:7], v2 offset:1376
	ds_load_b128 v[140:143], v2 offset:1392
	scratch_load_b128 v[160:163], off, off offset:656
	v_fmac_f64_e32 v[186:187], v[150:151], v[144:145]
	v_fma_f64 v[148:149], v[148:149], v[144:145], -v[146:147]
	scratch_load_b128 v[144:147], off, off offset:672
	s_wait_loadcnt_dscnt 0xb01
	v_mul_f64_e32 v[184:185], v[4:5], v[178:179]
	v_mul_f64_e32 v[178:179], v[6:7], v[178:179]
	v_add_f64_e32 v[150:151], v[190:191], v[188:189]
	v_add_f64_e32 v[180:181], v[180:181], v[182:183]
	s_wait_loadcnt_dscnt 0xa00
	v_mul_f64_e32 v[182:183], v[140:141], v[10:11]
	v_mul_f64_e32 v[10:11], v[142:143], v[10:11]
	v_fmac_f64_e32 v[184:185], v[6:7], v[176:177]
	v_fma_f64 v[188:189], v[4:5], v[176:177], -v[178:179]
	v_add_f64_e32 v[190:191], v[150:151], v[148:149]
	v_add_f64_e32 v[180:181], v[180:181], v[186:187]
	ds_load_b128 v[4:7], v2 offset:1408
	ds_load_b128 v[148:151], v2 offset:1424
	scratch_load_b128 v[176:179], off, off offset:688
	v_fmac_f64_e32 v[182:183], v[142:143], v[8:9]
	v_fma_f64 v[140:141], v[140:141], v[8:9], -v[10:11]
	scratch_load_b128 v[8:11], off, off offset:704
	s_wait_loadcnt_dscnt 0xb01
	v_mul_f64_e32 v[186:187], v[4:5], v[166:167]
	v_mul_f64_e32 v[166:167], v[6:7], v[166:167]
	;; [unrolled: 18-line block ×7, first 2 shown]
	v_add_f64_e32 v[150:151], v[190:191], v[188:189]
	v_add_f64_e32 v[180:181], v[180:181], v[182:183]
	s_wait_loadcnt_dscnt 0xa00
	v_mul_f64_e32 v[182:183], v[140:141], v[10:11]
	v_mul_f64_e32 v[10:11], v[142:143], v[10:11]
	v_fmac_f64_e32 v[184:185], v[6:7], v[176:177]
	v_fma_f64 v[176:177], v[4:5], v[176:177], -v[178:179]
	v_add_f64_e32 v[178:179], v[150:151], v[148:149]
	v_add_f64_e32 v[180:181], v[180:181], v[186:187]
	ds_load_b128 v[4:7], v2 offset:1600
	ds_load_b128 v[148:151], v2 offset:1616
	v_fmac_f64_e32 v[182:183], v[142:143], v[8:9]
	v_fma_f64 v[8:9], v[140:141], v[8:9], -v[10:11]
	s_wait_loadcnt_dscnt 0x901
	v_mul_f64_e32 v[186:187], v[4:5], v[166:167]
	v_mul_f64_e32 v[166:167], v[6:7], v[166:167]
	s_wait_loadcnt_dscnt 0x800
	v_mul_f64_e32 v[142:143], v[148:149], v[130:131]
	v_mul_f64_e32 v[130:131], v[150:151], v[130:131]
	v_add_f64_e32 v[10:11], v[178:179], v[176:177]
	v_add_f64_e32 v[140:141], v[180:181], v[184:185]
	v_fmac_f64_e32 v[186:187], v[6:7], v[164:165]
	v_fma_f64 v[164:165], v[4:5], v[164:165], -v[166:167]
	v_fmac_f64_e32 v[142:143], v[150:151], v[128:129]
	v_fma_f64 v[128:129], v[148:149], v[128:129], -v[130:131]
	v_add_f64_e32 v[166:167], v[10:11], v[8:9]
	v_add_f64_e32 v[140:141], v[140:141], v[182:183]
	ds_load_b128 v[4:7], v2 offset:1632
	ds_load_b128 v[8:11], v2 offset:1648
	s_wait_loadcnt_dscnt 0x701
	v_mul_f64_e32 v[176:177], v[4:5], v[174:175]
	v_mul_f64_e32 v[174:175], v[6:7], v[174:175]
	s_wait_loadcnt_dscnt 0x600
	v_mul_f64_e32 v[148:149], v[8:9], v[14:15]
	v_mul_f64_e32 v[14:15], v[10:11], v[14:15]
	v_add_f64_e32 v[130:131], v[166:167], v[164:165]
	v_add_f64_e32 v[140:141], v[140:141], v[186:187]
	v_fmac_f64_e32 v[176:177], v[6:7], v[172:173]
	v_fma_f64 v[150:151], v[4:5], v[172:173], -v[174:175]
	v_fmac_f64_e32 v[148:149], v[10:11], v[12:13]
	v_fma_f64 v[8:9], v[8:9], v[12:13], -v[14:15]
	v_add_f64_e32 v[164:165], v[130:131], v[128:129]
	v_add_f64_e32 v[140:141], v[140:141], v[142:143]
	ds_load_b128 v[4:7], v2 offset:1664
	ds_load_b128 v[128:131], v2 offset:1680
	;; [unrolled: 16-line block ×4, first 2 shown]
	s_wait_loadcnt_dscnt 0x101
	v_mul_f64_e32 v[2:3], v[4:5], v[162:163]
	v_mul_f64_e32 v[140:141], v[6:7], v[162:163]
	s_wait_loadcnt_dscnt 0x0
	v_mul_f64_e32 v[134:135], v[14:15], v[146:147]
	v_add_f64_e32 v[10:11], v[128:129], v[138:139]
	v_add_f64_e32 v[128:129], v[130:131], v[148:149]
	v_mul_f64_e32 v[130:131], v[12:13], v[146:147]
	v_fmac_f64_e32 v[2:3], v[6:7], v[160:161]
	v_fma_f64 v[4:5], v[4:5], v[160:161], -v[140:141]
	v_add_f64_e32 v[6:7], v[10:11], v[8:9]
	v_add_f64_e32 v[8:9], v[128:129], v[132:133]
	v_fmac_f64_e32 v[130:131], v[14:15], v[144:145]
	v_fma_f64 v[10:11], v[12:13], v[144:145], -v[134:135]
	s_delay_alu instid0(VALU_DEP_4) | instskip(NEXT) | instid1(VALU_DEP_4)
	v_add_f64_e32 v[4:5], v[6:7], v[4:5]
	v_add_f64_e32 v[2:3], v[8:9], v[2:3]
	s_delay_alu instid0(VALU_DEP_2) | instskip(NEXT) | instid1(VALU_DEP_2)
	v_add_f64_e32 v[4:5], v[4:5], v[10:11]
	v_add_f64_e32 v[6:7], v[2:3], v[130:131]
	s_delay_alu instid0(VALU_DEP_2) | instskip(NEXT) | instid1(VALU_DEP_2)
	v_add_f64_e64 v[2:3], v[168:169], -v[4:5]
	v_add_f64_e64 v[4:5], v[170:171], -v[6:7]
	scratch_store_b128 off, v[2:5], off offset:96
	s_wait_xcnt 0x0
	v_cmpx_lt_u32_e32 5, v1
	s_cbranch_execz .LBB54_333
; %bb.332:
	scratch_load_b128 v[2:5], off, s55
	v_mov_b32_e32 v6, 0
	s_delay_alu instid0(VALU_DEP_1)
	v_dual_mov_b32 v7, v6 :: v_dual_mov_b32 v8, v6
	v_mov_b32_e32 v9, v6
	scratch_store_b128 off, v[6:9], off offset:80
	s_wait_loadcnt 0x0
	ds_store_b128 v126, v[2:5]
.LBB54_333:
	s_wait_xcnt 0x0
	s_or_b32 exec_lo, exec_lo, s2
	s_wait_storecnt_dscnt 0x0
	s_barrier_signal -1
	s_barrier_wait -1
	s_clause 0x9
	scratch_load_b128 v[4:7], off, off offset:96
	scratch_load_b128 v[8:11], off, off offset:112
	;; [unrolled: 1-line block ×10, first 2 shown]
	v_mov_b32_e32 v2, 0
	s_mov_b32 s2, exec_lo
	ds_load_b128 v[156:159], v2 offset:976
	s_clause 0x2
	scratch_load_b128 v[160:163], off, off offset:256
	scratch_load_b128 v[164:167], off, off offset:80
	;; [unrolled: 1-line block ×3, first 2 shown]
	s_wait_loadcnt_dscnt 0xc00
	v_mul_f64_e32 v[176:177], v[158:159], v[6:7]
	v_mul_f64_e32 v[180:181], v[156:157], v[6:7]
	ds_load_b128 v[168:171], v2 offset:992
	v_fma_f64 v[184:185], v[156:157], v[4:5], -v[176:177]
	v_fmac_f64_e32 v[180:181], v[158:159], v[4:5]
	ds_load_b128 v[4:7], v2 offset:1008
	s_wait_loadcnt_dscnt 0xb01
	v_mul_f64_e32 v[182:183], v[168:169], v[10:11]
	v_mul_f64_e32 v[10:11], v[170:171], v[10:11]
	scratch_load_b128 v[156:159], off, off offset:288
	ds_load_b128 v[176:179], v2 offset:1024
	s_wait_loadcnt_dscnt 0xb01
	v_mul_f64_e32 v[186:187], v[4:5], v[14:15]
	v_mul_f64_e32 v[14:15], v[6:7], v[14:15]
	v_add_f64_e32 v[180:181], 0, v[180:181]
	v_fmac_f64_e32 v[182:183], v[170:171], v[8:9]
	v_fma_f64 v[168:169], v[168:169], v[8:9], -v[10:11]
	v_add_f64_e32 v[170:171], 0, v[184:185]
	scratch_load_b128 v[8:11], off, off offset:304
	v_fmac_f64_e32 v[186:187], v[6:7], v[12:13]
	v_fma_f64 v[188:189], v[4:5], v[12:13], -v[14:15]
	ds_load_b128 v[4:7], v2 offset:1040
	s_wait_loadcnt_dscnt 0xb01
	v_mul_f64_e32 v[184:185], v[176:177], v[130:131]
	v_mul_f64_e32 v[130:131], v[178:179], v[130:131]
	scratch_load_b128 v[12:15], off, off offset:320
	v_add_f64_e32 v[180:181], v[180:181], v[182:183]
	v_add_f64_e32 v[190:191], v[170:171], v[168:169]
	ds_load_b128 v[168:171], v2 offset:1056
	s_wait_loadcnt_dscnt 0xb01
	v_mul_f64_e32 v[182:183], v[4:5], v[134:135]
	v_mul_f64_e32 v[134:135], v[6:7], v[134:135]
	v_fmac_f64_e32 v[184:185], v[178:179], v[128:129]
	v_fma_f64 v[176:177], v[176:177], v[128:129], -v[130:131]
	scratch_load_b128 v[128:131], off, off offset:336
	v_add_f64_e32 v[180:181], v[180:181], v[186:187]
	v_add_f64_e32 v[178:179], v[190:191], v[188:189]
	v_fmac_f64_e32 v[182:183], v[6:7], v[132:133]
	v_fma_f64 v[188:189], v[4:5], v[132:133], -v[134:135]
	ds_load_b128 v[4:7], v2 offset:1072
	s_wait_loadcnt_dscnt 0xb01
	v_mul_f64_e32 v[186:187], v[168:169], v[138:139]
	v_mul_f64_e32 v[138:139], v[170:171], v[138:139]
	scratch_load_b128 v[132:135], off, off offset:352
	v_add_f64_e32 v[180:181], v[180:181], v[184:185]
	s_wait_loadcnt_dscnt 0xb00
	v_mul_f64_e32 v[184:185], v[4:5], v[142:143]
	v_add_f64_e32 v[190:191], v[178:179], v[176:177]
	v_mul_f64_e32 v[142:143], v[6:7], v[142:143]
	ds_load_b128 v[176:179], v2 offset:1088
	v_fmac_f64_e32 v[186:187], v[170:171], v[136:137]
	v_fma_f64 v[168:169], v[168:169], v[136:137], -v[138:139]
	scratch_load_b128 v[136:139], off, off offset:368
	v_add_f64_e32 v[180:181], v[180:181], v[182:183]
	v_fmac_f64_e32 v[184:185], v[6:7], v[140:141]
	v_add_f64_e32 v[170:171], v[190:191], v[188:189]
	v_fma_f64 v[188:189], v[4:5], v[140:141], -v[142:143]
	ds_load_b128 v[4:7], v2 offset:1104
	s_wait_loadcnt_dscnt 0xb01
	v_mul_f64_e32 v[182:183], v[176:177], v[146:147]
	v_mul_f64_e32 v[146:147], v[178:179], v[146:147]
	scratch_load_b128 v[140:143], off, off offset:384
	v_add_f64_e32 v[180:181], v[180:181], v[186:187]
	s_wait_loadcnt_dscnt 0xb00
	v_mul_f64_e32 v[186:187], v[4:5], v[150:151]
	v_add_f64_e32 v[190:191], v[170:171], v[168:169]
	v_mul_f64_e32 v[150:151], v[6:7], v[150:151]
	ds_load_b128 v[168:171], v2 offset:1120
	v_fmac_f64_e32 v[182:183], v[178:179], v[144:145]
	v_fma_f64 v[176:177], v[176:177], v[144:145], -v[146:147]
	scratch_load_b128 v[144:147], off, off offset:400
	v_add_f64_e32 v[180:181], v[180:181], v[184:185]
	v_fmac_f64_e32 v[186:187], v[6:7], v[148:149]
	v_add_f64_e32 v[178:179], v[190:191], v[188:189]
	;; [unrolled: 18-line block ×3, first 2 shown]
	v_fma_f64 v[188:189], v[4:5], v[160:161], -v[162:163]
	ds_load_b128 v[4:7], v2 offset:1168
	s_wait_loadcnt_dscnt 0xa01
	v_mul_f64_e32 v[186:187], v[176:177], v[174:175]
	v_mul_f64_e32 v[174:175], v[178:179], v[174:175]
	scratch_load_b128 v[160:163], off, off offset:448
	v_add_f64_e32 v[180:181], v[180:181], v[184:185]
	v_add_f64_e32 v[190:191], v[170:171], v[168:169]
	s_wait_loadcnt_dscnt 0xa00
	v_mul_f64_e32 v[184:185], v[4:5], v[158:159]
	v_mul_f64_e32 v[158:159], v[6:7], v[158:159]
	v_fmac_f64_e32 v[186:187], v[178:179], v[172:173]
	v_fma_f64 v[176:177], v[176:177], v[172:173], -v[174:175]
	ds_load_b128 v[168:171], v2 offset:1184
	scratch_load_b128 v[172:175], off, off offset:464
	v_add_f64_e32 v[180:181], v[180:181], v[182:183]
	v_add_f64_e32 v[178:179], v[190:191], v[188:189]
	v_fmac_f64_e32 v[184:185], v[6:7], v[156:157]
	v_fma_f64 v[188:189], v[4:5], v[156:157], -v[158:159]
	ds_load_b128 v[4:7], v2 offset:1200
	s_wait_loadcnt_dscnt 0xa01
	v_mul_f64_e32 v[182:183], v[168:169], v[10:11]
	v_mul_f64_e32 v[10:11], v[170:171], v[10:11]
	scratch_load_b128 v[156:159], off, off offset:480
	v_add_f64_e32 v[180:181], v[180:181], v[186:187]
	s_wait_loadcnt_dscnt 0xa00
	v_mul_f64_e32 v[186:187], v[4:5], v[14:15]
	v_add_f64_e32 v[190:191], v[178:179], v[176:177]
	v_mul_f64_e32 v[14:15], v[6:7], v[14:15]
	ds_load_b128 v[176:179], v2 offset:1216
	v_fmac_f64_e32 v[182:183], v[170:171], v[8:9]
	v_fma_f64 v[168:169], v[168:169], v[8:9], -v[10:11]
	scratch_load_b128 v[8:11], off, off offset:496
	v_add_f64_e32 v[180:181], v[180:181], v[184:185]
	v_fmac_f64_e32 v[186:187], v[6:7], v[12:13]
	v_add_f64_e32 v[170:171], v[190:191], v[188:189]
	v_fma_f64 v[188:189], v[4:5], v[12:13], -v[14:15]
	ds_load_b128 v[4:7], v2 offset:1232
	s_wait_loadcnt_dscnt 0xa01
	v_mul_f64_e32 v[184:185], v[176:177], v[130:131]
	v_mul_f64_e32 v[130:131], v[178:179], v[130:131]
	scratch_load_b128 v[12:15], off, off offset:512
	v_add_f64_e32 v[180:181], v[180:181], v[182:183]
	s_wait_loadcnt_dscnt 0xa00
	v_mul_f64_e32 v[182:183], v[4:5], v[134:135]
	v_add_f64_e32 v[190:191], v[170:171], v[168:169]
	v_mul_f64_e32 v[134:135], v[6:7], v[134:135]
	ds_load_b128 v[168:171], v2 offset:1248
	v_fmac_f64_e32 v[184:185], v[178:179], v[128:129]
	v_fma_f64 v[176:177], v[176:177], v[128:129], -v[130:131]
	scratch_load_b128 v[128:131], off, off offset:528
	v_add_f64_e32 v[180:181], v[180:181], v[186:187]
	v_fmac_f64_e32 v[182:183], v[6:7], v[132:133]
	v_add_f64_e32 v[178:179], v[190:191], v[188:189]
	;; [unrolled: 18-line block ×12, first 2 shown]
	v_fma_f64 v[188:189], v[4:5], v[156:157], -v[158:159]
	ds_load_b128 v[4:7], v2 offset:1584
	s_wait_loadcnt_dscnt 0xa01
	v_mul_f64_e32 v[182:183], v[168:169], v[10:11]
	v_mul_f64_e32 v[10:11], v[170:171], v[10:11]
	scratch_load_b128 v[156:159], off, off offset:864
	v_add_f64_e32 v[180:181], v[180:181], v[186:187]
	s_wait_loadcnt_dscnt 0xa00
	v_mul_f64_e32 v[186:187], v[4:5], v[14:15]
	v_add_f64_e32 v[190:191], v[178:179], v[176:177]
	v_mul_f64_e32 v[14:15], v[6:7], v[14:15]
	ds_load_b128 v[176:179], v2 offset:1600
	v_fmac_f64_e32 v[182:183], v[170:171], v[8:9]
	v_fma_f64 v[8:9], v[168:169], v[8:9], -v[10:11]
	s_wait_loadcnt_dscnt 0x900
	v_mul_f64_e32 v[170:171], v[176:177], v[130:131]
	v_mul_f64_e32 v[130:131], v[178:179], v[130:131]
	v_add_f64_e32 v[168:169], v[180:181], v[184:185]
	v_fmac_f64_e32 v[186:187], v[6:7], v[12:13]
	v_add_f64_e32 v[10:11], v[190:191], v[188:189]
	v_fma_f64 v[12:13], v[4:5], v[12:13], -v[14:15]
	v_fmac_f64_e32 v[170:171], v[178:179], v[128:129]
	v_fma_f64 v[128:129], v[176:177], v[128:129], -v[130:131]
	v_add_f64_e32 v[168:169], v[168:169], v[182:183]
	v_add_f64_e32 v[14:15], v[10:11], v[8:9]
	ds_load_b128 v[4:7], v2 offset:1616
	ds_load_b128 v[8:11], v2 offset:1632
	s_wait_loadcnt_dscnt 0x801
	v_mul_f64_e32 v[180:181], v[4:5], v[134:135]
	v_mul_f64_e32 v[134:135], v[6:7], v[134:135]
	s_wait_loadcnt_dscnt 0x700
	v_mul_f64_e32 v[130:131], v[8:9], v[138:139]
	v_mul_f64_e32 v[138:139], v[10:11], v[138:139]
	v_add_f64_e32 v[12:13], v[14:15], v[12:13]
	v_add_f64_e32 v[14:15], v[168:169], v[186:187]
	v_fmac_f64_e32 v[180:181], v[6:7], v[132:133]
	v_fma_f64 v[132:133], v[4:5], v[132:133], -v[134:135]
	v_fmac_f64_e32 v[130:131], v[10:11], v[136:137]
	v_fma_f64 v[8:9], v[8:9], v[136:137], -v[138:139]
	v_add_f64_e32 v[128:129], v[12:13], v[128:129]
	v_add_f64_e32 v[134:135], v[14:15], v[170:171]
	ds_load_b128 v[4:7], v2 offset:1648
	ds_load_b128 v[12:15], v2 offset:1664
	s_wait_loadcnt_dscnt 0x601
	v_mul_f64_e32 v[168:169], v[4:5], v[142:143]
	v_mul_f64_e32 v[142:143], v[6:7], v[142:143]
	v_add_f64_e32 v[10:11], v[128:129], v[132:133]
	v_add_f64_e32 v[128:129], v[134:135], v[180:181]
	s_wait_loadcnt_dscnt 0x500
	v_mul_f64_e32 v[132:133], v[12:13], v[146:147]
	v_mul_f64_e32 v[134:135], v[14:15], v[146:147]
	v_fmac_f64_e32 v[168:169], v[6:7], v[140:141]
	v_fma_f64 v[136:137], v[4:5], v[140:141], -v[142:143]
	v_add_f64_e32 v[138:139], v[10:11], v[8:9]
	v_add_f64_e32 v[128:129], v[128:129], v[130:131]
	ds_load_b128 v[4:7], v2 offset:1680
	ds_load_b128 v[8:11], v2 offset:1696
	v_fmac_f64_e32 v[132:133], v[14:15], v[144:145]
	v_fma_f64 v[12:13], v[12:13], v[144:145], -v[134:135]
	s_wait_loadcnt_dscnt 0x401
	v_mul_f64_e32 v[130:131], v[4:5], v[150:151]
	v_mul_f64_e32 v[140:141], v[6:7], v[150:151]
	s_wait_loadcnt_dscnt 0x300
	v_mul_f64_e32 v[134:135], v[8:9], v[154:155]
	v_add_f64_e32 v[14:15], v[138:139], v[136:137]
	v_add_f64_e32 v[128:129], v[128:129], v[168:169]
	v_mul_f64_e32 v[136:137], v[10:11], v[154:155]
	v_fmac_f64_e32 v[130:131], v[6:7], v[148:149]
	v_fma_f64 v[138:139], v[4:5], v[148:149], -v[140:141]
	v_fmac_f64_e32 v[134:135], v[10:11], v[152:153]
	v_add_f64_e32 v[140:141], v[14:15], v[12:13]
	v_add_f64_e32 v[128:129], v[128:129], v[132:133]
	ds_load_b128 v[4:7], v2 offset:1712
	ds_load_b128 v[12:15], v2 offset:1728
	v_fma_f64 v[8:9], v[8:9], v[152:153], -v[136:137]
	s_wait_loadcnt_dscnt 0x201
	v_mul_f64_e32 v[132:133], v[4:5], v[162:163]
	v_mul_f64_e32 v[142:143], v[6:7], v[162:163]
	s_wait_loadcnt_dscnt 0x100
	v_mul_f64_e32 v[136:137], v[14:15], v[174:175]
	v_add_f64_e32 v[10:11], v[140:141], v[138:139]
	v_add_f64_e32 v[128:129], v[128:129], v[130:131]
	v_mul_f64_e32 v[130:131], v[12:13], v[174:175]
	v_fmac_f64_e32 v[132:133], v[6:7], v[160:161]
	v_fma_f64 v[138:139], v[4:5], v[160:161], -v[142:143]
	ds_load_b128 v[4:7], v2 offset:1744
	v_fma_f64 v[12:13], v[12:13], v[172:173], -v[136:137]
	v_add_f64_e32 v[8:9], v[10:11], v[8:9]
	v_add_f64_e32 v[10:11], v[128:129], v[134:135]
	v_fmac_f64_e32 v[130:131], v[14:15], v[172:173]
	s_wait_loadcnt_dscnt 0x0
	v_mul_f64_e32 v[128:129], v[4:5], v[158:159]
	v_mul_f64_e32 v[134:135], v[6:7], v[158:159]
	v_add_f64_e32 v[8:9], v[8:9], v[138:139]
	v_add_f64_e32 v[10:11], v[10:11], v[132:133]
	s_delay_alu instid0(VALU_DEP_4) | instskip(NEXT) | instid1(VALU_DEP_4)
	v_fmac_f64_e32 v[128:129], v[6:7], v[156:157]
	v_fma_f64 v[4:5], v[4:5], v[156:157], -v[134:135]
	s_delay_alu instid0(VALU_DEP_4) | instskip(NEXT) | instid1(VALU_DEP_4)
	v_add_f64_e32 v[6:7], v[8:9], v[12:13]
	v_add_f64_e32 v[8:9], v[10:11], v[130:131]
	s_delay_alu instid0(VALU_DEP_2) | instskip(NEXT) | instid1(VALU_DEP_2)
	v_add_f64_e32 v[4:5], v[6:7], v[4:5]
	v_add_f64_e32 v[6:7], v[8:9], v[128:129]
	s_delay_alu instid0(VALU_DEP_2) | instskip(NEXT) | instid1(VALU_DEP_2)
	v_add_f64_e64 v[4:5], v[164:165], -v[4:5]
	v_add_f64_e64 v[6:7], v[166:167], -v[6:7]
	scratch_store_b128 off, v[4:7], off offset:80
	s_wait_xcnt 0x0
	v_cmpx_lt_u32_e32 4, v1
	s_cbranch_execz .LBB54_335
; %bb.334:
	scratch_load_b128 v[6:9], off, s49
	v_dual_mov_b32 v3, v2 :: v_dual_mov_b32 v4, v2
	v_mov_b32_e32 v5, v2
	scratch_store_b128 off, v[2:5], off offset:64
	s_wait_loadcnt 0x0
	ds_store_b128 v126, v[6:9]
.LBB54_335:
	s_wait_xcnt 0x0
	s_or_b32 exec_lo, exec_lo, s2
	s_wait_storecnt_dscnt 0x0
	s_barrier_signal -1
	s_barrier_wait -1
	s_clause 0x9
	scratch_load_b128 v[4:7], off, off offset:80
	scratch_load_b128 v[8:11], off, off offset:96
	;; [unrolled: 1-line block ×10, first 2 shown]
	ds_load_b128 v[156:159], v2 offset:960
	ds_load_b128 v[164:167], v2 offset:976
	s_clause 0x2
	scratch_load_b128 v[160:163], off, off offset:240
	scratch_load_b128 v[168:171], off, off offset:64
	;; [unrolled: 1-line block ×3, first 2 shown]
	s_mov_b32 s2, exec_lo
	s_wait_loadcnt_dscnt 0xc01
	v_mul_f64_e32 v[176:177], v[158:159], v[6:7]
	v_mul_f64_e32 v[180:181], v[156:157], v[6:7]
	s_wait_loadcnt_dscnt 0xb00
	v_mul_f64_e32 v[182:183], v[164:165], v[10:11]
	v_mul_f64_e32 v[10:11], v[166:167], v[10:11]
	s_delay_alu instid0(VALU_DEP_4) | instskip(NEXT) | instid1(VALU_DEP_4)
	v_fma_f64 v[184:185], v[156:157], v[4:5], -v[176:177]
	v_fmac_f64_e32 v[180:181], v[158:159], v[4:5]
	ds_load_b128 v[4:7], v2 offset:992
	ds_load_b128 v[156:159], v2 offset:1008
	scratch_load_b128 v[176:179], off, off offset:272
	v_fmac_f64_e32 v[182:183], v[166:167], v[8:9]
	v_fma_f64 v[164:165], v[164:165], v[8:9], -v[10:11]
	scratch_load_b128 v[8:11], off, off offset:288
	s_wait_loadcnt_dscnt 0xc01
	v_mul_f64_e32 v[186:187], v[4:5], v[14:15]
	v_mul_f64_e32 v[14:15], v[6:7], v[14:15]
	v_add_f64_e32 v[166:167], 0, v[184:185]
	v_add_f64_e32 v[180:181], 0, v[180:181]
	s_wait_loadcnt_dscnt 0xb00
	v_mul_f64_e32 v[184:185], v[156:157], v[130:131]
	v_mul_f64_e32 v[130:131], v[158:159], v[130:131]
	v_fmac_f64_e32 v[186:187], v[6:7], v[12:13]
	v_fma_f64 v[188:189], v[4:5], v[12:13], -v[14:15]
	ds_load_b128 v[4:7], v2 offset:1024
	ds_load_b128 v[12:15], v2 offset:1040
	v_add_f64_e32 v[190:191], v[166:167], v[164:165]
	v_add_f64_e32 v[180:181], v[180:181], v[182:183]
	scratch_load_b128 v[164:167], off, off offset:304
	v_fmac_f64_e32 v[184:185], v[158:159], v[128:129]
	v_fma_f64 v[156:157], v[156:157], v[128:129], -v[130:131]
	scratch_load_b128 v[128:131], off, off offset:320
	s_wait_loadcnt_dscnt 0xc01
	v_mul_f64_e32 v[182:183], v[4:5], v[134:135]
	v_mul_f64_e32 v[134:135], v[6:7], v[134:135]
	v_add_f64_e32 v[158:159], v[190:191], v[188:189]
	v_add_f64_e32 v[180:181], v[180:181], v[186:187]
	s_wait_loadcnt_dscnt 0xb00
	v_mul_f64_e32 v[186:187], v[12:13], v[138:139]
	v_mul_f64_e32 v[138:139], v[14:15], v[138:139]
	v_fmac_f64_e32 v[182:183], v[6:7], v[132:133]
	v_fma_f64 v[188:189], v[4:5], v[132:133], -v[134:135]
	ds_load_b128 v[4:7], v2 offset:1056
	ds_load_b128 v[132:135], v2 offset:1072
	v_add_f64_e32 v[190:191], v[158:159], v[156:157]
	v_add_f64_e32 v[180:181], v[180:181], v[184:185]
	scratch_load_b128 v[156:159], off, off offset:336
	s_wait_loadcnt_dscnt 0xb01
	v_mul_f64_e32 v[184:185], v[4:5], v[142:143]
	v_mul_f64_e32 v[142:143], v[6:7], v[142:143]
	v_fmac_f64_e32 v[186:187], v[14:15], v[136:137]
	v_fma_f64 v[136:137], v[12:13], v[136:137], -v[138:139]
	scratch_load_b128 v[12:15], off, off offset:352
	v_add_f64_e32 v[138:139], v[190:191], v[188:189]
	v_add_f64_e32 v[180:181], v[180:181], v[182:183]
	s_wait_loadcnt_dscnt 0xb00
	v_mul_f64_e32 v[182:183], v[132:133], v[146:147]
	v_mul_f64_e32 v[146:147], v[134:135], v[146:147]
	v_fmac_f64_e32 v[184:185], v[6:7], v[140:141]
	v_fma_f64 v[188:189], v[4:5], v[140:141], -v[142:143]
	v_add_f64_e32 v[190:191], v[138:139], v[136:137]
	v_add_f64_e32 v[180:181], v[180:181], v[186:187]
	ds_load_b128 v[4:7], v2 offset:1088
	ds_load_b128 v[136:139], v2 offset:1104
	scratch_load_b128 v[140:143], off, off offset:368
	v_fmac_f64_e32 v[182:183], v[134:135], v[144:145]
	v_fma_f64 v[144:145], v[132:133], v[144:145], -v[146:147]
	scratch_load_b128 v[132:135], off, off offset:384
	s_wait_loadcnt_dscnt 0xc01
	v_mul_f64_e32 v[186:187], v[4:5], v[150:151]
	v_mul_f64_e32 v[150:151], v[6:7], v[150:151]
	v_add_f64_e32 v[146:147], v[190:191], v[188:189]
	v_add_f64_e32 v[180:181], v[180:181], v[184:185]
	s_wait_loadcnt_dscnt 0xb00
	v_mul_f64_e32 v[184:185], v[136:137], v[154:155]
	v_mul_f64_e32 v[154:155], v[138:139], v[154:155]
	v_fmac_f64_e32 v[186:187], v[6:7], v[148:149]
	v_fma_f64 v[188:189], v[4:5], v[148:149], -v[150:151]
	v_add_f64_e32 v[190:191], v[146:147], v[144:145]
	v_add_f64_e32 v[180:181], v[180:181], v[182:183]
	ds_load_b128 v[4:7], v2 offset:1120
	ds_load_b128 v[144:147], v2 offset:1136
	scratch_load_b128 v[148:151], off, off offset:400
	v_fmac_f64_e32 v[184:185], v[138:139], v[152:153]
	v_fma_f64 v[152:153], v[136:137], v[152:153], -v[154:155]
	scratch_load_b128 v[136:139], off, off offset:416
	s_wait_loadcnt_dscnt 0xc01
	v_mul_f64_e32 v[182:183], v[4:5], v[162:163]
	v_mul_f64_e32 v[162:163], v[6:7], v[162:163]
	;; [unrolled: 18-line block ×5, first 2 shown]
	v_add_f64_e32 v[174:175], v[190:191], v[188:189]
	v_add_f64_e32 v[180:181], v[180:181], v[186:187]
	s_wait_loadcnt_dscnt 0xa00
	v_mul_f64_e32 v[186:187], v[152:153], v[14:15]
	v_mul_f64_e32 v[14:15], v[154:155], v[14:15]
	v_fmac_f64_e32 v[182:183], v[6:7], v[156:157]
	v_fma_f64 v[188:189], v[4:5], v[156:157], -v[158:159]
	ds_load_b128 v[4:7], v2 offset:1248
	ds_load_b128 v[156:159], v2 offset:1264
	v_add_f64_e32 v[190:191], v[174:175], v[172:173]
	v_add_f64_e32 v[180:181], v[180:181], v[184:185]
	scratch_load_b128 v[172:175], off, off offset:528
	v_fmac_f64_e32 v[186:187], v[154:155], v[12:13]
	v_fma_f64 v[152:153], v[152:153], v[12:13], -v[14:15]
	scratch_load_b128 v[12:15], off, off offset:544
	s_wait_loadcnt_dscnt 0xb01
	v_mul_f64_e32 v[184:185], v[4:5], v[142:143]
	v_mul_f64_e32 v[142:143], v[6:7], v[142:143]
	v_add_f64_e32 v[154:155], v[190:191], v[188:189]
	v_add_f64_e32 v[180:181], v[180:181], v[182:183]
	s_wait_loadcnt_dscnt 0xa00
	v_mul_f64_e32 v[182:183], v[156:157], v[134:135]
	v_mul_f64_e32 v[134:135], v[158:159], v[134:135]
	v_fmac_f64_e32 v[184:185], v[6:7], v[140:141]
	v_fma_f64 v[188:189], v[4:5], v[140:141], -v[142:143]
	ds_load_b128 v[4:7], v2 offset:1280
	ds_load_b128 v[140:143], v2 offset:1296
	v_add_f64_e32 v[190:191], v[154:155], v[152:153]
	v_add_f64_e32 v[180:181], v[180:181], v[186:187]
	scratch_load_b128 v[152:155], off, off offset:560
	s_wait_loadcnt_dscnt 0xa01
	v_mul_f64_e32 v[186:187], v[4:5], v[150:151]
	v_mul_f64_e32 v[150:151], v[6:7], v[150:151]
	v_fmac_f64_e32 v[182:183], v[158:159], v[132:133]
	v_fma_f64 v[156:157], v[156:157], v[132:133], -v[134:135]
	scratch_load_b128 v[132:135], off, off offset:576
	v_add_f64_e32 v[158:159], v[190:191], v[188:189]
	v_add_f64_e32 v[180:181], v[180:181], v[184:185]
	s_wait_loadcnt_dscnt 0xa00
	v_mul_f64_e32 v[184:185], v[140:141], v[138:139]
	v_mul_f64_e32 v[138:139], v[142:143], v[138:139]
	v_fmac_f64_e32 v[186:187], v[6:7], v[148:149]
	v_fma_f64 v[188:189], v[4:5], v[148:149], -v[150:151]
	ds_load_b128 v[4:7], v2 offset:1312
	ds_load_b128 v[148:151], v2 offset:1328
	v_add_f64_e32 v[190:191], v[158:159], v[156:157]
	v_add_f64_e32 v[180:181], v[180:181], v[182:183]
	scratch_load_b128 v[156:159], off, off offset:592
	s_wait_loadcnt_dscnt 0xa01
	v_mul_f64_e32 v[182:183], v[4:5], v[162:163]
	v_mul_f64_e32 v[162:163], v[6:7], v[162:163]
	v_fmac_f64_e32 v[184:185], v[142:143], v[136:137]
	v_fma_f64 v[140:141], v[140:141], v[136:137], -v[138:139]
	scratch_load_b128 v[136:139], off, off offset:608
	v_add_f64_e32 v[142:143], v[190:191], v[188:189]
	v_add_f64_e32 v[180:181], v[180:181], v[186:187]
	s_wait_loadcnt_dscnt 0xa00
	v_mul_f64_e32 v[186:187], v[148:149], v[146:147]
	v_mul_f64_e32 v[146:147], v[150:151], v[146:147]
	v_fmac_f64_e32 v[182:183], v[6:7], v[160:161]
	v_fma_f64 v[188:189], v[4:5], v[160:161], -v[162:163]
	v_add_f64_e32 v[190:191], v[142:143], v[140:141]
	v_add_f64_e32 v[180:181], v[180:181], v[184:185]
	ds_load_b128 v[4:7], v2 offset:1344
	ds_load_b128 v[140:143], v2 offset:1360
	scratch_load_b128 v[160:163], off, off offset:624
	v_fmac_f64_e32 v[186:187], v[150:151], v[144:145]
	v_fma_f64 v[148:149], v[148:149], v[144:145], -v[146:147]
	scratch_load_b128 v[144:147], off, off offset:640
	s_wait_loadcnt_dscnt 0xb01
	v_mul_f64_e32 v[184:185], v[4:5], v[178:179]
	v_mul_f64_e32 v[178:179], v[6:7], v[178:179]
	v_add_f64_e32 v[150:151], v[190:191], v[188:189]
	v_add_f64_e32 v[180:181], v[180:181], v[182:183]
	s_wait_loadcnt_dscnt 0xa00
	v_mul_f64_e32 v[182:183], v[140:141], v[10:11]
	v_mul_f64_e32 v[10:11], v[142:143], v[10:11]
	v_fmac_f64_e32 v[184:185], v[6:7], v[176:177]
	v_fma_f64 v[188:189], v[4:5], v[176:177], -v[178:179]
	v_add_f64_e32 v[190:191], v[150:151], v[148:149]
	v_add_f64_e32 v[180:181], v[180:181], v[186:187]
	ds_load_b128 v[4:7], v2 offset:1376
	ds_load_b128 v[148:151], v2 offset:1392
	scratch_load_b128 v[176:179], off, off offset:656
	v_fmac_f64_e32 v[182:183], v[142:143], v[8:9]
	v_fma_f64 v[140:141], v[140:141], v[8:9], -v[10:11]
	scratch_load_b128 v[8:11], off, off offset:672
	s_wait_loadcnt_dscnt 0xb01
	v_mul_f64_e32 v[186:187], v[4:5], v[166:167]
	v_mul_f64_e32 v[166:167], v[6:7], v[166:167]
	;; [unrolled: 18-line block ×8, first 2 shown]
	v_add_f64_e32 v[142:143], v[190:191], v[188:189]
	v_add_f64_e32 v[180:181], v[180:181], v[184:185]
	s_wait_loadcnt_dscnt 0xa00
	v_mul_f64_e32 v[184:185], v[148:149], v[130:131]
	v_mul_f64_e32 v[130:131], v[150:151], v[130:131]
	v_fmac_f64_e32 v[186:187], v[6:7], v[164:165]
	v_fma_f64 v[164:165], v[4:5], v[164:165], -v[166:167]
	v_add_f64_e32 v[166:167], v[142:143], v[140:141]
	v_add_f64_e32 v[180:181], v[180:181], v[182:183]
	ds_load_b128 v[4:7], v2 offset:1600
	ds_load_b128 v[140:143], v2 offset:1616
	v_fmac_f64_e32 v[184:185], v[150:151], v[128:129]
	v_fma_f64 v[128:129], v[148:149], v[128:129], -v[130:131]
	s_wait_loadcnt_dscnt 0x901
	v_mul_f64_e32 v[182:183], v[4:5], v[174:175]
	v_mul_f64_e32 v[174:175], v[6:7], v[174:175]
	s_wait_loadcnt_dscnt 0x800
	v_mul_f64_e32 v[150:151], v[140:141], v[14:15]
	v_mul_f64_e32 v[14:15], v[142:143], v[14:15]
	v_add_f64_e32 v[130:131], v[166:167], v[164:165]
	v_add_f64_e32 v[148:149], v[180:181], v[186:187]
	v_fmac_f64_e32 v[182:183], v[6:7], v[172:173]
	v_fma_f64 v[164:165], v[4:5], v[172:173], -v[174:175]
	v_fmac_f64_e32 v[150:151], v[142:143], v[12:13]
	v_fma_f64 v[12:13], v[140:141], v[12:13], -v[14:15]
	v_add_f64_e32 v[166:167], v[130:131], v[128:129]
	v_add_f64_e32 v[148:149], v[148:149], v[184:185]
	ds_load_b128 v[4:7], v2 offset:1632
	ds_load_b128 v[128:131], v2 offset:1648
	s_wait_loadcnt_dscnt 0x701
	v_mul_f64_e32 v[172:173], v[4:5], v[154:155]
	v_mul_f64_e32 v[154:155], v[6:7], v[154:155]
	s_wait_loadcnt_dscnt 0x600
	v_mul_f64_e32 v[142:143], v[128:129], v[134:135]
	v_mul_f64_e32 v[134:135], v[130:131], v[134:135]
	v_add_f64_e32 v[14:15], v[166:167], v[164:165]
	v_add_f64_e32 v[140:141], v[148:149], v[182:183]
	v_fmac_f64_e32 v[172:173], v[6:7], v[152:153]
	v_fma_f64 v[148:149], v[4:5], v[152:153], -v[154:155]
	v_fmac_f64_e32 v[142:143], v[130:131], v[132:133]
	v_fma_f64 v[128:129], v[128:129], v[132:133], -v[134:135]
	v_add_f64_e32 v[152:153], v[14:15], v[12:13]
	v_add_f64_e32 v[140:141], v[140:141], v[150:151]
	ds_load_b128 v[4:7], v2 offset:1664
	ds_load_b128 v[12:15], v2 offset:1680
	;; [unrolled: 16-line block ×4, first 2 shown]
	s_wait_loadcnt_dscnt 0x101
	v_mul_f64_e32 v[2:3], v[4:5], v[178:179]
	v_mul_f64_e32 v[134:135], v[6:7], v[178:179]
	s_wait_loadcnt_dscnt 0x0
	v_mul_f64_e32 v[138:139], v[12:13], v[10:11]
	v_mul_f64_e32 v[10:11], v[14:15], v[10:11]
	v_add_f64_e32 v[130:131], v[146:147], v[140:141]
	v_add_f64_e32 v[132:133], v[132:133], v[142:143]
	v_fmac_f64_e32 v[2:3], v[6:7], v[176:177]
	v_fma_f64 v[4:5], v[4:5], v[176:177], -v[134:135]
	v_fmac_f64_e32 v[138:139], v[14:15], v[8:9]
	v_fma_f64 v[8:9], v[12:13], v[8:9], -v[10:11]
	v_add_f64_e32 v[6:7], v[130:131], v[128:129]
	v_add_f64_e32 v[128:129], v[132:133], v[136:137]
	s_delay_alu instid0(VALU_DEP_2) | instskip(NEXT) | instid1(VALU_DEP_2)
	v_add_f64_e32 v[4:5], v[6:7], v[4:5]
	v_add_f64_e32 v[2:3], v[128:129], v[2:3]
	s_delay_alu instid0(VALU_DEP_2) | instskip(NEXT) | instid1(VALU_DEP_2)
	;; [unrolled: 3-line block ×3, first 2 shown]
	v_add_f64_e64 v[2:3], v[168:169], -v[4:5]
	v_add_f64_e64 v[4:5], v[170:171], -v[6:7]
	scratch_store_b128 off, v[2:5], off offset:64
	s_wait_xcnt 0x0
	v_cmpx_lt_u32_e32 3, v1
	s_cbranch_execz .LBB54_337
; %bb.336:
	scratch_load_b128 v[2:5], off, s50
	v_mov_b32_e32 v6, 0
	s_delay_alu instid0(VALU_DEP_1)
	v_dual_mov_b32 v7, v6 :: v_dual_mov_b32 v8, v6
	v_mov_b32_e32 v9, v6
	scratch_store_b128 off, v[6:9], off offset:48
	s_wait_loadcnt 0x0
	ds_store_b128 v126, v[2:5]
.LBB54_337:
	s_wait_xcnt 0x0
	s_or_b32 exec_lo, exec_lo, s2
	s_wait_storecnt_dscnt 0x0
	s_barrier_signal -1
	s_barrier_wait -1
	s_clause 0x9
	scratch_load_b128 v[4:7], off, off offset:64
	scratch_load_b128 v[8:11], off, off offset:80
	;; [unrolled: 1-line block ×10, first 2 shown]
	v_mov_b32_e32 v2, 0
	s_mov_b32 s2, exec_lo
	ds_load_b128 v[156:159], v2 offset:944
	s_clause 0x2
	scratch_load_b128 v[160:163], off, off offset:224
	scratch_load_b128 v[164:167], off, off offset:48
	;; [unrolled: 1-line block ×3, first 2 shown]
	s_wait_loadcnt_dscnt 0xc00
	v_mul_f64_e32 v[176:177], v[158:159], v[6:7]
	v_mul_f64_e32 v[180:181], v[156:157], v[6:7]
	ds_load_b128 v[168:171], v2 offset:960
	v_fma_f64 v[184:185], v[156:157], v[4:5], -v[176:177]
	v_fmac_f64_e32 v[180:181], v[158:159], v[4:5]
	ds_load_b128 v[4:7], v2 offset:976
	s_wait_loadcnt_dscnt 0xb01
	v_mul_f64_e32 v[182:183], v[168:169], v[10:11]
	v_mul_f64_e32 v[10:11], v[170:171], v[10:11]
	scratch_load_b128 v[156:159], off, off offset:256
	ds_load_b128 v[176:179], v2 offset:992
	s_wait_loadcnt_dscnt 0xb01
	v_mul_f64_e32 v[186:187], v[4:5], v[14:15]
	v_mul_f64_e32 v[14:15], v[6:7], v[14:15]
	v_add_f64_e32 v[180:181], 0, v[180:181]
	v_fmac_f64_e32 v[182:183], v[170:171], v[8:9]
	v_fma_f64 v[168:169], v[168:169], v[8:9], -v[10:11]
	v_add_f64_e32 v[170:171], 0, v[184:185]
	scratch_load_b128 v[8:11], off, off offset:272
	v_fmac_f64_e32 v[186:187], v[6:7], v[12:13]
	v_fma_f64 v[188:189], v[4:5], v[12:13], -v[14:15]
	ds_load_b128 v[4:7], v2 offset:1008
	s_wait_loadcnt_dscnt 0xb01
	v_mul_f64_e32 v[184:185], v[176:177], v[130:131]
	v_mul_f64_e32 v[130:131], v[178:179], v[130:131]
	scratch_load_b128 v[12:15], off, off offset:288
	v_add_f64_e32 v[180:181], v[180:181], v[182:183]
	v_add_f64_e32 v[190:191], v[170:171], v[168:169]
	ds_load_b128 v[168:171], v2 offset:1024
	s_wait_loadcnt_dscnt 0xb01
	v_mul_f64_e32 v[182:183], v[4:5], v[134:135]
	v_mul_f64_e32 v[134:135], v[6:7], v[134:135]
	v_fmac_f64_e32 v[184:185], v[178:179], v[128:129]
	v_fma_f64 v[176:177], v[176:177], v[128:129], -v[130:131]
	scratch_load_b128 v[128:131], off, off offset:304
	v_add_f64_e32 v[180:181], v[180:181], v[186:187]
	v_add_f64_e32 v[178:179], v[190:191], v[188:189]
	v_fmac_f64_e32 v[182:183], v[6:7], v[132:133]
	v_fma_f64 v[188:189], v[4:5], v[132:133], -v[134:135]
	ds_load_b128 v[4:7], v2 offset:1040
	s_wait_loadcnt_dscnt 0xb01
	v_mul_f64_e32 v[186:187], v[168:169], v[138:139]
	v_mul_f64_e32 v[138:139], v[170:171], v[138:139]
	scratch_load_b128 v[132:135], off, off offset:320
	v_add_f64_e32 v[180:181], v[180:181], v[184:185]
	s_wait_loadcnt_dscnt 0xb00
	v_mul_f64_e32 v[184:185], v[4:5], v[142:143]
	v_add_f64_e32 v[190:191], v[178:179], v[176:177]
	v_mul_f64_e32 v[142:143], v[6:7], v[142:143]
	ds_load_b128 v[176:179], v2 offset:1056
	v_fmac_f64_e32 v[186:187], v[170:171], v[136:137]
	v_fma_f64 v[168:169], v[168:169], v[136:137], -v[138:139]
	scratch_load_b128 v[136:139], off, off offset:336
	v_add_f64_e32 v[180:181], v[180:181], v[182:183]
	v_fmac_f64_e32 v[184:185], v[6:7], v[140:141]
	v_add_f64_e32 v[170:171], v[190:191], v[188:189]
	v_fma_f64 v[188:189], v[4:5], v[140:141], -v[142:143]
	ds_load_b128 v[4:7], v2 offset:1072
	s_wait_loadcnt_dscnt 0xb01
	v_mul_f64_e32 v[182:183], v[176:177], v[146:147]
	v_mul_f64_e32 v[146:147], v[178:179], v[146:147]
	scratch_load_b128 v[140:143], off, off offset:352
	v_add_f64_e32 v[180:181], v[180:181], v[186:187]
	s_wait_loadcnt_dscnt 0xb00
	v_mul_f64_e32 v[186:187], v[4:5], v[150:151]
	v_add_f64_e32 v[190:191], v[170:171], v[168:169]
	v_mul_f64_e32 v[150:151], v[6:7], v[150:151]
	ds_load_b128 v[168:171], v2 offset:1088
	v_fmac_f64_e32 v[182:183], v[178:179], v[144:145]
	v_fma_f64 v[176:177], v[176:177], v[144:145], -v[146:147]
	scratch_load_b128 v[144:147], off, off offset:368
	v_add_f64_e32 v[180:181], v[180:181], v[184:185]
	v_fmac_f64_e32 v[186:187], v[6:7], v[148:149]
	v_add_f64_e32 v[178:179], v[190:191], v[188:189]
	;; [unrolled: 18-line block ×3, first 2 shown]
	v_fma_f64 v[188:189], v[4:5], v[160:161], -v[162:163]
	ds_load_b128 v[4:7], v2 offset:1136
	s_wait_loadcnt_dscnt 0xa01
	v_mul_f64_e32 v[186:187], v[176:177], v[174:175]
	v_mul_f64_e32 v[174:175], v[178:179], v[174:175]
	scratch_load_b128 v[160:163], off, off offset:416
	v_add_f64_e32 v[180:181], v[180:181], v[184:185]
	v_add_f64_e32 v[190:191], v[170:171], v[168:169]
	s_wait_loadcnt_dscnt 0xa00
	v_mul_f64_e32 v[184:185], v[4:5], v[158:159]
	v_mul_f64_e32 v[158:159], v[6:7], v[158:159]
	v_fmac_f64_e32 v[186:187], v[178:179], v[172:173]
	v_fma_f64 v[176:177], v[176:177], v[172:173], -v[174:175]
	ds_load_b128 v[168:171], v2 offset:1152
	scratch_load_b128 v[172:175], off, off offset:432
	v_add_f64_e32 v[180:181], v[180:181], v[182:183]
	v_add_f64_e32 v[178:179], v[190:191], v[188:189]
	v_fmac_f64_e32 v[184:185], v[6:7], v[156:157]
	v_fma_f64 v[188:189], v[4:5], v[156:157], -v[158:159]
	ds_load_b128 v[4:7], v2 offset:1168
	s_wait_loadcnt_dscnt 0xa01
	v_mul_f64_e32 v[182:183], v[168:169], v[10:11]
	v_mul_f64_e32 v[10:11], v[170:171], v[10:11]
	scratch_load_b128 v[156:159], off, off offset:448
	v_add_f64_e32 v[180:181], v[180:181], v[186:187]
	s_wait_loadcnt_dscnt 0xa00
	v_mul_f64_e32 v[186:187], v[4:5], v[14:15]
	v_add_f64_e32 v[190:191], v[178:179], v[176:177]
	v_mul_f64_e32 v[14:15], v[6:7], v[14:15]
	ds_load_b128 v[176:179], v2 offset:1184
	v_fmac_f64_e32 v[182:183], v[170:171], v[8:9]
	v_fma_f64 v[168:169], v[168:169], v[8:9], -v[10:11]
	scratch_load_b128 v[8:11], off, off offset:464
	v_add_f64_e32 v[180:181], v[180:181], v[184:185]
	v_fmac_f64_e32 v[186:187], v[6:7], v[12:13]
	v_add_f64_e32 v[170:171], v[190:191], v[188:189]
	v_fma_f64 v[188:189], v[4:5], v[12:13], -v[14:15]
	ds_load_b128 v[4:7], v2 offset:1200
	s_wait_loadcnt_dscnt 0xa01
	v_mul_f64_e32 v[184:185], v[176:177], v[130:131]
	v_mul_f64_e32 v[130:131], v[178:179], v[130:131]
	scratch_load_b128 v[12:15], off, off offset:480
	v_add_f64_e32 v[180:181], v[180:181], v[182:183]
	s_wait_loadcnt_dscnt 0xa00
	v_mul_f64_e32 v[182:183], v[4:5], v[134:135]
	v_add_f64_e32 v[190:191], v[170:171], v[168:169]
	v_mul_f64_e32 v[134:135], v[6:7], v[134:135]
	ds_load_b128 v[168:171], v2 offset:1216
	v_fmac_f64_e32 v[184:185], v[178:179], v[128:129]
	v_fma_f64 v[176:177], v[176:177], v[128:129], -v[130:131]
	scratch_load_b128 v[128:131], off, off offset:496
	v_add_f64_e32 v[180:181], v[180:181], v[186:187]
	v_fmac_f64_e32 v[182:183], v[6:7], v[132:133]
	v_add_f64_e32 v[178:179], v[190:191], v[188:189]
	;; [unrolled: 18-line block ×13, first 2 shown]
	v_fma_f64 v[188:189], v[4:5], v[12:13], -v[14:15]
	ds_load_b128 v[4:7], v2 offset:1584
	s_wait_loadcnt_dscnt 0xa01
	v_mul_f64_e32 v[184:185], v[176:177], v[130:131]
	v_mul_f64_e32 v[130:131], v[178:179], v[130:131]
	scratch_load_b128 v[12:15], off, off offset:864
	v_add_f64_e32 v[180:181], v[180:181], v[182:183]
	s_wait_loadcnt_dscnt 0xa00
	v_mul_f64_e32 v[182:183], v[4:5], v[134:135]
	v_add_f64_e32 v[190:191], v[170:171], v[168:169]
	v_mul_f64_e32 v[134:135], v[6:7], v[134:135]
	ds_load_b128 v[168:171], v2 offset:1600
	v_fmac_f64_e32 v[184:185], v[178:179], v[128:129]
	v_fma_f64 v[128:129], v[176:177], v[128:129], -v[130:131]
	s_wait_loadcnt_dscnt 0x900
	v_mul_f64_e32 v[178:179], v[168:169], v[138:139]
	v_mul_f64_e32 v[138:139], v[170:171], v[138:139]
	v_add_f64_e32 v[176:177], v[180:181], v[186:187]
	v_fmac_f64_e32 v[182:183], v[6:7], v[132:133]
	v_add_f64_e32 v[130:131], v[190:191], v[188:189]
	v_fma_f64 v[132:133], v[4:5], v[132:133], -v[134:135]
	v_fmac_f64_e32 v[178:179], v[170:171], v[136:137]
	v_fma_f64 v[136:137], v[168:169], v[136:137], -v[138:139]
	v_add_f64_e32 v[176:177], v[176:177], v[184:185]
	v_add_f64_e32 v[134:135], v[130:131], v[128:129]
	ds_load_b128 v[4:7], v2 offset:1616
	ds_load_b128 v[128:131], v2 offset:1632
	s_wait_loadcnt_dscnt 0x801
	v_mul_f64_e32 v[180:181], v[4:5], v[142:143]
	v_mul_f64_e32 v[142:143], v[6:7], v[142:143]
	s_wait_loadcnt_dscnt 0x700
	v_mul_f64_e32 v[138:139], v[128:129], v[146:147]
	v_mul_f64_e32 v[146:147], v[130:131], v[146:147]
	v_add_f64_e32 v[132:133], v[134:135], v[132:133]
	v_add_f64_e32 v[134:135], v[176:177], v[182:183]
	v_fmac_f64_e32 v[180:181], v[6:7], v[140:141]
	v_fma_f64 v[140:141], v[4:5], v[140:141], -v[142:143]
	v_fmac_f64_e32 v[138:139], v[130:131], v[144:145]
	v_fma_f64 v[128:129], v[128:129], v[144:145], -v[146:147]
	v_add_f64_e32 v[136:137], v[132:133], v[136:137]
	v_add_f64_e32 v[142:143], v[134:135], v[178:179]
	ds_load_b128 v[4:7], v2 offset:1648
	ds_load_b128 v[132:135], v2 offset:1664
	s_wait_loadcnt_dscnt 0x601
	v_mul_f64_e32 v[168:169], v[4:5], v[150:151]
	v_mul_f64_e32 v[150:151], v[6:7], v[150:151]
	v_add_f64_e32 v[130:131], v[136:137], v[140:141]
	v_add_f64_e32 v[136:137], v[142:143], v[180:181]
	s_wait_loadcnt_dscnt 0x500
	v_mul_f64_e32 v[140:141], v[132:133], v[154:155]
	v_mul_f64_e32 v[142:143], v[134:135], v[154:155]
	v_fmac_f64_e32 v[168:169], v[6:7], v[148:149]
	v_fma_f64 v[144:145], v[4:5], v[148:149], -v[150:151]
	v_add_f64_e32 v[146:147], v[130:131], v[128:129]
	v_add_f64_e32 v[136:137], v[136:137], v[138:139]
	ds_load_b128 v[4:7], v2 offset:1680
	ds_load_b128 v[128:131], v2 offset:1696
	v_fmac_f64_e32 v[140:141], v[134:135], v[152:153]
	v_fma_f64 v[132:133], v[132:133], v[152:153], -v[142:143]
	s_wait_loadcnt_dscnt 0x401
	v_mul_f64_e32 v[138:139], v[4:5], v[162:163]
	v_mul_f64_e32 v[148:149], v[6:7], v[162:163]
	s_wait_loadcnt_dscnt 0x300
	v_mul_f64_e32 v[142:143], v[128:129], v[174:175]
	v_add_f64_e32 v[134:135], v[146:147], v[144:145]
	v_add_f64_e32 v[136:137], v[136:137], v[168:169]
	v_mul_f64_e32 v[144:145], v[130:131], v[174:175]
	v_fmac_f64_e32 v[138:139], v[6:7], v[160:161]
	v_fma_f64 v[146:147], v[4:5], v[160:161], -v[148:149]
	v_fmac_f64_e32 v[142:143], v[130:131], v[172:173]
	v_add_f64_e32 v[148:149], v[134:135], v[132:133]
	v_add_f64_e32 v[136:137], v[136:137], v[140:141]
	ds_load_b128 v[4:7], v2 offset:1712
	ds_load_b128 v[132:135], v2 offset:1728
	v_fma_f64 v[128:129], v[128:129], v[172:173], -v[144:145]
	s_wait_loadcnt_dscnt 0x201
	v_mul_f64_e32 v[140:141], v[4:5], v[158:159]
	v_mul_f64_e32 v[150:151], v[6:7], v[158:159]
	v_add_f64_e32 v[130:131], v[148:149], v[146:147]
	v_add_f64_e32 v[136:137], v[136:137], v[138:139]
	s_wait_loadcnt_dscnt 0x100
	v_mul_f64_e32 v[138:139], v[132:133], v[10:11]
	v_mul_f64_e32 v[10:11], v[134:135], v[10:11]
	v_fmac_f64_e32 v[140:141], v[6:7], v[156:157]
	v_fma_f64 v[144:145], v[4:5], v[156:157], -v[150:151]
	ds_load_b128 v[4:7], v2 offset:1744
	v_add_f64_e32 v[128:129], v[130:131], v[128:129]
	v_add_f64_e32 v[130:131], v[136:137], v[142:143]
	v_fmac_f64_e32 v[138:139], v[134:135], v[8:9]
	v_fma_f64 v[8:9], v[132:133], v[8:9], -v[10:11]
	s_wait_loadcnt_dscnt 0x0
	v_mul_f64_e32 v[136:137], v[4:5], v[14:15]
	v_mul_f64_e32 v[14:15], v[6:7], v[14:15]
	v_add_f64_e32 v[10:11], v[128:129], v[144:145]
	v_add_f64_e32 v[128:129], v[130:131], v[140:141]
	s_delay_alu instid0(VALU_DEP_4) | instskip(NEXT) | instid1(VALU_DEP_4)
	v_fmac_f64_e32 v[136:137], v[6:7], v[12:13]
	v_fma_f64 v[4:5], v[4:5], v[12:13], -v[14:15]
	s_delay_alu instid0(VALU_DEP_4) | instskip(NEXT) | instid1(VALU_DEP_4)
	v_add_f64_e32 v[6:7], v[10:11], v[8:9]
	v_add_f64_e32 v[8:9], v[128:129], v[138:139]
	s_delay_alu instid0(VALU_DEP_2) | instskip(NEXT) | instid1(VALU_DEP_2)
	v_add_f64_e32 v[4:5], v[6:7], v[4:5]
	v_add_f64_e32 v[6:7], v[8:9], v[136:137]
	s_delay_alu instid0(VALU_DEP_2) | instskip(NEXT) | instid1(VALU_DEP_2)
	v_add_f64_e64 v[4:5], v[164:165], -v[4:5]
	v_add_f64_e64 v[6:7], v[166:167], -v[6:7]
	scratch_store_b128 off, v[4:7], off offset:48
	s_wait_xcnt 0x0
	v_cmpx_lt_u32_e32 2, v1
	s_cbranch_execz .LBB54_339
; %bb.338:
	scratch_load_b128 v[6:9], off, s51
	v_dual_mov_b32 v3, v2 :: v_dual_mov_b32 v4, v2
	v_mov_b32_e32 v5, v2
	scratch_store_b128 off, v[2:5], off offset:32
	s_wait_loadcnt 0x0
	ds_store_b128 v126, v[6:9]
.LBB54_339:
	s_wait_xcnt 0x0
	s_or_b32 exec_lo, exec_lo, s2
	s_wait_storecnt_dscnt 0x0
	s_barrier_signal -1
	s_barrier_wait -1
	s_clause 0x9
	scratch_load_b128 v[4:7], off, off offset:48
	scratch_load_b128 v[8:11], off, off offset:64
	scratch_load_b128 v[12:15], off, off offset:80
	scratch_load_b128 v[128:131], off, off offset:96
	scratch_load_b128 v[132:135], off, off offset:112
	scratch_load_b128 v[136:139], off, off offset:128
	scratch_load_b128 v[140:143], off, off offset:144
	scratch_load_b128 v[144:147], off, off offset:160
	scratch_load_b128 v[148:151], off, off offset:176
	scratch_load_b128 v[152:155], off, off offset:192
	ds_load_b128 v[156:159], v2 offset:928
	ds_load_b128 v[164:167], v2 offset:944
	s_clause 0x2
	scratch_load_b128 v[160:163], off, off offset:208
	scratch_load_b128 v[168:171], off, off offset:32
	;; [unrolled: 1-line block ×3, first 2 shown]
	s_mov_b32 s2, exec_lo
	v_ashrrev_i32_e32 v21, 31, v20
	v_ashrrev_i32_e32 v25, 31, v24
	;; [unrolled: 1-line block ×3, first 2 shown]
	v_dual_ashrrev_i32 v33, 31, v32 :: v_dual_ashrrev_i32 v23, 31, v22
	v_dual_ashrrev_i32 v27, 31, v26 :: v_dual_ashrrev_i32 v37, 31, v36
	;; [unrolled: 1-line block ×8, first 2 shown]
	v_ashrrev_i32_e32 v65, 31, v64
	v_ashrrev_i32_e32 v69, 31, v68
	v_dual_ashrrev_i32 v73, 31, v72 :: v_dual_ashrrev_i32 v55, 31, v54
	v_ashrrev_i32_e32 v59, 31, v58
	v_ashrrev_i32_e32 v63, 31, v62
	v_dual_ashrrev_i32 v67, 31, v66 :: v_dual_ashrrev_i32 v77, 31, v76
	v_dual_ashrrev_i32 v81, 31, v80 :: v_dual_ashrrev_i32 v71, 31, v70
	;; [unrolled: 1-line block ×3, first 2 shown]
	v_ashrrev_i32_e32 v89, 31, v88
	v_dual_ashrrev_i32 v93, 31, v92 :: v_dual_ashrrev_i32 v79, 31, v78
	v_dual_ashrrev_i32 v97, 31, v96 :: v_dual_ashrrev_i32 v83, 31, v82
	v_ashrrev_i32_e32 v101, 31, v100
	v_dual_ashrrev_i32 v105, 31, v104 :: v_dual_ashrrev_i32 v87, 31, v86
	v_ashrrev_i32_e32 v91, 31, v90
	v_dual_ashrrev_i32 v95, 31, v94 :: v_dual_ashrrev_i32 v109, 31, v108
	v_dual_ashrrev_i32 v113, 31, v112 :: v_dual_ashrrev_i32 v99, 31, v98
	;; [unrolled: 1-line block ×3, first 2 shown]
	v_ashrrev_i32_e32 v121, 31, v120
	v_dual_ashrrev_i32 v125, 31, v124 :: v_dual_ashrrev_i32 v107, 31, v106
	v_ashrrev_i32_e32 v111, 31, v110
	v_ashrrev_i32_e32 v115, 31, v114
	;; [unrolled: 1-line block ×4, first 2 shown]
	s_wait_loadcnt_dscnt 0xc01
	v_mul_f64_e32 v[176:177], v[158:159], v[6:7]
	v_mul_f64_e32 v[180:181], v[156:157], v[6:7]
	s_wait_loadcnt_dscnt 0xb00
	v_mul_f64_e32 v[182:183], v[164:165], v[10:11]
	v_mul_f64_e32 v[10:11], v[166:167], v[10:11]
	s_delay_alu instid0(VALU_DEP_4) | instskip(NEXT) | instid1(VALU_DEP_4)
	v_fma_f64 v[184:185], v[156:157], v[4:5], -v[176:177]
	v_fmac_f64_e32 v[180:181], v[158:159], v[4:5]
	ds_load_b128 v[4:7], v2 offset:960
	ds_load_b128 v[176:179], v2 offset:976
	scratch_load_b128 v[156:159], off, off offset:240
	v_fmac_f64_e32 v[182:183], v[166:167], v[8:9]
	v_fma_f64 v[164:165], v[164:165], v[8:9], -v[10:11]
	scratch_load_b128 v[8:11], off, off offset:256
	s_wait_loadcnt_dscnt 0xc01
	v_mul_f64_e32 v[186:187], v[4:5], v[14:15]
	v_mul_f64_e32 v[14:15], v[6:7], v[14:15]
	v_add_f64_e32 v[166:167], 0, v[184:185]
	v_add_f64_e32 v[180:181], 0, v[180:181]
	s_wait_loadcnt_dscnt 0xb00
	v_mul_f64_e32 v[184:185], v[176:177], v[130:131]
	v_mul_f64_e32 v[130:131], v[178:179], v[130:131]
	v_fmac_f64_e32 v[186:187], v[6:7], v[12:13]
	v_fma_f64 v[188:189], v[4:5], v[12:13], -v[14:15]
	ds_load_b128 v[4:7], v2 offset:992
	scratch_load_b128 v[12:15], off, off offset:272
	v_add_f64_e32 v[190:191], v[166:167], v[164:165]
	v_add_f64_e32 v[180:181], v[180:181], v[182:183]
	ds_load_b128 v[164:167], v2 offset:1008
	v_fmac_f64_e32 v[184:185], v[178:179], v[128:129]
	v_fma_f64 v[176:177], v[176:177], v[128:129], -v[130:131]
	scratch_load_b128 v[128:131], off, off offset:288
	s_wait_loadcnt_dscnt 0xc01
	v_mul_f64_e32 v[182:183], v[4:5], v[134:135]
	v_mul_f64_e32 v[134:135], v[6:7], v[134:135]
	v_add_f64_e32 v[178:179], v[190:191], v[188:189]
	v_add_f64_e32 v[180:181], v[180:181], v[186:187]
	s_wait_loadcnt_dscnt 0xb00
	v_mul_f64_e32 v[186:187], v[164:165], v[138:139]
	v_mul_f64_e32 v[138:139], v[166:167], v[138:139]
	v_fmac_f64_e32 v[182:183], v[6:7], v[132:133]
	v_fma_f64 v[188:189], v[4:5], v[132:133], -v[134:135]
	ds_load_b128 v[4:7], v2 offset:1024
	scratch_load_b128 v[132:135], off, off offset:304
	v_add_f64_e32 v[190:191], v[178:179], v[176:177]
	v_add_f64_e32 v[180:181], v[180:181], v[184:185]
	ds_load_b128 v[176:179], v2 offset:1040
	s_wait_loadcnt_dscnt 0xb01
	v_mul_f64_e32 v[184:185], v[4:5], v[142:143]
	v_mul_f64_e32 v[142:143], v[6:7], v[142:143]
	v_fmac_f64_e32 v[186:187], v[166:167], v[136:137]
	v_fma_f64 v[164:165], v[164:165], v[136:137], -v[138:139]
	scratch_load_b128 v[136:139], off, off offset:320
	v_add_f64_e32 v[166:167], v[190:191], v[188:189]
	v_add_f64_e32 v[180:181], v[180:181], v[182:183]
	s_wait_loadcnt_dscnt 0xb00
	v_mul_f64_e32 v[182:183], v[176:177], v[146:147]
	v_mul_f64_e32 v[146:147], v[178:179], v[146:147]
	v_fmac_f64_e32 v[184:185], v[6:7], v[140:141]
	v_fma_f64 v[188:189], v[4:5], v[140:141], -v[142:143]
	ds_load_b128 v[4:7], v2 offset:1056
	scratch_load_b128 v[140:143], off, off offset:336
	v_add_f64_e32 v[190:191], v[166:167], v[164:165]
	v_add_f64_e32 v[180:181], v[180:181], v[186:187]
	ds_load_b128 v[164:167], v2 offset:1072
	s_wait_loadcnt_dscnt 0xb01
	v_mul_f64_e32 v[186:187], v[4:5], v[150:151]
	v_mul_f64_e32 v[150:151], v[6:7], v[150:151]
	v_fmac_f64_e32 v[182:183], v[178:179], v[144:145]
	v_fma_f64 v[176:177], v[176:177], v[144:145], -v[146:147]
	scratch_load_b128 v[144:147], off, off offset:352
	;; [unrolled: 18-line block ×3, first 2 shown]
	v_add_f64_e32 v[166:167], v[190:191], v[188:189]
	v_add_f64_e32 v[180:181], v[180:181], v[186:187]
	s_wait_loadcnt_dscnt 0xa00
	v_mul_f64_e32 v[186:187], v[176:177], v[174:175]
	v_mul_f64_e32 v[174:175], v[178:179], v[174:175]
	v_fmac_f64_e32 v[182:183], v[6:7], v[160:161]
	v_fma_f64 v[188:189], v[4:5], v[160:161], -v[162:163]
	ds_load_b128 v[4:7], v2 offset:1120
	scratch_load_b128 v[160:163], off, off offset:400
	v_add_f64_e32 v[190:191], v[166:167], v[164:165]
	v_add_f64_e32 v[180:181], v[180:181], v[184:185]
	ds_load_b128 v[164:167], v2 offset:1136
	v_fmac_f64_e32 v[186:187], v[178:179], v[172:173]
	s_wait_loadcnt_dscnt 0xa01
	v_mul_f64_e32 v[184:185], v[4:5], v[158:159]
	v_mul_f64_e32 v[158:159], v[6:7], v[158:159]
	v_fma_f64 v[176:177], v[176:177], v[172:173], -v[174:175]
	scratch_load_b128 v[172:175], off, off offset:416
	v_add_f64_e32 v[178:179], v[190:191], v[188:189]
	v_add_f64_e32 v[180:181], v[180:181], v[182:183]
	s_wait_loadcnt_dscnt 0xa00
	v_mul_f64_e32 v[182:183], v[164:165], v[10:11]
	v_mul_f64_e32 v[10:11], v[166:167], v[10:11]
	v_fmac_f64_e32 v[184:185], v[6:7], v[156:157]
	v_fma_f64 v[188:189], v[4:5], v[156:157], -v[158:159]
	ds_load_b128 v[4:7], v2 offset:1152
	scratch_load_b128 v[156:159], off, off offset:432
	v_add_f64_e32 v[190:191], v[178:179], v[176:177]
	v_add_f64_e32 v[180:181], v[180:181], v[186:187]
	ds_load_b128 v[176:179], v2 offset:1168
	s_wait_loadcnt_dscnt 0xa01
	v_mul_f64_e32 v[186:187], v[4:5], v[14:15]
	v_mul_f64_e32 v[14:15], v[6:7], v[14:15]
	v_fmac_f64_e32 v[182:183], v[166:167], v[8:9]
	v_fma_f64 v[164:165], v[164:165], v[8:9], -v[10:11]
	scratch_load_b128 v[8:11], off, off offset:448
	v_add_f64_e32 v[166:167], v[190:191], v[188:189]
	v_add_f64_e32 v[180:181], v[180:181], v[184:185]
	s_wait_loadcnt_dscnt 0xa00
	v_mul_f64_e32 v[184:185], v[176:177], v[130:131]
	v_mul_f64_e32 v[130:131], v[178:179], v[130:131]
	v_fmac_f64_e32 v[186:187], v[6:7], v[12:13]
	v_fma_f64 v[188:189], v[4:5], v[12:13], -v[14:15]
	ds_load_b128 v[4:7], v2 offset:1184
	scratch_load_b128 v[12:15], off, off offset:464
	v_add_f64_e32 v[190:191], v[166:167], v[164:165]
	v_add_f64_e32 v[180:181], v[180:181], v[182:183]
	ds_load_b128 v[164:167], v2 offset:1200
	s_wait_loadcnt_dscnt 0xa01
	v_mul_f64_e32 v[182:183], v[4:5], v[134:135]
	v_mul_f64_e32 v[134:135], v[6:7], v[134:135]
	v_fmac_f64_e32 v[184:185], v[178:179], v[128:129]
	;; [unrolled: 18-line block ×14, first 2 shown]
	v_fma_f64 v[176:177], v[176:177], v[128:129], -v[130:131]
	scratch_load_b128 v[128:131], off, off offset:864
	v_add_f64_e32 v[178:179], v[190:191], v[188:189]
	v_add_f64_e32 v[180:181], v[180:181], v[186:187]
	s_wait_loadcnt_dscnt 0xa00
	v_mul_f64_e32 v[186:187], v[164:165], v[138:139]
	v_mul_f64_e32 v[138:139], v[166:167], v[138:139]
	v_fmac_f64_e32 v[182:183], v[6:7], v[132:133]
	v_fma_f64 v[188:189], v[4:5], v[132:133], -v[134:135]
	ds_load_b128 v[4:7], v2 offset:1600
	ds_load_b128 v[132:135], v2 offset:1616
	v_add_f64_e32 v[176:177], v[178:179], v[176:177]
	v_add_f64_e32 v[178:179], v[180:181], v[184:185]
	s_wait_loadcnt_dscnt 0x901
	v_mul_f64_e32 v[180:181], v[4:5], v[142:143]
	v_mul_f64_e32 v[142:143], v[6:7], v[142:143]
	v_fmac_f64_e32 v[186:187], v[166:167], v[136:137]
	v_fma_f64 v[136:137], v[164:165], v[136:137], -v[138:139]
	s_wait_loadcnt_dscnt 0x800
	v_mul_f64_e32 v[166:167], v[132:133], v[146:147]
	v_mul_f64_e32 v[146:147], v[134:135], v[146:147]
	v_add_f64_e32 v[138:139], v[176:177], v[188:189]
	v_add_f64_e32 v[164:165], v[178:179], v[182:183]
	v_fmac_f64_e32 v[180:181], v[6:7], v[140:141]
	v_fma_f64 v[140:141], v[4:5], v[140:141], -v[142:143]
	v_fmac_f64_e32 v[166:167], v[134:135], v[144:145]
	v_fma_f64 v[132:133], v[132:133], v[144:145], -v[146:147]
	v_add_f64_e32 v[142:143], v[138:139], v[136:137]
	v_add_f64_e32 v[164:165], v[164:165], v[186:187]
	ds_load_b128 v[4:7], v2 offset:1632
	ds_load_b128 v[136:139], v2 offset:1648
	s_wait_loadcnt_dscnt 0x701
	v_mul_f64_e32 v[176:177], v[4:5], v[150:151]
	v_mul_f64_e32 v[150:151], v[6:7], v[150:151]
	s_wait_loadcnt_dscnt 0x600
	v_mul_f64_e32 v[144:145], v[138:139], v[154:155]
	v_add_f64_e32 v[134:135], v[142:143], v[140:141]
	v_add_f64_e32 v[140:141], v[164:165], v[180:181]
	v_mul_f64_e32 v[142:143], v[136:137], v[154:155]
	v_fmac_f64_e32 v[176:177], v[6:7], v[148:149]
	v_fma_f64 v[146:147], v[4:5], v[148:149], -v[150:151]
	v_fma_f64 v[136:137], v[136:137], v[152:153], -v[144:145]
	v_add_f64_e32 v[148:149], v[134:135], v[132:133]
	v_add_f64_e32 v[140:141], v[140:141], v[166:167]
	ds_load_b128 v[4:7], v2 offset:1664
	ds_load_b128 v[132:135], v2 offset:1680
	v_fmac_f64_e32 v[142:143], v[138:139], v[152:153]
	s_wait_loadcnt_dscnt 0x501
	v_mul_f64_e32 v[150:151], v[4:5], v[162:163]
	v_mul_f64_e32 v[154:155], v[6:7], v[162:163]
	s_wait_loadcnt_dscnt 0x400
	v_mul_f64_e32 v[144:145], v[132:133], v[174:175]
	v_add_f64_e32 v[138:139], v[148:149], v[146:147]
	v_add_f64_e32 v[140:141], v[140:141], v[176:177]
	v_mul_f64_e32 v[146:147], v[134:135], v[174:175]
	v_fmac_f64_e32 v[150:151], v[6:7], v[160:161]
	v_fma_f64 v[148:149], v[4:5], v[160:161], -v[154:155]
	v_fmac_f64_e32 v[144:145], v[134:135], v[172:173]
	v_add_f64_e32 v[152:153], v[138:139], v[136:137]
	v_add_f64_e32 v[140:141], v[140:141], v[142:143]
	ds_load_b128 v[4:7], v2 offset:1696
	ds_load_b128 v[136:139], v2 offset:1712
	v_fma_f64 v[132:133], v[132:133], v[172:173], -v[146:147]
	s_wait_loadcnt_dscnt 0x301
	v_mul_f64_e32 v[142:143], v[4:5], v[158:159]
	v_mul_f64_e32 v[154:155], v[6:7], v[158:159]
	s_wait_loadcnt_dscnt 0x200
	v_mul_f64_e32 v[146:147], v[136:137], v[10:11]
	v_mul_f64_e32 v[10:11], v[138:139], v[10:11]
	v_add_f64_e32 v[134:135], v[152:153], v[148:149]
	v_add_f64_e32 v[140:141], v[140:141], v[150:151]
	v_fmac_f64_e32 v[142:143], v[6:7], v[156:157]
	v_fma_f64 v[148:149], v[4:5], v[156:157], -v[154:155]
	v_fmac_f64_e32 v[146:147], v[138:139], v[8:9]
	v_fma_f64 v[8:9], v[136:137], v[8:9], -v[10:11]
	v_add_f64_e32 v[150:151], v[134:135], v[132:133]
	v_add_f64_e32 v[140:141], v[140:141], v[144:145]
	ds_load_b128 v[4:7], v2 offset:1728
	ds_load_b128 v[132:135], v2 offset:1744
	s_wait_loadcnt_dscnt 0x101
	v_mul_f64_e32 v[2:3], v[4:5], v[14:15]
	v_mul_f64_e32 v[14:15], v[6:7], v[14:15]
	s_wait_loadcnt_dscnt 0x0
	v_mul_f64_e32 v[138:139], v[132:133], v[130:131]
	v_mul_f64_e32 v[130:131], v[134:135], v[130:131]
	v_add_f64_e32 v[10:11], v[150:151], v[148:149]
	v_add_f64_e32 v[136:137], v[140:141], v[142:143]
	v_fmac_f64_e32 v[2:3], v[6:7], v[12:13]
	v_fma_f64 v[4:5], v[4:5], v[12:13], -v[14:15]
	v_fmac_f64_e32 v[138:139], v[134:135], v[128:129]
	v_add_f64_e32 v[6:7], v[10:11], v[8:9]
	v_add_f64_e32 v[8:9], v[136:137], v[146:147]
	v_fma_f64 v[10:11], v[132:133], v[128:129], -v[130:131]
	s_delay_alu instid0(VALU_DEP_3) | instskip(NEXT) | instid1(VALU_DEP_3)
	v_add_f64_e32 v[4:5], v[6:7], v[4:5]
	v_add_f64_e32 v[2:3], v[8:9], v[2:3]
	s_delay_alu instid0(VALU_DEP_2) | instskip(NEXT) | instid1(VALU_DEP_2)
	v_add_f64_e32 v[4:5], v[4:5], v[10:11]
	v_add_f64_e32 v[6:7], v[2:3], v[138:139]
	s_delay_alu instid0(VALU_DEP_2) | instskip(NEXT) | instid1(VALU_DEP_2)
	v_add_f64_e64 v[2:3], v[168:169], -v[4:5]
	v_add_f64_e64 v[4:5], v[170:171], -v[6:7]
	scratch_store_b128 off, v[2:5], off offset:32
	s_wait_xcnt 0x0
	v_cmpx_lt_u32_e32 1, v1
	s_cbranch_execz .LBB54_341
; %bb.340:
	scratch_load_b128 v[2:5], off, s52
	v_mov_b32_e32 v6, 0
	s_delay_alu instid0(VALU_DEP_1)
	v_dual_mov_b32 v7, v6 :: v_dual_mov_b32 v8, v6
	v_mov_b32_e32 v9, v6
	scratch_store_b128 off, v[6:9], off offset:16
	s_wait_loadcnt 0x0
	ds_store_b128 v126, v[2:5]
.LBB54_341:
	s_wait_xcnt 0x0
	s_or_b32 exec_lo, exec_lo, s2
	s_wait_storecnt_dscnt 0x0
	s_barrier_signal -1
	s_barrier_wait -1
	s_clause 0x9
	scratch_load_b128 v[4:7], off, off offset:32
	scratch_load_b128 v[8:11], off, off offset:48
	;; [unrolled: 1-line block ×10, first 2 shown]
	v_mov_b32_e32 v2, 0
	s_mov_b32 s2, exec_lo
	ds_load_b128 v[156:159], v2 offset:912
	s_clause 0x2
	scratch_load_b128 v[160:163], off, off offset:192
	scratch_load_b128 v[164:167], off, off offset:16
	;; [unrolled: 1-line block ×3, first 2 shown]
	s_wait_loadcnt_dscnt 0xc00
	v_mul_f64_e32 v[176:177], v[158:159], v[6:7]
	v_mul_f64_e32 v[180:181], v[156:157], v[6:7]
	ds_load_b128 v[168:171], v2 offset:928
	v_fma_f64 v[184:185], v[156:157], v[4:5], -v[176:177]
	v_fmac_f64_e32 v[180:181], v[158:159], v[4:5]
	ds_load_b128 v[4:7], v2 offset:944
	s_wait_loadcnt_dscnt 0xb01
	v_mul_f64_e32 v[182:183], v[168:169], v[10:11]
	v_mul_f64_e32 v[10:11], v[170:171], v[10:11]
	scratch_load_b128 v[156:159], off, off offset:224
	ds_load_b128 v[176:179], v2 offset:960
	s_wait_loadcnt_dscnt 0xb01
	v_mul_f64_e32 v[186:187], v[4:5], v[14:15]
	v_mul_f64_e32 v[14:15], v[6:7], v[14:15]
	v_add_f64_e32 v[180:181], 0, v[180:181]
	v_fmac_f64_e32 v[182:183], v[170:171], v[8:9]
	v_fma_f64 v[168:169], v[168:169], v[8:9], -v[10:11]
	v_add_f64_e32 v[170:171], 0, v[184:185]
	scratch_load_b128 v[8:11], off, off offset:240
	v_fmac_f64_e32 v[186:187], v[6:7], v[12:13]
	v_fma_f64 v[188:189], v[4:5], v[12:13], -v[14:15]
	ds_load_b128 v[4:7], v2 offset:976
	s_wait_loadcnt_dscnt 0xb01
	v_mul_f64_e32 v[184:185], v[176:177], v[130:131]
	v_mul_f64_e32 v[130:131], v[178:179], v[130:131]
	scratch_load_b128 v[12:15], off, off offset:256
	v_add_f64_e32 v[180:181], v[180:181], v[182:183]
	v_add_f64_e32 v[190:191], v[170:171], v[168:169]
	ds_load_b128 v[168:171], v2 offset:992
	s_wait_loadcnt_dscnt 0xb01
	v_mul_f64_e32 v[182:183], v[4:5], v[134:135]
	v_mul_f64_e32 v[134:135], v[6:7], v[134:135]
	v_fmac_f64_e32 v[184:185], v[178:179], v[128:129]
	v_fma_f64 v[176:177], v[176:177], v[128:129], -v[130:131]
	scratch_load_b128 v[128:131], off, off offset:272
	v_add_f64_e32 v[180:181], v[180:181], v[186:187]
	v_add_f64_e32 v[178:179], v[190:191], v[188:189]
	v_fmac_f64_e32 v[182:183], v[6:7], v[132:133]
	v_fma_f64 v[188:189], v[4:5], v[132:133], -v[134:135]
	ds_load_b128 v[4:7], v2 offset:1008
	s_wait_loadcnt_dscnt 0xb01
	v_mul_f64_e32 v[186:187], v[168:169], v[138:139]
	v_mul_f64_e32 v[138:139], v[170:171], v[138:139]
	scratch_load_b128 v[132:135], off, off offset:288
	v_add_f64_e32 v[180:181], v[180:181], v[184:185]
	s_wait_loadcnt_dscnt 0xb00
	v_mul_f64_e32 v[184:185], v[4:5], v[142:143]
	v_add_f64_e32 v[190:191], v[178:179], v[176:177]
	v_mul_f64_e32 v[142:143], v[6:7], v[142:143]
	ds_load_b128 v[176:179], v2 offset:1024
	v_fmac_f64_e32 v[186:187], v[170:171], v[136:137]
	v_fma_f64 v[168:169], v[168:169], v[136:137], -v[138:139]
	scratch_load_b128 v[136:139], off, off offset:304
	v_add_f64_e32 v[180:181], v[180:181], v[182:183]
	v_fmac_f64_e32 v[184:185], v[6:7], v[140:141]
	v_add_f64_e32 v[170:171], v[190:191], v[188:189]
	v_fma_f64 v[188:189], v[4:5], v[140:141], -v[142:143]
	ds_load_b128 v[4:7], v2 offset:1040
	s_wait_loadcnt_dscnt 0xb01
	v_mul_f64_e32 v[182:183], v[176:177], v[146:147]
	v_mul_f64_e32 v[146:147], v[178:179], v[146:147]
	scratch_load_b128 v[140:143], off, off offset:320
	v_add_f64_e32 v[180:181], v[180:181], v[186:187]
	s_wait_loadcnt_dscnt 0xb00
	v_mul_f64_e32 v[186:187], v[4:5], v[150:151]
	v_add_f64_e32 v[190:191], v[170:171], v[168:169]
	v_mul_f64_e32 v[150:151], v[6:7], v[150:151]
	ds_load_b128 v[168:171], v2 offset:1056
	v_fmac_f64_e32 v[182:183], v[178:179], v[144:145]
	v_fma_f64 v[176:177], v[176:177], v[144:145], -v[146:147]
	scratch_load_b128 v[144:147], off, off offset:336
	v_add_f64_e32 v[180:181], v[180:181], v[184:185]
	v_fmac_f64_e32 v[186:187], v[6:7], v[148:149]
	v_add_f64_e32 v[178:179], v[190:191], v[188:189]
	;; [unrolled: 18-line block ×3, first 2 shown]
	v_fma_f64 v[188:189], v[4:5], v[160:161], -v[162:163]
	ds_load_b128 v[4:7], v2 offset:1104
	s_wait_loadcnt_dscnt 0xa01
	v_mul_f64_e32 v[186:187], v[176:177], v[174:175]
	v_mul_f64_e32 v[174:175], v[178:179], v[174:175]
	scratch_load_b128 v[160:163], off, off offset:384
	v_add_f64_e32 v[180:181], v[180:181], v[184:185]
	v_add_f64_e32 v[190:191], v[170:171], v[168:169]
	s_wait_loadcnt_dscnt 0xa00
	v_mul_f64_e32 v[184:185], v[4:5], v[158:159]
	v_mul_f64_e32 v[158:159], v[6:7], v[158:159]
	v_fmac_f64_e32 v[186:187], v[178:179], v[172:173]
	v_fma_f64 v[176:177], v[176:177], v[172:173], -v[174:175]
	ds_load_b128 v[168:171], v2 offset:1120
	scratch_load_b128 v[172:175], off, off offset:400
	v_add_f64_e32 v[180:181], v[180:181], v[182:183]
	v_add_f64_e32 v[178:179], v[190:191], v[188:189]
	v_fmac_f64_e32 v[184:185], v[6:7], v[156:157]
	v_fma_f64 v[188:189], v[4:5], v[156:157], -v[158:159]
	ds_load_b128 v[4:7], v2 offset:1136
	s_wait_loadcnt_dscnt 0xa01
	v_mul_f64_e32 v[182:183], v[168:169], v[10:11]
	v_mul_f64_e32 v[10:11], v[170:171], v[10:11]
	scratch_load_b128 v[156:159], off, off offset:416
	v_add_f64_e32 v[180:181], v[180:181], v[186:187]
	s_wait_loadcnt_dscnt 0xa00
	v_mul_f64_e32 v[186:187], v[4:5], v[14:15]
	v_add_f64_e32 v[190:191], v[178:179], v[176:177]
	v_mul_f64_e32 v[14:15], v[6:7], v[14:15]
	ds_load_b128 v[176:179], v2 offset:1152
	v_fmac_f64_e32 v[182:183], v[170:171], v[8:9]
	v_fma_f64 v[168:169], v[168:169], v[8:9], -v[10:11]
	scratch_load_b128 v[8:11], off, off offset:432
	v_add_f64_e32 v[180:181], v[180:181], v[184:185]
	v_fmac_f64_e32 v[186:187], v[6:7], v[12:13]
	v_add_f64_e32 v[170:171], v[190:191], v[188:189]
	v_fma_f64 v[188:189], v[4:5], v[12:13], -v[14:15]
	ds_load_b128 v[4:7], v2 offset:1168
	s_wait_loadcnt_dscnt 0xa01
	v_mul_f64_e32 v[184:185], v[176:177], v[130:131]
	v_mul_f64_e32 v[130:131], v[178:179], v[130:131]
	scratch_load_b128 v[12:15], off, off offset:448
	v_add_f64_e32 v[180:181], v[180:181], v[182:183]
	s_wait_loadcnt_dscnt 0xa00
	v_mul_f64_e32 v[182:183], v[4:5], v[134:135]
	v_add_f64_e32 v[190:191], v[170:171], v[168:169]
	v_mul_f64_e32 v[134:135], v[6:7], v[134:135]
	ds_load_b128 v[168:171], v2 offset:1184
	v_fmac_f64_e32 v[184:185], v[178:179], v[128:129]
	v_fma_f64 v[176:177], v[176:177], v[128:129], -v[130:131]
	scratch_load_b128 v[128:131], off, off offset:464
	v_add_f64_e32 v[180:181], v[180:181], v[186:187]
	v_fmac_f64_e32 v[182:183], v[6:7], v[132:133]
	v_add_f64_e32 v[178:179], v[190:191], v[188:189]
	;; [unrolled: 18-line block ×14, first 2 shown]
	v_fma_f64 v[188:189], v[4:5], v[132:133], -v[134:135]
	ds_load_b128 v[4:7], v2 offset:1584
	s_wait_loadcnt_dscnt 0xa01
	v_mul_f64_e32 v[186:187], v[168:169], v[138:139]
	v_mul_f64_e32 v[138:139], v[170:171], v[138:139]
	scratch_load_b128 v[132:135], off, off offset:864
	v_add_f64_e32 v[180:181], v[180:181], v[184:185]
	s_wait_loadcnt_dscnt 0xa00
	v_mul_f64_e32 v[184:185], v[4:5], v[142:143]
	v_add_f64_e32 v[190:191], v[178:179], v[176:177]
	v_mul_f64_e32 v[142:143], v[6:7], v[142:143]
	ds_load_b128 v[176:179], v2 offset:1600
	v_fmac_f64_e32 v[186:187], v[170:171], v[136:137]
	v_fma_f64 v[136:137], v[168:169], v[136:137], -v[138:139]
	s_wait_loadcnt_dscnt 0x900
	v_mul_f64_e32 v[170:171], v[176:177], v[146:147]
	v_mul_f64_e32 v[146:147], v[178:179], v[146:147]
	v_add_f64_e32 v[168:169], v[180:181], v[182:183]
	v_fmac_f64_e32 v[184:185], v[6:7], v[140:141]
	v_add_f64_e32 v[138:139], v[190:191], v[188:189]
	v_fma_f64 v[140:141], v[4:5], v[140:141], -v[142:143]
	v_fmac_f64_e32 v[170:171], v[178:179], v[144:145]
	v_fma_f64 v[144:145], v[176:177], v[144:145], -v[146:147]
	v_add_f64_e32 v[168:169], v[168:169], v[186:187]
	v_add_f64_e32 v[142:143], v[138:139], v[136:137]
	ds_load_b128 v[4:7], v2 offset:1616
	ds_load_b128 v[136:139], v2 offset:1632
	s_wait_loadcnt_dscnt 0x801
	v_mul_f64_e32 v[180:181], v[4:5], v[150:151]
	v_mul_f64_e32 v[150:151], v[6:7], v[150:151]
	s_wait_loadcnt_dscnt 0x700
	v_mul_f64_e32 v[146:147], v[136:137], v[154:155]
	v_mul_f64_e32 v[154:155], v[138:139], v[154:155]
	v_add_f64_e32 v[140:141], v[142:143], v[140:141]
	v_add_f64_e32 v[142:143], v[168:169], v[184:185]
	v_fmac_f64_e32 v[180:181], v[6:7], v[148:149]
	v_fma_f64 v[148:149], v[4:5], v[148:149], -v[150:151]
	v_fmac_f64_e32 v[146:147], v[138:139], v[152:153]
	v_fma_f64 v[136:137], v[136:137], v[152:153], -v[154:155]
	v_add_f64_e32 v[144:145], v[140:141], v[144:145]
	v_add_f64_e32 v[150:151], v[142:143], v[170:171]
	ds_load_b128 v[4:7], v2 offset:1648
	ds_load_b128 v[140:143], v2 offset:1664
	s_wait_loadcnt_dscnt 0x601
	v_mul_f64_e32 v[168:169], v[4:5], v[162:163]
	v_mul_f64_e32 v[162:163], v[6:7], v[162:163]
	v_add_f64_e32 v[138:139], v[144:145], v[148:149]
	v_add_f64_e32 v[144:145], v[150:151], v[180:181]
	s_wait_loadcnt_dscnt 0x500
	v_mul_f64_e32 v[148:149], v[140:141], v[174:175]
	v_mul_f64_e32 v[150:151], v[142:143], v[174:175]
	v_fmac_f64_e32 v[168:169], v[6:7], v[160:161]
	v_fma_f64 v[152:153], v[4:5], v[160:161], -v[162:163]
	v_add_f64_e32 v[154:155], v[138:139], v[136:137]
	v_add_f64_e32 v[144:145], v[144:145], v[146:147]
	ds_load_b128 v[4:7], v2 offset:1680
	ds_load_b128 v[136:139], v2 offset:1696
	v_fmac_f64_e32 v[148:149], v[142:143], v[172:173]
	v_fma_f64 v[140:141], v[140:141], v[172:173], -v[150:151]
	s_wait_loadcnt_dscnt 0x401
	v_mul_f64_e32 v[146:147], v[4:5], v[158:159]
	v_mul_f64_e32 v[158:159], v[6:7], v[158:159]
	s_wait_loadcnt_dscnt 0x300
	v_mul_f64_e32 v[150:151], v[136:137], v[10:11]
	v_mul_f64_e32 v[10:11], v[138:139], v[10:11]
	v_add_f64_e32 v[142:143], v[154:155], v[152:153]
	v_add_f64_e32 v[144:145], v[144:145], v[168:169]
	v_fmac_f64_e32 v[146:147], v[6:7], v[156:157]
	v_fma_f64 v[152:153], v[4:5], v[156:157], -v[158:159]
	v_fmac_f64_e32 v[150:151], v[138:139], v[8:9]
	v_fma_f64 v[8:9], v[136:137], v[8:9], -v[10:11]
	v_add_f64_e32 v[154:155], v[142:143], v[140:141]
	v_add_f64_e32 v[144:145], v[144:145], v[148:149]
	ds_load_b128 v[4:7], v2 offset:1712
	ds_load_b128 v[140:143], v2 offset:1728
	s_wait_loadcnt_dscnt 0x201
	v_mul_f64_e32 v[148:149], v[4:5], v[14:15]
	v_mul_f64_e32 v[14:15], v[6:7], v[14:15]
	s_wait_loadcnt_dscnt 0x100
	v_mul_f64_e32 v[138:139], v[140:141], v[130:131]
	v_mul_f64_e32 v[130:131], v[142:143], v[130:131]
	v_add_f64_e32 v[10:11], v[154:155], v[152:153]
	v_add_f64_e32 v[136:137], v[144:145], v[146:147]
	v_fmac_f64_e32 v[148:149], v[6:7], v[12:13]
	v_fma_f64 v[12:13], v[4:5], v[12:13], -v[14:15]
	ds_load_b128 v[4:7], v2 offset:1744
	v_fmac_f64_e32 v[138:139], v[142:143], v[128:129]
	v_fma_f64 v[128:129], v[140:141], v[128:129], -v[130:131]
	v_add_f64_e32 v[8:9], v[10:11], v[8:9]
	v_add_f64_e32 v[10:11], v[136:137], v[150:151]
	s_wait_loadcnt_dscnt 0x0
	v_mul_f64_e32 v[14:15], v[4:5], v[134:135]
	v_mul_f64_e32 v[134:135], v[6:7], v[134:135]
	s_delay_alu instid0(VALU_DEP_4) | instskip(NEXT) | instid1(VALU_DEP_4)
	v_add_f64_e32 v[8:9], v[8:9], v[12:13]
	v_add_f64_e32 v[10:11], v[10:11], v[148:149]
	s_delay_alu instid0(VALU_DEP_4) | instskip(NEXT) | instid1(VALU_DEP_4)
	v_fmac_f64_e32 v[14:15], v[6:7], v[132:133]
	v_fma_f64 v[4:5], v[4:5], v[132:133], -v[134:135]
	s_delay_alu instid0(VALU_DEP_4) | instskip(NEXT) | instid1(VALU_DEP_4)
	v_add_f64_e32 v[6:7], v[8:9], v[128:129]
	v_add_f64_e32 v[8:9], v[10:11], v[138:139]
	s_delay_alu instid0(VALU_DEP_2) | instskip(NEXT) | instid1(VALU_DEP_2)
	v_add_f64_e32 v[4:5], v[6:7], v[4:5]
	v_add_f64_e32 v[6:7], v[8:9], v[14:15]
	s_delay_alu instid0(VALU_DEP_2) | instskip(NEXT) | instid1(VALU_DEP_2)
	v_add_f64_e64 v[4:5], v[164:165], -v[4:5]
	v_add_f64_e64 v[6:7], v[166:167], -v[6:7]
	scratch_store_b128 off, v[4:7], off offset:16
	s_wait_xcnt 0x0
	v_cmpx_ne_u32_e32 0, v1
	s_cbranch_execz .LBB54_343
; %bb.342:
	scratch_load_b128 v[6:9], off, off
	v_dual_mov_b32 v3, v2 :: v_dual_mov_b32 v4, v2
	v_mov_b32_e32 v5, v2
	scratch_store_b128 off, v[2:5], off
	s_wait_loadcnt 0x0
	ds_store_b128 v126, v[6:9]
.LBB54_343:
	s_wait_xcnt 0x0
	s_or_b32 exec_lo, exec_lo, s2
	s_wait_storecnt_dscnt 0x0
	s_barrier_signal -1
	s_barrier_wait -1
	s_clause 0x9
	scratch_load_b128 v[4:7], off, off offset:16
	scratch_load_b128 v[8:11], off, off offset:32
	;; [unrolled: 1-line block ×10, first 2 shown]
	ds_load_b128 v[154:157], v2 offset:896
	ds_load_b128 v[162:165], v2 offset:912
	s_clause 0x2
	scratch_load_b128 v[158:161], off, off offset:176
	scratch_load_b128 v[166:169], off, off
	scratch_load_b128 v[170:173], off, off offset:192
	s_and_b32 vcc_lo, exec_lo, s67
	s_wait_loadcnt_dscnt 0xc01
	v_mul_f64_e32 v[174:175], v[156:157], v[6:7]
	v_mul_f64_e32 v[178:179], v[154:155], v[6:7]
	s_wait_loadcnt_dscnt 0xb00
	v_mul_f64_e32 v[180:181], v[162:163], v[10:11]
	v_mul_f64_e32 v[10:11], v[164:165], v[10:11]
	s_delay_alu instid0(VALU_DEP_4) | instskip(NEXT) | instid1(VALU_DEP_4)
	v_fma_f64 v[182:183], v[154:155], v[4:5], -v[174:175]
	v_fmac_f64_e32 v[178:179], v[156:157], v[4:5]
	ds_load_b128 v[4:7], v2 offset:928
	ds_load_b128 v[154:157], v2 offset:944
	scratch_load_b128 v[174:177], off, off offset:208
	v_fmac_f64_e32 v[180:181], v[164:165], v[8:9]
	v_fma_f64 v[162:163], v[162:163], v[8:9], -v[10:11]
	scratch_load_b128 v[8:11], off, off offset:224
	s_wait_loadcnt_dscnt 0xc01
	v_mul_f64_e32 v[184:185], v[4:5], v[14:15]
	v_mul_f64_e32 v[14:15], v[6:7], v[14:15]
	v_add_f64_e32 v[164:165], 0, v[182:183]
	v_add_f64_e32 v[178:179], 0, v[178:179]
	s_wait_loadcnt_dscnt 0xb00
	v_mul_f64_e32 v[182:183], v[154:155], v[128:129]
	v_mul_f64_e32 v[128:129], v[156:157], v[128:129]
	v_fmac_f64_e32 v[184:185], v[6:7], v[12:13]
	v_fma_f64 v[186:187], v[4:5], v[12:13], -v[14:15]
	ds_load_b128 v[4:7], v2 offset:960
	ds_load_b128 v[12:15], v2 offset:976
	v_add_f64_e32 v[188:189], v[164:165], v[162:163]
	v_add_f64_e32 v[178:179], v[178:179], v[180:181]
	scratch_load_b128 v[162:165], off, off offset:240
	v_fmac_f64_e32 v[182:183], v[156:157], v[126:127]
	v_fma_f64 v[154:155], v[154:155], v[126:127], -v[128:129]
	scratch_load_b128 v[126:129], off, off offset:256
	s_wait_loadcnt_dscnt 0xc01
	v_mul_f64_e32 v[180:181], v[4:5], v[132:133]
	v_mul_f64_e32 v[132:133], v[6:7], v[132:133]
	v_add_f64_e32 v[156:157], v[188:189], v[186:187]
	v_add_f64_e32 v[178:179], v[178:179], v[184:185]
	s_wait_loadcnt_dscnt 0xb00
	v_mul_f64_e32 v[184:185], v[12:13], v[136:137]
	v_mul_f64_e32 v[136:137], v[14:15], v[136:137]
	v_fmac_f64_e32 v[180:181], v[6:7], v[130:131]
	v_fma_f64 v[186:187], v[4:5], v[130:131], -v[132:133]
	ds_load_b128 v[4:7], v2 offset:992
	ds_load_b128 v[130:133], v2 offset:1008
	v_add_f64_e32 v[188:189], v[156:157], v[154:155]
	v_add_f64_e32 v[178:179], v[178:179], v[182:183]
	scratch_load_b128 v[154:157], off, off offset:272
	s_wait_loadcnt_dscnt 0xb01
	v_mul_f64_e32 v[182:183], v[4:5], v[140:141]
	v_mul_f64_e32 v[140:141], v[6:7], v[140:141]
	v_fmac_f64_e32 v[184:185], v[14:15], v[134:135]
	v_fma_f64 v[134:135], v[12:13], v[134:135], -v[136:137]
	scratch_load_b128 v[12:15], off, off offset:288
	v_add_f64_e32 v[136:137], v[188:189], v[186:187]
	v_add_f64_e32 v[178:179], v[178:179], v[180:181]
	s_wait_loadcnt_dscnt 0xb00
	v_mul_f64_e32 v[180:181], v[130:131], v[144:145]
	v_mul_f64_e32 v[144:145], v[132:133], v[144:145]
	v_fmac_f64_e32 v[182:183], v[6:7], v[138:139]
	v_fma_f64 v[186:187], v[4:5], v[138:139], -v[140:141]
	v_add_f64_e32 v[188:189], v[136:137], v[134:135]
	v_add_f64_e32 v[178:179], v[178:179], v[184:185]
	ds_load_b128 v[4:7], v2 offset:1024
	ds_load_b128 v[134:137], v2 offset:1040
	scratch_load_b128 v[138:141], off, off offset:304
	v_fmac_f64_e32 v[180:181], v[132:133], v[142:143]
	v_fma_f64 v[142:143], v[130:131], v[142:143], -v[144:145]
	scratch_load_b128 v[130:133], off, off offset:320
	s_wait_loadcnt_dscnt 0xc01
	v_mul_f64_e32 v[184:185], v[4:5], v[148:149]
	v_mul_f64_e32 v[148:149], v[6:7], v[148:149]
	v_add_f64_e32 v[144:145], v[188:189], v[186:187]
	v_add_f64_e32 v[178:179], v[178:179], v[182:183]
	s_wait_loadcnt_dscnt 0xb00
	v_mul_f64_e32 v[182:183], v[134:135], v[152:153]
	v_mul_f64_e32 v[152:153], v[136:137], v[152:153]
	v_fmac_f64_e32 v[184:185], v[6:7], v[146:147]
	v_fma_f64 v[186:187], v[4:5], v[146:147], -v[148:149]
	v_add_f64_e32 v[188:189], v[144:145], v[142:143]
	v_add_f64_e32 v[178:179], v[178:179], v[180:181]
	ds_load_b128 v[4:7], v2 offset:1056
	ds_load_b128 v[142:145], v2 offset:1072
	scratch_load_b128 v[146:149], off, off offset:336
	v_fmac_f64_e32 v[182:183], v[136:137], v[150:151]
	v_fma_f64 v[150:151], v[134:135], v[150:151], -v[152:153]
	scratch_load_b128 v[134:137], off, off offset:352
	s_wait_loadcnt_dscnt 0xc01
	v_mul_f64_e32 v[180:181], v[4:5], v[160:161]
	v_mul_f64_e32 v[160:161], v[6:7], v[160:161]
	;; [unrolled: 18-line block ×5, first 2 shown]
	v_add_f64_e32 v[172:173], v[188:189], v[186:187]
	v_add_f64_e32 v[178:179], v[178:179], v[184:185]
	s_wait_loadcnt_dscnt 0xa00
	v_mul_f64_e32 v[184:185], v[150:151], v[14:15]
	v_mul_f64_e32 v[14:15], v[152:153], v[14:15]
	v_fmac_f64_e32 v[180:181], v[6:7], v[154:155]
	v_fma_f64 v[186:187], v[4:5], v[154:155], -v[156:157]
	ds_load_b128 v[4:7], v2 offset:1184
	ds_load_b128 v[154:157], v2 offset:1200
	v_add_f64_e32 v[188:189], v[172:173], v[170:171]
	v_add_f64_e32 v[178:179], v[178:179], v[182:183]
	scratch_load_b128 v[170:173], off, off offset:464
	v_fmac_f64_e32 v[184:185], v[152:153], v[12:13]
	v_fma_f64 v[150:151], v[150:151], v[12:13], -v[14:15]
	scratch_load_b128 v[12:15], off, off offset:480
	s_wait_loadcnt_dscnt 0xb01
	v_mul_f64_e32 v[182:183], v[4:5], v[140:141]
	v_mul_f64_e32 v[140:141], v[6:7], v[140:141]
	v_add_f64_e32 v[152:153], v[188:189], v[186:187]
	v_add_f64_e32 v[178:179], v[178:179], v[180:181]
	s_wait_loadcnt_dscnt 0xa00
	v_mul_f64_e32 v[180:181], v[154:155], v[132:133]
	v_mul_f64_e32 v[132:133], v[156:157], v[132:133]
	v_fmac_f64_e32 v[182:183], v[6:7], v[138:139]
	v_fma_f64 v[186:187], v[4:5], v[138:139], -v[140:141]
	ds_load_b128 v[4:7], v2 offset:1216
	ds_load_b128 v[138:141], v2 offset:1232
	v_add_f64_e32 v[188:189], v[152:153], v[150:151]
	v_add_f64_e32 v[178:179], v[178:179], v[184:185]
	scratch_load_b128 v[150:153], off, off offset:496
	s_wait_loadcnt_dscnt 0xa01
	v_mul_f64_e32 v[184:185], v[4:5], v[148:149]
	v_mul_f64_e32 v[148:149], v[6:7], v[148:149]
	v_fmac_f64_e32 v[180:181], v[156:157], v[130:131]
	v_fma_f64 v[154:155], v[154:155], v[130:131], -v[132:133]
	scratch_load_b128 v[130:133], off, off offset:512
	v_add_f64_e32 v[156:157], v[188:189], v[186:187]
	v_add_f64_e32 v[178:179], v[178:179], v[182:183]
	s_wait_loadcnt_dscnt 0xa00
	v_mul_f64_e32 v[182:183], v[138:139], v[136:137]
	v_mul_f64_e32 v[136:137], v[140:141], v[136:137]
	v_fmac_f64_e32 v[184:185], v[6:7], v[146:147]
	v_fma_f64 v[186:187], v[4:5], v[146:147], -v[148:149]
	ds_load_b128 v[4:7], v2 offset:1248
	ds_load_b128 v[146:149], v2 offset:1264
	v_add_f64_e32 v[188:189], v[156:157], v[154:155]
	v_add_f64_e32 v[178:179], v[178:179], v[180:181]
	scratch_load_b128 v[154:157], off, off offset:528
	s_wait_loadcnt_dscnt 0xa01
	v_mul_f64_e32 v[180:181], v[4:5], v[160:161]
	v_mul_f64_e32 v[160:161], v[6:7], v[160:161]
	v_fmac_f64_e32 v[182:183], v[140:141], v[134:135]
	v_fma_f64 v[138:139], v[138:139], v[134:135], -v[136:137]
	scratch_load_b128 v[134:137], off, off offset:544
	v_add_f64_e32 v[140:141], v[188:189], v[186:187]
	v_add_f64_e32 v[178:179], v[178:179], v[184:185]
	s_wait_loadcnt_dscnt 0xa00
	v_mul_f64_e32 v[184:185], v[146:147], v[144:145]
	v_mul_f64_e32 v[144:145], v[148:149], v[144:145]
	v_fmac_f64_e32 v[180:181], v[6:7], v[158:159]
	v_fma_f64 v[186:187], v[4:5], v[158:159], -v[160:161]
	v_add_f64_e32 v[188:189], v[140:141], v[138:139]
	v_add_f64_e32 v[178:179], v[178:179], v[182:183]
	ds_load_b128 v[4:7], v2 offset:1280
	ds_load_b128 v[138:141], v2 offset:1296
	scratch_load_b128 v[158:161], off, off offset:560
	v_fmac_f64_e32 v[184:185], v[148:149], v[142:143]
	v_fma_f64 v[146:147], v[146:147], v[142:143], -v[144:145]
	scratch_load_b128 v[142:145], off, off offset:576
	s_wait_loadcnt_dscnt 0xb01
	v_mul_f64_e32 v[182:183], v[4:5], v[176:177]
	v_mul_f64_e32 v[176:177], v[6:7], v[176:177]
	v_add_f64_e32 v[148:149], v[188:189], v[186:187]
	v_add_f64_e32 v[178:179], v[178:179], v[180:181]
	s_wait_loadcnt_dscnt 0xa00
	v_mul_f64_e32 v[180:181], v[138:139], v[10:11]
	v_mul_f64_e32 v[10:11], v[140:141], v[10:11]
	v_fmac_f64_e32 v[182:183], v[6:7], v[174:175]
	v_fma_f64 v[186:187], v[4:5], v[174:175], -v[176:177]
	v_add_f64_e32 v[188:189], v[148:149], v[146:147]
	v_add_f64_e32 v[178:179], v[178:179], v[184:185]
	ds_load_b128 v[4:7], v2 offset:1312
	ds_load_b128 v[146:149], v2 offset:1328
	scratch_load_b128 v[174:177], off, off offset:592
	v_fmac_f64_e32 v[180:181], v[140:141], v[8:9]
	v_fma_f64 v[138:139], v[138:139], v[8:9], -v[10:11]
	scratch_load_b128 v[8:11], off, off offset:608
	s_wait_loadcnt_dscnt 0xb01
	v_mul_f64_e32 v[184:185], v[4:5], v[164:165]
	v_mul_f64_e32 v[164:165], v[6:7], v[164:165]
	;; [unrolled: 18-line block ×10, first 2 shown]
	v_add_f64_e32 v[140:141], v[188:189], v[186:187]
	v_add_f64_e32 v[178:179], v[178:179], v[180:181]
	s_wait_loadcnt_dscnt 0xa00
	v_mul_f64_e32 v[180:181], v[146:147], v[132:133]
	v_mul_f64_e32 v[132:133], v[148:149], v[132:133]
	v_fmac_f64_e32 v[182:183], v[6:7], v[150:151]
	v_fma_f64 v[150:151], v[4:5], v[150:151], -v[152:153]
	v_add_f64_e32 v[152:153], v[140:141], v[138:139]
	v_add_f64_e32 v[178:179], v[178:179], v[184:185]
	ds_load_b128 v[4:7], v2 offset:1600
	ds_load_b128 v[138:141], v2 offset:1616
	v_fmac_f64_e32 v[180:181], v[148:149], v[130:131]
	v_fma_f64 v[130:131], v[146:147], v[130:131], -v[132:133]
	s_wait_loadcnt_dscnt 0x901
	v_mul_f64_e32 v[184:185], v[4:5], v[156:157]
	v_mul_f64_e32 v[156:157], v[6:7], v[156:157]
	s_wait_loadcnt_dscnt 0x800
	v_mul_f64_e32 v[148:149], v[138:139], v[136:137]
	v_mul_f64_e32 v[136:137], v[140:141], v[136:137]
	v_add_f64_e32 v[132:133], v[152:153], v[150:151]
	v_add_f64_e32 v[146:147], v[178:179], v[182:183]
	v_fmac_f64_e32 v[184:185], v[6:7], v[154:155]
	v_fma_f64 v[150:151], v[4:5], v[154:155], -v[156:157]
	v_fmac_f64_e32 v[148:149], v[140:141], v[134:135]
	v_fma_f64 v[134:135], v[138:139], v[134:135], -v[136:137]
	v_add_f64_e32 v[152:153], v[132:133], v[130:131]
	v_add_f64_e32 v[146:147], v[146:147], v[180:181]
	ds_load_b128 v[4:7], v2 offset:1632
	ds_load_b128 v[130:133], v2 offset:1648
	s_wait_loadcnt_dscnt 0x701
	v_mul_f64_e32 v[154:155], v[4:5], v[160:161]
	v_mul_f64_e32 v[156:157], v[6:7], v[160:161]
	s_wait_loadcnt_dscnt 0x600
	v_mul_f64_e32 v[140:141], v[130:131], v[144:145]
	v_mul_f64_e32 v[144:145], v[132:133], v[144:145]
	v_add_f64_e32 v[136:137], v[152:153], v[150:151]
	v_add_f64_e32 v[138:139], v[146:147], v[184:185]
	v_fmac_f64_e32 v[154:155], v[6:7], v[158:159]
	v_fma_f64 v[146:147], v[4:5], v[158:159], -v[156:157]
	v_fmac_f64_e32 v[140:141], v[132:133], v[142:143]
	v_fma_f64 v[130:131], v[130:131], v[142:143], -v[144:145]
	v_add_f64_e32 v[150:151], v[136:137], v[134:135]
	v_add_f64_e32 v[138:139], v[138:139], v[148:149]
	ds_load_b128 v[4:7], v2 offset:1664
	ds_load_b128 v[134:137], v2 offset:1680
	;; [unrolled: 16-line block ×4, first 2 shown]
	s_wait_loadcnt_dscnt 0x101
	v_mul_f64_e32 v[2:3], v[4:5], v[172:173]
	v_mul_f64_e32 v[142:143], v[6:7], v[172:173]
	s_wait_loadcnt_dscnt 0x0
	v_mul_f64_e32 v[132:133], v[8:9], v[14:15]
	v_mul_f64_e32 v[14:15], v[10:11], v[14:15]
	v_add_f64_e32 v[128:129], v[144:145], v[138:139]
	v_add_f64_e32 v[130:131], v[134:135], v[140:141]
	v_lshl_add_u64 v[144:145], v[20:21], 4, s[4:5]
	v_lshl_add_u64 v[140:141], v[24:25], 4, s[4:5]
	;; [unrolled: 1-line block ×14, first 2 shown]
	v_fmac_f64_e32 v[2:3], v[6:7], v[170:171]
	v_fma_f64 v[4:5], v[4:5], v[170:171], -v[142:143]
	v_fmac_f64_e32 v[132:133], v[10:11], v[12:13]
	v_fma_f64 v[8:9], v[8:9], v[12:13], -v[14:15]
	v_lshl_add_u64 v[142:143], v[22:23], 4, s[4:5]
	v_lshl_add_u64 v[10:11], v[50:51], 4, s[4:5]
	;; [unrolled: 1-line block ×7, first 2 shown]
	v_add_f64_e32 v[6:7], v[128:129], v[126:127]
	v_add_f64_e32 v[126:127], v[130:131], v[136:137]
	v_lshl_add_u64 v[136:137], v[26:27], 4, s[4:5]
	v_lshl_add_u64 v[128:129], v[34:35], 4, s[4:5]
	;; [unrolled: 1-line block ×14, first 2 shown]
	v_add_f64_e32 v[4:5], v[6:7], v[4:5]
	v_add_f64_e32 v[2:3], v[126:127], v[2:3]
	v_lshl_add_u64 v[126:127], v[38:39], 4, s[4:5]
	v_lshl_add_u64 v[6:7], v[46:47], 4, s[4:5]
	;; [unrolled: 1-line block ×6, first 2 shown]
	v_add_f64_e32 v[146:147], v[4:5], v[8:9]
	v_add_f64_e32 v[148:149], v[2:3], v[132:133]
	v_lshl_add_u64 v[132:133], v[32:33], 4, s[4:5]
	v_lshl_add_u64 v[2:3], v[42:43], 4, s[4:5]
	v_lshl_add_u64 v[4:5], v[44:45], 4, s[4:5]
	v_lshl_add_u64 v[8:9], v[48:49], 4, s[4:5]
	v_lshl_add_u64 v[32:33], v[64:65], 4, s[4:5]
	v_lshl_add_u64 v[42:43], v[76:77], 4, s[4:5]
	v_lshl_add_u64 v[44:45], v[78:79], 4, s[4:5]
	v_lshl_add_u64 v[48:49], v[82:83], 4, s[4:5]
	v_lshl_add_u64 v[64:65], v[98:99], 4, s[4:5]
	v_lshl_add_u64 v[76:77], v[110:111], 4, s[4:5]
	v_lshl_add_u64 v[78:79], v[112:113], 4, s[4:5]
	v_lshl_add_u64 v[82:83], v[116:117], 4, s[4:5]
	v_add_f64_e64 v[146:147], v[166:167], -v[146:147]
	v_add_f64_e64 v[148:149], v[168:169], -v[148:149]
	scratch_store_b128 off, v[146:149], off
	s_cbranch_vccz .LBB54_452
; %bb.344:
	v_mov_b32_e32 v92, 0
	s_load_b64 s[2:3], s[0:1], 0x4
	v_bfe_u32 v94, v0, 10, 10
	v_bfe_u32 v0, v0, 20, 10
	global_load_b32 v93, v92, s[16:17] offset:212
	s_wait_kmcnt 0x0
	s_lshr_b32 s0, s2, 16
	v_mul_u32_u24_e32 v94, s3, v94
	s_mul_i32 s0, s0, s3
	s_delay_alu instid0(SALU_CYCLE_1) | instskip(NEXT) | instid1(VALU_DEP_1)
	v_mul_u32_u24_e32 v1, s0, v1
	v_add3_u32 v0, v1, v94, v0
	s_delay_alu instid0(VALU_DEP_1)
	v_lshl_add_u32 v0, v0, 4, 0x6e8
	s_wait_loadcnt 0x0
	v_cmp_ne_u32_e32 vcc_lo, 54, v93
	s_cbranch_vccz .LBB54_346
; %bb.345:
	v_lshlrev_b32_e32 v1, 4, v93
	s_clause 0x1
	scratch_load_b128 v[94:97], off, s23
	scratch_load_b128 v[98:101], v1, off offset:-16
	s_wait_loadcnt 0x1
	ds_store_2addr_b64 v0, v[94:95], v[96:97] offset1:1
	s_wait_loadcnt 0x0
	s_clause 0x1
	scratch_store_b128 off, v[98:101], s23
	scratch_store_b128 v1, v[94:97], off offset:-16
.LBB54_346:
	global_load_b32 v1, v92, s[16:17] offset:208
	s_wait_loadcnt 0x0
	v_cmp_eq_u32_e32 vcc_lo, 53, v1
	s_cbranch_vccnz .LBB54_348
; %bb.347:
	v_lshlrev_b32_e32 v1, 4, v1
	s_clause 0x1
	scratch_load_b128 v[92:95], off, s31
	scratch_load_b128 v[96:99], v1, off offset:-16
	s_wait_loadcnt 0x1
	ds_store_2addr_b64 v0, v[92:93], v[94:95] offset1:1
	s_wait_loadcnt 0x0
	s_clause 0x1
	scratch_store_b128 off, v[96:99], s31
	scratch_store_b128 v1, v[92:95], off offset:-16
.LBB54_348:
	s_wait_xcnt 0x0
	v_mov_b32_e32 v1, 0
	global_load_b32 v92, v1, s[16:17] offset:204
	s_wait_loadcnt 0x0
	v_cmp_eq_u32_e32 vcc_lo, 52, v92
	s_cbranch_vccnz .LBB54_350
; %bb.349:
	v_lshlrev_b32_e32 v92, 4, v92
	s_delay_alu instid0(VALU_DEP_1)
	v_mov_b32_e32 v100, v92
	s_clause 0x1
	scratch_load_b128 v[92:95], off, s8
	scratch_load_b128 v[96:99], v100, off offset:-16
	s_wait_loadcnt 0x1
	ds_store_2addr_b64 v0, v[92:93], v[94:95] offset1:1
	s_wait_loadcnt 0x0
	s_clause 0x1
	scratch_store_b128 off, v[96:99], s8
	scratch_store_b128 v100, v[92:95], off offset:-16
.LBB54_350:
	global_load_b32 v1, v1, s[16:17] offset:200
	s_wait_loadcnt 0x0
	v_cmp_eq_u32_e32 vcc_lo, 51, v1
	s_cbranch_vccnz .LBB54_352
; %bb.351:
	s_wait_xcnt 0x0
	v_lshlrev_b32_e32 v1, 4, v1
	s_clause 0x1
	scratch_load_b128 v[92:95], off, s10
	scratch_load_b128 v[96:99], v1, off offset:-16
	s_wait_loadcnt 0x1
	ds_store_2addr_b64 v0, v[92:93], v[94:95] offset1:1
	s_wait_loadcnt 0x0
	s_clause 0x1
	scratch_store_b128 off, v[96:99], s10
	scratch_store_b128 v1, v[92:95], off offset:-16
.LBB54_352:
	s_wait_xcnt 0x0
	v_mov_b32_e32 v1, 0
	global_load_b32 v92, v1, s[16:17] offset:196
	s_wait_loadcnt 0x0
	v_cmp_eq_u32_e32 vcc_lo, 50, v92
	s_cbranch_vccnz .LBB54_354
; %bb.353:
	v_lshlrev_b32_e32 v92, 4, v92
	s_delay_alu instid0(VALU_DEP_1)
	v_mov_b32_e32 v100, v92
	s_clause 0x1
	scratch_load_b128 v[92:95], off, s9
	scratch_load_b128 v[96:99], v100, off offset:-16
	s_wait_loadcnt 0x1
	ds_store_2addr_b64 v0, v[92:93], v[94:95] offset1:1
	s_wait_loadcnt 0x0
	s_clause 0x1
	scratch_store_b128 off, v[96:99], s9
	scratch_store_b128 v100, v[92:95], off offset:-16
.LBB54_354:
	global_load_b32 v1, v1, s[16:17] offset:192
	s_wait_loadcnt 0x0
	v_cmp_eq_u32_e32 vcc_lo, 49, v1
	s_cbranch_vccnz .LBB54_356
; %bb.355:
	s_wait_xcnt 0x0
	v_lshlrev_b32_e32 v1, 4, v1
	s_clause 0x1
	scratch_load_b128 v[92:95], off, s12
	scratch_load_b128 v[96:99], v1, off offset:-16
	s_wait_loadcnt 0x1
	ds_store_2addr_b64 v0, v[92:93], v[94:95] offset1:1
	s_wait_loadcnt 0x0
	s_clause 0x1
	scratch_store_b128 off, v[96:99], s12
	scratch_store_b128 v1, v[92:95], off offset:-16
.LBB54_356:
	;; [unrolled: 37-line block ×25, first 2 shown]
	s_wait_xcnt 0x0
	v_mov_b32_e32 v1, 0
	global_load_b32 v92, v1, s[16:17] offset:4
	s_wait_loadcnt 0x0
	v_cmp_eq_u32_e32 vcc_lo, 2, v92
	s_cbranch_vccnz .LBB54_450
; %bb.449:
	v_lshlrev_b32_e32 v92, 4, v92
	s_delay_alu instid0(VALU_DEP_1)
	v_mov_b32_e32 v100, v92
	s_clause 0x1
	scratch_load_b128 v[92:95], off, s52
	scratch_load_b128 v[96:99], v100, off offset:-16
	s_wait_loadcnt 0x1
	ds_store_2addr_b64 v0, v[92:93], v[94:95] offset1:1
	s_wait_loadcnt 0x0
	s_clause 0x1
	scratch_store_b128 off, v[96:99], s52
	scratch_store_b128 v100, v[92:95], off offset:-16
.LBB54_450:
	global_load_b32 v1, v1, s[16:17]
	s_wait_loadcnt 0x0
	v_cmp_eq_u32_e32 vcc_lo, 1, v1
	s_cbranch_vccnz .LBB54_452
; %bb.451:
	s_wait_xcnt 0x0
	v_lshlrev_b32_e32 v1, 4, v1
	scratch_load_b128 v[92:95], off, off
	scratch_load_b128 v[96:99], v1, off offset:-16
	s_wait_loadcnt 0x1
	ds_store_2addr_b64 v0, v[92:93], v[94:95] offset1:1
	s_wait_loadcnt 0x0
	scratch_store_b128 off, v[96:99], off
	scratch_store_b128 v1, v[92:95], off offset:-16
.LBB54_452:
	scratch_load_b128 v[92:95], off, off
	s_clause 0x21
	scratch_load_b128 v[96:99], off, s52
	scratch_load_b128 v[100:103], off, s51
	;; [unrolled: 1-line block ×18, first 2 shown]
	; meta instruction
	; meta instruction
	; meta instruction
	; meta instruction
	; meta instruction
	; meta instruction
	; meta instruction
	; meta instruction
	; meta instruction
	; meta instruction
	; meta instruction
	; meta instruction
	; meta instruction
	; meta instruction
	; meta instruction
	scratch_load_b128 v[190:193], off, s36
	scratch_load_b128 v[194:197], off, s40
	;; [unrolled: 1-line block ×15, first 2 shown]
	; meta instruction
	; meta instruction
	;; [unrolled: 1-line block ×15, first 2 shown]
	scratch_load_b128 v[250:253], off, s42
	s_wait_loadcnt 0x22
	global_store_b128 v[16:17], v[92:95], off
	s_clause 0x1
	scratch_load_b128 v[92:95], off, s34
	scratch_load_b128 v[254:257], off, s37
	s_wait_loadcnt 0x23
	global_store_b128 v[18:19], v[96:99], off
	s_wait_loadcnt 0x22
	global_store_b128 v[144:145], v[100:103], off
	s_clause 0x1
	scratch_load_b128 v[16:19], off, s28
	scratch_load_b128 v[96:99], off, s29
	s_wait_loadcnt 0x23
	global_store_b128 v[142:143], v[104:107], off
	s_clause 0x1
	scratch_load_b128 v[100:103], off, s24
	scratch_load_b128 v[104:107], off, s25
	;; [unrolled: 5-line block ×3, first 2 shown]
	s_wait_loadcnt 0x25
	global_store_b128 v[136:137], v[112:115], off
	s_wait_loadcnt 0x24
	global_store_b128 v[138:139], v[116:119], off
	s_clause 0x1
	scratch_load_b128 v[112:115], off, s15
	scratch_load_b128 v[116:119], off, s20
	s_wait_loadcnt 0x25
	global_store_b128 v[134:135], v[120:123], off
	s_clause 0x1
	scratch_load_b128 v[120:123], off, s13
	scratch_load_b128 v[134:137], off, s14
	s_wait_loadcnt 0x26
	global_store_b128 v[132:133], v[146:149], off
	s_clause 0x2
	scratch_load_b128 v[144:147], off, s11
	s_set_vgpr_msb 64                       ;  msbs: dst=1 src0=0 src1=0 src2=0
	scratch_load_b128 v[2:5] /*v[258:261]*/, off, s12
	s_wait_loadcnt 0x27
	global_store_b128 v[128:129], v[150:153], off
	s_wait_loadcnt 0x26
	global_store_b128 v[130:131], v[154:157], off
	s_set_vgpr_msb 0                        ;  msbs: dst=0 src0=0 src1=0 src2=0
	s_clause 0x1
	scratch_load_b128 v[128:131], off, s9
	scratch_load_b128 v[148:151], off, s10
	s_wait_loadcnt 0x27
	global_store_b128 v[126:127], v[158:161], off
	s_clause 0x1
	scratch_load_b128 v[124:127], off, s8
	scratch_load_b128 v[152:155], off, s31
	s_wait_loadcnt 0x28
	global_store_b128 v[30:31], v[162:165], off
	;; [unrolled: 5-line block ×3, first 2 shown]
	s_wait_loadcnt 0x28
	global_store_b128 v[4:5], v[170:173], off
	s_wait_loadcnt 0x27
	global_store_b128 v[6:7], v[174:177], off
	;; [unrolled: 2-line block ×34, first 2 shown]
	s_wait_loadcnt 0x6
	s_set_vgpr_msb 4                        ;  msbs: dst=0 src0=0 src1=1 src2=0
	global_store_b128 v[78:79], v[2:5] /*v[258:261]*/, off
	s_wait_loadcnt 0x5
	s_set_vgpr_msb 0                        ;  msbs: dst=0 src0=0 src1=0 src2=0
	global_store_b128 v[80:81], v[128:131], off
	s_wait_loadcnt 0x4
	global_store_b128 v[82:83], v[148:151], off
	s_wait_loadcnt 0x3
	;; [unrolled: 2-line block ×5, first 2 shown]
	global_store_b128 v[90:91], v[160:163], off
	s_sendmsg sendmsg(MSG_DEALLOC_VGPRS)
	s_endpgm
	.section	.rodata,"a",@progbits
	.p2align	6, 0x0
	.amdhsa_kernel _ZN9rocsolver6v33100L18getri_kernel_smallILi55E19rocblas_complex_numIdEPS3_EEvT1_iilPiilS6_bb
		.amdhsa_group_segment_fixed_size 2792
		.amdhsa_private_segment_fixed_size 896
		.amdhsa_kernarg_size 60
		.amdhsa_user_sgpr_count 4
		.amdhsa_user_sgpr_dispatch_ptr 1
		.amdhsa_user_sgpr_queue_ptr 0
		.amdhsa_user_sgpr_kernarg_segment_ptr 1
		.amdhsa_user_sgpr_dispatch_id 0
		.amdhsa_user_sgpr_kernarg_preload_length 0
		.amdhsa_user_sgpr_kernarg_preload_offset 0
		.amdhsa_user_sgpr_private_segment_size 0
		.amdhsa_wavefront_size32 1
		.amdhsa_uses_dynamic_stack 0
		.amdhsa_enable_private_segment 1
		.amdhsa_system_sgpr_workgroup_id_x 1
		.amdhsa_system_sgpr_workgroup_id_y 0
		.amdhsa_system_sgpr_workgroup_id_z 0
		.amdhsa_system_sgpr_workgroup_info 0
		.amdhsa_system_vgpr_workitem_id 2
		.amdhsa_next_free_vgpr 262
		.amdhsa_next_free_sgpr 90
		.amdhsa_named_barrier_count 0
		.amdhsa_reserve_vcc 1
		.amdhsa_float_round_mode_32 0
		.amdhsa_float_round_mode_16_64 0
		.amdhsa_float_denorm_mode_32 3
		.amdhsa_float_denorm_mode_16_64 3
		.amdhsa_fp16_overflow 0
		.amdhsa_memory_ordered 1
		.amdhsa_forward_progress 1
		.amdhsa_inst_pref_size 255
		.amdhsa_round_robin_scheduling 0
		.amdhsa_exception_fp_ieee_invalid_op 0
		.amdhsa_exception_fp_denorm_src 0
		.amdhsa_exception_fp_ieee_div_zero 0
		.amdhsa_exception_fp_ieee_overflow 0
		.amdhsa_exception_fp_ieee_underflow 0
		.amdhsa_exception_fp_ieee_inexact 0
		.amdhsa_exception_int_div_zero 0
	.end_amdhsa_kernel
	.section	.text._ZN9rocsolver6v33100L18getri_kernel_smallILi55E19rocblas_complex_numIdEPS3_EEvT1_iilPiilS6_bb,"axG",@progbits,_ZN9rocsolver6v33100L18getri_kernel_smallILi55E19rocblas_complex_numIdEPS3_EEvT1_iilPiilS6_bb,comdat
.Lfunc_end54:
	.size	_ZN9rocsolver6v33100L18getri_kernel_smallILi55E19rocblas_complex_numIdEPS3_EEvT1_iilPiilS6_bb, .Lfunc_end54-_ZN9rocsolver6v33100L18getri_kernel_smallILi55E19rocblas_complex_numIdEPS3_EEvT1_iilPiilS6_bb
                                        ; -- End function
	.set _ZN9rocsolver6v33100L18getri_kernel_smallILi55E19rocblas_complex_numIdEPS3_EEvT1_iilPiilS6_bb.num_vgpr, 262
	.set _ZN9rocsolver6v33100L18getri_kernel_smallILi55E19rocblas_complex_numIdEPS3_EEvT1_iilPiilS6_bb.num_agpr, 0
	.set _ZN9rocsolver6v33100L18getri_kernel_smallILi55E19rocblas_complex_numIdEPS3_EEvT1_iilPiilS6_bb.numbered_sgpr, 90
	.set _ZN9rocsolver6v33100L18getri_kernel_smallILi55E19rocblas_complex_numIdEPS3_EEvT1_iilPiilS6_bb.num_named_barrier, 0
	.set _ZN9rocsolver6v33100L18getri_kernel_smallILi55E19rocblas_complex_numIdEPS3_EEvT1_iilPiilS6_bb.private_seg_size, 896
	.set _ZN9rocsolver6v33100L18getri_kernel_smallILi55E19rocblas_complex_numIdEPS3_EEvT1_iilPiilS6_bb.uses_vcc, 1
	.set _ZN9rocsolver6v33100L18getri_kernel_smallILi55E19rocblas_complex_numIdEPS3_EEvT1_iilPiilS6_bb.uses_flat_scratch, 1
	.set _ZN9rocsolver6v33100L18getri_kernel_smallILi55E19rocblas_complex_numIdEPS3_EEvT1_iilPiilS6_bb.has_dyn_sized_stack, 0
	.set _ZN9rocsolver6v33100L18getri_kernel_smallILi55E19rocblas_complex_numIdEPS3_EEvT1_iilPiilS6_bb.has_recursion, 0
	.set _ZN9rocsolver6v33100L18getri_kernel_smallILi55E19rocblas_complex_numIdEPS3_EEvT1_iilPiilS6_bb.has_indirect_call, 0
	.section	.AMDGPU.csdata,"",@progbits
; Kernel info:
; codeLenInByte = 111456
; TotalNumSgprs: 92
; NumVgprs: 262
; ScratchSize: 896
; MemoryBound: 0
; FloatMode: 240
; IeeeMode: 1
; LDSByteSize: 2792 bytes/workgroup (compile time only)
; SGPRBlocks: 0
; VGPRBlocks: 16
; NumSGPRsForWavesPerEU: 92
; NumVGPRsForWavesPerEU: 262
; NamedBarCnt: 0
; Occupancy: 3
; WaveLimiterHint : 1
; COMPUTE_PGM_RSRC2:SCRATCH_EN: 1
; COMPUTE_PGM_RSRC2:USER_SGPR: 4
; COMPUTE_PGM_RSRC2:TRAP_HANDLER: 0
; COMPUTE_PGM_RSRC2:TGID_X_EN: 1
; COMPUTE_PGM_RSRC2:TGID_Y_EN: 0
; COMPUTE_PGM_RSRC2:TGID_Z_EN: 0
; COMPUTE_PGM_RSRC2:TIDIG_COMP_CNT: 2
	.section	.text._ZN9rocsolver6v33100L18getri_kernel_smallILi56E19rocblas_complex_numIdEPS3_EEvT1_iilPiilS6_bb,"axG",@progbits,_ZN9rocsolver6v33100L18getri_kernel_smallILi56E19rocblas_complex_numIdEPS3_EEvT1_iilPiilS6_bb,comdat
	.globl	_ZN9rocsolver6v33100L18getri_kernel_smallILi56E19rocblas_complex_numIdEPS3_EEvT1_iilPiilS6_bb ; -- Begin function _ZN9rocsolver6v33100L18getri_kernel_smallILi56E19rocblas_complex_numIdEPS3_EEvT1_iilPiilS6_bb
	.p2align	8
	.type	_ZN9rocsolver6v33100L18getri_kernel_smallILi56E19rocblas_complex_numIdEPS3_EEvT1_iilPiilS6_bb,@function
_ZN9rocsolver6v33100L18getri_kernel_smallILi56E19rocblas_complex_numIdEPS3_EEvT1_iilPiilS6_bb: ; @_ZN9rocsolver6v33100L18getri_kernel_smallILi56E19rocblas_complex_numIdEPS3_EEvT1_iilPiilS6_bb
; %bb.0:
	v_and_b32_e32 v1, 0x3ff, v0
	s_mov_b32 s4, exec_lo
	s_delay_alu instid0(VALU_DEP_1)
	v_cmpx_gt_u32_e32 56, v1
	s_cbranch_execz .LBB55_238
; %bb.1:
	s_clause 0x2
	s_load_b32 s8, s[2:3], 0x38
	s_load_b128 s[12:15], s[2:3], 0x10
	s_load_b128 s[4:7], s[2:3], 0x28
	s_getreg_b32 s11, hwreg(HW_REG_IB_STS2, 6, 4)
                                        ; implicit-def: $sgpr16_sgpr17
	s_wait_kmcnt 0x0
	s_bitcmp1_b32 s8, 8
	s_cselect_b32 s68, -1, 0
	s_bfe_u32 s9, ttmp6, 0x4000c
	s_and_b32 s10, ttmp6, 15
	s_add_co_i32 s9, s9, 1
	s_delay_alu instid0(SALU_CYCLE_1) | instskip(NEXT) | instid1(SALU_CYCLE_1)
	s_mul_i32 s9, ttmp9, s9
	s_add_co_i32 s10, s10, s9
	s_cmp_eq_u32 s11, 0
	s_cselect_b32 s18, ttmp9, s10
	s_bfe_u32 s8, s8, 0x10008
	s_ashr_i32 s19, s18, 31
	s_cmp_eq_u32 s8, 0
	s_cbranch_scc1 .LBB55_3
; %bb.2:
	s_load_b32 s8, s[2:3], 0x20
	s_mul_u64 s[4:5], s[4:5], s[18:19]
	s_delay_alu instid0(SALU_CYCLE_1) | instskip(NEXT) | instid1(SALU_CYCLE_1)
	s_lshl_b64 s[4:5], s[4:5], 2
	s_add_nc_u64 s[4:5], s[14:15], s[4:5]
	s_wait_kmcnt 0x0
	s_ashr_i32 s9, s8, 31
	s_delay_alu instid0(SALU_CYCLE_1) | instskip(NEXT) | instid1(SALU_CYCLE_1)
	s_lshl_b64 s[8:9], s[8:9], 2
	s_add_nc_u64 s[16:17], s[4:5], s[8:9]
.LBB55_3:
	s_clause 0x1
	s_load_b128 s[8:11], s[2:3], 0x0
	s_load_b32 s69, s[2:3], 0x38
	s_wait_xcnt 0x0
	s_mul_u64 s[2:3], s[12:13], s[18:19]
	s_movk_i32 s26, 0x150
	s_lshl_b64 s[2:3], s[2:3], 4
	s_movk_i32 s27, 0x160
	s_movk_i32 s34, 0x1b0
	s_movk_i32 s48, 0x210
	s_movk_i32 s70, 0x220
	s_movk_i32 s71, 0x230
	s_movk_i32 s72, 0x240
	s_movk_i32 s73, 0x250
	s_movk_i32 s74, 0x260
	s_movk_i32 s75, 0x270
	s_movk_i32 s76, 0x280
	s_movk_i32 s77, 0x290
	s_movk_i32 s78, 0x2a0
	s_movk_i32 s79, 0x2b0
	s_movk_i32 s80, 0x2c0
	s_movk_i32 s81, 0x2d0
	s_wait_kmcnt 0x0
	v_add3_u32 v18, s11, s11, v1
	s_ashr_i32 s5, s10, 31
	s_mov_b32 s4, s10
	s_add_nc_u64 s[2:3], s[8:9], s[2:3]
	s_lshl_b64 s[4:5], s[4:5], 4
	v_add_nc_u32_e32 v20, s11, v18
	s_add_nc_u64 s[4:5], s[2:3], s[4:5]
	s_ashr_i32 s3, s11, 31
	s_mov_b32 s2, s11
	s_movk_i32 s82, 0x2e0
	v_add_nc_u32_e32 v22, s11, v20
	s_movk_i32 s83, 0x2f0
	s_movk_i32 s84, 0x300
	;; [unrolled: 1-line block ×4, first 2 shown]
	v_add_nc_u32_e32 v24, s11, v22
	s_movk_i32 s87, 0x330
	s_movk_i32 s88, 0x340
	;; [unrolled: 1-line block ×4, first 2 shown]
	v_add_nc_u32_e32 v26, s11, v24
	s_clause 0x1
	global_load_b128 v[2:5], v18, s[4:5] scale_offset
	global_load_b128 v[6:9], v20, s[4:5] scale_offset
	s_movk_i32 s91, 0x370
	s_mov_b32 s52, 16
	s_mov_b32 s51, 32
	v_add_nc_u32_e32 v28, s11, v26
	global_load_b128 v[10:13], v22, s[4:5] scale_offset
	s_mov_b32 s50, 48
	s_mov_b32 s49, 64
	s_movk_i32 s55, 0x50
	v_dual_add_nc_u32 v30, s11, v28 :: v_dual_lshlrev_b32 v126, 4, v1
	s_movk_i32 s57, 0x60
	s_movk_i32 s61, 0x70
	;; [unrolled: 1-line block ×3, first 2 shown]
	s_delay_alu instid0(VALU_DEP_1) | instskip(SKIP_3) | instid1(VALU_DEP_1)
	v_dual_mov_b32 v127, 0 :: v_dual_add_nc_u32 v32, s11, v30
	s_movk_i32 s54, 0x90
	s_movk_i32 s56, 0xa0
	;; [unrolled: 1-line block ×3, first 2 shown]
	v_add_nc_u32_e32 v34, s11, v32
	v_add_nc_u64_e32 v[14:15], s[4:5], v[126:127]
	s_movk_i32 s62, 0xc0
	s_movk_i32 s64, 0xd0
	;; [unrolled: 1-line block ×3, first 2 shown]
	v_add_nc_u32_e32 v36, s11, v34
	s_movk_i32 s58, 0xf0
	s_movk_i32 s60, 0x100
	v_lshl_add_u64 v[16:17], s[2:3], 4, v[14:15]
	s_movk_i32 s63, 0x110
	v_add_nc_u32_e32 v38, s11, v36
	s_clause 0x6
	global_load_b128 v[112:115], v1, s[4:5] scale_offset
	global_load_b128 v[116:119], v[16:17], off
	global_load_b128 v[120:123], v24, s[4:5] scale_offset
	global_load_b128 v[128:131], v26, s[4:5] scale_offset
	;; [unrolled: 1-line block ×5, first 2 shown]
	v_add_nc_u32_e32 v40, s11, v38
	s_movk_i32 s65, 0x120
	s_movk_i32 s67, 0x130
	;; [unrolled: 1-line block ×4, first 2 shown]
	v_add_nc_u32_e32 v42, s11, v40
	s_clause 0x1
	global_load_b128 v[144:147], v34, s[4:5] scale_offset
	global_load_b128 v[148:151], v36, s[4:5] scale_offset
	s_movk_i32 s37, 0x180
	s_movk_i32 s42, 0x190
	;; [unrolled: 1-line block ×3, first 2 shown]
	v_add_nc_u32_e32 v44, s11, v42
	s_movk_i32 s35, 0x1c0
	s_movk_i32 s40, 0x1d0
	;; [unrolled: 1-line block ×4, first 2 shown]
	v_add_nc_u32_e32 v46, s11, v44
	s_clause 0x2
	global_load_b128 v[152:155], v38, s[4:5] scale_offset
	global_load_b128 v[156:159], v40, s[4:5] scale_offset
	global_load_b128 v[160:163], v42, s[4:5] scale_offset
	s_movk_i32 s47, 0x200
	s_mov_b32 s23, s26
	s_clause 0x1
	global_load_b128 v[164:167], v44, s[4:5] scale_offset
	global_load_b128 v[168:171], v46, s[4:5] scale_offset
	v_add_nc_u32_e32 v48, s11, v46
	s_mov_b32 s25, s27
	s_mov_b32 s27, s34
	s_mov_b32 s31, s48
	s_mov_b32 s33, s70
	v_add_nc_u32_e32 v50, s11, v48
	s_mov_b32 s26, s71
	s_mov_b32 s28, s72
	s_mov_b32 s22, s73
	s_mov_b32 s24, s74
	v_add_nc_u32_e32 v52, s11, v50
	s_mov_b32 s20, s75
	s_mov_b32 s21, s76
	s_mov_b32 s14, s77
	s_mov_b32 s15, s78
	v_add_nc_u32_e32 v54, s11, v52
	s_mov_b32 s12, s79
	s_mov_b32 s13, s80
	s_mov_b32 s10, s81
	s_mov_b32 s8, s83
	v_add_nc_u32_e32 v56, s11, v54
	s_clause 0x1
	global_load_b128 v[172:175], v48, s[4:5] scale_offset
	global_load_b128 v[176:179], v50, s[4:5] scale_offset
	s_mov_b32 s9, s84
	s_mov_b32 s41, s85
	;; [unrolled: 1-line block ×3, first 2 shown]
	v_add_nc_u32_e32 v58, s11, v56
	s_clause 0x2
	global_load_b128 v[180:183], v52, s[4:5] scale_offset
	global_load_b128 v[184:187], v54, s[4:5] scale_offset
	;; [unrolled: 1-line block ×3, first 2 shown]
	s_mov_b32 s36, s87
	s_mov_b32 s38, s88
	v_add_nc_u32_e32 v60, s11, v58
	s_mov_b32 s29, s89
	s_mov_b32 s34, s90
	;; [unrolled: 1-line block ×3, first 2 shown]
	s_bitcmp0_b32 s69, 0
	v_add_nc_u32_e32 v62, s11, v60
	s_mov_b32 s3, -1
	s_delay_alu instid0(VALU_DEP_1) | instskip(NEXT) | instid1(VALU_DEP_1)
	v_add_nc_u32_e32 v64, s11, v62
	v_add_nc_u32_e32 v66, s11, v64
	s_delay_alu instid0(VALU_DEP_1) | instskip(NEXT) | instid1(VALU_DEP_1)
	v_add_nc_u32_e32 v68, s11, v66
	v_add_nc_u32_e32 v70, s11, v68
	s_clause 0x3
	global_load_b128 v[192:195], v58, s[4:5] scale_offset
	global_load_b128 v[196:199], v60, s[4:5] scale_offset
	;; [unrolled: 1-line block ×4, first 2 shown]
	v_add_nc_u32_e32 v72, s11, v70
	s_delay_alu instid0(VALU_DEP_1) | instskip(NEXT) | instid1(VALU_DEP_1)
	v_add_nc_u32_e32 v74, s11, v72
	v_add_nc_u32_e32 v76, s11, v74
	s_delay_alu instid0(VALU_DEP_1)
	v_add_nc_u32_e32 v78, s11, v76
	s_clause 0x3
	global_load_b128 v[208:211], v66, s[4:5] scale_offset
	global_load_b128 v[212:215], v68, s[4:5] scale_offset
	;; [unrolled: 1-line block ×4, first 2 shown]
	v_add_nc_u32_e32 v80, s11, v78
	s_delay_alu instid0(VALU_DEP_1)
	v_add_nc_u32_e32 v82, s11, v80
	s_clause 0x3
	global_load_b128 v[224:227], v74, s[4:5] scale_offset
	global_load_b128 v[228:231], v76, s[4:5] scale_offset
	;; [unrolled: 1-line block ×4, first 2 shown]
	v_add_nc_u32_e32 v84, s11, v82
	s_delay_alu instid0(VALU_DEP_1) | instskip(NEXT) | instid1(VALU_DEP_1)
	v_add_nc_u32_e32 v86, s11, v84
	v_add_nc_u32_e32 v88, s11, v86
	s_delay_alu instid0(VALU_DEP_1) | instskip(NEXT) | instid1(VALU_DEP_1)
	v_add_nc_u32_e32 v90, s11, v88
	v_add_nc_u32_e32 v92, s11, v90
	s_delay_alu instid0(VALU_DEP_1)
	v_add_nc_u32_e32 v94, s11, v92
	s_clause 0x3
	global_load_b128 v[240:243], v82, s[4:5] scale_offset
	global_load_b128 v[244:247], v84, s[4:5] scale_offset
	;; [unrolled: 1-line block ×4, first 2 shown]
	s_wait_loadcnt 0x25
	scratch_store_b128 off, v[2:5], off offset:32
	s_wait_loadcnt 0x24
	scratch_store_b128 off, v[6:9], off offset:48
	v_add_nc_u32_e32 v96, s11, v94
	s_clause 0x1
	global_load_b128 v[2:5], v90, s[4:5] scale_offset
	global_load_b128 v[6:9], v92, s[4:5] scale_offset
	s_wait_loadcnt 0x25
	scratch_store_b128 off, v[10:13], off offset:64
	v_add_nc_u32_e32 v98, s11, v96
	s_wait_loadcnt 0x24
	scratch_store_b128 off, v[112:115], off
	s_wait_loadcnt 0x23
	scratch_store_b128 off, v[116:119], off offset:16
	v_add_nc_u32_e32 v100, s11, v98
	s_delay_alu instid0(VALU_DEP_1)
	v_add_nc_u32_e32 v102, s11, v100
	s_clause 0x2
	global_load_b128 v[10:13], v94, s[4:5] scale_offset
	s_set_vgpr_msb 64                       ;  msbs: dst=1 src0=0 src1=0 src2=0
	global_load_b128 v[0:3] /*v[256:259]*/, v96, s[4:5] scale_offset
	s_wait_loadcnt 0x24
	scratch_store_b128 off, v[120:123], off offset:80
	s_wait_loadcnt 0x23
	scratch_store_b128 off, v[128:131], off offset:96
	s_set_vgpr_msb 0                        ;  msbs: dst=0 src0=0 src1=0 src2=0
	v_add_nc_u32_e32 v104, s11, v102
	s_delay_alu instid0(VALU_DEP_1)
	v_add_nc_u32_e32 v106, s11, v104
	s_clause 0x2
	global_load_b128 v[128:131], v98, s[4:5] scale_offset
	s_set_vgpr_msb 64                       ;  msbs: dst=1 src0=0 src1=0 src2=0
	global_load_b128 v[4:7] /*v[260:263]*/, v100, s[4:5] scale_offset
	s_wait_loadcnt 0x24
	scratch_store_b128 off, v[132:135], off offset:112
	s_wait_loadcnt 0x23
	scratch_store_b128 off, v[136:139], off offset:128
	;; [unrolled: 2-line block ×3, first 2 shown]
	s_set_vgpr_msb 0                        ;  msbs: dst=0 src0=0 src1=0 src2=0
	s_clause 0x1
	global_load_b128 v[132:135], v102, s[4:5] scale_offset
	global_load_b128 v[136:139], v104, s[4:5] scale_offset
	v_add_nc_u32_e32 v108, s11, v106
	s_wait_loadcnt 0x23
	scratch_store_b128 off, v[144:147], off offset:160
	s_wait_loadcnt 0x22
	scratch_store_b128 off, v[148:151], off offset:176
	v_add_nc_u32_e32 v110, s11, v108
	s_delay_alu instid0(VALU_DEP_1) | instskip(NEXT) | instid1(VALU_DEP_1)
	v_add_nc_u32_e32 v112, s11, v110
	v_add_nc_u32_e32 v114, s11, v112
	s_clause 0x1
	global_load_b128 v[140:143], v106, s[4:5] scale_offset
	global_load_b128 v[144:147], v108, s[4:5] scale_offset
	s_wait_loadcnt 0x23
	scratch_store_b128 off, v[152:155], off offset:192
	s_wait_loadcnt 0x22
	scratch_store_b128 off, v[156:159], off offset:208
	;; [unrolled: 2-line block ×3, first 2 shown]
	v_add_nc_u32_e32 v116, s11, v114
	s_delay_alu instid0(VALU_DEP_1)
	v_add_nc_u32_e32 v118, s11, v116
	s_clause 0x1
	global_load_b128 v[148:151], v110, s[4:5] scale_offset
	global_load_b128 v[152:155], v112, s[4:5] scale_offset
	s_wait_loadcnt 0x22
	scratch_store_b128 off, v[164:167], off offset:240
	s_wait_loadcnt 0x21
	scratch_store_b128 off, v[168:171], off offset:256
	s_clause 0x1
	global_load_b128 v[156:159], v114, s[4:5] scale_offset
	global_load_b128 v[160:163], v116, s[4:5] scale_offset
	s_wait_loadcnt 0x22
	scratch_store_b128 off, v[172:175], off offset:272
	s_wait_loadcnt 0x21
	scratch_store_b128 off, v[176:179], off offset:288
	v_add_nc_u32_e32 v120, s11, v118
	s_clause 0x1
	global_load_b128 v[164:167], v118, s[4:5] scale_offset
	global_load_b128 v[168:171], v120, s[4:5] scale_offset
	v_add_nc_u32_e32 v122, s11, v120
	s_wait_loadcnt 0x22
	scratch_store_b128 off, v[180:183], off offset:304
	s_wait_loadcnt 0x21
	scratch_store_b128 off, v[184:187], off offset:320
	;; [unrolled: 2-line block ×3, first 2 shown]
	v_add_nc_u32_e32 v124, s11, v122
	s_clause 0x1
	global_load_b128 v[172:175], v122, s[4:5] scale_offset
	global_load_b128 v[176:179], v124, s[4:5] scale_offset
	s_mov_b32 s11, s82
	s_wait_loadcnt 0x21
	scratch_store_b128 off, v[192:195], off offset:352
	s_wait_loadcnt 0x20
	scratch_store_b128 off, v[196:199], off offset:368
	;; [unrolled: 2-line block ×19, first 2 shown]
	s_wait_loadcnt 0xe
	s_set_vgpr_msb 4                        ;  msbs: dst=0 src0=0 src1=1 src2=0
	scratch_store_b128 off, v[0:3] /*v[256:259]*/, off offset:656
	s_wait_loadcnt 0xd
	s_set_vgpr_msb 0                        ;  msbs: dst=0 src0=0 src1=0 src2=0
	scratch_store_b128 off, v[128:131], off offset:672
	s_wait_loadcnt 0xc
	s_set_vgpr_msb 4                        ;  msbs: dst=0 src0=0 src1=1 src2=0
	scratch_store_b128 off, v[4:7] /*v[260:263]*/, off offset:688
	s_wait_loadcnt 0xb
	s_set_vgpr_msb 0                        ;  msbs: dst=0 src0=0 src1=0 src2=0
	scratch_store_b128 off, v[132:135], off offset:704
	s_wait_loadcnt 0xa
	scratch_store_b128 off, v[136:139], off offset:720
	s_wait_loadcnt 0x9
	;; [unrolled: 2-line block ×11, first 2 shown]
	scratch_store_b128 off, v[176:179], off offset:880
	s_cbranch_scc1 .LBB55_236
; %bb.4:
	v_cmp_eq_u32_e64 s2, 0, v1
	s_wait_xcnt 0x0
	s_and_saveexec_b32 s3, s2
; %bb.5:
	v_mov_b32_e32 v2, 0
	ds_store_b32 v2, v2 offset:1792
; %bb.6:
	s_or_b32 exec_lo, exec_lo, s3
	s_wait_storecnt_dscnt 0x0
	s_barrier_signal -1
	s_barrier_wait -1
	scratch_load_b128 v[2:5], v1, off scale_offset
	s_wait_loadcnt 0x0
	v_cmp_eq_f64_e32 vcc_lo, 0, v[2:3]
	v_cmp_eq_f64_e64 s3, 0, v[4:5]
	s_and_b32 s3, vcc_lo, s3
	s_delay_alu instid0(SALU_CYCLE_1)
	s_and_saveexec_b32 s69, s3
	s_cbranch_execz .LBB55_10
; %bb.7:
	v_mov_b32_e32 v2, 0
	s_mov_b32 s70, 0
	ds_load_b32 v3, v2 offset:1792
	s_wait_dscnt 0x0
	v_readfirstlane_b32 s3, v3
	v_add_nc_u32_e32 v3, 1, v1
	s_cmp_eq_u32 s3, 0
	s_delay_alu instid0(VALU_DEP_1) | instskip(SKIP_1) | instid1(SALU_CYCLE_1)
	v_cmp_gt_i32_e32 vcc_lo, s3, v3
	s_cselect_b32 s71, -1, 0
	s_or_b32 s71, s71, vcc_lo
	s_delay_alu instid0(SALU_CYCLE_1)
	s_and_b32 exec_lo, exec_lo, s71
	s_cbranch_execz .LBB55_10
; %bb.8:
	v_mov_b32_e32 v4, s3
.LBB55_9:                               ; =>This Inner Loop Header: Depth=1
	ds_cmpstore_rtn_b32 v4, v2, v3, v4 offset:1792
	s_wait_dscnt 0x0
	v_cmp_ne_u32_e32 vcc_lo, 0, v4
	v_cmp_le_i32_e64 s3, v4, v3
	s_and_b32 s3, vcc_lo, s3
	s_delay_alu instid0(SALU_CYCLE_1) | instskip(NEXT) | instid1(SALU_CYCLE_1)
	s_and_b32 s3, exec_lo, s3
	s_or_b32 s70, s3, s70
	s_delay_alu instid0(SALU_CYCLE_1)
	s_and_not1_b32 exec_lo, exec_lo, s70
	s_cbranch_execnz .LBB55_9
.LBB55_10:
	s_or_b32 exec_lo, exec_lo, s69
	v_mov_b32_e32 v2, 0
	s_barrier_signal -1
	s_barrier_wait -1
	ds_load_b32 v3, v2 offset:1792
	s_and_saveexec_b32 s3, s2
	s_cbranch_execz .LBB55_12
; %bb.11:
	s_lshl_b64 s[70:71], s[18:19], 2
	s_delay_alu instid0(SALU_CYCLE_1)
	s_add_nc_u64 s[70:71], s[6:7], s[70:71]
	s_wait_dscnt 0x0
	global_store_b32 v2, v3, s[70:71]
.LBB55_12:
	s_wait_xcnt 0x0
	s_or_b32 exec_lo, exec_lo, s3
	s_wait_dscnt 0x0
	v_cmp_ne_u32_e32 vcc_lo, 0, v3
	s_mov_b32 s3, 0
	s_cbranch_vccnz .LBB55_236
; %bb.13:
	v_lshl_add_u32 v19, v1, 4, 0
                                        ; implicit-def: $vgpr6_vgpr7
                                        ; implicit-def: $vgpr10_vgpr11
	scratch_load_b128 v[2:5], v19, off
	s_wait_loadcnt 0x0
	v_cmp_ngt_f64_e64 s3, |v[2:3]|, |v[4:5]|
	s_wait_xcnt 0x0
	s_and_saveexec_b32 s69, s3
	s_delay_alu instid0(SALU_CYCLE_1)
	s_xor_b32 s3, exec_lo, s69
	s_cbranch_execz .LBB55_15
; %bb.14:
	v_div_scale_f64 v[6:7], null, v[4:5], v[4:5], v[2:3]
	v_div_scale_f64 v[12:13], vcc_lo, v[2:3], v[4:5], v[2:3]
	s_delay_alu instid0(VALU_DEP_2) | instskip(SKIP_1) | instid1(TRANS32_DEP_1)
	v_rcp_f64_e32 v[8:9], v[6:7]
	v_nop
	v_fma_f64 v[10:11], -v[6:7], v[8:9], 1.0
	s_delay_alu instid0(VALU_DEP_1) | instskip(NEXT) | instid1(VALU_DEP_1)
	v_fmac_f64_e32 v[8:9], v[8:9], v[10:11]
	v_fma_f64 v[10:11], -v[6:7], v[8:9], 1.0
	s_delay_alu instid0(VALU_DEP_1) | instskip(NEXT) | instid1(VALU_DEP_1)
	v_fmac_f64_e32 v[8:9], v[8:9], v[10:11]
	v_mul_f64_e32 v[10:11], v[12:13], v[8:9]
	s_delay_alu instid0(VALU_DEP_1) | instskip(NEXT) | instid1(VALU_DEP_1)
	v_fma_f64 v[6:7], -v[6:7], v[10:11], v[12:13]
	v_div_fmas_f64 v[6:7], v[6:7], v[8:9], v[10:11]
	s_delay_alu instid0(VALU_DEP_1) | instskip(NEXT) | instid1(VALU_DEP_1)
	v_div_fixup_f64 v[6:7], v[6:7], v[4:5], v[2:3]
	v_fmac_f64_e32 v[4:5], v[2:3], v[6:7]
	s_delay_alu instid0(VALU_DEP_1) | instskip(SKIP_1) | instid1(VALU_DEP_2)
	v_div_scale_f64 v[2:3], null, v[4:5], v[4:5], 1.0
	v_div_scale_f64 v[12:13], vcc_lo, 1.0, v[4:5], 1.0
	v_rcp_f64_e32 v[8:9], v[2:3]
	v_nop
	s_delay_alu instid0(TRANS32_DEP_1) | instskip(NEXT) | instid1(VALU_DEP_1)
	v_fma_f64 v[10:11], -v[2:3], v[8:9], 1.0
	v_fmac_f64_e32 v[8:9], v[8:9], v[10:11]
	s_delay_alu instid0(VALU_DEP_1) | instskip(NEXT) | instid1(VALU_DEP_1)
	v_fma_f64 v[10:11], -v[2:3], v[8:9], 1.0
	v_fmac_f64_e32 v[8:9], v[8:9], v[10:11]
	s_delay_alu instid0(VALU_DEP_1) | instskip(NEXT) | instid1(VALU_DEP_1)
	v_mul_f64_e32 v[10:11], v[12:13], v[8:9]
	v_fma_f64 v[2:3], -v[2:3], v[10:11], v[12:13]
	s_delay_alu instid0(VALU_DEP_1) | instskip(NEXT) | instid1(VALU_DEP_1)
	v_div_fmas_f64 v[2:3], v[2:3], v[8:9], v[10:11]
	v_div_fixup_f64 v[8:9], v[2:3], v[4:5], 1.0
                                        ; implicit-def: $vgpr2_vgpr3
	s_delay_alu instid0(VALU_DEP_1) | instskip(SKIP_1) | instid1(VALU_DEP_2)
	v_mul_f64_e32 v[6:7], v[6:7], v[8:9]
	v_xor_b32_e32 v9, 0x80000000, v9
	v_xor_b32_e32 v11, 0x80000000, v7
	s_delay_alu instid0(VALU_DEP_3)
	v_mov_b32_e32 v10, v6
.LBB55_15:
	s_and_not1_saveexec_b32 s3, s3
	s_cbranch_execz .LBB55_17
; %bb.16:
	v_div_scale_f64 v[6:7], null, v[2:3], v[2:3], v[4:5]
	v_div_scale_f64 v[12:13], vcc_lo, v[4:5], v[2:3], v[4:5]
	s_delay_alu instid0(VALU_DEP_2) | instskip(SKIP_1) | instid1(TRANS32_DEP_1)
	v_rcp_f64_e32 v[8:9], v[6:7]
	v_nop
	v_fma_f64 v[10:11], -v[6:7], v[8:9], 1.0
	s_delay_alu instid0(VALU_DEP_1) | instskip(NEXT) | instid1(VALU_DEP_1)
	v_fmac_f64_e32 v[8:9], v[8:9], v[10:11]
	v_fma_f64 v[10:11], -v[6:7], v[8:9], 1.0
	s_delay_alu instid0(VALU_DEP_1) | instskip(NEXT) | instid1(VALU_DEP_1)
	v_fmac_f64_e32 v[8:9], v[8:9], v[10:11]
	v_mul_f64_e32 v[10:11], v[12:13], v[8:9]
	s_delay_alu instid0(VALU_DEP_1) | instskip(NEXT) | instid1(VALU_DEP_1)
	v_fma_f64 v[6:7], -v[6:7], v[10:11], v[12:13]
	v_div_fmas_f64 v[6:7], v[6:7], v[8:9], v[10:11]
	s_delay_alu instid0(VALU_DEP_1) | instskip(NEXT) | instid1(VALU_DEP_1)
	v_div_fixup_f64 v[8:9], v[6:7], v[2:3], v[4:5]
	v_fmac_f64_e32 v[2:3], v[4:5], v[8:9]
	s_delay_alu instid0(VALU_DEP_1) | instskip(NEXT) | instid1(VALU_DEP_1)
	v_div_scale_f64 v[4:5], null, v[2:3], v[2:3], 1.0
	v_rcp_f64_e32 v[6:7], v[4:5]
	v_nop
	s_delay_alu instid0(TRANS32_DEP_1) | instskip(NEXT) | instid1(VALU_DEP_1)
	v_fma_f64 v[10:11], -v[4:5], v[6:7], 1.0
	v_fmac_f64_e32 v[6:7], v[6:7], v[10:11]
	s_delay_alu instid0(VALU_DEP_1) | instskip(NEXT) | instid1(VALU_DEP_1)
	v_fma_f64 v[10:11], -v[4:5], v[6:7], 1.0
	v_fmac_f64_e32 v[6:7], v[6:7], v[10:11]
	v_div_scale_f64 v[10:11], vcc_lo, 1.0, v[2:3], 1.0
	s_delay_alu instid0(VALU_DEP_1) | instskip(NEXT) | instid1(VALU_DEP_1)
	v_mul_f64_e32 v[12:13], v[10:11], v[6:7]
	v_fma_f64 v[4:5], -v[4:5], v[12:13], v[10:11]
	s_delay_alu instid0(VALU_DEP_1) | instskip(NEXT) | instid1(VALU_DEP_1)
	v_div_fmas_f64 v[4:5], v[4:5], v[6:7], v[12:13]
	v_div_fixup_f64 v[6:7], v[4:5], v[2:3], 1.0
	s_delay_alu instid0(VALU_DEP_1)
	v_mul_f64_e64 v[8:9], v[8:9], -v[6:7]
	v_xor_b32_e32 v11, 0x80000000, v7
	v_mov_b32_e32 v10, v6
.LBB55_17:
	s_or_b32 exec_lo, exec_lo, s3
	s_clause 0x1
	scratch_store_b128 v19, v[6:9], off
	scratch_load_b128 v[2:5], off, s52
	v_xor_b32_e32 v13, 0x80000000, v9
	v_mov_b32_e32 v12, v8
	s_wait_xcnt 0x1
	v_add_nc_u32_e32 v6, 0x380, v126
	ds_store_b128 v126, v[10:13]
	s_wait_loadcnt 0x0
	ds_store_b128 v126, v[2:5] offset:896
	s_wait_storecnt_dscnt 0x0
	s_barrier_signal -1
	s_barrier_wait -1
	s_wait_xcnt 0x0
	s_and_saveexec_b32 s3, s2
	s_cbranch_execz .LBB55_19
; %bb.18:
	scratch_load_b128 v[2:5], v19, off
	ds_load_b128 v[8:11], v6
	v_mov_b32_e32 v7, 0
	ds_load_b128 v[128:131], v7 offset:16
	s_wait_loadcnt_dscnt 0x1
	v_mul_f64_e32 v[12:13], v[8:9], v[4:5]
	v_mul_f64_e32 v[4:5], v[10:11], v[4:5]
	s_delay_alu instid0(VALU_DEP_2) | instskip(NEXT) | instid1(VALU_DEP_2)
	v_fmac_f64_e32 v[12:13], v[10:11], v[2:3]
	v_fma_f64 v[2:3], v[8:9], v[2:3], -v[4:5]
	s_delay_alu instid0(VALU_DEP_2) | instskip(NEXT) | instid1(VALU_DEP_2)
	v_add_f64_e32 v[8:9], 0, v[12:13]
	v_add_f64_e32 v[2:3], 0, v[2:3]
	s_wait_dscnt 0x0
	s_delay_alu instid0(VALU_DEP_2) | instskip(NEXT) | instid1(VALU_DEP_2)
	v_mul_f64_e32 v[10:11], v[8:9], v[130:131]
	v_mul_f64_e32 v[4:5], v[2:3], v[130:131]
	s_delay_alu instid0(VALU_DEP_2) | instskip(NEXT) | instid1(VALU_DEP_2)
	v_fma_f64 v[2:3], v[2:3], v[128:129], -v[10:11]
	v_fmac_f64_e32 v[4:5], v[8:9], v[128:129]
	scratch_store_b128 off, v[2:5], off offset:16
.LBB55_19:
	s_wait_xcnt 0x0
	s_or_b32 exec_lo, exec_lo, s3
	s_wait_storecnt 0x0
	s_barrier_signal -1
	s_barrier_wait -1
	scratch_load_b128 v[2:5], off, s51
	s_mov_b32 s3, exec_lo
	s_wait_loadcnt 0x0
	ds_store_b128 v6, v[2:5]
	s_wait_dscnt 0x0
	s_barrier_signal -1
	s_barrier_wait -1
	v_cmpx_gt_u32_e32 2, v1
	s_cbranch_execz .LBB55_23
; %bb.20:
	scratch_load_b128 v[2:5], v19, off
	ds_load_b128 v[8:11], v6
	s_wait_loadcnt_dscnt 0x0
	v_mul_f64_e32 v[12:13], v[10:11], v[4:5]
	v_mul_f64_e32 v[128:129], v[8:9], v[4:5]
	s_delay_alu instid0(VALU_DEP_2) | instskip(NEXT) | instid1(VALU_DEP_2)
	v_fma_f64 v[4:5], v[8:9], v[2:3], -v[12:13]
	v_fmac_f64_e32 v[128:129], v[10:11], v[2:3]
	s_delay_alu instid0(VALU_DEP_2) | instskip(NEXT) | instid1(VALU_DEP_2)
	v_add_f64_e32 v[4:5], 0, v[4:5]
	v_add_f64_e32 v[2:3], 0, v[128:129]
	s_and_saveexec_b32 s69, s2
	s_cbranch_execz .LBB55_22
; %bb.21:
	scratch_load_b128 v[8:11], off, off offset:16
	v_mov_b32_e32 v7, 0
	ds_load_b128 v[128:131], v7 offset:912
	s_wait_loadcnt_dscnt 0x0
	v_mul_f64_e32 v[12:13], v[128:129], v[10:11]
	v_mul_f64_e32 v[10:11], v[130:131], v[10:11]
	s_delay_alu instid0(VALU_DEP_2) | instskip(NEXT) | instid1(VALU_DEP_2)
	v_fmac_f64_e32 v[12:13], v[130:131], v[8:9]
	v_fma_f64 v[8:9], v[128:129], v[8:9], -v[10:11]
	s_delay_alu instid0(VALU_DEP_2) | instskip(NEXT) | instid1(VALU_DEP_2)
	v_add_f64_e32 v[2:3], v[2:3], v[12:13]
	v_add_f64_e32 v[4:5], v[4:5], v[8:9]
.LBB55_22:
	s_or_b32 exec_lo, exec_lo, s69
	v_mov_b32_e32 v7, 0
	ds_load_b128 v[8:11], v7 offset:32
	s_wait_dscnt 0x0
	v_mul_f64_e32 v[128:129], v[2:3], v[10:11]
	v_mul_f64_e32 v[12:13], v[4:5], v[10:11]
	s_delay_alu instid0(VALU_DEP_2) | instskip(NEXT) | instid1(VALU_DEP_2)
	v_fma_f64 v[10:11], v[4:5], v[8:9], -v[128:129]
	v_fmac_f64_e32 v[12:13], v[2:3], v[8:9]
	scratch_store_b128 off, v[10:13], off offset:32
.LBB55_23:
	s_wait_xcnt 0x0
	s_or_b32 exec_lo, exec_lo, s3
	s_wait_storecnt 0x0
	s_barrier_signal -1
	s_barrier_wait -1
	scratch_load_b128 v[2:5], off, s50
	v_add_nc_u32_e32 v7, -1, v1
	s_mov_b32 s2, exec_lo
	s_wait_loadcnt 0x0
	ds_store_b128 v6, v[2:5]
	s_wait_dscnt 0x0
	s_barrier_signal -1
	s_barrier_wait -1
	v_cmpx_gt_u32_e32 3, v1
	s_cbranch_execz .LBB55_27
; %bb.24:
	v_dual_mov_b32 v10, v126 :: v_dual_add_nc_u32 v8, -1, v1
	v_mov_b64_e32 v[2:3], 0
	v_mov_b64_e32 v[4:5], 0
	v_add_nc_u32_e32 v9, 0x380, v126
	s_delay_alu instid0(VALU_DEP_4)
	v_or_b32_e32 v10, 8, v10
	s_mov_b32 s3, 0
.LBB55_25:                              ; =>This Inner Loop Header: Depth=1
	scratch_load_b128 v[128:131], v10, off offset:-8
	ds_load_b128 v[132:135], v9
	v_dual_add_nc_u32 v8, 1, v8 :: v_dual_add_nc_u32 v9, 16, v9
	s_wait_xcnt 0x0
	v_add_nc_u32_e32 v10, 16, v10
	s_delay_alu instid0(VALU_DEP_2) | instskip(SKIP_4) | instid1(VALU_DEP_2)
	v_cmp_lt_u32_e32 vcc_lo, 1, v8
	s_or_b32 s3, vcc_lo, s3
	s_wait_loadcnt_dscnt 0x0
	v_mul_f64_e32 v[12:13], v[134:135], v[130:131]
	v_mul_f64_e32 v[130:131], v[132:133], v[130:131]
	v_fma_f64 v[12:13], v[132:133], v[128:129], -v[12:13]
	s_delay_alu instid0(VALU_DEP_2) | instskip(NEXT) | instid1(VALU_DEP_2)
	v_fmac_f64_e32 v[130:131], v[134:135], v[128:129]
	v_add_f64_e32 v[4:5], v[4:5], v[12:13]
	s_delay_alu instid0(VALU_DEP_2)
	v_add_f64_e32 v[2:3], v[2:3], v[130:131]
	s_and_not1_b32 exec_lo, exec_lo, s3
	s_cbranch_execnz .LBB55_25
; %bb.26:
	s_or_b32 exec_lo, exec_lo, s3
	v_mov_b32_e32 v8, 0
	ds_load_b128 v[8:11], v8 offset:48
	s_wait_dscnt 0x0
	v_mul_f64_e32 v[128:129], v[2:3], v[10:11]
	v_mul_f64_e32 v[12:13], v[4:5], v[10:11]
	s_delay_alu instid0(VALU_DEP_2) | instskip(NEXT) | instid1(VALU_DEP_2)
	v_fma_f64 v[10:11], v[4:5], v[8:9], -v[128:129]
	v_fmac_f64_e32 v[12:13], v[2:3], v[8:9]
	scratch_store_b128 off, v[10:13], off offset:48
.LBB55_27:
	s_wait_xcnt 0x0
	s_or_b32 exec_lo, exec_lo, s2
	s_wait_storecnt 0x0
	s_barrier_signal -1
	s_barrier_wait -1
	scratch_load_b128 v[2:5], off, s49
	s_mov_b32 s2, exec_lo
	s_wait_loadcnt 0x0
	ds_store_b128 v6, v[2:5]
	s_wait_dscnt 0x0
	s_barrier_signal -1
	s_barrier_wait -1
	v_cmpx_gt_u32_e32 4, v1
	s_cbranch_execz .LBB55_31
; %bb.28:
	v_dual_mov_b32 v10, v126 :: v_dual_add_nc_u32 v8, -1, v1
	v_mov_b64_e32 v[2:3], 0
	v_mov_b64_e32 v[4:5], 0
	v_add_nc_u32_e32 v9, 0x380, v126
	s_delay_alu instid0(VALU_DEP_4)
	v_or_b32_e32 v10, 8, v10
	s_mov_b32 s3, 0
.LBB55_29:                              ; =>This Inner Loop Header: Depth=1
	scratch_load_b128 v[128:131], v10, off offset:-8
	ds_load_b128 v[132:135], v9
	v_dual_add_nc_u32 v8, 1, v8 :: v_dual_add_nc_u32 v9, 16, v9
	s_wait_xcnt 0x0
	v_add_nc_u32_e32 v10, 16, v10
	s_delay_alu instid0(VALU_DEP_2) | instskip(SKIP_4) | instid1(VALU_DEP_2)
	v_cmp_lt_u32_e32 vcc_lo, 2, v8
	s_or_b32 s3, vcc_lo, s3
	s_wait_loadcnt_dscnt 0x0
	v_mul_f64_e32 v[12:13], v[134:135], v[130:131]
	v_mul_f64_e32 v[130:131], v[132:133], v[130:131]
	v_fma_f64 v[12:13], v[132:133], v[128:129], -v[12:13]
	s_delay_alu instid0(VALU_DEP_2) | instskip(NEXT) | instid1(VALU_DEP_2)
	v_fmac_f64_e32 v[130:131], v[134:135], v[128:129]
	v_add_f64_e32 v[4:5], v[4:5], v[12:13]
	s_delay_alu instid0(VALU_DEP_2)
	v_add_f64_e32 v[2:3], v[2:3], v[130:131]
	s_and_not1_b32 exec_lo, exec_lo, s3
	s_cbranch_execnz .LBB55_29
; %bb.30:
	s_or_b32 exec_lo, exec_lo, s3
	v_mov_b32_e32 v8, 0
	ds_load_b128 v[8:11], v8 offset:64
	s_wait_dscnt 0x0
	v_mul_f64_e32 v[128:129], v[2:3], v[10:11]
	v_mul_f64_e32 v[12:13], v[4:5], v[10:11]
	s_delay_alu instid0(VALU_DEP_2) | instskip(NEXT) | instid1(VALU_DEP_2)
	v_fma_f64 v[10:11], v[4:5], v[8:9], -v[128:129]
	v_fmac_f64_e32 v[12:13], v[2:3], v[8:9]
	scratch_store_b128 off, v[10:13], off offset:64
.LBB55_31:
	s_wait_xcnt 0x0
	s_or_b32 exec_lo, exec_lo, s2
	s_wait_storecnt 0x0
	s_barrier_signal -1
	s_barrier_wait -1
	scratch_load_b128 v[2:5], off, s55
	;; [unrolled: 54-line block ×19, first 2 shown]
	s_mov_b32 s2, exec_lo
	s_wait_loadcnt 0x0
	ds_store_b128 v6, v[2:5]
	s_wait_dscnt 0x0
	s_barrier_signal -1
	s_barrier_wait -1
	v_cmpx_gt_u32_e32 22, v1
	s_cbranch_execz .LBB55_103
; %bb.100:
	v_dual_mov_b32 v10, v126 :: v_dual_add_nc_u32 v8, -1, v1
	v_mov_b64_e32 v[2:3], 0
	v_mov_b64_e32 v[4:5], 0
	v_add_nc_u32_e32 v9, 0x380, v126
	s_delay_alu instid0(VALU_DEP_4)
	v_or_b32_e32 v10, 8, v10
	s_mov_b32 s3, 0
.LBB55_101:                             ; =>This Inner Loop Header: Depth=1
	scratch_load_b128 v[128:131], v10, off offset:-8
	ds_load_b128 v[132:135], v9
	v_dual_add_nc_u32 v8, 1, v8 :: v_dual_add_nc_u32 v9, 16, v9
	s_wait_xcnt 0x0
	v_add_nc_u32_e32 v10, 16, v10
	s_delay_alu instid0(VALU_DEP_2) | instskip(SKIP_4) | instid1(VALU_DEP_2)
	v_cmp_lt_u32_e32 vcc_lo, 20, v8
	s_or_b32 s3, vcc_lo, s3
	s_wait_loadcnt_dscnt 0x0
	v_mul_f64_e32 v[12:13], v[134:135], v[130:131]
	v_mul_f64_e32 v[130:131], v[132:133], v[130:131]
	v_fma_f64 v[12:13], v[132:133], v[128:129], -v[12:13]
	s_delay_alu instid0(VALU_DEP_2) | instskip(NEXT) | instid1(VALU_DEP_2)
	v_fmac_f64_e32 v[130:131], v[134:135], v[128:129]
	v_add_f64_e32 v[4:5], v[4:5], v[12:13]
	s_delay_alu instid0(VALU_DEP_2)
	v_add_f64_e32 v[2:3], v[2:3], v[130:131]
	s_and_not1_b32 exec_lo, exec_lo, s3
	s_cbranch_execnz .LBB55_101
; %bb.102:
	s_or_b32 exec_lo, exec_lo, s3
	v_mov_b32_e32 v8, 0
	ds_load_b128 v[8:11], v8 offset:352
	s_wait_dscnt 0x0
	v_mul_f64_e32 v[128:129], v[2:3], v[10:11]
	v_mul_f64_e32 v[12:13], v[4:5], v[10:11]
	s_delay_alu instid0(VALU_DEP_2) | instskip(NEXT) | instid1(VALU_DEP_2)
	v_fma_f64 v[10:11], v[4:5], v[8:9], -v[128:129]
	v_fmac_f64_e32 v[12:13], v[2:3], v[8:9]
	scratch_store_b128 off, v[10:13], off offset:352
.LBB55_103:
	s_wait_xcnt 0x0
	s_or_b32 exec_lo, exec_lo, s2
	s_wait_storecnt 0x0
	s_barrier_signal -1
	s_barrier_wait -1
	scratch_load_b128 v[2:5], off, s30
	s_mov_b32 s2, exec_lo
	s_wait_loadcnt 0x0
	ds_store_b128 v6, v[2:5]
	s_wait_dscnt 0x0
	s_barrier_signal -1
	s_barrier_wait -1
	v_cmpx_gt_u32_e32 23, v1
	s_cbranch_execz .LBB55_107
; %bb.104:
	v_dual_mov_b32 v10, v126 :: v_dual_add_nc_u32 v8, -1, v1
	v_mov_b64_e32 v[2:3], 0
	v_mov_b64_e32 v[4:5], 0
	v_add_nc_u32_e32 v9, 0x380, v126
	s_delay_alu instid0(VALU_DEP_4)
	v_or_b32_e32 v10, 8, v10
	s_mov_b32 s3, 0
.LBB55_105:                             ; =>This Inner Loop Header: Depth=1
	scratch_load_b128 v[128:131], v10, off offset:-8
	ds_load_b128 v[132:135], v9
	v_dual_add_nc_u32 v8, 1, v8 :: v_dual_add_nc_u32 v9, 16, v9
	s_wait_xcnt 0x0
	v_add_nc_u32_e32 v10, 16, v10
	s_delay_alu instid0(VALU_DEP_2) | instskip(SKIP_4) | instid1(VALU_DEP_2)
	v_cmp_lt_u32_e32 vcc_lo, 21, v8
	s_or_b32 s3, vcc_lo, s3
	s_wait_loadcnt_dscnt 0x0
	v_mul_f64_e32 v[12:13], v[134:135], v[130:131]
	v_mul_f64_e32 v[130:131], v[132:133], v[130:131]
	v_fma_f64 v[12:13], v[132:133], v[128:129], -v[12:13]
	s_delay_alu instid0(VALU_DEP_2) | instskip(NEXT) | instid1(VALU_DEP_2)
	v_fmac_f64_e32 v[130:131], v[134:135], v[128:129]
	v_add_f64_e32 v[4:5], v[4:5], v[12:13]
	s_delay_alu instid0(VALU_DEP_2)
	v_add_f64_e32 v[2:3], v[2:3], v[130:131]
	s_and_not1_b32 exec_lo, exec_lo, s3
	s_cbranch_execnz .LBB55_105
; %bb.106:
	s_or_b32 exec_lo, exec_lo, s3
	v_mov_b32_e32 v8, 0
	ds_load_b128 v[8:11], v8 offset:368
	s_wait_dscnt 0x0
	v_mul_f64_e32 v[128:129], v[2:3], v[10:11]
	v_mul_f64_e32 v[12:13], v[4:5], v[10:11]
	s_delay_alu instid0(VALU_DEP_2) | instskip(NEXT) | instid1(VALU_DEP_2)
	v_fma_f64 v[10:11], v[4:5], v[8:9], -v[128:129]
	v_fmac_f64_e32 v[12:13], v[2:3], v[8:9]
	scratch_store_b128 off, v[10:13], off offset:368
.LBB55_107:
	s_wait_xcnt 0x0
	s_or_b32 exec_lo, exec_lo, s2
	s_wait_storecnt 0x0
	s_barrier_signal -1
	s_barrier_wait -1
	scratch_load_b128 v[2:5], off, s37
	;; [unrolled: 54-line block ×33, first 2 shown]
	s_mov_b32 s2, exec_lo
	s_wait_loadcnt 0x0
	ds_store_b128 v6, v[2:5]
	s_wait_dscnt 0x0
	s_barrier_signal -1
	s_barrier_wait -1
	v_cmpx_ne_u32_e32 55, v1
	s_cbranch_execz .LBB55_235
; %bb.232:
	v_mov_b32_e32 v8, v126
	v_mov_b64_e32 v[2:3], 0
	v_mov_b64_e32 v[4:5], 0
	s_mov_b32 s3, 0
	s_delay_alu instid0(VALU_DEP_3)
	v_or_b32_e32 v8, 8, v8
.LBB55_233:                             ; =>This Inner Loop Header: Depth=1
	scratch_load_b128 v[10:13], v8, off offset:-8
	ds_load_b128 v[126:129], v6
	v_dual_add_nc_u32 v7, 1, v7 :: v_dual_add_nc_u32 v6, 16, v6
	s_wait_xcnt 0x0
	v_add_nc_u32_e32 v8, 16, v8
	s_delay_alu instid0(VALU_DEP_2) | instskip(SKIP_4) | instid1(VALU_DEP_2)
	v_cmp_lt_u32_e32 vcc_lo, 53, v7
	s_or_b32 s3, vcc_lo, s3
	s_wait_loadcnt_dscnt 0x0
	v_mul_f64_e32 v[130:131], v[128:129], v[12:13]
	v_mul_f64_e32 v[12:13], v[126:127], v[12:13]
	v_fma_f64 v[126:127], v[126:127], v[10:11], -v[130:131]
	s_delay_alu instid0(VALU_DEP_2) | instskip(NEXT) | instid1(VALU_DEP_2)
	v_fmac_f64_e32 v[12:13], v[128:129], v[10:11]
	v_add_f64_e32 v[4:5], v[4:5], v[126:127]
	s_delay_alu instid0(VALU_DEP_2)
	v_add_f64_e32 v[2:3], v[2:3], v[12:13]
	s_and_not1_b32 exec_lo, exec_lo, s3
	s_cbranch_execnz .LBB55_233
; %bb.234:
	s_or_b32 exec_lo, exec_lo, s3
	v_mov_b32_e32 v6, 0
	ds_load_b128 v[6:9], v6 offset:880
	s_wait_dscnt 0x0
	v_mul_f64_e32 v[12:13], v[2:3], v[8:9]
	v_mul_f64_e32 v[10:11], v[4:5], v[8:9]
	s_delay_alu instid0(VALU_DEP_2) | instskip(NEXT) | instid1(VALU_DEP_2)
	v_fma_f64 v[8:9], v[4:5], v[6:7], -v[12:13]
	v_fmac_f64_e32 v[10:11], v[2:3], v[6:7]
	scratch_store_b128 off, v[8:11], off offset:880
.LBB55_235:
	s_wait_xcnt 0x0
	s_or_b32 exec_lo, exec_lo, s2
	s_mov_b32 s3, -1
	s_wait_storecnt 0x0
	s_barrier_signal -1
	s_barrier_wait -1
.LBB55_236:
	s_and_b32 vcc_lo, exec_lo, s3
	s_cbranch_vccz .LBB55_238
; %bb.237:
	s_wait_xcnt 0x11
	v_mov_b32_e32 v2, 0
	s_lshl_b64 s[2:3], s[18:19], 2
	s_delay_alu instid0(SALU_CYCLE_1)
	s_add_nc_u64 s[2:3], s[6:7], s[2:3]
	global_load_b32 v2, v2, s[2:3]
	s_wait_loadcnt 0x0
	v_cmp_ne_u32_e32 vcc_lo, 0, v2
	s_cbranch_vccz .LBB55_239
.LBB55_238:
	s_sendmsg sendmsg(MSG_DEALLOC_VGPRS)
	s_endpgm
.LBB55_239:
	s_wait_xcnt 0x10
	v_lshl_add_u32 v12, v1, 4, 0x380
	s_wait_xcnt 0x0
	s_mov_b32 s2, exec_lo
	v_cmpx_eq_u32_e32 55, v1
	s_cbranch_execz .LBB55_241
; %bb.240:
	scratch_load_b128 v[2:5], off, s34
	v_mov_b32_e32 v6, 0
	s_delay_alu instid0(VALU_DEP_1)
	v_dual_mov_b32 v7, v6 :: v_dual_mov_b32 v8, v6
	v_mov_b32_e32 v9, v6
	scratch_store_b128 off, v[6:9], off offset:864
	s_wait_loadcnt 0x0
	ds_store_b128 v12, v[2:5]
.LBB55_241:
	s_wait_xcnt 0x0
	s_or_b32 exec_lo, exec_lo, s2
	s_wait_storecnt_dscnt 0x0
	s_barrier_signal -1
	s_barrier_wait -1
	s_clause 0x1
	scratch_load_b128 v[4:7], off, off offset:880
	scratch_load_b128 v[8:11], off, off offset:864
	v_mov_b32_e32 v2, 0
	s_mov_b32 s2, exec_lo
	ds_load_b128 v[126:129], v2 offset:1776
	s_wait_loadcnt_dscnt 0x100
	v_mul_f64_e32 v[130:131], v[128:129], v[6:7]
	v_mul_f64_e32 v[6:7], v[126:127], v[6:7]
	s_delay_alu instid0(VALU_DEP_2) | instskip(NEXT) | instid1(VALU_DEP_2)
	v_fma_f64 v[126:127], v[126:127], v[4:5], -v[130:131]
	v_fmac_f64_e32 v[6:7], v[128:129], v[4:5]
	s_delay_alu instid0(VALU_DEP_2) | instskip(NEXT) | instid1(VALU_DEP_2)
	v_add_f64_e32 v[4:5], 0, v[126:127]
	v_add_f64_e32 v[6:7], 0, v[6:7]
	s_wait_loadcnt 0x0
	s_delay_alu instid0(VALU_DEP_2) | instskip(NEXT) | instid1(VALU_DEP_2)
	v_add_f64_e64 v[4:5], v[8:9], -v[4:5]
	v_add_f64_e64 v[6:7], v[10:11], -v[6:7]
	scratch_store_b128 off, v[4:7], off offset:864
	s_wait_xcnt 0x0
	v_cmpx_lt_u32_e32 53, v1
	s_cbranch_execz .LBB55_243
; %bb.242:
	scratch_load_b128 v[6:9], off, s29
	v_dual_mov_b32 v3, v2 :: v_dual_mov_b32 v4, v2
	v_mov_b32_e32 v5, v2
	scratch_store_b128 off, v[2:5], off offset:848
	s_wait_loadcnt 0x0
	ds_store_b128 v12, v[6:9]
.LBB55_243:
	s_wait_xcnt 0x0
	s_or_b32 exec_lo, exec_lo, s2
	s_wait_storecnt_dscnt 0x0
	s_barrier_signal -1
	s_barrier_wait -1
	s_clause 0x2
	scratch_load_b128 v[4:7], off, off offset:864
	scratch_load_b128 v[8:11], off, off offset:880
	;; [unrolled: 1-line block ×3, first 2 shown]
	ds_load_b128 v[130:133], v2 offset:1760
	ds_load_b128 v[134:137], v2 offset:1776
	s_mov_b32 s2, exec_lo
	s_wait_loadcnt_dscnt 0x201
	v_mul_f64_e32 v[2:3], v[132:133], v[6:7]
	v_mul_f64_e32 v[6:7], v[130:131], v[6:7]
	s_wait_loadcnt_dscnt 0x100
	v_mul_f64_e32 v[138:139], v[134:135], v[10:11]
	v_mul_f64_e32 v[10:11], v[136:137], v[10:11]
	s_delay_alu instid0(VALU_DEP_4) | instskip(NEXT) | instid1(VALU_DEP_4)
	v_fma_f64 v[2:3], v[130:131], v[4:5], -v[2:3]
	v_fmac_f64_e32 v[6:7], v[132:133], v[4:5]
	s_delay_alu instid0(VALU_DEP_4) | instskip(NEXT) | instid1(VALU_DEP_4)
	v_fmac_f64_e32 v[138:139], v[136:137], v[8:9]
	v_fma_f64 v[4:5], v[134:135], v[8:9], -v[10:11]
	s_delay_alu instid0(VALU_DEP_4) | instskip(NEXT) | instid1(VALU_DEP_4)
	v_add_f64_e32 v[2:3], 0, v[2:3]
	v_add_f64_e32 v[6:7], 0, v[6:7]
	s_delay_alu instid0(VALU_DEP_2) | instskip(NEXT) | instid1(VALU_DEP_2)
	v_add_f64_e32 v[2:3], v[2:3], v[4:5]
	v_add_f64_e32 v[4:5], v[6:7], v[138:139]
	s_wait_loadcnt 0x0
	s_delay_alu instid0(VALU_DEP_2) | instskip(NEXT) | instid1(VALU_DEP_2)
	v_add_f64_e64 v[2:3], v[126:127], -v[2:3]
	v_add_f64_e64 v[4:5], v[128:129], -v[4:5]
	scratch_store_b128 off, v[2:5], off offset:848
	s_wait_xcnt 0x0
	v_cmpx_lt_u32_e32 52, v1
	s_cbranch_execz .LBB55_245
; %bb.244:
	scratch_load_b128 v[2:5], off, s38
	v_mov_b32_e32 v6, 0
	s_delay_alu instid0(VALU_DEP_1)
	v_dual_mov_b32 v7, v6 :: v_dual_mov_b32 v8, v6
	v_mov_b32_e32 v9, v6
	scratch_store_b128 off, v[6:9], off offset:832
	s_wait_loadcnt 0x0
	ds_store_b128 v12, v[2:5]
.LBB55_245:
	s_wait_xcnt 0x0
	s_or_b32 exec_lo, exec_lo, s2
	s_wait_storecnt_dscnt 0x0
	s_barrier_signal -1
	s_barrier_wait -1
	s_clause 0x3
	scratch_load_b128 v[4:7], off, off offset:848
	scratch_load_b128 v[8:11], off, off offset:864
	;; [unrolled: 1-line block ×4, first 2 shown]
	v_mov_b32_e32 v2, 0
	ds_load_b128 v[134:137], v2 offset:1744
	ds_load_b128 v[138:141], v2 offset:1760
	s_mov_b32 s2, exec_lo
	s_wait_loadcnt_dscnt 0x301
	v_mul_f64_e32 v[142:143], v[136:137], v[6:7]
	v_mul_f64_e32 v[144:145], v[134:135], v[6:7]
	s_wait_loadcnt_dscnt 0x200
	v_mul_f64_e32 v[146:147], v[138:139], v[10:11]
	v_mul_f64_e32 v[10:11], v[140:141], v[10:11]
	s_delay_alu instid0(VALU_DEP_4) | instskip(NEXT) | instid1(VALU_DEP_4)
	v_fma_f64 v[134:135], v[134:135], v[4:5], -v[142:143]
	v_fmac_f64_e32 v[144:145], v[136:137], v[4:5]
	ds_load_b128 v[4:7], v2 offset:1776
	v_fmac_f64_e32 v[146:147], v[140:141], v[8:9]
	v_fma_f64 v[8:9], v[138:139], v[8:9], -v[10:11]
	s_wait_loadcnt_dscnt 0x100
	v_mul_f64_e32 v[136:137], v[4:5], v[128:129]
	v_mul_f64_e32 v[128:129], v[6:7], v[128:129]
	v_add_f64_e32 v[10:11], 0, v[134:135]
	v_add_f64_e32 v[134:135], 0, v[144:145]
	s_delay_alu instid0(VALU_DEP_4) | instskip(NEXT) | instid1(VALU_DEP_4)
	v_fmac_f64_e32 v[136:137], v[6:7], v[126:127]
	v_fma_f64 v[4:5], v[4:5], v[126:127], -v[128:129]
	s_delay_alu instid0(VALU_DEP_4) | instskip(NEXT) | instid1(VALU_DEP_4)
	v_add_f64_e32 v[6:7], v[10:11], v[8:9]
	v_add_f64_e32 v[8:9], v[134:135], v[146:147]
	s_delay_alu instid0(VALU_DEP_2) | instskip(NEXT) | instid1(VALU_DEP_2)
	v_add_f64_e32 v[4:5], v[6:7], v[4:5]
	v_add_f64_e32 v[6:7], v[8:9], v[136:137]
	s_wait_loadcnt 0x0
	s_delay_alu instid0(VALU_DEP_2) | instskip(NEXT) | instid1(VALU_DEP_2)
	v_add_f64_e64 v[4:5], v[130:131], -v[4:5]
	v_add_f64_e64 v[6:7], v[132:133], -v[6:7]
	scratch_store_b128 off, v[4:7], off offset:832
	s_wait_xcnt 0x0
	v_cmpx_lt_u32_e32 51, v1
	s_cbranch_execz .LBB55_247
; %bb.246:
	scratch_load_b128 v[6:9], off, s36
	v_dual_mov_b32 v3, v2 :: v_dual_mov_b32 v4, v2
	v_mov_b32_e32 v5, v2
	scratch_store_b128 off, v[2:5], off offset:816
	s_wait_loadcnt 0x0
	ds_store_b128 v12, v[6:9]
.LBB55_247:
	s_wait_xcnt 0x0
	s_or_b32 exec_lo, exec_lo, s2
	s_wait_storecnt_dscnt 0x0
	s_barrier_signal -1
	s_barrier_wait -1
	s_clause 0x4
	scratch_load_b128 v[4:7], off, off offset:832
	scratch_load_b128 v[8:11], off, off offset:848
	scratch_load_b128 v[126:129], off, off offset:864
	scratch_load_b128 v[130:133], off, off offset:880
	scratch_load_b128 v[134:137], off, off offset:816
	ds_load_b128 v[138:141], v2 offset:1728
	ds_load_b128 v[142:145], v2 offset:1744
	s_mov_b32 s2, exec_lo
	s_wait_loadcnt_dscnt 0x401
	v_mul_f64_e32 v[146:147], v[140:141], v[6:7]
	v_mul_f64_e32 v[148:149], v[138:139], v[6:7]
	s_wait_loadcnt_dscnt 0x300
	v_mul_f64_e32 v[150:151], v[142:143], v[10:11]
	v_mul_f64_e32 v[10:11], v[144:145], v[10:11]
	s_delay_alu instid0(VALU_DEP_4) | instskip(NEXT) | instid1(VALU_DEP_4)
	v_fma_f64 v[146:147], v[138:139], v[4:5], -v[146:147]
	v_fmac_f64_e32 v[148:149], v[140:141], v[4:5]
	ds_load_b128 v[4:7], v2 offset:1760
	ds_load_b128 v[138:141], v2 offset:1776
	v_fmac_f64_e32 v[150:151], v[144:145], v[8:9]
	v_fma_f64 v[8:9], v[142:143], v[8:9], -v[10:11]
	s_wait_loadcnt_dscnt 0x201
	v_mul_f64_e32 v[2:3], v[4:5], v[128:129]
	v_mul_f64_e32 v[128:129], v[6:7], v[128:129]
	s_wait_loadcnt_dscnt 0x100
	v_mul_f64_e32 v[144:145], v[138:139], v[132:133]
	v_mul_f64_e32 v[132:133], v[140:141], v[132:133]
	v_add_f64_e32 v[10:11], 0, v[146:147]
	v_add_f64_e32 v[142:143], 0, v[148:149]
	v_fmac_f64_e32 v[2:3], v[6:7], v[126:127]
	v_fma_f64 v[4:5], v[4:5], v[126:127], -v[128:129]
	v_fmac_f64_e32 v[144:145], v[140:141], v[130:131]
	v_add_f64_e32 v[6:7], v[10:11], v[8:9]
	v_add_f64_e32 v[8:9], v[142:143], v[150:151]
	v_fma_f64 v[10:11], v[138:139], v[130:131], -v[132:133]
	s_delay_alu instid0(VALU_DEP_3) | instskip(NEXT) | instid1(VALU_DEP_3)
	v_add_f64_e32 v[4:5], v[6:7], v[4:5]
	v_add_f64_e32 v[2:3], v[8:9], v[2:3]
	s_delay_alu instid0(VALU_DEP_2) | instskip(NEXT) | instid1(VALU_DEP_2)
	v_add_f64_e32 v[4:5], v[4:5], v[10:11]
	v_add_f64_e32 v[6:7], v[2:3], v[144:145]
	s_wait_loadcnt 0x0
	s_delay_alu instid0(VALU_DEP_2) | instskip(NEXT) | instid1(VALU_DEP_2)
	v_add_f64_e64 v[2:3], v[134:135], -v[4:5]
	v_add_f64_e64 v[4:5], v[136:137], -v[6:7]
	scratch_store_b128 off, v[2:5], off offset:816
	s_wait_xcnt 0x0
	v_cmpx_lt_u32_e32 50, v1
	s_cbranch_execz .LBB55_249
; %bb.248:
	scratch_load_b128 v[2:5], off, s43
	v_mov_b32_e32 v6, 0
	s_delay_alu instid0(VALU_DEP_1)
	v_dual_mov_b32 v7, v6 :: v_dual_mov_b32 v8, v6
	v_mov_b32_e32 v9, v6
	scratch_store_b128 off, v[6:9], off offset:800
	s_wait_loadcnt 0x0
	ds_store_b128 v12, v[2:5]
.LBB55_249:
	s_wait_xcnt 0x0
	s_or_b32 exec_lo, exec_lo, s2
	s_wait_storecnt_dscnt 0x0
	s_barrier_signal -1
	s_barrier_wait -1
	s_clause 0x5
	scratch_load_b128 v[4:7], off, off offset:816
	scratch_load_b128 v[8:11], off, off offset:832
	;; [unrolled: 1-line block ×6, first 2 shown]
	v_mov_b32_e32 v2, 0
	ds_load_b128 v[142:145], v2 offset:1712
	ds_load_b128 v[146:149], v2 offset:1728
	s_mov_b32 s2, exec_lo
	s_wait_loadcnt_dscnt 0x501
	v_mul_f64_e32 v[150:151], v[144:145], v[6:7]
	v_mul_f64_e32 v[152:153], v[142:143], v[6:7]
	s_wait_loadcnt_dscnt 0x400
	v_mul_f64_e32 v[154:155], v[146:147], v[10:11]
	v_mul_f64_e32 v[10:11], v[148:149], v[10:11]
	s_delay_alu instid0(VALU_DEP_4) | instskip(NEXT) | instid1(VALU_DEP_4)
	v_fma_f64 v[150:151], v[142:143], v[4:5], -v[150:151]
	v_fmac_f64_e32 v[152:153], v[144:145], v[4:5]
	ds_load_b128 v[4:7], v2 offset:1744
	ds_load_b128 v[142:145], v2 offset:1760
	v_fmac_f64_e32 v[154:155], v[148:149], v[8:9]
	v_fma_f64 v[8:9], v[146:147], v[8:9], -v[10:11]
	s_wait_loadcnt_dscnt 0x301
	v_mul_f64_e32 v[156:157], v[4:5], v[128:129]
	v_mul_f64_e32 v[128:129], v[6:7], v[128:129]
	s_wait_loadcnt_dscnt 0x200
	v_mul_f64_e32 v[148:149], v[142:143], v[132:133]
	v_mul_f64_e32 v[132:133], v[144:145], v[132:133]
	v_add_f64_e32 v[10:11], 0, v[150:151]
	v_add_f64_e32 v[146:147], 0, v[152:153]
	v_fmac_f64_e32 v[156:157], v[6:7], v[126:127]
	v_fma_f64 v[126:127], v[4:5], v[126:127], -v[128:129]
	ds_load_b128 v[4:7], v2 offset:1776
	v_fmac_f64_e32 v[148:149], v[144:145], v[130:131]
	v_fma_f64 v[130:131], v[142:143], v[130:131], -v[132:133]
	v_add_f64_e32 v[8:9], v[10:11], v[8:9]
	v_add_f64_e32 v[10:11], v[146:147], v[154:155]
	s_wait_loadcnt_dscnt 0x100
	v_mul_f64_e32 v[128:129], v[4:5], v[136:137]
	v_mul_f64_e32 v[136:137], v[6:7], v[136:137]
	s_delay_alu instid0(VALU_DEP_4) | instskip(NEXT) | instid1(VALU_DEP_4)
	v_add_f64_e32 v[8:9], v[8:9], v[126:127]
	v_add_f64_e32 v[10:11], v[10:11], v[156:157]
	s_delay_alu instid0(VALU_DEP_4) | instskip(NEXT) | instid1(VALU_DEP_4)
	v_fmac_f64_e32 v[128:129], v[6:7], v[134:135]
	v_fma_f64 v[4:5], v[4:5], v[134:135], -v[136:137]
	s_delay_alu instid0(VALU_DEP_4) | instskip(NEXT) | instid1(VALU_DEP_4)
	v_add_f64_e32 v[6:7], v[8:9], v[130:131]
	v_add_f64_e32 v[8:9], v[10:11], v[148:149]
	s_delay_alu instid0(VALU_DEP_2) | instskip(NEXT) | instid1(VALU_DEP_2)
	v_add_f64_e32 v[4:5], v[6:7], v[4:5]
	v_add_f64_e32 v[6:7], v[8:9], v[128:129]
	s_wait_loadcnt 0x0
	s_delay_alu instid0(VALU_DEP_2) | instskip(NEXT) | instid1(VALU_DEP_2)
	v_add_f64_e64 v[4:5], v[138:139], -v[4:5]
	v_add_f64_e64 v[6:7], v[140:141], -v[6:7]
	scratch_store_b128 off, v[4:7], off offset:800
	s_wait_xcnt 0x0
	v_cmpx_lt_u32_e32 49, v1
	s_cbranch_execz .LBB55_251
; %bb.250:
	scratch_load_b128 v[6:9], off, s41
	v_dual_mov_b32 v3, v2 :: v_dual_mov_b32 v4, v2
	v_mov_b32_e32 v5, v2
	scratch_store_b128 off, v[2:5], off offset:784
	s_wait_loadcnt 0x0
	ds_store_b128 v12, v[6:9]
.LBB55_251:
	s_wait_xcnt 0x0
	s_or_b32 exec_lo, exec_lo, s2
	s_wait_storecnt_dscnt 0x0
	s_barrier_signal -1
	s_barrier_wait -1
	s_clause 0x6
	scratch_load_b128 v[4:7], off, off offset:800
	scratch_load_b128 v[8:11], off, off offset:816
	;; [unrolled: 1-line block ×7, first 2 shown]
	ds_load_b128 v[146:149], v2 offset:1696
	ds_load_b128 v[150:153], v2 offset:1712
	s_mov_b32 s2, exec_lo
	s_wait_loadcnt_dscnt 0x601
	v_mul_f64_e32 v[154:155], v[148:149], v[6:7]
	v_mul_f64_e32 v[156:157], v[146:147], v[6:7]
	s_wait_loadcnt_dscnt 0x500
	v_mul_f64_e32 v[158:159], v[150:151], v[10:11]
	v_mul_f64_e32 v[10:11], v[152:153], v[10:11]
	s_delay_alu instid0(VALU_DEP_4) | instskip(NEXT) | instid1(VALU_DEP_4)
	v_fma_f64 v[154:155], v[146:147], v[4:5], -v[154:155]
	v_fmac_f64_e32 v[156:157], v[148:149], v[4:5]
	ds_load_b128 v[4:7], v2 offset:1728
	ds_load_b128 v[146:149], v2 offset:1744
	v_fmac_f64_e32 v[158:159], v[152:153], v[8:9]
	v_fma_f64 v[8:9], v[150:151], v[8:9], -v[10:11]
	s_wait_loadcnt_dscnt 0x401
	v_mul_f64_e32 v[160:161], v[4:5], v[128:129]
	v_mul_f64_e32 v[128:129], v[6:7], v[128:129]
	s_wait_loadcnt_dscnt 0x300
	v_mul_f64_e32 v[152:153], v[146:147], v[132:133]
	v_mul_f64_e32 v[132:133], v[148:149], v[132:133]
	v_add_f64_e32 v[10:11], 0, v[154:155]
	v_add_f64_e32 v[150:151], 0, v[156:157]
	v_fmac_f64_e32 v[160:161], v[6:7], v[126:127]
	v_fma_f64 v[126:127], v[4:5], v[126:127], -v[128:129]
	v_fmac_f64_e32 v[152:153], v[148:149], v[130:131]
	v_fma_f64 v[130:131], v[146:147], v[130:131], -v[132:133]
	v_add_f64_e32 v[128:129], v[10:11], v[8:9]
	v_add_f64_e32 v[150:151], v[150:151], v[158:159]
	ds_load_b128 v[4:7], v2 offset:1760
	ds_load_b128 v[8:11], v2 offset:1776
	s_wait_loadcnt_dscnt 0x201
	v_mul_f64_e32 v[2:3], v[4:5], v[136:137]
	v_mul_f64_e32 v[136:137], v[6:7], v[136:137]
	s_wait_loadcnt_dscnt 0x100
	v_mul_f64_e32 v[132:133], v[8:9], v[140:141]
	v_mul_f64_e32 v[140:141], v[10:11], v[140:141]
	v_add_f64_e32 v[126:127], v[128:129], v[126:127]
	v_add_f64_e32 v[128:129], v[150:151], v[160:161]
	v_fmac_f64_e32 v[2:3], v[6:7], v[134:135]
	v_fma_f64 v[4:5], v[4:5], v[134:135], -v[136:137]
	v_fmac_f64_e32 v[132:133], v[10:11], v[138:139]
	v_fma_f64 v[8:9], v[8:9], v[138:139], -v[140:141]
	v_add_f64_e32 v[6:7], v[126:127], v[130:131]
	v_add_f64_e32 v[126:127], v[128:129], v[152:153]
	s_delay_alu instid0(VALU_DEP_2) | instskip(NEXT) | instid1(VALU_DEP_2)
	v_add_f64_e32 v[4:5], v[6:7], v[4:5]
	v_add_f64_e32 v[2:3], v[126:127], v[2:3]
	s_delay_alu instid0(VALU_DEP_2) | instskip(NEXT) | instid1(VALU_DEP_2)
	v_add_f64_e32 v[4:5], v[4:5], v[8:9]
	v_add_f64_e32 v[6:7], v[2:3], v[132:133]
	s_wait_loadcnt 0x0
	s_delay_alu instid0(VALU_DEP_2) | instskip(NEXT) | instid1(VALU_DEP_2)
	v_add_f64_e64 v[2:3], v[142:143], -v[4:5]
	v_add_f64_e64 v[4:5], v[144:145], -v[6:7]
	scratch_store_b128 off, v[2:5], off offset:784
	s_wait_xcnt 0x0
	v_cmpx_lt_u32_e32 48, v1
	s_cbranch_execz .LBB55_253
; %bb.252:
	scratch_load_b128 v[2:5], off, s9
	v_mov_b32_e32 v6, 0
	s_delay_alu instid0(VALU_DEP_1)
	v_dual_mov_b32 v7, v6 :: v_dual_mov_b32 v8, v6
	v_mov_b32_e32 v9, v6
	scratch_store_b128 off, v[6:9], off offset:768
	s_wait_loadcnt 0x0
	ds_store_b128 v12, v[2:5]
.LBB55_253:
	s_wait_xcnt 0x0
	s_or_b32 exec_lo, exec_lo, s2
	s_wait_storecnt_dscnt 0x0
	s_barrier_signal -1
	s_barrier_wait -1
	s_clause 0x7
	scratch_load_b128 v[4:7], off, off offset:784
	scratch_load_b128 v[8:11], off, off offset:800
	;; [unrolled: 1-line block ×8, first 2 shown]
	v_mov_b32_e32 v2, 0
	ds_load_b128 v[150:153], v2 offset:1680
	ds_load_b128 v[154:157], v2 offset:1696
	s_mov_b32 s2, exec_lo
	s_wait_loadcnt_dscnt 0x701
	v_mul_f64_e32 v[158:159], v[152:153], v[6:7]
	v_mul_f64_e32 v[160:161], v[150:151], v[6:7]
	s_wait_loadcnt_dscnt 0x600
	v_mul_f64_e32 v[162:163], v[154:155], v[10:11]
	v_mul_f64_e32 v[10:11], v[156:157], v[10:11]
	s_delay_alu instid0(VALU_DEP_4) | instskip(NEXT) | instid1(VALU_DEP_4)
	v_fma_f64 v[158:159], v[150:151], v[4:5], -v[158:159]
	v_fmac_f64_e32 v[160:161], v[152:153], v[4:5]
	ds_load_b128 v[4:7], v2 offset:1712
	ds_load_b128 v[150:153], v2 offset:1728
	v_fmac_f64_e32 v[162:163], v[156:157], v[8:9]
	v_fma_f64 v[8:9], v[154:155], v[8:9], -v[10:11]
	s_wait_loadcnt_dscnt 0x501
	v_mul_f64_e32 v[164:165], v[4:5], v[128:129]
	v_mul_f64_e32 v[128:129], v[6:7], v[128:129]
	s_wait_loadcnt_dscnt 0x400
	v_mul_f64_e32 v[156:157], v[150:151], v[132:133]
	v_mul_f64_e32 v[132:133], v[152:153], v[132:133]
	v_add_f64_e32 v[10:11], 0, v[158:159]
	v_add_f64_e32 v[154:155], 0, v[160:161]
	v_fmac_f64_e32 v[164:165], v[6:7], v[126:127]
	v_fma_f64 v[126:127], v[4:5], v[126:127], -v[128:129]
	v_fmac_f64_e32 v[156:157], v[152:153], v[130:131]
	v_fma_f64 v[130:131], v[150:151], v[130:131], -v[132:133]
	v_add_f64_e32 v[128:129], v[10:11], v[8:9]
	v_add_f64_e32 v[154:155], v[154:155], v[162:163]
	ds_load_b128 v[4:7], v2 offset:1744
	ds_load_b128 v[8:11], v2 offset:1760
	s_wait_loadcnt_dscnt 0x301
	v_mul_f64_e32 v[158:159], v[4:5], v[136:137]
	v_mul_f64_e32 v[136:137], v[6:7], v[136:137]
	s_wait_loadcnt_dscnt 0x200
	v_mul_f64_e32 v[132:133], v[8:9], v[140:141]
	v_mul_f64_e32 v[140:141], v[10:11], v[140:141]
	v_add_f64_e32 v[126:127], v[128:129], v[126:127]
	v_add_f64_e32 v[128:129], v[154:155], v[164:165]
	v_fmac_f64_e32 v[158:159], v[6:7], v[134:135]
	v_fma_f64 v[134:135], v[4:5], v[134:135], -v[136:137]
	ds_load_b128 v[4:7], v2 offset:1776
	v_fmac_f64_e32 v[132:133], v[10:11], v[138:139]
	v_fma_f64 v[8:9], v[8:9], v[138:139], -v[140:141]
	v_add_f64_e32 v[126:127], v[126:127], v[130:131]
	v_add_f64_e32 v[128:129], v[128:129], v[156:157]
	s_wait_loadcnt_dscnt 0x100
	v_mul_f64_e32 v[130:131], v[4:5], v[144:145]
	v_mul_f64_e32 v[136:137], v[6:7], v[144:145]
	s_delay_alu instid0(VALU_DEP_4) | instskip(NEXT) | instid1(VALU_DEP_4)
	v_add_f64_e32 v[10:11], v[126:127], v[134:135]
	v_add_f64_e32 v[126:127], v[128:129], v[158:159]
	s_delay_alu instid0(VALU_DEP_4) | instskip(NEXT) | instid1(VALU_DEP_4)
	v_fmac_f64_e32 v[130:131], v[6:7], v[142:143]
	v_fma_f64 v[4:5], v[4:5], v[142:143], -v[136:137]
	s_delay_alu instid0(VALU_DEP_4) | instskip(NEXT) | instid1(VALU_DEP_4)
	v_add_f64_e32 v[6:7], v[10:11], v[8:9]
	v_add_f64_e32 v[8:9], v[126:127], v[132:133]
	s_delay_alu instid0(VALU_DEP_2) | instskip(NEXT) | instid1(VALU_DEP_2)
	v_add_f64_e32 v[4:5], v[6:7], v[4:5]
	v_add_f64_e32 v[6:7], v[8:9], v[130:131]
	s_wait_loadcnt 0x0
	s_delay_alu instid0(VALU_DEP_2) | instskip(NEXT) | instid1(VALU_DEP_2)
	v_add_f64_e64 v[4:5], v[146:147], -v[4:5]
	v_add_f64_e64 v[6:7], v[148:149], -v[6:7]
	scratch_store_b128 off, v[4:7], off offset:768
	s_wait_xcnt 0x0
	v_cmpx_lt_u32_e32 47, v1
	s_cbranch_execz .LBB55_255
; %bb.254:
	scratch_load_b128 v[6:9], off, s8
	v_dual_mov_b32 v3, v2 :: v_dual_mov_b32 v4, v2
	v_mov_b32_e32 v5, v2
	scratch_store_b128 off, v[2:5], off offset:752
	s_wait_loadcnt 0x0
	ds_store_b128 v12, v[6:9]
.LBB55_255:
	s_wait_xcnt 0x0
	s_or_b32 exec_lo, exec_lo, s2
	s_wait_storecnt_dscnt 0x0
	s_barrier_signal -1
	s_barrier_wait -1
	s_clause 0x7
	scratch_load_b128 v[4:7], off, off offset:768
	scratch_load_b128 v[8:11], off, off offset:784
	;; [unrolled: 1-line block ×8, first 2 shown]
	ds_load_b128 v[150:153], v2 offset:1664
	ds_load_b128 v[154:157], v2 offset:1680
	scratch_load_b128 v[158:161], off, off offset:752
	s_mov_b32 s2, exec_lo
	s_wait_loadcnt_dscnt 0x801
	v_mul_f64_e32 v[162:163], v[152:153], v[6:7]
	v_mul_f64_e32 v[164:165], v[150:151], v[6:7]
	s_wait_loadcnt_dscnt 0x700
	v_mul_f64_e32 v[166:167], v[154:155], v[10:11]
	v_mul_f64_e32 v[10:11], v[156:157], v[10:11]
	s_delay_alu instid0(VALU_DEP_4) | instskip(NEXT) | instid1(VALU_DEP_4)
	v_fma_f64 v[162:163], v[150:151], v[4:5], -v[162:163]
	v_fmac_f64_e32 v[164:165], v[152:153], v[4:5]
	ds_load_b128 v[4:7], v2 offset:1696
	ds_load_b128 v[150:153], v2 offset:1712
	v_fmac_f64_e32 v[166:167], v[156:157], v[8:9]
	v_fma_f64 v[8:9], v[154:155], v[8:9], -v[10:11]
	s_wait_loadcnt_dscnt 0x601
	v_mul_f64_e32 v[168:169], v[4:5], v[128:129]
	v_mul_f64_e32 v[128:129], v[6:7], v[128:129]
	s_wait_loadcnt_dscnt 0x500
	v_mul_f64_e32 v[156:157], v[150:151], v[132:133]
	v_mul_f64_e32 v[132:133], v[152:153], v[132:133]
	v_add_f64_e32 v[10:11], 0, v[162:163]
	v_add_f64_e32 v[154:155], 0, v[164:165]
	v_fmac_f64_e32 v[168:169], v[6:7], v[126:127]
	v_fma_f64 v[126:127], v[4:5], v[126:127], -v[128:129]
	v_fmac_f64_e32 v[156:157], v[152:153], v[130:131]
	v_fma_f64 v[130:131], v[150:151], v[130:131], -v[132:133]
	v_add_f64_e32 v[128:129], v[10:11], v[8:9]
	v_add_f64_e32 v[154:155], v[154:155], v[166:167]
	ds_load_b128 v[4:7], v2 offset:1728
	ds_load_b128 v[8:11], v2 offset:1744
	s_wait_loadcnt_dscnt 0x401
	v_mul_f64_e32 v[162:163], v[4:5], v[136:137]
	v_mul_f64_e32 v[136:137], v[6:7], v[136:137]
	s_wait_loadcnt_dscnt 0x300
	v_mul_f64_e32 v[132:133], v[8:9], v[140:141]
	v_mul_f64_e32 v[140:141], v[10:11], v[140:141]
	v_add_f64_e32 v[126:127], v[128:129], v[126:127]
	v_add_f64_e32 v[128:129], v[154:155], v[168:169]
	v_fmac_f64_e32 v[162:163], v[6:7], v[134:135]
	v_fma_f64 v[134:135], v[4:5], v[134:135], -v[136:137]
	v_fmac_f64_e32 v[132:133], v[10:11], v[138:139]
	v_fma_f64 v[8:9], v[8:9], v[138:139], -v[140:141]
	v_add_f64_e32 v[130:131], v[126:127], v[130:131]
	v_add_f64_e32 v[136:137], v[128:129], v[156:157]
	ds_load_b128 v[4:7], v2 offset:1760
	ds_load_b128 v[126:129], v2 offset:1776
	s_wait_loadcnt_dscnt 0x201
	v_mul_f64_e32 v[2:3], v[4:5], v[144:145]
	v_mul_f64_e32 v[144:145], v[6:7], v[144:145]
	v_add_f64_e32 v[10:11], v[130:131], v[134:135]
	v_add_f64_e32 v[130:131], v[136:137], v[162:163]
	s_wait_loadcnt_dscnt 0x100
	v_mul_f64_e32 v[134:135], v[126:127], v[148:149]
	v_mul_f64_e32 v[136:137], v[128:129], v[148:149]
	v_fmac_f64_e32 v[2:3], v[6:7], v[142:143]
	v_fma_f64 v[4:5], v[4:5], v[142:143], -v[144:145]
	v_add_f64_e32 v[6:7], v[10:11], v[8:9]
	v_add_f64_e32 v[8:9], v[130:131], v[132:133]
	v_fmac_f64_e32 v[134:135], v[128:129], v[146:147]
	v_fma_f64 v[10:11], v[126:127], v[146:147], -v[136:137]
	s_delay_alu instid0(VALU_DEP_4) | instskip(NEXT) | instid1(VALU_DEP_4)
	v_add_f64_e32 v[4:5], v[6:7], v[4:5]
	v_add_f64_e32 v[2:3], v[8:9], v[2:3]
	s_delay_alu instid0(VALU_DEP_2) | instskip(NEXT) | instid1(VALU_DEP_2)
	v_add_f64_e32 v[4:5], v[4:5], v[10:11]
	v_add_f64_e32 v[6:7], v[2:3], v[134:135]
	s_wait_loadcnt 0x0
	s_delay_alu instid0(VALU_DEP_2) | instskip(NEXT) | instid1(VALU_DEP_2)
	v_add_f64_e64 v[2:3], v[158:159], -v[4:5]
	v_add_f64_e64 v[4:5], v[160:161], -v[6:7]
	scratch_store_b128 off, v[2:5], off offset:752
	s_wait_xcnt 0x0
	v_cmpx_lt_u32_e32 46, v1
	s_cbranch_execz .LBB55_257
; %bb.256:
	scratch_load_b128 v[2:5], off, s11
	v_mov_b32_e32 v6, 0
	s_delay_alu instid0(VALU_DEP_1)
	v_dual_mov_b32 v7, v6 :: v_dual_mov_b32 v8, v6
	v_mov_b32_e32 v9, v6
	scratch_store_b128 off, v[6:9], off offset:736
	s_wait_loadcnt 0x0
	ds_store_b128 v12, v[2:5]
.LBB55_257:
	s_wait_xcnt 0x0
	s_or_b32 exec_lo, exec_lo, s2
	s_wait_storecnt_dscnt 0x0
	s_barrier_signal -1
	s_barrier_wait -1
	s_clause 0x8
	scratch_load_b128 v[4:7], off, off offset:752
	scratch_load_b128 v[8:11], off, off offset:768
	;; [unrolled: 1-line block ×9, first 2 shown]
	v_mov_b32_e32 v2, 0
	scratch_load_b128 v[158:161], off, off offset:736
	s_mov_b32 s2, exec_lo
	ds_load_b128 v[154:157], v2 offset:1648
	ds_load_b128 v[162:165], v2 offset:1664
	s_wait_loadcnt_dscnt 0x901
	v_mul_f64_e32 v[166:167], v[156:157], v[6:7]
	v_mul_f64_e32 v[168:169], v[154:155], v[6:7]
	s_wait_loadcnt_dscnt 0x800
	v_mul_f64_e32 v[170:171], v[162:163], v[10:11]
	v_mul_f64_e32 v[10:11], v[164:165], v[10:11]
	s_delay_alu instid0(VALU_DEP_4) | instskip(NEXT) | instid1(VALU_DEP_4)
	v_fma_f64 v[166:167], v[154:155], v[4:5], -v[166:167]
	v_fmac_f64_e32 v[168:169], v[156:157], v[4:5]
	ds_load_b128 v[4:7], v2 offset:1680
	ds_load_b128 v[154:157], v2 offset:1696
	v_fmac_f64_e32 v[170:171], v[164:165], v[8:9]
	v_fma_f64 v[8:9], v[162:163], v[8:9], -v[10:11]
	s_wait_loadcnt_dscnt 0x701
	v_mul_f64_e32 v[172:173], v[4:5], v[128:129]
	v_mul_f64_e32 v[128:129], v[6:7], v[128:129]
	s_wait_loadcnt_dscnt 0x600
	v_mul_f64_e32 v[164:165], v[154:155], v[132:133]
	v_mul_f64_e32 v[132:133], v[156:157], v[132:133]
	v_add_f64_e32 v[10:11], 0, v[166:167]
	v_add_f64_e32 v[162:163], 0, v[168:169]
	v_fmac_f64_e32 v[172:173], v[6:7], v[126:127]
	v_fma_f64 v[126:127], v[4:5], v[126:127], -v[128:129]
	v_fmac_f64_e32 v[164:165], v[156:157], v[130:131]
	v_fma_f64 v[130:131], v[154:155], v[130:131], -v[132:133]
	v_add_f64_e32 v[128:129], v[10:11], v[8:9]
	v_add_f64_e32 v[162:163], v[162:163], v[170:171]
	ds_load_b128 v[4:7], v2 offset:1712
	ds_load_b128 v[8:11], v2 offset:1728
	s_wait_loadcnt_dscnt 0x501
	v_mul_f64_e32 v[166:167], v[4:5], v[136:137]
	v_mul_f64_e32 v[136:137], v[6:7], v[136:137]
	s_wait_loadcnt_dscnt 0x400
	v_mul_f64_e32 v[132:133], v[8:9], v[140:141]
	v_mul_f64_e32 v[140:141], v[10:11], v[140:141]
	v_add_f64_e32 v[126:127], v[128:129], v[126:127]
	v_add_f64_e32 v[128:129], v[162:163], v[172:173]
	v_fmac_f64_e32 v[166:167], v[6:7], v[134:135]
	v_fma_f64 v[134:135], v[4:5], v[134:135], -v[136:137]
	v_fmac_f64_e32 v[132:133], v[10:11], v[138:139]
	v_fma_f64 v[8:9], v[8:9], v[138:139], -v[140:141]
	v_add_f64_e32 v[130:131], v[126:127], v[130:131]
	v_add_f64_e32 v[136:137], v[128:129], v[164:165]
	ds_load_b128 v[4:7], v2 offset:1744
	ds_load_b128 v[126:129], v2 offset:1760
	s_wait_loadcnt_dscnt 0x301
	v_mul_f64_e32 v[154:155], v[4:5], v[144:145]
	v_mul_f64_e32 v[144:145], v[6:7], v[144:145]
	v_add_f64_e32 v[10:11], v[130:131], v[134:135]
	v_add_f64_e32 v[130:131], v[136:137], v[166:167]
	s_wait_loadcnt_dscnt 0x200
	v_mul_f64_e32 v[134:135], v[126:127], v[148:149]
	v_mul_f64_e32 v[136:137], v[128:129], v[148:149]
	v_fmac_f64_e32 v[154:155], v[6:7], v[142:143]
	v_fma_f64 v[138:139], v[4:5], v[142:143], -v[144:145]
	ds_load_b128 v[4:7], v2 offset:1776
	v_add_f64_e32 v[8:9], v[10:11], v[8:9]
	v_add_f64_e32 v[10:11], v[130:131], v[132:133]
	v_fmac_f64_e32 v[134:135], v[128:129], v[146:147]
	v_fma_f64 v[126:127], v[126:127], v[146:147], -v[136:137]
	s_wait_loadcnt_dscnt 0x100
	v_mul_f64_e32 v[130:131], v[4:5], v[152:153]
	v_mul_f64_e32 v[132:133], v[6:7], v[152:153]
	v_add_f64_e32 v[8:9], v[8:9], v[138:139]
	v_add_f64_e32 v[10:11], v[10:11], v[154:155]
	s_delay_alu instid0(VALU_DEP_4) | instskip(NEXT) | instid1(VALU_DEP_4)
	v_fmac_f64_e32 v[130:131], v[6:7], v[150:151]
	v_fma_f64 v[4:5], v[4:5], v[150:151], -v[132:133]
	s_delay_alu instid0(VALU_DEP_4) | instskip(NEXT) | instid1(VALU_DEP_4)
	v_add_f64_e32 v[6:7], v[8:9], v[126:127]
	v_add_f64_e32 v[8:9], v[10:11], v[134:135]
	s_delay_alu instid0(VALU_DEP_2) | instskip(NEXT) | instid1(VALU_DEP_2)
	v_add_f64_e32 v[4:5], v[6:7], v[4:5]
	v_add_f64_e32 v[6:7], v[8:9], v[130:131]
	s_wait_loadcnt 0x0
	s_delay_alu instid0(VALU_DEP_2) | instskip(NEXT) | instid1(VALU_DEP_2)
	v_add_f64_e64 v[4:5], v[158:159], -v[4:5]
	v_add_f64_e64 v[6:7], v[160:161], -v[6:7]
	scratch_store_b128 off, v[4:7], off offset:736
	s_wait_xcnt 0x0
	v_cmpx_lt_u32_e32 45, v1
	s_cbranch_execz .LBB55_259
; %bb.258:
	scratch_load_b128 v[6:9], off, s10
	v_dual_mov_b32 v3, v2 :: v_dual_mov_b32 v4, v2
	v_mov_b32_e32 v5, v2
	scratch_store_b128 off, v[2:5], off offset:720
	s_wait_loadcnt 0x0
	ds_store_b128 v12, v[6:9]
.LBB55_259:
	s_wait_xcnt 0x0
	s_or_b32 exec_lo, exec_lo, s2
	s_wait_storecnt_dscnt 0x0
	s_barrier_signal -1
	s_barrier_wait -1
	s_clause 0x9
	scratch_load_b128 v[4:7], off, off offset:736
	scratch_load_b128 v[8:11], off, off offset:752
	scratch_load_b128 v[126:129], off, off offset:768
	scratch_load_b128 v[130:133], off, off offset:784
	scratch_load_b128 v[134:137], off, off offset:800
	scratch_load_b128 v[138:141], off, off offset:816
	scratch_load_b128 v[142:145], off, off offset:832
	scratch_load_b128 v[146:149], off, off offset:848
	scratch_load_b128 v[150:153], off, off offset:864
	scratch_load_b128 v[154:157], off, off offset:880
	ds_load_b128 v[158:161], v2 offset:1632
	ds_load_b128 v[162:165], v2 offset:1648
	scratch_load_b128 v[166:169], off, off offset:720
	s_mov_b32 s2, exec_lo
	s_wait_loadcnt_dscnt 0xa01
	v_mul_f64_e32 v[170:171], v[160:161], v[6:7]
	v_mul_f64_e32 v[172:173], v[158:159], v[6:7]
	s_wait_loadcnt_dscnt 0x900
	v_mul_f64_e32 v[174:175], v[162:163], v[10:11]
	v_mul_f64_e32 v[10:11], v[164:165], v[10:11]
	s_delay_alu instid0(VALU_DEP_4) | instskip(NEXT) | instid1(VALU_DEP_4)
	v_fma_f64 v[170:171], v[158:159], v[4:5], -v[170:171]
	v_fmac_f64_e32 v[172:173], v[160:161], v[4:5]
	ds_load_b128 v[4:7], v2 offset:1664
	ds_load_b128 v[158:161], v2 offset:1680
	v_fmac_f64_e32 v[174:175], v[164:165], v[8:9]
	v_fma_f64 v[8:9], v[162:163], v[8:9], -v[10:11]
	s_wait_loadcnt_dscnt 0x801
	v_mul_f64_e32 v[176:177], v[4:5], v[128:129]
	v_mul_f64_e32 v[128:129], v[6:7], v[128:129]
	s_wait_loadcnt_dscnt 0x700
	v_mul_f64_e32 v[164:165], v[158:159], v[132:133]
	v_mul_f64_e32 v[132:133], v[160:161], v[132:133]
	v_add_f64_e32 v[10:11], 0, v[170:171]
	v_add_f64_e32 v[162:163], 0, v[172:173]
	v_fmac_f64_e32 v[176:177], v[6:7], v[126:127]
	v_fma_f64 v[126:127], v[4:5], v[126:127], -v[128:129]
	v_fmac_f64_e32 v[164:165], v[160:161], v[130:131]
	v_fma_f64 v[130:131], v[158:159], v[130:131], -v[132:133]
	v_add_f64_e32 v[128:129], v[10:11], v[8:9]
	v_add_f64_e32 v[162:163], v[162:163], v[174:175]
	ds_load_b128 v[4:7], v2 offset:1696
	ds_load_b128 v[8:11], v2 offset:1712
	s_wait_loadcnt_dscnt 0x601
	v_mul_f64_e32 v[170:171], v[4:5], v[136:137]
	v_mul_f64_e32 v[136:137], v[6:7], v[136:137]
	s_wait_loadcnt_dscnt 0x500
	v_mul_f64_e32 v[132:133], v[8:9], v[140:141]
	v_mul_f64_e32 v[140:141], v[10:11], v[140:141]
	v_add_f64_e32 v[126:127], v[128:129], v[126:127]
	v_add_f64_e32 v[128:129], v[162:163], v[176:177]
	v_fmac_f64_e32 v[170:171], v[6:7], v[134:135]
	v_fma_f64 v[134:135], v[4:5], v[134:135], -v[136:137]
	v_fmac_f64_e32 v[132:133], v[10:11], v[138:139]
	v_fma_f64 v[8:9], v[8:9], v[138:139], -v[140:141]
	v_add_f64_e32 v[130:131], v[126:127], v[130:131]
	v_add_f64_e32 v[136:137], v[128:129], v[164:165]
	ds_load_b128 v[4:7], v2 offset:1728
	ds_load_b128 v[126:129], v2 offset:1744
	s_wait_loadcnt_dscnt 0x401
	v_mul_f64_e32 v[158:159], v[4:5], v[144:145]
	v_mul_f64_e32 v[144:145], v[6:7], v[144:145]
	v_add_f64_e32 v[10:11], v[130:131], v[134:135]
	v_add_f64_e32 v[130:131], v[136:137], v[170:171]
	s_wait_loadcnt_dscnt 0x300
	v_mul_f64_e32 v[134:135], v[126:127], v[148:149]
	v_mul_f64_e32 v[136:137], v[128:129], v[148:149]
	v_fmac_f64_e32 v[158:159], v[6:7], v[142:143]
	v_fma_f64 v[138:139], v[4:5], v[142:143], -v[144:145]
	v_add_f64_e32 v[140:141], v[10:11], v[8:9]
	v_add_f64_e32 v[130:131], v[130:131], v[132:133]
	ds_load_b128 v[4:7], v2 offset:1760
	ds_load_b128 v[8:11], v2 offset:1776
	v_fmac_f64_e32 v[134:135], v[128:129], v[146:147]
	v_fma_f64 v[126:127], v[126:127], v[146:147], -v[136:137]
	s_wait_loadcnt_dscnt 0x201
	v_mul_f64_e32 v[2:3], v[4:5], v[152:153]
	v_mul_f64_e32 v[132:133], v[6:7], v[152:153]
	s_wait_loadcnt_dscnt 0x100
	v_mul_f64_e32 v[136:137], v[8:9], v[156:157]
	v_add_f64_e32 v[128:129], v[140:141], v[138:139]
	v_add_f64_e32 v[130:131], v[130:131], v[158:159]
	v_mul_f64_e32 v[138:139], v[10:11], v[156:157]
	v_fmac_f64_e32 v[2:3], v[6:7], v[150:151]
	v_fma_f64 v[4:5], v[4:5], v[150:151], -v[132:133]
	v_fmac_f64_e32 v[136:137], v[10:11], v[154:155]
	v_add_f64_e32 v[6:7], v[128:129], v[126:127]
	v_add_f64_e32 v[126:127], v[130:131], v[134:135]
	v_fma_f64 v[8:9], v[8:9], v[154:155], -v[138:139]
	s_delay_alu instid0(VALU_DEP_3) | instskip(NEXT) | instid1(VALU_DEP_3)
	v_add_f64_e32 v[4:5], v[6:7], v[4:5]
	v_add_f64_e32 v[2:3], v[126:127], v[2:3]
	s_delay_alu instid0(VALU_DEP_2) | instskip(NEXT) | instid1(VALU_DEP_2)
	v_add_f64_e32 v[4:5], v[4:5], v[8:9]
	v_add_f64_e32 v[6:7], v[2:3], v[136:137]
	s_wait_loadcnt 0x0
	s_delay_alu instid0(VALU_DEP_2) | instskip(NEXT) | instid1(VALU_DEP_2)
	v_add_f64_e64 v[2:3], v[166:167], -v[4:5]
	v_add_f64_e64 v[4:5], v[168:169], -v[6:7]
	scratch_store_b128 off, v[2:5], off offset:720
	s_wait_xcnt 0x0
	v_cmpx_lt_u32_e32 44, v1
	s_cbranch_execz .LBB55_261
; %bb.260:
	scratch_load_b128 v[2:5], off, s13
	v_mov_b32_e32 v6, 0
	s_delay_alu instid0(VALU_DEP_1)
	v_dual_mov_b32 v7, v6 :: v_dual_mov_b32 v8, v6
	v_mov_b32_e32 v9, v6
	scratch_store_b128 off, v[6:9], off offset:704
	s_wait_loadcnt 0x0
	ds_store_b128 v12, v[2:5]
.LBB55_261:
	s_wait_xcnt 0x0
	s_or_b32 exec_lo, exec_lo, s2
	s_wait_storecnt_dscnt 0x0
	s_barrier_signal -1
	s_barrier_wait -1
	s_clause 0x9
	scratch_load_b128 v[4:7], off, off offset:720
	scratch_load_b128 v[8:11], off, off offset:736
	;; [unrolled: 1-line block ×10, first 2 shown]
	v_mov_b32_e32 v2, 0
	s_mov_b32 s2, exec_lo
	ds_load_b128 v[158:161], v2 offset:1616
	s_clause 0x1
	scratch_load_b128 v[162:165], off, off offset:880
	scratch_load_b128 v[166:169], off, off offset:704
	s_wait_loadcnt_dscnt 0xb00
	v_mul_f64_e32 v[174:175], v[160:161], v[6:7]
	v_mul_f64_e32 v[176:177], v[158:159], v[6:7]
	ds_load_b128 v[170:173], v2 offset:1632
	s_wait_loadcnt_dscnt 0xa00
	v_mul_f64_e32 v[178:179], v[170:171], v[10:11]
	v_mul_f64_e32 v[10:11], v[172:173], v[10:11]
	v_fma_f64 v[174:175], v[158:159], v[4:5], -v[174:175]
	v_fmac_f64_e32 v[176:177], v[160:161], v[4:5]
	ds_load_b128 v[4:7], v2 offset:1648
	ds_load_b128 v[158:161], v2 offset:1664
	s_wait_loadcnt_dscnt 0x901
	v_mul_f64_e32 v[180:181], v[4:5], v[128:129]
	v_mul_f64_e32 v[128:129], v[6:7], v[128:129]
	v_fmac_f64_e32 v[178:179], v[172:173], v[8:9]
	v_fma_f64 v[8:9], v[170:171], v[8:9], -v[10:11]
	s_wait_loadcnt_dscnt 0x800
	v_mul_f64_e32 v[172:173], v[158:159], v[132:133]
	v_mul_f64_e32 v[132:133], v[160:161], v[132:133]
	v_add_f64_e32 v[10:11], 0, v[174:175]
	v_add_f64_e32 v[170:171], 0, v[176:177]
	v_fmac_f64_e32 v[180:181], v[6:7], v[126:127]
	v_fma_f64 v[126:127], v[4:5], v[126:127], -v[128:129]
	v_fmac_f64_e32 v[172:173], v[160:161], v[130:131]
	v_fma_f64 v[130:131], v[158:159], v[130:131], -v[132:133]
	v_add_f64_e32 v[128:129], v[10:11], v[8:9]
	v_add_f64_e32 v[170:171], v[170:171], v[178:179]
	ds_load_b128 v[4:7], v2 offset:1680
	ds_load_b128 v[8:11], v2 offset:1696
	s_wait_loadcnt_dscnt 0x701
	v_mul_f64_e32 v[174:175], v[4:5], v[136:137]
	v_mul_f64_e32 v[136:137], v[6:7], v[136:137]
	s_wait_loadcnt_dscnt 0x600
	v_mul_f64_e32 v[132:133], v[8:9], v[140:141]
	v_mul_f64_e32 v[140:141], v[10:11], v[140:141]
	v_add_f64_e32 v[126:127], v[128:129], v[126:127]
	v_add_f64_e32 v[128:129], v[170:171], v[180:181]
	v_fmac_f64_e32 v[174:175], v[6:7], v[134:135]
	v_fma_f64 v[134:135], v[4:5], v[134:135], -v[136:137]
	v_fmac_f64_e32 v[132:133], v[10:11], v[138:139]
	v_fma_f64 v[8:9], v[8:9], v[138:139], -v[140:141]
	v_add_f64_e32 v[130:131], v[126:127], v[130:131]
	v_add_f64_e32 v[136:137], v[128:129], v[172:173]
	ds_load_b128 v[4:7], v2 offset:1712
	ds_load_b128 v[126:129], v2 offset:1728
	s_wait_loadcnt_dscnt 0x501
	v_mul_f64_e32 v[158:159], v[4:5], v[144:145]
	v_mul_f64_e32 v[144:145], v[6:7], v[144:145]
	v_add_f64_e32 v[10:11], v[130:131], v[134:135]
	v_add_f64_e32 v[130:131], v[136:137], v[174:175]
	s_wait_loadcnt_dscnt 0x400
	v_mul_f64_e32 v[134:135], v[126:127], v[148:149]
	v_mul_f64_e32 v[136:137], v[128:129], v[148:149]
	v_fmac_f64_e32 v[158:159], v[6:7], v[142:143]
	v_fma_f64 v[138:139], v[4:5], v[142:143], -v[144:145]
	v_add_f64_e32 v[140:141], v[10:11], v[8:9]
	v_add_f64_e32 v[130:131], v[130:131], v[132:133]
	ds_load_b128 v[4:7], v2 offset:1744
	ds_load_b128 v[8:11], v2 offset:1760
	v_fmac_f64_e32 v[134:135], v[128:129], v[146:147]
	v_fma_f64 v[126:127], v[126:127], v[146:147], -v[136:137]
	s_wait_loadcnt_dscnt 0x301
	v_mul_f64_e32 v[132:133], v[4:5], v[152:153]
	v_mul_f64_e32 v[142:143], v[6:7], v[152:153]
	s_wait_loadcnt_dscnt 0x200
	v_mul_f64_e32 v[136:137], v[8:9], v[156:157]
	v_add_f64_e32 v[128:129], v[140:141], v[138:139]
	v_add_f64_e32 v[130:131], v[130:131], v[158:159]
	v_mul_f64_e32 v[138:139], v[10:11], v[156:157]
	v_fmac_f64_e32 v[132:133], v[6:7], v[150:151]
	v_fma_f64 v[140:141], v[4:5], v[150:151], -v[142:143]
	ds_load_b128 v[4:7], v2 offset:1776
	v_fmac_f64_e32 v[136:137], v[10:11], v[154:155]
	v_add_f64_e32 v[126:127], v[128:129], v[126:127]
	v_add_f64_e32 v[128:129], v[130:131], v[134:135]
	v_fma_f64 v[8:9], v[8:9], v[154:155], -v[138:139]
	s_wait_loadcnt_dscnt 0x100
	v_mul_f64_e32 v[130:131], v[4:5], v[164:165]
	v_mul_f64_e32 v[134:135], v[6:7], v[164:165]
	v_add_f64_e32 v[10:11], v[126:127], v[140:141]
	v_add_f64_e32 v[126:127], v[128:129], v[132:133]
	s_delay_alu instid0(VALU_DEP_4) | instskip(NEXT) | instid1(VALU_DEP_4)
	v_fmac_f64_e32 v[130:131], v[6:7], v[162:163]
	v_fma_f64 v[4:5], v[4:5], v[162:163], -v[134:135]
	s_delay_alu instid0(VALU_DEP_4) | instskip(NEXT) | instid1(VALU_DEP_4)
	v_add_f64_e32 v[6:7], v[10:11], v[8:9]
	v_add_f64_e32 v[8:9], v[126:127], v[136:137]
	s_delay_alu instid0(VALU_DEP_2) | instskip(NEXT) | instid1(VALU_DEP_2)
	v_add_f64_e32 v[4:5], v[6:7], v[4:5]
	v_add_f64_e32 v[6:7], v[8:9], v[130:131]
	s_wait_loadcnt 0x0
	s_delay_alu instid0(VALU_DEP_2) | instskip(NEXT) | instid1(VALU_DEP_2)
	v_add_f64_e64 v[4:5], v[166:167], -v[4:5]
	v_add_f64_e64 v[6:7], v[168:169], -v[6:7]
	scratch_store_b128 off, v[4:7], off offset:704
	s_wait_xcnt 0x0
	v_cmpx_lt_u32_e32 43, v1
	s_cbranch_execz .LBB55_263
; %bb.262:
	scratch_load_b128 v[6:9], off, s12
	v_dual_mov_b32 v3, v2 :: v_dual_mov_b32 v4, v2
	v_mov_b32_e32 v5, v2
	scratch_store_b128 off, v[2:5], off offset:688
	s_wait_loadcnt 0x0
	ds_store_b128 v12, v[6:9]
.LBB55_263:
	s_wait_xcnt 0x0
	s_or_b32 exec_lo, exec_lo, s2
	s_wait_storecnt_dscnt 0x0
	s_barrier_signal -1
	s_barrier_wait -1
	s_clause 0x9
	scratch_load_b128 v[4:7], off, off offset:704
	scratch_load_b128 v[8:11], off, off offset:720
	;; [unrolled: 1-line block ×10, first 2 shown]
	ds_load_b128 v[158:161], v2 offset:1600
	ds_load_b128 v[166:169], v2 offset:1616
	s_clause 0x2
	scratch_load_b128 v[162:165], off, off offset:864
	scratch_load_b128 v[170:173], off, off offset:688
	;; [unrolled: 1-line block ×3, first 2 shown]
	s_mov_b32 s2, exec_lo
	s_wait_loadcnt_dscnt 0xc01
	v_mul_f64_e32 v[178:179], v[160:161], v[6:7]
	v_mul_f64_e32 v[180:181], v[158:159], v[6:7]
	s_wait_loadcnt_dscnt 0xb00
	v_mul_f64_e32 v[182:183], v[166:167], v[10:11]
	v_mul_f64_e32 v[10:11], v[168:169], v[10:11]
	s_delay_alu instid0(VALU_DEP_4) | instskip(NEXT) | instid1(VALU_DEP_4)
	v_fma_f64 v[178:179], v[158:159], v[4:5], -v[178:179]
	v_fmac_f64_e32 v[180:181], v[160:161], v[4:5]
	ds_load_b128 v[4:7], v2 offset:1632
	ds_load_b128 v[158:161], v2 offset:1648
	v_fmac_f64_e32 v[182:183], v[168:169], v[8:9]
	v_fma_f64 v[8:9], v[166:167], v[8:9], -v[10:11]
	s_wait_loadcnt_dscnt 0xa01
	v_mul_f64_e32 v[184:185], v[4:5], v[128:129]
	v_mul_f64_e32 v[128:129], v[6:7], v[128:129]
	s_wait_loadcnt_dscnt 0x900
	v_mul_f64_e32 v[168:169], v[158:159], v[132:133]
	v_mul_f64_e32 v[132:133], v[160:161], v[132:133]
	v_add_f64_e32 v[10:11], 0, v[178:179]
	v_add_f64_e32 v[166:167], 0, v[180:181]
	v_fmac_f64_e32 v[184:185], v[6:7], v[126:127]
	v_fma_f64 v[126:127], v[4:5], v[126:127], -v[128:129]
	v_fmac_f64_e32 v[168:169], v[160:161], v[130:131]
	v_fma_f64 v[130:131], v[158:159], v[130:131], -v[132:133]
	v_add_f64_e32 v[128:129], v[10:11], v[8:9]
	v_add_f64_e32 v[166:167], v[166:167], v[182:183]
	ds_load_b128 v[4:7], v2 offset:1664
	ds_load_b128 v[8:11], v2 offset:1680
	s_wait_loadcnt_dscnt 0x801
	v_mul_f64_e32 v[178:179], v[4:5], v[136:137]
	v_mul_f64_e32 v[136:137], v[6:7], v[136:137]
	s_wait_loadcnt_dscnt 0x700
	v_mul_f64_e32 v[132:133], v[8:9], v[140:141]
	v_mul_f64_e32 v[140:141], v[10:11], v[140:141]
	v_add_f64_e32 v[126:127], v[128:129], v[126:127]
	v_add_f64_e32 v[128:129], v[166:167], v[184:185]
	v_fmac_f64_e32 v[178:179], v[6:7], v[134:135]
	v_fma_f64 v[134:135], v[4:5], v[134:135], -v[136:137]
	v_fmac_f64_e32 v[132:133], v[10:11], v[138:139]
	v_fma_f64 v[8:9], v[8:9], v[138:139], -v[140:141]
	v_add_f64_e32 v[130:131], v[126:127], v[130:131]
	v_add_f64_e32 v[136:137], v[128:129], v[168:169]
	ds_load_b128 v[4:7], v2 offset:1696
	ds_load_b128 v[126:129], v2 offset:1712
	s_wait_loadcnt_dscnt 0x601
	v_mul_f64_e32 v[158:159], v[4:5], v[144:145]
	v_mul_f64_e32 v[144:145], v[6:7], v[144:145]
	v_add_f64_e32 v[10:11], v[130:131], v[134:135]
	v_add_f64_e32 v[130:131], v[136:137], v[178:179]
	s_wait_loadcnt_dscnt 0x500
	v_mul_f64_e32 v[134:135], v[126:127], v[148:149]
	v_mul_f64_e32 v[136:137], v[128:129], v[148:149]
	v_fmac_f64_e32 v[158:159], v[6:7], v[142:143]
	v_fma_f64 v[138:139], v[4:5], v[142:143], -v[144:145]
	v_add_f64_e32 v[140:141], v[10:11], v[8:9]
	v_add_f64_e32 v[130:131], v[130:131], v[132:133]
	ds_load_b128 v[4:7], v2 offset:1728
	ds_load_b128 v[8:11], v2 offset:1744
	v_fmac_f64_e32 v[134:135], v[128:129], v[146:147]
	v_fma_f64 v[126:127], v[126:127], v[146:147], -v[136:137]
	s_wait_loadcnt_dscnt 0x401
	v_mul_f64_e32 v[132:133], v[4:5], v[152:153]
	v_mul_f64_e32 v[142:143], v[6:7], v[152:153]
	s_wait_loadcnt_dscnt 0x300
	v_mul_f64_e32 v[136:137], v[8:9], v[156:157]
	v_add_f64_e32 v[128:129], v[140:141], v[138:139]
	v_add_f64_e32 v[130:131], v[130:131], v[158:159]
	v_mul_f64_e32 v[138:139], v[10:11], v[156:157]
	v_fmac_f64_e32 v[132:133], v[6:7], v[150:151]
	v_fma_f64 v[140:141], v[4:5], v[150:151], -v[142:143]
	v_fmac_f64_e32 v[136:137], v[10:11], v[154:155]
	v_add_f64_e32 v[142:143], v[128:129], v[126:127]
	v_add_f64_e32 v[130:131], v[130:131], v[134:135]
	ds_load_b128 v[4:7], v2 offset:1760
	ds_load_b128 v[126:129], v2 offset:1776
	v_fma_f64 v[8:9], v[8:9], v[154:155], -v[138:139]
	s_wait_loadcnt_dscnt 0x201
	v_mul_f64_e32 v[2:3], v[4:5], v[164:165]
	v_mul_f64_e32 v[134:135], v[6:7], v[164:165]
	s_wait_loadcnt_dscnt 0x0
	v_mul_f64_e32 v[138:139], v[128:129], v[176:177]
	v_add_f64_e32 v[10:11], v[142:143], v[140:141]
	v_add_f64_e32 v[130:131], v[130:131], v[132:133]
	v_mul_f64_e32 v[132:133], v[126:127], v[176:177]
	v_fmac_f64_e32 v[2:3], v[6:7], v[162:163]
	v_fma_f64 v[4:5], v[4:5], v[162:163], -v[134:135]
	v_add_f64_e32 v[6:7], v[10:11], v[8:9]
	v_add_f64_e32 v[8:9], v[130:131], v[136:137]
	v_fmac_f64_e32 v[132:133], v[128:129], v[174:175]
	v_fma_f64 v[10:11], v[126:127], v[174:175], -v[138:139]
	s_delay_alu instid0(VALU_DEP_4) | instskip(NEXT) | instid1(VALU_DEP_4)
	v_add_f64_e32 v[4:5], v[6:7], v[4:5]
	v_add_f64_e32 v[2:3], v[8:9], v[2:3]
	s_delay_alu instid0(VALU_DEP_2) | instskip(NEXT) | instid1(VALU_DEP_2)
	v_add_f64_e32 v[4:5], v[4:5], v[10:11]
	v_add_f64_e32 v[6:7], v[2:3], v[132:133]
	s_delay_alu instid0(VALU_DEP_2) | instskip(NEXT) | instid1(VALU_DEP_2)
	v_add_f64_e64 v[2:3], v[170:171], -v[4:5]
	v_add_f64_e64 v[4:5], v[172:173], -v[6:7]
	scratch_store_b128 off, v[2:5], off offset:688
	s_wait_xcnt 0x0
	v_cmpx_lt_u32_e32 42, v1
	s_cbranch_execz .LBB55_265
; %bb.264:
	scratch_load_b128 v[2:5], off, s15
	v_mov_b32_e32 v6, 0
	s_delay_alu instid0(VALU_DEP_1)
	v_dual_mov_b32 v7, v6 :: v_dual_mov_b32 v8, v6
	v_mov_b32_e32 v9, v6
	scratch_store_b128 off, v[6:9], off offset:672
	s_wait_loadcnt 0x0
	ds_store_b128 v12, v[2:5]
.LBB55_265:
	s_wait_xcnt 0x0
	s_or_b32 exec_lo, exec_lo, s2
	s_wait_storecnt_dscnt 0x0
	s_barrier_signal -1
	s_barrier_wait -1
	s_clause 0x9
	scratch_load_b128 v[4:7], off, off offset:688
	scratch_load_b128 v[8:11], off, off offset:704
	;; [unrolled: 1-line block ×10, first 2 shown]
	v_mov_b32_e32 v2, 0
	s_mov_b32 s2, exec_lo
	ds_load_b128 v[158:161], v2 offset:1584
	s_clause 0x2
	scratch_load_b128 v[162:165], off, off offset:848
	scratch_load_b128 v[166:169], off, off offset:672
	;; [unrolled: 1-line block ×3, first 2 shown]
	s_wait_loadcnt_dscnt 0xc00
	v_mul_f64_e32 v[178:179], v[160:161], v[6:7]
	v_mul_f64_e32 v[182:183], v[158:159], v[6:7]
	ds_load_b128 v[170:173], v2 offset:1600
	v_fma_f64 v[186:187], v[158:159], v[4:5], -v[178:179]
	v_fmac_f64_e32 v[182:183], v[160:161], v[4:5]
	ds_load_b128 v[4:7], v2 offset:1616
	s_wait_loadcnt_dscnt 0xb01
	v_mul_f64_e32 v[184:185], v[170:171], v[10:11]
	v_mul_f64_e32 v[10:11], v[172:173], v[10:11]
	scratch_load_b128 v[158:161], off, off offset:880
	ds_load_b128 v[178:181], v2 offset:1632
	s_wait_loadcnt_dscnt 0xb01
	v_mul_f64_e32 v[188:189], v[4:5], v[128:129]
	v_mul_f64_e32 v[128:129], v[6:7], v[128:129]
	v_fmac_f64_e32 v[184:185], v[172:173], v[8:9]
	v_fma_f64 v[8:9], v[170:171], v[8:9], -v[10:11]
	v_add_f64_e32 v[10:11], 0, v[186:187]
	v_add_f64_e32 v[170:171], 0, v[182:183]
	s_wait_loadcnt_dscnt 0xa00
	v_mul_f64_e32 v[172:173], v[178:179], v[132:133]
	v_mul_f64_e32 v[132:133], v[180:181], v[132:133]
	v_fmac_f64_e32 v[188:189], v[6:7], v[126:127]
	v_fma_f64 v[126:127], v[4:5], v[126:127], -v[128:129]
	v_add_f64_e32 v[128:129], v[10:11], v[8:9]
	v_add_f64_e32 v[170:171], v[170:171], v[184:185]
	ds_load_b128 v[4:7], v2 offset:1648
	ds_load_b128 v[8:11], v2 offset:1664
	v_fmac_f64_e32 v[172:173], v[180:181], v[130:131]
	v_fma_f64 v[130:131], v[178:179], v[130:131], -v[132:133]
	s_wait_loadcnt_dscnt 0x901
	v_mul_f64_e32 v[182:183], v[4:5], v[136:137]
	v_mul_f64_e32 v[136:137], v[6:7], v[136:137]
	s_wait_loadcnt_dscnt 0x800
	v_mul_f64_e32 v[132:133], v[8:9], v[140:141]
	v_mul_f64_e32 v[140:141], v[10:11], v[140:141]
	v_add_f64_e32 v[126:127], v[128:129], v[126:127]
	v_add_f64_e32 v[128:129], v[170:171], v[188:189]
	v_fmac_f64_e32 v[182:183], v[6:7], v[134:135]
	v_fma_f64 v[134:135], v[4:5], v[134:135], -v[136:137]
	v_fmac_f64_e32 v[132:133], v[10:11], v[138:139]
	v_fma_f64 v[8:9], v[8:9], v[138:139], -v[140:141]
	v_add_f64_e32 v[130:131], v[126:127], v[130:131]
	v_add_f64_e32 v[136:137], v[128:129], v[172:173]
	ds_load_b128 v[4:7], v2 offset:1680
	ds_load_b128 v[126:129], v2 offset:1696
	s_wait_loadcnt_dscnt 0x701
	v_mul_f64_e32 v[170:171], v[4:5], v[144:145]
	v_mul_f64_e32 v[144:145], v[6:7], v[144:145]
	v_add_f64_e32 v[10:11], v[130:131], v[134:135]
	v_add_f64_e32 v[130:131], v[136:137], v[182:183]
	s_wait_loadcnt_dscnt 0x600
	v_mul_f64_e32 v[134:135], v[126:127], v[148:149]
	v_mul_f64_e32 v[136:137], v[128:129], v[148:149]
	v_fmac_f64_e32 v[170:171], v[6:7], v[142:143]
	v_fma_f64 v[138:139], v[4:5], v[142:143], -v[144:145]
	v_add_f64_e32 v[140:141], v[10:11], v[8:9]
	v_add_f64_e32 v[130:131], v[130:131], v[132:133]
	ds_load_b128 v[4:7], v2 offset:1712
	ds_load_b128 v[8:11], v2 offset:1728
	v_fmac_f64_e32 v[134:135], v[128:129], v[146:147]
	v_fma_f64 v[126:127], v[126:127], v[146:147], -v[136:137]
	s_wait_loadcnt_dscnt 0x501
	v_mul_f64_e32 v[132:133], v[4:5], v[152:153]
	v_mul_f64_e32 v[142:143], v[6:7], v[152:153]
	s_wait_loadcnt_dscnt 0x400
	v_mul_f64_e32 v[136:137], v[8:9], v[156:157]
	v_add_f64_e32 v[128:129], v[140:141], v[138:139]
	v_add_f64_e32 v[130:131], v[130:131], v[170:171]
	v_mul_f64_e32 v[138:139], v[10:11], v[156:157]
	v_fmac_f64_e32 v[132:133], v[6:7], v[150:151]
	v_fma_f64 v[140:141], v[4:5], v[150:151], -v[142:143]
	v_fmac_f64_e32 v[136:137], v[10:11], v[154:155]
	v_add_f64_e32 v[142:143], v[128:129], v[126:127]
	v_add_f64_e32 v[130:131], v[130:131], v[134:135]
	ds_load_b128 v[4:7], v2 offset:1744
	ds_load_b128 v[126:129], v2 offset:1760
	v_fma_f64 v[8:9], v[8:9], v[154:155], -v[138:139]
	s_wait_loadcnt_dscnt 0x301
	v_mul_f64_e32 v[134:135], v[4:5], v[164:165]
	v_mul_f64_e32 v[144:145], v[6:7], v[164:165]
	s_wait_loadcnt_dscnt 0x100
	v_mul_f64_e32 v[138:139], v[128:129], v[176:177]
	v_add_f64_e32 v[10:11], v[142:143], v[140:141]
	v_add_f64_e32 v[130:131], v[130:131], v[132:133]
	v_mul_f64_e32 v[132:133], v[126:127], v[176:177]
	v_fmac_f64_e32 v[134:135], v[6:7], v[162:163]
	v_fma_f64 v[140:141], v[4:5], v[162:163], -v[144:145]
	ds_load_b128 v[4:7], v2 offset:1776
	v_fma_f64 v[126:127], v[126:127], v[174:175], -v[138:139]
	v_add_f64_e32 v[8:9], v[10:11], v[8:9]
	v_add_f64_e32 v[10:11], v[130:131], v[136:137]
	v_fmac_f64_e32 v[132:133], v[128:129], v[174:175]
	s_wait_loadcnt_dscnt 0x0
	v_mul_f64_e32 v[130:131], v[4:5], v[160:161]
	v_mul_f64_e32 v[136:137], v[6:7], v[160:161]
	v_add_f64_e32 v[8:9], v[8:9], v[140:141]
	v_add_f64_e32 v[10:11], v[10:11], v[134:135]
	s_delay_alu instid0(VALU_DEP_4) | instskip(NEXT) | instid1(VALU_DEP_4)
	v_fmac_f64_e32 v[130:131], v[6:7], v[158:159]
	v_fma_f64 v[4:5], v[4:5], v[158:159], -v[136:137]
	s_delay_alu instid0(VALU_DEP_4) | instskip(NEXT) | instid1(VALU_DEP_4)
	v_add_f64_e32 v[6:7], v[8:9], v[126:127]
	v_add_f64_e32 v[8:9], v[10:11], v[132:133]
	s_delay_alu instid0(VALU_DEP_2) | instskip(NEXT) | instid1(VALU_DEP_2)
	v_add_f64_e32 v[4:5], v[6:7], v[4:5]
	v_add_f64_e32 v[6:7], v[8:9], v[130:131]
	s_delay_alu instid0(VALU_DEP_2) | instskip(NEXT) | instid1(VALU_DEP_2)
	v_add_f64_e64 v[4:5], v[166:167], -v[4:5]
	v_add_f64_e64 v[6:7], v[168:169], -v[6:7]
	scratch_store_b128 off, v[4:7], off offset:672
	s_wait_xcnt 0x0
	v_cmpx_lt_u32_e32 41, v1
	s_cbranch_execz .LBB55_267
; %bb.266:
	scratch_load_b128 v[6:9], off, s14
	v_dual_mov_b32 v3, v2 :: v_dual_mov_b32 v4, v2
	v_mov_b32_e32 v5, v2
	scratch_store_b128 off, v[2:5], off offset:656
	s_wait_loadcnt 0x0
	ds_store_b128 v12, v[6:9]
.LBB55_267:
	s_wait_xcnt 0x0
	s_or_b32 exec_lo, exec_lo, s2
	s_wait_storecnt_dscnt 0x0
	s_barrier_signal -1
	s_barrier_wait -1
	s_clause 0x9
	scratch_load_b128 v[4:7], off, off offset:672
	scratch_load_b128 v[8:11], off, off offset:688
	;; [unrolled: 1-line block ×10, first 2 shown]
	ds_load_b128 v[158:161], v2 offset:1568
	ds_load_b128 v[166:169], v2 offset:1584
	s_clause 0x2
	scratch_load_b128 v[162:165], off, off offset:832
	scratch_load_b128 v[170:173], off, off offset:656
	;; [unrolled: 1-line block ×3, first 2 shown]
	s_mov_b32 s2, exec_lo
	s_wait_loadcnt_dscnt 0xc01
	v_mul_f64_e32 v[178:179], v[160:161], v[6:7]
	v_mul_f64_e32 v[182:183], v[158:159], v[6:7]
	s_wait_loadcnt_dscnt 0xb00
	v_mul_f64_e32 v[184:185], v[166:167], v[10:11]
	v_mul_f64_e32 v[10:11], v[168:169], v[10:11]
	s_delay_alu instid0(VALU_DEP_4) | instskip(NEXT) | instid1(VALU_DEP_4)
	v_fma_f64 v[186:187], v[158:159], v[4:5], -v[178:179]
	v_fmac_f64_e32 v[182:183], v[160:161], v[4:5]
	ds_load_b128 v[4:7], v2 offset:1600
	ds_load_b128 v[158:161], v2 offset:1616
	scratch_load_b128 v[178:181], off, off offset:864
	v_fmac_f64_e32 v[184:185], v[168:169], v[8:9]
	v_fma_f64 v[166:167], v[166:167], v[8:9], -v[10:11]
	scratch_load_b128 v[8:11], off, off offset:880
	s_wait_loadcnt_dscnt 0xc01
	v_mul_f64_e32 v[188:189], v[4:5], v[128:129]
	v_mul_f64_e32 v[128:129], v[6:7], v[128:129]
	v_add_f64_e32 v[168:169], 0, v[186:187]
	v_add_f64_e32 v[182:183], 0, v[182:183]
	s_wait_loadcnt_dscnt 0xb00
	v_mul_f64_e32 v[186:187], v[158:159], v[132:133]
	v_mul_f64_e32 v[132:133], v[160:161], v[132:133]
	v_fmac_f64_e32 v[188:189], v[6:7], v[126:127]
	v_fma_f64 v[190:191], v[4:5], v[126:127], -v[128:129]
	ds_load_b128 v[4:7], v2 offset:1632
	ds_load_b128 v[126:129], v2 offset:1648
	v_add_f64_e32 v[166:167], v[168:169], v[166:167]
	v_add_f64_e32 v[168:169], v[182:183], v[184:185]
	v_fmac_f64_e32 v[186:187], v[160:161], v[130:131]
	v_fma_f64 v[130:131], v[158:159], v[130:131], -v[132:133]
	s_wait_loadcnt_dscnt 0xa01
	v_mul_f64_e32 v[182:183], v[4:5], v[136:137]
	v_mul_f64_e32 v[136:137], v[6:7], v[136:137]
	s_wait_loadcnt_dscnt 0x900
	v_mul_f64_e32 v[160:161], v[126:127], v[140:141]
	v_mul_f64_e32 v[140:141], v[128:129], v[140:141]
	v_add_f64_e32 v[132:133], v[166:167], v[190:191]
	v_add_f64_e32 v[158:159], v[168:169], v[188:189]
	v_fmac_f64_e32 v[182:183], v[6:7], v[134:135]
	v_fma_f64 v[134:135], v[4:5], v[134:135], -v[136:137]
	v_fmac_f64_e32 v[160:161], v[128:129], v[138:139]
	v_fma_f64 v[126:127], v[126:127], v[138:139], -v[140:141]
	v_add_f64_e32 v[136:137], v[132:133], v[130:131]
	v_add_f64_e32 v[158:159], v[158:159], v[186:187]
	ds_load_b128 v[4:7], v2 offset:1664
	ds_load_b128 v[130:133], v2 offset:1680
	s_wait_loadcnt_dscnt 0x801
	v_mul_f64_e32 v[166:167], v[4:5], v[144:145]
	v_mul_f64_e32 v[144:145], v[6:7], v[144:145]
	s_wait_loadcnt_dscnt 0x700
	v_mul_f64_e32 v[138:139], v[132:133], v[148:149]
	v_add_f64_e32 v[128:129], v[136:137], v[134:135]
	v_add_f64_e32 v[134:135], v[158:159], v[182:183]
	v_mul_f64_e32 v[136:137], v[130:131], v[148:149]
	v_fmac_f64_e32 v[166:167], v[6:7], v[142:143]
	v_fma_f64 v[140:141], v[4:5], v[142:143], -v[144:145]
	v_fma_f64 v[130:131], v[130:131], v[146:147], -v[138:139]
	v_add_f64_e32 v[142:143], v[128:129], v[126:127]
	v_add_f64_e32 v[134:135], v[134:135], v[160:161]
	ds_load_b128 v[4:7], v2 offset:1696
	ds_load_b128 v[126:129], v2 offset:1712
	v_fmac_f64_e32 v[136:137], v[132:133], v[146:147]
	s_wait_loadcnt_dscnt 0x601
	v_mul_f64_e32 v[144:145], v[4:5], v[152:153]
	v_mul_f64_e32 v[148:149], v[6:7], v[152:153]
	s_wait_loadcnt_dscnt 0x500
	v_mul_f64_e32 v[138:139], v[126:127], v[156:157]
	v_add_f64_e32 v[132:133], v[142:143], v[140:141]
	v_add_f64_e32 v[134:135], v[134:135], v[166:167]
	v_mul_f64_e32 v[140:141], v[128:129], v[156:157]
	v_fmac_f64_e32 v[144:145], v[6:7], v[150:151]
	v_fma_f64 v[142:143], v[4:5], v[150:151], -v[148:149]
	v_fmac_f64_e32 v[138:139], v[128:129], v[154:155]
	v_add_f64_e32 v[146:147], v[132:133], v[130:131]
	v_add_f64_e32 v[134:135], v[134:135], v[136:137]
	ds_load_b128 v[4:7], v2 offset:1728
	ds_load_b128 v[130:133], v2 offset:1744
	v_fma_f64 v[126:127], v[126:127], v[154:155], -v[140:141]
	s_wait_loadcnt_dscnt 0x401
	v_mul_f64_e32 v[136:137], v[4:5], v[164:165]
	v_mul_f64_e32 v[148:149], v[6:7], v[164:165]
	s_wait_loadcnt_dscnt 0x200
	v_mul_f64_e32 v[140:141], v[130:131], v[176:177]
	v_add_f64_e32 v[128:129], v[146:147], v[142:143]
	v_add_f64_e32 v[134:135], v[134:135], v[144:145]
	v_mul_f64_e32 v[142:143], v[132:133], v[176:177]
	v_fmac_f64_e32 v[136:137], v[6:7], v[162:163]
	v_fma_f64 v[144:145], v[4:5], v[162:163], -v[148:149]
	v_fmac_f64_e32 v[140:141], v[132:133], v[174:175]
	v_add_f64_e32 v[146:147], v[128:129], v[126:127]
	v_add_f64_e32 v[134:135], v[134:135], v[138:139]
	ds_load_b128 v[4:7], v2 offset:1760
	ds_load_b128 v[126:129], v2 offset:1776
	v_fma_f64 v[130:131], v[130:131], v[174:175], -v[142:143]
	s_wait_loadcnt_dscnt 0x101
	v_mul_f64_e32 v[2:3], v[4:5], v[180:181]
	v_mul_f64_e32 v[138:139], v[6:7], v[180:181]
	v_add_f64_e32 v[132:133], v[146:147], v[144:145]
	v_add_f64_e32 v[134:135], v[134:135], v[136:137]
	s_wait_loadcnt_dscnt 0x0
	v_mul_f64_e32 v[136:137], v[126:127], v[10:11]
	v_mul_f64_e32 v[10:11], v[128:129], v[10:11]
	v_fmac_f64_e32 v[2:3], v[6:7], v[178:179]
	v_fma_f64 v[4:5], v[4:5], v[178:179], -v[138:139]
	v_add_f64_e32 v[6:7], v[132:133], v[130:131]
	v_add_f64_e32 v[130:131], v[134:135], v[140:141]
	v_fmac_f64_e32 v[136:137], v[128:129], v[8:9]
	v_fma_f64 v[8:9], v[126:127], v[8:9], -v[10:11]
	s_delay_alu instid0(VALU_DEP_4) | instskip(NEXT) | instid1(VALU_DEP_4)
	v_add_f64_e32 v[4:5], v[6:7], v[4:5]
	v_add_f64_e32 v[2:3], v[130:131], v[2:3]
	s_delay_alu instid0(VALU_DEP_2) | instskip(NEXT) | instid1(VALU_DEP_2)
	v_add_f64_e32 v[4:5], v[4:5], v[8:9]
	v_add_f64_e32 v[6:7], v[2:3], v[136:137]
	s_delay_alu instid0(VALU_DEP_2) | instskip(NEXT) | instid1(VALU_DEP_2)
	v_add_f64_e64 v[2:3], v[170:171], -v[4:5]
	v_add_f64_e64 v[4:5], v[172:173], -v[6:7]
	scratch_store_b128 off, v[2:5], off offset:656
	s_wait_xcnt 0x0
	v_cmpx_lt_u32_e32 40, v1
	s_cbranch_execz .LBB55_269
; %bb.268:
	scratch_load_b128 v[2:5], off, s21
	v_mov_b32_e32 v6, 0
	s_delay_alu instid0(VALU_DEP_1)
	v_dual_mov_b32 v7, v6 :: v_dual_mov_b32 v8, v6
	v_mov_b32_e32 v9, v6
	scratch_store_b128 off, v[6:9], off offset:640
	s_wait_loadcnt 0x0
	ds_store_b128 v12, v[2:5]
.LBB55_269:
	s_wait_xcnt 0x0
	s_or_b32 exec_lo, exec_lo, s2
	s_wait_storecnt_dscnt 0x0
	s_barrier_signal -1
	s_barrier_wait -1
	s_clause 0x9
	scratch_load_b128 v[4:7], off, off offset:656
	scratch_load_b128 v[8:11], off, off offset:672
	;; [unrolled: 1-line block ×10, first 2 shown]
	v_mov_b32_e32 v2, 0
	s_mov_b32 s2, exec_lo
	ds_load_b128 v[158:161], v2 offset:1552
	s_clause 0x2
	scratch_load_b128 v[162:165], off, off offset:816
	scratch_load_b128 v[166:169], off, off offset:640
	;; [unrolled: 1-line block ×3, first 2 shown]
	s_wait_loadcnt_dscnt 0xc00
	v_mul_f64_e32 v[178:179], v[160:161], v[6:7]
	v_mul_f64_e32 v[182:183], v[158:159], v[6:7]
	ds_load_b128 v[170:173], v2 offset:1568
	v_fma_f64 v[186:187], v[158:159], v[4:5], -v[178:179]
	v_fmac_f64_e32 v[182:183], v[160:161], v[4:5]
	ds_load_b128 v[4:7], v2 offset:1584
	s_wait_loadcnt_dscnt 0xb01
	v_mul_f64_e32 v[184:185], v[170:171], v[10:11]
	v_mul_f64_e32 v[10:11], v[172:173], v[10:11]
	scratch_load_b128 v[158:161], off, off offset:848
	ds_load_b128 v[178:181], v2 offset:1600
	s_wait_loadcnt_dscnt 0xb01
	v_mul_f64_e32 v[188:189], v[4:5], v[128:129]
	v_mul_f64_e32 v[128:129], v[6:7], v[128:129]
	v_add_f64_e32 v[182:183], 0, v[182:183]
	v_fmac_f64_e32 v[184:185], v[172:173], v[8:9]
	v_fma_f64 v[170:171], v[170:171], v[8:9], -v[10:11]
	v_add_f64_e32 v[172:173], 0, v[186:187]
	scratch_load_b128 v[8:11], off, off offset:864
	v_fmac_f64_e32 v[188:189], v[6:7], v[126:127]
	v_fma_f64 v[190:191], v[4:5], v[126:127], -v[128:129]
	ds_load_b128 v[4:7], v2 offset:1616
	s_wait_loadcnt_dscnt 0xb01
	v_mul_f64_e32 v[186:187], v[178:179], v[132:133]
	v_mul_f64_e32 v[132:133], v[180:181], v[132:133]
	scratch_load_b128 v[126:129], off, off offset:880
	v_add_f64_e32 v[182:183], v[182:183], v[184:185]
	v_add_f64_e32 v[192:193], v[172:173], v[170:171]
	ds_load_b128 v[170:173], v2 offset:1632
	s_wait_loadcnt_dscnt 0xb01
	v_mul_f64_e32 v[184:185], v[4:5], v[136:137]
	v_mul_f64_e32 v[136:137], v[6:7], v[136:137]
	v_fmac_f64_e32 v[186:187], v[180:181], v[130:131]
	v_fma_f64 v[130:131], v[178:179], v[130:131], -v[132:133]
	s_wait_loadcnt_dscnt 0xa00
	v_mul_f64_e32 v[180:181], v[170:171], v[140:141]
	v_mul_f64_e32 v[140:141], v[172:173], v[140:141]
	v_add_f64_e32 v[178:179], v[182:183], v[188:189]
	v_add_f64_e32 v[132:133], v[192:193], v[190:191]
	v_fmac_f64_e32 v[184:185], v[6:7], v[134:135]
	v_fma_f64 v[134:135], v[4:5], v[134:135], -v[136:137]
	v_fmac_f64_e32 v[180:181], v[172:173], v[138:139]
	v_fma_f64 v[138:139], v[170:171], v[138:139], -v[140:141]
	v_add_f64_e32 v[178:179], v[178:179], v[186:187]
	v_add_f64_e32 v[136:137], v[132:133], v[130:131]
	ds_load_b128 v[4:7], v2 offset:1648
	ds_load_b128 v[130:133], v2 offset:1664
	s_wait_loadcnt_dscnt 0x901
	v_mul_f64_e32 v[182:183], v[4:5], v[144:145]
	v_mul_f64_e32 v[144:145], v[6:7], v[144:145]
	s_wait_loadcnt_dscnt 0x800
	v_mul_f64_e32 v[140:141], v[130:131], v[148:149]
	v_mul_f64_e32 v[148:149], v[132:133], v[148:149]
	v_add_f64_e32 v[134:135], v[136:137], v[134:135]
	v_add_f64_e32 v[136:137], v[178:179], v[184:185]
	v_fmac_f64_e32 v[182:183], v[6:7], v[142:143]
	v_fma_f64 v[142:143], v[4:5], v[142:143], -v[144:145]
	v_fmac_f64_e32 v[140:141], v[132:133], v[146:147]
	v_fma_f64 v[130:131], v[130:131], v[146:147], -v[148:149]
	v_add_f64_e32 v[138:139], v[134:135], v[138:139]
	v_add_f64_e32 v[144:145], v[136:137], v[180:181]
	ds_load_b128 v[4:7], v2 offset:1680
	ds_load_b128 v[134:137], v2 offset:1696
	s_wait_loadcnt_dscnt 0x701
	v_mul_f64_e32 v[170:171], v[4:5], v[152:153]
	v_mul_f64_e32 v[152:153], v[6:7], v[152:153]
	v_add_f64_e32 v[132:133], v[138:139], v[142:143]
	v_add_f64_e32 v[138:139], v[144:145], v[182:183]
	s_wait_loadcnt_dscnt 0x600
	v_mul_f64_e32 v[142:143], v[134:135], v[156:157]
	v_mul_f64_e32 v[144:145], v[136:137], v[156:157]
	v_fmac_f64_e32 v[170:171], v[6:7], v[150:151]
	v_fma_f64 v[146:147], v[4:5], v[150:151], -v[152:153]
	v_add_f64_e32 v[148:149], v[132:133], v[130:131]
	v_add_f64_e32 v[138:139], v[138:139], v[140:141]
	ds_load_b128 v[4:7], v2 offset:1712
	ds_load_b128 v[130:133], v2 offset:1728
	v_fmac_f64_e32 v[142:143], v[136:137], v[154:155]
	v_fma_f64 v[134:135], v[134:135], v[154:155], -v[144:145]
	s_wait_loadcnt_dscnt 0x501
	v_mul_f64_e32 v[140:141], v[4:5], v[164:165]
	v_mul_f64_e32 v[150:151], v[6:7], v[164:165]
	s_wait_loadcnt_dscnt 0x300
	v_mul_f64_e32 v[144:145], v[130:131], v[176:177]
	v_add_f64_e32 v[136:137], v[148:149], v[146:147]
	v_add_f64_e32 v[138:139], v[138:139], v[170:171]
	v_mul_f64_e32 v[146:147], v[132:133], v[176:177]
	v_fmac_f64_e32 v[140:141], v[6:7], v[162:163]
	v_fma_f64 v[148:149], v[4:5], v[162:163], -v[150:151]
	v_fmac_f64_e32 v[144:145], v[132:133], v[174:175]
	v_add_f64_e32 v[150:151], v[136:137], v[134:135]
	v_add_f64_e32 v[138:139], v[138:139], v[142:143]
	ds_load_b128 v[4:7], v2 offset:1744
	ds_load_b128 v[134:137], v2 offset:1760
	v_fma_f64 v[130:131], v[130:131], v[174:175], -v[146:147]
	s_wait_loadcnt_dscnt 0x201
	v_mul_f64_e32 v[142:143], v[4:5], v[160:161]
	v_mul_f64_e32 v[152:153], v[6:7], v[160:161]
	v_add_f64_e32 v[132:133], v[150:151], v[148:149]
	v_add_f64_e32 v[138:139], v[138:139], v[140:141]
	s_wait_loadcnt_dscnt 0x100
	v_mul_f64_e32 v[140:141], v[134:135], v[10:11]
	v_mul_f64_e32 v[10:11], v[136:137], v[10:11]
	v_fmac_f64_e32 v[142:143], v[6:7], v[158:159]
	v_fma_f64 v[146:147], v[4:5], v[158:159], -v[152:153]
	ds_load_b128 v[4:7], v2 offset:1776
	v_add_f64_e32 v[130:131], v[132:133], v[130:131]
	v_add_f64_e32 v[132:133], v[138:139], v[144:145]
	v_fmac_f64_e32 v[140:141], v[136:137], v[8:9]
	v_fma_f64 v[8:9], v[134:135], v[8:9], -v[10:11]
	s_wait_loadcnt_dscnt 0x0
	v_mul_f64_e32 v[138:139], v[4:5], v[128:129]
	v_mul_f64_e32 v[128:129], v[6:7], v[128:129]
	v_add_f64_e32 v[10:11], v[130:131], v[146:147]
	v_add_f64_e32 v[130:131], v[132:133], v[142:143]
	s_delay_alu instid0(VALU_DEP_4) | instskip(NEXT) | instid1(VALU_DEP_4)
	v_fmac_f64_e32 v[138:139], v[6:7], v[126:127]
	v_fma_f64 v[4:5], v[4:5], v[126:127], -v[128:129]
	s_delay_alu instid0(VALU_DEP_4) | instskip(NEXT) | instid1(VALU_DEP_4)
	v_add_f64_e32 v[6:7], v[10:11], v[8:9]
	v_add_f64_e32 v[8:9], v[130:131], v[140:141]
	s_delay_alu instid0(VALU_DEP_2) | instskip(NEXT) | instid1(VALU_DEP_2)
	v_add_f64_e32 v[4:5], v[6:7], v[4:5]
	v_add_f64_e32 v[6:7], v[8:9], v[138:139]
	s_delay_alu instid0(VALU_DEP_2) | instskip(NEXT) | instid1(VALU_DEP_2)
	v_add_f64_e64 v[4:5], v[166:167], -v[4:5]
	v_add_f64_e64 v[6:7], v[168:169], -v[6:7]
	scratch_store_b128 off, v[4:7], off offset:640
	s_wait_xcnt 0x0
	v_cmpx_lt_u32_e32 39, v1
	s_cbranch_execz .LBB55_271
; %bb.270:
	scratch_load_b128 v[6:9], off, s20
	v_dual_mov_b32 v3, v2 :: v_dual_mov_b32 v4, v2
	v_mov_b32_e32 v5, v2
	scratch_store_b128 off, v[2:5], off offset:624
	s_wait_loadcnt 0x0
	ds_store_b128 v12, v[6:9]
.LBB55_271:
	s_wait_xcnt 0x0
	s_or_b32 exec_lo, exec_lo, s2
	s_wait_storecnt_dscnt 0x0
	s_barrier_signal -1
	s_barrier_wait -1
	s_clause 0x9
	scratch_load_b128 v[4:7], off, off offset:640
	scratch_load_b128 v[8:11], off, off offset:656
	;; [unrolled: 1-line block ×10, first 2 shown]
	ds_load_b128 v[158:161], v2 offset:1536
	ds_load_b128 v[166:169], v2 offset:1552
	s_clause 0x2
	scratch_load_b128 v[162:165], off, off offset:800
	scratch_load_b128 v[170:173], off, off offset:624
	;; [unrolled: 1-line block ×3, first 2 shown]
	s_mov_b32 s2, exec_lo
	s_wait_loadcnt_dscnt 0xc01
	v_mul_f64_e32 v[178:179], v[160:161], v[6:7]
	v_mul_f64_e32 v[182:183], v[158:159], v[6:7]
	s_wait_loadcnt_dscnt 0xb00
	v_mul_f64_e32 v[184:185], v[166:167], v[10:11]
	v_mul_f64_e32 v[10:11], v[168:169], v[10:11]
	s_delay_alu instid0(VALU_DEP_4) | instskip(NEXT) | instid1(VALU_DEP_4)
	v_fma_f64 v[186:187], v[158:159], v[4:5], -v[178:179]
	v_fmac_f64_e32 v[182:183], v[160:161], v[4:5]
	ds_load_b128 v[4:7], v2 offset:1568
	ds_load_b128 v[158:161], v2 offset:1584
	scratch_load_b128 v[178:181], off, off offset:832
	v_fmac_f64_e32 v[184:185], v[168:169], v[8:9]
	v_fma_f64 v[166:167], v[166:167], v[8:9], -v[10:11]
	scratch_load_b128 v[8:11], off, off offset:848
	s_wait_loadcnt_dscnt 0xc01
	v_mul_f64_e32 v[188:189], v[4:5], v[128:129]
	v_mul_f64_e32 v[128:129], v[6:7], v[128:129]
	v_add_f64_e32 v[168:169], 0, v[186:187]
	v_add_f64_e32 v[182:183], 0, v[182:183]
	s_wait_loadcnt_dscnt 0xb00
	v_mul_f64_e32 v[186:187], v[158:159], v[132:133]
	v_mul_f64_e32 v[132:133], v[160:161], v[132:133]
	v_fmac_f64_e32 v[188:189], v[6:7], v[126:127]
	v_fma_f64 v[190:191], v[4:5], v[126:127], -v[128:129]
	ds_load_b128 v[4:7], v2 offset:1600
	ds_load_b128 v[126:129], v2 offset:1616
	v_add_f64_e32 v[192:193], v[168:169], v[166:167]
	v_add_f64_e32 v[182:183], v[182:183], v[184:185]
	scratch_load_b128 v[166:169], off, off offset:864
	v_fmac_f64_e32 v[186:187], v[160:161], v[130:131]
	v_fma_f64 v[158:159], v[158:159], v[130:131], -v[132:133]
	scratch_load_b128 v[130:133], off, off offset:880
	s_wait_loadcnt_dscnt 0xc01
	v_mul_f64_e32 v[184:185], v[4:5], v[136:137]
	v_mul_f64_e32 v[136:137], v[6:7], v[136:137]
	v_add_f64_e32 v[160:161], v[192:193], v[190:191]
	v_add_f64_e32 v[182:183], v[182:183], v[188:189]
	s_wait_loadcnt_dscnt 0xb00
	v_mul_f64_e32 v[188:189], v[126:127], v[140:141]
	v_mul_f64_e32 v[140:141], v[128:129], v[140:141]
	v_fmac_f64_e32 v[184:185], v[6:7], v[134:135]
	v_fma_f64 v[190:191], v[4:5], v[134:135], -v[136:137]
	ds_load_b128 v[4:7], v2 offset:1632
	ds_load_b128 v[134:137], v2 offset:1648
	v_add_f64_e32 v[158:159], v[160:161], v[158:159]
	v_add_f64_e32 v[160:161], v[182:183], v[186:187]
	s_wait_loadcnt_dscnt 0xa01
	v_mul_f64_e32 v[182:183], v[4:5], v[144:145]
	v_mul_f64_e32 v[144:145], v[6:7], v[144:145]
	v_fmac_f64_e32 v[188:189], v[128:129], v[138:139]
	v_fma_f64 v[126:127], v[126:127], v[138:139], -v[140:141]
	s_wait_loadcnt_dscnt 0x900
	v_mul_f64_e32 v[140:141], v[134:135], v[148:149]
	v_mul_f64_e32 v[148:149], v[136:137], v[148:149]
	v_add_f64_e32 v[128:129], v[158:159], v[190:191]
	v_add_f64_e32 v[138:139], v[160:161], v[184:185]
	v_fmac_f64_e32 v[182:183], v[6:7], v[142:143]
	v_fma_f64 v[142:143], v[4:5], v[142:143], -v[144:145]
	v_fmac_f64_e32 v[140:141], v[136:137], v[146:147]
	v_fma_f64 v[134:135], v[134:135], v[146:147], -v[148:149]
	v_add_f64_e32 v[144:145], v[128:129], v[126:127]
	v_add_f64_e32 v[138:139], v[138:139], v[188:189]
	ds_load_b128 v[4:7], v2 offset:1664
	ds_load_b128 v[126:129], v2 offset:1680
	s_wait_loadcnt_dscnt 0x801
	v_mul_f64_e32 v[158:159], v[4:5], v[152:153]
	v_mul_f64_e32 v[152:153], v[6:7], v[152:153]
	v_add_f64_e32 v[136:137], v[144:145], v[142:143]
	v_add_f64_e32 v[138:139], v[138:139], v[182:183]
	s_wait_loadcnt_dscnt 0x700
	v_mul_f64_e32 v[142:143], v[126:127], v[156:157]
	v_mul_f64_e32 v[144:145], v[128:129], v[156:157]
	v_fmac_f64_e32 v[158:159], v[6:7], v[150:151]
	v_fma_f64 v[146:147], v[4:5], v[150:151], -v[152:153]
	v_add_f64_e32 v[148:149], v[136:137], v[134:135]
	v_add_f64_e32 v[138:139], v[138:139], v[140:141]
	ds_load_b128 v[4:7], v2 offset:1696
	ds_load_b128 v[134:137], v2 offset:1712
	v_fmac_f64_e32 v[142:143], v[128:129], v[154:155]
	v_fma_f64 v[126:127], v[126:127], v[154:155], -v[144:145]
	s_wait_loadcnt_dscnt 0x601
	v_mul_f64_e32 v[140:141], v[4:5], v[164:165]
	v_mul_f64_e32 v[150:151], v[6:7], v[164:165]
	s_wait_loadcnt_dscnt 0x400
	v_mul_f64_e32 v[144:145], v[134:135], v[176:177]
	v_add_f64_e32 v[128:129], v[148:149], v[146:147]
	v_add_f64_e32 v[138:139], v[138:139], v[158:159]
	v_mul_f64_e32 v[146:147], v[136:137], v[176:177]
	v_fmac_f64_e32 v[140:141], v[6:7], v[162:163]
	v_fma_f64 v[148:149], v[4:5], v[162:163], -v[150:151]
	v_fmac_f64_e32 v[144:145], v[136:137], v[174:175]
	v_add_f64_e32 v[150:151], v[128:129], v[126:127]
	v_add_f64_e32 v[138:139], v[138:139], v[142:143]
	ds_load_b128 v[4:7], v2 offset:1728
	ds_load_b128 v[126:129], v2 offset:1744
	v_fma_f64 v[134:135], v[134:135], v[174:175], -v[146:147]
	s_wait_loadcnt_dscnt 0x301
	v_mul_f64_e32 v[142:143], v[4:5], v[180:181]
	v_mul_f64_e32 v[152:153], v[6:7], v[180:181]
	v_add_f64_e32 v[136:137], v[150:151], v[148:149]
	v_add_f64_e32 v[138:139], v[138:139], v[140:141]
	s_wait_loadcnt_dscnt 0x200
	v_mul_f64_e32 v[140:141], v[126:127], v[10:11]
	v_mul_f64_e32 v[10:11], v[128:129], v[10:11]
	v_fmac_f64_e32 v[142:143], v[6:7], v[178:179]
	v_fma_f64 v[146:147], v[4:5], v[178:179], -v[152:153]
	v_add_f64_e32 v[148:149], v[136:137], v[134:135]
	v_add_f64_e32 v[138:139], v[138:139], v[144:145]
	ds_load_b128 v[4:7], v2 offset:1760
	ds_load_b128 v[134:137], v2 offset:1776
	v_fmac_f64_e32 v[140:141], v[128:129], v[8:9]
	v_fma_f64 v[8:9], v[126:127], v[8:9], -v[10:11]
	s_wait_loadcnt_dscnt 0x101
	v_mul_f64_e32 v[2:3], v[4:5], v[168:169]
	v_mul_f64_e32 v[144:145], v[6:7], v[168:169]
	s_wait_loadcnt_dscnt 0x0
	v_mul_f64_e32 v[128:129], v[134:135], v[132:133]
	v_mul_f64_e32 v[132:133], v[136:137], v[132:133]
	v_add_f64_e32 v[10:11], v[148:149], v[146:147]
	v_add_f64_e32 v[126:127], v[138:139], v[142:143]
	v_fmac_f64_e32 v[2:3], v[6:7], v[166:167]
	v_fma_f64 v[4:5], v[4:5], v[166:167], -v[144:145]
	v_fmac_f64_e32 v[128:129], v[136:137], v[130:131]
	v_add_f64_e32 v[6:7], v[10:11], v[8:9]
	v_add_f64_e32 v[8:9], v[126:127], v[140:141]
	v_fma_f64 v[10:11], v[134:135], v[130:131], -v[132:133]
	s_delay_alu instid0(VALU_DEP_3) | instskip(NEXT) | instid1(VALU_DEP_3)
	v_add_f64_e32 v[4:5], v[6:7], v[4:5]
	v_add_f64_e32 v[2:3], v[8:9], v[2:3]
	s_delay_alu instid0(VALU_DEP_2) | instskip(NEXT) | instid1(VALU_DEP_2)
	v_add_f64_e32 v[4:5], v[4:5], v[10:11]
	v_add_f64_e32 v[6:7], v[2:3], v[128:129]
	s_delay_alu instid0(VALU_DEP_2) | instskip(NEXT) | instid1(VALU_DEP_2)
	v_add_f64_e64 v[2:3], v[170:171], -v[4:5]
	v_add_f64_e64 v[4:5], v[172:173], -v[6:7]
	scratch_store_b128 off, v[2:5], off offset:624
	s_wait_xcnt 0x0
	v_cmpx_lt_u32_e32 38, v1
	s_cbranch_execz .LBB55_273
; %bb.272:
	scratch_load_b128 v[2:5], off, s24
	v_mov_b32_e32 v6, 0
	s_delay_alu instid0(VALU_DEP_1)
	v_dual_mov_b32 v7, v6 :: v_dual_mov_b32 v8, v6
	v_mov_b32_e32 v9, v6
	scratch_store_b128 off, v[6:9], off offset:608
	s_wait_loadcnt 0x0
	ds_store_b128 v12, v[2:5]
.LBB55_273:
	s_wait_xcnt 0x0
	s_or_b32 exec_lo, exec_lo, s2
	s_wait_storecnt_dscnt 0x0
	s_barrier_signal -1
	s_barrier_wait -1
	s_clause 0x9
	scratch_load_b128 v[4:7], off, off offset:624
	scratch_load_b128 v[8:11], off, off offset:640
	;; [unrolled: 1-line block ×10, first 2 shown]
	v_mov_b32_e32 v2, 0
	s_mov_b32 s2, exec_lo
	ds_load_b128 v[158:161], v2 offset:1520
	s_clause 0x2
	scratch_load_b128 v[162:165], off, off offset:784
	scratch_load_b128 v[166:169], off, off offset:608
	;; [unrolled: 1-line block ×3, first 2 shown]
	s_wait_loadcnt_dscnt 0xc00
	v_mul_f64_e32 v[178:179], v[160:161], v[6:7]
	v_mul_f64_e32 v[182:183], v[158:159], v[6:7]
	ds_load_b128 v[170:173], v2 offset:1536
	v_fma_f64 v[186:187], v[158:159], v[4:5], -v[178:179]
	v_fmac_f64_e32 v[182:183], v[160:161], v[4:5]
	ds_load_b128 v[4:7], v2 offset:1552
	s_wait_loadcnt_dscnt 0xb01
	v_mul_f64_e32 v[184:185], v[170:171], v[10:11]
	v_mul_f64_e32 v[10:11], v[172:173], v[10:11]
	scratch_load_b128 v[158:161], off, off offset:816
	ds_load_b128 v[178:181], v2 offset:1568
	s_wait_loadcnt_dscnt 0xb01
	v_mul_f64_e32 v[188:189], v[4:5], v[128:129]
	v_mul_f64_e32 v[128:129], v[6:7], v[128:129]
	v_add_f64_e32 v[182:183], 0, v[182:183]
	v_fmac_f64_e32 v[184:185], v[172:173], v[8:9]
	v_fma_f64 v[170:171], v[170:171], v[8:9], -v[10:11]
	v_add_f64_e32 v[172:173], 0, v[186:187]
	scratch_load_b128 v[8:11], off, off offset:832
	v_fmac_f64_e32 v[188:189], v[6:7], v[126:127]
	v_fma_f64 v[190:191], v[4:5], v[126:127], -v[128:129]
	ds_load_b128 v[4:7], v2 offset:1584
	s_wait_loadcnt_dscnt 0xb01
	v_mul_f64_e32 v[186:187], v[178:179], v[132:133]
	v_mul_f64_e32 v[132:133], v[180:181], v[132:133]
	scratch_load_b128 v[126:129], off, off offset:848
	v_add_f64_e32 v[182:183], v[182:183], v[184:185]
	v_add_f64_e32 v[192:193], v[172:173], v[170:171]
	ds_load_b128 v[170:173], v2 offset:1600
	s_wait_loadcnt_dscnt 0xb01
	v_mul_f64_e32 v[184:185], v[4:5], v[136:137]
	v_mul_f64_e32 v[136:137], v[6:7], v[136:137]
	v_fmac_f64_e32 v[186:187], v[180:181], v[130:131]
	v_fma_f64 v[178:179], v[178:179], v[130:131], -v[132:133]
	scratch_load_b128 v[130:133], off, off offset:864
	v_add_f64_e32 v[182:183], v[182:183], v[188:189]
	v_add_f64_e32 v[180:181], v[192:193], v[190:191]
	v_fmac_f64_e32 v[184:185], v[6:7], v[134:135]
	v_fma_f64 v[190:191], v[4:5], v[134:135], -v[136:137]
	ds_load_b128 v[4:7], v2 offset:1616
	s_wait_loadcnt_dscnt 0xb01
	v_mul_f64_e32 v[188:189], v[170:171], v[140:141]
	v_mul_f64_e32 v[140:141], v[172:173], v[140:141]
	scratch_load_b128 v[134:137], off, off offset:880
	v_add_f64_e32 v[182:183], v[182:183], v[186:187]
	s_wait_loadcnt_dscnt 0xb00
	v_mul_f64_e32 v[186:187], v[4:5], v[144:145]
	v_add_f64_e32 v[192:193], v[180:181], v[178:179]
	v_mul_f64_e32 v[144:145], v[6:7], v[144:145]
	ds_load_b128 v[178:181], v2 offset:1632
	v_fmac_f64_e32 v[188:189], v[172:173], v[138:139]
	v_fma_f64 v[138:139], v[170:171], v[138:139], -v[140:141]
	s_wait_loadcnt_dscnt 0xa00
	v_mul_f64_e32 v[172:173], v[178:179], v[148:149]
	v_mul_f64_e32 v[148:149], v[180:181], v[148:149]
	v_add_f64_e32 v[170:171], v[182:183], v[184:185]
	v_fmac_f64_e32 v[186:187], v[6:7], v[142:143]
	v_add_f64_e32 v[140:141], v[192:193], v[190:191]
	v_fma_f64 v[142:143], v[4:5], v[142:143], -v[144:145]
	v_fmac_f64_e32 v[172:173], v[180:181], v[146:147]
	v_fma_f64 v[146:147], v[178:179], v[146:147], -v[148:149]
	v_add_f64_e32 v[170:171], v[170:171], v[188:189]
	v_add_f64_e32 v[144:145], v[140:141], v[138:139]
	ds_load_b128 v[4:7], v2 offset:1648
	ds_load_b128 v[138:141], v2 offset:1664
	s_wait_loadcnt_dscnt 0x901
	v_mul_f64_e32 v[182:183], v[4:5], v[152:153]
	v_mul_f64_e32 v[152:153], v[6:7], v[152:153]
	s_wait_loadcnt_dscnt 0x800
	v_mul_f64_e32 v[148:149], v[138:139], v[156:157]
	v_mul_f64_e32 v[156:157], v[140:141], v[156:157]
	v_add_f64_e32 v[142:143], v[144:145], v[142:143]
	v_add_f64_e32 v[144:145], v[170:171], v[186:187]
	v_fmac_f64_e32 v[182:183], v[6:7], v[150:151]
	v_fma_f64 v[150:151], v[4:5], v[150:151], -v[152:153]
	v_fmac_f64_e32 v[148:149], v[140:141], v[154:155]
	v_fma_f64 v[138:139], v[138:139], v[154:155], -v[156:157]
	v_add_f64_e32 v[146:147], v[142:143], v[146:147]
	v_add_f64_e32 v[152:153], v[144:145], v[172:173]
	ds_load_b128 v[4:7], v2 offset:1680
	ds_load_b128 v[142:145], v2 offset:1696
	s_wait_loadcnt_dscnt 0x701
	v_mul_f64_e32 v[170:171], v[4:5], v[164:165]
	v_mul_f64_e32 v[164:165], v[6:7], v[164:165]
	v_add_f64_e32 v[140:141], v[146:147], v[150:151]
	v_add_f64_e32 v[146:147], v[152:153], v[182:183]
	s_wait_loadcnt_dscnt 0x500
	v_mul_f64_e32 v[150:151], v[142:143], v[176:177]
	v_mul_f64_e32 v[152:153], v[144:145], v[176:177]
	v_fmac_f64_e32 v[170:171], v[6:7], v[162:163]
	v_fma_f64 v[154:155], v[4:5], v[162:163], -v[164:165]
	v_add_f64_e32 v[156:157], v[140:141], v[138:139]
	v_add_f64_e32 v[146:147], v[146:147], v[148:149]
	ds_load_b128 v[4:7], v2 offset:1712
	ds_load_b128 v[138:141], v2 offset:1728
	v_fmac_f64_e32 v[150:151], v[144:145], v[174:175]
	v_fma_f64 v[142:143], v[142:143], v[174:175], -v[152:153]
	s_wait_loadcnt_dscnt 0x401
	v_mul_f64_e32 v[148:149], v[4:5], v[160:161]
	v_mul_f64_e32 v[160:161], v[6:7], v[160:161]
	v_add_f64_e32 v[144:145], v[156:157], v[154:155]
	v_add_f64_e32 v[146:147], v[146:147], v[170:171]
	s_wait_loadcnt_dscnt 0x300
	v_mul_f64_e32 v[152:153], v[138:139], v[10:11]
	v_mul_f64_e32 v[10:11], v[140:141], v[10:11]
	v_fmac_f64_e32 v[148:149], v[6:7], v[158:159]
	v_fma_f64 v[154:155], v[4:5], v[158:159], -v[160:161]
	v_add_f64_e32 v[156:157], v[144:145], v[142:143]
	v_add_f64_e32 v[146:147], v[146:147], v[150:151]
	ds_load_b128 v[4:7], v2 offset:1744
	ds_load_b128 v[142:145], v2 offset:1760
	v_fmac_f64_e32 v[152:153], v[140:141], v[8:9]
	v_fma_f64 v[8:9], v[138:139], v[8:9], -v[10:11]
	s_wait_loadcnt_dscnt 0x201
	v_mul_f64_e32 v[150:151], v[4:5], v[128:129]
	v_mul_f64_e32 v[128:129], v[6:7], v[128:129]
	s_wait_loadcnt_dscnt 0x100
	v_mul_f64_e32 v[140:141], v[142:143], v[132:133]
	v_mul_f64_e32 v[132:133], v[144:145], v[132:133]
	v_add_f64_e32 v[10:11], v[156:157], v[154:155]
	v_add_f64_e32 v[138:139], v[146:147], v[148:149]
	v_fmac_f64_e32 v[150:151], v[6:7], v[126:127]
	v_fma_f64 v[126:127], v[4:5], v[126:127], -v[128:129]
	ds_load_b128 v[4:7], v2 offset:1776
	v_fmac_f64_e32 v[140:141], v[144:145], v[130:131]
	v_fma_f64 v[130:131], v[142:143], v[130:131], -v[132:133]
	v_add_f64_e32 v[8:9], v[10:11], v[8:9]
	v_add_f64_e32 v[10:11], v[138:139], v[152:153]
	s_wait_loadcnt_dscnt 0x0
	v_mul_f64_e32 v[128:129], v[4:5], v[136:137]
	v_mul_f64_e32 v[136:137], v[6:7], v[136:137]
	s_delay_alu instid0(VALU_DEP_4) | instskip(NEXT) | instid1(VALU_DEP_4)
	v_add_f64_e32 v[8:9], v[8:9], v[126:127]
	v_add_f64_e32 v[10:11], v[10:11], v[150:151]
	s_delay_alu instid0(VALU_DEP_4) | instskip(NEXT) | instid1(VALU_DEP_4)
	v_fmac_f64_e32 v[128:129], v[6:7], v[134:135]
	v_fma_f64 v[4:5], v[4:5], v[134:135], -v[136:137]
	s_delay_alu instid0(VALU_DEP_4) | instskip(NEXT) | instid1(VALU_DEP_4)
	v_add_f64_e32 v[6:7], v[8:9], v[130:131]
	v_add_f64_e32 v[8:9], v[10:11], v[140:141]
	s_delay_alu instid0(VALU_DEP_2) | instskip(NEXT) | instid1(VALU_DEP_2)
	v_add_f64_e32 v[4:5], v[6:7], v[4:5]
	v_add_f64_e32 v[6:7], v[8:9], v[128:129]
	s_delay_alu instid0(VALU_DEP_2) | instskip(NEXT) | instid1(VALU_DEP_2)
	v_add_f64_e64 v[4:5], v[166:167], -v[4:5]
	v_add_f64_e64 v[6:7], v[168:169], -v[6:7]
	scratch_store_b128 off, v[4:7], off offset:608
	s_wait_xcnt 0x0
	v_cmpx_lt_u32_e32 37, v1
	s_cbranch_execz .LBB55_275
; %bb.274:
	scratch_load_b128 v[6:9], off, s22
	v_dual_mov_b32 v3, v2 :: v_dual_mov_b32 v4, v2
	v_mov_b32_e32 v5, v2
	scratch_store_b128 off, v[2:5], off offset:592
	s_wait_loadcnt 0x0
	ds_store_b128 v12, v[6:9]
.LBB55_275:
	s_wait_xcnt 0x0
	s_or_b32 exec_lo, exec_lo, s2
	s_wait_storecnt_dscnt 0x0
	s_barrier_signal -1
	s_barrier_wait -1
	s_clause 0x9
	scratch_load_b128 v[4:7], off, off offset:608
	scratch_load_b128 v[8:11], off, off offset:624
	scratch_load_b128 v[126:129], off, off offset:640
	scratch_load_b128 v[130:133], off, off offset:656
	scratch_load_b128 v[134:137], off, off offset:672
	scratch_load_b128 v[138:141], off, off offset:688
	scratch_load_b128 v[142:145], off, off offset:704
	scratch_load_b128 v[146:149], off, off offset:720
	scratch_load_b128 v[150:153], off, off offset:736
	scratch_load_b128 v[154:157], off, off offset:752
	ds_load_b128 v[158:161], v2 offset:1504
	ds_load_b128 v[166:169], v2 offset:1520
	s_clause 0x2
	scratch_load_b128 v[162:165], off, off offset:768
	scratch_load_b128 v[170:173], off, off offset:592
	;; [unrolled: 1-line block ×3, first 2 shown]
	s_mov_b32 s2, exec_lo
	s_wait_loadcnt_dscnt 0xc01
	v_mul_f64_e32 v[178:179], v[160:161], v[6:7]
	v_mul_f64_e32 v[182:183], v[158:159], v[6:7]
	s_wait_loadcnt_dscnt 0xb00
	v_mul_f64_e32 v[184:185], v[166:167], v[10:11]
	v_mul_f64_e32 v[10:11], v[168:169], v[10:11]
	s_delay_alu instid0(VALU_DEP_4) | instskip(NEXT) | instid1(VALU_DEP_4)
	v_fma_f64 v[186:187], v[158:159], v[4:5], -v[178:179]
	v_fmac_f64_e32 v[182:183], v[160:161], v[4:5]
	ds_load_b128 v[4:7], v2 offset:1536
	ds_load_b128 v[158:161], v2 offset:1552
	scratch_load_b128 v[178:181], off, off offset:800
	v_fmac_f64_e32 v[184:185], v[168:169], v[8:9]
	v_fma_f64 v[166:167], v[166:167], v[8:9], -v[10:11]
	scratch_load_b128 v[8:11], off, off offset:816
	s_wait_loadcnt_dscnt 0xc01
	v_mul_f64_e32 v[188:189], v[4:5], v[128:129]
	v_mul_f64_e32 v[128:129], v[6:7], v[128:129]
	v_add_f64_e32 v[168:169], 0, v[186:187]
	v_add_f64_e32 v[182:183], 0, v[182:183]
	s_wait_loadcnt_dscnt 0xb00
	v_mul_f64_e32 v[186:187], v[158:159], v[132:133]
	v_mul_f64_e32 v[132:133], v[160:161], v[132:133]
	v_fmac_f64_e32 v[188:189], v[6:7], v[126:127]
	v_fma_f64 v[190:191], v[4:5], v[126:127], -v[128:129]
	ds_load_b128 v[4:7], v2 offset:1568
	ds_load_b128 v[126:129], v2 offset:1584
	v_add_f64_e32 v[192:193], v[168:169], v[166:167]
	v_add_f64_e32 v[182:183], v[182:183], v[184:185]
	scratch_load_b128 v[166:169], off, off offset:832
	v_fmac_f64_e32 v[186:187], v[160:161], v[130:131]
	v_fma_f64 v[158:159], v[158:159], v[130:131], -v[132:133]
	scratch_load_b128 v[130:133], off, off offset:848
	s_wait_loadcnt_dscnt 0xc01
	v_mul_f64_e32 v[184:185], v[4:5], v[136:137]
	v_mul_f64_e32 v[136:137], v[6:7], v[136:137]
	v_add_f64_e32 v[160:161], v[192:193], v[190:191]
	v_add_f64_e32 v[182:183], v[182:183], v[188:189]
	s_wait_loadcnt_dscnt 0xb00
	v_mul_f64_e32 v[188:189], v[126:127], v[140:141]
	v_mul_f64_e32 v[140:141], v[128:129], v[140:141]
	v_fmac_f64_e32 v[184:185], v[6:7], v[134:135]
	v_fma_f64 v[190:191], v[4:5], v[134:135], -v[136:137]
	ds_load_b128 v[4:7], v2 offset:1600
	ds_load_b128 v[134:137], v2 offset:1616
	v_add_f64_e32 v[192:193], v[160:161], v[158:159]
	v_add_f64_e32 v[182:183], v[182:183], v[186:187]
	scratch_load_b128 v[158:161], off, off offset:864
	s_wait_loadcnt_dscnt 0xb01
	v_mul_f64_e32 v[186:187], v[4:5], v[144:145]
	v_mul_f64_e32 v[144:145], v[6:7], v[144:145]
	v_fmac_f64_e32 v[188:189], v[128:129], v[138:139]
	v_fma_f64 v[138:139], v[126:127], v[138:139], -v[140:141]
	scratch_load_b128 v[126:129], off, off offset:880
	v_add_f64_e32 v[140:141], v[192:193], v[190:191]
	v_add_f64_e32 v[182:183], v[182:183], v[184:185]
	s_wait_loadcnt_dscnt 0xb00
	v_mul_f64_e32 v[184:185], v[134:135], v[148:149]
	v_mul_f64_e32 v[148:149], v[136:137], v[148:149]
	v_fmac_f64_e32 v[186:187], v[6:7], v[142:143]
	v_fma_f64 v[142:143], v[4:5], v[142:143], -v[144:145]
	v_add_f64_e32 v[144:145], v[140:141], v[138:139]
	v_add_f64_e32 v[182:183], v[182:183], v[188:189]
	ds_load_b128 v[4:7], v2 offset:1632
	ds_load_b128 v[138:141], v2 offset:1648
	v_fmac_f64_e32 v[184:185], v[136:137], v[146:147]
	v_fma_f64 v[134:135], v[134:135], v[146:147], -v[148:149]
	s_wait_loadcnt_dscnt 0xa01
	v_mul_f64_e32 v[188:189], v[4:5], v[152:153]
	v_mul_f64_e32 v[152:153], v[6:7], v[152:153]
	s_wait_loadcnt_dscnt 0x900
	v_mul_f64_e32 v[146:147], v[140:141], v[156:157]
	v_add_f64_e32 v[136:137], v[144:145], v[142:143]
	v_add_f64_e32 v[142:143], v[182:183], v[186:187]
	v_mul_f64_e32 v[144:145], v[138:139], v[156:157]
	v_fmac_f64_e32 v[188:189], v[6:7], v[150:151]
	v_fma_f64 v[148:149], v[4:5], v[150:151], -v[152:153]
	v_fma_f64 v[138:139], v[138:139], v[154:155], -v[146:147]
	v_add_f64_e32 v[150:151], v[136:137], v[134:135]
	v_add_f64_e32 v[142:143], v[142:143], v[184:185]
	ds_load_b128 v[4:7], v2 offset:1664
	ds_load_b128 v[134:137], v2 offset:1680
	v_fmac_f64_e32 v[144:145], v[140:141], v[154:155]
	s_wait_loadcnt_dscnt 0x801
	v_mul_f64_e32 v[152:153], v[4:5], v[164:165]
	v_mul_f64_e32 v[156:157], v[6:7], v[164:165]
	s_wait_loadcnt_dscnt 0x600
	v_mul_f64_e32 v[146:147], v[134:135], v[176:177]
	v_add_f64_e32 v[140:141], v[150:151], v[148:149]
	v_add_f64_e32 v[142:143], v[142:143], v[188:189]
	v_mul_f64_e32 v[148:149], v[136:137], v[176:177]
	v_fmac_f64_e32 v[152:153], v[6:7], v[162:163]
	v_fma_f64 v[150:151], v[4:5], v[162:163], -v[156:157]
	v_fmac_f64_e32 v[146:147], v[136:137], v[174:175]
	v_add_f64_e32 v[154:155], v[140:141], v[138:139]
	v_add_f64_e32 v[142:143], v[142:143], v[144:145]
	ds_load_b128 v[4:7], v2 offset:1696
	ds_load_b128 v[138:141], v2 offset:1712
	v_fma_f64 v[134:135], v[134:135], v[174:175], -v[148:149]
	s_wait_loadcnt_dscnt 0x501
	v_mul_f64_e32 v[144:145], v[4:5], v[180:181]
	v_mul_f64_e32 v[156:157], v[6:7], v[180:181]
	s_wait_loadcnt_dscnt 0x400
	v_mul_f64_e32 v[148:149], v[138:139], v[10:11]
	v_mul_f64_e32 v[10:11], v[140:141], v[10:11]
	v_add_f64_e32 v[136:137], v[154:155], v[150:151]
	v_add_f64_e32 v[142:143], v[142:143], v[152:153]
	v_fmac_f64_e32 v[144:145], v[6:7], v[178:179]
	v_fma_f64 v[150:151], v[4:5], v[178:179], -v[156:157]
	v_fmac_f64_e32 v[148:149], v[140:141], v[8:9]
	v_fma_f64 v[8:9], v[138:139], v[8:9], -v[10:11]
	v_add_f64_e32 v[152:153], v[136:137], v[134:135]
	v_add_f64_e32 v[142:143], v[142:143], v[146:147]
	ds_load_b128 v[4:7], v2 offset:1728
	ds_load_b128 v[134:137], v2 offset:1744
	s_wait_loadcnt_dscnt 0x301
	v_mul_f64_e32 v[146:147], v[4:5], v[168:169]
	v_mul_f64_e32 v[154:155], v[6:7], v[168:169]
	s_wait_loadcnt_dscnt 0x200
	v_mul_f64_e32 v[140:141], v[134:135], v[132:133]
	v_mul_f64_e32 v[132:133], v[136:137], v[132:133]
	v_add_f64_e32 v[10:11], v[152:153], v[150:151]
	v_add_f64_e32 v[138:139], v[142:143], v[144:145]
	v_fmac_f64_e32 v[146:147], v[6:7], v[166:167]
	v_fma_f64 v[142:143], v[4:5], v[166:167], -v[154:155]
	v_fmac_f64_e32 v[140:141], v[136:137], v[130:131]
	v_fma_f64 v[130:131], v[134:135], v[130:131], -v[132:133]
	v_add_f64_e32 v[144:145], v[10:11], v[8:9]
	v_add_f64_e32 v[138:139], v[138:139], v[148:149]
	ds_load_b128 v[4:7], v2 offset:1760
	ds_load_b128 v[8:11], v2 offset:1776
	s_wait_loadcnt_dscnt 0x101
	v_mul_f64_e32 v[2:3], v[4:5], v[160:161]
	v_mul_f64_e32 v[148:149], v[6:7], v[160:161]
	s_wait_loadcnt_dscnt 0x0
	v_mul_f64_e32 v[136:137], v[8:9], v[128:129]
	v_mul_f64_e32 v[128:129], v[10:11], v[128:129]
	v_add_f64_e32 v[132:133], v[144:145], v[142:143]
	v_add_f64_e32 v[134:135], v[138:139], v[146:147]
	v_fmac_f64_e32 v[2:3], v[6:7], v[158:159]
	v_fma_f64 v[4:5], v[4:5], v[158:159], -v[148:149]
	v_fmac_f64_e32 v[136:137], v[10:11], v[126:127]
	v_fma_f64 v[8:9], v[8:9], v[126:127], -v[128:129]
	v_add_f64_e32 v[6:7], v[132:133], v[130:131]
	v_add_f64_e32 v[130:131], v[134:135], v[140:141]
	s_delay_alu instid0(VALU_DEP_2) | instskip(NEXT) | instid1(VALU_DEP_2)
	v_add_f64_e32 v[4:5], v[6:7], v[4:5]
	v_add_f64_e32 v[2:3], v[130:131], v[2:3]
	s_delay_alu instid0(VALU_DEP_2) | instskip(NEXT) | instid1(VALU_DEP_2)
	;; [unrolled: 3-line block ×3, first 2 shown]
	v_add_f64_e64 v[2:3], v[170:171], -v[4:5]
	v_add_f64_e64 v[4:5], v[172:173], -v[6:7]
	scratch_store_b128 off, v[2:5], off offset:592
	s_wait_xcnt 0x0
	v_cmpx_lt_u32_e32 36, v1
	s_cbranch_execz .LBB55_277
; %bb.276:
	scratch_load_b128 v[2:5], off, s28
	v_mov_b32_e32 v6, 0
	s_delay_alu instid0(VALU_DEP_1)
	v_dual_mov_b32 v7, v6 :: v_dual_mov_b32 v8, v6
	v_mov_b32_e32 v9, v6
	scratch_store_b128 off, v[6:9], off offset:576
	s_wait_loadcnt 0x0
	ds_store_b128 v12, v[2:5]
.LBB55_277:
	s_wait_xcnt 0x0
	s_or_b32 exec_lo, exec_lo, s2
	s_wait_storecnt_dscnt 0x0
	s_barrier_signal -1
	s_barrier_wait -1
	s_clause 0x9
	scratch_load_b128 v[4:7], off, off offset:592
	scratch_load_b128 v[8:11], off, off offset:608
	;; [unrolled: 1-line block ×10, first 2 shown]
	v_mov_b32_e32 v2, 0
	s_mov_b32 s2, exec_lo
	ds_load_b128 v[158:161], v2 offset:1488
	s_clause 0x2
	scratch_load_b128 v[162:165], off, off offset:752
	scratch_load_b128 v[166:169], off, off offset:576
	;; [unrolled: 1-line block ×3, first 2 shown]
	s_wait_loadcnt_dscnt 0xc00
	v_mul_f64_e32 v[178:179], v[160:161], v[6:7]
	v_mul_f64_e32 v[182:183], v[158:159], v[6:7]
	ds_load_b128 v[170:173], v2 offset:1504
	v_fma_f64 v[186:187], v[158:159], v[4:5], -v[178:179]
	v_fmac_f64_e32 v[182:183], v[160:161], v[4:5]
	ds_load_b128 v[4:7], v2 offset:1520
	s_wait_loadcnt_dscnt 0xb01
	v_mul_f64_e32 v[184:185], v[170:171], v[10:11]
	v_mul_f64_e32 v[10:11], v[172:173], v[10:11]
	scratch_load_b128 v[158:161], off, off offset:784
	ds_load_b128 v[178:181], v2 offset:1536
	s_wait_loadcnt_dscnt 0xb01
	v_mul_f64_e32 v[188:189], v[4:5], v[128:129]
	v_mul_f64_e32 v[128:129], v[6:7], v[128:129]
	v_add_f64_e32 v[182:183], 0, v[182:183]
	v_fmac_f64_e32 v[184:185], v[172:173], v[8:9]
	v_fma_f64 v[170:171], v[170:171], v[8:9], -v[10:11]
	v_add_f64_e32 v[172:173], 0, v[186:187]
	scratch_load_b128 v[8:11], off, off offset:800
	v_fmac_f64_e32 v[188:189], v[6:7], v[126:127]
	v_fma_f64 v[190:191], v[4:5], v[126:127], -v[128:129]
	ds_load_b128 v[4:7], v2 offset:1552
	s_wait_loadcnt_dscnt 0xb01
	v_mul_f64_e32 v[186:187], v[178:179], v[132:133]
	v_mul_f64_e32 v[132:133], v[180:181], v[132:133]
	scratch_load_b128 v[126:129], off, off offset:816
	v_add_f64_e32 v[182:183], v[182:183], v[184:185]
	v_add_f64_e32 v[192:193], v[172:173], v[170:171]
	ds_load_b128 v[170:173], v2 offset:1568
	s_wait_loadcnt_dscnt 0xb01
	v_mul_f64_e32 v[184:185], v[4:5], v[136:137]
	v_mul_f64_e32 v[136:137], v[6:7], v[136:137]
	v_fmac_f64_e32 v[186:187], v[180:181], v[130:131]
	v_fma_f64 v[178:179], v[178:179], v[130:131], -v[132:133]
	scratch_load_b128 v[130:133], off, off offset:832
	v_add_f64_e32 v[182:183], v[182:183], v[188:189]
	v_add_f64_e32 v[180:181], v[192:193], v[190:191]
	v_fmac_f64_e32 v[184:185], v[6:7], v[134:135]
	v_fma_f64 v[190:191], v[4:5], v[134:135], -v[136:137]
	ds_load_b128 v[4:7], v2 offset:1584
	s_wait_loadcnt_dscnt 0xb01
	v_mul_f64_e32 v[188:189], v[170:171], v[140:141]
	v_mul_f64_e32 v[140:141], v[172:173], v[140:141]
	scratch_load_b128 v[134:137], off, off offset:848
	v_add_f64_e32 v[182:183], v[182:183], v[186:187]
	s_wait_loadcnt_dscnt 0xb00
	v_mul_f64_e32 v[186:187], v[4:5], v[144:145]
	v_add_f64_e32 v[192:193], v[180:181], v[178:179]
	v_mul_f64_e32 v[144:145], v[6:7], v[144:145]
	ds_load_b128 v[178:181], v2 offset:1600
	v_fmac_f64_e32 v[188:189], v[172:173], v[138:139]
	v_fma_f64 v[170:171], v[170:171], v[138:139], -v[140:141]
	scratch_load_b128 v[138:141], off, off offset:864
	v_add_f64_e32 v[182:183], v[182:183], v[184:185]
	v_fmac_f64_e32 v[186:187], v[6:7], v[142:143]
	v_add_f64_e32 v[172:173], v[192:193], v[190:191]
	v_fma_f64 v[190:191], v[4:5], v[142:143], -v[144:145]
	ds_load_b128 v[4:7], v2 offset:1616
	s_wait_loadcnt_dscnt 0xb01
	v_mul_f64_e32 v[184:185], v[178:179], v[148:149]
	v_mul_f64_e32 v[148:149], v[180:181], v[148:149]
	scratch_load_b128 v[142:145], off, off offset:880
	v_add_f64_e32 v[182:183], v[182:183], v[188:189]
	s_wait_loadcnt_dscnt 0xb00
	v_mul_f64_e32 v[188:189], v[4:5], v[152:153]
	v_add_f64_e32 v[192:193], v[172:173], v[170:171]
	v_mul_f64_e32 v[152:153], v[6:7], v[152:153]
	ds_load_b128 v[170:173], v2 offset:1632
	v_fmac_f64_e32 v[184:185], v[180:181], v[146:147]
	v_fma_f64 v[146:147], v[178:179], v[146:147], -v[148:149]
	s_wait_loadcnt_dscnt 0xa00
	v_mul_f64_e32 v[180:181], v[170:171], v[156:157]
	v_mul_f64_e32 v[156:157], v[172:173], v[156:157]
	v_add_f64_e32 v[178:179], v[182:183], v[186:187]
	v_fmac_f64_e32 v[188:189], v[6:7], v[150:151]
	v_add_f64_e32 v[148:149], v[192:193], v[190:191]
	v_fma_f64 v[150:151], v[4:5], v[150:151], -v[152:153]
	v_fmac_f64_e32 v[180:181], v[172:173], v[154:155]
	v_fma_f64 v[154:155], v[170:171], v[154:155], -v[156:157]
	v_add_f64_e32 v[178:179], v[178:179], v[184:185]
	v_add_f64_e32 v[152:153], v[148:149], v[146:147]
	ds_load_b128 v[4:7], v2 offset:1648
	ds_load_b128 v[146:149], v2 offset:1664
	s_wait_loadcnt_dscnt 0x901
	v_mul_f64_e32 v[182:183], v[4:5], v[164:165]
	v_mul_f64_e32 v[164:165], v[6:7], v[164:165]
	s_wait_loadcnt_dscnt 0x700
	v_mul_f64_e32 v[156:157], v[146:147], v[176:177]
	v_mul_f64_e32 v[170:171], v[148:149], v[176:177]
	v_add_f64_e32 v[150:151], v[152:153], v[150:151]
	v_add_f64_e32 v[152:153], v[178:179], v[188:189]
	v_fmac_f64_e32 v[182:183], v[6:7], v[162:163]
	v_fma_f64 v[162:163], v[4:5], v[162:163], -v[164:165]
	v_fmac_f64_e32 v[156:157], v[148:149], v[174:175]
	v_fma_f64 v[146:147], v[146:147], v[174:175], -v[170:171]
	v_add_f64_e32 v[154:155], v[150:151], v[154:155]
	v_add_f64_e32 v[164:165], v[152:153], v[180:181]
	ds_load_b128 v[4:7], v2 offset:1680
	ds_load_b128 v[150:153], v2 offset:1696
	s_wait_loadcnt_dscnt 0x601
	v_mul_f64_e32 v[172:173], v[4:5], v[160:161]
	v_mul_f64_e32 v[160:161], v[6:7], v[160:161]
	v_add_f64_e32 v[148:149], v[154:155], v[162:163]
	v_add_f64_e32 v[154:155], v[164:165], v[182:183]
	s_wait_loadcnt_dscnt 0x500
	v_mul_f64_e32 v[162:163], v[150:151], v[10:11]
	v_mul_f64_e32 v[10:11], v[152:153], v[10:11]
	v_fmac_f64_e32 v[172:173], v[6:7], v[158:159]
	v_fma_f64 v[158:159], v[4:5], v[158:159], -v[160:161]
	v_add_f64_e32 v[160:161], v[148:149], v[146:147]
	v_add_f64_e32 v[154:155], v[154:155], v[156:157]
	ds_load_b128 v[4:7], v2 offset:1712
	ds_load_b128 v[146:149], v2 offset:1728
	v_fmac_f64_e32 v[162:163], v[152:153], v[8:9]
	v_fma_f64 v[8:9], v[150:151], v[8:9], -v[10:11]
	s_wait_loadcnt_dscnt 0x401
	v_mul_f64_e32 v[156:157], v[4:5], v[128:129]
	v_mul_f64_e32 v[128:129], v[6:7], v[128:129]
	s_wait_loadcnt_dscnt 0x300
	v_mul_f64_e32 v[152:153], v[146:147], v[132:133]
	v_mul_f64_e32 v[132:133], v[148:149], v[132:133]
	v_add_f64_e32 v[10:11], v[160:161], v[158:159]
	v_add_f64_e32 v[150:151], v[154:155], v[172:173]
	v_fmac_f64_e32 v[156:157], v[6:7], v[126:127]
	v_fma_f64 v[126:127], v[4:5], v[126:127], -v[128:129]
	v_fmac_f64_e32 v[152:153], v[148:149], v[130:131]
	v_fma_f64 v[130:131], v[146:147], v[130:131], -v[132:133]
	v_add_f64_e32 v[128:129], v[10:11], v[8:9]
	v_add_f64_e32 v[150:151], v[150:151], v[162:163]
	ds_load_b128 v[4:7], v2 offset:1744
	ds_load_b128 v[8:11], v2 offset:1760
	s_wait_loadcnt_dscnt 0x201
	v_mul_f64_e32 v[154:155], v[4:5], v[136:137]
	v_mul_f64_e32 v[136:137], v[6:7], v[136:137]
	s_wait_loadcnt_dscnt 0x100
	v_mul_f64_e32 v[132:133], v[8:9], v[140:141]
	v_mul_f64_e32 v[140:141], v[10:11], v[140:141]
	v_add_f64_e32 v[126:127], v[128:129], v[126:127]
	v_add_f64_e32 v[128:129], v[150:151], v[156:157]
	v_fmac_f64_e32 v[154:155], v[6:7], v[134:135]
	v_fma_f64 v[134:135], v[4:5], v[134:135], -v[136:137]
	ds_load_b128 v[4:7], v2 offset:1776
	v_fmac_f64_e32 v[132:133], v[10:11], v[138:139]
	v_fma_f64 v[8:9], v[8:9], v[138:139], -v[140:141]
	v_add_f64_e32 v[126:127], v[126:127], v[130:131]
	v_add_f64_e32 v[128:129], v[128:129], v[152:153]
	s_wait_loadcnt_dscnt 0x0
	v_mul_f64_e32 v[130:131], v[4:5], v[144:145]
	v_mul_f64_e32 v[136:137], v[6:7], v[144:145]
	s_delay_alu instid0(VALU_DEP_4) | instskip(NEXT) | instid1(VALU_DEP_4)
	v_add_f64_e32 v[10:11], v[126:127], v[134:135]
	v_add_f64_e32 v[126:127], v[128:129], v[154:155]
	s_delay_alu instid0(VALU_DEP_4) | instskip(NEXT) | instid1(VALU_DEP_4)
	v_fmac_f64_e32 v[130:131], v[6:7], v[142:143]
	v_fma_f64 v[4:5], v[4:5], v[142:143], -v[136:137]
	s_delay_alu instid0(VALU_DEP_4) | instskip(NEXT) | instid1(VALU_DEP_4)
	v_add_f64_e32 v[6:7], v[10:11], v[8:9]
	v_add_f64_e32 v[8:9], v[126:127], v[132:133]
	s_delay_alu instid0(VALU_DEP_2) | instskip(NEXT) | instid1(VALU_DEP_2)
	v_add_f64_e32 v[4:5], v[6:7], v[4:5]
	v_add_f64_e32 v[6:7], v[8:9], v[130:131]
	s_delay_alu instid0(VALU_DEP_2) | instskip(NEXT) | instid1(VALU_DEP_2)
	v_add_f64_e64 v[4:5], v[166:167], -v[4:5]
	v_add_f64_e64 v[6:7], v[168:169], -v[6:7]
	scratch_store_b128 off, v[4:7], off offset:576
	s_wait_xcnt 0x0
	v_cmpx_lt_u32_e32 35, v1
	s_cbranch_execz .LBB55_279
; %bb.278:
	scratch_load_b128 v[6:9], off, s26
	v_dual_mov_b32 v3, v2 :: v_dual_mov_b32 v4, v2
	v_mov_b32_e32 v5, v2
	scratch_store_b128 off, v[2:5], off offset:560
	s_wait_loadcnt 0x0
	ds_store_b128 v12, v[6:9]
.LBB55_279:
	s_wait_xcnt 0x0
	s_or_b32 exec_lo, exec_lo, s2
	s_wait_storecnt_dscnt 0x0
	s_barrier_signal -1
	s_barrier_wait -1
	s_clause 0x9
	scratch_load_b128 v[4:7], off, off offset:576
	scratch_load_b128 v[8:11], off, off offset:592
	;; [unrolled: 1-line block ×10, first 2 shown]
	ds_load_b128 v[158:161], v2 offset:1472
	ds_load_b128 v[166:169], v2 offset:1488
	s_clause 0x2
	scratch_load_b128 v[162:165], off, off offset:736
	scratch_load_b128 v[170:173], off, off offset:560
	;; [unrolled: 1-line block ×3, first 2 shown]
	s_mov_b32 s2, exec_lo
	s_wait_loadcnt_dscnt 0xc01
	v_mul_f64_e32 v[178:179], v[160:161], v[6:7]
	v_mul_f64_e32 v[182:183], v[158:159], v[6:7]
	s_wait_loadcnt_dscnt 0xb00
	v_mul_f64_e32 v[184:185], v[166:167], v[10:11]
	v_mul_f64_e32 v[10:11], v[168:169], v[10:11]
	s_delay_alu instid0(VALU_DEP_4) | instskip(NEXT) | instid1(VALU_DEP_4)
	v_fma_f64 v[186:187], v[158:159], v[4:5], -v[178:179]
	v_fmac_f64_e32 v[182:183], v[160:161], v[4:5]
	ds_load_b128 v[4:7], v2 offset:1504
	ds_load_b128 v[158:161], v2 offset:1520
	scratch_load_b128 v[178:181], off, off offset:768
	v_fmac_f64_e32 v[184:185], v[168:169], v[8:9]
	v_fma_f64 v[166:167], v[166:167], v[8:9], -v[10:11]
	scratch_load_b128 v[8:11], off, off offset:784
	s_wait_loadcnt_dscnt 0xc01
	v_mul_f64_e32 v[188:189], v[4:5], v[128:129]
	v_mul_f64_e32 v[128:129], v[6:7], v[128:129]
	v_add_f64_e32 v[168:169], 0, v[186:187]
	v_add_f64_e32 v[182:183], 0, v[182:183]
	s_wait_loadcnt_dscnt 0xb00
	v_mul_f64_e32 v[186:187], v[158:159], v[132:133]
	v_mul_f64_e32 v[132:133], v[160:161], v[132:133]
	v_fmac_f64_e32 v[188:189], v[6:7], v[126:127]
	v_fma_f64 v[190:191], v[4:5], v[126:127], -v[128:129]
	ds_load_b128 v[4:7], v2 offset:1536
	ds_load_b128 v[126:129], v2 offset:1552
	v_add_f64_e32 v[192:193], v[168:169], v[166:167]
	v_add_f64_e32 v[182:183], v[182:183], v[184:185]
	scratch_load_b128 v[166:169], off, off offset:800
	v_fmac_f64_e32 v[186:187], v[160:161], v[130:131]
	v_fma_f64 v[158:159], v[158:159], v[130:131], -v[132:133]
	scratch_load_b128 v[130:133], off, off offset:816
	s_wait_loadcnt_dscnt 0xc01
	v_mul_f64_e32 v[184:185], v[4:5], v[136:137]
	v_mul_f64_e32 v[136:137], v[6:7], v[136:137]
	v_add_f64_e32 v[160:161], v[192:193], v[190:191]
	v_add_f64_e32 v[182:183], v[182:183], v[188:189]
	s_wait_loadcnt_dscnt 0xb00
	v_mul_f64_e32 v[188:189], v[126:127], v[140:141]
	v_mul_f64_e32 v[140:141], v[128:129], v[140:141]
	v_fmac_f64_e32 v[184:185], v[6:7], v[134:135]
	v_fma_f64 v[190:191], v[4:5], v[134:135], -v[136:137]
	ds_load_b128 v[4:7], v2 offset:1568
	ds_load_b128 v[134:137], v2 offset:1584
	v_add_f64_e32 v[192:193], v[160:161], v[158:159]
	v_add_f64_e32 v[182:183], v[182:183], v[186:187]
	scratch_load_b128 v[158:161], off, off offset:832
	s_wait_loadcnt_dscnt 0xb01
	v_mul_f64_e32 v[186:187], v[4:5], v[144:145]
	v_mul_f64_e32 v[144:145], v[6:7], v[144:145]
	v_fmac_f64_e32 v[188:189], v[128:129], v[138:139]
	v_fma_f64 v[138:139], v[126:127], v[138:139], -v[140:141]
	scratch_load_b128 v[126:129], off, off offset:848
	v_add_f64_e32 v[140:141], v[192:193], v[190:191]
	v_add_f64_e32 v[182:183], v[182:183], v[184:185]
	s_wait_loadcnt_dscnt 0xb00
	v_mul_f64_e32 v[184:185], v[134:135], v[148:149]
	v_mul_f64_e32 v[148:149], v[136:137], v[148:149]
	v_fmac_f64_e32 v[186:187], v[6:7], v[142:143]
	v_fma_f64 v[190:191], v[4:5], v[142:143], -v[144:145]
	v_add_f64_e32 v[192:193], v[140:141], v[138:139]
	v_add_f64_e32 v[182:183], v[182:183], v[188:189]
	ds_load_b128 v[4:7], v2 offset:1600
	ds_load_b128 v[138:141], v2 offset:1616
	scratch_load_b128 v[142:145], off, off offset:864
	v_fmac_f64_e32 v[184:185], v[136:137], v[146:147]
	v_fma_f64 v[146:147], v[134:135], v[146:147], -v[148:149]
	scratch_load_b128 v[134:137], off, off offset:880
	s_wait_loadcnt_dscnt 0xc01
	v_mul_f64_e32 v[188:189], v[4:5], v[152:153]
	v_mul_f64_e32 v[152:153], v[6:7], v[152:153]
	v_add_f64_e32 v[148:149], v[192:193], v[190:191]
	v_add_f64_e32 v[182:183], v[182:183], v[186:187]
	s_wait_loadcnt_dscnt 0xb00
	v_mul_f64_e32 v[186:187], v[138:139], v[156:157]
	v_mul_f64_e32 v[156:157], v[140:141], v[156:157]
	v_fmac_f64_e32 v[188:189], v[6:7], v[150:151]
	v_fma_f64 v[150:151], v[4:5], v[150:151], -v[152:153]
	v_add_f64_e32 v[152:153], v[148:149], v[146:147]
	v_add_f64_e32 v[182:183], v[182:183], v[184:185]
	ds_load_b128 v[4:7], v2 offset:1632
	ds_load_b128 v[146:149], v2 offset:1648
	v_fmac_f64_e32 v[186:187], v[140:141], v[154:155]
	v_fma_f64 v[138:139], v[138:139], v[154:155], -v[156:157]
	s_wait_loadcnt_dscnt 0xa01
	v_mul_f64_e32 v[184:185], v[4:5], v[164:165]
	v_mul_f64_e32 v[164:165], v[6:7], v[164:165]
	s_wait_loadcnt_dscnt 0x800
	v_mul_f64_e32 v[154:155], v[148:149], v[176:177]
	v_add_f64_e32 v[140:141], v[152:153], v[150:151]
	v_add_f64_e32 v[150:151], v[182:183], v[188:189]
	v_mul_f64_e32 v[152:153], v[146:147], v[176:177]
	v_fmac_f64_e32 v[184:185], v[6:7], v[162:163]
	v_fma_f64 v[156:157], v[4:5], v[162:163], -v[164:165]
	v_fma_f64 v[146:147], v[146:147], v[174:175], -v[154:155]
	v_add_f64_e32 v[162:163], v[140:141], v[138:139]
	v_add_f64_e32 v[150:151], v[150:151], v[186:187]
	ds_load_b128 v[4:7], v2 offset:1664
	ds_load_b128 v[138:141], v2 offset:1680
	v_fmac_f64_e32 v[152:153], v[148:149], v[174:175]
	s_wait_loadcnt_dscnt 0x701
	v_mul_f64_e32 v[164:165], v[4:5], v[180:181]
	v_mul_f64_e32 v[176:177], v[6:7], v[180:181]
	s_wait_loadcnt_dscnt 0x600
	v_mul_f64_e32 v[154:155], v[138:139], v[10:11]
	v_mul_f64_e32 v[10:11], v[140:141], v[10:11]
	v_add_f64_e32 v[148:149], v[162:163], v[156:157]
	v_add_f64_e32 v[150:151], v[150:151], v[184:185]
	v_fmac_f64_e32 v[164:165], v[6:7], v[178:179]
	v_fma_f64 v[156:157], v[4:5], v[178:179], -v[176:177]
	v_fmac_f64_e32 v[154:155], v[140:141], v[8:9]
	v_fma_f64 v[8:9], v[138:139], v[8:9], -v[10:11]
	v_add_f64_e32 v[162:163], v[148:149], v[146:147]
	v_add_f64_e32 v[150:151], v[150:151], v[152:153]
	ds_load_b128 v[4:7], v2 offset:1696
	ds_load_b128 v[146:149], v2 offset:1712
	s_wait_loadcnt_dscnt 0x501
	v_mul_f64_e32 v[152:153], v[4:5], v[168:169]
	v_mul_f64_e32 v[168:169], v[6:7], v[168:169]
	s_wait_loadcnt_dscnt 0x400
	v_mul_f64_e32 v[140:141], v[146:147], v[132:133]
	v_mul_f64_e32 v[132:133], v[148:149], v[132:133]
	v_add_f64_e32 v[10:11], v[162:163], v[156:157]
	v_add_f64_e32 v[138:139], v[150:151], v[164:165]
	v_fmac_f64_e32 v[152:153], v[6:7], v[166:167]
	v_fma_f64 v[150:151], v[4:5], v[166:167], -v[168:169]
	v_fmac_f64_e32 v[140:141], v[148:149], v[130:131]
	v_fma_f64 v[130:131], v[146:147], v[130:131], -v[132:133]
	v_add_f64_e32 v[156:157], v[10:11], v[8:9]
	v_add_f64_e32 v[138:139], v[138:139], v[154:155]
	ds_load_b128 v[4:7], v2 offset:1728
	ds_load_b128 v[8:11], v2 offset:1744
	;; [unrolled: 16-line block ×3, first 2 shown]
	s_wait_loadcnt_dscnt 0x101
	v_mul_f64_e32 v[2:3], v[4:5], v[144:145]
	v_mul_f64_e32 v[140:141], v[6:7], v[144:145]
	v_add_f64_e32 v[10:11], v[132:133], v[150:151]
	v_add_f64_e32 v[126:127], v[138:139], v[154:155]
	s_wait_loadcnt_dscnt 0x0
	v_mul_f64_e32 v[132:133], v[128:129], v[136:137]
	v_mul_f64_e32 v[136:137], v[130:131], v[136:137]
	v_fmac_f64_e32 v[2:3], v[6:7], v[142:143]
	v_fma_f64 v[4:5], v[4:5], v[142:143], -v[140:141]
	v_add_f64_e32 v[6:7], v[10:11], v[8:9]
	v_add_f64_e32 v[8:9], v[126:127], v[146:147]
	v_fmac_f64_e32 v[132:133], v[130:131], v[134:135]
	v_fma_f64 v[10:11], v[128:129], v[134:135], -v[136:137]
	s_delay_alu instid0(VALU_DEP_4) | instskip(NEXT) | instid1(VALU_DEP_4)
	v_add_f64_e32 v[4:5], v[6:7], v[4:5]
	v_add_f64_e32 v[2:3], v[8:9], v[2:3]
	s_delay_alu instid0(VALU_DEP_2) | instskip(NEXT) | instid1(VALU_DEP_2)
	v_add_f64_e32 v[4:5], v[4:5], v[10:11]
	v_add_f64_e32 v[6:7], v[2:3], v[132:133]
	s_delay_alu instid0(VALU_DEP_2) | instskip(NEXT) | instid1(VALU_DEP_2)
	v_add_f64_e64 v[2:3], v[170:171], -v[4:5]
	v_add_f64_e64 v[4:5], v[172:173], -v[6:7]
	scratch_store_b128 off, v[2:5], off offset:560
	s_wait_xcnt 0x0
	v_cmpx_lt_u32_e32 34, v1
	s_cbranch_execz .LBB55_281
; %bb.280:
	scratch_load_b128 v[2:5], off, s33
	v_mov_b32_e32 v6, 0
	s_delay_alu instid0(VALU_DEP_1)
	v_dual_mov_b32 v7, v6 :: v_dual_mov_b32 v8, v6
	v_mov_b32_e32 v9, v6
	scratch_store_b128 off, v[6:9], off offset:544
	s_wait_loadcnt 0x0
	ds_store_b128 v12, v[2:5]
.LBB55_281:
	s_wait_xcnt 0x0
	s_or_b32 exec_lo, exec_lo, s2
	s_wait_storecnt_dscnt 0x0
	s_barrier_signal -1
	s_barrier_wait -1
	s_clause 0x9
	scratch_load_b128 v[4:7], off, off offset:560
	scratch_load_b128 v[8:11], off, off offset:576
	;; [unrolled: 1-line block ×10, first 2 shown]
	v_mov_b32_e32 v2, 0
	s_mov_b32 s2, exec_lo
	ds_load_b128 v[158:161], v2 offset:1456
	s_clause 0x2
	scratch_load_b128 v[162:165], off, off offset:720
	scratch_load_b128 v[166:169], off, off offset:544
	;; [unrolled: 1-line block ×3, first 2 shown]
	s_wait_loadcnt_dscnt 0xc00
	v_mul_f64_e32 v[178:179], v[160:161], v[6:7]
	v_mul_f64_e32 v[182:183], v[158:159], v[6:7]
	ds_load_b128 v[170:173], v2 offset:1472
	v_fma_f64 v[186:187], v[158:159], v[4:5], -v[178:179]
	v_fmac_f64_e32 v[182:183], v[160:161], v[4:5]
	ds_load_b128 v[4:7], v2 offset:1488
	s_wait_loadcnt_dscnt 0xb01
	v_mul_f64_e32 v[184:185], v[170:171], v[10:11]
	v_mul_f64_e32 v[10:11], v[172:173], v[10:11]
	scratch_load_b128 v[158:161], off, off offset:752
	ds_load_b128 v[178:181], v2 offset:1504
	s_wait_loadcnt_dscnt 0xb01
	v_mul_f64_e32 v[188:189], v[4:5], v[128:129]
	v_mul_f64_e32 v[128:129], v[6:7], v[128:129]
	v_add_f64_e32 v[182:183], 0, v[182:183]
	v_fmac_f64_e32 v[184:185], v[172:173], v[8:9]
	v_fma_f64 v[170:171], v[170:171], v[8:9], -v[10:11]
	v_add_f64_e32 v[172:173], 0, v[186:187]
	scratch_load_b128 v[8:11], off, off offset:768
	v_fmac_f64_e32 v[188:189], v[6:7], v[126:127]
	v_fma_f64 v[190:191], v[4:5], v[126:127], -v[128:129]
	ds_load_b128 v[4:7], v2 offset:1520
	s_wait_loadcnt_dscnt 0xb01
	v_mul_f64_e32 v[186:187], v[178:179], v[132:133]
	v_mul_f64_e32 v[132:133], v[180:181], v[132:133]
	scratch_load_b128 v[126:129], off, off offset:784
	v_add_f64_e32 v[182:183], v[182:183], v[184:185]
	v_add_f64_e32 v[192:193], v[172:173], v[170:171]
	ds_load_b128 v[170:173], v2 offset:1536
	s_wait_loadcnt_dscnt 0xb01
	v_mul_f64_e32 v[184:185], v[4:5], v[136:137]
	v_mul_f64_e32 v[136:137], v[6:7], v[136:137]
	v_fmac_f64_e32 v[186:187], v[180:181], v[130:131]
	v_fma_f64 v[178:179], v[178:179], v[130:131], -v[132:133]
	scratch_load_b128 v[130:133], off, off offset:800
	v_add_f64_e32 v[182:183], v[182:183], v[188:189]
	v_add_f64_e32 v[180:181], v[192:193], v[190:191]
	v_fmac_f64_e32 v[184:185], v[6:7], v[134:135]
	v_fma_f64 v[190:191], v[4:5], v[134:135], -v[136:137]
	ds_load_b128 v[4:7], v2 offset:1552
	s_wait_loadcnt_dscnt 0xb01
	v_mul_f64_e32 v[188:189], v[170:171], v[140:141]
	v_mul_f64_e32 v[140:141], v[172:173], v[140:141]
	scratch_load_b128 v[134:137], off, off offset:816
	v_add_f64_e32 v[182:183], v[182:183], v[186:187]
	s_wait_loadcnt_dscnt 0xb00
	v_mul_f64_e32 v[186:187], v[4:5], v[144:145]
	v_add_f64_e32 v[192:193], v[180:181], v[178:179]
	v_mul_f64_e32 v[144:145], v[6:7], v[144:145]
	ds_load_b128 v[178:181], v2 offset:1568
	v_fmac_f64_e32 v[188:189], v[172:173], v[138:139]
	v_fma_f64 v[170:171], v[170:171], v[138:139], -v[140:141]
	scratch_load_b128 v[138:141], off, off offset:832
	v_add_f64_e32 v[182:183], v[182:183], v[184:185]
	v_fmac_f64_e32 v[186:187], v[6:7], v[142:143]
	v_add_f64_e32 v[172:173], v[192:193], v[190:191]
	v_fma_f64 v[190:191], v[4:5], v[142:143], -v[144:145]
	ds_load_b128 v[4:7], v2 offset:1584
	s_wait_loadcnt_dscnt 0xb01
	v_mul_f64_e32 v[184:185], v[178:179], v[148:149]
	v_mul_f64_e32 v[148:149], v[180:181], v[148:149]
	scratch_load_b128 v[142:145], off, off offset:848
	v_add_f64_e32 v[182:183], v[182:183], v[188:189]
	s_wait_loadcnt_dscnt 0xb00
	v_mul_f64_e32 v[188:189], v[4:5], v[152:153]
	v_add_f64_e32 v[192:193], v[172:173], v[170:171]
	v_mul_f64_e32 v[152:153], v[6:7], v[152:153]
	ds_load_b128 v[170:173], v2 offset:1600
	v_fmac_f64_e32 v[184:185], v[180:181], v[146:147]
	v_fma_f64 v[178:179], v[178:179], v[146:147], -v[148:149]
	scratch_load_b128 v[146:149], off, off offset:864
	v_add_f64_e32 v[182:183], v[182:183], v[186:187]
	v_fmac_f64_e32 v[188:189], v[6:7], v[150:151]
	v_add_f64_e32 v[180:181], v[192:193], v[190:191]
	v_fma_f64 v[190:191], v[4:5], v[150:151], -v[152:153]
	ds_load_b128 v[4:7], v2 offset:1616
	s_wait_loadcnt_dscnt 0xb01
	v_mul_f64_e32 v[186:187], v[170:171], v[156:157]
	v_mul_f64_e32 v[156:157], v[172:173], v[156:157]
	scratch_load_b128 v[150:153], off, off offset:880
	v_add_f64_e32 v[182:183], v[182:183], v[184:185]
	s_wait_loadcnt_dscnt 0xb00
	v_mul_f64_e32 v[184:185], v[4:5], v[164:165]
	v_add_f64_e32 v[192:193], v[180:181], v[178:179]
	v_mul_f64_e32 v[164:165], v[6:7], v[164:165]
	ds_load_b128 v[178:181], v2 offset:1632
	v_fmac_f64_e32 v[186:187], v[172:173], v[154:155]
	v_fma_f64 v[154:155], v[170:171], v[154:155], -v[156:157]
	s_wait_loadcnt_dscnt 0x900
	v_mul_f64_e32 v[172:173], v[178:179], v[176:177]
	v_mul_f64_e32 v[176:177], v[180:181], v[176:177]
	v_add_f64_e32 v[170:171], v[182:183], v[188:189]
	v_fmac_f64_e32 v[184:185], v[6:7], v[162:163]
	v_add_f64_e32 v[156:157], v[192:193], v[190:191]
	v_fma_f64 v[162:163], v[4:5], v[162:163], -v[164:165]
	v_fmac_f64_e32 v[172:173], v[180:181], v[174:175]
	v_fma_f64 v[174:175], v[178:179], v[174:175], -v[176:177]
	v_add_f64_e32 v[170:171], v[170:171], v[186:187]
	v_add_f64_e32 v[164:165], v[156:157], v[154:155]
	ds_load_b128 v[4:7], v2 offset:1648
	ds_load_b128 v[154:157], v2 offset:1664
	s_wait_loadcnt_dscnt 0x801
	v_mul_f64_e32 v[182:183], v[4:5], v[160:161]
	v_mul_f64_e32 v[160:161], v[6:7], v[160:161]
	v_add_f64_e32 v[162:163], v[164:165], v[162:163]
	v_add_f64_e32 v[164:165], v[170:171], v[184:185]
	s_wait_loadcnt_dscnt 0x700
	v_mul_f64_e32 v[170:171], v[154:155], v[10:11]
	v_mul_f64_e32 v[10:11], v[156:157], v[10:11]
	v_fmac_f64_e32 v[182:183], v[6:7], v[158:159]
	v_fma_f64 v[176:177], v[4:5], v[158:159], -v[160:161]
	ds_load_b128 v[4:7], v2 offset:1680
	ds_load_b128 v[158:161], v2 offset:1696
	v_add_f64_e32 v[162:163], v[162:163], v[174:175]
	v_add_f64_e32 v[164:165], v[164:165], v[172:173]
	v_fmac_f64_e32 v[170:171], v[156:157], v[8:9]
	v_fma_f64 v[8:9], v[154:155], v[8:9], -v[10:11]
	s_wait_loadcnt_dscnt 0x601
	v_mul_f64_e32 v[172:173], v[4:5], v[128:129]
	v_mul_f64_e32 v[128:129], v[6:7], v[128:129]
	s_wait_loadcnt_dscnt 0x500
	v_mul_f64_e32 v[156:157], v[158:159], v[132:133]
	v_mul_f64_e32 v[132:133], v[160:161], v[132:133]
	v_add_f64_e32 v[10:11], v[162:163], v[176:177]
	v_add_f64_e32 v[154:155], v[164:165], v[182:183]
	v_fmac_f64_e32 v[172:173], v[6:7], v[126:127]
	v_fma_f64 v[126:127], v[4:5], v[126:127], -v[128:129]
	v_fmac_f64_e32 v[156:157], v[160:161], v[130:131]
	v_fma_f64 v[130:131], v[158:159], v[130:131], -v[132:133]
	v_add_f64_e32 v[128:129], v[10:11], v[8:9]
	v_add_f64_e32 v[154:155], v[154:155], v[170:171]
	ds_load_b128 v[4:7], v2 offset:1712
	ds_load_b128 v[8:11], v2 offset:1728
	s_wait_loadcnt_dscnt 0x401
	v_mul_f64_e32 v[162:163], v[4:5], v[136:137]
	v_mul_f64_e32 v[136:137], v[6:7], v[136:137]
	s_wait_loadcnt_dscnt 0x300
	v_mul_f64_e32 v[132:133], v[8:9], v[140:141]
	v_mul_f64_e32 v[140:141], v[10:11], v[140:141]
	v_add_f64_e32 v[126:127], v[128:129], v[126:127]
	v_add_f64_e32 v[128:129], v[154:155], v[172:173]
	v_fmac_f64_e32 v[162:163], v[6:7], v[134:135]
	v_fma_f64 v[134:135], v[4:5], v[134:135], -v[136:137]
	v_fmac_f64_e32 v[132:133], v[10:11], v[138:139]
	v_fma_f64 v[8:9], v[8:9], v[138:139], -v[140:141]
	v_add_f64_e32 v[130:131], v[126:127], v[130:131]
	v_add_f64_e32 v[136:137], v[128:129], v[156:157]
	ds_load_b128 v[4:7], v2 offset:1744
	ds_load_b128 v[126:129], v2 offset:1760
	s_wait_loadcnt_dscnt 0x201
	v_mul_f64_e32 v[154:155], v[4:5], v[144:145]
	v_mul_f64_e32 v[144:145], v[6:7], v[144:145]
	v_add_f64_e32 v[10:11], v[130:131], v[134:135]
	v_add_f64_e32 v[130:131], v[136:137], v[162:163]
	s_wait_loadcnt_dscnt 0x100
	v_mul_f64_e32 v[134:135], v[126:127], v[148:149]
	v_mul_f64_e32 v[136:137], v[128:129], v[148:149]
	v_fmac_f64_e32 v[154:155], v[6:7], v[142:143]
	v_fma_f64 v[138:139], v[4:5], v[142:143], -v[144:145]
	ds_load_b128 v[4:7], v2 offset:1776
	v_add_f64_e32 v[8:9], v[10:11], v[8:9]
	v_add_f64_e32 v[10:11], v[130:131], v[132:133]
	v_fmac_f64_e32 v[134:135], v[128:129], v[146:147]
	v_fma_f64 v[126:127], v[126:127], v[146:147], -v[136:137]
	s_wait_loadcnt_dscnt 0x0
	v_mul_f64_e32 v[130:131], v[4:5], v[152:153]
	v_mul_f64_e32 v[132:133], v[6:7], v[152:153]
	v_add_f64_e32 v[8:9], v[8:9], v[138:139]
	v_add_f64_e32 v[10:11], v[10:11], v[154:155]
	s_delay_alu instid0(VALU_DEP_4) | instskip(NEXT) | instid1(VALU_DEP_4)
	v_fmac_f64_e32 v[130:131], v[6:7], v[150:151]
	v_fma_f64 v[4:5], v[4:5], v[150:151], -v[132:133]
	s_delay_alu instid0(VALU_DEP_4) | instskip(NEXT) | instid1(VALU_DEP_4)
	v_add_f64_e32 v[6:7], v[8:9], v[126:127]
	v_add_f64_e32 v[8:9], v[10:11], v[134:135]
	s_delay_alu instid0(VALU_DEP_2) | instskip(NEXT) | instid1(VALU_DEP_2)
	v_add_f64_e32 v[4:5], v[6:7], v[4:5]
	v_add_f64_e32 v[6:7], v[8:9], v[130:131]
	s_delay_alu instid0(VALU_DEP_2) | instskip(NEXT) | instid1(VALU_DEP_2)
	v_add_f64_e64 v[4:5], v[166:167], -v[4:5]
	v_add_f64_e64 v[6:7], v[168:169], -v[6:7]
	scratch_store_b128 off, v[4:7], off offset:544
	s_wait_xcnt 0x0
	v_cmpx_lt_u32_e32 33, v1
	s_cbranch_execz .LBB55_283
; %bb.282:
	scratch_load_b128 v[6:9], off, s31
	v_dual_mov_b32 v3, v2 :: v_dual_mov_b32 v4, v2
	v_mov_b32_e32 v5, v2
	scratch_store_b128 off, v[2:5], off offset:528
	s_wait_loadcnt 0x0
	ds_store_b128 v12, v[6:9]
.LBB55_283:
	s_wait_xcnt 0x0
	s_or_b32 exec_lo, exec_lo, s2
	s_wait_storecnt_dscnt 0x0
	s_barrier_signal -1
	s_barrier_wait -1
	s_clause 0x9
	scratch_load_b128 v[4:7], off, off offset:544
	scratch_load_b128 v[8:11], off, off offset:560
	;; [unrolled: 1-line block ×10, first 2 shown]
	ds_load_b128 v[158:161], v2 offset:1440
	ds_load_b128 v[166:169], v2 offset:1456
	s_clause 0x2
	scratch_load_b128 v[162:165], off, off offset:704
	scratch_load_b128 v[170:173], off, off offset:528
	;; [unrolled: 1-line block ×3, first 2 shown]
	s_mov_b32 s2, exec_lo
	s_wait_loadcnt_dscnt 0xc01
	v_mul_f64_e32 v[178:179], v[160:161], v[6:7]
	v_mul_f64_e32 v[182:183], v[158:159], v[6:7]
	s_wait_loadcnt_dscnt 0xb00
	v_mul_f64_e32 v[184:185], v[166:167], v[10:11]
	v_mul_f64_e32 v[10:11], v[168:169], v[10:11]
	s_delay_alu instid0(VALU_DEP_4) | instskip(NEXT) | instid1(VALU_DEP_4)
	v_fma_f64 v[186:187], v[158:159], v[4:5], -v[178:179]
	v_fmac_f64_e32 v[182:183], v[160:161], v[4:5]
	ds_load_b128 v[4:7], v2 offset:1472
	ds_load_b128 v[158:161], v2 offset:1488
	scratch_load_b128 v[178:181], off, off offset:736
	v_fmac_f64_e32 v[184:185], v[168:169], v[8:9]
	v_fma_f64 v[166:167], v[166:167], v[8:9], -v[10:11]
	scratch_load_b128 v[8:11], off, off offset:752
	s_wait_loadcnt_dscnt 0xc01
	v_mul_f64_e32 v[188:189], v[4:5], v[128:129]
	v_mul_f64_e32 v[128:129], v[6:7], v[128:129]
	v_add_f64_e32 v[168:169], 0, v[186:187]
	v_add_f64_e32 v[182:183], 0, v[182:183]
	s_wait_loadcnt_dscnt 0xb00
	v_mul_f64_e32 v[186:187], v[158:159], v[132:133]
	v_mul_f64_e32 v[132:133], v[160:161], v[132:133]
	v_fmac_f64_e32 v[188:189], v[6:7], v[126:127]
	v_fma_f64 v[190:191], v[4:5], v[126:127], -v[128:129]
	ds_load_b128 v[4:7], v2 offset:1504
	ds_load_b128 v[126:129], v2 offset:1520
	v_add_f64_e32 v[192:193], v[168:169], v[166:167]
	v_add_f64_e32 v[182:183], v[182:183], v[184:185]
	scratch_load_b128 v[166:169], off, off offset:768
	v_fmac_f64_e32 v[186:187], v[160:161], v[130:131]
	v_fma_f64 v[158:159], v[158:159], v[130:131], -v[132:133]
	scratch_load_b128 v[130:133], off, off offset:784
	s_wait_loadcnt_dscnt 0xc01
	v_mul_f64_e32 v[184:185], v[4:5], v[136:137]
	v_mul_f64_e32 v[136:137], v[6:7], v[136:137]
	v_add_f64_e32 v[160:161], v[192:193], v[190:191]
	v_add_f64_e32 v[182:183], v[182:183], v[188:189]
	s_wait_loadcnt_dscnt 0xb00
	v_mul_f64_e32 v[188:189], v[126:127], v[140:141]
	v_mul_f64_e32 v[140:141], v[128:129], v[140:141]
	v_fmac_f64_e32 v[184:185], v[6:7], v[134:135]
	v_fma_f64 v[190:191], v[4:5], v[134:135], -v[136:137]
	ds_load_b128 v[4:7], v2 offset:1536
	ds_load_b128 v[134:137], v2 offset:1552
	v_add_f64_e32 v[192:193], v[160:161], v[158:159]
	v_add_f64_e32 v[182:183], v[182:183], v[186:187]
	scratch_load_b128 v[158:161], off, off offset:800
	s_wait_loadcnt_dscnt 0xb01
	v_mul_f64_e32 v[186:187], v[4:5], v[144:145]
	v_mul_f64_e32 v[144:145], v[6:7], v[144:145]
	v_fmac_f64_e32 v[188:189], v[128:129], v[138:139]
	v_fma_f64 v[138:139], v[126:127], v[138:139], -v[140:141]
	scratch_load_b128 v[126:129], off, off offset:816
	v_add_f64_e32 v[140:141], v[192:193], v[190:191]
	v_add_f64_e32 v[182:183], v[182:183], v[184:185]
	s_wait_loadcnt_dscnt 0xb00
	v_mul_f64_e32 v[184:185], v[134:135], v[148:149]
	v_mul_f64_e32 v[148:149], v[136:137], v[148:149]
	v_fmac_f64_e32 v[186:187], v[6:7], v[142:143]
	v_fma_f64 v[190:191], v[4:5], v[142:143], -v[144:145]
	v_add_f64_e32 v[192:193], v[140:141], v[138:139]
	v_add_f64_e32 v[182:183], v[182:183], v[188:189]
	ds_load_b128 v[4:7], v2 offset:1568
	ds_load_b128 v[138:141], v2 offset:1584
	scratch_load_b128 v[142:145], off, off offset:832
	v_fmac_f64_e32 v[184:185], v[136:137], v[146:147]
	v_fma_f64 v[146:147], v[134:135], v[146:147], -v[148:149]
	scratch_load_b128 v[134:137], off, off offset:848
	s_wait_loadcnt_dscnt 0xc01
	v_mul_f64_e32 v[188:189], v[4:5], v[152:153]
	v_mul_f64_e32 v[152:153], v[6:7], v[152:153]
	v_add_f64_e32 v[148:149], v[192:193], v[190:191]
	v_add_f64_e32 v[182:183], v[182:183], v[186:187]
	s_wait_loadcnt_dscnt 0xb00
	v_mul_f64_e32 v[186:187], v[138:139], v[156:157]
	v_mul_f64_e32 v[156:157], v[140:141], v[156:157]
	v_fmac_f64_e32 v[188:189], v[6:7], v[150:151]
	v_fma_f64 v[190:191], v[4:5], v[150:151], -v[152:153]
	v_add_f64_e32 v[192:193], v[148:149], v[146:147]
	v_add_f64_e32 v[182:183], v[182:183], v[184:185]
	ds_load_b128 v[4:7], v2 offset:1600
	ds_load_b128 v[146:149], v2 offset:1616
	scratch_load_b128 v[150:153], off, off offset:864
	v_fmac_f64_e32 v[186:187], v[140:141], v[154:155]
	v_fma_f64 v[154:155], v[138:139], v[154:155], -v[156:157]
	scratch_load_b128 v[138:141], off, off offset:880
	s_wait_loadcnt_dscnt 0xc01
	v_mul_f64_e32 v[184:185], v[4:5], v[164:165]
	v_mul_f64_e32 v[164:165], v[6:7], v[164:165]
	v_add_f64_e32 v[156:157], v[192:193], v[190:191]
	v_add_f64_e32 v[182:183], v[182:183], v[188:189]
	s_wait_loadcnt_dscnt 0xa00
	v_mul_f64_e32 v[188:189], v[146:147], v[176:177]
	v_mul_f64_e32 v[176:177], v[148:149], v[176:177]
	v_fmac_f64_e32 v[184:185], v[6:7], v[162:163]
	v_fma_f64 v[162:163], v[4:5], v[162:163], -v[164:165]
	v_add_f64_e32 v[164:165], v[156:157], v[154:155]
	v_add_f64_e32 v[182:183], v[182:183], v[186:187]
	ds_load_b128 v[4:7], v2 offset:1632
	ds_load_b128 v[154:157], v2 offset:1648
	v_fmac_f64_e32 v[188:189], v[148:149], v[174:175]
	v_fma_f64 v[146:147], v[146:147], v[174:175], -v[176:177]
	s_wait_loadcnt_dscnt 0x901
	v_mul_f64_e32 v[186:187], v[4:5], v[180:181]
	v_mul_f64_e32 v[180:181], v[6:7], v[180:181]
	v_add_f64_e32 v[148:149], v[164:165], v[162:163]
	v_add_f64_e32 v[162:163], v[182:183], v[184:185]
	s_wait_loadcnt_dscnt 0x800
	v_mul_f64_e32 v[164:165], v[154:155], v[10:11]
	v_mul_f64_e32 v[10:11], v[156:157], v[10:11]
	v_fmac_f64_e32 v[186:187], v[6:7], v[178:179]
	v_fma_f64 v[174:175], v[4:5], v[178:179], -v[180:181]
	v_add_f64_e32 v[176:177], v[148:149], v[146:147]
	v_add_f64_e32 v[162:163], v[162:163], v[188:189]
	ds_load_b128 v[4:7], v2 offset:1664
	ds_load_b128 v[146:149], v2 offset:1680
	v_fmac_f64_e32 v[164:165], v[156:157], v[8:9]
	v_fma_f64 v[8:9], v[154:155], v[8:9], -v[10:11]
	s_wait_loadcnt_dscnt 0x701
	v_mul_f64_e32 v[178:179], v[4:5], v[168:169]
	v_mul_f64_e32 v[168:169], v[6:7], v[168:169]
	s_wait_loadcnt_dscnt 0x600
	v_mul_f64_e32 v[156:157], v[146:147], v[132:133]
	v_mul_f64_e32 v[132:133], v[148:149], v[132:133]
	v_add_f64_e32 v[10:11], v[176:177], v[174:175]
	v_add_f64_e32 v[154:155], v[162:163], v[186:187]
	v_fmac_f64_e32 v[178:179], v[6:7], v[166:167]
	v_fma_f64 v[162:163], v[4:5], v[166:167], -v[168:169]
	v_fmac_f64_e32 v[156:157], v[148:149], v[130:131]
	v_fma_f64 v[130:131], v[146:147], v[130:131], -v[132:133]
	v_add_f64_e32 v[166:167], v[10:11], v[8:9]
	v_add_f64_e32 v[154:155], v[154:155], v[164:165]
	ds_load_b128 v[4:7], v2 offset:1696
	ds_load_b128 v[8:11], v2 offset:1712
	s_wait_loadcnt_dscnt 0x501
	v_mul_f64_e32 v[164:165], v[4:5], v[160:161]
	v_mul_f64_e32 v[160:161], v[6:7], v[160:161]
	s_wait_loadcnt_dscnt 0x400
	v_mul_f64_e32 v[148:149], v[8:9], v[128:129]
	v_add_f64_e32 v[132:133], v[166:167], v[162:163]
	v_add_f64_e32 v[146:147], v[154:155], v[178:179]
	v_mul_f64_e32 v[154:155], v[10:11], v[128:129]
	v_fmac_f64_e32 v[164:165], v[6:7], v[158:159]
	v_fma_f64 v[158:159], v[4:5], v[158:159], -v[160:161]
	v_fmac_f64_e32 v[148:149], v[10:11], v[126:127]
	v_add_f64_e32 v[132:133], v[132:133], v[130:131]
	v_add_f64_e32 v[146:147], v[146:147], v[156:157]
	ds_load_b128 v[4:7], v2 offset:1728
	ds_load_b128 v[128:131], v2 offset:1744
	v_fma_f64 v[8:9], v[8:9], v[126:127], -v[154:155]
	s_wait_loadcnt_dscnt 0x301
	v_mul_f64_e32 v[156:157], v[4:5], v[144:145]
	v_mul_f64_e32 v[144:145], v[6:7], v[144:145]
	v_add_f64_e32 v[10:11], v[132:133], v[158:159]
	v_add_f64_e32 v[126:127], v[146:147], v[164:165]
	s_wait_loadcnt_dscnt 0x200
	v_mul_f64_e32 v[132:133], v[128:129], v[136:137]
	v_mul_f64_e32 v[136:137], v[130:131], v[136:137]
	v_fmac_f64_e32 v[156:157], v[6:7], v[142:143]
	v_fma_f64 v[142:143], v[4:5], v[142:143], -v[144:145]
	v_add_f64_e32 v[144:145], v[10:11], v[8:9]
	v_add_f64_e32 v[126:127], v[126:127], v[148:149]
	ds_load_b128 v[4:7], v2 offset:1760
	ds_load_b128 v[8:11], v2 offset:1776
	v_fmac_f64_e32 v[132:133], v[130:131], v[134:135]
	v_fma_f64 v[128:129], v[128:129], v[134:135], -v[136:137]
	s_wait_loadcnt_dscnt 0x101
	v_mul_f64_e32 v[2:3], v[4:5], v[152:153]
	v_mul_f64_e32 v[146:147], v[6:7], v[152:153]
	s_wait_loadcnt_dscnt 0x0
	v_mul_f64_e32 v[134:135], v[8:9], v[140:141]
	v_mul_f64_e32 v[136:137], v[10:11], v[140:141]
	v_add_f64_e32 v[130:131], v[144:145], v[142:143]
	v_add_f64_e32 v[126:127], v[126:127], v[156:157]
	v_fmac_f64_e32 v[2:3], v[6:7], v[150:151]
	v_fma_f64 v[4:5], v[4:5], v[150:151], -v[146:147]
	v_fmac_f64_e32 v[134:135], v[10:11], v[138:139]
	v_fma_f64 v[8:9], v[8:9], v[138:139], -v[136:137]
	v_add_f64_e32 v[6:7], v[130:131], v[128:129]
	v_add_f64_e32 v[126:127], v[126:127], v[132:133]
	s_delay_alu instid0(VALU_DEP_2) | instskip(NEXT) | instid1(VALU_DEP_2)
	v_add_f64_e32 v[4:5], v[6:7], v[4:5]
	v_add_f64_e32 v[2:3], v[126:127], v[2:3]
	s_delay_alu instid0(VALU_DEP_2) | instskip(NEXT) | instid1(VALU_DEP_2)
	;; [unrolled: 3-line block ×3, first 2 shown]
	v_add_f64_e64 v[2:3], v[170:171], -v[4:5]
	v_add_f64_e64 v[4:5], v[172:173], -v[6:7]
	scratch_store_b128 off, v[2:5], off offset:528
	s_wait_xcnt 0x0
	v_cmpx_lt_u32_e32 32, v1
	s_cbranch_execz .LBB55_285
; %bb.284:
	scratch_load_b128 v[2:5], off, s47
	v_mov_b32_e32 v6, 0
	s_delay_alu instid0(VALU_DEP_1)
	v_dual_mov_b32 v7, v6 :: v_dual_mov_b32 v8, v6
	v_mov_b32_e32 v9, v6
	scratch_store_b128 off, v[6:9], off offset:512
	s_wait_loadcnt 0x0
	ds_store_b128 v12, v[2:5]
.LBB55_285:
	s_wait_xcnt 0x0
	s_or_b32 exec_lo, exec_lo, s2
	s_wait_storecnt_dscnt 0x0
	s_barrier_signal -1
	s_barrier_wait -1
	s_clause 0x9
	scratch_load_b128 v[4:7], off, off offset:528
	scratch_load_b128 v[8:11], off, off offset:544
	;; [unrolled: 1-line block ×10, first 2 shown]
	v_mov_b32_e32 v2, 0
	s_mov_b32 s2, exec_lo
	ds_load_b128 v[158:161], v2 offset:1424
	s_clause 0x2
	scratch_load_b128 v[162:165], off, off offset:688
	scratch_load_b128 v[166:169], off, off offset:512
	;; [unrolled: 1-line block ×3, first 2 shown]
	s_wait_loadcnt_dscnt 0xc00
	v_mul_f64_e32 v[178:179], v[160:161], v[6:7]
	v_mul_f64_e32 v[182:183], v[158:159], v[6:7]
	ds_load_b128 v[170:173], v2 offset:1440
	v_fma_f64 v[186:187], v[158:159], v[4:5], -v[178:179]
	v_fmac_f64_e32 v[182:183], v[160:161], v[4:5]
	ds_load_b128 v[4:7], v2 offset:1456
	s_wait_loadcnt_dscnt 0xb01
	v_mul_f64_e32 v[184:185], v[170:171], v[10:11]
	v_mul_f64_e32 v[10:11], v[172:173], v[10:11]
	scratch_load_b128 v[158:161], off, off offset:720
	ds_load_b128 v[178:181], v2 offset:1472
	s_wait_loadcnt_dscnt 0xb01
	v_mul_f64_e32 v[188:189], v[4:5], v[128:129]
	v_mul_f64_e32 v[128:129], v[6:7], v[128:129]
	v_add_f64_e32 v[182:183], 0, v[182:183]
	v_fmac_f64_e32 v[184:185], v[172:173], v[8:9]
	v_fma_f64 v[170:171], v[170:171], v[8:9], -v[10:11]
	v_add_f64_e32 v[172:173], 0, v[186:187]
	scratch_load_b128 v[8:11], off, off offset:736
	v_fmac_f64_e32 v[188:189], v[6:7], v[126:127]
	v_fma_f64 v[190:191], v[4:5], v[126:127], -v[128:129]
	ds_load_b128 v[4:7], v2 offset:1488
	s_wait_loadcnt_dscnt 0xb01
	v_mul_f64_e32 v[186:187], v[178:179], v[132:133]
	v_mul_f64_e32 v[132:133], v[180:181], v[132:133]
	scratch_load_b128 v[126:129], off, off offset:752
	v_add_f64_e32 v[182:183], v[182:183], v[184:185]
	v_add_f64_e32 v[192:193], v[172:173], v[170:171]
	ds_load_b128 v[170:173], v2 offset:1504
	s_wait_loadcnt_dscnt 0xb01
	v_mul_f64_e32 v[184:185], v[4:5], v[136:137]
	v_mul_f64_e32 v[136:137], v[6:7], v[136:137]
	v_fmac_f64_e32 v[186:187], v[180:181], v[130:131]
	v_fma_f64 v[178:179], v[178:179], v[130:131], -v[132:133]
	scratch_load_b128 v[130:133], off, off offset:768
	v_add_f64_e32 v[182:183], v[182:183], v[188:189]
	v_add_f64_e32 v[180:181], v[192:193], v[190:191]
	v_fmac_f64_e32 v[184:185], v[6:7], v[134:135]
	v_fma_f64 v[190:191], v[4:5], v[134:135], -v[136:137]
	ds_load_b128 v[4:7], v2 offset:1520
	s_wait_loadcnt_dscnt 0xb01
	v_mul_f64_e32 v[188:189], v[170:171], v[140:141]
	v_mul_f64_e32 v[140:141], v[172:173], v[140:141]
	scratch_load_b128 v[134:137], off, off offset:784
	v_add_f64_e32 v[182:183], v[182:183], v[186:187]
	s_wait_loadcnt_dscnt 0xb00
	v_mul_f64_e32 v[186:187], v[4:5], v[144:145]
	v_add_f64_e32 v[192:193], v[180:181], v[178:179]
	v_mul_f64_e32 v[144:145], v[6:7], v[144:145]
	ds_load_b128 v[178:181], v2 offset:1536
	v_fmac_f64_e32 v[188:189], v[172:173], v[138:139]
	v_fma_f64 v[170:171], v[170:171], v[138:139], -v[140:141]
	scratch_load_b128 v[138:141], off, off offset:800
	v_add_f64_e32 v[182:183], v[182:183], v[184:185]
	v_fmac_f64_e32 v[186:187], v[6:7], v[142:143]
	v_add_f64_e32 v[172:173], v[192:193], v[190:191]
	v_fma_f64 v[190:191], v[4:5], v[142:143], -v[144:145]
	ds_load_b128 v[4:7], v2 offset:1552
	s_wait_loadcnt_dscnt 0xb01
	v_mul_f64_e32 v[184:185], v[178:179], v[148:149]
	v_mul_f64_e32 v[148:149], v[180:181], v[148:149]
	scratch_load_b128 v[142:145], off, off offset:816
	v_add_f64_e32 v[182:183], v[182:183], v[188:189]
	s_wait_loadcnt_dscnt 0xb00
	v_mul_f64_e32 v[188:189], v[4:5], v[152:153]
	v_add_f64_e32 v[192:193], v[172:173], v[170:171]
	v_mul_f64_e32 v[152:153], v[6:7], v[152:153]
	ds_load_b128 v[170:173], v2 offset:1568
	v_fmac_f64_e32 v[184:185], v[180:181], v[146:147]
	v_fma_f64 v[178:179], v[178:179], v[146:147], -v[148:149]
	scratch_load_b128 v[146:149], off, off offset:832
	v_add_f64_e32 v[182:183], v[182:183], v[186:187]
	v_fmac_f64_e32 v[188:189], v[6:7], v[150:151]
	v_add_f64_e32 v[180:181], v[192:193], v[190:191]
	;; [unrolled: 18-line block ×3, first 2 shown]
	v_fma_f64 v[190:191], v[4:5], v[162:163], -v[164:165]
	ds_load_b128 v[4:7], v2 offset:1616
	s_wait_loadcnt_dscnt 0xa01
	v_mul_f64_e32 v[188:189], v[178:179], v[176:177]
	v_mul_f64_e32 v[176:177], v[180:181], v[176:177]
	scratch_load_b128 v[162:165], off, off offset:880
	v_add_f64_e32 v[182:183], v[182:183], v[186:187]
	v_add_f64_e32 v[192:193], v[172:173], v[170:171]
	s_wait_loadcnt_dscnt 0xa00
	v_mul_f64_e32 v[186:187], v[4:5], v[160:161]
	v_mul_f64_e32 v[160:161], v[6:7], v[160:161]
	v_fmac_f64_e32 v[188:189], v[180:181], v[174:175]
	v_fma_f64 v[174:175], v[178:179], v[174:175], -v[176:177]
	ds_load_b128 v[170:173], v2 offset:1632
	v_add_f64_e32 v[178:179], v[182:183], v[184:185]
	v_add_f64_e32 v[176:177], v[192:193], v[190:191]
	s_wait_loadcnt_dscnt 0x900
	v_mul_f64_e32 v[180:181], v[170:171], v[10:11]
	v_mul_f64_e32 v[10:11], v[172:173], v[10:11]
	v_fmac_f64_e32 v[186:187], v[6:7], v[158:159]
	v_fma_f64 v[182:183], v[4:5], v[158:159], -v[160:161]
	ds_load_b128 v[4:7], v2 offset:1648
	ds_load_b128 v[158:161], v2 offset:1664
	v_add_f64_e32 v[174:175], v[176:177], v[174:175]
	v_add_f64_e32 v[176:177], v[178:179], v[188:189]
	s_wait_loadcnt_dscnt 0x801
	v_mul_f64_e32 v[178:179], v[4:5], v[128:129]
	v_mul_f64_e32 v[128:129], v[6:7], v[128:129]
	v_fmac_f64_e32 v[180:181], v[172:173], v[8:9]
	v_fma_f64 v[8:9], v[170:171], v[8:9], -v[10:11]
	s_wait_loadcnt_dscnt 0x700
	v_mul_f64_e32 v[172:173], v[158:159], v[132:133]
	v_mul_f64_e32 v[132:133], v[160:161], v[132:133]
	v_add_f64_e32 v[10:11], v[174:175], v[182:183]
	v_add_f64_e32 v[170:171], v[176:177], v[186:187]
	v_fmac_f64_e32 v[178:179], v[6:7], v[126:127]
	v_fma_f64 v[126:127], v[4:5], v[126:127], -v[128:129]
	v_fmac_f64_e32 v[172:173], v[160:161], v[130:131]
	v_fma_f64 v[130:131], v[158:159], v[130:131], -v[132:133]
	v_add_f64_e32 v[128:129], v[10:11], v[8:9]
	v_add_f64_e32 v[170:171], v[170:171], v[180:181]
	ds_load_b128 v[4:7], v2 offset:1680
	ds_load_b128 v[8:11], v2 offset:1696
	s_wait_loadcnt_dscnt 0x601
	v_mul_f64_e32 v[174:175], v[4:5], v[136:137]
	v_mul_f64_e32 v[136:137], v[6:7], v[136:137]
	s_wait_loadcnt_dscnt 0x500
	v_mul_f64_e32 v[132:133], v[8:9], v[140:141]
	v_mul_f64_e32 v[140:141], v[10:11], v[140:141]
	v_add_f64_e32 v[126:127], v[128:129], v[126:127]
	v_add_f64_e32 v[128:129], v[170:171], v[178:179]
	v_fmac_f64_e32 v[174:175], v[6:7], v[134:135]
	v_fma_f64 v[134:135], v[4:5], v[134:135], -v[136:137]
	v_fmac_f64_e32 v[132:133], v[10:11], v[138:139]
	v_fma_f64 v[8:9], v[8:9], v[138:139], -v[140:141]
	v_add_f64_e32 v[130:131], v[126:127], v[130:131]
	v_add_f64_e32 v[136:137], v[128:129], v[172:173]
	ds_load_b128 v[4:7], v2 offset:1712
	ds_load_b128 v[126:129], v2 offset:1728
	s_wait_loadcnt_dscnt 0x401
	v_mul_f64_e32 v[158:159], v[4:5], v[144:145]
	v_mul_f64_e32 v[144:145], v[6:7], v[144:145]
	v_add_f64_e32 v[10:11], v[130:131], v[134:135]
	v_add_f64_e32 v[130:131], v[136:137], v[174:175]
	s_wait_loadcnt_dscnt 0x300
	v_mul_f64_e32 v[134:135], v[126:127], v[148:149]
	v_mul_f64_e32 v[136:137], v[128:129], v[148:149]
	v_fmac_f64_e32 v[158:159], v[6:7], v[142:143]
	v_fma_f64 v[138:139], v[4:5], v[142:143], -v[144:145]
	v_add_f64_e32 v[140:141], v[10:11], v[8:9]
	v_add_f64_e32 v[130:131], v[130:131], v[132:133]
	ds_load_b128 v[4:7], v2 offset:1744
	ds_load_b128 v[8:11], v2 offset:1760
	v_fmac_f64_e32 v[134:135], v[128:129], v[146:147]
	v_fma_f64 v[126:127], v[126:127], v[146:147], -v[136:137]
	s_wait_loadcnt_dscnt 0x201
	v_mul_f64_e32 v[132:133], v[4:5], v[152:153]
	v_mul_f64_e32 v[142:143], v[6:7], v[152:153]
	s_wait_loadcnt_dscnt 0x100
	v_mul_f64_e32 v[136:137], v[8:9], v[156:157]
	v_add_f64_e32 v[128:129], v[140:141], v[138:139]
	v_add_f64_e32 v[130:131], v[130:131], v[158:159]
	v_mul_f64_e32 v[138:139], v[10:11], v[156:157]
	v_fmac_f64_e32 v[132:133], v[6:7], v[150:151]
	v_fma_f64 v[140:141], v[4:5], v[150:151], -v[142:143]
	ds_load_b128 v[4:7], v2 offset:1776
	v_fmac_f64_e32 v[136:137], v[10:11], v[154:155]
	v_add_f64_e32 v[126:127], v[128:129], v[126:127]
	v_add_f64_e32 v[128:129], v[130:131], v[134:135]
	v_fma_f64 v[8:9], v[8:9], v[154:155], -v[138:139]
	s_wait_loadcnt_dscnt 0x0
	v_mul_f64_e32 v[130:131], v[4:5], v[164:165]
	v_mul_f64_e32 v[134:135], v[6:7], v[164:165]
	v_add_f64_e32 v[10:11], v[126:127], v[140:141]
	v_add_f64_e32 v[126:127], v[128:129], v[132:133]
	s_delay_alu instid0(VALU_DEP_4) | instskip(NEXT) | instid1(VALU_DEP_4)
	v_fmac_f64_e32 v[130:131], v[6:7], v[162:163]
	v_fma_f64 v[4:5], v[4:5], v[162:163], -v[134:135]
	s_delay_alu instid0(VALU_DEP_4) | instskip(NEXT) | instid1(VALU_DEP_4)
	v_add_f64_e32 v[6:7], v[10:11], v[8:9]
	v_add_f64_e32 v[8:9], v[126:127], v[136:137]
	s_delay_alu instid0(VALU_DEP_2) | instskip(NEXT) | instid1(VALU_DEP_2)
	v_add_f64_e32 v[4:5], v[6:7], v[4:5]
	v_add_f64_e32 v[6:7], v[8:9], v[130:131]
	s_delay_alu instid0(VALU_DEP_2) | instskip(NEXT) | instid1(VALU_DEP_2)
	v_add_f64_e64 v[4:5], v[166:167], -v[4:5]
	v_add_f64_e64 v[6:7], v[168:169], -v[6:7]
	scratch_store_b128 off, v[4:7], off offset:512
	s_wait_xcnt 0x0
	v_cmpx_lt_u32_e32 31, v1
	s_cbranch_execz .LBB55_287
; %bb.286:
	scratch_load_b128 v[6:9], off, s46
	v_dual_mov_b32 v3, v2 :: v_dual_mov_b32 v4, v2
	v_mov_b32_e32 v5, v2
	scratch_store_b128 off, v[2:5], off offset:496
	s_wait_loadcnt 0x0
	ds_store_b128 v12, v[6:9]
.LBB55_287:
	s_wait_xcnt 0x0
	s_or_b32 exec_lo, exec_lo, s2
	s_wait_storecnt_dscnt 0x0
	s_barrier_signal -1
	s_barrier_wait -1
	s_clause 0x9
	scratch_load_b128 v[4:7], off, off offset:512
	scratch_load_b128 v[8:11], off, off offset:528
	;; [unrolled: 1-line block ×10, first 2 shown]
	ds_load_b128 v[158:161], v2 offset:1408
	ds_load_b128 v[166:169], v2 offset:1424
	s_clause 0x2
	scratch_load_b128 v[162:165], off, off offset:672
	scratch_load_b128 v[170:173], off, off offset:496
	;; [unrolled: 1-line block ×3, first 2 shown]
	s_mov_b32 s2, exec_lo
	s_wait_loadcnt_dscnt 0xc01
	v_mul_f64_e32 v[178:179], v[160:161], v[6:7]
	v_mul_f64_e32 v[182:183], v[158:159], v[6:7]
	s_wait_loadcnt_dscnt 0xb00
	v_mul_f64_e32 v[184:185], v[166:167], v[10:11]
	v_mul_f64_e32 v[10:11], v[168:169], v[10:11]
	s_delay_alu instid0(VALU_DEP_4) | instskip(NEXT) | instid1(VALU_DEP_4)
	v_fma_f64 v[186:187], v[158:159], v[4:5], -v[178:179]
	v_fmac_f64_e32 v[182:183], v[160:161], v[4:5]
	ds_load_b128 v[4:7], v2 offset:1440
	ds_load_b128 v[158:161], v2 offset:1456
	scratch_load_b128 v[178:181], off, off offset:704
	v_fmac_f64_e32 v[184:185], v[168:169], v[8:9]
	v_fma_f64 v[166:167], v[166:167], v[8:9], -v[10:11]
	scratch_load_b128 v[8:11], off, off offset:720
	s_wait_loadcnt_dscnt 0xc01
	v_mul_f64_e32 v[188:189], v[4:5], v[128:129]
	v_mul_f64_e32 v[128:129], v[6:7], v[128:129]
	v_add_f64_e32 v[168:169], 0, v[186:187]
	v_add_f64_e32 v[182:183], 0, v[182:183]
	s_wait_loadcnt_dscnt 0xb00
	v_mul_f64_e32 v[186:187], v[158:159], v[132:133]
	v_mul_f64_e32 v[132:133], v[160:161], v[132:133]
	v_fmac_f64_e32 v[188:189], v[6:7], v[126:127]
	v_fma_f64 v[190:191], v[4:5], v[126:127], -v[128:129]
	ds_load_b128 v[4:7], v2 offset:1472
	ds_load_b128 v[126:129], v2 offset:1488
	v_add_f64_e32 v[192:193], v[168:169], v[166:167]
	v_add_f64_e32 v[182:183], v[182:183], v[184:185]
	scratch_load_b128 v[166:169], off, off offset:736
	v_fmac_f64_e32 v[186:187], v[160:161], v[130:131]
	v_fma_f64 v[158:159], v[158:159], v[130:131], -v[132:133]
	scratch_load_b128 v[130:133], off, off offset:752
	s_wait_loadcnt_dscnt 0xc01
	v_mul_f64_e32 v[184:185], v[4:5], v[136:137]
	v_mul_f64_e32 v[136:137], v[6:7], v[136:137]
	v_add_f64_e32 v[160:161], v[192:193], v[190:191]
	v_add_f64_e32 v[182:183], v[182:183], v[188:189]
	s_wait_loadcnt_dscnt 0xb00
	v_mul_f64_e32 v[188:189], v[126:127], v[140:141]
	v_mul_f64_e32 v[140:141], v[128:129], v[140:141]
	v_fmac_f64_e32 v[184:185], v[6:7], v[134:135]
	v_fma_f64 v[190:191], v[4:5], v[134:135], -v[136:137]
	ds_load_b128 v[4:7], v2 offset:1504
	ds_load_b128 v[134:137], v2 offset:1520
	v_add_f64_e32 v[192:193], v[160:161], v[158:159]
	v_add_f64_e32 v[182:183], v[182:183], v[186:187]
	scratch_load_b128 v[158:161], off, off offset:768
	s_wait_loadcnt_dscnt 0xb01
	v_mul_f64_e32 v[186:187], v[4:5], v[144:145]
	v_mul_f64_e32 v[144:145], v[6:7], v[144:145]
	v_fmac_f64_e32 v[188:189], v[128:129], v[138:139]
	v_fma_f64 v[138:139], v[126:127], v[138:139], -v[140:141]
	scratch_load_b128 v[126:129], off, off offset:784
	v_add_f64_e32 v[140:141], v[192:193], v[190:191]
	v_add_f64_e32 v[182:183], v[182:183], v[184:185]
	s_wait_loadcnt_dscnt 0xb00
	v_mul_f64_e32 v[184:185], v[134:135], v[148:149]
	v_mul_f64_e32 v[148:149], v[136:137], v[148:149]
	v_fmac_f64_e32 v[186:187], v[6:7], v[142:143]
	v_fma_f64 v[190:191], v[4:5], v[142:143], -v[144:145]
	v_add_f64_e32 v[192:193], v[140:141], v[138:139]
	v_add_f64_e32 v[182:183], v[182:183], v[188:189]
	ds_load_b128 v[4:7], v2 offset:1536
	ds_load_b128 v[138:141], v2 offset:1552
	scratch_load_b128 v[142:145], off, off offset:800
	v_fmac_f64_e32 v[184:185], v[136:137], v[146:147]
	v_fma_f64 v[146:147], v[134:135], v[146:147], -v[148:149]
	scratch_load_b128 v[134:137], off, off offset:816
	s_wait_loadcnt_dscnt 0xc01
	v_mul_f64_e32 v[188:189], v[4:5], v[152:153]
	v_mul_f64_e32 v[152:153], v[6:7], v[152:153]
	v_add_f64_e32 v[148:149], v[192:193], v[190:191]
	v_add_f64_e32 v[182:183], v[182:183], v[186:187]
	s_wait_loadcnt_dscnt 0xb00
	v_mul_f64_e32 v[186:187], v[138:139], v[156:157]
	v_mul_f64_e32 v[156:157], v[140:141], v[156:157]
	v_fmac_f64_e32 v[188:189], v[6:7], v[150:151]
	v_fma_f64 v[190:191], v[4:5], v[150:151], -v[152:153]
	v_add_f64_e32 v[192:193], v[148:149], v[146:147]
	v_add_f64_e32 v[182:183], v[182:183], v[184:185]
	ds_load_b128 v[4:7], v2 offset:1568
	ds_load_b128 v[146:149], v2 offset:1584
	scratch_load_b128 v[150:153], off, off offset:832
	v_fmac_f64_e32 v[186:187], v[140:141], v[154:155]
	v_fma_f64 v[154:155], v[138:139], v[154:155], -v[156:157]
	scratch_load_b128 v[138:141], off, off offset:848
	s_wait_loadcnt_dscnt 0xc01
	v_mul_f64_e32 v[184:185], v[4:5], v[164:165]
	v_mul_f64_e32 v[164:165], v[6:7], v[164:165]
	;; [unrolled: 18-line block ×3, first 2 shown]
	v_add_f64_e32 v[176:177], v[192:193], v[190:191]
	v_add_f64_e32 v[182:183], v[182:183], v[184:185]
	s_wait_loadcnt_dscnt 0xa00
	v_mul_f64_e32 v[184:185], v[154:155], v[10:11]
	v_mul_f64_e32 v[10:11], v[156:157], v[10:11]
	v_fmac_f64_e32 v[186:187], v[6:7], v[178:179]
	v_fma_f64 v[178:179], v[4:5], v[178:179], -v[180:181]
	v_add_f64_e32 v[180:181], v[176:177], v[174:175]
	v_add_f64_e32 v[182:183], v[182:183], v[188:189]
	ds_load_b128 v[4:7], v2 offset:1632
	ds_load_b128 v[174:177], v2 offset:1648
	v_fmac_f64_e32 v[184:185], v[156:157], v[8:9]
	v_fma_f64 v[8:9], v[154:155], v[8:9], -v[10:11]
	s_wait_loadcnt_dscnt 0x901
	v_mul_f64_e32 v[188:189], v[4:5], v[168:169]
	v_mul_f64_e32 v[168:169], v[6:7], v[168:169]
	s_wait_loadcnt_dscnt 0x800
	v_mul_f64_e32 v[156:157], v[174:175], v[132:133]
	v_mul_f64_e32 v[132:133], v[176:177], v[132:133]
	v_add_f64_e32 v[10:11], v[180:181], v[178:179]
	v_add_f64_e32 v[154:155], v[182:183], v[186:187]
	v_fmac_f64_e32 v[188:189], v[6:7], v[166:167]
	v_fma_f64 v[166:167], v[4:5], v[166:167], -v[168:169]
	v_fmac_f64_e32 v[156:157], v[176:177], v[130:131]
	v_fma_f64 v[130:131], v[174:175], v[130:131], -v[132:133]
	v_add_f64_e32 v[168:169], v[10:11], v[8:9]
	v_add_f64_e32 v[154:155], v[154:155], v[184:185]
	ds_load_b128 v[4:7], v2 offset:1664
	ds_load_b128 v[8:11], v2 offset:1680
	s_wait_loadcnt_dscnt 0x701
	v_mul_f64_e32 v[178:179], v[4:5], v[160:161]
	v_mul_f64_e32 v[160:161], v[6:7], v[160:161]
	v_add_f64_e32 v[132:133], v[168:169], v[166:167]
	v_add_f64_e32 v[154:155], v[154:155], v[188:189]
	s_wait_loadcnt_dscnt 0x600
	v_mul_f64_e32 v[166:167], v[8:9], v[128:129]
	v_mul_f64_e32 v[168:169], v[10:11], v[128:129]
	v_fmac_f64_e32 v[178:179], v[6:7], v[158:159]
	v_fma_f64 v[158:159], v[4:5], v[158:159], -v[160:161]
	v_add_f64_e32 v[132:133], v[132:133], v[130:131]
	v_add_f64_e32 v[154:155], v[154:155], v[156:157]
	ds_load_b128 v[4:7], v2 offset:1696
	ds_load_b128 v[128:131], v2 offset:1712
	v_fmac_f64_e32 v[166:167], v[10:11], v[126:127]
	v_fma_f64 v[8:9], v[8:9], v[126:127], -v[168:169]
	s_wait_loadcnt_dscnt 0x501
	v_mul_f64_e32 v[156:157], v[4:5], v[144:145]
	v_mul_f64_e32 v[144:145], v[6:7], v[144:145]
	v_add_f64_e32 v[10:11], v[132:133], v[158:159]
	v_add_f64_e32 v[126:127], v[154:155], v[178:179]
	s_wait_loadcnt_dscnt 0x400
	v_mul_f64_e32 v[132:133], v[128:129], v[136:137]
	v_mul_f64_e32 v[136:137], v[130:131], v[136:137]
	v_fmac_f64_e32 v[156:157], v[6:7], v[142:143]
	v_fma_f64 v[142:143], v[4:5], v[142:143], -v[144:145]
	v_add_f64_e32 v[144:145], v[10:11], v[8:9]
	v_add_f64_e32 v[126:127], v[126:127], v[166:167]
	ds_load_b128 v[4:7], v2 offset:1728
	ds_load_b128 v[8:11], v2 offset:1744
	v_fmac_f64_e32 v[132:133], v[130:131], v[134:135]
	v_fma_f64 v[128:129], v[128:129], v[134:135], -v[136:137]
	s_wait_loadcnt_dscnt 0x301
	v_mul_f64_e32 v[154:155], v[4:5], v[152:153]
	v_mul_f64_e32 v[152:153], v[6:7], v[152:153]
	s_wait_loadcnt_dscnt 0x200
	v_mul_f64_e32 v[134:135], v[8:9], v[140:141]
	v_mul_f64_e32 v[136:137], v[10:11], v[140:141]
	v_add_f64_e32 v[130:131], v[144:145], v[142:143]
	v_add_f64_e32 v[126:127], v[126:127], v[156:157]
	v_fmac_f64_e32 v[154:155], v[6:7], v[150:151]
	v_fma_f64 v[140:141], v[4:5], v[150:151], -v[152:153]
	v_fmac_f64_e32 v[134:135], v[10:11], v[138:139]
	v_fma_f64 v[8:9], v[8:9], v[138:139], -v[136:137]
	v_add_f64_e32 v[130:131], v[130:131], v[128:129]
	v_add_f64_e32 v[132:133], v[126:127], v[132:133]
	ds_load_b128 v[4:7], v2 offset:1760
	ds_load_b128 v[126:129], v2 offset:1776
	s_wait_loadcnt_dscnt 0x101
	v_mul_f64_e32 v[2:3], v[4:5], v[164:165]
	v_mul_f64_e32 v[142:143], v[6:7], v[164:165]
	s_wait_loadcnt_dscnt 0x0
	v_mul_f64_e32 v[136:137], v[128:129], v[148:149]
	v_add_f64_e32 v[10:11], v[130:131], v[140:141]
	v_add_f64_e32 v[130:131], v[132:133], v[154:155]
	v_mul_f64_e32 v[132:133], v[126:127], v[148:149]
	v_fmac_f64_e32 v[2:3], v[6:7], v[162:163]
	v_fma_f64 v[4:5], v[4:5], v[162:163], -v[142:143]
	v_add_f64_e32 v[6:7], v[10:11], v[8:9]
	v_add_f64_e32 v[8:9], v[130:131], v[134:135]
	v_fmac_f64_e32 v[132:133], v[128:129], v[146:147]
	v_fma_f64 v[10:11], v[126:127], v[146:147], -v[136:137]
	s_delay_alu instid0(VALU_DEP_4) | instskip(NEXT) | instid1(VALU_DEP_4)
	v_add_f64_e32 v[4:5], v[6:7], v[4:5]
	v_add_f64_e32 v[2:3], v[8:9], v[2:3]
	s_delay_alu instid0(VALU_DEP_2) | instskip(NEXT) | instid1(VALU_DEP_2)
	v_add_f64_e32 v[4:5], v[4:5], v[10:11]
	v_add_f64_e32 v[6:7], v[2:3], v[132:133]
	s_delay_alu instid0(VALU_DEP_2) | instskip(NEXT) | instid1(VALU_DEP_2)
	v_add_f64_e64 v[2:3], v[170:171], -v[4:5]
	v_add_f64_e64 v[4:5], v[172:173], -v[6:7]
	scratch_store_b128 off, v[2:5], off offset:496
	s_wait_xcnt 0x0
	v_cmpx_lt_u32_e32 30, v1
	s_cbranch_execz .LBB55_289
; %bb.288:
	scratch_load_b128 v[2:5], off, s44
	v_mov_b32_e32 v6, 0
	s_delay_alu instid0(VALU_DEP_1)
	v_dual_mov_b32 v7, v6 :: v_dual_mov_b32 v8, v6
	v_mov_b32_e32 v9, v6
	scratch_store_b128 off, v[6:9], off offset:480
	s_wait_loadcnt 0x0
	ds_store_b128 v12, v[2:5]
.LBB55_289:
	s_wait_xcnt 0x0
	s_or_b32 exec_lo, exec_lo, s2
	s_wait_storecnt_dscnt 0x0
	s_barrier_signal -1
	s_barrier_wait -1
	s_clause 0x9
	scratch_load_b128 v[4:7], off, off offset:496
	scratch_load_b128 v[8:11], off, off offset:512
	;; [unrolled: 1-line block ×10, first 2 shown]
	v_mov_b32_e32 v2, 0
	s_mov_b32 s2, exec_lo
	ds_load_b128 v[158:161], v2 offset:1392
	s_clause 0x2
	scratch_load_b128 v[162:165], off, off offset:656
	scratch_load_b128 v[166:169], off, off offset:480
	;; [unrolled: 1-line block ×3, first 2 shown]
	s_wait_loadcnt_dscnt 0xc00
	v_mul_f64_e32 v[178:179], v[160:161], v[6:7]
	v_mul_f64_e32 v[182:183], v[158:159], v[6:7]
	ds_load_b128 v[170:173], v2 offset:1408
	v_fma_f64 v[186:187], v[158:159], v[4:5], -v[178:179]
	v_fmac_f64_e32 v[182:183], v[160:161], v[4:5]
	ds_load_b128 v[4:7], v2 offset:1424
	s_wait_loadcnt_dscnt 0xb01
	v_mul_f64_e32 v[184:185], v[170:171], v[10:11]
	v_mul_f64_e32 v[10:11], v[172:173], v[10:11]
	scratch_load_b128 v[158:161], off, off offset:688
	ds_load_b128 v[178:181], v2 offset:1440
	s_wait_loadcnt_dscnt 0xb01
	v_mul_f64_e32 v[188:189], v[4:5], v[128:129]
	v_mul_f64_e32 v[128:129], v[6:7], v[128:129]
	v_add_f64_e32 v[182:183], 0, v[182:183]
	v_fmac_f64_e32 v[184:185], v[172:173], v[8:9]
	v_fma_f64 v[170:171], v[170:171], v[8:9], -v[10:11]
	v_add_f64_e32 v[172:173], 0, v[186:187]
	scratch_load_b128 v[8:11], off, off offset:704
	v_fmac_f64_e32 v[188:189], v[6:7], v[126:127]
	v_fma_f64 v[190:191], v[4:5], v[126:127], -v[128:129]
	ds_load_b128 v[4:7], v2 offset:1456
	s_wait_loadcnt_dscnt 0xb01
	v_mul_f64_e32 v[186:187], v[178:179], v[132:133]
	v_mul_f64_e32 v[132:133], v[180:181], v[132:133]
	scratch_load_b128 v[126:129], off, off offset:720
	v_add_f64_e32 v[182:183], v[182:183], v[184:185]
	v_add_f64_e32 v[192:193], v[172:173], v[170:171]
	ds_load_b128 v[170:173], v2 offset:1472
	s_wait_loadcnt_dscnt 0xb01
	v_mul_f64_e32 v[184:185], v[4:5], v[136:137]
	v_mul_f64_e32 v[136:137], v[6:7], v[136:137]
	v_fmac_f64_e32 v[186:187], v[180:181], v[130:131]
	v_fma_f64 v[178:179], v[178:179], v[130:131], -v[132:133]
	scratch_load_b128 v[130:133], off, off offset:736
	v_add_f64_e32 v[182:183], v[182:183], v[188:189]
	v_add_f64_e32 v[180:181], v[192:193], v[190:191]
	v_fmac_f64_e32 v[184:185], v[6:7], v[134:135]
	v_fma_f64 v[190:191], v[4:5], v[134:135], -v[136:137]
	ds_load_b128 v[4:7], v2 offset:1488
	s_wait_loadcnt_dscnt 0xb01
	v_mul_f64_e32 v[188:189], v[170:171], v[140:141]
	v_mul_f64_e32 v[140:141], v[172:173], v[140:141]
	scratch_load_b128 v[134:137], off, off offset:752
	v_add_f64_e32 v[182:183], v[182:183], v[186:187]
	s_wait_loadcnt_dscnt 0xb00
	v_mul_f64_e32 v[186:187], v[4:5], v[144:145]
	v_add_f64_e32 v[192:193], v[180:181], v[178:179]
	v_mul_f64_e32 v[144:145], v[6:7], v[144:145]
	ds_load_b128 v[178:181], v2 offset:1504
	v_fmac_f64_e32 v[188:189], v[172:173], v[138:139]
	v_fma_f64 v[170:171], v[170:171], v[138:139], -v[140:141]
	scratch_load_b128 v[138:141], off, off offset:768
	v_add_f64_e32 v[182:183], v[182:183], v[184:185]
	v_fmac_f64_e32 v[186:187], v[6:7], v[142:143]
	v_add_f64_e32 v[172:173], v[192:193], v[190:191]
	v_fma_f64 v[190:191], v[4:5], v[142:143], -v[144:145]
	ds_load_b128 v[4:7], v2 offset:1520
	s_wait_loadcnt_dscnt 0xb01
	v_mul_f64_e32 v[184:185], v[178:179], v[148:149]
	v_mul_f64_e32 v[148:149], v[180:181], v[148:149]
	scratch_load_b128 v[142:145], off, off offset:784
	v_add_f64_e32 v[182:183], v[182:183], v[188:189]
	s_wait_loadcnt_dscnt 0xb00
	v_mul_f64_e32 v[188:189], v[4:5], v[152:153]
	v_add_f64_e32 v[192:193], v[172:173], v[170:171]
	v_mul_f64_e32 v[152:153], v[6:7], v[152:153]
	ds_load_b128 v[170:173], v2 offset:1536
	v_fmac_f64_e32 v[184:185], v[180:181], v[146:147]
	v_fma_f64 v[178:179], v[178:179], v[146:147], -v[148:149]
	scratch_load_b128 v[146:149], off, off offset:800
	v_add_f64_e32 v[182:183], v[182:183], v[186:187]
	v_fmac_f64_e32 v[188:189], v[6:7], v[150:151]
	v_add_f64_e32 v[180:181], v[192:193], v[190:191]
	;; [unrolled: 18-line block ×3, first 2 shown]
	v_fma_f64 v[190:191], v[4:5], v[162:163], -v[164:165]
	ds_load_b128 v[4:7], v2 offset:1584
	s_wait_loadcnt_dscnt 0xa01
	v_mul_f64_e32 v[188:189], v[178:179], v[176:177]
	v_mul_f64_e32 v[176:177], v[180:181], v[176:177]
	scratch_load_b128 v[162:165], off, off offset:848
	v_add_f64_e32 v[182:183], v[182:183], v[186:187]
	v_add_f64_e32 v[192:193], v[172:173], v[170:171]
	s_wait_loadcnt_dscnt 0xa00
	v_mul_f64_e32 v[186:187], v[4:5], v[160:161]
	v_mul_f64_e32 v[160:161], v[6:7], v[160:161]
	v_fmac_f64_e32 v[188:189], v[180:181], v[174:175]
	v_fma_f64 v[178:179], v[178:179], v[174:175], -v[176:177]
	ds_load_b128 v[170:173], v2 offset:1600
	scratch_load_b128 v[174:177], off, off offset:864
	v_add_f64_e32 v[182:183], v[182:183], v[184:185]
	v_add_f64_e32 v[180:181], v[192:193], v[190:191]
	v_fmac_f64_e32 v[186:187], v[6:7], v[158:159]
	v_fma_f64 v[190:191], v[4:5], v[158:159], -v[160:161]
	ds_load_b128 v[4:7], v2 offset:1616
	s_wait_loadcnt_dscnt 0xa01
	v_mul_f64_e32 v[184:185], v[170:171], v[10:11]
	v_mul_f64_e32 v[10:11], v[172:173], v[10:11]
	scratch_load_b128 v[158:161], off, off offset:880
	v_add_f64_e32 v[182:183], v[182:183], v[188:189]
	s_wait_loadcnt_dscnt 0xa00
	v_mul_f64_e32 v[188:189], v[4:5], v[128:129]
	v_add_f64_e32 v[192:193], v[180:181], v[178:179]
	v_mul_f64_e32 v[128:129], v[6:7], v[128:129]
	ds_load_b128 v[178:181], v2 offset:1632
	v_fmac_f64_e32 v[184:185], v[172:173], v[8:9]
	v_fma_f64 v[8:9], v[170:171], v[8:9], -v[10:11]
	s_wait_loadcnt_dscnt 0x900
	v_mul_f64_e32 v[172:173], v[178:179], v[132:133]
	v_mul_f64_e32 v[132:133], v[180:181], v[132:133]
	v_add_f64_e32 v[170:171], v[182:183], v[186:187]
	v_fmac_f64_e32 v[188:189], v[6:7], v[126:127]
	v_add_f64_e32 v[10:11], v[192:193], v[190:191]
	v_fma_f64 v[126:127], v[4:5], v[126:127], -v[128:129]
	v_fmac_f64_e32 v[172:173], v[180:181], v[130:131]
	v_fma_f64 v[130:131], v[178:179], v[130:131], -v[132:133]
	v_add_f64_e32 v[170:171], v[170:171], v[184:185]
	v_add_f64_e32 v[128:129], v[10:11], v[8:9]
	ds_load_b128 v[4:7], v2 offset:1648
	ds_load_b128 v[8:11], v2 offset:1664
	s_wait_loadcnt_dscnt 0x801
	v_mul_f64_e32 v[182:183], v[4:5], v[136:137]
	v_mul_f64_e32 v[136:137], v[6:7], v[136:137]
	s_wait_loadcnt_dscnt 0x700
	v_mul_f64_e32 v[132:133], v[8:9], v[140:141]
	v_mul_f64_e32 v[140:141], v[10:11], v[140:141]
	v_add_f64_e32 v[126:127], v[128:129], v[126:127]
	v_add_f64_e32 v[128:129], v[170:171], v[188:189]
	v_fmac_f64_e32 v[182:183], v[6:7], v[134:135]
	v_fma_f64 v[134:135], v[4:5], v[134:135], -v[136:137]
	v_fmac_f64_e32 v[132:133], v[10:11], v[138:139]
	v_fma_f64 v[8:9], v[8:9], v[138:139], -v[140:141]
	v_add_f64_e32 v[130:131], v[126:127], v[130:131]
	v_add_f64_e32 v[136:137], v[128:129], v[172:173]
	ds_load_b128 v[4:7], v2 offset:1680
	ds_load_b128 v[126:129], v2 offset:1696
	s_wait_loadcnt_dscnt 0x601
	v_mul_f64_e32 v[170:171], v[4:5], v[144:145]
	v_mul_f64_e32 v[144:145], v[6:7], v[144:145]
	v_add_f64_e32 v[10:11], v[130:131], v[134:135]
	v_add_f64_e32 v[130:131], v[136:137], v[182:183]
	s_wait_loadcnt_dscnt 0x500
	v_mul_f64_e32 v[134:135], v[126:127], v[148:149]
	v_mul_f64_e32 v[136:137], v[128:129], v[148:149]
	v_fmac_f64_e32 v[170:171], v[6:7], v[142:143]
	v_fma_f64 v[138:139], v[4:5], v[142:143], -v[144:145]
	v_add_f64_e32 v[140:141], v[10:11], v[8:9]
	v_add_f64_e32 v[130:131], v[130:131], v[132:133]
	ds_load_b128 v[4:7], v2 offset:1712
	ds_load_b128 v[8:11], v2 offset:1728
	v_fmac_f64_e32 v[134:135], v[128:129], v[146:147]
	v_fma_f64 v[126:127], v[126:127], v[146:147], -v[136:137]
	s_wait_loadcnt_dscnt 0x401
	v_mul_f64_e32 v[132:133], v[4:5], v[152:153]
	v_mul_f64_e32 v[142:143], v[6:7], v[152:153]
	s_wait_loadcnt_dscnt 0x300
	v_mul_f64_e32 v[136:137], v[8:9], v[156:157]
	v_add_f64_e32 v[128:129], v[140:141], v[138:139]
	v_add_f64_e32 v[130:131], v[130:131], v[170:171]
	v_mul_f64_e32 v[138:139], v[10:11], v[156:157]
	v_fmac_f64_e32 v[132:133], v[6:7], v[150:151]
	v_fma_f64 v[140:141], v[4:5], v[150:151], -v[142:143]
	v_fmac_f64_e32 v[136:137], v[10:11], v[154:155]
	v_add_f64_e32 v[142:143], v[128:129], v[126:127]
	v_add_f64_e32 v[130:131], v[130:131], v[134:135]
	ds_load_b128 v[4:7], v2 offset:1744
	ds_load_b128 v[126:129], v2 offset:1760
	v_fma_f64 v[8:9], v[8:9], v[154:155], -v[138:139]
	s_wait_loadcnt_dscnt 0x201
	v_mul_f64_e32 v[134:135], v[4:5], v[164:165]
	v_mul_f64_e32 v[144:145], v[6:7], v[164:165]
	s_wait_loadcnt_dscnt 0x100
	v_mul_f64_e32 v[138:139], v[128:129], v[176:177]
	v_add_f64_e32 v[10:11], v[142:143], v[140:141]
	v_add_f64_e32 v[130:131], v[130:131], v[132:133]
	v_mul_f64_e32 v[132:133], v[126:127], v[176:177]
	v_fmac_f64_e32 v[134:135], v[6:7], v[162:163]
	v_fma_f64 v[140:141], v[4:5], v[162:163], -v[144:145]
	ds_load_b128 v[4:7], v2 offset:1776
	v_fma_f64 v[126:127], v[126:127], v[174:175], -v[138:139]
	v_add_f64_e32 v[8:9], v[10:11], v[8:9]
	v_add_f64_e32 v[10:11], v[130:131], v[136:137]
	v_fmac_f64_e32 v[132:133], v[128:129], v[174:175]
	s_wait_loadcnt_dscnt 0x0
	v_mul_f64_e32 v[130:131], v[4:5], v[160:161]
	v_mul_f64_e32 v[136:137], v[6:7], v[160:161]
	v_add_f64_e32 v[8:9], v[8:9], v[140:141]
	v_add_f64_e32 v[10:11], v[10:11], v[134:135]
	s_delay_alu instid0(VALU_DEP_4) | instskip(NEXT) | instid1(VALU_DEP_4)
	v_fmac_f64_e32 v[130:131], v[6:7], v[158:159]
	v_fma_f64 v[4:5], v[4:5], v[158:159], -v[136:137]
	s_delay_alu instid0(VALU_DEP_4) | instskip(NEXT) | instid1(VALU_DEP_4)
	v_add_f64_e32 v[6:7], v[8:9], v[126:127]
	v_add_f64_e32 v[8:9], v[10:11], v[132:133]
	s_delay_alu instid0(VALU_DEP_2) | instskip(NEXT) | instid1(VALU_DEP_2)
	v_add_f64_e32 v[4:5], v[6:7], v[4:5]
	v_add_f64_e32 v[6:7], v[8:9], v[130:131]
	s_delay_alu instid0(VALU_DEP_2) | instskip(NEXT) | instid1(VALU_DEP_2)
	v_add_f64_e64 v[4:5], v[166:167], -v[4:5]
	v_add_f64_e64 v[6:7], v[168:169], -v[6:7]
	scratch_store_b128 off, v[4:7], off offset:480
	s_wait_xcnt 0x0
	v_cmpx_lt_u32_e32 29, v1
	s_cbranch_execz .LBB55_291
; %bb.290:
	scratch_load_b128 v[6:9], off, s40
	v_dual_mov_b32 v3, v2 :: v_dual_mov_b32 v4, v2
	v_mov_b32_e32 v5, v2
	scratch_store_b128 off, v[2:5], off offset:464
	s_wait_loadcnt 0x0
	ds_store_b128 v12, v[6:9]
.LBB55_291:
	s_wait_xcnt 0x0
	s_or_b32 exec_lo, exec_lo, s2
	s_wait_storecnt_dscnt 0x0
	s_barrier_signal -1
	s_barrier_wait -1
	s_clause 0x9
	scratch_load_b128 v[4:7], off, off offset:480
	scratch_load_b128 v[8:11], off, off offset:496
	;; [unrolled: 1-line block ×10, first 2 shown]
	ds_load_b128 v[158:161], v2 offset:1376
	ds_load_b128 v[166:169], v2 offset:1392
	s_clause 0x2
	scratch_load_b128 v[162:165], off, off offset:640
	scratch_load_b128 v[170:173], off, off offset:464
	;; [unrolled: 1-line block ×3, first 2 shown]
	s_mov_b32 s2, exec_lo
	s_wait_loadcnt_dscnt 0xc01
	v_mul_f64_e32 v[178:179], v[160:161], v[6:7]
	v_mul_f64_e32 v[182:183], v[158:159], v[6:7]
	s_wait_loadcnt_dscnt 0xb00
	v_mul_f64_e32 v[184:185], v[166:167], v[10:11]
	v_mul_f64_e32 v[10:11], v[168:169], v[10:11]
	s_delay_alu instid0(VALU_DEP_4) | instskip(NEXT) | instid1(VALU_DEP_4)
	v_fma_f64 v[186:187], v[158:159], v[4:5], -v[178:179]
	v_fmac_f64_e32 v[182:183], v[160:161], v[4:5]
	ds_load_b128 v[4:7], v2 offset:1408
	ds_load_b128 v[158:161], v2 offset:1424
	scratch_load_b128 v[178:181], off, off offset:672
	v_fmac_f64_e32 v[184:185], v[168:169], v[8:9]
	v_fma_f64 v[166:167], v[166:167], v[8:9], -v[10:11]
	scratch_load_b128 v[8:11], off, off offset:688
	s_wait_loadcnt_dscnt 0xc01
	v_mul_f64_e32 v[188:189], v[4:5], v[128:129]
	v_mul_f64_e32 v[128:129], v[6:7], v[128:129]
	v_add_f64_e32 v[168:169], 0, v[186:187]
	v_add_f64_e32 v[182:183], 0, v[182:183]
	s_wait_loadcnt_dscnt 0xb00
	v_mul_f64_e32 v[186:187], v[158:159], v[132:133]
	v_mul_f64_e32 v[132:133], v[160:161], v[132:133]
	v_fmac_f64_e32 v[188:189], v[6:7], v[126:127]
	v_fma_f64 v[190:191], v[4:5], v[126:127], -v[128:129]
	ds_load_b128 v[4:7], v2 offset:1440
	ds_load_b128 v[126:129], v2 offset:1456
	v_add_f64_e32 v[192:193], v[168:169], v[166:167]
	v_add_f64_e32 v[182:183], v[182:183], v[184:185]
	scratch_load_b128 v[166:169], off, off offset:704
	v_fmac_f64_e32 v[186:187], v[160:161], v[130:131]
	v_fma_f64 v[158:159], v[158:159], v[130:131], -v[132:133]
	scratch_load_b128 v[130:133], off, off offset:720
	s_wait_loadcnt_dscnt 0xc01
	v_mul_f64_e32 v[184:185], v[4:5], v[136:137]
	v_mul_f64_e32 v[136:137], v[6:7], v[136:137]
	v_add_f64_e32 v[160:161], v[192:193], v[190:191]
	v_add_f64_e32 v[182:183], v[182:183], v[188:189]
	s_wait_loadcnt_dscnt 0xb00
	v_mul_f64_e32 v[188:189], v[126:127], v[140:141]
	v_mul_f64_e32 v[140:141], v[128:129], v[140:141]
	v_fmac_f64_e32 v[184:185], v[6:7], v[134:135]
	v_fma_f64 v[190:191], v[4:5], v[134:135], -v[136:137]
	ds_load_b128 v[4:7], v2 offset:1472
	ds_load_b128 v[134:137], v2 offset:1488
	v_add_f64_e32 v[192:193], v[160:161], v[158:159]
	v_add_f64_e32 v[182:183], v[182:183], v[186:187]
	scratch_load_b128 v[158:161], off, off offset:736
	s_wait_loadcnt_dscnt 0xb01
	v_mul_f64_e32 v[186:187], v[4:5], v[144:145]
	v_mul_f64_e32 v[144:145], v[6:7], v[144:145]
	v_fmac_f64_e32 v[188:189], v[128:129], v[138:139]
	v_fma_f64 v[138:139], v[126:127], v[138:139], -v[140:141]
	scratch_load_b128 v[126:129], off, off offset:752
	v_add_f64_e32 v[140:141], v[192:193], v[190:191]
	v_add_f64_e32 v[182:183], v[182:183], v[184:185]
	s_wait_loadcnt_dscnt 0xb00
	v_mul_f64_e32 v[184:185], v[134:135], v[148:149]
	v_mul_f64_e32 v[148:149], v[136:137], v[148:149]
	v_fmac_f64_e32 v[186:187], v[6:7], v[142:143]
	v_fma_f64 v[190:191], v[4:5], v[142:143], -v[144:145]
	v_add_f64_e32 v[192:193], v[140:141], v[138:139]
	v_add_f64_e32 v[182:183], v[182:183], v[188:189]
	ds_load_b128 v[4:7], v2 offset:1504
	ds_load_b128 v[138:141], v2 offset:1520
	scratch_load_b128 v[142:145], off, off offset:768
	v_fmac_f64_e32 v[184:185], v[136:137], v[146:147]
	v_fma_f64 v[146:147], v[134:135], v[146:147], -v[148:149]
	scratch_load_b128 v[134:137], off, off offset:784
	s_wait_loadcnt_dscnt 0xc01
	v_mul_f64_e32 v[188:189], v[4:5], v[152:153]
	v_mul_f64_e32 v[152:153], v[6:7], v[152:153]
	v_add_f64_e32 v[148:149], v[192:193], v[190:191]
	v_add_f64_e32 v[182:183], v[182:183], v[186:187]
	s_wait_loadcnt_dscnt 0xb00
	v_mul_f64_e32 v[186:187], v[138:139], v[156:157]
	v_mul_f64_e32 v[156:157], v[140:141], v[156:157]
	v_fmac_f64_e32 v[188:189], v[6:7], v[150:151]
	v_fma_f64 v[190:191], v[4:5], v[150:151], -v[152:153]
	v_add_f64_e32 v[192:193], v[148:149], v[146:147]
	v_add_f64_e32 v[182:183], v[182:183], v[184:185]
	ds_load_b128 v[4:7], v2 offset:1536
	ds_load_b128 v[146:149], v2 offset:1552
	scratch_load_b128 v[150:153], off, off offset:800
	v_fmac_f64_e32 v[186:187], v[140:141], v[154:155]
	v_fma_f64 v[154:155], v[138:139], v[154:155], -v[156:157]
	scratch_load_b128 v[138:141], off, off offset:816
	s_wait_loadcnt_dscnt 0xc01
	v_mul_f64_e32 v[184:185], v[4:5], v[164:165]
	v_mul_f64_e32 v[164:165], v[6:7], v[164:165]
	;; [unrolled: 18-line block ×4, first 2 shown]
	v_add_f64_e32 v[156:157], v[192:193], v[190:191]
	v_add_f64_e32 v[182:183], v[182:183], v[186:187]
	s_wait_loadcnt_dscnt 0xa00
	v_mul_f64_e32 v[186:187], v[174:175], v[132:133]
	v_mul_f64_e32 v[132:133], v[176:177], v[132:133]
	v_fmac_f64_e32 v[188:189], v[6:7], v[166:167]
	v_fma_f64 v[166:167], v[4:5], v[166:167], -v[168:169]
	v_add_f64_e32 v[168:169], v[156:157], v[154:155]
	v_add_f64_e32 v[182:183], v[182:183], v[184:185]
	ds_load_b128 v[4:7], v2 offset:1632
	ds_load_b128 v[154:157], v2 offset:1648
	v_fmac_f64_e32 v[186:187], v[176:177], v[130:131]
	v_fma_f64 v[130:131], v[174:175], v[130:131], -v[132:133]
	s_wait_loadcnt_dscnt 0x901
	v_mul_f64_e32 v[184:185], v[4:5], v[160:161]
	v_mul_f64_e32 v[160:161], v[6:7], v[160:161]
	s_wait_loadcnt_dscnt 0x800
	v_mul_f64_e32 v[174:175], v[156:157], v[128:129]
	v_add_f64_e32 v[132:133], v[168:169], v[166:167]
	v_add_f64_e32 v[166:167], v[182:183], v[188:189]
	v_mul_f64_e32 v[168:169], v[154:155], v[128:129]
	v_fmac_f64_e32 v[184:185], v[6:7], v[158:159]
	v_fma_f64 v[158:159], v[4:5], v[158:159], -v[160:161]
	v_add_f64_e32 v[132:133], v[132:133], v[130:131]
	v_add_f64_e32 v[160:161], v[166:167], v[186:187]
	ds_load_b128 v[4:7], v2 offset:1664
	ds_load_b128 v[128:131], v2 offset:1680
	v_fmac_f64_e32 v[168:169], v[156:157], v[126:127]
	v_fma_f64 v[126:127], v[154:155], v[126:127], -v[174:175]
	s_wait_loadcnt_dscnt 0x701
	v_mul_f64_e32 v[166:167], v[4:5], v[144:145]
	v_mul_f64_e32 v[144:145], v[6:7], v[144:145]
	s_wait_loadcnt_dscnt 0x600
	v_mul_f64_e32 v[156:157], v[128:129], v[136:137]
	v_mul_f64_e32 v[136:137], v[130:131], v[136:137]
	v_add_f64_e32 v[132:133], v[132:133], v[158:159]
	v_add_f64_e32 v[154:155], v[160:161], v[184:185]
	v_fmac_f64_e32 v[166:167], v[6:7], v[142:143]
	v_fma_f64 v[158:159], v[4:5], v[142:143], -v[144:145]
	ds_load_b128 v[4:7], v2 offset:1696
	ds_load_b128 v[142:145], v2 offset:1712
	v_fmac_f64_e32 v[156:157], v[130:131], v[134:135]
	v_fma_f64 v[128:129], v[128:129], v[134:135], -v[136:137]
	v_add_f64_e32 v[126:127], v[132:133], v[126:127]
	v_add_f64_e32 v[132:133], v[154:155], v[168:169]
	s_wait_loadcnt_dscnt 0x501
	v_mul_f64_e32 v[154:155], v[4:5], v[152:153]
	v_mul_f64_e32 v[152:153], v[6:7], v[152:153]
	s_wait_loadcnt_dscnt 0x400
	v_mul_f64_e32 v[134:135], v[144:145], v[140:141]
	v_add_f64_e32 v[126:127], v[126:127], v[158:159]
	v_add_f64_e32 v[130:131], v[132:133], v[166:167]
	v_mul_f64_e32 v[132:133], v[142:143], v[140:141]
	v_fmac_f64_e32 v[154:155], v[6:7], v[150:151]
	v_fma_f64 v[136:137], v[4:5], v[150:151], -v[152:153]
	v_fma_f64 v[134:135], v[142:143], v[138:139], -v[134:135]
	v_add_f64_e32 v[140:141], v[126:127], v[128:129]
	v_add_f64_e32 v[130:131], v[130:131], v[156:157]
	ds_load_b128 v[4:7], v2 offset:1728
	ds_load_b128 v[126:129], v2 offset:1744
	v_fmac_f64_e32 v[132:133], v[144:145], v[138:139]
	s_wait_loadcnt_dscnt 0x301
	v_mul_f64_e32 v[150:151], v[4:5], v[164:165]
	v_mul_f64_e32 v[152:153], v[6:7], v[164:165]
	s_wait_loadcnt_dscnt 0x200
	v_mul_f64_e32 v[138:139], v[126:127], v[148:149]
	v_add_f64_e32 v[136:137], v[140:141], v[136:137]
	v_add_f64_e32 v[130:131], v[130:131], v[154:155]
	v_mul_f64_e32 v[140:141], v[128:129], v[148:149]
	v_fmac_f64_e32 v[150:151], v[6:7], v[162:163]
	v_fma_f64 v[142:143], v[4:5], v[162:163], -v[152:153]
	v_fmac_f64_e32 v[138:139], v[128:129], v[146:147]
	v_add_f64_e32 v[134:135], v[136:137], v[134:135]
	v_add_f64_e32 v[136:137], v[130:131], v[132:133]
	ds_load_b128 v[4:7], v2 offset:1760
	ds_load_b128 v[130:133], v2 offset:1776
	v_fma_f64 v[126:127], v[126:127], v[146:147], -v[140:141]
	s_wait_loadcnt_dscnt 0x101
	v_mul_f64_e32 v[2:3], v[4:5], v[180:181]
	v_mul_f64_e32 v[144:145], v[6:7], v[180:181]
	v_add_f64_e32 v[128:129], v[134:135], v[142:143]
	v_add_f64_e32 v[134:135], v[136:137], v[150:151]
	s_wait_loadcnt_dscnt 0x0
	v_mul_f64_e32 v[136:137], v[130:131], v[10:11]
	v_mul_f64_e32 v[10:11], v[132:133], v[10:11]
	v_fmac_f64_e32 v[2:3], v[6:7], v[178:179]
	v_fma_f64 v[4:5], v[4:5], v[178:179], -v[144:145]
	v_add_f64_e32 v[6:7], v[128:129], v[126:127]
	v_add_f64_e32 v[126:127], v[134:135], v[138:139]
	v_fmac_f64_e32 v[136:137], v[132:133], v[8:9]
	v_fma_f64 v[8:9], v[130:131], v[8:9], -v[10:11]
	s_delay_alu instid0(VALU_DEP_4) | instskip(NEXT) | instid1(VALU_DEP_4)
	v_add_f64_e32 v[4:5], v[6:7], v[4:5]
	v_add_f64_e32 v[2:3], v[126:127], v[2:3]
	s_delay_alu instid0(VALU_DEP_2) | instskip(NEXT) | instid1(VALU_DEP_2)
	v_add_f64_e32 v[4:5], v[4:5], v[8:9]
	v_add_f64_e32 v[6:7], v[2:3], v[136:137]
	s_delay_alu instid0(VALU_DEP_2) | instskip(NEXT) | instid1(VALU_DEP_2)
	v_add_f64_e64 v[2:3], v[170:171], -v[4:5]
	v_add_f64_e64 v[4:5], v[172:173], -v[6:7]
	scratch_store_b128 off, v[2:5], off offset:464
	s_wait_xcnt 0x0
	v_cmpx_lt_u32_e32 28, v1
	s_cbranch_execz .LBB55_293
; %bb.292:
	scratch_load_b128 v[2:5], off, s35
	v_mov_b32_e32 v6, 0
	s_delay_alu instid0(VALU_DEP_1)
	v_dual_mov_b32 v7, v6 :: v_dual_mov_b32 v8, v6
	v_mov_b32_e32 v9, v6
	scratch_store_b128 off, v[6:9], off offset:448
	s_wait_loadcnt 0x0
	ds_store_b128 v12, v[2:5]
.LBB55_293:
	s_wait_xcnt 0x0
	s_or_b32 exec_lo, exec_lo, s2
	s_wait_storecnt_dscnt 0x0
	s_barrier_signal -1
	s_barrier_wait -1
	s_clause 0x9
	scratch_load_b128 v[4:7], off, off offset:464
	scratch_load_b128 v[8:11], off, off offset:480
	;; [unrolled: 1-line block ×10, first 2 shown]
	v_mov_b32_e32 v2, 0
	s_mov_b32 s2, exec_lo
	ds_load_b128 v[158:161], v2 offset:1360
	s_clause 0x2
	scratch_load_b128 v[162:165], off, off offset:624
	scratch_load_b128 v[166:169], off, off offset:448
	;; [unrolled: 1-line block ×3, first 2 shown]
	s_wait_loadcnt_dscnt 0xc00
	v_mul_f64_e32 v[178:179], v[160:161], v[6:7]
	v_mul_f64_e32 v[182:183], v[158:159], v[6:7]
	ds_load_b128 v[170:173], v2 offset:1376
	v_fma_f64 v[186:187], v[158:159], v[4:5], -v[178:179]
	v_fmac_f64_e32 v[182:183], v[160:161], v[4:5]
	ds_load_b128 v[4:7], v2 offset:1392
	s_wait_loadcnt_dscnt 0xb01
	v_mul_f64_e32 v[184:185], v[170:171], v[10:11]
	v_mul_f64_e32 v[10:11], v[172:173], v[10:11]
	scratch_load_b128 v[158:161], off, off offset:656
	ds_load_b128 v[178:181], v2 offset:1408
	s_wait_loadcnt_dscnt 0xb01
	v_mul_f64_e32 v[188:189], v[4:5], v[128:129]
	v_mul_f64_e32 v[128:129], v[6:7], v[128:129]
	v_add_f64_e32 v[182:183], 0, v[182:183]
	v_fmac_f64_e32 v[184:185], v[172:173], v[8:9]
	v_fma_f64 v[170:171], v[170:171], v[8:9], -v[10:11]
	v_add_f64_e32 v[172:173], 0, v[186:187]
	scratch_load_b128 v[8:11], off, off offset:672
	v_fmac_f64_e32 v[188:189], v[6:7], v[126:127]
	v_fma_f64 v[190:191], v[4:5], v[126:127], -v[128:129]
	ds_load_b128 v[4:7], v2 offset:1424
	s_wait_loadcnt_dscnt 0xb01
	v_mul_f64_e32 v[186:187], v[178:179], v[132:133]
	v_mul_f64_e32 v[132:133], v[180:181], v[132:133]
	scratch_load_b128 v[126:129], off, off offset:688
	v_add_f64_e32 v[182:183], v[182:183], v[184:185]
	v_add_f64_e32 v[192:193], v[172:173], v[170:171]
	ds_load_b128 v[170:173], v2 offset:1440
	s_wait_loadcnt_dscnt 0xb01
	v_mul_f64_e32 v[184:185], v[4:5], v[136:137]
	v_mul_f64_e32 v[136:137], v[6:7], v[136:137]
	v_fmac_f64_e32 v[186:187], v[180:181], v[130:131]
	v_fma_f64 v[178:179], v[178:179], v[130:131], -v[132:133]
	scratch_load_b128 v[130:133], off, off offset:704
	v_add_f64_e32 v[182:183], v[182:183], v[188:189]
	v_add_f64_e32 v[180:181], v[192:193], v[190:191]
	v_fmac_f64_e32 v[184:185], v[6:7], v[134:135]
	v_fma_f64 v[190:191], v[4:5], v[134:135], -v[136:137]
	ds_load_b128 v[4:7], v2 offset:1456
	s_wait_loadcnt_dscnt 0xb01
	v_mul_f64_e32 v[188:189], v[170:171], v[140:141]
	v_mul_f64_e32 v[140:141], v[172:173], v[140:141]
	scratch_load_b128 v[134:137], off, off offset:720
	v_add_f64_e32 v[182:183], v[182:183], v[186:187]
	s_wait_loadcnt_dscnt 0xb00
	v_mul_f64_e32 v[186:187], v[4:5], v[144:145]
	v_add_f64_e32 v[192:193], v[180:181], v[178:179]
	v_mul_f64_e32 v[144:145], v[6:7], v[144:145]
	ds_load_b128 v[178:181], v2 offset:1472
	v_fmac_f64_e32 v[188:189], v[172:173], v[138:139]
	v_fma_f64 v[170:171], v[170:171], v[138:139], -v[140:141]
	scratch_load_b128 v[138:141], off, off offset:736
	v_add_f64_e32 v[182:183], v[182:183], v[184:185]
	v_fmac_f64_e32 v[186:187], v[6:7], v[142:143]
	v_add_f64_e32 v[172:173], v[192:193], v[190:191]
	v_fma_f64 v[190:191], v[4:5], v[142:143], -v[144:145]
	ds_load_b128 v[4:7], v2 offset:1488
	s_wait_loadcnt_dscnt 0xb01
	v_mul_f64_e32 v[184:185], v[178:179], v[148:149]
	v_mul_f64_e32 v[148:149], v[180:181], v[148:149]
	scratch_load_b128 v[142:145], off, off offset:752
	v_add_f64_e32 v[182:183], v[182:183], v[188:189]
	s_wait_loadcnt_dscnt 0xb00
	v_mul_f64_e32 v[188:189], v[4:5], v[152:153]
	v_add_f64_e32 v[192:193], v[172:173], v[170:171]
	v_mul_f64_e32 v[152:153], v[6:7], v[152:153]
	ds_load_b128 v[170:173], v2 offset:1504
	v_fmac_f64_e32 v[184:185], v[180:181], v[146:147]
	v_fma_f64 v[178:179], v[178:179], v[146:147], -v[148:149]
	scratch_load_b128 v[146:149], off, off offset:768
	v_add_f64_e32 v[182:183], v[182:183], v[186:187]
	v_fmac_f64_e32 v[188:189], v[6:7], v[150:151]
	v_add_f64_e32 v[180:181], v[192:193], v[190:191]
	v_fma_f64 v[190:191], v[4:5], v[150:151], -v[152:153]
	ds_load_b128 v[4:7], v2 offset:1520
	s_wait_loadcnt_dscnt 0xb01
	v_mul_f64_e32 v[186:187], v[170:171], v[156:157]
	v_mul_f64_e32 v[156:157], v[172:173], v[156:157]
	scratch_load_b128 v[150:153], off, off offset:784
	v_add_f64_e32 v[182:183], v[182:183], v[184:185]
	s_wait_loadcnt_dscnt 0xb00
	v_mul_f64_e32 v[184:185], v[4:5], v[164:165]
	v_add_f64_e32 v[192:193], v[180:181], v[178:179]
	v_mul_f64_e32 v[164:165], v[6:7], v[164:165]
	ds_load_b128 v[178:181], v2 offset:1536
	v_fmac_f64_e32 v[186:187], v[172:173], v[154:155]
	v_fma_f64 v[170:171], v[170:171], v[154:155], -v[156:157]
	scratch_load_b128 v[154:157], off, off offset:800
	v_add_f64_e32 v[182:183], v[182:183], v[188:189]
	v_fmac_f64_e32 v[184:185], v[6:7], v[162:163]
	v_add_f64_e32 v[172:173], v[192:193], v[190:191]
	v_fma_f64 v[190:191], v[4:5], v[162:163], -v[164:165]
	ds_load_b128 v[4:7], v2 offset:1552
	s_wait_loadcnt_dscnt 0xa01
	v_mul_f64_e32 v[188:189], v[178:179], v[176:177]
	v_mul_f64_e32 v[176:177], v[180:181], v[176:177]
	scratch_load_b128 v[162:165], off, off offset:816
	v_add_f64_e32 v[182:183], v[182:183], v[186:187]
	v_add_f64_e32 v[192:193], v[172:173], v[170:171]
	s_wait_loadcnt_dscnt 0xa00
	v_mul_f64_e32 v[186:187], v[4:5], v[160:161]
	v_mul_f64_e32 v[160:161], v[6:7], v[160:161]
	v_fmac_f64_e32 v[188:189], v[180:181], v[174:175]
	v_fma_f64 v[178:179], v[178:179], v[174:175], -v[176:177]
	ds_load_b128 v[170:173], v2 offset:1568
	scratch_load_b128 v[174:177], off, off offset:832
	v_add_f64_e32 v[182:183], v[182:183], v[184:185]
	v_add_f64_e32 v[180:181], v[192:193], v[190:191]
	v_fmac_f64_e32 v[186:187], v[6:7], v[158:159]
	v_fma_f64 v[190:191], v[4:5], v[158:159], -v[160:161]
	ds_load_b128 v[4:7], v2 offset:1584
	s_wait_loadcnt_dscnt 0xa01
	v_mul_f64_e32 v[184:185], v[170:171], v[10:11]
	v_mul_f64_e32 v[10:11], v[172:173], v[10:11]
	scratch_load_b128 v[158:161], off, off offset:848
	v_add_f64_e32 v[182:183], v[182:183], v[188:189]
	s_wait_loadcnt_dscnt 0xa00
	v_mul_f64_e32 v[188:189], v[4:5], v[128:129]
	v_add_f64_e32 v[192:193], v[180:181], v[178:179]
	v_mul_f64_e32 v[128:129], v[6:7], v[128:129]
	ds_load_b128 v[178:181], v2 offset:1600
	v_fmac_f64_e32 v[184:185], v[172:173], v[8:9]
	v_fma_f64 v[170:171], v[170:171], v[8:9], -v[10:11]
	scratch_load_b128 v[8:11], off, off offset:864
	v_add_f64_e32 v[182:183], v[182:183], v[186:187]
	v_fmac_f64_e32 v[188:189], v[6:7], v[126:127]
	v_add_f64_e32 v[172:173], v[192:193], v[190:191]
	v_fma_f64 v[190:191], v[4:5], v[126:127], -v[128:129]
	ds_load_b128 v[4:7], v2 offset:1616
	s_wait_loadcnt_dscnt 0xa01
	v_mul_f64_e32 v[186:187], v[178:179], v[132:133]
	v_mul_f64_e32 v[132:133], v[180:181], v[132:133]
	scratch_load_b128 v[126:129], off, off offset:880
	v_add_f64_e32 v[182:183], v[182:183], v[184:185]
	s_wait_loadcnt_dscnt 0xa00
	v_mul_f64_e32 v[184:185], v[4:5], v[136:137]
	v_add_f64_e32 v[192:193], v[172:173], v[170:171]
	v_mul_f64_e32 v[136:137], v[6:7], v[136:137]
	ds_load_b128 v[170:173], v2 offset:1632
	v_fmac_f64_e32 v[186:187], v[180:181], v[130:131]
	v_fma_f64 v[130:131], v[178:179], v[130:131], -v[132:133]
	s_wait_loadcnt_dscnt 0x900
	v_mul_f64_e32 v[180:181], v[170:171], v[140:141]
	v_mul_f64_e32 v[140:141], v[172:173], v[140:141]
	v_add_f64_e32 v[178:179], v[182:183], v[188:189]
	v_fmac_f64_e32 v[184:185], v[6:7], v[134:135]
	v_add_f64_e32 v[132:133], v[192:193], v[190:191]
	v_fma_f64 v[134:135], v[4:5], v[134:135], -v[136:137]
	v_fmac_f64_e32 v[180:181], v[172:173], v[138:139]
	v_fma_f64 v[138:139], v[170:171], v[138:139], -v[140:141]
	v_add_f64_e32 v[178:179], v[178:179], v[186:187]
	v_add_f64_e32 v[136:137], v[132:133], v[130:131]
	ds_load_b128 v[4:7], v2 offset:1648
	ds_load_b128 v[130:133], v2 offset:1664
	s_wait_loadcnt_dscnt 0x801
	v_mul_f64_e32 v[182:183], v[4:5], v[144:145]
	v_mul_f64_e32 v[144:145], v[6:7], v[144:145]
	s_wait_loadcnt_dscnt 0x700
	v_mul_f64_e32 v[140:141], v[130:131], v[148:149]
	v_mul_f64_e32 v[148:149], v[132:133], v[148:149]
	v_add_f64_e32 v[134:135], v[136:137], v[134:135]
	v_add_f64_e32 v[136:137], v[178:179], v[184:185]
	v_fmac_f64_e32 v[182:183], v[6:7], v[142:143]
	v_fma_f64 v[142:143], v[4:5], v[142:143], -v[144:145]
	v_fmac_f64_e32 v[140:141], v[132:133], v[146:147]
	v_fma_f64 v[130:131], v[130:131], v[146:147], -v[148:149]
	v_add_f64_e32 v[138:139], v[134:135], v[138:139]
	v_add_f64_e32 v[144:145], v[136:137], v[180:181]
	ds_load_b128 v[4:7], v2 offset:1680
	ds_load_b128 v[134:137], v2 offset:1696
	s_wait_loadcnt_dscnt 0x601
	v_mul_f64_e32 v[170:171], v[4:5], v[152:153]
	v_mul_f64_e32 v[152:153], v[6:7], v[152:153]
	v_add_f64_e32 v[132:133], v[138:139], v[142:143]
	v_add_f64_e32 v[138:139], v[144:145], v[182:183]
	s_wait_loadcnt_dscnt 0x500
	v_mul_f64_e32 v[142:143], v[134:135], v[156:157]
	v_mul_f64_e32 v[144:145], v[136:137], v[156:157]
	v_fmac_f64_e32 v[170:171], v[6:7], v[150:151]
	v_fma_f64 v[146:147], v[4:5], v[150:151], -v[152:153]
	v_add_f64_e32 v[148:149], v[132:133], v[130:131]
	v_add_f64_e32 v[138:139], v[138:139], v[140:141]
	ds_load_b128 v[4:7], v2 offset:1712
	ds_load_b128 v[130:133], v2 offset:1728
	v_fmac_f64_e32 v[142:143], v[136:137], v[154:155]
	v_fma_f64 v[134:135], v[134:135], v[154:155], -v[144:145]
	s_wait_loadcnt_dscnt 0x401
	v_mul_f64_e32 v[140:141], v[4:5], v[164:165]
	v_mul_f64_e32 v[150:151], v[6:7], v[164:165]
	s_wait_loadcnt_dscnt 0x300
	v_mul_f64_e32 v[144:145], v[130:131], v[176:177]
	v_add_f64_e32 v[136:137], v[148:149], v[146:147]
	v_add_f64_e32 v[138:139], v[138:139], v[170:171]
	v_mul_f64_e32 v[146:147], v[132:133], v[176:177]
	v_fmac_f64_e32 v[140:141], v[6:7], v[162:163]
	v_fma_f64 v[148:149], v[4:5], v[162:163], -v[150:151]
	v_fmac_f64_e32 v[144:145], v[132:133], v[174:175]
	v_add_f64_e32 v[150:151], v[136:137], v[134:135]
	v_add_f64_e32 v[138:139], v[138:139], v[142:143]
	ds_load_b128 v[4:7], v2 offset:1744
	ds_load_b128 v[134:137], v2 offset:1760
	v_fma_f64 v[130:131], v[130:131], v[174:175], -v[146:147]
	s_wait_loadcnt_dscnt 0x201
	v_mul_f64_e32 v[142:143], v[4:5], v[160:161]
	v_mul_f64_e32 v[152:153], v[6:7], v[160:161]
	v_add_f64_e32 v[132:133], v[150:151], v[148:149]
	v_add_f64_e32 v[138:139], v[138:139], v[140:141]
	s_wait_loadcnt_dscnt 0x100
	v_mul_f64_e32 v[140:141], v[134:135], v[10:11]
	v_mul_f64_e32 v[10:11], v[136:137], v[10:11]
	v_fmac_f64_e32 v[142:143], v[6:7], v[158:159]
	v_fma_f64 v[146:147], v[4:5], v[158:159], -v[152:153]
	ds_load_b128 v[4:7], v2 offset:1776
	v_add_f64_e32 v[130:131], v[132:133], v[130:131]
	v_add_f64_e32 v[132:133], v[138:139], v[144:145]
	v_fmac_f64_e32 v[140:141], v[136:137], v[8:9]
	v_fma_f64 v[8:9], v[134:135], v[8:9], -v[10:11]
	s_wait_loadcnt_dscnt 0x0
	v_mul_f64_e32 v[138:139], v[4:5], v[128:129]
	v_mul_f64_e32 v[128:129], v[6:7], v[128:129]
	v_add_f64_e32 v[10:11], v[130:131], v[146:147]
	v_add_f64_e32 v[130:131], v[132:133], v[142:143]
	s_delay_alu instid0(VALU_DEP_4) | instskip(NEXT) | instid1(VALU_DEP_4)
	v_fmac_f64_e32 v[138:139], v[6:7], v[126:127]
	v_fma_f64 v[4:5], v[4:5], v[126:127], -v[128:129]
	s_delay_alu instid0(VALU_DEP_4) | instskip(NEXT) | instid1(VALU_DEP_4)
	v_add_f64_e32 v[6:7], v[10:11], v[8:9]
	v_add_f64_e32 v[8:9], v[130:131], v[140:141]
	s_delay_alu instid0(VALU_DEP_2) | instskip(NEXT) | instid1(VALU_DEP_2)
	v_add_f64_e32 v[4:5], v[6:7], v[4:5]
	v_add_f64_e32 v[6:7], v[8:9], v[138:139]
	s_delay_alu instid0(VALU_DEP_2) | instskip(NEXT) | instid1(VALU_DEP_2)
	v_add_f64_e64 v[4:5], v[166:167], -v[4:5]
	v_add_f64_e64 v[6:7], v[168:169], -v[6:7]
	scratch_store_b128 off, v[4:7], off offset:448
	s_wait_xcnt 0x0
	v_cmpx_lt_u32_e32 27, v1
	s_cbranch_execz .LBB55_295
; %bb.294:
	scratch_load_b128 v[6:9], off, s27
	v_dual_mov_b32 v3, v2 :: v_dual_mov_b32 v4, v2
	v_mov_b32_e32 v5, v2
	scratch_store_b128 off, v[2:5], off offset:432
	s_wait_loadcnt 0x0
	ds_store_b128 v12, v[6:9]
.LBB55_295:
	s_wait_xcnt 0x0
	s_or_b32 exec_lo, exec_lo, s2
	s_wait_storecnt_dscnt 0x0
	s_barrier_signal -1
	s_barrier_wait -1
	s_clause 0x9
	scratch_load_b128 v[4:7], off, off offset:448
	scratch_load_b128 v[8:11], off, off offset:464
	;; [unrolled: 1-line block ×10, first 2 shown]
	ds_load_b128 v[158:161], v2 offset:1344
	ds_load_b128 v[166:169], v2 offset:1360
	s_clause 0x2
	scratch_load_b128 v[162:165], off, off offset:608
	scratch_load_b128 v[170:173], off, off offset:432
	;; [unrolled: 1-line block ×3, first 2 shown]
	s_mov_b32 s2, exec_lo
	s_wait_loadcnt_dscnt 0xc01
	v_mul_f64_e32 v[178:179], v[160:161], v[6:7]
	v_mul_f64_e32 v[182:183], v[158:159], v[6:7]
	s_wait_loadcnt_dscnt 0xb00
	v_mul_f64_e32 v[184:185], v[166:167], v[10:11]
	v_mul_f64_e32 v[10:11], v[168:169], v[10:11]
	s_delay_alu instid0(VALU_DEP_4) | instskip(NEXT) | instid1(VALU_DEP_4)
	v_fma_f64 v[186:187], v[158:159], v[4:5], -v[178:179]
	v_fmac_f64_e32 v[182:183], v[160:161], v[4:5]
	ds_load_b128 v[4:7], v2 offset:1376
	ds_load_b128 v[158:161], v2 offset:1392
	scratch_load_b128 v[178:181], off, off offset:640
	v_fmac_f64_e32 v[184:185], v[168:169], v[8:9]
	v_fma_f64 v[166:167], v[166:167], v[8:9], -v[10:11]
	scratch_load_b128 v[8:11], off, off offset:656
	s_wait_loadcnt_dscnt 0xc01
	v_mul_f64_e32 v[188:189], v[4:5], v[128:129]
	v_mul_f64_e32 v[128:129], v[6:7], v[128:129]
	v_add_f64_e32 v[168:169], 0, v[186:187]
	v_add_f64_e32 v[182:183], 0, v[182:183]
	s_wait_loadcnt_dscnt 0xb00
	v_mul_f64_e32 v[186:187], v[158:159], v[132:133]
	v_mul_f64_e32 v[132:133], v[160:161], v[132:133]
	v_fmac_f64_e32 v[188:189], v[6:7], v[126:127]
	v_fma_f64 v[190:191], v[4:5], v[126:127], -v[128:129]
	ds_load_b128 v[4:7], v2 offset:1408
	ds_load_b128 v[126:129], v2 offset:1424
	v_add_f64_e32 v[192:193], v[168:169], v[166:167]
	v_add_f64_e32 v[182:183], v[182:183], v[184:185]
	scratch_load_b128 v[166:169], off, off offset:672
	v_fmac_f64_e32 v[186:187], v[160:161], v[130:131]
	v_fma_f64 v[158:159], v[158:159], v[130:131], -v[132:133]
	scratch_load_b128 v[130:133], off, off offset:688
	s_wait_loadcnt_dscnt 0xc01
	v_mul_f64_e32 v[184:185], v[4:5], v[136:137]
	v_mul_f64_e32 v[136:137], v[6:7], v[136:137]
	v_add_f64_e32 v[160:161], v[192:193], v[190:191]
	v_add_f64_e32 v[182:183], v[182:183], v[188:189]
	s_wait_loadcnt_dscnt 0xb00
	v_mul_f64_e32 v[188:189], v[126:127], v[140:141]
	v_mul_f64_e32 v[140:141], v[128:129], v[140:141]
	v_fmac_f64_e32 v[184:185], v[6:7], v[134:135]
	v_fma_f64 v[190:191], v[4:5], v[134:135], -v[136:137]
	ds_load_b128 v[4:7], v2 offset:1440
	ds_load_b128 v[134:137], v2 offset:1456
	v_add_f64_e32 v[192:193], v[160:161], v[158:159]
	v_add_f64_e32 v[182:183], v[182:183], v[186:187]
	scratch_load_b128 v[158:161], off, off offset:704
	s_wait_loadcnt_dscnt 0xb01
	v_mul_f64_e32 v[186:187], v[4:5], v[144:145]
	v_mul_f64_e32 v[144:145], v[6:7], v[144:145]
	v_fmac_f64_e32 v[188:189], v[128:129], v[138:139]
	v_fma_f64 v[138:139], v[126:127], v[138:139], -v[140:141]
	scratch_load_b128 v[126:129], off, off offset:720
	v_add_f64_e32 v[140:141], v[192:193], v[190:191]
	v_add_f64_e32 v[182:183], v[182:183], v[184:185]
	s_wait_loadcnt_dscnt 0xb00
	v_mul_f64_e32 v[184:185], v[134:135], v[148:149]
	v_mul_f64_e32 v[148:149], v[136:137], v[148:149]
	v_fmac_f64_e32 v[186:187], v[6:7], v[142:143]
	v_fma_f64 v[190:191], v[4:5], v[142:143], -v[144:145]
	v_add_f64_e32 v[192:193], v[140:141], v[138:139]
	v_add_f64_e32 v[182:183], v[182:183], v[188:189]
	ds_load_b128 v[4:7], v2 offset:1472
	ds_load_b128 v[138:141], v2 offset:1488
	scratch_load_b128 v[142:145], off, off offset:736
	v_fmac_f64_e32 v[184:185], v[136:137], v[146:147]
	v_fma_f64 v[146:147], v[134:135], v[146:147], -v[148:149]
	scratch_load_b128 v[134:137], off, off offset:752
	s_wait_loadcnt_dscnt 0xc01
	v_mul_f64_e32 v[188:189], v[4:5], v[152:153]
	v_mul_f64_e32 v[152:153], v[6:7], v[152:153]
	v_add_f64_e32 v[148:149], v[192:193], v[190:191]
	v_add_f64_e32 v[182:183], v[182:183], v[186:187]
	s_wait_loadcnt_dscnt 0xb00
	v_mul_f64_e32 v[186:187], v[138:139], v[156:157]
	v_mul_f64_e32 v[156:157], v[140:141], v[156:157]
	v_fmac_f64_e32 v[188:189], v[6:7], v[150:151]
	v_fma_f64 v[190:191], v[4:5], v[150:151], -v[152:153]
	v_add_f64_e32 v[192:193], v[148:149], v[146:147]
	v_add_f64_e32 v[182:183], v[182:183], v[184:185]
	ds_load_b128 v[4:7], v2 offset:1504
	ds_load_b128 v[146:149], v2 offset:1520
	scratch_load_b128 v[150:153], off, off offset:768
	v_fmac_f64_e32 v[186:187], v[140:141], v[154:155]
	v_fma_f64 v[154:155], v[138:139], v[154:155], -v[156:157]
	scratch_load_b128 v[138:141], off, off offset:784
	s_wait_loadcnt_dscnt 0xc01
	v_mul_f64_e32 v[184:185], v[4:5], v[164:165]
	v_mul_f64_e32 v[164:165], v[6:7], v[164:165]
	;; [unrolled: 18-line block ×5, first 2 shown]
	v_add_f64_e32 v[176:177], v[192:193], v[190:191]
	v_add_f64_e32 v[182:183], v[182:183], v[188:189]
	s_wait_loadcnt_dscnt 0xa00
	v_mul_f64_e32 v[188:189], v[154:155], v[128:129]
	v_mul_f64_e32 v[128:129], v[156:157], v[128:129]
	v_fmac_f64_e32 v[184:185], v[6:7], v[158:159]
	v_fma_f64 v[190:191], v[4:5], v[158:159], -v[160:161]
	ds_load_b128 v[4:7], v2 offset:1632
	ds_load_b128 v[158:161], v2 offset:1648
	v_add_f64_e32 v[174:175], v[176:177], v[174:175]
	v_add_f64_e32 v[176:177], v[182:183], v[186:187]
	v_fmac_f64_e32 v[188:189], v[156:157], v[126:127]
	v_fma_f64 v[126:127], v[154:155], v[126:127], -v[128:129]
	s_wait_loadcnt_dscnt 0x901
	v_mul_f64_e32 v[182:183], v[4:5], v[144:145]
	v_mul_f64_e32 v[144:145], v[6:7], v[144:145]
	s_wait_loadcnt_dscnt 0x800
	v_mul_f64_e32 v[156:157], v[158:159], v[136:137]
	v_mul_f64_e32 v[136:137], v[160:161], v[136:137]
	v_add_f64_e32 v[128:129], v[174:175], v[190:191]
	v_add_f64_e32 v[154:155], v[176:177], v[184:185]
	v_fmac_f64_e32 v[182:183], v[6:7], v[142:143]
	v_fma_f64 v[142:143], v[4:5], v[142:143], -v[144:145]
	v_fmac_f64_e32 v[156:157], v[160:161], v[134:135]
	v_fma_f64 v[134:135], v[158:159], v[134:135], -v[136:137]
	v_add_f64_e32 v[144:145], v[128:129], v[126:127]
	v_add_f64_e32 v[154:155], v[154:155], v[188:189]
	ds_load_b128 v[4:7], v2 offset:1664
	ds_load_b128 v[126:129], v2 offset:1680
	s_wait_loadcnt_dscnt 0x701
	v_mul_f64_e32 v[174:175], v[4:5], v[152:153]
	v_mul_f64_e32 v[152:153], v[6:7], v[152:153]
	v_add_f64_e32 v[136:137], v[144:145], v[142:143]
	v_add_f64_e32 v[142:143], v[154:155], v[182:183]
	s_wait_loadcnt_dscnt 0x600
	v_mul_f64_e32 v[144:145], v[126:127], v[140:141]
	v_mul_f64_e32 v[140:141], v[128:129], v[140:141]
	v_fmac_f64_e32 v[174:175], v[6:7], v[150:151]
	v_fma_f64 v[150:151], v[4:5], v[150:151], -v[152:153]
	v_add_f64_e32 v[152:153], v[136:137], v[134:135]
	v_add_f64_e32 v[142:143], v[142:143], v[156:157]
	ds_load_b128 v[4:7], v2 offset:1696
	ds_load_b128 v[134:137], v2 offset:1712
	v_fmac_f64_e32 v[144:145], v[128:129], v[138:139]
	v_fma_f64 v[126:127], v[126:127], v[138:139], -v[140:141]
	s_wait_loadcnt_dscnt 0x501
	v_mul_f64_e32 v[154:155], v[4:5], v[164:165]
	v_mul_f64_e32 v[156:157], v[6:7], v[164:165]
	s_wait_loadcnt_dscnt 0x400
	v_mul_f64_e32 v[140:141], v[134:135], v[148:149]
	v_add_f64_e32 v[128:129], v[152:153], v[150:151]
	v_add_f64_e32 v[138:139], v[142:143], v[174:175]
	v_mul_f64_e32 v[142:143], v[136:137], v[148:149]
	v_fmac_f64_e32 v[154:155], v[6:7], v[162:163]
	v_fma_f64 v[148:149], v[4:5], v[162:163], -v[156:157]
	v_fmac_f64_e32 v[140:141], v[136:137], v[146:147]
	v_add_f64_e32 v[150:151], v[128:129], v[126:127]
	v_add_f64_e32 v[138:139], v[138:139], v[144:145]
	ds_load_b128 v[4:7], v2 offset:1728
	ds_load_b128 v[126:129], v2 offset:1744
	v_fma_f64 v[134:135], v[134:135], v[146:147], -v[142:143]
	s_wait_loadcnt_dscnt 0x301
	v_mul_f64_e32 v[144:145], v[4:5], v[180:181]
	v_mul_f64_e32 v[152:153], v[6:7], v[180:181]
	s_wait_loadcnt_dscnt 0x200
	v_mul_f64_e32 v[142:143], v[126:127], v[10:11]
	v_mul_f64_e32 v[10:11], v[128:129], v[10:11]
	v_add_f64_e32 v[136:137], v[150:151], v[148:149]
	v_add_f64_e32 v[138:139], v[138:139], v[154:155]
	v_fmac_f64_e32 v[144:145], v[6:7], v[178:179]
	v_fma_f64 v[146:147], v[4:5], v[178:179], -v[152:153]
	v_fmac_f64_e32 v[142:143], v[128:129], v[8:9]
	v_fma_f64 v[8:9], v[126:127], v[8:9], -v[10:11]
	v_add_f64_e32 v[148:149], v[136:137], v[134:135]
	v_add_f64_e32 v[138:139], v[138:139], v[140:141]
	ds_load_b128 v[4:7], v2 offset:1760
	ds_load_b128 v[134:137], v2 offset:1776
	s_wait_loadcnt_dscnt 0x101
	v_mul_f64_e32 v[2:3], v[4:5], v[168:169]
	v_mul_f64_e32 v[140:141], v[6:7], v[168:169]
	s_wait_loadcnt_dscnt 0x0
	v_mul_f64_e32 v[128:129], v[134:135], v[132:133]
	v_mul_f64_e32 v[132:133], v[136:137], v[132:133]
	v_add_f64_e32 v[10:11], v[148:149], v[146:147]
	v_add_f64_e32 v[126:127], v[138:139], v[144:145]
	v_fmac_f64_e32 v[2:3], v[6:7], v[166:167]
	v_fma_f64 v[4:5], v[4:5], v[166:167], -v[140:141]
	v_fmac_f64_e32 v[128:129], v[136:137], v[130:131]
	v_add_f64_e32 v[6:7], v[10:11], v[8:9]
	v_add_f64_e32 v[8:9], v[126:127], v[142:143]
	v_fma_f64 v[10:11], v[134:135], v[130:131], -v[132:133]
	s_delay_alu instid0(VALU_DEP_3) | instskip(NEXT) | instid1(VALU_DEP_3)
	v_add_f64_e32 v[4:5], v[6:7], v[4:5]
	v_add_f64_e32 v[2:3], v[8:9], v[2:3]
	s_delay_alu instid0(VALU_DEP_2) | instskip(NEXT) | instid1(VALU_DEP_2)
	v_add_f64_e32 v[4:5], v[4:5], v[10:11]
	v_add_f64_e32 v[6:7], v[2:3], v[128:129]
	s_delay_alu instid0(VALU_DEP_2) | instskip(NEXT) | instid1(VALU_DEP_2)
	v_add_f64_e64 v[2:3], v[170:171], -v[4:5]
	v_add_f64_e64 v[4:5], v[172:173], -v[6:7]
	scratch_store_b128 off, v[2:5], off offset:432
	s_wait_xcnt 0x0
	v_cmpx_lt_u32_e32 26, v1
	s_cbranch_execz .LBB55_297
; %bb.296:
	scratch_load_b128 v[2:5], off, s45
	v_mov_b32_e32 v6, 0
	s_delay_alu instid0(VALU_DEP_1)
	v_dual_mov_b32 v7, v6 :: v_dual_mov_b32 v8, v6
	v_mov_b32_e32 v9, v6
	scratch_store_b128 off, v[6:9], off offset:416
	s_wait_loadcnt 0x0
	ds_store_b128 v12, v[2:5]
.LBB55_297:
	s_wait_xcnt 0x0
	s_or_b32 exec_lo, exec_lo, s2
	s_wait_storecnt_dscnt 0x0
	s_barrier_signal -1
	s_barrier_wait -1
	s_clause 0x9
	scratch_load_b128 v[4:7], off, off offset:432
	scratch_load_b128 v[8:11], off, off offset:448
	;; [unrolled: 1-line block ×10, first 2 shown]
	v_mov_b32_e32 v2, 0
	s_mov_b32 s2, exec_lo
	ds_load_b128 v[158:161], v2 offset:1328
	s_clause 0x2
	scratch_load_b128 v[162:165], off, off offset:592
	scratch_load_b128 v[166:169], off, off offset:416
	;; [unrolled: 1-line block ×3, first 2 shown]
	s_wait_loadcnt_dscnt 0xc00
	v_mul_f64_e32 v[178:179], v[160:161], v[6:7]
	v_mul_f64_e32 v[182:183], v[158:159], v[6:7]
	ds_load_b128 v[170:173], v2 offset:1344
	v_fma_f64 v[186:187], v[158:159], v[4:5], -v[178:179]
	v_fmac_f64_e32 v[182:183], v[160:161], v[4:5]
	ds_load_b128 v[4:7], v2 offset:1360
	s_wait_loadcnt_dscnt 0xb01
	v_mul_f64_e32 v[184:185], v[170:171], v[10:11]
	v_mul_f64_e32 v[10:11], v[172:173], v[10:11]
	scratch_load_b128 v[158:161], off, off offset:624
	ds_load_b128 v[178:181], v2 offset:1376
	s_wait_loadcnt_dscnt 0xb01
	v_mul_f64_e32 v[188:189], v[4:5], v[128:129]
	v_mul_f64_e32 v[128:129], v[6:7], v[128:129]
	v_add_f64_e32 v[182:183], 0, v[182:183]
	v_fmac_f64_e32 v[184:185], v[172:173], v[8:9]
	v_fma_f64 v[170:171], v[170:171], v[8:9], -v[10:11]
	v_add_f64_e32 v[172:173], 0, v[186:187]
	scratch_load_b128 v[8:11], off, off offset:640
	v_fmac_f64_e32 v[188:189], v[6:7], v[126:127]
	v_fma_f64 v[190:191], v[4:5], v[126:127], -v[128:129]
	ds_load_b128 v[4:7], v2 offset:1392
	s_wait_loadcnt_dscnt 0xb01
	v_mul_f64_e32 v[186:187], v[178:179], v[132:133]
	v_mul_f64_e32 v[132:133], v[180:181], v[132:133]
	scratch_load_b128 v[126:129], off, off offset:656
	v_add_f64_e32 v[182:183], v[182:183], v[184:185]
	v_add_f64_e32 v[192:193], v[172:173], v[170:171]
	ds_load_b128 v[170:173], v2 offset:1408
	s_wait_loadcnt_dscnt 0xb01
	v_mul_f64_e32 v[184:185], v[4:5], v[136:137]
	v_mul_f64_e32 v[136:137], v[6:7], v[136:137]
	v_fmac_f64_e32 v[186:187], v[180:181], v[130:131]
	v_fma_f64 v[178:179], v[178:179], v[130:131], -v[132:133]
	scratch_load_b128 v[130:133], off, off offset:672
	v_add_f64_e32 v[182:183], v[182:183], v[188:189]
	v_add_f64_e32 v[180:181], v[192:193], v[190:191]
	v_fmac_f64_e32 v[184:185], v[6:7], v[134:135]
	v_fma_f64 v[190:191], v[4:5], v[134:135], -v[136:137]
	ds_load_b128 v[4:7], v2 offset:1424
	s_wait_loadcnt_dscnt 0xb01
	v_mul_f64_e32 v[188:189], v[170:171], v[140:141]
	v_mul_f64_e32 v[140:141], v[172:173], v[140:141]
	scratch_load_b128 v[134:137], off, off offset:688
	v_add_f64_e32 v[182:183], v[182:183], v[186:187]
	s_wait_loadcnt_dscnt 0xb00
	v_mul_f64_e32 v[186:187], v[4:5], v[144:145]
	v_add_f64_e32 v[192:193], v[180:181], v[178:179]
	v_mul_f64_e32 v[144:145], v[6:7], v[144:145]
	ds_load_b128 v[178:181], v2 offset:1440
	v_fmac_f64_e32 v[188:189], v[172:173], v[138:139]
	v_fma_f64 v[170:171], v[170:171], v[138:139], -v[140:141]
	scratch_load_b128 v[138:141], off, off offset:704
	v_add_f64_e32 v[182:183], v[182:183], v[184:185]
	v_fmac_f64_e32 v[186:187], v[6:7], v[142:143]
	v_add_f64_e32 v[172:173], v[192:193], v[190:191]
	v_fma_f64 v[190:191], v[4:5], v[142:143], -v[144:145]
	ds_load_b128 v[4:7], v2 offset:1456
	s_wait_loadcnt_dscnt 0xb01
	v_mul_f64_e32 v[184:185], v[178:179], v[148:149]
	v_mul_f64_e32 v[148:149], v[180:181], v[148:149]
	scratch_load_b128 v[142:145], off, off offset:720
	v_add_f64_e32 v[182:183], v[182:183], v[188:189]
	s_wait_loadcnt_dscnt 0xb00
	v_mul_f64_e32 v[188:189], v[4:5], v[152:153]
	v_add_f64_e32 v[192:193], v[172:173], v[170:171]
	v_mul_f64_e32 v[152:153], v[6:7], v[152:153]
	ds_load_b128 v[170:173], v2 offset:1472
	v_fmac_f64_e32 v[184:185], v[180:181], v[146:147]
	v_fma_f64 v[178:179], v[178:179], v[146:147], -v[148:149]
	scratch_load_b128 v[146:149], off, off offset:736
	v_add_f64_e32 v[182:183], v[182:183], v[186:187]
	v_fmac_f64_e32 v[188:189], v[6:7], v[150:151]
	v_add_f64_e32 v[180:181], v[192:193], v[190:191]
	;; [unrolled: 18-line block ×3, first 2 shown]
	v_fma_f64 v[190:191], v[4:5], v[162:163], -v[164:165]
	ds_load_b128 v[4:7], v2 offset:1520
	s_wait_loadcnt_dscnt 0xa01
	v_mul_f64_e32 v[188:189], v[178:179], v[176:177]
	v_mul_f64_e32 v[176:177], v[180:181], v[176:177]
	scratch_load_b128 v[162:165], off, off offset:784
	v_add_f64_e32 v[182:183], v[182:183], v[186:187]
	v_add_f64_e32 v[192:193], v[172:173], v[170:171]
	s_wait_loadcnt_dscnt 0xa00
	v_mul_f64_e32 v[186:187], v[4:5], v[160:161]
	v_mul_f64_e32 v[160:161], v[6:7], v[160:161]
	v_fmac_f64_e32 v[188:189], v[180:181], v[174:175]
	v_fma_f64 v[178:179], v[178:179], v[174:175], -v[176:177]
	ds_load_b128 v[170:173], v2 offset:1536
	scratch_load_b128 v[174:177], off, off offset:800
	v_add_f64_e32 v[182:183], v[182:183], v[184:185]
	v_add_f64_e32 v[180:181], v[192:193], v[190:191]
	v_fmac_f64_e32 v[186:187], v[6:7], v[158:159]
	v_fma_f64 v[190:191], v[4:5], v[158:159], -v[160:161]
	ds_load_b128 v[4:7], v2 offset:1552
	s_wait_loadcnt_dscnt 0xa01
	v_mul_f64_e32 v[184:185], v[170:171], v[10:11]
	v_mul_f64_e32 v[10:11], v[172:173], v[10:11]
	scratch_load_b128 v[158:161], off, off offset:816
	v_add_f64_e32 v[182:183], v[182:183], v[188:189]
	s_wait_loadcnt_dscnt 0xa00
	v_mul_f64_e32 v[188:189], v[4:5], v[128:129]
	v_add_f64_e32 v[192:193], v[180:181], v[178:179]
	v_mul_f64_e32 v[128:129], v[6:7], v[128:129]
	ds_load_b128 v[178:181], v2 offset:1568
	v_fmac_f64_e32 v[184:185], v[172:173], v[8:9]
	v_fma_f64 v[170:171], v[170:171], v[8:9], -v[10:11]
	scratch_load_b128 v[8:11], off, off offset:832
	v_add_f64_e32 v[182:183], v[182:183], v[186:187]
	v_fmac_f64_e32 v[188:189], v[6:7], v[126:127]
	v_add_f64_e32 v[172:173], v[192:193], v[190:191]
	v_fma_f64 v[190:191], v[4:5], v[126:127], -v[128:129]
	ds_load_b128 v[4:7], v2 offset:1584
	s_wait_loadcnt_dscnt 0xa01
	v_mul_f64_e32 v[186:187], v[178:179], v[132:133]
	v_mul_f64_e32 v[132:133], v[180:181], v[132:133]
	scratch_load_b128 v[126:129], off, off offset:848
	v_add_f64_e32 v[182:183], v[182:183], v[184:185]
	s_wait_loadcnt_dscnt 0xa00
	v_mul_f64_e32 v[184:185], v[4:5], v[136:137]
	v_add_f64_e32 v[192:193], v[172:173], v[170:171]
	v_mul_f64_e32 v[136:137], v[6:7], v[136:137]
	ds_load_b128 v[170:173], v2 offset:1600
	v_fmac_f64_e32 v[186:187], v[180:181], v[130:131]
	v_fma_f64 v[178:179], v[178:179], v[130:131], -v[132:133]
	scratch_load_b128 v[130:133], off, off offset:864
	v_add_f64_e32 v[182:183], v[182:183], v[188:189]
	v_fmac_f64_e32 v[184:185], v[6:7], v[134:135]
	v_add_f64_e32 v[180:181], v[192:193], v[190:191]
	v_fma_f64 v[190:191], v[4:5], v[134:135], -v[136:137]
	ds_load_b128 v[4:7], v2 offset:1616
	s_wait_loadcnt_dscnt 0xa01
	v_mul_f64_e32 v[188:189], v[170:171], v[140:141]
	v_mul_f64_e32 v[140:141], v[172:173], v[140:141]
	scratch_load_b128 v[134:137], off, off offset:880
	v_add_f64_e32 v[182:183], v[182:183], v[186:187]
	s_wait_loadcnt_dscnt 0xa00
	v_mul_f64_e32 v[186:187], v[4:5], v[144:145]
	v_add_f64_e32 v[192:193], v[180:181], v[178:179]
	v_mul_f64_e32 v[144:145], v[6:7], v[144:145]
	ds_load_b128 v[178:181], v2 offset:1632
	v_fmac_f64_e32 v[188:189], v[172:173], v[138:139]
	v_fma_f64 v[138:139], v[170:171], v[138:139], -v[140:141]
	s_wait_loadcnt_dscnt 0x900
	v_mul_f64_e32 v[172:173], v[178:179], v[148:149]
	v_mul_f64_e32 v[148:149], v[180:181], v[148:149]
	v_add_f64_e32 v[170:171], v[182:183], v[184:185]
	v_fmac_f64_e32 v[186:187], v[6:7], v[142:143]
	v_add_f64_e32 v[140:141], v[192:193], v[190:191]
	v_fma_f64 v[142:143], v[4:5], v[142:143], -v[144:145]
	v_fmac_f64_e32 v[172:173], v[180:181], v[146:147]
	v_fma_f64 v[146:147], v[178:179], v[146:147], -v[148:149]
	v_add_f64_e32 v[170:171], v[170:171], v[188:189]
	v_add_f64_e32 v[144:145], v[140:141], v[138:139]
	ds_load_b128 v[4:7], v2 offset:1648
	ds_load_b128 v[138:141], v2 offset:1664
	s_wait_loadcnt_dscnt 0x801
	v_mul_f64_e32 v[182:183], v[4:5], v[152:153]
	v_mul_f64_e32 v[152:153], v[6:7], v[152:153]
	s_wait_loadcnt_dscnt 0x700
	v_mul_f64_e32 v[148:149], v[138:139], v[156:157]
	v_mul_f64_e32 v[156:157], v[140:141], v[156:157]
	v_add_f64_e32 v[142:143], v[144:145], v[142:143]
	v_add_f64_e32 v[144:145], v[170:171], v[186:187]
	v_fmac_f64_e32 v[182:183], v[6:7], v[150:151]
	v_fma_f64 v[150:151], v[4:5], v[150:151], -v[152:153]
	v_fmac_f64_e32 v[148:149], v[140:141], v[154:155]
	v_fma_f64 v[138:139], v[138:139], v[154:155], -v[156:157]
	v_add_f64_e32 v[146:147], v[142:143], v[146:147]
	v_add_f64_e32 v[152:153], v[144:145], v[172:173]
	ds_load_b128 v[4:7], v2 offset:1680
	ds_load_b128 v[142:145], v2 offset:1696
	s_wait_loadcnt_dscnt 0x601
	v_mul_f64_e32 v[170:171], v[4:5], v[164:165]
	v_mul_f64_e32 v[164:165], v[6:7], v[164:165]
	v_add_f64_e32 v[140:141], v[146:147], v[150:151]
	v_add_f64_e32 v[146:147], v[152:153], v[182:183]
	s_wait_loadcnt_dscnt 0x500
	v_mul_f64_e32 v[150:151], v[142:143], v[176:177]
	v_mul_f64_e32 v[152:153], v[144:145], v[176:177]
	v_fmac_f64_e32 v[170:171], v[6:7], v[162:163]
	v_fma_f64 v[154:155], v[4:5], v[162:163], -v[164:165]
	v_add_f64_e32 v[156:157], v[140:141], v[138:139]
	v_add_f64_e32 v[146:147], v[146:147], v[148:149]
	ds_load_b128 v[4:7], v2 offset:1712
	ds_load_b128 v[138:141], v2 offset:1728
	v_fmac_f64_e32 v[150:151], v[144:145], v[174:175]
	v_fma_f64 v[142:143], v[142:143], v[174:175], -v[152:153]
	s_wait_loadcnt_dscnt 0x401
	v_mul_f64_e32 v[148:149], v[4:5], v[160:161]
	v_mul_f64_e32 v[160:161], v[6:7], v[160:161]
	s_wait_loadcnt_dscnt 0x300
	v_mul_f64_e32 v[152:153], v[138:139], v[10:11]
	v_mul_f64_e32 v[10:11], v[140:141], v[10:11]
	v_add_f64_e32 v[144:145], v[156:157], v[154:155]
	v_add_f64_e32 v[146:147], v[146:147], v[170:171]
	v_fmac_f64_e32 v[148:149], v[6:7], v[158:159]
	v_fma_f64 v[154:155], v[4:5], v[158:159], -v[160:161]
	v_fmac_f64_e32 v[152:153], v[140:141], v[8:9]
	v_fma_f64 v[8:9], v[138:139], v[8:9], -v[10:11]
	v_add_f64_e32 v[156:157], v[144:145], v[142:143]
	v_add_f64_e32 v[146:147], v[146:147], v[150:151]
	ds_load_b128 v[4:7], v2 offset:1744
	ds_load_b128 v[142:145], v2 offset:1760
	s_wait_loadcnt_dscnt 0x201
	v_mul_f64_e32 v[150:151], v[4:5], v[128:129]
	v_mul_f64_e32 v[128:129], v[6:7], v[128:129]
	s_wait_loadcnt_dscnt 0x100
	v_mul_f64_e32 v[140:141], v[142:143], v[132:133]
	v_mul_f64_e32 v[132:133], v[144:145], v[132:133]
	v_add_f64_e32 v[10:11], v[156:157], v[154:155]
	v_add_f64_e32 v[138:139], v[146:147], v[148:149]
	v_fmac_f64_e32 v[150:151], v[6:7], v[126:127]
	v_fma_f64 v[126:127], v[4:5], v[126:127], -v[128:129]
	ds_load_b128 v[4:7], v2 offset:1776
	v_fmac_f64_e32 v[140:141], v[144:145], v[130:131]
	v_fma_f64 v[130:131], v[142:143], v[130:131], -v[132:133]
	v_add_f64_e32 v[8:9], v[10:11], v[8:9]
	v_add_f64_e32 v[10:11], v[138:139], v[152:153]
	s_wait_loadcnt_dscnt 0x0
	v_mul_f64_e32 v[128:129], v[4:5], v[136:137]
	v_mul_f64_e32 v[136:137], v[6:7], v[136:137]
	s_delay_alu instid0(VALU_DEP_4) | instskip(NEXT) | instid1(VALU_DEP_4)
	v_add_f64_e32 v[8:9], v[8:9], v[126:127]
	v_add_f64_e32 v[10:11], v[10:11], v[150:151]
	s_delay_alu instid0(VALU_DEP_4) | instskip(NEXT) | instid1(VALU_DEP_4)
	v_fmac_f64_e32 v[128:129], v[6:7], v[134:135]
	v_fma_f64 v[4:5], v[4:5], v[134:135], -v[136:137]
	s_delay_alu instid0(VALU_DEP_4) | instskip(NEXT) | instid1(VALU_DEP_4)
	v_add_f64_e32 v[6:7], v[8:9], v[130:131]
	v_add_f64_e32 v[8:9], v[10:11], v[140:141]
	s_delay_alu instid0(VALU_DEP_2) | instskip(NEXT) | instid1(VALU_DEP_2)
	v_add_f64_e32 v[4:5], v[6:7], v[4:5]
	v_add_f64_e32 v[6:7], v[8:9], v[128:129]
	s_delay_alu instid0(VALU_DEP_2) | instskip(NEXT) | instid1(VALU_DEP_2)
	v_add_f64_e64 v[4:5], v[166:167], -v[4:5]
	v_add_f64_e64 v[6:7], v[168:169], -v[6:7]
	scratch_store_b128 off, v[4:7], off offset:416
	s_wait_xcnt 0x0
	v_cmpx_lt_u32_e32 25, v1
	s_cbranch_execz .LBB55_299
; %bb.298:
	scratch_load_b128 v[6:9], off, s42
	v_dual_mov_b32 v3, v2 :: v_dual_mov_b32 v4, v2
	v_mov_b32_e32 v5, v2
	scratch_store_b128 off, v[2:5], off offset:400
	s_wait_loadcnt 0x0
	ds_store_b128 v12, v[6:9]
.LBB55_299:
	s_wait_xcnt 0x0
	s_or_b32 exec_lo, exec_lo, s2
	s_wait_storecnt_dscnt 0x0
	s_barrier_signal -1
	s_barrier_wait -1
	s_clause 0x9
	scratch_load_b128 v[4:7], off, off offset:416
	scratch_load_b128 v[8:11], off, off offset:432
	;; [unrolled: 1-line block ×10, first 2 shown]
	ds_load_b128 v[158:161], v2 offset:1312
	ds_load_b128 v[166:169], v2 offset:1328
	s_clause 0x2
	scratch_load_b128 v[162:165], off, off offset:576
	scratch_load_b128 v[170:173], off, off offset:400
	;; [unrolled: 1-line block ×3, first 2 shown]
	s_mov_b32 s2, exec_lo
	s_wait_loadcnt_dscnt 0xc01
	v_mul_f64_e32 v[178:179], v[160:161], v[6:7]
	v_mul_f64_e32 v[182:183], v[158:159], v[6:7]
	s_wait_loadcnt_dscnt 0xb00
	v_mul_f64_e32 v[184:185], v[166:167], v[10:11]
	v_mul_f64_e32 v[10:11], v[168:169], v[10:11]
	s_delay_alu instid0(VALU_DEP_4) | instskip(NEXT) | instid1(VALU_DEP_4)
	v_fma_f64 v[186:187], v[158:159], v[4:5], -v[178:179]
	v_fmac_f64_e32 v[182:183], v[160:161], v[4:5]
	ds_load_b128 v[4:7], v2 offset:1344
	ds_load_b128 v[158:161], v2 offset:1360
	scratch_load_b128 v[178:181], off, off offset:608
	v_fmac_f64_e32 v[184:185], v[168:169], v[8:9]
	v_fma_f64 v[166:167], v[166:167], v[8:9], -v[10:11]
	scratch_load_b128 v[8:11], off, off offset:624
	s_wait_loadcnt_dscnt 0xc01
	v_mul_f64_e32 v[188:189], v[4:5], v[128:129]
	v_mul_f64_e32 v[128:129], v[6:7], v[128:129]
	v_add_f64_e32 v[168:169], 0, v[186:187]
	v_add_f64_e32 v[182:183], 0, v[182:183]
	s_wait_loadcnt_dscnt 0xb00
	v_mul_f64_e32 v[186:187], v[158:159], v[132:133]
	v_mul_f64_e32 v[132:133], v[160:161], v[132:133]
	v_fmac_f64_e32 v[188:189], v[6:7], v[126:127]
	v_fma_f64 v[190:191], v[4:5], v[126:127], -v[128:129]
	ds_load_b128 v[4:7], v2 offset:1376
	ds_load_b128 v[126:129], v2 offset:1392
	v_add_f64_e32 v[192:193], v[168:169], v[166:167]
	v_add_f64_e32 v[182:183], v[182:183], v[184:185]
	scratch_load_b128 v[166:169], off, off offset:640
	v_fmac_f64_e32 v[186:187], v[160:161], v[130:131]
	v_fma_f64 v[158:159], v[158:159], v[130:131], -v[132:133]
	scratch_load_b128 v[130:133], off, off offset:656
	s_wait_loadcnt_dscnt 0xc01
	v_mul_f64_e32 v[184:185], v[4:5], v[136:137]
	v_mul_f64_e32 v[136:137], v[6:7], v[136:137]
	v_add_f64_e32 v[160:161], v[192:193], v[190:191]
	v_add_f64_e32 v[182:183], v[182:183], v[188:189]
	s_wait_loadcnt_dscnt 0xb00
	v_mul_f64_e32 v[188:189], v[126:127], v[140:141]
	v_mul_f64_e32 v[140:141], v[128:129], v[140:141]
	v_fmac_f64_e32 v[184:185], v[6:7], v[134:135]
	v_fma_f64 v[190:191], v[4:5], v[134:135], -v[136:137]
	ds_load_b128 v[4:7], v2 offset:1408
	ds_load_b128 v[134:137], v2 offset:1424
	v_add_f64_e32 v[192:193], v[160:161], v[158:159]
	v_add_f64_e32 v[182:183], v[182:183], v[186:187]
	scratch_load_b128 v[158:161], off, off offset:672
	s_wait_loadcnt_dscnt 0xb01
	v_mul_f64_e32 v[186:187], v[4:5], v[144:145]
	v_mul_f64_e32 v[144:145], v[6:7], v[144:145]
	v_fmac_f64_e32 v[188:189], v[128:129], v[138:139]
	v_fma_f64 v[138:139], v[126:127], v[138:139], -v[140:141]
	scratch_load_b128 v[126:129], off, off offset:688
	v_add_f64_e32 v[140:141], v[192:193], v[190:191]
	v_add_f64_e32 v[182:183], v[182:183], v[184:185]
	s_wait_loadcnt_dscnt 0xb00
	v_mul_f64_e32 v[184:185], v[134:135], v[148:149]
	v_mul_f64_e32 v[148:149], v[136:137], v[148:149]
	v_fmac_f64_e32 v[186:187], v[6:7], v[142:143]
	v_fma_f64 v[190:191], v[4:5], v[142:143], -v[144:145]
	v_add_f64_e32 v[192:193], v[140:141], v[138:139]
	v_add_f64_e32 v[182:183], v[182:183], v[188:189]
	ds_load_b128 v[4:7], v2 offset:1440
	ds_load_b128 v[138:141], v2 offset:1456
	scratch_load_b128 v[142:145], off, off offset:704
	v_fmac_f64_e32 v[184:185], v[136:137], v[146:147]
	v_fma_f64 v[146:147], v[134:135], v[146:147], -v[148:149]
	scratch_load_b128 v[134:137], off, off offset:720
	s_wait_loadcnt_dscnt 0xc01
	v_mul_f64_e32 v[188:189], v[4:5], v[152:153]
	v_mul_f64_e32 v[152:153], v[6:7], v[152:153]
	v_add_f64_e32 v[148:149], v[192:193], v[190:191]
	v_add_f64_e32 v[182:183], v[182:183], v[186:187]
	s_wait_loadcnt_dscnt 0xb00
	v_mul_f64_e32 v[186:187], v[138:139], v[156:157]
	v_mul_f64_e32 v[156:157], v[140:141], v[156:157]
	v_fmac_f64_e32 v[188:189], v[6:7], v[150:151]
	v_fma_f64 v[190:191], v[4:5], v[150:151], -v[152:153]
	v_add_f64_e32 v[192:193], v[148:149], v[146:147]
	v_add_f64_e32 v[182:183], v[182:183], v[184:185]
	ds_load_b128 v[4:7], v2 offset:1472
	ds_load_b128 v[146:149], v2 offset:1488
	scratch_load_b128 v[150:153], off, off offset:736
	v_fmac_f64_e32 v[186:187], v[140:141], v[154:155]
	v_fma_f64 v[154:155], v[138:139], v[154:155], -v[156:157]
	scratch_load_b128 v[138:141], off, off offset:752
	s_wait_loadcnt_dscnt 0xc01
	v_mul_f64_e32 v[184:185], v[4:5], v[164:165]
	v_mul_f64_e32 v[164:165], v[6:7], v[164:165]
	;; [unrolled: 18-line block ×5, first 2 shown]
	v_add_f64_e32 v[176:177], v[192:193], v[190:191]
	v_add_f64_e32 v[182:183], v[182:183], v[188:189]
	s_wait_loadcnt_dscnt 0xa00
	v_mul_f64_e32 v[188:189], v[154:155], v[128:129]
	v_mul_f64_e32 v[128:129], v[156:157], v[128:129]
	v_fmac_f64_e32 v[184:185], v[6:7], v[158:159]
	v_fma_f64 v[190:191], v[4:5], v[158:159], -v[160:161]
	ds_load_b128 v[4:7], v2 offset:1600
	ds_load_b128 v[158:161], v2 offset:1616
	v_add_f64_e32 v[192:193], v[176:177], v[174:175]
	v_add_f64_e32 v[182:183], v[182:183], v[186:187]
	scratch_load_b128 v[174:177], off, off offset:864
	v_fmac_f64_e32 v[188:189], v[156:157], v[126:127]
	v_fma_f64 v[154:155], v[154:155], v[126:127], -v[128:129]
	scratch_load_b128 v[126:129], off, off offset:880
	s_wait_loadcnt_dscnt 0xb01
	v_mul_f64_e32 v[186:187], v[4:5], v[144:145]
	v_mul_f64_e32 v[144:145], v[6:7], v[144:145]
	v_add_f64_e32 v[156:157], v[192:193], v[190:191]
	v_add_f64_e32 v[182:183], v[182:183], v[184:185]
	s_wait_loadcnt_dscnt 0xa00
	v_mul_f64_e32 v[184:185], v[158:159], v[136:137]
	v_mul_f64_e32 v[136:137], v[160:161], v[136:137]
	v_fmac_f64_e32 v[186:187], v[6:7], v[142:143]
	v_fma_f64 v[190:191], v[4:5], v[142:143], -v[144:145]
	ds_load_b128 v[4:7], v2 offset:1632
	ds_load_b128 v[142:145], v2 offset:1648
	v_add_f64_e32 v[154:155], v[156:157], v[154:155]
	v_add_f64_e32 v[156:157], v[182:183], v[188:189]
	v_fmac_f64_e32 v[184:185], v[160:161], v[134:135]
	s_wait_loadcnt_dscnt 0x901
	v_mul_f64_e32 v[182:183], v[4:5], v[152:153]
	v_mul_f64_e32 v[152:153], v[6:7], v[152:153]
	v_fma_f64 v[134:135], v[158:159], v[134:135], -v[136:137]
	v_add_f64_e32 v[136:137], v[154:155], v[190:191]
	v_add_f64_e32 v[154:155], v[156:157], v[186:187]
	s_wait_loadcnt_dscnt 0x800
	v_mul_f64_e32 v[156:157], v[142:143], v[140:141]
	v_mul_f64_e32 v[140:141], v[144:145], v[140:141]
	v_fmac_f64_e32 v[182:183], v[6:7], v[150:151]
	v_fma_f64 v[150:151], v[4:5], v[150:151], -v[152:153]
	v_add_f64_e32 v[152:153], v[136:137], v[134:135]
	v_add_f64_e32 v[154:155], v[154:155], v[184:185]
	ds_load_b128 v[4:7], v2 offset:1664
	ds_load_b128 v[134:137], v2 offset:1680
	v_fmac_f64_e32 v[156:157], v[144:145], v[138:139]
	v_fma_f64 v[138:139], v[142:143], v[138:139], -v[140:141]
	s_wait_loadcnt_dscnt 0x701
	v_mul_f64_e32 v[158:159], v[4:5], v[164:165]
	v_mul_f64_e32 v[160:161], v[6:7], v[164:165]
	s_wait_loadcnt_dscnt 0x600
	v_mul_f64_e32 v[144:145], v[134:135], v[148:149]
	v_mul_f64_e32 v[148:149], v[136:137], v[148:149]
	v_add_f64_e32 v[140:141], v[152:153], v[150:151]
	v_add_f64_e32 v[142:143], v[154:155], v[182:183]
	v_fmac_f64_e32 v[158:159], v[6:7], v[162:163]
	v_fma_f64 v[150:151], v[4:5], v[162:163], -v[160:161]
	v_fmac_f64_e32 v[144:145], v[136:137], v[146:147]
	v_fma_f64 v[134:135], v[134:135], v[146:147], -v[148:149]
	v_add_f64_e32 v[152:153], v[140:141], v[138:139]
	v_add_f64_e32 v[142:143], v[142:143], v[156:157]
	ds_load_b128 v[4:7], v2 offset:1696
	ds_load_b128 v[138:141], v2 offset:1712
	s_wait_loadcnt_dscnt 0x501
	v_mul_f64_e32 v[154:155], v[4:5], v[180:181]
	v_mul_f64_e32 v[156:157], v[6:7], v[180:181]
	s_wait_loadcnt_dscnt 0x400
	v_mul_f64_e32 v[146:147], v[138:139], v[10:11]
	v_mul_f64_e32 v[10:11], v[140:141], v[10:11]
	v_add_f64_e32 v[136:137], v[152:153], v[150:151]
	v_add_f64_e32 v[142:143], v[142:143], v[158:159]
	v_fmac_f64_e32 v[154:155], v[6:7], v[178:179]
	v_fma_f64 v[148:149], v[4:5], v[178:179], -v[156:157]
	v_fmac_f64_e32 v[146:147], v[140:141], v[8:9]
	v_fma_f64 v[8:9], v[138:139], v[8:9], -v[10:11]
	v_add_f64_e32 v[150:151], v[136:137], v[134:135]
	v_add_f64_e32 v[142:143], v[142:143], v[144:145]
	ds_load_b128 v[4:7], v2 offset:1728
	ds_load_b128 v[134:137], v2 offset:1744
	;; [unrolled: 16-line block ×3, first 2 shown]
	s_wait_loadcnt_dscnt 0x101
	v_mul_f64_e32 v[2:3], v[4:5], v[176:177]
	v_mul_f64_e32 v[146:147], v[6:7], v[176:177]
	s_wait_loadcnt_dscnt 0x0
	v_mul_f64_e32 v[136:137], v[8:9], v[128:129]
	v_mul_f64_e32 v[128:129], v[10:11], v[128:129]
	v_add_f64_e32 v[132:133], v[148:149], v[142:143]
	v_add_f64_e32 v[134:135], v[138:139], v[144:145]
	v_fmac_f64_e32 v[2:3], v[6:7], v[174:175]
	v_fma_f64 v[4:5], v[4:5], v[174:175], -v[146:147]
	v_fmac_f64_e32 v[136:137], v[10:11], v[126:127]
	v_fma_f64 v[8:9], v[8:9], v[126:127], -v[128:129]
	v_add_f64_e32 v[6:7], v[132:133], v[130:131]
	v_add_f64_e32 v[130:131], v[134:135], v[140:141]
	s_delay_alu instid0(VALU_DEP_2) | instskip(NEXT) | instid1(VALU_DEP_2)
	v_add_f64_e32 v[4:5], v[6:7], v[4:5]
	v_add_f64_e32 v[2:3], v[130:131], v[2:3]
	s_delay_alu instid0(VALU_DEP_2) | instskip(NEXT) | instid1(VALU_DEP_2)
	;; [unrolled: 3-line block ×3, first 2 shown]
	v_add_f64_e64 v[2:3], v[170:171], -v[4:5]
	v_add_f64_e64 v[4:5], v[172:173], -v[6:7]
	scratch_store_b128 off, v[2:5], off offset:400
	s_wait_xcnt 0x0
	v_cmpx_lt_u32_e32 24, v1
	s_cbranch_execz .LBB55_301
; %bb.300:
	scratch_load_b128 v[2:5], off, s37
	v_mov_b32_e32 v6, 0
	s_delay_alu instid0(VALU_DEP_1)
	v_dual_mov_b32 v7, v6 :: v_dual_mov_b32 v8, v6
	v_mov_b32_e32 v9, v6
	scratch_store_b128 off, v[6:9], off offset:384
	s_wait_loadcnt 0x0
	ds_store_b128 v12, v[2:5]
.LBB55_301:
	s_wait_xcnt 0x0
	s_or_b32 exec_lo, exec_lo, s2
	s_wait_storecnt_dscnt 0x0
	s_barrier_signal -1
	s_barrier_wait -1
	s_clause 0x9
	scratch_load_b128 v[4:7], off, off offset:400
	scratch_load_b128 v[8:11], off, off offset:416
	;; [unrolled: 1-line block ×10, first 2 shown]
	v_mov_b32_e32 v2, 0
	s_mov_b32 s2, exec_lo
	ds_load_b128 v[158:161], v2 offset:1296
	s_clause 0x2
	scratch_load_b128 v[162:165], off, off offset:560
	scratch_load_b128 v[166:169], off, off offset:384
	;; [unrolled: 1-line block ×3, first 2 shown]
	s_wait_loadcnt_dscnt 0xc00
	v_mul_f64_e32 v[178:179], v[160:161], v[6:7]
	v_mul_f64_e32 v[182:183], v[158:159], v[6:7]
	ds_load_b128 v[170:173], v2 offset:1312
	v_fma_f64 v[186:187], v[158:159], v[4:5], -v[178:179]
	v_fmac_f64_e32 v[182:183], v[160:161], v[4:5]
	ds_load_b128 v[4:7], v2 offset:1328
	s_wait_loadcnt_dscnt 0xb01
	v_mul_f64_e32 v[184:185], v[170:171], v[10:11]
	v_mul_f64_e32 v[10:11], v[172:173], v[10:11]
	scratch_load_b128 v[158:161], off, off offset:592
	ds_load_b128 v[178:181], v2 offset:1344
	s_wait_loadcnt_dscnt 0xb01
	v_mul_f64_e32 v[188:189], v[4:5], v[128:129]
	v_mul_f64_e32 v[128:129], v[6:7], v[128:129]
	v_add_f64_e32 v[182:183], 0, v[182:183]
	v_fmac_f64_e32 v[184:185], v[172:173], v[8:9]
	v_fma_f64 v[170:171], v[170:171], v[8:9], -v[10:11]
	v_add_f64_e32 v[172:173], 0, v[186:187]
	scratch_load_b128 v[8:11], off, off offset:608
	v_fmac_f64_e32 v[188:189], v[6:7], v[126:127]
	v_fma_f64 v[190:191], v[4:5], v[126:127], -v[128:129]
	ds_load_b128 v[4:7], v2 offset:1360
	s_wait_loadcnt_dscnt 0xb01
	v_mul_f64_e32 v[186:187], v[178:179], v[132:133]
	v_mul_f64_e32 v[132:133], v[180:181], v[132:133]
	scratch_load_b128 v[126:129], off, off offset:624
	v_add_f64_e32 v[182:183], v[182:183], v[184:185]
	v_add_f64_e32 v[192:193], v[172:173], v[170:171]
	ds_load_b128 v[170:173], v2 offset:1376
	s_wait_loadcnt_dscnt 0xb01
	v_mul_f64_e32 v[184:185], v[4:5], v[136:137]
	v_mul_f64_e32 v[136:137], v[6:7], v[136:137]
	v_fmac_f64_e32 v[186:187], v[180:181], v[130:131]
	v_fma_f64 v[178:179], v[178:179], v[130:131], -v[132:133]
	scratch_load_b128 v[130:133], off, off offset:640
	v_add_f64_e32 v[182:183], v[182:183], v[188:189]
	v_add_f64_e32 v[180:181], v[192:193], v[190:191]
	v_fmac_f64_e32 v[184:185], v[6:7], v[134:135]
	v_fma_f64 v[190:191], v[4:5], v[134:135], -v[136:137]
	ds_load_b128 v[4:7], v2 offset:1392
	s_wait_loadcnt_dscnt 0xb01
	v_mul_f64_e32 v[188:189], v[170:171], v[140:141]
	v_mul_f64_e32 v[140:141], v[172:173], v[140:141]
	scratch_load_b128 v[134:137], off, off offset:656
	v_add_f64_e32 v[182:183], v[182:183], v[186:187]
	s_wait_loadcnt_dscnt 0xb00
	v_mul_f64_e32 v[186:187], v[4:5], v[144:145]
	v_add_f64_e32 v[192:193], v[180:181], v[178:179]
	v_mul_f64_e32 v[144:145], v[6:7], v[144:145]
	ds_load_b128 v[178:181], v2 offset:1408
	v_fmac_f64_e32 v[188:189], v[172:173], v[138:139]
	v_fma_f64 v[170:171], v[170:171], v[138:139], -v[140:141]
	scratch_load_b128 v[138:141], off, off offset:672
	v_add_f64_e32 v[182:183], v[182:183], v[184:185]
	v_fmac_f64_e32 v[186:187], v[6:7], v[142:143]
	v_add_f64_e32 v[172:173], v[192:193], v[190:191]
	v_fma_f64 v[190:191], v[4:5], v[142:143], -v[144:145]
	ds_load_b128 v[4:7], v2 offset:1424
	s_wait_loadcnt_dscnt 0xb01
	v_mul_f64_e32 v[184:185], v[178:179], v[148:149]
	v_mul_f64_e32 v[148:149], v[180:181], v[148:149]
	scratch_load_b128 v[142:145], off, off offset:688
	v_add_f64_e32 v[182:183], v[182:183], v[188:189]
	s_wait_loadcnt_dscnt 0xb00
	v_mul_f64_e32 v[188:189], v[4:5], v[152:153]
	v_add_f64_e32 v[192:193], v[172:173], v[170:171]
	v_mul_f64_e32 v[152:153], v[6:7], v[152:153]
	ds_load_b128 v[170:173], v2 offset:1440
	v_fmac_f64_e32 v[184:185], v[180:181], v[146:147]
	v_fma_f64 v[178:179], v[178:179], v[146:147], -v[148:149]
	scratch_load_b128 v[146:149], off, off offset:704
	v_add_f64_e32 v[182:183], v[182:183], v[186:187]
	v_fmac_f64_e32 v[188:189], v[6:7], v[150:151]
	v_add_f64_e32 v[180:181], v[192:193], v[190:191]
	v_fma_f64 v[190:191], v[4:5], v[150:151], -v[152:153]
	ds_load_b128 v[4:7], v2 offset:1456
	s_wait_loadcnt_dscnt 0xb01
	v_mul_f64_e32 v[186:187], v[170:171], v[156:157]
	v_mul_f64_e32 v[156:157], v[172:173], v[156:157]
	scratch_load_b128 v[150:153], off, off offset:720
	v_add_f64_e32 v[182:183], v[182:183], v[184:185]
	s_wait_loadcnt_dscnt 0xb00
	v_mul_f64_e32 v[184:185], v[4:5], v[164:165]
	v_add_f64_e32 v[192:193], v[180:181], v[178:179]
	v_mul_f64_e32 v[164:165], v[6:7], v[164:165]
	ds_load_b128 v[178:181], v2 offset:1472
	v_fmac_f64_e32 v[186:187], v[172:173], v[154:155]
	v_fma_f64 v[170:171], v[170:171], v[154:155], -v[156:157]
	scratch_load_b128 v[154:157], off, off offset:736
	v_add_f64_e32 v[182:183], v[182:183], v[188:189]
	v_fmac_f64_e32 v[184:185], v[6:7], v[162:163]
	v_add_f64_e32 v[172:173], v[192:193], v[190:191]
	v_fma_f64 v[190:191], v[4:5], v[162:163], -v[164:165]
	ds_load_b128 v[4:7], v2 offset:1488
	s_wait_loadcnt_dscnt 0xa01
	v_mul_f64_e32 v[188:189], v[178:179], v[176:177]
	v_mul_f64_e32 v[176:177], v[180:181], v[176:177]
	scratch_load_b128 v[162:165], off, off offset:752
	v_add_f64_e32 v[182:183], v[182:183], v[186:187]
	v_add_f64_e32 v[192:193], v[172:173], v[170:171]
	s_wait_loadcnt_dscnt 0xa00
	v_mul_f64_e32 v[186:187], v[4:5], v[160:161]
	v_mul_f64_e32 v[160:161], v[6:7], v[160:161]
	v_fmac_f64_e32 v[188:189], v[180:181], v[174:175]
	v_fma_f64 v[178:179], v[178:179], v[174:175], -v[176:177]
	ds_load_b128 v[170:173], v2 offset:1504
	scratch_load_b128 v[174:177], off, off offset:768
	v_add_f64_e32 v[182:183], v[182:183], v[184:185]
	v_add_f64_e32 v[180:181], v[192:193], v[190:191]
	v_fmac_f64_e32 v[186:187], v[6:7], v[158:159]
	v_fma_f64 v[190:191], v[4:5], v[158:159], -v[160:161]
	ds_load_b128 v[4:7], v2 offset:1520
	s_wait_loadcnt_dscnt 0xa01
	v_mul_f64_e32 v[184:185], v[170:171], v[10:11]
	v_mul_f64_e32 v[10:11], v[172:173], v[10:11]
	scratch_load_b128 v[158:161], off, off offset:784
	v_add_f64_e32 v[182:183], v[182:183], v[188:189]
	s_wait_loadcnt_dscnt 0xa00
	v_mul_f64_e32 v[188:189], v[4:5], v[128:129]
	v_add_f64_e32 v[192:193], v[180:181], v[178:179]
	v_mul_f64_e32 v[128:129], v[6:7], v[128:129]
	ds_load_b128 v[178:181], v2 offset:1536
	v_fmac_f64_e32 v[184:185], v[172:173], v[8:9]
	v_fma_f64 v[170:171], v[170:171], v[8:9], -v[10:11]
	scratch_load_b128 v[8:11], off, off offset:800
	v_add_f64_e32 v[182:183], v[182:183], v[186:187]
	v_fmac_f64_e32 v[188:189], v[6:7], v[126:127]
	v_add_f64_e32 v[172:173], v[192:193], v[190:191]
	v_fma_f64 v[190:191], v[4:5], v[126:127], -v[128:129]
	ds_load_b128 v[4:7], v2 offset:1552
	s_wait_loadcnt_dscnt 0xa01
	v_mul_f64_e32 v[186:187], v[178:179], v[132:133]
	v_mul_f64_e32 v[132:133], v[180:181], v[132:133]
	scratch_load_b128 v[126:129], off, off offset:816
	v_add_f64_e32 v[182:183], v[182:183], v[184:185]
	s_wait_loadcnt_dscnt 0xa00
	v_mul_f64_e32 v[184:185], v[4:5], v[136:137]
	v_add_f64_e32 v[192:193], v[172:173], v[170:171]
	v_mul_f64_e32 v[136:137], v[6:7], v[136:137]
	ds_load_b128 v[170:173], v2 offset:1568
	v_fmac_f64_e32 v[186:187], v[180:181], v[130:131]
	v_fma_f64 v[178:179], v[178:179], v[130:131], -v[132:133]
	scratch_load_b128 v[130:133], off, off offset:832
	v_add_f64_e32 v[182:183], v[182:183], v[188:189]
	v_fmac_f64_e32 v[184:185], v[6:7], v[134:135]
	v_add_f64_e32 v[180:181], v[192:193], v[190:191]
	;; [unrolled: 18-line block ×3, first 2 shown]
	v_fma_f64 v[190:191], v[4:5], v[142:143], -v[144:145]
	ds_load_b128 v[4:7], v2 offset:1616
	s_wait_loadcnt_dscnt 0xa01
	v_mul_f64_e32 v[184:185], v[178:179], v[148:149]
	v_mul_f64_e32 v[148:149], v[180:181], v[148:149]
	scratch_load_b128 v[142:145], off, off offset:880
	v_add_f64_e32 v[182:183], v[182:183], v[188:189]
	s_wait_loadcnt_dscnt 0xa00
	v_mul_f64_e32 v[188:189], v[4:5], v[152:153]
	v_add_f64_e32 v[192:193], v[172:173], v[170:171]
	v_mul_f64_e32 v[152:153], v[6:7], v[152:153]
	ds_load_b128 v[170:173], v2 offset:1632
	v_fmac_f64_e32 v[184:185], v[180:181], v[146:147]
	v_fma_f64 v[146:147], v[178:179], v[146:147], -v[148:149]
	s_wait_loadcnt_dscnt 0x900
	v_mul_f64_e32 v[180:181], v[170:171], v[156:157]
	v_mul_f64_e32 v[156:157], v[172:173], v[156:157]
	v_add_f64_e32 v[178:179], v[182:183], v[186:187]
	v_fmac_f64_e32 v[188:189], v[6:7], v[150:151]
	v_add_f64_e32 v[148:149], v[192:193], v[190:191]
	v_fma_f64 v[150:151], v[4:5], v[150:151], -v[152:153]
	v_fmac_f64_e32 v[180:181], v[172:173], v[154:155]
	v_fma_f64 v[154:155], v[170:171], v[154:155], -v[156:157]
	v_add_f64_e32 v[178:179], v[178:179], v[184:185]
	v_add_f64_e32 v[152:153], v[148:149], v[146:147]
	ds_load_b128 v[4:7], v2 offset:1648
	ds_load_b128 v[146:149], v2 offset:1664
	s_wait_loadcnt_dscnt 0x801
	v_mul_f64_e32 v[182:183], v[4:5], v[164:165]
	v_mul_f64_e32 v[164:165], v[6:7], v[164:165]
	s_wait_loadcnt_dscnt 0x700
	v_mul_f64_e32 v[156:157], v[146:147], v[176:177]
	v_mul_f64_e32 v[170:171], v[148:149], v[176:177]
	v_add_f64_e32 v[150:151], v[152:153], v[150:151]
	v_add_f64_e32 v[152:153], v[178:179], v[188:189]
	v_fmac_f64_e32 v[182:183], v[6:7], v[162:163]
	v_fma_f64 v[162:163], v[4:5], v[162:163], -v[164:165]
	v_fmac_f64_e32 v[156:157], v[148:149], v[174:175]
	v_fma_f64 v[146:147], v[146:147], v[174:175], -v[170:171]
	v_add_f64_e32 v[154:155], v[150:151], v[154:155]
	v_add_f64_e32 v[164:165], v[152:153], v[180:181]
	ds_load_b128 v[4:7], v2 offset:1680
	ds_load_b128 v[150:153], v2 offset:1696
	s_wait_loadcnt_dscnt 0x601
	v_mul_f64_e32 v[172:173], v[4:5], v[160:161]
	v_mul_f64_e32 v[160:161], v[6:7], v[160:161]
	v_add_f64_e32 v[148:149], v[154:155], v[162:163]
	v_add_f64_e32 v[154:155], v[164:165], v[182:183]
	s_wait_loadcnt_dscnt 0x500
	v_mul_f64_e32 v[162:163], v[150:151], v[10:11]
	v_mul_f64_e32 v[10:11], v[152:153], v[10:11]
	v_fmac_f64_e32 v[172:173], v[6:7], v[158:159]
	v_fma_f64 v[158:159], v[4:5], v[158:159], -v[160:161]
	v_add_f64_e32 v[160:161], v[148:149], v[146:147]
	v_add_f64_e32 v[154:155], v[154:155], v[156:157]
	ds_load_b128 v[4:7], v2 offset:1712
	ds_load_b128 v[146:149], v2 offset:1728
	v_fmac_f64_e32 v[162:163], v[152:153], v[8:9]
	v_fma_f64 v[8:9], v[150:151], v[8:9], -v[10:11]
	s_wait_loadcnt_dscnt 0x401
	v_mul_f64_e32 v[156:157], v[4:5], v[128:129]
	v_mul_f64_e32 v[128:129], v[6:7], v[128:129]
	s_wait_loadcnt_dscnt 0x300
	v_mul_f64_e32 v[152:153], v[146:147], v[132:133]
	v_mul_f64_e32 v[132:133], v[148:149], v[132:133]
	v_add_f64_e32 v[10:11], v[160:161], v[158:159]
	v_add_f64_e32 v[150:151], v[154:155], v[172:173]
	v_fmac_f64_e32 v[156:157], v[6:7], v[126:127]
	v_fma_f64 v[126:127], v[4:5], v[126:127], -v[128:129]
	v_fmac_f64_e32 v[152:153], v[148:149], v[130:131]
	v_fma_f64 v[130:131], v[146:147], v[130:131], -v[132:133]
	v_add_f64_e32 v[128:129], v[10:11], v[8:9]
	v_add_f64_e32 v[150:151], v[150:151], v[162:163]
	ds_load_b128 v[4:7], v2 offset:1744
	ds_load_b128 v[8:11], v2 offset:1760
	s_wait_loadcnt_dscnt 0x201
	v_mul_f64_e32 v[154:155], v[4:5], v[136:137]
	v_mul_f64_e32 v[136:137], v[6:7], v[136:137]
	s_wait_loadcnt_dscnt 0x100
	v_mul_f64_e32 v[132:133], v[8:9], v[140:141]
	v_mul_f64_e32 v[140:141], v[10:11], v[140:141]
	v_add_f64_e32 v[126:127], v[128:129], v[126:127]
	v_add_f64_e32 v[128:129], v[150:151], v[156:157]
	v_fmac_f64_e32 v[154:155], v[6:7], v[134:135]
	v_fma_f64 v[134:135], v[4:5], v[134:135], -v[136:137]
	ds_load_b128 v[4:7], v2 offset:1776
	v_fmac_f64_e32 v[132:133], v[10:11], v[138:139]
	v_fma_f64 v[8:9], v[8:9], v[138:139], -v[140:141]
	v_add_f64_e32 v[126:127], v[126:127], v[130:131]
	v_add_f64_e32 v[128:129], v[128:129], v[152:153]
	s_wait_loadcnt_dscnt 0x0
	v_mul_f64_e32 v[130:131], v[4:5], v[144:145]
	v_mul_f64_e32 v[136:137], v[6:7], v[144:145]
	s_delay_alu instid0(VALU_DEP_4) | instskip(NEXT) | instid1(VALU_DEP_4)
	v_add_f64_e32 v[10:11], v[126:127], v[134:135]
	v_add_f64_e32 v[126:127], v[128:129], v[154:155]
	s_delay_alu instid0(VALU_DEP_4) | instskip(NEXT) | instid1(VALU_DEP_4)
	v_fmac_f64_e32 v[130:131], v[6:7], v[142:143]
	v_fma_f64 v[4:5], v[4:5], v[142:143], -v[136:137]
	s_delay_alu instid0(VALU_DEP_4) | instskip(NEXT) | instid1(VALU_DEP_4)
	v_add_f64_e32 v[6:7], v[10:11], v[8:9]
	v_add_f64_e32 v[8:9], v[126:127], v[132:133]
	s_delay_alu instid0(VALU_DEP_2) | instskip(NEXT) | instid1(VALU_DEP_2)
	v_add_f64_e32 v[4:5], v[6:7], v[4:5]
	v_add_f64_e32 v[6:7], v[8:9], v[130:131]
	s_delay_alu instid0(VALU_DEP_2) | instskip(NEXT) | instid1(VALU_DEP_2)
	v_add_f64_e64 v[4:5], v[166:167], -v[4:5]
	v_add_f64_e64 v[6:7], v[168:169], -v[6:7]
	scratch_store_b128 off, v[4:7], off offset:384
	s_wait_xcnt 0x0
	v_cmpx_lt_u32_e32 23, v1
	s_cbranch_execz .LBB55_303
; %bb.302:
	scratch_load_b128 v[6:9], off, s30
	v_dual_mov_b32 v3, v2 :: v_dual_mov_b32 v4, v2
	v_mov_b32_e32 v5, v2
	scratch_store_b128 off, v[2:5], off offset:368
	s_wait_loadcnt 0x0
	ds_store_b128 v12, v[6:9]
.LBB55_303:
	s_wait_xcnt 0x0
	s_or_b32 exec_lo, exec_lo, s2
	s_wait_storecnt_dscnt 0x0
	s_barrier_signal -1
	s_barrier_wait -1
	s_clause 0x9
	scratch_load_b128 v[4:7], off, off offset:384
	scratch_load_b128 v[8:11], off, off offset:400
	scratch_load_b128 v[126:129], off, off offset:416
	scratch_load_b128 v[130:133], off, off offset:432
	scratch_load_b128 v[134:137], off, off offset:448
	scratch_load_b128 v[138:141], off, off offset:464
	scratch_load_b128 v[142:145], off, off offset:480
	scratch_load_b128 v[146:149], off, off offset:496
	scratch_load_b128 v[150:153], off, off offset:512
	scratch_load_b128 v[154:157], off, off offset:528
	ds_load_b128 v[158:161], v2 offset:1280
	ds_load_b128 v[166:169], v2 offset:1296
	s_clause 0x2
	scratch_load_b128 v[162:165], off, off offset:544
	scratch_load_b128 v[170:173], off, off offset:368
	;; [unrolled: 1-line block ×3, first 2 shown]
	s_mov_b32 s2, exec_lo
	s_wait_loadcnt_dscnt 0xc01
	v_mul_f64_e32 v[178:179], v[160:161], v[6:7]
	v_mul_f64_e32 v[182:183], v[158:159], v[6:7]
	s_wait_loadcnt_dscnt 0xb00
	v_mul_f64_e32 v[184:185], v[166:167], v[10:11]
	v_mul_f64_e32 v[10:11], v[168:169], v[10:11]
	s_delay_alu instid0(VALU_DEP_4) | instskip(NEXT) | instid1(VALU_DEP_4)
	v_fma_f64 v[186:187], v[158:159], v[4:5], -v[178:179]
	v_fmac_f64_e32 v[182:183], v[160:161], v[4:5]
	ds_load_b128 v[4:7], v2 offset:1312
	ds_load_b128 v[158:161], v2 offset:1328
	scratch_load_b128 v[178:181], off, off offset:576
	v_fmac_f64_e32 v[184:185], v[168:169], v[8:9]
	v_fma_f64 v[166:167], v[166:167], v[8:9], -v[10:11]
	scratch_load_b128 v[8:11], off, off offset:592
	s_wait_loadcnt_dscnt 0xc01
	v_mul_f64_e32 v[188:189], v[4:5], v[128:129]
	v_mul_f64_e32 v[128:129], v[6:7], v[128:129]
	v_add_f64_e32 v[168:169], 0, v[186:187]
	v_add_f64_e32 v[182:183], 0, v[182:183]
	s_wait_loadcnt_dscnt 0xb00
	v_mul_f64_e32 v[186:187], v[158:159], v[132:133]
	v_mul_f64_e32 v[132:133], v[160:161], v[132:133]
	v_fmac_f64_e32 v[188:189], v[6:7], v[126:127]
	v_fma_f64 v[190:191], v[4:5], v[126:127], -v[128:129]
	ds_load_b128 v[4:7], v2 offset:1344
	ds_load_b128 v[126:129], v2 offset:1360
	v_add_f64_e32 v[192:193], v[168:169], v[166:167]
	v_add_f64_e32 v[182:183], v[182:183], v[184:185]
	scratch_load_b128 v[166:169], off, off offset:608
	v_fmac_f64_e32 v[186:187], v[160:161], v[130:131]
	v_fma_f64 v[158:159], v[158:159], v[130:131], -v[132:133]
	scratch_load_b128 v[130:133], off, off offset:624
	s_wait_loadcnt_dscnt 0xc01
	v_mul_f64_e32 v[184:185], v[4:5], v[136:137]
	v_mul_f64_e32 v[136:137], v[6:7], v[136:137]
	v_add_f64_e32 v[160:161], v[192:193], v[190:191]
	v_add_f64_e32 v[182:183], v[182:183], v[188:189]
	s_wait_loadcnt_dscnt 0xb00
	v_mul_f64_e32 v[188:189], v[126:127], v[140:141]
	v_mul_f64_e32 v[140:141], v[128:129], v[140:141]
	v_fmac_f64_e32 v[184:185], v[6:7], v[134:135]
	v_fma_f64 v[190:191], v[4:5], v[134:135], -v[136:137]
	ds_load_b128 v[4:7], v2 offset:1376
	ds_load_b128 v[134:137], v2 offset:1392
	v_add_f64_e32 v[192:193], v[160:161], v[158:159]
	v_add_f64_e32 v[182:183], v[182:183], v[186:187]
	scratch_load_b128 v[158:161], off, off offset:640
	s_wait_loadcnt_dscnt 0xb01
	v_mul_f64_e32 v[186:187], v[4:5], v[144:145]
	v_mul_f64_e32 v[144:145], v[6:7], v[144:145]
	v_fmac_f64_e32 v[188:189], v[128:129], v[138:139]
	v_fma_f64 v[138:139], v[126:127], v[138:139], -v[140:141]
	scratch_load_b128 v[126:129], off, off offset:656
	v_add_f64_e32 v[140:141], v[192:193], v[190:191]
	v_add_f64_e32 v[182:183], v[182:183], v[184:185]
	s_wait_loadcnt_dscnt 0xb00
	v_mul_f64_e32 v[184:185], v[134:135], v[148:149]
	v_mul_f64_e32 v[148:149], v[136:137], v[148:149]
	v_fmac_f64_e32 v[186:187], v[6:7], v[142:143]
	v_fma_f64 v[190:191], v[4:5], v[142:143], -v[144:145]
	v_add_f64_e32 v[192:193], v[140:141], v[138:139]
	v_add_f64_e32 v[182:183], v[182:183], v[188:189]
	ds_load_b128 v[4:7], v2 offset:1408
	ds_load_b128 v[138:141], v2 offset:1424
	scratch_load_b128 v[142:145], off, off offset:672
	v_fmac_f64_e32 v[184:185], v[136:137], v[146:147]
	v_fma_f64 v[146:147], v[134:135], v[146:147], -v[148:149]
	scratch_load_b128 v[134:137], off, off offset:688
	s_wait_loadcnt_dscnt 0xc01
	v_mul_f64_e32 v[188:189], v[4:5], v[152:153]
	v_mul_f64_e32 v[152:153], v[6:7], v[152:153]
	v_add_f64_e32 v[148:149], v[192:193], v[190:191]
	v_add_f64_e32 v[182:183], v[182:183], v[186:187]
	s_wait_loadcnt_dscnt 0xb00
	v_mul_f64_e32 v[186:187], v[138:139], v[156:157]
	v_mul_f64_e32 v[156:157], v[140:141], v[156:157]
	v_fmac_f64_e32 v[188:189], v[6:7], v[150:151]
	v_fma_f64 v[190:191], v[4:5], v[150:151], -v[152:153]
	v_add_f64_e32 v[192:193], v[148:149], v[146:147]
	v_add_f64_e32 v[182:183], v[182:183], v[184:185]
	ds_load_b128 v[4:7], v2 offset:1440
	ds_load_b128 v[146:149], v2 offset:1456
	scratch_load_b128 v[150:153], off, off offset:704
	v_fmac_f64_e32 v[186:187], v[140:141], v[154:155]
	v_fma_f64 v[154:155], v[138:139], v[154:155], -v[156:157]
	scratch_load_b128 v[138:141], off, off offset:720
	s_wait_loadcnt_dscnt 0xc01
	v_mul_f64_e32 v[184:185], v[4:5], v[164:165]
	v_mul_f64_e32 v[164:165], v[6:7], v[164:165]
	;; [unrolled: 18-line block ×5, first 2 shown]
	v_add_f64_e32 v[176:177], v[192:193], v[190:191]
	v_add_f64_e32 v[182:183], v[182:183], v[188:189]
	s_wait_loadcnt_dscnt 0xa00
	v_mul_f64_e32 v[188:189], v[154:155], v[128:129]
	v_mul_f64_e32 v[128:129], v[156:157], v[128:129]
	v_fmac_f64_e32 v[184:185], v[6:7], v[158:159]
	v_fma_f64 v[190:191], v[4:5], v[158:159], -v[160:161]
	ds_load_b128 v[4:7], v2 offset:1568
	ds_load_b128 v[158:161], v2 offset:1584
	v_add_f64_e32 v[192:193], v[176:177], v[174:175]
	v_add_f64_e32 v[182:183], v[182:183], v[186:187]
	scratch_load_b128 v[174:177], off, off offset:832
	v_fmac_f64_e32 v[188:189], v[156:157], v[126:127]
	v_fma_f64 v[154:155], v[154:155], v[126:127], -v[128:129]
	scratch_load_b128 v[126:129], off, off offset:848
	s_wait_loadcnt_dscnt 0xb01
	v_mul_f64_e32 v[186:187], v[4:5], v[144:145]
	v_mul_f64_e32 v[144:145], v[6:7], v[144:145]
	v_add_f64_e32 v[156:157], v[192:193], v[190:191]
	v_add_f64_e32 v[182:183], v[182:183], v[184:185]
	s_wait_loadcnt_dscnt 0xa00
	v_mul_f64_e32 v[184:185], v[158:159], v[136:137]
	v_mul_f64_e32 v[136:137], v[160:161], v[136:137]
	v_fmac_f64_e32 v[186:187], v[6:7], v[142:143]
	v_fma_f64 v[190:191], v[4:5], v[142:143], -v[144:145]
	ds_load_b128 v[4:7], v2 offset:1600
	ds_load_b128 v[142:145], v2 offset:1616
	v_add_f64_e32 v[192:193], v[156:157], v[154:155]
	v_add_f64_e32 v[182:183], v[182:183], v[188:189]
	scratch_load_b128 v[154:157], off, off offset:864
	s_wait_loadcnt_dscnt 0xa01
	v_mul_f64_e32 v[188:189], v[4:5], v[152:153]
	v_mul_f64_e32 v[152:153], v[6:7], v[152:153]
	v_fmac_f64_e32 v[184:185], v[160:161], v[134:135]
	v_fma_f64 v[158:159], v[158:159], v[134:135], -v[136:137]
	scratch_load_b128 v[134:137], off, off offset:880
	v_add_f64_e32 v[160:161], v[192:193], v[190:191]
	v_add_f64_e32 v[182:183], v[182:183], v[186:187]
	s_wait_loadcnt_dscnt 0xa00
	v_mul_f64_e32 v[186:187], v[142:143], v[140:141]
	v_mul_f64_e32 v[140:141], v[144:145], v[140:141]
	v_fmac_f64_e32 v[188:189], v[6:7], v[150:151]
	v_fma_f64 v[190:191], v[4:5], v[150:151], -v[152:153]
	ds_load_b128 v[4:7], v2 offset:1632
	ds_load_b128 v[150:153], v2 offset:1648
	v_add_f64_e32 v[158:159], v[160:161], v[158:159]
	v_add_f64_e32 v[160:161], v[182:183], v[184:185]
	v_fmac_f64_e32 v[186:187], v[144:145], v[138:139]
	s_wait_loadcnt_dscnt 0x901
	v_mul_f64_e32 v[182:183], v[4:5], v[164:165]
	v_mul_f64_e32 v[164:165], v[6:7], v[164:165]
	v_fma_f64 v[138:139], v[142:143], v[138:139], -v[140:141]
	s_wait_loadcnt_dscnt 0x800
	v_mul_f64_e32 v[144:145], v[150:151], v[148:149]
	v_mul_f64_e32 v[148:149], v[152:153], v[148:149]
	v_add_f64_e32 v[140:141], v[158:159], v[190:191]
	v_add_f64_e32 v[142:143], v[160:161], v[188:189]
	v_fmac_f64_e32 v[182:183], v[6:7], v[162:163]
	v_fma_f64 v[158:159], v[4:5], v[162:163], -v[164:165]
	v_fmac_f64_e32 v[144:145], v[152:153], v[146:147]
	v_fma_f64 v[146:147], v[150:151], v[146:147], -v[148:149]
	v_add_f64_e32 v[160:161], v[140:141], v[138:139]
	v_add_f64_e32 v[142:143], v[142:143], v[186:187]
	ds_load_b128 v[4:7], v2 offset:1664
	ds_load_b128 v[138:141], v2 offset:1680
	s_wait_loadcnt_dscnt 0x701
	v_mul_f64_e32 v[162:163], v[4:5], v[180:181]
	v_mul_f64_e32 v[164:165], v[6:7], v[180:181]
	s_wait_loadcnt_dscnt 0x600
	v_mul_f64_e32 v[150:151], v[138:139], v[10:11]
	v_mul_f64_e32 v[10:11], v[140:141], v[10:11]
	v_add_f64_e32 v[148:149], v[160:161], v[158:159]
	v_add_f64_e32 v[142:143], v[142:143], v[182:183]
	v_fmac_f64_e32 v[162:163], v[6:7], v[178:179]
	v_fma_f64 v[152:153], v[4:5], v[178:179], -v[164:165]
	v_fmac_f64_e32 v[150:151], v[140:141], v[8:9]
	v_fma_f64 v[8:9], v[138:139], v[8:9], -v[10:11]
	v_add_f64_e32 v[146:147], v[148:149], v[146:147]
	v_add_f64_e32 v[148:149], v[142:143], v[144:145]
	ds_load_b128 v[4:7], v2 offset:1696
	ds_load_b128 v[142:145], v2 offset:1712
	s_wait_loadcnt_dscnt 0x501
	v_mul_f64_e32 v[158:159], v[4:5], v[168:169]
	v_mul_f64_e32 v[160:161], v[6:7], v[168:169]
	;; [unrolled: 16-line block ×4, first 2 shown]
	v_add_f64_e32 v[10:11], v[132:133], v[146:147]
	v_add_f64_e32 v[126:127], v[138:139], v[150:151]
	s_wait_loadcnt_dscnt 0x0
	v_mul_f64_e32 v[132:133], v[128:129], v[136:137]
	v_mul_f64_e32 v[136:137], v[130:131], v[136:137]
	v_fmac_f64_e32 v[2:3], v[6:7], v[154:155]
	v_fma_f64 v[4:5], v[4:5], v[154:155], -v[140:141]
	v_add_f64_e32 v[6:7], v[10:11], v[8:9]
	v_add_f64_e32 v[8:9], v[126:127], v[142:143]
	v_fmac_f64_e32 v[132:133], v[130:131], v[134:135]
	v_fma_f64 v[10:11], v[128:129], v[134:135], -v[136:137]
	s_delay_alu instid0(VALU_DEP_4) | instskip(NEXT) | instid1(VALU_DEP_4)
	v_add_f64_e32 v[4:5], v[6:7], v[4:5]
	v_add_f64_e32 v[2:3], v[8:9], v[2:3]
	s_delay_alu instid0(VALU_DEP_2) | instskip(NEXT) | instid1(VALU_DEP_2)
	v_add_f64_e32 v[4:5], v[4:5], v[10:11]
	v_add_f64_e32 v[6:7], v[2:3], v[132:133]
	s_delay_alu instid0(VALU_DEP_2) | instskip(NEXT) | instid1(VALU_DEP_2)
	v_add_f64_e64 v[2:3], v[170:171], -v[4:5]
	v_add_f64_e64 v[4:5], v[172:173], -v[6:7]
	scratch_store_b128 off, v[2:5], off offset:368
	s_wait_xcnt 0x0
	v_cmpx_lt_u32_e32 22, v1
	s_cbranch_execz .LBB55_305
; %bb.304:
	scratch_load_b128 v[2:5], off, s25
	v_mov_b32_e32 v6, 0
	s_delay_alu instid0(VALU_DEP_1)
	v_dual_mov_b32 v7, v6 :: v_dual_mov_b32 v8, v6
	v_mov_b32_e32 v9, v6
	scratch_store_b128 off, v[6:9], off offset:352
	s_wait_loadcnt 0x0
	ds_store_b128 v12, v[2:5]
.LBB55_305:
	s_wait_xcnt 0x0
	s_or_b32 exec_lo, exec_lo, s2
	s_wait_storecnt_dscnt 0x0
	s_barrier_signal -1
	s_barrier_wait -1
	s_clause 0x9
	scratch_load_b128 v[4:7], off, off offset:368
	scratch_load_b128 v[8:11], off, off offset:384
	;; [unrolled: 1-line block ×10, first 2 shown]
	v_mov_b32_e32 v2, 0
	s_mov_b32 s2, exec_lo
	ds_load_b128 v[158:161], v2 offset:1264
	s_clause 0x2
	scratch_load_b128 v[162:165], off, off offset:528
	scratch_load_b128 v[166:169], off, off offset:352
	;; [unrolled: 1-line block ×3, first 2 shown]
	s_wait_loadcnt_dscnt 0xc00
	v_mul_f64_e32 v[178:179], v[160:161], v[6:7]
	v_mul_f64_e32 v[182:183], v[158:159], v[6:7]
	ds_load_b128 v[170:173], v2 offset:1280
	v_fma_f64 v[186:187], v[158:159], v[4:5], -v[178:179]
	v_fmac_f64_e32 v[182:183], v[160:161], v[4:5]
	ds_load_b128 v[4:7], v2 offset:1296
	s_wait_loadcnt_dscnt 0xb01
	v_mul_f64_e32 v[184:185], v[170:171], v[10:11]
	v_mul_f64_e32 v[10:11], v[172:173], v[10:11]
	scratch_load_b128 v[158:161], off, off offset:560
	ds_load_b128 v[178:181], v2 offset:1312
	s_wait_loadcnt_dscnt 0xb01
	v_mul_f64_e32 v[188:189], v[4:5], v[128:129]
	v_mul_f64_e32 v[128:129], v[6:7], v[128:129]
	v_add_f64_e32 v[182:183], 0, v[182:183]
	v_fmac_f64_e32 v[184:185], v[172:173], v[8:9]
	v_fma_f64 v[170:171], v[170:171], v[8:9], -v[10:11]
	v_add_f64_e32 v[172:173], 0, v[186:187]
	scratch_load_b128 v[8:11], off, off offset:576
	v_fmac_f64_e32 v[188:189], v[6:7], v[126:127]
	v_fma_f64 v[190:191], v[4:5], v[126:127], -v[128:129]
	ds_load_b128 v[4:7], v2 offset:1328
	s_wait_loadcnt_dscnt 0xb01
	v_mul_f64_e32 v[186:187], v[178:179], v[132:133]
	v_mul_f64_e32 v[132:133], v[180:181], v[132:133]
	scratch_load_b128 v[126:129], off, off offset:592
	v_add_f64_e32 v[182:183], v[182:183], v[184:185]
	v_add_f64_e32 v[192:193], v[172:173], v[170:171]
	ds_load_b128 v[170:173], v2 offset:1344
	s_wait_loadcnt_dscnt 0xb01
	v_mul_f64_e32 v[184:185], v[4:5], v[136:137]
	v_mul_f64_e32 v[136:137], v[6:7], v[136:137]
	v_fmac_f64_e32 v[186:187], v[180:181], v[130:131]
	v_fma_f64 v[178:179], v[178:179], v[130:131], -v[132:133]
	scratch_load_b128 v[130:133], off, off offset:608
	v_add_f64_e32 v[182:183], v[182:183], v[188:189]
	v_add_f64_e32 v[180:181], v[192:193], v[190:191]
	v_fmac_f64_e32 v[184:185], v[6:7], v[134:135]
	v_fma_f64 v[190:191], v[4:5], v[134:135], -v[136:137]
	ds_load_b128 v[4:7], v2 offset:1360
	s_wait_loadcnt_dscnt 0xb01
	v_mul_f64_e32 v[188:189], v[170:171], v[140:141]
	v_mul_f64_e32 v[140:141], v[172:173], v[140:141]
	scratch_load_b128 v[134:137], off, off offset:624
	v_add_f64_e32 v[182:183], v[182:183], v[186:187]
	s_wait_loadcnt_dscnt 0xb00
	v_mul_f64_e32 v[186:187], v[4:5], v[144:145]
	v_add_f64_e32 v[192:193], v[180:181], v[178:179]
	v_mul_f64_e32 v[144:145], v[6:7], v[144:145]
	ds_load_b128 v[178:181], v2 offset:1376
	v_fmac_f64_e32 v[188:189], v[172:173], v[138:139]
	v_fma_f64 v[170:171], v[170:171], v[138:139], -v[140:141]
	scratch_load_b128 v[138:141], off, off offset:640
	v_add_f64_e32 v[182:183], v[182:183], v[184:185]
	v_fmac_f64_e32 v[186:187], v[6:7], v[142:143]
	v_add_f64_e32 v[172:173], v[192:193], v[190:191]
	v_fma_f64 v[190:191], v[4:5], v[142:143], -v[144:145]
	ds_load_b128 v[4:7], v2 offset:1392
	s_wait_loadcnt_dscnt 0xb01
	v_mul_f64_e32 v[184:185], v[178:179], v[148:149]
	v_mul_f64_e32 v[148:149], v[180:181], v[148:149]
	scratch_load_b128 v[142:145], off, off offset:656
	v_add_f64_e32 v[182:183], v[182:183], v[188:189]
	s_wait_loadcnt_dscnt 0xb00
	v_mul_f64_e32 v[188:189], v[4:5], v[152:153]
	v_add_f64_e32 v[192:193], v[172:173], v[170:171]
	v_mul_f64_e32 v[152:153], v[6:7], v[152:153]
	ds_load_b128 v[170:173], v2 offset:1408
	v_fmac_f64_e32 v[184:185], v[180:181], v[146:147]
	v_fma_f64 v[178:179], v[178:179], v[146:147], -v[148:149]
	scratch_load_b128 v[146:149], off, off offset:672
	v_add_f64_e32 v[182:183], v[182:183], v[186:187]
	v_fmac_f64_e32 v[188:189], v[6:7], v[150:151]
	v_add_f64_e32 v[180:181], v[192:193], v[190:191]
	;; [unrolled: 18-line block ×3, first 2 shown]
	v_fma_f64 v[190:191], v[4:5], v[162:163], -v[164:165]
	ds_load_b128 v[4:7], v2 offset:1456
	s_wait_loadcnt_dscnt 0xa01
	v_mul_f64_e32 v[188:189], v[178:179], v[176:177]
	v_mul_f64_e32 v[176:177], v[180:181], v[176:177]
	scratch_load_b128 v[162:165], off, off offset:720
	v_add_f64_e32 v[182:183], v[182:183], v[186:187]
	v_add_f64_e32 v[192:193], v[172:173], v[170:171]
	s_wait_loadcnt_dscnt 0xa00
	v_mul_f64_e32 v[186:187], v[4:5], v[160:161]
	v_mul_f64_e32 v[160:161], v[6:7], v[160:161]
	v_fmac_f64_e32 v[188:189], v[180:181], v[174:175]
	v_fma_f64 v[178:179], v[178:179], v[174:175], -v[176:177]
	ds_load_b128 v[170:173], v2 offset:1472
	scratch_load_b128 v[174:177], off, off offset:736
	v_add_f64_e32 v[182:183], v[182:183], v[184:185]
	v_add_f64_e32 v[180:181], v[192:193], v[190:191]
	v_fmac_f64_e32 v[186:187], v[6:7], v[158:159]
	v_fma_f64 v[190:191], v[4:5], v[158:159], -v[160:161]
	ds_load_b128 v[4:7], v2 offset:1488
	s_wait_loadcnt_dscnt 0xa01
	v_mul_f64_e32 v[184:185], v[170:171], v[10:11]
	v_mul_f64_e32 v[10:11], v[172:173], v[10:11]
	scratch_load_b128 v[158:161], off, off offset:752
	v_add_f64_e32 v[182:183], v[182:183], v[188:189]
	s_wait_loadcnt_dscnt 0xa00
	v_mul_f64_e32 v[188:189], v[4:5], v[128:129]
	v_add_f64_e32 v[192:193], v[180:181], v[178:179]
	v_mul_f64_e32 v[128:129], v[6:7], v[128:129]
	ds_load_b128 v[178:181], v2 offset:1504
	v_fmac_f64_e32 v[184:185], v[172:173], v[8:9]
	v_fma_f64 v[170:171], v[170:171], v[8:9], -v[10:11]
	scratch_load_b128 v[8:11], off, off offset:768
	v_add_f64_e32 v[182:183], v[182:183], v[186:187]
	v_fmac_f64_e32 v[188:189], v[6:7], v[126:127]
	v_add_f64_e32 v[172:173], v[192:193], v[190:191]
	v_fma_f64 v[190:191], v[4:5], v[126:127], -v[128:129]
	ds_load_b128 v[4:7], v2 offset:1520
	s_wait_loadcnt_dscnt 0xa01
	v_mul_f64_e32 v[186:187], v[178:179], v[132:133]
	v_mul_f64_e32 v[132:133], v[180:181], v[132:133]
	scratch_load_b128 v[126:129], off, off offset:784
	v_add_f64_e32 v[182:183], v[182:183], v[184:185]
	s_wait_loadcnt_dscnt 0xa00
	v_mul_f64_e32 v[184:185], v[4:5], v[136:137]
	v_add_f64_e32 v[192:193], v[172:173], v[170:171]
	v_mul_f64_e32 v[136:137], v[6:7], v[136:137]
	ds_load_b128 v[170:173], v2 offset:1536
	v_fmac_f64_e32 v[186:187], v[180:181], v[130:131]
	v_fma_f64 v[178:179], v[178:179], v[130:131], -v[132:133]
	scratch_load_b128 v[130:133], off, off offset:800
	v_add_f64_e32 v[182:183], v[182:183], v[188:189]
	v_fmac_f64_e32 v[184:185], v[6:7], v[134:135]
	v_add_f64_e32 v[180:181], v[192:193], v[190:191]
	;; [unrolled: 18-line block ×4, first 2 shown]
	v_fma_f64 v[190:191], v[4:5], v[150:151], -v[152:153]
	ds_load_b128 v[4:7], v2 offset:1616
	s_wait_loadcnt_dscnt 0xa01
	v_mul_f64_e32 v[186:187], v[170:171], v[156:157]
	v_mul_f64_e32 v[156:157], v[172:173], v[156:157]
	scratch_load_b128 v[150:153], off, off offset:880
	v_add_f64_e32 v[182:183], v[182:183], v[184:185]
	s_wait_loadcnt_dscnt 0xa00
	v_mul_f64_e32 v[184:185], v[4:5], v[164:165]
	v_add_f64_e32 v[192:193], v[180:181], v[178:179]
	v_mul_f64_e32 v[164:165], v[6:7], v[164:165]
	ds_load_b128 v[178:181], v2 offset:1632
	v_fmac_f64_e32 v[186:187], v[172:173], v[154:155]
	v_fma_f64 v[154:155], v[170:171], v[154:155], -v[156:157]
	s_wait_loadcnt_dscnt 0x900
	v_mul_f64_e32 v[172:173], v[178:179], v[176:177]
	v_mul_f64_e32 v[176:177], v[180:181], v[176:177]
	v_add_f64_e32 v[170:171], v[182:183], v[188:189]
	v_fmac_f64_e32 v[184:185], v[6:7], v[162:163]
	v_add_f64_e32 v[156:157], v[192:193], v[190:191]
	v_fma_f64 v[162:163], v[4:5], v[162:163], -v[164:165]
	v_fmac_f64_e32 v[172:173], v[180:181], v[174:175]
	v_fma_f64 v[174:175], v[178:179], v[174:175], -v[176:177]
	v_add_f64_e32 v[170:171], v[170:171], v[186:187]
	v_add_f64_e32 v[164:165], v[156:157], v[154:155]
	ds_load_b128 v[4:7], v2 offset:1648
	ds_load_b128 v[154:157], v2 offset:1664
	s_wait_loadcnt_dscnt 0x801
	v_mul_f64_e32 v[182:183], v[4:5], v[160:161]
	v_mul_f64_e32 v[160:161], v[6:7], v[160:161]
	v_add_f64_e32 v[162:163], v[164:165], v[162:163]
	v_add_f64_e32 v[164:165], v[170:171], v[184:185]
	s_wait_loadcnt_dscnt 0x700
	v_mul_f64_e32 v[170:171], v[154:155], v[10:11]
	v_mul_f64_e32 v[10:11], v[156:157], v[10:11]
	v_fmac_f64_e32 v[182:183], v[6:7], v[158:159]
	v_fma_f64 v[176:177], v[4:5], v[158:159], -v[160:161]
	ds_load_b128 v[4:7], v2 offset:1680
	ds_load_b128 v[158:161], v2 offset:1696
	v_add_f64_e32 v[162:163], v[162:163], v[174:175]
	v_add_f64_e32 v[164:165], v[164:165], v[172:173]
	v_fmac_f64_e32 v[170:171], v[156:157], v[8:9]
	v_fma_f64 v[8:9], v[154:155], v[8:9], -v[10:11]
	s_wait_loadcnt_dscnt 0x601
	v_mul_f64_e32 v[172:173], v[4:5], v[128:129]
	v_mul_f64_e32 v[128:129], v[6:7], v[128:129]
	s_wait_loadcnt_dscnt 0x500
	v_mul_f64_e32 v[156:157], v[158:159], v[132:133]
	v_mul_f64_e32 v[132:133], v[160:161], v[132:133]
	v_add_f64_e32 v[10:11], v[162:163], v[176:177]
	v_add_f64_e32 v[154:155], v[164:165], v[182:183]
	v_fmac_f64_e32 v[172:173], v[6:7], v[126:127]
	v_fma_f64 v[126:127], v[4:5], v[126:127], -v[128:129]
	v_fmac_f64_e32 v[156:157], v[160:161], v[130:131]
	v_fma_f64 v[130:131], v[158:159], v[130:131], -v[132:133]
	v_add_f64_e32 v[128:129], v[10:11], v[8:9]
	v_add_f64_e32 v[154:155], v[154:155], v[170:171]
	ds_load_b128 v[4:7], v2 offset:1712
	ds_load_b128 v[8:11], v2 offset:1728
	s_wait_loadcnt_dscnt 0x401
	v_mul_f64_e32 v[162:163], v[4:5], v[136:137]
	v_mul_f64_e32 v[136:137], v[6:7], v[136:137]
	s_wait_loadcnt_dscnt 0x300
	v_mul_f64_e32 v[132:133], v[8:9], v[140:141]
	v_mul_f64_e32 v[140:141], v[10:11], v[140:141]
	v_add_f64_e32 v[126:127], v[128:129], v[126:127]
	v_add_f64_e32 v[128:129], v[154:155], v[172:173]
	v_fmac_f64_e32 v[162:163], v[6:7], v[134:135]
	v_fma_f64 v[134:135], v[4:5], v[134:135], -v[136:137]
	v_fmac_f64_e32 v[132:133], v[10:11], v[138:139]
	v_fma_f64 v[8:9], v[8:9], v[138:139], -v[140:141]
	v_add_f64_e32 v[130:131], v[126:127], v[130:131]
	v_add_f64_e32 v[136:137], v[128:129], v[156:157]
	ds_load_b128 v[4:7], v2 offset:1744
	ds_load_b128 v[126:129], v2 offset:1760
	s_wait_loadcnt_dscnt 0x201
	v_mul_f64_e32 v[154:155], v[4:5], v[144:145]
	v_mul_f64_e32 v[144:145], v[6:7], v[144:145]
	v_add_f64_e32 v[10:11], v[130:131], v[134:135]
	v_add_f64_e32 v[130:131], v[136:137], v[162:163]
	s_wait_loadcnt_dscnt 0x100
	v_mul_f64_e32 v[134:135], v[126:127], v[148:149]
	v_mul_f64_e32 v[136:137], v[128:129], v[148:149]
	v_fmac_f64_e32 v[154:155], v[6:7], v[142:143]
	v_fma_f64 v[138:139], v[4:5], v[142:143], -v[144:145]
	ds_load_b128 v[4:7], v2 offset:1776
	v_add_f64_e32 v[8:9], v[10:11], v[8:9]
	v_add_f64_e32 v[10:11], v[130:131], v[132:133]
	v_fmac_f64_e32 v[134:135], v[128:129], v[146:147]
	v_fma_f64 v[126:127], v[126:127], v[146:147], -v[136:137]
	s_wait_loadcnt_dscnt 0x0
	v_mul_f64_e32 v[130:131], v[4:5], v[152:153]
	v_mul_f64_e32 v[132:133], v[6:7], v[152:153]
	v_add_f64_e32 v[8:9], v[8:9], v[138:139]
	v_add_f64_e32 v[10:11], v[10:11], v[154:155]
	s_delay_alu instid0(VALU_DEP_4) | instskip(NEXT) | instid1(VALU_DEP_4)
	v_fmac_f64_e32 v[130:131], v[6:7], v[150:151]
	v_fma_f64 v[4:5], v[4:5], v[150:151], -v[132:133]
	s_delay_alu instid0(VALU_DEP_4) | instskip(NEXT) | instid1(VALU_DEP_4)
	v_add_f64_e32 v[6:7], v[8:9], v[126:127]
	v_add_f64_e32 v[8:9], v[10:11], v[134:135]
	s_delay_alu instid0(VALU_DEP_2) | instskip(NEXT) | instid1(VALU_DEP_2)
	v_add_f64_e32 v[4:5], v[6:7], v[4:5]
	v_add_f64_e32 v[6:7], v[8:9], v[130:131]
	s_delay_alu instid0(VALU_DEP_2) | instskip(NEXT) | instid1(VALU_DEP_2)
	v_add_f64_e64 v[4:5], v[166:167], -v[4:5]
	v_add_f64_e64 v[6:7], v[168:169], -v[6:7]
	scratch_store_b128 off, v[4:7], off offset:352
	s_wait_xcnt 0x0
	v_cmpx_lt_u32_e32 21, v1
	s_cbranch_execz .LBB55_307
; %bb.306:
	scratch_load_b128 v[6:9], off, s23
	v_dual_mov_b32 v3, v2 :: v_dual_mov_b32 v4, v2
	v_mov_b32_e32 v5, v2
	scratch_store_b128 off, v[2:5], off offset:336
	s_wait_loadcnt 0x0
	ds_store_b128 v12, v[6:9]
.LBB55_307:
	s_wait_xcnt 0x0
	s_or_b32 exec_lo, exec_lo, s2
	s_wait_storecnt_dscnt 0x0
	s_barrier_signal -1
	s_barrier_wait -1
	s_clause 0x9
	scratch_load_b128 v[4:7], off, off offset:352
	scratch_load_b128 v[8:11], off, off offset:368
	;; [unrolled: 1-line block ×10, first 2 shown]
	ds_load_b128 v[158:161], v2 offset:1248
	ds_load_b128 v[166:169], v2 offset:1264
	s_clause 0x2
	scratch_load_b128 v[162:165], off, off offset:512
	scratch_load_b128 v[170:173], off, off offset:336
	;; [unrolled: 1-line block ×3, first 2 shown]
	s_mov_b32 s2, exec_lo
	s_wait_loadcnt_dscnt 0xc01
	v_mul_f64_e32 v[178:179], v[160:161], v[6:7]
	v_mul_f64_e32 v[182:183], v[158:159], v[6:7]
	s_wait_loadcnt_dscnt 0xb00
	v_mul_f64_e32 v[184:185], v[166:167], v[10:11]
	v_mul_f64_e32 v[10:11], v[168:169], v[10:11]
	s_delay_alu instid0(VALU_DEP_4) | instskip(NEXT) | instid1(VALU_DEP_4)
	v_fma_f64 v[186:187], v[158:159], v[4:5], -v[178:179]
	v_fmac_f64_e32 v[182:183], v[160:161], v[4:5]
	ds_load_b128 v[4:7], v2 offset:1280
	ds_load_b128 v[158:161], v2 offset:1296
	scratch_load_b128 v[178:181], off, off offset:544
	v_fmac_f64_e32 v[184:185], v[168:169], v[8:9]
	v_fma_f64 v[166:167], v[166:167], v[8:9], -v[10:11]
	scratch_load_b128 v[8:11], off, off offset:560
	s_wait_loadcnt_dscnt 0xc01
	v_mul_f64_e32 v[188:189], v[4:5], v[128:129]
	v_mul_f64_e32 v[128:129], v[6:7], v[128:129]
	v_add_f64_e32 v[168:169], 0, v[186:187]
	v_add_f64_e32 v[182:183], 0, v[182:183]
	s_wait_loadcnt_dscnt 0xb00
	v_mul_f64_e32 v[186:187], v[158:159], v[132:133]
	v_mul_f64_e32 v[132:133], v[160:161], v[132:133]
	v_fmac_f64_e32 v[188:189], v[6:7], v[126:127]
	v_fma_f64 v[190:191], v[4:5], v[126:127], -v[128:129]
	ds_load_b128 v[4:7], v2 offset:1312
	ds_load_b128 v[126:129], v2 offset:1328
	v_add_f64_e32 v[192:193], v[168:169], v[166:167]
	v_add_f64_e32 v[182:183], v[182:183], v[184:185]
	scratch_load_b128 v[166:169], off, off offset:576
	v_fmac_f64_e32 v[186:187], v[160:161], v[130:131]
	v_fma_f64 v[158:159], v[158:159], v[130:131], -v[132:133]
	scratch_load_b128 v[130:133], off, off offset:592
	s_wait_loadcnt_dscnt 0xc01
	v_mul_f64_e32 v[184:185], v[4:5], v[136:137]
	v_mul_f64_e32 v[136:137], v[6:7], v[136:137]
	v_add_f64_e32 v[160:161], v[192:193], v[190:191]
	v_add_f64_e32 v[182:183], v[182:183], v[188:189]
	s_wait_loadcnt_dscnt 0xb00
	v_mul_f64_e32 v[188:189], v[126:127], v[140:141]
	v_mul_f64_e32 v[140:141], v[128:129], v[140:141]
	v_fmac_f64_e32 v[184:185], v[6:7], v[134:135]
	v_fma_f64 v[190:191], v[4:5], v[134:135], -v[136:137]
	ds_load_b128 v[4:7], v2 offset:1344
	ds_load_b128 v[134:137], v2 offset:1360
	v_add_f64_e32 v[192:193], v[160:161], v[158:159]
	v_add_f64_e32 v[182:183], v[182:183], v[186:187]
	scratch_load_b128 v[158:161], off, off offset:608
	s_wait_loadcnt_dscnt 0xb01
	v_mul_f64_e32 v[186:187], v[4:5], v[144:145]
	v_mul_f64_e32 v[144:145], v[6:7], v[144:145]
	v_fmac_f64_e32 v[188:189], v[128:129], v[138:139]
	v_fma_f64 v[138:139], v[126:127], v[138:139], -v[140:141]
	scratch_load_b128 v[126:129], off, off offset:624
	v_add_f64_e32 v[140:141], v[192:193], v[190:191]
	v_add_f64_e32 v[182:183], v[182:183], v[184:185]
	s_wait_loadcnt_dscnt 0xb00
	v_mul_f64_e32 v[184:185], v[134:135], v[148:149]
	v_mul_f64_e32 v[148:149], v[136:137], v[148:149]
	v_fmac_f64_e32 v[186:187], v[6:7], v[142:143]
	v_fma_f64 v[190:191], v[4:5], v[142:143], -v[144:145]
	v_add_f64_e32 v[192:193], v[140:141], v[138:139]
	v_add_f64_e32 v[182:183], v[182:183], v[188:189]
	ds_load_b128 v[4:7], v2 offset:1376
	ds_load_b128 v[138:141], v2 offset:1392
	scratch_load_b128 v[142:145], off, off offset:640
	v_fmac_f64_e32 v[184:185], v[136:137], v[146:147]
	v_fma_f64 v[146:147], v[134:135], v[146:147], -v[148:149]
	scratch_load_b128 v[134:137], off, off offset:656
	s_wait_loadcnt_dscnt 0xc01
	v_mul_f64_e32 v[188:189], v[4:5], v[152:153]
	v_mul_f64_e32 v[152:153], v[6:7], v[152:153]
	v_add_f64_e32 v[148:149], v[192:193], v[190:191]
	v_add_f64_e32 v[182:183], v[182:183], v[186:187]
	s_wait_loadcnt_dscnt 0xb00
	v_mul_f64_e32 v[186:187], v[138:139], v[156:157]
	v_mul_f64_e32 v[156:157], v[140:141], v[156:157]
	v_fmac_f64_e32 v[188:189], v[6:7], v[150:151]
	v_fma_f64 v[190:191], v[4:5], v[150:151], -v[152:153]
	v_add_f64_e32 v[192:193], v[148:149], v[146:147]
	v_add_f64_e32 v[182:183], v[182:183], v[184:185]
	ds_load_b128 v[4:7], v2 offset:1408
	ds_load_b128 v[146:149], v2 offset:1424
	scratch_load_b128 v[150:153], off, off offset:672
	v_fmac_f64_e32 v[186:187], v[140:141], v[154:155]
	v_fma_f64 v[154:155], v[138:139], v[154:155], -v[156:157]
	scratch_load_b128 v[138:141], off, off offset:688
	s_wait_loadcnt_dscnt 0xc01
	v_mul_f64_e32 v[184:185], v[4:5], v[164:165]
	v_mul_f64_e32 v[164:165], v[6:7], v[164:165]
	;; [unrolled: 18-line block ×5, first 2 shown]
	v_add_f64_e32 v[176:177], v[192:193], v[190:191]
	v_add_f64_e32 v[182:183], v[182:183], v[188:189]
	s_wait_loadcnt_dscnt 0xa00
	v_mul_f64_e32 v[188:189], v[154:155], v[128:129]
	v_mul_f64_e32 v[128:129], v[156:157], v[128:129]
	v_fmac_f64_e32 v[184:185], v[6:7], v[158:159]
	v_fma_f64 v[190:191], v[4:5], v[158:159], -v[160:161]
	ds_load_b128 v[4:7], v2 offset:1536
	ds_load_b128 v[158:161], v2 offset:1552
	v_add_f64_e32 v[192:193], v[176:177], v[174:175]
	v_add_f64_e32 v[182:183], v[182:183], v[186:187]
	scratch_load_b128 v[174:177], off, off offset:800
	v_fmac_f64_e32 v[188:189], v[156:157], v[126:127]
	v_fma_f64 v[154:155], v[154:155], v[126:127], -v[128:129]
	scratch_load_b128 v[126:129], off, off offset:816
	s_wait_loadcnt_dscnt 0xb01
	v_mul_f64_e32 v[186:187], v[4:5], v[144:145]
	v_mul_f64_e32 v[144:145], v[6:7], v[144:145]
	v_add_f64_e32 v[156:157], v[192:193], v[190:191]
	v_add_f64_e32 v[182:183], v[182:183], v[184:185]
	s_wait_loadcnt_dscnt 0xa00
	v_mul_f64_e32 v[184:185], v[158:159], v[136:137]
	v_mul_f64_e32 v[136:137], v[160:161], v[136:137]
	v_fmac_f64_e32 v[186:187], v[6:7], v[142:143]
	v_fma_f64 v[190:191], v[4:5], v[142:143], -v[144:145]
	ds_load_b128 v[4:7], v2 offset:1568
	ds_load_b128 v[142:145], v2 offset:1584
	v_add_f64_e32 v[192:193], v[156:157], v[154:155]
	v_add_f64_e32 v[182:183], v[182:183], v[188:189]
	scratch_load_b128 v[154:157], off, off offset:832
	s_wait_loadcnt_dscnt 0xa01
	v_mul_f64_e32 v[188:189], v[4:5], v[152:153]
	v_mul_f64_e32 v[152:153], v[6:7], v[152:153]
	v_fmac_f64_e32 v[184:185], v[160:161], v[134:135]
	v_fma_f64 v[158:159], v[158:159], v[134:135], -v[136:137]
	scratch_load_b128 v[134:137], off, off offset:848
	v_add_f64_e32 v[160:161], v[192:193], v[190:191]
	v_add_f64_e32 v[182:183], v[182:183], v[186:187]
	s_wait_loadcnt_dscnt 0xa00
	v_mul_f64_e32 v[186:187], v[142:143], v[140:141]
	v_mul_f64_e32 v[140:141], v[144:145], v[140:141]
	v_fmac_f64_e32 v[188:189], v[6:7], v[150:151]
	v_fma_f64 v[190:191], v[4:5], v[150:151], -v[152:153]
	ds_load_b128 v[4:7], v2 offset:1600
	ds_load_b128 v[150:153], v2 offset:1616
	v_add_f64_e32 v[192:193], v[160:161], v[158:159]
	v_add_f64_e32 v[182:183], v[182:183], v[184:185]
	scratch_load_b128 v[158:161], off, off offset:864
	s_wait_loadcnt_dscnt 0xa01
	v_mul_f64_e32 v[184:185], v[4:5], v[164:165]
	v_mul_f64_e32 v[164:165], v[6:7], v[164:165]
	v_fmac_f64_e32 v[186:187], v[144:145], v[138:139]
	v_fma_f64 v[142:143], v[142:143], v[138:139], -v[140:141]
	scratch_load_b128 v[138:141], off, off offset:880
	v_add_f64_e32 v[144:145], v[192:193], v[190:191]
	v_add_f64_e32 v[182:183], v[182:183], v[188:189]
	s_wait_loadcnt_dscnt 0xa00
	v_mul_f64_e32 v[188:189], v[150:151], v[148:149]
	v_mul_f64_e32 v[148:149], v[152:153], v[148:149]
	v_fmac_f64_e32 v[184:185], v[6:7], v[162:163]
	v_fma_f64 v[162:163], v[4:5], v[162:163], -v[164:165]
	v_add_f64_e32 v[164:165], v[144:145], v[142:143]
	v_add_f64_e32 v[182:183], v[182:183], v[186:187]
	ds_load_b128 v[4:7], v2 offset:1632
	ds_load_b128 v[142:145], v2 offset:1648
	v_fmac_f64_e32 v[188:189], v[152:153], v[146:147]
	v_fma_f64 v[146:147], v[150:151], v[146:147], -v[148:149]
	s_wait_loadcnt_dscnt 0x901
	v_mul_f64_e32 v[186:187], v[4:5], v[180:181]
	v_mul_f64_e32 v[180:181], v[6:7], v[180:181]
	s_wait_loadcnt_dscnt 0x800
	v_mul_f64_e32 v[152:153], v[142:143], v[10:11]
	v_mul_f64_e32 v[10:11], v[144:145], v[10:11]
	v_add_f64_e32 v[148:149], v[164:165], v[162:163]
	v_add_f64_e32 v[150:151], v[182:183], v[184:185]
	v_fmac_f64_e32 v[186:187], v[6:7], v[178:179]
	v_fma_f64 v[162:163], v[4:5], v[178:179], -v[180:181]
	v_fmac_f64_e32 v[152:153], v[144:145], v[8:9]
	v_fma_f64 v[8:9], v[142:143], v[8:9], -v[10:11]
	v_add_f64_e32 v[164:165], v[148:149], v[146:147]
	v_add_f64_e32 v[150:151], v[150:151], v[188:189]
	ds_load_b128 v[4:7], v2 offset:1664
	ds_load_b128 v[146:149], v2 offset:1680
	s_wait_loadcnt_dscnt 0x701
	v_mul_f64_e32 v[178:179], v[4:5], v[168:169]
	v_mul_f64_e32 v[168:169], v[6:7], v[168:169]
	s_wait_loadcnt_dscnt 0x600
	v_mul_f64_e32 v[144:145], v[146:147], v[132:133]
	v_mul_f64_e32 v[132:133], v[148:149], v[132:133]
	v_add_f64_e32 v[10:11], v[164:165], v[162:163]
	v_add_f64_e32 v[142:143], v[150:151], v[186:187]
	v_fmac_f64_e32 v[178:179], v[6:7], v[166:167]
	v_fma_f64 v[150:151], v[4:5], v[166:167], -v[168:169]
	v_fmac_f64_e32 v[144:145], v[148:149], v[130:131]
	v_fma_f64 v[130:131], v[146:147], v[130:131], -v[132:133]
	v_add_f64_e32 v[162:163], v[10:11], v[8:9]
	v_add_f64_e32 v[142:143], v[142:143], v[152:153]
	ds_load_b128 v[4:7], v2 offset:1696
	ds_load_b128 v[8:11], v2 offset:1712
	;; [unrolled: 16-line block ×3, first 2 shown]
	s_wait_loadcnt_dscnt 0x301
	v_mul_f64_e32 v[144:145], v[4:5], v[156:157]
	v_mul_f64_e32 v[156:157], v[6:7], v[156:157]
	v_add_f64_e32 v[10:11], v[132:133], v[150:151]
	v_add_f64_e32 v[126:127], v[142:143], v[152:153]
	s_wait_loadcnt_dscnt 0x200
	v_mul_f64_e32 v[132:133], v[128:129], v[136:137]
	v_mul_f64_e32 v[136:137], v[130:131], v[136:137]
	v_fmac_f64_e32 v[144:145], v[6:7], v[154:155]
	v_fma_f64 v[142:143], v[4:5], v[154:155], -v[156:157]
	v_add_f64_e32 v[148:149], v[10:11], v[8:9]
	v_add_f64_e32 v[126:127], v[126:127], v[146:147]
	ds_load_b128 v[4:7], v2 offset:1760
	ds_load_b128 v[8:11], v2 offset:1776
	v_fmac_f64_e32 v[132:133], v[130:131], v[134:135]
	v_fma_f64 v[128:129], v[128:129], v[134:135], -v[136:137]
	s_wait_loadcnt_dscnt 0x101
	v_mul_f64_e32 v[2:3], v[4:5], v[160:161]
	v_mul_f64_e32 v[146:147], v[6:7], v[160:161]
	s_wait_loadcnt_dscnt 0x0
	v_mul_f64_e32 v[134:135], v[8:9], v[140:141]
	v_mul_f64_e32 v[136:137], v[10:11], v[140:141]
	v_add_f64_e32 v[130:131], v[148:149], v[142:143]
	v_add_f64_e32 v[126:127], v[126:127], v[144:145]
	v_fmac_f64_e32 v[2:3], v[6:7], v[158:159]
	v_fma_f64 v[4:5], v[4:5], v[158:159], -v[146:147]
	v_fmac_f64_e32 v[134:135], v[10:11], v[138:139]
	v_fma_f64 v[8:9], v[8:9], v[138:139], -v[136:137]
	v_add_f64_e32 v[6:7], v[130:131], v[128:129]
	v_add_f64_e32 v[126:127], v[126:127], v[132:133]
	s_delay_alu instid0(VALU_DEP_2) | instskip(NEXT) | instid1(VALU_DEP_2)
	v_add_f64_e32 v[4:5], v[6:7], v[4:5]
	v_add_f64_e32 v[2:3], v[126:127], v[2:3]
	s_delay_alu instid0(VALU_DEP_2) | instskip(NEXT) | instid1(VALU_DEP_2)
	;; [unrolled: 3-line block ×3, first 2 shown]
	v_add_f64_e64 v[2:3], v[170:171], -v[4:5]
	v_add_f64_e64 v[4:5], v[172:173], -v[6:7]
	scratch_store_b128 off, v[2:5], off offset:336
	s_wait_xcnt 0x0
	v_cmpx_lt_u32_e32 20, v1
	s_cbranch_execz .LBB55_309
; %bb.308:
	scratch_load_b128 v[2:5], off, s39
	v_mov_b32_e32 v6, 0
	s_delay_alu instid0(VALU_DEP_1)
	v_dual_mov_b32 v7, v6 :: v_dual_mov_b32 v8, v6
	v_mov_b32_e32 v9, v6
	scratch_store_b128 off, v[6:9], off offset:320
	s_wait_loadcnt 0x0
	ds_store_b128 v12, v[2:5]
.LBB55_309:
	s_wait_xcnt 0x0
	s_or_b32 exec_lo, exec_lo, s2
	s_wait_storecnt_dscnt 0x0
	s_barrier_signal -1
	s_barrier_wait -1
	s_clause 0x9
	scratch_load_b128 v[4:7], off, off offset:336
	scratch_load_b128 v[8:11], off, off offset:352
	;; [unrolled: 1-line block ×10, first 2 shown]
	v_mov_b32_e32 v2, 0
	s_mov_b32 s2, exec_lo
	ds_load_b128 v[158:161], v2 offset:1232
	s_clause 0x2
	scratch_load_b128 v[162:165], off, off offset:496
	scratch_load_b128 v[166:169], off, off offset:320
	;; [unrolled: 1-line block ×3, first 2 shown]
	s_wait_loadcnt_dscnt 0xc00
	v_mul_f64_e32 v[178:179], v[160:161], v[6:7]
	v_mul_f64_e32 v[182:183], v[158:159], v[6:7]
	ds_load_b128 v[170:173], v2 offset:1248
	v_fma_f64 v[186:187], v[158:159], v[4:5], -v[178:179]
	v_fmac_f64_e32 v[182:183], v[160:161], v[4:5]
	ds_load_b128 v[4:7], v2 offset:1264
	s_wait_loadcnt_dscnt 0xb01
	v_mul_f64_e32 v[184:185], v[170:171], v[10:11]
	v_mul_f64_e32 v[10:11], v[172:173], v[10:11]
	scratch_load_b128 v[158:161], off, off offset:528
	ds_load_b128 v[178:181], v2 offset:1280
	s_wait_loadcnt_dscnt 0xb01
	v_mul_f64_e32 v[188:189], v[4:5], v[128:129]
	v_mul_f64_e32 v[128:129], v[6:7], v[128:129]
	v_add_f64_e32 v[182:183], 0, v[182:183]
	v_fmac_f64_e32 v[184:185], v[172:173], v[8:9]
	v_fma_f64 v[170:171], v[170:171], v[8:9], -v[10:11]
	v_add_f64_e32 v[172:173], 0, v[186:187]
	scratch_load_b128 v[8:11], off, off offset:544
	v_fmac_f64_e32 v[188:189], v[6:7], v[126:127]
	v_fma_f64 v[190:191], v[4:5], v[126:127], -v[128:129]
	ds_load_b128 v[4:7], v2 offset:1296
	s_wait_loadcnt_dscnt 0xb01
	v_mul_f64_e32 v[186:187], v[178:179], v[132:133]
	v_mul_f64_e32 v[132:133], v[180:181], v[132:133]
	scratch_load_b128 v[126:129], off, off offset:560
	v_add_f64_e32 v[182:183], v[182:183], v[184:185]
	v_add_f64_e32 v[192:193], v[172:173], v[170:171]
	ds_load_b128 v[170:173], v2 offset:1312
	s_wait_loadcnt_dscnt 0xb01
	v_mul_f64_e32 v[184:185], v[4:5], v[136:137]
	v_mul_f64_e32 v[136:137], v[6:7], v[136:137]
	v_fmac_f64_e32 v[186:187], v[180:181], v[130:131]
	v_fma_f64 v[178:179], v[178:179], v[130:131], -v[132:133]
	scratch_load_b128 v[130:133], off, off offset:576
	v_add_f64_e32 v[182:183], v[182:183], v[188:189]
	v_add_f64_e32 v[180:181], v[192:193], v[190:191]
	v_fmac_f64_e32 v[184:185], v[6:7], v[134:135]
	v_fma_f64 v[190:191], v[4:5], v[134:135], -v[136:137]
	ds_load_b128 v[4:7], v2 offset:1328
	s_wait_loadcnt_dscnt 0xb01
	v_mul_f64_e32 v[188:189], v[170:171], v[140:141]
	v_mul_f64_e32 v[140:141], v[172:173], v[140:141]
	scratch_load_b128 v[134:137], off, off offset:592
	v_add_f64_e32 v[182:183], v[182:183], v[186:187]
	s_wait_loadcnt_dscnt 0xb00
	v_mul_f64_e32 v[186:187], v[4:5], v[144:145]
	v_add_f64_e32 v[192:193], v[180:181], v[178:179]
	v_mul_f64_e32 v[144:145], v[6:7], v[144:145]
	ds_load_b128 v[178:181], v2 offset:1344
	v_fmac_f64_e32 v[188:189], v[172:173], v[138:139]
	v_fma_f64 v[170:171], v[170:171], v[138:139], -v[140:141]
	scratch_load_b128 v[138:141], off, off offset:608
	v_add_f64_e32 v[182:183], v[182:183], v[184:185]
	v_fmac_f64_e32 v[186:187], v[6:7], v[142:143]
	v_add_f64_e32 v[172:173], v[192:193], v[190:191]
	v_fma_f64 v[190:191], v[4:5], v[142:143], -v[144:145]
	ds_load_b128 v[4:7], v2 offset:1360
	s_wait_loadcnt_dscnt 0xb01
	v_mul_f64_e32 v[184:185], v[178:179], v[148:149]
	v_mul_f64_e32 v[148:149], v[180:181], v[148:149]
	scratch_load_b128 v[142:145], off, off offset:624
	v_add_f64_e32 v[182:183], v[182:183], v[188:189]
	s_wait_loadcnt_dscnt 0xb00
	v_mul_f64_e32 v[188:189], v[4:5], v[152:153]
	v_add_f64_e32 v[192:193], v[172:173], v[170:171]
	v_mul_f64_e32 v[152:153], v[6:7], v[152:153]
	ds_load_b128 v[170:173], v2 offset:1376
	v_fmac_f64_e32 v[184:185], v[180:181], v[146:147]
	v_fma_f64 v[178:179], v[178:179], v[146:147], -v[148:149]
	scratch_load_b128 v[146:149], off, off offset:640
	v_add_f64_e32 v[182:183], v[182:183], v[186:187]
	v_fmac_f64_e32 v[188:189], v[6:7], v[150:151]
	v_add_f64_e32 v[180:181], v[192:193], v[190:191]
	;; [unrolled: 18-line block ×3, first 2 shown]
	v_fma_f64 v[190:191], v[4:5], v[162:163], -v[164:165]
	ds_load_b128 v[4:7], v2 offset:1424
	s_wait_loadcnt_dscnt 0xa01
	v_mul_f64_e32 v[188:189], v[178:179], v[176:177]
	v_mul_f64_e32 v[176:177], v[180:181], v[176:177]
	scratch_load_b128 v[162:165], off, off offset:688
	v_add_f64_e32 v[182:183], v[182:183], v[186:187]
	v_add_f64_e32 v[192:193], v[172:173], v[170:171]
	s_wait_loadcnt_dscnt 0xa00
	v_mul_f64_e32 v[186:187], v[4:5], v[160:161]
	v_mul_f64_e32 v[160:161], v[6:7], v[160:161]
	v_fmac_f64_e32 v[188:189], v[180:181], v[174:175]
	v_fma_f64 v[178:179], v[178:179], v[174:175], -v[176:177]
	ds_load_b128 v[170:173], v2 offset:1440
	scratch_load_b128 v[174:177], off, off offset:704
	v_add_f64_e32 v[182:183], v[182:183], v[184:185]
	v_add_f64_e32 v[180:181], v[192:193], v[190:191]
	v_fmac_f64_e32 v[186:187], v[6:7], v[158:159]
	v_fma_f64 v[190:191], v[4:5], v[158:159], -v[160:161]
	ds_load_b128 v[4:7], v2 offset:1456
	s_wait_loadcnt_dscnt 0xa01
	v_mul_f64_e32 v[184:185], v[170:171], v[10:11]
	v_mul_f64_e32 v[10:11], v[172:173], v[10:11]
	scratch_load_b128 v[158:161], off, off offset:720
	v_add_f64_e32 v[182:183], v[182:183], v[188:189]
	s_wait_loadcnt_dscnt 0xa00
	v_mul_f64_e32 v[188:189], v[4:5], v[128:129]
	v_add_f64_e32 v[192:193], v[180:181], v[178:179]
	v_mul_f64_e32 v[128:129], v[6:7], v[128:129]
	ds_load_b128 v[178:181], v2 offset:1472
	v_fmac_f64_e32 v[184:185], v[172:173], v[8:9]
	v_fma_f64 v[170:171], v[170:171], v[8:9], -v[10:11]
	scratch_load_b128 v[8:11], off, off offset:736
	v_add_f64_e32 v[182:183], v[182:183], v[186:187]
	v_fmac_f64_e32 v[188:189], v[6:7], v[126:127]
	v_add_f64_e32 v[172:173], v[192:193], v[190:191]
	v_fma_f64 v[190:191], v[4:5], v[126:127], -v[128:129]
	ds_load_b128 v[4:7], v2 offset:1488
	s_wait_loadcnt_dscnt 0xa01
	v_mul_f64_e32 v[186:187], v[178:179], v[132:133]
	v_mul_f64_e32 v[132:133], v[180:181], v[132:133]
	scratch_load_b128 v[126:129], off, off offset:752
	v_add_f64_e32 v[182:183], v[182:183], v[184:185]
	s_wait_loadcnt_dscnt 0xa00
	v_mul_f64_e32 v[184:185], v[4:5], v[136:137]
	v_add_f64_e32 v[192:193], v[172:173], v[170:171]
	v_mul_f64_e32 v[136:137], v[6:7], v[136:137]
	ds_load_b128 v[170:173], v2 offset:1504
	v_fmac_f64_e32 v[186:187], v[180:181], v[130:131]
	v_fma_f64 v[178:179], v[178:179], v[130:131], -v[132:133]
	scratch_load_b128 v[130:133], off, off offset:768
	v_add_f64_e32 v[182:183], v[182:183], v[188:189]
	v_fmac_f64_e32 v[184:185], v[6:7], v[134:135]
	v_add_f64_e32 v[180:181], v[192:193], v[190:191]
	;; [unrolled: 18-line block ×5, first 2 shown]
	v_fma_f64 v[190:191], v[4:5], v[162:163], -v[164:165]
	ds_load_b128 v[4:7], v2 offset:1616
	s_wait_loadcnt_dscnt 0xa01
	v_mul_f64_e32 v[188:189], v[178:179], v[176:177]
	v_mul_f64_e32 v[176:177], v[180:181], v[176:177]
	scratch_load_b128 v[162:165], off, off offset:880
	v_add_f64_e32 v[182:183], v[182:183], v[186:187]
	s_wait_loadcnt_dscnt 0xa00
	v_mul_f64_e32 v[186:187], v[4:5], v[160:161]
	v_add_f64_e32 v[192:193], v[172:173], v[170:171]
	v_mul_f64_e32 v[160:161], v[6:7], v[160:161]
	ds_load_b128 v[170:173], v2 offset:1632
	v_fmac_f64_e32 v[188:189], v[180:181], v[174:175]
	v_fma_f64 v[174:175], v[178:179], v[174:175], -v[176:177]
	s_wait_loadcnt_dscnt 0x900
	v_mul_f64_e32 v[180:181], v[170:171], v[10:11]
	v_mul_f64_e32 v[10:11], v[172:173], v[10:11]
	v_add_f64_e32 v[178:179], v[182:183], v[184:185]
	v_fmac_f64_e32 v[186:187], v[6:7], v[158:159]
	v_add_f64_e32 v[176:177], v[192:193], v[190:191]
	v_fma_f64 v[182:183], v[4:5], v[158:159], -v[160:161]
	ds_load_b128 v[4:7], v2 offset:1648
	ds_load_b128 v[158:161], v2 offset:1664
	v_fmac_f64_e32 v[180:181], v[172:173], v[8:9]
	v_fma_f64 v[8:9], v[170:171], v[8:9], -v[10:11]
	v_add_f64_e32 v[174:175], v[176:177], v[174:175]
	v_add_f64_e32 v[176:177], v[178:179], v[188:189]
	s_wait_loadcnt_dscnt 0x801
	v_mul_f64_e32 v[178:179], v[4:5], v[128:129]
	v_mul_f64_e32 v[128:129], v[6:7], v[128:129]
	s_wait_loadcnt_dscnt 0x700
	v_mul_f64_e32 v[172:173], v[158:159], v[132:133]
	v_mul_f64_e32 v[132:133], v[160:161], v[132:133]
	v_add_f64_e32 v[10:11], v[174:175], v[182:183]
	v_add_f64_e32 v[170:171], v[176:177], v[186:187]
	v_fmac_f64_e32 v[178:179], v[6:7], v[126:127]
	v_fma_f64 v[126:127], v[4:5], v[126:127], -v[128:129]
	v_fmac_f64_e32 v[172:173], v[160:161], v[130:131]
	v_fma_f64 v[130:131], v[158:159], v[130:131], -v[132:133]
	v_add_f64_e32 v[128:129], v[10:11], v[8:9]
	v_add_f64_e32 v[170:171], v[170:171], v[180:181]
	ds_load_b128 v[4:7], v2 offset:1680
	ds_load_b128 v[8:11], v2 offset:1696
	s_wait_loadcnt_dscnt 0x601
	v_mul_f64_e32 v[174:175], v[4:5], v[136:137]
	v_mul_f64_e32 v[136:137], v[6:7], v[136:137]
	s_wait_loadcnt_dscnt 0x500
	v_mul_f64_e32 v[132:133], v[8:9], v[140:141]
	v_mul_f64_e32 v[140:141], v[10:11], v[140:141]
	v_add_f64_e32 v[126:127], v[128:129], v[126:127]
	v_add_f64_e32 v[128:129], v[170:171], v[178:179]
	v_fmac_f64_e32 v[174:175], v[6:7], v[134:135]
	v_fma_f64 v[134:135], v[4:5], v[134:135], -v[136:137]
	v_fmac_f64_e32 v[132:133], v[10:11], v[138:139]
	v_fma_f64 v[8:9], v[8:9], v[138:139], -v[140:141]
	v_add_f64_e32 v[130:131], v[126:127], v[130:131]
	v_add_f64_e32 v[136:137], v[128:129], v[172:173]
	ds_load_b128 v[4:7], v2 offset:1712
	ds_load_b128 v[126:129], v2 offset:1728
	s_wait_loadcnt_dscnt 0x401
	v_mul_f64_e32 v[158:159], v[4:5], v[144:145]
	v_mul_f64_e32 v[144:145], v[6:7], v[144:145]
	v_add_f64_e32 v[10:11], v[130:131], v[134:135]
	v_add_f64_e32 v[130:131], v[136:137], v[174:175]
	s_wait_loadcnt_dscnt 0x300
	v_mul_f64_e32 v[134:135], v[126:127], v[148:149]
	v_mul_f64_e32 v[136:137], v[128:129], v[148:149]
	v_fmac_f64_e32 v[158:159], v[6:7], v[142:143]
	v_fma_f64 v[138:139], v[4:5], v[142:143], -v[144:145]
	v_add_f64_e32 v[140:141], v[10:11], v[8:9]
	v_add_f64_e32 v[130:131], v[130:131], v[132:133]
	ds_load_b128 v[4:7], v2 offset:1744
	ds_load_b128 v[8:11], v2 offset:1760
	v_fmac_f64_e32 v[134:135], v[128:129], v[146:147]
	v_fma_f64 v[126:127], v[126:127], v[146:147], -v[136:137]
	s_wait_loadcnt_dscnt 0x201
	v_mul_f64_e32 v[132:133], v[4:5], v[152:153]
	v_mul_f64_e32 v[142:143], v[6:7], v[152:153]
	s_wait_loadcnt_dscnt 0x100
	v_mul_f64_e32 v[136:137], v[8:9], v[156:157]
	v_add_f64_e32 v[128:129], v[140:141], v[138:139]
	v_add_f64_e32 v[130:131], v[130:131], v[158:159]
	v_mul_f64_e32 v[138:139], v[10:11], v[156:157]
	v_fmac_f64_e32 v[132:133], v[6:7], v[150:151]
	v_fma_f64 v[140:141], v[4:5], v[150:151], -v[142:143]
	ds_load_b128 v[4:7], v2 offset:1776
	v_fmac_f64_e32 v[136:137], v[10:11], v[154:155]
	v_add_f64_e32 v[126:127], v[128:129], v[126:127]
	v_add_f64_e32 v[128:129], v[130:131], v[134:135]
	v_fma_f64 v[8:9], v[8:9], v[154:155], -v[138:139]
	s_wait_loadcnt_dscnt 0x0
	v_mul_f64_e32 v[130:131], v[4:5], v[164:165]
	v_mul_f64_e32 v[134:135], v[6:7], v[164:165]
	v_add_f64_e32 v[10:11], v[126:127], v[140:141]
	v_add_f64_e32 v[126:127], v[128:129], v[132:133]
	s_delay_alu instid0(VALU_DEP_4) | instskip(NEXT) | instid1(VALU_DEP_4)
	v_fmac_f64_e32 v[130:131], v[6:7], v[162:163]
	v_fma_f64 v[4:5], v[4:5], v[162:163], -v[134:135]
	s_delay_alu instid0(VALU_DEP_4) | instskip(NEXT) | instid1(VALU_DEP_4)
	v_add_f64_e32 v[6:7], v[10:11], v[8:9]
	v_add_f64_e32 v[8:9], v[126:127], v[136:137]
	s_delay_alu instid0(VALU_DEP_2) | instskip(NEXT) | instid1(VALU_DEP_2)
	v_add_f64_e32 v[4:5], v[6:7], v[4:5]
	v_add_f64_e32 v[6:7], v[8:9], v[130:131]
	s_delay_alu instid0(VALU_DEP_2) | instskip(NEXT) | instid1(VALU_DEP_2)
	v_add_f64_e64 v[4:5], v[166:167], -v[4:5]
	v_add_f64_e64 v[6:7], v[168:169], -v[6:7]
	scratch_store_b128 off, v[4:7], off offset:320
	s_wait_xcnt 0x0
	v_cmpx_lt_u32_e32 19, v1
	s_cbranch_execz .LBB55_311
; %bb.310:
	scratch_load_b128 v[6:9], off, s67
	v_dual_mov_b32 v3, v2 :: v_dual_mov_b32 v4, v2
	v_mov_b32_e32 v5, v2
	scratch_store_b128 off, v[2:5], off offset:304
	s_wait_loadcnt 0x0
	ds_store_b128 v12, v[6:9]
.LBB55_311:
	s_wait_xcnt 0x0
	s_or_b32 exec_lo, exec_lo, s2
	s_wait_storecnt_dscnt 0x0
	s_barrier_signal -1
	s_barrier_wait -1
	s_clause 0x9
	scratch_load_b128 v[4:7], off, off offset:320
	scratch_load_b128 v[8:11], off, off offset:336
	;; [unrolled: 1-line block ×10, first 2 shown]
	ds_load_b128 v[158:161], v2 offset:1216
	ds_load_b128 v[166:169], v2 offset:1232
	s_clause 0x2
	scratch_load_b128 v[162:165], off, off offset:480
	scratch_load_b128 v[170:173], off, off offset:304
	;; [unrolled: 1-line block ×3, first 2 shown]
	s_mov_b32 s2, exec_lo
	s_wait_loadcnt_dscnt 0xc01
	v_mul_f64_e32 v[178:179], v[160:161], v[6:7]
	v_mul_f64_e32 v[182:183], v[158:159], v[6:7]
	s_wait_loadcnt_dscnt 0xb00
	v_mul_f64_e32 v[184:185], v[166:167], v[10:11]
	v_mul_f64_e32 v[10:11], v[168:169], v[10:11]
	s_delay_alu instid0(VALU_DEP_4) | instskip(NEXT) | instid1(VALU_DEP_4)
	v_fma_f64 v[186:187], v[158:159], v[4:5], -v[178:179]
	v_fmac_f64_e32 v[182:183], v[160:161], v[4:5]
	ds_load_b128 v[4:7], v2 offset:1248
	ds_load_b128 v[158:161], v2 offset:1264
	scratch_load_b128 v[178:181], off, off offset:512
	v_fmac_f64_e32 v[184:185], v[168:169], v[8:9]
	v_fma_f64 v[166:167], v[166:167], v[8:9], -v[10:11]
	scratch_load_b128 v[8:11], off, off offset:528
	s_wait_loadcnt_dscnt 0xc01
	v_mul_f64_e32 v[188:189], v[4:5], v[128:129]
	v_mul_f64_e32 v[128:129], v[6:7], v[128:129]
	v_add_f64_e32 v[168:169], 0, v[186:187]
	v_add_f64_e32 v[182:183], 0, v[182:183]
	s_wait_loadcnt_dscnt 0xb00
	v_mul_f64_e32 v[186:187], v[158:159], v[132:133]
	v_mul_f64_e32 v[132:133], v[160:161], v[132:133]
	v_fmac_f64_e32 v[188:189], v[6:7], v[126:127]
	v_fma_f64 v[190:191], v[4:5], v[126:127], -v[128:129]
	ds_load_b128 v[4:7], v2 offset:1280
	ds_load_b128 v[126:129], v2 offset:1296
	v_add_f64_e32 v[192:193], v[168:169], v[166:167]
	v_add_f64_e32 v[182:183], v[182:183], v[184:185]
	scratch_load_b128 v[166:169], off, off offset:544
	v_fmac_f64_e32 v[186:187], v[160:161], v[130:131]
	v_fma_f64 v[158:159], v[158:159], v[130:131], -v[132:133]
	scratch_load_b128 v[130:133], off, off offset:560
	s_wait_loadcnt_dscnt 0xc01
	v_mul_f64_e32 v[184:185], v[4:5], v[136:137]
	v_mul_f64_e32 v[136:137], v[6:7], v[136:137]
	v_add_f64_e32 v[160:161], v[192:193], v[190:191]
	v_add_f64_e32 v[182:183], v[182:183], v[188:189]
	s_wait_loadcnt_dscnt 0xb00
	v_mul_f64_e32 v[188:189], v[126:127], v[140:141]
	v_mul_f64_e32 v[140:141], v[128:129], v[140:141]
	v_fmac_f64_e32 v[184:185], v[6:7], v[134:135]
	v_fma_f64 v[190:191], v[4:5], v[134:135], -v[136:137]
	ds_load_b128 v[4:7], v2 offset:1312
	ds_load_b128 v[134:137], v2 offset:1328
	v_add_f64_e32 v[192:193], v[160:161], v[158:159]
	v_add_f64_e32 v[182:183], v[182:183], v[186:187]
	scratch_load_b128 v[158:161], off, off offset:576
	s_wait_loadcnt_dscnt 0xb01
	v_mul_f64_e32 v[186:187], v[4:5], v[144:145]
	v_mul_f64_e32 v[144:145], v[6:7], v[144:145]
	v_fmac_f64_e32 v[188:189], v[128:129], v[138:139]
	v_fma_f64 v[138:139], v[126:127], v[138:139], -v[140:141]
	scratch_load_b128 v[126:129], off, off offset:592
	v_add_f64_e32 v[140:141], v[192:193], v[190:191]
	v_add_f64_e32 v[182:183], v[182:183], v[184:185]
	s_wait_loadcnt_dscnt 0xb00
	v_mul_f64_e32 v[184:185], v[134:135], v[148:149]
	v_mul_f64_e32 v[148:149], v[136:137], v[148:149]
	v_fmac_f64_e32 v[186:187], v[6:7], v[142:143]
	v_fma_f64 v[190:191], v[4:5], v[142:143], -v[144:145]
	v_add_f64_e32 v[192:193], v[140:141], v[138:139]
	v_add_f64_e32 v[182:183], v[182:183], v[188:189]
	ds_load_b128 v[4:7], v2 offset:1344
	ds_load_b128 v[138:141], v2 offset:1360
	scratch_load_b128 v[142:145], off, off offset:608
	v_fmac_f64_e32 v[184:185], v[136:137], v[146:147]
	v_fma_f64 v[146:147], v[134:135], v[146:147], -v[148:149]
	scratch_load_b128 v[134:137], off, off offset:624
	s_wait_loadcnt_dscnt 0xc01
	v_mul_f64_e32 v[188:189], v[4:5], v[152:153]
	v_mul_f64_e32 v[152:153], v[6:7], v[152:153]
	v_add_f64_e32 v[148:149], v[192:193], v[190:191]
	v_add_f64_e32 v[182:183], v[182:183], v[186:187]
	s_wait_loadcnt_dscnt 0xb00
	v_mul_f64_e32 v[186:187], v[138:139], v[156:157]
	v_mul_f64_e32 v[156:157], v[140:141], v[156:157]
	v_fmac_f64_e32 v[188:189], v[6:7], v[150:151]
	v_fma_f64 v[190:191], v[4:5], v[150:151], -v[152:153]
	v_add_f64_e32 v[192:193], v[148:149], v[146:147]
	v_add_f64_e32 v[182:183], v[182:183], v[184:185]
	ds_load_b128 v[4:7], v2 offset:1376
	ds_load_b128 v[146:149], v2 offset:1392
	scratch_load_b128 v[150:153], off, off offset:640
	v_fmac_f64_e32 v[186:187], v[140:141], v[154:155]
	v_fma_f64 v[154:155], v[138:139], v[154:155], -v[156:157]
	scratch_load_b128 v[138:141], off, off offset:656
	s_wait_loadcnt_dscnt 0xc01
	v_mul_f64_e32 v[184:185], v[4:5], v[164:165]
	v_mul_f64_e32 v[164:165], v[6:7], v[164:165]
	;; [unrolled: 18-line block ×5, first 2 shown]
	v_add_f64_e32 v[176:177], v[192:193], v[190:191]
	v_add_f64_e32 v[182:183], v[182:183], v[188:189]
	s_wait_loadcnt_dscnt 0xa00
	v_mul_f64_e32 v[188:189], v[154:155], v[128:129]
	v_mul_f64_e32 v[128:129], v[156:157], v[128:129]
	v_fmac_f64_e32 v[184:185], v[6:7], v[158:159]
	v_fma_f64 v[190:191], v[4:5], v[158:159], -v[160:161]
	ds_load_b128 v[4:7], v2 offset:1504
	ds_load_b128 v[158:161], v2 offset:1520
	v_add_f64_e32 v[192:193], v[176:177], v[174:175]
	v_add_f64_e32 v[182:183], v[182:183], v[186:187]
	scratch_load_b128 v[174:177], off, off offset:768
	v_fmac_f64_e32 v[188:189], v[156:157], v[126:127]
	v_fma_f64 v[154:155], v[154:155], v[126:127], -v[128:129]
	scratch_load_b128 v[126:129], off, off offset:784
	s_wait_loadcnt_dscnt 0xb01
	v_mul_f64_e32 v[186:187], v[4:5], v[144:145]
	v_mul_f64_e32 v[144:145], v[6:7], v[144:145]
	v_add_f64_e32 v[156:157], v[192:193], v[190:191]
	v_add_f64_e32 v[182:183], v[182:183], v[184:185]
	s_wait_loadcnt_dscnt 0xa00
	v_mul_f64_e32 v[184:185], v[158:159], v[136:137]
	v_mul_f64_e32 v[136:137], v[160:161], v[136:137]
	v_fmac_f64_e32 v[186:187], v[6:7], v[142:143]
	v_fma_f64 v[190:191], v[4:5], v[142:143], -v[144:145]
	ds_load_b128 v[4:7], v2 offset:1536
	ds_load_b128 v[142:145], v2 offset:1552
	v_add_f64_e32 v[192:193], v[156:157], v[154:155]
	v_add_f64_e32 v[182:183], v[182:183], v[188:189]
	scratch_load_b128 v[154:157], off, off offset:800
	s_wait_loadcnt_dscnt 0xa01
	v_mul_f64_e32 v[188:189], v[4:5], v[152:153]
	v_mul_f64_e32 v[152:153], v[6:7], v[152:153]
	v_fmac_f64_e32 v[184:185], v[160:161], v[134:135]
	v_fma_f64 v[158:159], v[158:159], v[134:135], -v[136:137]
	scratch_load_b128 v[134:137], off, off offset:816
	v_add_f64_e32 v[160:161], v[192:193], v[190:191]
	v_add_f64_e32 v[182:183], v[182:183], v[186:187]
	s_wait_loadcnt_dscnt 0xa00
	v_mul_f64_e32 v[186:187], v[142:143], v[140:141]
	v_mul_f64_e32 v[140:141], v[144:145], v[140:141]
	v_fmac_f64_e32 v[188:189], v[6:7], v[150:151]
	v_fma_f64 v[190:191], v[4:5], v[150:151], -v[152:153]
	ds_load_b128 v[4:7], v2 offset:1568
	ds_load_b128 v[150:153], v2 offset:1584
	v_add_f64_e32 v[192:193], v[160:161], v[158:159]
	v_add_f64_e32 v[182:183], v[182:183], v[184:185]
	scratch_load_b128 v[158:161], off, off offset:832
	s_wait_loadcnt_dscnt 0xa01
	v_mul_f64_e32 v[184:185], v[4:5], v[164:165]
	v_mul_f64_e32 v[164:165], v[6:7], v[164:165]
	v_fmac_f64_e32 v[186:187], v[144:145], v[138:139]
	v_fma_f64 v[142:143], v[142:143], v[138:139], -v[140:141]
	scratch_load_b128 v[138:141], off, off offset:848
	v_add_f64_e32 v[144:145], v[192:193], v[190:191]
	v_add_f64_e32 v[182:183], v[182:183], v[188:189]
	s_wait_loadcnt_dscnt 0xa00
	v_mul_f64_e32 v[188:189], v[150:151], v[148:149]
	v_mul_f64_e32 v[148:149], v[152:153], v[148:149]
	v_fmac_f64_e32 v[184:185], v[6:7], v[162:163]
	v_fma_f64 v[190:191], v[4:5], v[162:163], -v[164:165]
	v_add_f64_e32 v[192:193], v[144:145], v[142:143]
	v_add_f64_e32 v[182:183], v[182:183], v[186:187]
	ds_load_b128 v[4:7], v2 offset:1600
	ds_load_b128 v[142:145], v2 offset:1616
	scratch_load_b128 v[162:165], off, off offset:864
	v_fmac_f64_e32 v[188:189], v[152:153], v[146:147]
	v_fma_f64 v[150:151], v[150:151], v[146:147], -v[148:149]
	scratch_load_b128 v[146:149], off, off offset:880
	s_wait_loadcnt_dscnt 0xb01
	v_mul_f64_e32 v[186:187], v[4:5], v[180:181]
	v_mul_f64_e32 v[180:181], v[6:7], v[180:181]
	v_add_f64_e32 v[152:153], v[192:193], v[190:191]
	v_add_f64_e32 v[182:183], v[182:183], v[184:185]
	s_wait_loadcnt_dscnt 0xa00
	v_mul_f64_e32 v[184:185], v[142:143], v[10:11]
	v_mul_f64_e32 v[10:11], v[144:145], v[10:11]
	v_fmac_f64_e32 v[186:187], v[6:7], v[178:179]
	v_fma_f64 v[178:179], v[4:5], v[178:179], -v[180:181]
	v_add_f64_e32 v[180:181], v[152:153], v[150:151]
	v_add_f64_e32 v[182:183], v[182:183], v[188:189]
	ds_load_b128 v[4:7], v2 offset:1632
	ds_load_b128 v[150:153], v2 offset:1648
	v_fmac_f64_e32 v[184:185], v[144:145], v[8:9]
	v_fma_f64 v[8:9], v[142:143], v[8:9], -v[10:11]
	s_wait_loadcnt_dscnt 0x901
	v_mul_f64_e32 v[188:189], v[4:5], v[168:169]
	v_mul_f64_e32 v[168:169], v[6:7], v[168:169]
	s_wait_loadcnt_dscnt 0x800
	v_mul_f64_e32 v[144:145], v[150:151], v[132:133]
	v_mul_f64_e32 v[132:133], v[152:153], v[132:133]
	v_add_f64_e32 v[10:11], v[180:181], v[178:179]
	v_add_f64_e32 v[142:143], v[182:183], v[186:187]
	v_fmac_f64_e32 v[188:189], v[6:7], v[166:167]
	v_fma_f64 v[166:167], v[4:5], v[166:167], -v[168:169]
	v_fmac_f64_e32 v[144:145], v[152:153], v[130:131]
	v_fma_f64 v[130:131], v[150:151], v[130:131], -v[132:133]
	v_add_f64_e32 v[168:169], v[10:11], v[8:9]
	v_add_f64_e32 v[142:143], v[142:143], v[184:185]
	ds_load_b128 v[4:7], v2 offset:1664
	ds_load_b128 v[8:11], v2 offset:1680
	s_wait_loadcnt_dscnt 0x701
	v_mul_f64_e32 v[178:179], v[4:5], v[176:177]
	v_mul_f64_e32 v[176:177], v[6:7], v[176:177]
	s_wait_loadcnt_dscnt 0x600
	v_mul_f64_e32 v[150:151], v[8:9], v[128:129]
	v_mul_f64_e32 v[152:153], v[10:11], v[128:129]
	v_add_f64_e32 v[132:133], v[168:169], v[166:167]
	v_add_f64_e32 v[142:143], v[142:143], v[188:189]
	v_fmac_f64_e32 v[178:179], v[6:7], v[174:175]
	v_fma_f64 v[166:167], v[4:5], v[174:175], -v[176:177]
	v_fmac_f64_e32 v[150:151], v[10:11], v[126:127]
	v_fma_f64 v[8:9], v[8:9], v[126:127], -v[152:153]
	v_add_f64_e32 v[132:133], v[132:133], v[130:131]
	v_add_f64_e32 v[142:143], v[142:143], v[144:145]
	ds_load_b128 v[4:7], v2 offset:1696
	ds_load_b128 v[128:131], v2 offset:1712
	s_wait_loadcnt_dscnt 0x501
	v_mul_f64_e32 v[144:145], v[4:5], v[156:157]
	v_mul_f64_e32 v[156:157], v[6:7], v[156:157]
	v_add_f64_e32 v[10:11], v[132:133], v[166:167]
	v_add_f64_e32 v[126:127], v[142:143], v[178:179]
	s_wait_loadcnt_dscnt 0x400
	v_mul_f64_e32 v[132:133], v[128:129], v[136:137]
	v_mul_f64_e32 v[136:137], v[130:131], v[136:137]
	v_fmac_f64_e32 v[144:145], v[6:7], v[154:155]
	v_fma_f64 v[142:143], v[4:5], v[154:155], -v[156:157]
	v_add_f64_e32 v[152:153], v[10:11], v[8:9]
	v_add_f64_e32 v[126:127], v[126:127], v[150:151]
	ds_load_b128 v[4:7], v2 offset:1728
	ds_load_b128 v[8:11], v2 offset:1744
	v_fmac_f64_e32 v[132:133], v[130:131], v[134:135]
	v_fma_f64 v[128:129], v[128:129], v[134:135], -v[136:137]
	s_wait_loadcnt_dscnt 0x301
	v_mul_f64_e32 v[150:151], v[4:5], v[160:161]
	v_mul_f64_e32 v[154:155], v[6:7], v[160:161]
	s_wait_loadcnt_dscnt 0x200
	v_mul_f64_e32 v[134:135], v[8:9], v[140:141]
	v_mul_f64_e32 v[136:137], v[10:11], v[140:141]
	v_add_f64_e32 v[130:131], v[152:153], v[142:143]
	v_add_f64_e32 v[126:127], v[126:127], v[144:145]
	v_fmac_f64_e32 v[150:151], v[6:7], v[158:159]
	v_fma_f64 v[140:141], v[4:5], v[158:159], -v[154:155]
	v_fmac_f64_e32 v[134:135], v[10:11], v[138:139]
	v_fma_f64 v[8:9], v[8:9], v[138:139], -v[136:137]
	v_add_f64_e32 v[130:131], v[130:131], v[128:129]
	v_add_f64_e32 v[132:133], v[126:127], v[132:133]
	ds_load_b128 v[4:7], v2 offset:1760
	ds_load_b128 v[126:129], v2 offset:1776
	s_wait_loadcnt_dscnt 0x101
	v_mul_f64_e32 v[2:3], v[4:5], v[164:165]
	v_mul_f64_e32 v[142:143], v[6:7], v[164:165]
	s_wait_loadcnt_dscnt 0x0
	v_mul_f64_e32 v[136:137], v[128:129], v[148:149]
	v_add_f64_e32 v[10:11], v[130:131], v[140:141]
	v_add_f64_e32 v[130:131], v[132:133], v[150:151]
	v_mul_f64_e32 v[132:133], v[126:127], v[148:149]
	v_fmac_f64_e32 v[2:3], v[6:7], v[162:163]
	v_fma_f64 v[4:5], v[4:5], v[162:163], -v[142:143]
	v_add_f64_e32 v[6:7], v[10:11], v[8:9]
	v_add_f64_e32 v[8:9], v[130:131], v[134:135]
	v_fmac_f64_e32 v[132:133], v[128:129], v[146:147]
	v_fma_f64 v[10:11], v[126:127], v[146:147], -v[136:137]
	s_delay_alu instid0(VALU_DEP_4) | instskip(NEXT) | instid1(VALU_DEP_4)
	v_add_f64_e32 v[4:5], v[6:7], v[4:5]
	v_add_f64_e32 v[2:3], v[8:9], v[2:3]
	s_delay_alu instid0(VALU_DEP_2) | instskip(NEXT) | instid1(VALU_DEP_2)
	v_add_f64_e32 v[4:5], v[4:5], v[10:11]
	v_add_f64_e32 v[6:7], v[2:3], v[132:133]
	s_delay_alu instid0(VALU_DEP_2) | instskip(NEXT) | instid1(VALU_DEP_2)
	v_add_f64_e64 v[2:3], v[170:171], -v[4:5]
	v_add_f64_e64 v[4:5], v[172:173], -v[6:7]
	scratch_store_b128 off, v[2:5], off offset:304
	s_wait_xcnt 0x0
	v_cmpx_lt_u32_e32 18, v1
	s_cbranch_execz .LBB55_313
; %bb.312:
	scratch_load_b128 v[2:5], off, s65
	v_mov_b32_e32 v6, 0
	s_delay_alu instid0(VALU_DEP_1)
	v_dual_mov_b32 v7, v6 :: v_dual_mov_b32 v8, v6
	v_mov_b32_e32 v9, v6
	scratch_store_b128 off, v[6:9], off offset:288
	s_wait_loadcnt 0x0
	ds_store_b128 v12, v[2:5]
.LBB55_313:
	s_wait_xcnt 0x0
	s_or_b32 exec_lo, exec_lo, s2
	s_wait_storecnt_dscnt 0x0
	s_barrier_signal -1
	s_barrier_wait -1
	s_clause 0x9
	scratch_load_b128 v[4:7], off, off offset:304
	scratch_load_b128 v[8:11], off, off offset:320
	;; [unrolled: 1-line block ×10, first 2 shown]
	v_mov_b32_e32 v2, 0
	s_mov_b32 s2, exec_lo
	ds_load_b128 v[158:161], v2 offset:1200
	s_clause 0x2
	scratch_load_b128 v[162:165], off, off offset:464
	scratch_load_b128 v[166:169], off, off offset:288
	;; [unrolled: 1-line block ×3, first 2 shown]
	s_wait_loadcnt_dscnt 0xc00
	v_mul_f64_e32 v[178:179], v[160:161], v[6:7]
	v_mul_f64_e32 v[182:183], v[158:159], v[6:7]
	ds_load_b128 v[170:173], v2 offset:1216
	v_fma_f64 v[186:187], v[158:159], v[4:5], -v[178:179]
	v_fmac_f64_e32 v[182:183], v[160:161], v[4:5]
	ds_load_b128 v[4:7], v2 offset:1232
	s_wait_loadcnt_dscnt 0xb01
	v_mul_f64_e32 v[184:185], v[170:171], v[10:11]
	v_mul_f64_e32 v[10:11], v[172:173], v[10:11]
	scratch_load_b128 v[158:161], off, off offset:496
	ds_load_b128 v[178:181], v2 offset:1248
	s_wait_loadcnt_dscnt 0xb01
	v_mul_f64_e32 v[188:189], v[4:5], v[128:129]
	v_mul_f64_e32 v[128:129], v[6:7], v[128:129]
	v_add_f64_e32 v[182:183], 0, v[182:183]
	v_fmac_f64_e32 v[184:185], v[172:173], v[8:9]
	v_fma_f64 v[170:171], v[170:171], v[8:9], -v[10:11]
	v_add_f64_e32 v[172:173], 0, v[186:187]
	scratch_load_b128 v[8:11], off, off offset:512
	v_fmac_f64_e32 v[188:189], v[6:7], v[126:127]
	v_fma_f64 v[190:191], v[4:5], v[126:127], -v[128:129]
	ds_load_b128 v[4:7], v2 offset:1264
	s_wait_loadcnt_dscnt 0xb01
	v_mul_f64_e32 v[186:187], v[178:179], v[132:133]
	v_mul_f64_e32 v[132:133], v[180:181], v[132:133]
	scratch_load_b128 v[126:129], off, off offset:528
	v_add_f64_e32 v[182:183], v[182:183], v[184:185]
	v_add_f64_e32 v[192:193], v[172:173], v[170:171]
	ds_load_b128 v[170:173], v2 offset:1280
	s_wait_loadcnt_dscnt 0xb01
	v_mul_f64_e32 v[184:185], v[4:5], v[136:137]
	v_mul_f64_e32 v[136:137], v[6:7], v[136:137]
	v_fmac_f64_e32 v[186:187], v[180:181], v[130:131]
	v_fma_f64 v[178:179], v[178:179], v[130:131], -v[132:133]
	scratch_load_b128 v[130:133], off, off offset:544
	v_add_f64_e32 v[182:183], v[182:183], v[188:189]
	v_add_f64_e32 v[180:181], v[192:193], v[190:191]
	v_fmac_f64_e32 v[184:185], v[6:7], v[134:135]
	v_fma_f64 v[190:191], v[4:5], v[134:135], -v[136:137]
	ds_load_b128 v[4:7], v2 offset:1296
	s_wait_loadcnt_dscnt 0xb01
	v_mul_f64_e32 v[188:189], v[170:171], v[140:141]
	v_mul_f64_e32 v[140:141], v[172:173], v[140:141]
	scratch_load_b128 v[134:137], off, off offset:560
	v_add_f64_e32 v[182:183], v[182:183], v[186:187]
	s_wait_loadcnt_dscnt 0xb00
	v_mul_f64_e32 v[186:187], v[4:5], v[144:145]
	v_add_f64_e32 v[192:193], v[180:181], v[178:179]
	v_mul_f64_e32 v[144:145], v[6:7], v[144:145]
	ds_load_b128 v[178:181], v2 offset:1312
	v_fmac_f64_e32 v[188:189], v[172:173], v[138:139]
	v_fma_f64 v[170:171], v[170:171], v[138:139], -v[140:141]
	scratch_load_b128 v[138:141], off, off offset:576
	v_add_f64_e32 v[182:183], v[182:183], v[184:185]
	v_fmac_f64_e32 v[186:187], v[6:7], v[142:143]
	v_add_f64_e32 v[172:173], v[192:193], v[190:191]
	v_fma_f64 v[190:191], v[4:5], v[142:143], -v[144:145]
	ds_load_b128 v[4:7], v2 offset:1328
	s_wait_loadcnt_dscnt 0xb01
	v_mul_f64_e32 v[184:185], v[178:179], v[148:149]
	v_mul_f64_e32 v[148:149], v[180:181], v[148:149]
	scratch_load_b128 v[142:145], off, off offset:592
	v_add_f64_e32 v[182:183], v[182:183], v[188:189]
	s_wait_loadcnt_dscnt 0xb00
	v_mul_f64_e32 v[188:189], v[4:5], v[152:153]
	v_add_f64_e32 v[192:193], v[172:173], v[170:171]
	v_mul_f64_e32 v[152:153], v[6:7], v[152:153]
	ds_load_b128 v[170:173], v2 offset:1344
	v_fmac_f64_e32 v[184:185], v[180:181], v[146:147]
	v_fma_f64 v[178:179], v[178:179], v[146:147], -v[148:149]
	scratch_load_b128 v[146:149], off, off offset:608
	v_add_f64_e32 v[182:183], v[182:183], v[186:187]
	v_fmac_f64_e32 v[188:189], v[6:7], v[150:151]
	v_add_f64_e32 v[180:181], v[192:193], v[190:191]
	;; [unrolled: 18-line block ×3, first 2 shown]
	v_fma_f64 v[190:191], v[4:5], v[162:163], -v[164:165]
	ds_load_b128 v[4:7], v2 offset:1392
	s_wait_loadcnt_dscnt 0xa01
	v_mul_f64_e32 v[188:189], v[178:179], v[176:177]
	v_mul_f64_e32 v[176:177], v[180:181], v[176:177]
	scratch_load_b128 v[162:165], off, off offset:656
	v_add_f64_e32 v[182:183], v[182:183], v[186:187]
	v_add_f64_e32 v[192:193], v[172:173], v[170:171]
	s_wait_loadcnt_dscnt 0xa00
	v_mul_f64_e32 v[186:187], v[4:5], v[160:161]
	v_mul_f64_e32 v[160:161], v[6:7], v[160:161]
	v_fmac_f64_e32 v[188:189], v[180:181], v[174:175]
	v_fma_f64 v[178:179], v[178:179], v[174:175], -v[176:177]
	ds_load_b128 v[170:173], v2 offset:1408
	scratch_load_b128 v[174:177], off, off offset:672
	v_add_f64_e32 v[182:183], v[182:183], v[184:185]
	v_add_f64_e32 v[180:181], v[192:193], v[190:191]
	v_fmac_f64_e32 v[186:187], v[6:7], v[158:159]
	v_fma_f64 v[190:191], v[4:5], v[158:159], -v[160:161]
	ds_load_b128 v[4:7], v2 offset:1424
	s_wait_loadcnt_dscnt 0xa01
	v_mul_f64_e32 v[184:185], v[170:171], v[10:11]
	v_mul_f64_e32 v[10:11], v[172:173], v[10:11]
	scratch_load_b128 v[158:161], off, off offset:688
	v_add_f64_e32 v[182:183], v[182:183], v[188:189]
	s_wait_loadcnt_dscnt 0xa00
	v_mul_f64_e32 v[188:189], v[4:5], v[128:129]
	v_add_f64_e32 v[192:193], v[180:181], v[178:179]
	v_mul_f64_e32 v[128:129], v[6:7], v[128:129]
	ds_load_b128 v[178:181], v2 offset:1440
	v_fmac_f64_e32 v[184:185], v[172:173], v[8:9]
	v_fma_f64 v[170:171], v[170:171], v[8:9], -v[10:11]
	scratch_load_b128 v[8:11], off, off offset:704
	v_add_f64_e32 v[182:183], v[182:183], v[186:187]
	v_fmac_f64_e32 v[188:189], v[6:7], v[126:127]
	v_add_f64_e32 v[172:173], v[192:193], v[190:191]
	v_fma_f64 v[190:191], v[4:5], v[126:127], -v[128:129]
	ds_load_b128 v[4:7], v2 offset:1456
	s_wait_loadcnt_dscnt 0xa01
	v_mul_f64_e32 v[186:187], v[178:179], v[132:133]
	v_mul_f64_e32 v[132:133], v[180:181], v[132:133]
	scratch_load_b128 v[126:129], off, off offset:720
	v_add_f64_e32 v[182:183], v[182:183], v[184:185]
	s_wait_loadcnt_dscnt 0xa00
	v_mul_f64_e32 v[184:185], v[4:5], v[136:137]
	v_add_f64_e32 v[192:193], v[172:173], v[170:171]
	v_mul_f64_e32 v[136:137], v[6:7], v[136:137]
	ds_load_b128 v[170:173], v2 offset:1472
	v_fmac_f64_e32 v[186:187], v[180:181], v[130:131]
	v_fma_f64 v[178:179], v[178:179], v[130:131], -v[132:133]
	scratch_load_b128 v[130:133], off, off offset:736
	v_add_f64_e32 v[182:183], v[182:183], v[188:189]
	v_fmac_f64_e32 v[184:185], v[6:7], v[134:135]
	v_add_f64_e32 v[180:181], v[192:193], v[190:191]
	;; [unrolled: 18-line block ×6, first 2 shown]
	v_fma_f64 v[190:191], v[4:5], v[158:159], -v[160:161]
	ds_load_b128 v[4:7], v2 offset:1616
	s_wait_loadcnt_dscnt 0xa01
	v_mul_f64_e32 v[184:185], v[170:171], v[10:11]
	v_mul_f64_e32 v[10:11], v[172:173], v[10:11]
	scratch_load_b128 v[158:161], off, off offset:880
	v_add_f64_e32 v[182:183], v[182:183], v[188:189]
	s_wait_loadcnt_dscnt 0xa00
	v_mul_f64_e32 v[188:189], v[4:5], v[128:129]
	v_add_f64_e32 v[192:193], v[180:181], v[178:179]
	v_mul_f64_e32 v[128:129], v[6:7], v[128:129]
	ds_load_b128 v[178:181], v2 offset:1632
	v_fmac_f64_e32 v[184:185], v[172:173], v[8:9]
	v_fma_f64 v[8:9], v[170:171], v[8:9], -v[10:11]
	s_wait_loadcnt_dscnt 0x900
	v_mul_f64_e32 v[172:173], v[178:179], v[132:133]
	v_mul_f64_e32 v[132:133], v[180:181], v[132:133]
	v_add_f64_e32 v[170:171], v[182:183], v[186:187]
	v_fmac_f64_e32 v[188:189], v[6:7], v[126:127]
	v_add_f64_e32 v[10:11], v[192:193], v[190:191]
	v_fma_f64 v[126:127], v[4:5], v[126:127], -v[128:129]
	v_fmac_f64_e32 v[172:173], v[180:181], v[130:131]
	v_fma_f64 v[130:131], v[178:179], v[130:131], -v[132:133]
	v_add_f64_e32 v[170:171], v[170:171], v[184:185]
	v_add_f64_e32 v[128:129], v[10:11], v[8:9]
	ds_load_b128 v[4:7], v2 offset:1648
	ds_load_b128 v[8:11], v2 offset:1664
	s_wait_loadcnt_dscnt 0x801
	v_mul_f64_e32 v[182:183], v[4:5], v[136:137]
	v_mul_f64_e32 v[136:137], v[6:7], v[136:137]
	s_wait_loadcnt_dscnt 0x700
	v_mul_f64_e32 v[132:133], v[8:9], v[140:141]
	v_mul_f64_e32 v[140:141], v[10:11], v[140:141]
	v_add_f64_e32 v[126:127], v[128:129], v[126:127]
	v_add_f64_e32 v[128:129], v[170:171], v[188:189]
	v_fmac_f64_e32 v[182:183], v[6:7], v[134:135]
	v_fma_f64 v[134:135], v[4:5], v[134:135], -v[136:137]
	v_fmac_f64_e32 v[132:133], v[10:11], v[138:139]
	v_fma_f64 v[8:9], v[8:9], v[138:139], -v[140:141]
	v_add_f64_e32 v[130:131], v[126:127], v[130:131]
	v_add_f64_e32 v[136:137], v[128:129], v[172:173]
	ds_load_b128 v[4:7], v2 offset:1680
	ds_load_b128 v[126:129], v2 offset:1696
	s_wait_loadcnt_dscnt 0x601
	v_mul_f64_e32 v[170:171], v[4:5], v[144:145]
	v_mul_f64_e32 v[144:145], v[6:7], v[144:145]
	v_add_f64_e32 v[10:11], v[130:131], v[134:135]
	v_add_f64_e32 v[130:131], v[136:137], v[182:183]
	s_wait_loadcnt_dscnt 0x500
	v_mul_f64_e32 v[134:135], v[126:127], v[148:149]
	v_mul_f64_e32 v[136:137], v[128:129], v[148:149]
	v_fmac_f64_e32 v[170:171], v[6:7], v[142:143]
	v_fma_f64 v[138:139], v[4:5], v[142:143], -v[144:145]
	v_add_f64_e32 v[140:141], v[10:11], v[8:9]
	v_add_f64_e32 v[130:131], v[130:131], v[132:133]
	ds_load_b128 v[4:7], v2 offset:1712
	ds_load_b128 v[8:11], v2 offset:1728
	v_fmac_f64_e32 v[134:135], v[128:129], v[146:147]
	v_fma_f64 v[126:127], v[126:127], v[146:147], -v[136:137]
	s_wait_loadcnt_dscnt 0x401
	v_mul_f64_e32 v[132:133], v[4:5], v[152:153]
	v_mul_f64_e32 v[142:143], v[6:7], v[152:153]
	s_wait_loadcnt_dscnt 0x300
	v_mul_f64_e32 v[136:137], v[8:9], v[156:157]
	v_add_f64_e32 v[128:129], v[140:141], v[138:139]
	v_add_f64_e32 v[130:131], v[130:131], v[170:171]
	v_mul_f64_e32 v[138:139], v[10:11], v[156:157]
	v_fmac_f64_e32 v[132:133], v[6:7], v[150:151]
	v_fma_f64 v[140:141], v[4:5], v[150:151], -v[142:143]
	v_fmac_f64_e32 v[136:137], v[10:11], v[154:155]
	v_add_f64_e32 v[142:143], v[128:129], v[126:127]
	v_add_f64_e32 v[130:131], v[130:131], v[134:135]
	ds_load_b128 v[4:7], v2 offset:1744
	ds_load_b128 v[126:129], v2 offset:1760
	v_fma_f64 v[8:9], v[8:9], v[154:155], -v[138:139]
	s_wait_loadcnt_dscnt 0x201
	v_mul_f64_e32 v[134:135], v[4:5], v[164:165]
	v_mul_f64_e32 v[144:145], v[6:7], v[164:165]
	s_wait_loadcnt_dscnt 0x100
	v_mul_f64_e32 v[138:139], v[128:129], v[176:177]
	v_add_f64_e32 v[10:11], v[142:143], v[140:141]
	v_add_f64_e32 v[130:131], v[130:131], v[132:133]
	v_mul_f64_e32 v[132:133], v[126:127], v[176:177]
	v_fmac_f64_e32 v[134:135], v[6:7], v[162:163]
	v_fma_f64 v[140:141], v[4:5], v[162:163], -v[144:145]
	ds_load_b128 v[4:7], v2 offset:1776
	v_fma_f64 v[126:127], v[126:127], v[174:175], -v[138:139]
	v_add_f64_e32 v[8:9], v[10:11], v[8:9]
	v_add_f64_e32 v[10:11], v[130:131], v[136:137]
	v_fmac_f64_e32 v[132:133], v[128:129], v[174:175]
	s_wait_loadcnt_dscnt 0x0
	v_mul_f64_e32 v[130:131], v[4:5], v[160:161]
	v_mul_f64_e32 v[136:137], v[6:7], v[160:161]
	v_add_f64_e32 v[8:9], v[8:9], v[140:141]
	v_add_f64_e32 v[10:11], v[10:11], v[134:135]
	s_delay_alu instid0(VALU_DEP_4) | instskip(NEXT) | instid1(VALU_DEP_4)
	v_fmac_f64_e32 v[130:131], v[6:7], v[158:159]
	v_fma_f64 v[4:5], v[4:5], v[158:159], -v[136:137]
	s_delay_alu instid0(VALU_DEP_4) | instskip(NEXT) | instid1(VALU_DEP_4)
	v_add_f64_e32 v[6:7], v[8:9], v[126:127]
	v_add_f64_e32 v[8:9], v[10:11], v[132:133]
	s_delay_alu instid0(VALU_DEP_2) | instskip(NEXT) | instid1(VALU_DEP_2)
	v_add_f64_e32 v[4:5], v[6:7], v[4:5]
	v_add_f64_e32 v[6:7], v[8:9], v[130:131]
	s_delay_alu instid0(VALU_DEP_2) | instskip(NEXT) | instid1(VALU_DEP_2)
	v_add_f64_e64 v[4:5], v[166:167], -v[4:5]
	v_add_f64_e64 v[6:7], v[168:169], -v[6:7]
	scratch_store_b128 off, v[4:7], off offset:288
	s_wait_xcnt 0x0
	v_cmpx_lt_u32_e32 17, v1
	s_cbranch_execz .LBB55_315
; %bb.314:
	scratch_load_b128 v[6:9], off, s63
	v_dual_mov_b32 v3, v2 :: v_dual_mov_b32 v4, v2
	v_mov_b32_e32 v5, v2
	scratch_store_b128 off, v[2:5], off offset:272
	s_wait_loadcnt 0x0
	ds_store_b128 v12, v[6:9]
.LBB55_315:
	s_wait_xcnt 0x0
	s_or_b32 exec_lo, exec_lo, s2
	s_wait_storecnt_dscnt 0x0
	s_barrier_signal -1
	s_barrier_wait -1
	s_clause 0x9
	scratch_load_b128 v[4:7], off, off offset:288
	scratch_load_b128 v[8:11], off, off offset:304
	;; [unrolled: 1-line block ×10, first 2 shown]
	ds_load_b128 v[158:161], v2 offset:1184
	ds_load_b128 v[166:169], v2 offset:1200
	s_clause 0x2
	scratch_load_b128 v[162:165], off, off offset:448
	scratch_load_b128 v[170:173], off, off offset:272
	;; [unrolled: 1-line block ×3, first 2 shown]
	s_mov_b32 s2, exec_lo
	s_wait_loadcnt_dscnt 0xc01
	v_mul_f64_e32 v[178:179], v[160:161], v[6:7]
	v_mul_f64_e32 v[182:183], v[158:159], v[6:7]
	s_wait_loadcnt_dscnt 0xb00
	v_mul_f64_e32 v[184:185], v[166:167], v[10:11]
	v_mul_f64_e32 v[10:11], v[168:169], v[10:11]
	s_delay_alu instid0(VALU_DEP_4) | instskip(NEXT) | instid1(VALU_DEP_4)
	v_fma_f64 v[186:187], v[158:159], v[4:5], -v[178:179]
	v_fmac_f64_e32 v[182:183], v[160:161], v[4:5]
	ds_load_b128 v[4:7], v2 offset:1216
	ds_load_b128 v[158:161], v2 offset:1232
	scratch_load_b128 v[178:181], off, off offset:480
	v_fmac_f64_e32 v[184:185], v[168:169], v[8:9]
	v_fma_f64 v[166:167], v[166:167], v[8:9], -v[10:11]
	scratch_load_b128 v[8:11], off, off offset:496
	s_wait_loadcnt_dscnt 0xc01
	v_mul_f64_e32 v[188:189], v[4:5], v[128:129]
	v_mul_f64_e32 v[128:129], v[6:7], v[128:129]
	v_add_f64_e32 v[168:169], 0, v[186:187]
	v_add_f64_e32 v[182:183], 0, v[182:183]
	s_wait_loadcnt_dscnt 0xb00
	v_mul_f64_e32 v[186:187], v[158:159], v[132:133]
	v_mul_f64_e32 v[132:133], v[160:161], v[132:133]
	v_fmac_f64_e32 v[188:189], v[6:7], v[126:127]
	v_fma_f64 v[190:191], v[4:5], v[126:127], -v[128:129]
	ds_load_b128 v[4:7], v2 offset:1248
	ds_load_b128 v[126:129], v2 offset:1264
	v_add_f64_e32 v[192:193], v[168:169], v[166:167]
	v_add_f64_e32 v[182:183], v[182:183], v[184:185]
	scratch_load_b128 v[166:169], off, off offset:512
	v_fmac_f64_e32 v[186:187], v[160:161], v[130:131]
	v_fma_f64 v[158:159], v[158:159], v[130:131], -v[132:133]
	scratch_load_b128 v[130:133], off, off offset:528
	s_wait_loadcnt_dscnt 0xc01
	v_mul_f64_e32 v[184:185], v[4:5], v[136:137]
	v_mul_f64_e32 v[136:137], v[6:7], v[136:137]
	v_add_f64_e32 v[160:161], v[192:193], v[190:191]
	v_add_f64_e32 v[182:183], v[182:183], v[188:189]
	s_wait_loadcnt_dscnt 0xb00
	v_mul_f64_e32 v[188:189], v[126:127], v[140:141]
	v_mul_f64_e32 v[140:141], v[128:129], v[140:141]
	v_fmac_f64_e32 v[184:185], v[6:7], v[134:135]
	v_fma_f64 v[190:191], v[4:5], v[134:135], -v[136:137]
	ds_load_b128 v[4:7], v2 offset:1280
	ds_load_b128 v[134:137], v2 offset:1296
	v_add_f64_e32 v[192:193], v[160:161], v[158:159]
	v_add_f64_e32 v[182:183], v[182:183], v[186:187]
	scratch_load_b128 v[158:161], off, off offset:544
	s_wait_loadcnt_dscnt 0xb01
	v_mul_f64_e32 v[186:187], v[4:5], v[144:145]
	v_mul_f64_e32 v[144:145], v[6:7], v[144:145]
	v_fmac_f64_e32 v[188:189], v[128:129], v[138:139]
	v_fma_f64 v[138:139], v[126:127], v[138:139], -v[140:141]
	scratch_load_b128 v[126:129], off, off offset:560
	v_add_f64_e32 v[140:141], v[192:193], v[190:191]
	v_add_f64_e32 v[182:183], v[182:183], v[184:185]
	s_wait_loadcnt_dscnt 0xb00
	v_mul_f64_e32 v[184:185], v[134:135], v[148:149]
	v_mul_f64_e32 v[148:149], v[136:137], v[148:149]
	v_fmac_f64_e32 v[186:187], v[6:7], v[142:143]
	v_fma_f64 v[190:191], v[4:5], v[142:143], -v[144:145]
	v_add_f64_e32 v[192:193], v[140:141], v[138:139]
	v_add_f64_e32 v[182:183], v[182:183], v[188:189]
	ds_load_b128 v[4:7], v2 offset:1312
	ds_load_b128 v[138:141], v2 offset:1328
	scratch_load_b128 v[142:145], off, off offset:576
	v_fmac_f64_e32 v[184:185], v[136:137], v[146:147]
	v_fma_f64 v[146:147], v[134:135], v[146:147], -v[148:149]
	scratch_load_b128 v[134:137], off, off offset:592
	s_wait_loadcnt_dscnt 0xc01
	v_mul_f64_e32 v[188:189], v[4:5], v[152:153]
	v_mul_f64_e32 v[152:153], v[6:7], v[152:153]
	v_add_f64_e32 v[148:149], v[192:193], v[190:191]
	v_add_f64_e32 v[182:183], v[182:183], v[186:187]
	s_wait_loadcnt_dscnt 0xb00
	v_mul_f64_e32 v[186:187], v[138:139], v[156:157]
	v_mul_f64_e32 v[156:157], v[140:141], v[156:157]
	v_fmac_f64_e32 v[188:189], v[6:7], v[150:151]
	v_fma_f64 v[190:191], v[4:5], v[150:151], -v[152:153]
	v_add_f64_e32 v[192:193], v[148:149], v[146:147]
	v_add_f64_e32 v[182:183], v[182:183], v[184:185]
	ds_load_b128 v[4:7], v2 offset:1344
	ds_load_b128 v[146:149], v2 offset:1360
	scratch_load_b128 v[150:153], off, off offset:608
	v_fmac_f64_e32 v[186:187], v[140:141], v[154:155]
	v_fma_f64 v[154:155], v[138:139], v[154:155], -v[156:157]
	scratch_load_b128 v[138:141], off, off offset:624
	s_wait_loadcnt_dscnt 0xc01
	v_mul_f64_e32 v[184:185], v[4:5], v[164:165]
	v_mul_f64_e32 v[164:165], v[6:7], v[164:165]
	;; [unrolled: 18-line block ×5, first 2 shown]
	v_add_f64_e32 v[176:177], v[192:193], v[190:191]
	v_add_f64_e32 v[182:183], v[182:183], v[188:189]
	s_wait_loadcnt_dscnt 0xa00
	v_mul_f64_e32 v[188:189], v[154:155], v[128:129]
	v_mul_f64_e32 v[128:129], v[156:157], v[128:129]
	v_fmac_f64_e32 v[184:185], v[6:7], v[158:159]
	v_fma_f64 v[190:191], v[4:5], v[158:159], -v[160:161]
	ds_load_b128 v[4:7], v2 offset:1472
	ds_load_b128 v[158:161], v2 offset:1488
	v_add_f64_e32 v[192:193], v[176:177], v[174:175]
	v_add_f64_e32 v[182:183], v[182:183], v[186:187]
	scratch_load_b128 v[174:177], off, off offset:736
	v_fmac_f64_e32 v[188:189], v[156:157], v[126:127]
	v_fma_f64 v[154:155], v[154:155], v[126:127], -v[128:129]
	scratch_load_b128 v[126:129], off, off offset:752
	s_wait_loadcnt_dscnt 0xb01
	v_mul_f64_e32 v[186:187], v[4:5], v[144:145]
	v_mul_f64_e32 v[144:145], v[6:7], v[144:145]
	v_add_f64_e32 v[156:157], v[192:193], v[190:191]
	v_add_f64_e32 v[182:183], v[182:183], v[184:185]
	s_wait_loadcnt_dscnt 0xa00
	v_mul_f64_e32 v[184:185], v[158:159], v[136:137]
	v_mul_f64_e32 v[136:137], v[160:161], v[136:137]
	v_fmac_f64_e32 v[186:187], v[6:7], v[142:143]
	v_fma_f64 v[190:191], v[4:5], v[142:143], -v[144:145]
	ds_load_b128 v[4:7], v2 offset:1504
	ds_load_b128 v[142:145], v2 offset:1520
	v_add_f64_e32 v[192:193], v[156:157], v[154:155]
	v_add_f64_e32 v[182:183], v[182:183], v[188:189]
	scratch_load_b128 v[154:157], off, off offset:768
	s_wait_loadcnt_dscnt 0xa01
	v_mul_f64_e32 v[188:189], v[4:5], v[152:153]
	v_mul_f64_e32 v[152:153], v[6:7], v[152:153]
	v_fmac_f64_e32 v[184:185], v[160:161], v[134:135]
	v_fma_f64 v[158:159], v[158:159], v[134:135], -v[136:137]
	scratch_load_b128 v[134:137], off, off offset:784
	v_add_f64_e32 v[160:161], v[192:193], v[190:191]
	v_add_f64_e32 v[182:183], v[182:183], v[186:187]
	s_wait_loadcnt_dscnt 0xa00
	v_mul_f64_e32 v[186:187], v[142:143], v[140:141]
	v_mul_f64_e32 v[140:141], v[144:145], v[140:141]
	v_fmac_f64_e32 v[188:189], v[6:7], v[150:151]
	v_fma_f64 v[190:191], v[4:5], v[150:151], -v[152:153]
	ds_load_b128 v[4:7], v2 offset:1536
	ds_load_b128 v[150:153], v2 offset:1552
	v_add_f64_e32 v[192:193], v[160:161], v[158:159]
	v_add_f64_e32 v[182:183], v[182:183], v[184:185]
	scratch_load_b128 v[158:161], off, off offset:800
	s_wait_loadcnt_dscnt 0xa01
	v_mul_f64_e32 v[184:185], v[4:5], v[164:165]
	v_mul_f64_e32 v[164:165], v[6:7], v[164:165]
	v_fmac_f64_e32 v[186:187], v[144:145], v[138:139]
	v_fma_f64 v[142:143], v[142:143], v[138:139], -v[140:141]
	scratch_load_b128 v[138:141], off, off offset:816
	v_add_f64_e32 v[144:145], v[192:193], v[190:191]
	v_add_f64_e32 v[182:183], v[182:183], v[188:189]
	s_wait_loadcnt_dscnt 0xa00
	v_mul_f64_e32 v[188:189], v[150:151], v[148:149]
	v_mul_f64_e32 v[148:149], v[152:153], v[148:149]
	v_fmac_f64_e32 v[184:185], v[6:7], v[162:163]
	v_fma_f64 v[190:191], v[4:5], v[162:163], -v[164:165]
	v_add_f64_e32 v[192:193], v[144:145], v[142:143]
	v_add_f64_e32 v[182:183], v[182:183], v[186:187]
	ds_load_b128 v[4:7], v2 offset:1568
	ds_load_b128 v[142:145], v2 offset:1584
	scratch_load_b128 v[162:165], off, off offset:832
	v_fmac_f64_e32 v[188:189], v[152:153], v[146:147]
	v_fma_f64 v[150:151], v[150:151], v[146:147], -v[148:149]
	scratch_load_b128 v[146:149], off, off offset:848
	s_wait_loadcnt_dscnt 0xb01
	v_mul_f64_e32 v[186:187], v[4:5], v[180:181]
	v_mul_f64_e32 v[180:181], v[6:7], v[180:181]
	v_add_f64_e32 v[152:153], v[192:193], v[190:191]
	v_add_f64_e32 v[182:183], v[182:183], v[184:185]
	s_wait_loadcnt_dscnt 0xa00
	v_mul_f64_e32 v[184:185], v[142:143], v[10:11]
	v_mul_f64_e32 v[10:11], v[144:145], v[10:11]
	v_fmac_f64_e32 v[186:187], v[6:7], v[178:179]
	v_fma_f64 v[190:191], v[4:5], v[178:179], -v[180:181]
	v_add_f64_e32 v[192:193], v[152:153], v[150:151]
	v_add_f64_e32 v[182:183], v[182:183], v[188:189]
	ds_load_b128 v[4:7], v2 offset:1600
	ds_load_b128 v[150:153], v2 offset:1616
	scratch_load_b128 v[178:181], off, off offset:864
	v_fmac_f64_e32 v[184:185], v[144:145], v[8:9]
	v_fma_f64 v[142:143], v[142:143], v[8:9], -v[10:11]
	scratch_load_b128 v[8:11], off, off offset:880
	s_wait_loadcnt_dscnt 0xb01
	v_mul_f64_e32 v[188:189], v[4:5], v[168:169]
	v_mul_f64_e32 v[168:169], v[6:7], v[168:169]
	v_add_f64_e32 v[144:145], v[192:193], v[190:191]
	v_add_f64_e32 v[182:183], v[182:183], v[186:187]
	s_wait_loadcnt_dscnt 0xa00
	v_mul_f64_e32 v[186:187], v[150:151], v[132:133]
	v_mul_f64_e32 v[132:133], v[152:153], v[132:133]
	v_fmac_f64_e32 v[188:189], v[6:7], v[166:167]
	v_fma_f64 v[166:167], v[4:5], v[166:167], -v[168:169]
	v_add_f64_e32 v[168:169], v[144:145], v[142:143]
	v_add_f64_e32 v[182:183], v[182:183], v[184:185]
	ds_load_b128 v[4:7], v2 offset:1632
	ds_load_b128 v[142:145], v2 offset:1648
	v_fmac_f64_e32 v[186:187], v[152:153], v[130:131]
	v_fma_f64 v[130:131], v[150:151], v[130:131], -v[132:133]
	s_wait_loadcnt_dscnt 0x901
	v_mul_f64_e32 v[184:185], v[4:5], v[176:177]
	v_mul_f64_e32 v[176:177], v[6:7], v[176:177]
	s_wait_loadcnt_dscnt 0x800
	v_mul_f64_e32 v[152:153], v[142:143], v[128:129]
	v_add_f64_e32 v[132:133], v[168:169], v[166:167]
	v_add_f64_e32 v[150:151], v[182:183], v[188:189]
	v_mul_f64_e32 v[166:167], v[144:145], v[128:129]
	v_fmac_f64_e32 v[184:185], v[6:7], v[174:175]
	v_fma_f64 v[168:169], v[4:5], v[174:175], -v[176:177]
	v_fmac_f64_e32 v[152:153], v[144:145], v[126:127]
	v_add_f64_e32 v[132:133], v[132:133], v[130:131]
	v_add_f64_e32 v[150:151], v[150:151], v[186:187]
	ds_load_b128 v[4:7], v2 offset:1664
	ds_load_b128 v[128:131], v2 offset:1680
	v_fma_f64 v[126:127], v[142:143], v[126:127], -v[166:167]
	s_wait_loadcnt_dscnt 0x701
	v_mul_f64_e32 v[174:175], v[4:5], v[156:157]
	v_mul_f64_e32 v[156:157], v[6:7], v[156:157]
	v_add_f64_e32 v[132:133], v[132:133], v[168:169]
	v_add_f64_e32 v[142:143], v[150:151], v[184:185]
	s_wait_loadcnt_dscnt 0x600
	v_mul_f64_e32 v[150:151], v[128:129], v[136:137]
	v_mul_f64_e32 v[136:137], v[130:131], v[136:137]
	v_fmac_f64_e32 v[174:175], v[6:7], v[154:155]
	v_fma_f64 v[154:155], v[4:5], v[154:155], -v[156:157]
	v_add_f64_e32 v[126:127], v[132:133], v[126:127]
	v_add_f64_e32 v[132:133], v[142:143], v[152:153]
	ds_load_b128 v[4:7], v2 offset:1696
	ds_load_b128 v[142:145], v2 offset:1712
	v_fmac_f64_e32 v[150:151], v[130:131], v[134:135]
	v_fma_f64 v[128:129], v[128:129], v[134:135], -v[136:137]
	s_wait_loadcnt_dscnt 0x501
	v_mul_f64_e32 v[152:153], v[4:5], v[160:161]
	v_mul_f64_e32 v[156:157], v[6:7], v[160:161]
	s_wait_loadcnt_dscnt 0x400
	v_mul_f64_e32 v[134:135], v[144:145], v[140:141]
	v_add_f64_e32 v[126:127], v[126:127], v[154:155]
	v_add_f64_e32 v[130:131], v[132:133], v[174:175]
	v_mul_f64_e32 v[132:133], v[142:143], v[140:141]
	v_fmac_f64_e32 v[152:153], v[6:7], v[158:159]
	v_fma_f64 v[136:137], v[4:5], v[158:159], -v[156:157]
	v_fma_f64 v[134:135], v[142:143], v[138:139], -v[134:135]
	v_add_f64_e32 v[140:141], v[126:127], v[128:129]
	v_add_f64_e32 v[130:131], v[130:131], v[150:151]
	ds_load_b128 v[4:7], v2 offset:1728
	ds_load_b128 v[126:129], v2 offset:1744
	v_fmac_f64_e32 v[132:133], v[144:145], v[138:139]
	s_wait_loadcnt_dscnt 0x301
	v_mul_f64_e32 v[150:151], v[4:5], v[164:165]
	v_mul_f64_e32 v[154:155], v[6:7], v[164:165]
	s_wait_loadcnt_dscnt 0x200
	v_mul_f64_e32 v[138:139], v[126:127], v[148:149]
	v_add_f64_e32 v[136:137], v[140:141], v[136:137]
	v_add_f64_e32 v[130:131], v[130:131], v[152:153]
	v_mul_f64_e32 v[140:141], v[128:129], v[148:149]
	v_fmac_f64_e32 v[150:151], v[6:7], v[162:163]
	v_fma_f64 v[142:143], v[4:5], v[162:163], -v[154:155]
	v_fmac_f64_e32 v[138:139], v[128:129], v[146:147]
	v_add_f64_e32 v[134:135], v[136:137], v[134:135]
	v_add_f64_e32 v[136:137], v[130:131], v[132:133]
	ds_load_b128 v[4:7], v2 offset:1760
	ds_load_b128 v[130:133], v2 offset:1776
	v_fma_f64 v[126:127], v[126:127], v[146:147], -v[140:141]
	s_wait_loadcnt_dscnt 0x101
	v_mul_f64_e32 v[2:3], v[4:5], v[180:181]
	v_mul_f64_e32 v[144:145], v[6:7], v[180:181]
	v_add_f64_e32 v[128:129], v[134:135], v[142:143]
	v_add_f64_e32 v[134:135], v[136:137], v[150:151]
	s_wait_loadcnt_dscnt 0x0
	v_mul_f64_e32 v[136:137], v[130:131], v[10:11]
	v_mul_f64_e32 v[10:11], v[132:133], v[10:11]
	v_fmac_f64_e32 v[2:3], v[6:7], v[178:179]
	v_fma_f64 v[4:5], v[4:5], v[178:179], -v[144:145]
	v_add_f64_e32 v[6:7], v[128:129], v[126:127]
	v_add_f64_e32 v[126:127], v[134:135], v[138:139]
	v_fmac_f64_e32 v[136:137], v[132:133], v[8:9]
	v_fma_f64 v[8:9], v[130:131], v[8:9], -v[10:11]
	s_delay_alu instid0(VALU_DEP_4) | instskip(NEXT) | instid1(VALU_DEP_4)
	v_add_f64_e32 v[4:5], v[6:7], v[4:5]
	v_add_f64_e32 v[2:3], v[126:127], v[2:3]
	s_delay_alu instid0(VALU_DEP_2) | instskip(NEXT) | instid1(VALU_DEP_2)
	v_add_f64_e32 v[4:5], v[4:5], v[8:9]
	v_add_f64_e32 v[6:7], v[2:3], v[136:137]
	s_delay_alu instid0(VALU_DEP_2) | instskip(NEXT) | instid1(VALU_DEP_2)
	v_add_f64_e64 v[2:3], v[170:171], -v[4:5]
	v_add_f64_e64 v[4:5], v[172:173], -v[6:7]
	scratch_store_b128 off, v[2:5], off offset:272
	s_wait_xcnt 0x0
	v_cmpx_lt_u32_e32 16, v1
	s_cbranch_execz .LBB55_317
; %bb.316:
	scratch_load_b128 v[2:5], off, s60
	v_mov_b32_e32 v6, 0
	s_delay_alu instid0(VALU_DEP_1)
	v_dual_mov_b32 v7, v6 :: v_dual_mov_b32 v8, v6
	v_mov_b32_e32 v9, v6
	scratch_store_b128 off, v[6:9], off offset:256
	s_wait_loadcnt 0x0
	ds_store_b128 v12, v[2:5]
.LBB55_317:
	s_wait_xcnt 0x0
	s_or_b32 exec_lo, exec_lo, s2
	s_wait_storecnt_dscnt 0x0
	s_barrier_signal -1
	s_barrier_wait -1
	s_clause 0x9
	scratch_load_b128 v[4:7], off, off offset:272
	scratch_load_b128 v[8:11], off, off offset:288
	;; [unrolled: 1-line block ×10, first 2 shown]
	v_mov_b32_e32 v2, 0
	s_mov_b32 s2, exec_lo
	ds_load_b128 v[158:161], v2 offset:1168
	s_clause 0x2
	scratch_load_b128 v[162:165], off, off offset:432
	scratch_load_b128 v[166:169], off, off offset:256
	;; [unrolled: 1-line block ×3, first 2 shown]
	s_wait_loadcnt_dscnt 0xc00
	v_mul_f64_e32 v[178:179], v[160:161], v[6:7]
	v_mul_f64_e32 v[182:183], v[158:159], v[6:7]
	ds_load_b128 v[170:173], v2 offset:1184
	v_fma_f64 v[186:187], v[158:159], v[4:5], -v[178:179]
	v_fmac_f64_e32 v[182:183], v[160:161], v[4:5]
	ds_load_b128 v[4:7], v2 offset:1200
	s_wait_loadcnt_dscnt 0xb01
	v_mul_f64_e32 v[184:185], v[170:171], v[10:11]
	v_mul_f64_e32 v[10:11], v[172:173], v[10:11]
	scratch_load_b128 v[158:161], off, off offset:464
	ds_load_b128 v[178:181], v2 offset:1216
	s_wait_loadcnt_dscnt 0xb01
	v_mul_f64_e32 v[188:189], v[4:5], v[128:129]
	v_mul_f64_e32 v[128:129], v[6:7], v[128:129]
	v_add_f64_e32 v[182:183], 0, v[182:183]
	v_fmac_f64_e32 v[184:185], v[172:173], v[8:9]
	v_fma_f64 v[170:171], v[170:171], v[8:9], -v[10:11]
	v_add_f64_e32 v[172:173], 0, v[186:187]
	scratch_load_b128 v[8:11], off, off offset:480
	v_fmac_f64_e32 v[188:189], v[6:7], v[126:127]
	v_fma_f64 v[190:191], v[4:5], v[126:127], -v[128:129]
	ds_load_b128 v[4:7], v2 offset:1232
	s_wait_loadcnt_dscnt 0xb01
	v_mul_f64_e32 v[186:187], v[178:179], v[132:133]
	v_mul_f64_e32 v[132:133], v[180:181], v[132:133]
	scratch_load_b128 v[126:129], off, off offset:496
	v_add_f64_e32 v[182:183], v[182:183], v[184:185]
	v_add_f64_e32 v[192:193], v[172:173], v[170:171]
	ds_load_b128 v[170:173], v2 offset:1248
	s_wait_loadcnt_dscnt 0xb01
	v_mul_f64_e32 v[184:185], v[4:5], v[136:137]
	v_mul_f64_e32 v[136:137], v[6:7], v[136:137]
	v_fmac_f64_e32 v[186:187], v[180:181], v[130:131]
	v_fma_f64 v[178:179], v[178:179], v[130:131], -v[132:133]
	scratch_load_b128 v[130:133], off, off offset:512
	v_add_f64_e32 v[182:183], v[182:183], v[188:189]
	v_add_f64_e32 v[180:181], v[192:193], v[190:191]
	v_fmac_f64_e32 v[184:185], v[6:7], v[134:135]
	v_fma_f64 v[190:191], v[4:5], v[134:135], -v[136:137]
	ds_load_b128 v[4:7], v2 offset:1264
	s_wait_loadcnt_dscnt 0xb01
	v_mul_f64_e32 v[188:189], v[170:171], v[140:141]
	v_mul_f64_e32 v[140:141], v[172:173], v[140:141]
	scratch_load_b128 v[134:137], off, off offset:528
	v_add_f64_e32 v[182:183], v[182:183], v[186:187]
	s_wait_loadcnt_dscnt 0xb00
	v_mul_f64_e32 v[186:187], v[4:5], v[144:145]
	v_add_f64_e32 v[192:193], v[180:181], v[178:179]
	v_mul_f64_e32 v[144:145], v[6:7], v[144:145]
	ds_load_b128 v[178:181], v2 offset:1280
	v_fmac_f64_e32 v[188:189], v[172:173], v[138:139]
	v_fma_f64 v[170:171], v[170:171], v[138:139], -v[140:141]
	scratch_load_b128 v[138:141], off, off offset:544
	v_add_f64_e32 v[182:183], v[182:183], v[184:185]
	v_fmac_f64_e32 v[186:187], v[6:7], v[142:143]
	v_add_f64_e32 v[172:173], v[192:193], v[190:191]
	v_fma_f64 v[190:191], v[4:5], v[142:143], -v[144:145]
	ds_load_b128 v[4:7], v2 offset:1296
	s_wait_loadcnt_dscnt 0xb01
	v_mul_f64_e32 v[184:185], v[178:179], v[148:149]
	v_mul_f64_e32 v[148:149], v[180:181], v[148:149]
	scratch_load_b128 v[142:145], off, off offset:560
	v_add_f64_e32 v[182:183], v[182:183], v[188:189]
	s_wait_loadcnt_dscnt 0xb00
	v_mul_f64_e32 v[188:189], v[4:5], v[152:153]
	v_add_f64_e32 v[192:193], v[172:173], v[170:171]
	v_mul_f64_e32 v[152:153], v[6:7], v[152:153]
	ds_load_b128 v[170:173], v2 offset:1312
	v_fmac_f64_e32 v[184:185], v[180:181], v[146:147]
	v_fma_f64 v[178:179], v[178:179], v[146:147], -v[148:149]
	scratch_load_b128 v[146:149], off, off offset:576
	v_add_f64_e32 v[182:183], v[182:183], v[186:187]
	v_fmac_f64_e32 v[188:189], v[6:7], v[150:151]
	v_add_f64_e32 v[180:181], v[192:193], v[190:191]
	;; [unrolled: 18-line block ×3, first 2 shown]
	v_fma_f64 v[190:191], v[4:5], v[162:163], -v[164:165]
	ds_load_b128 v[4:7], v2 offset:1360
	s_wait_loadcnt_dscnt 0xa01
	v_mul_f64_e32 v[188:189], v[178:179], v[176:177]
	v_mul_f64_e32 v[176:177], v[180:181], v[176:177]
	scratch_load_b128 v[162:165], off, off offset:624
	v_add_f64_e32 v[182:183], v[182:183], v[186:187]
	v_add_f64_e32 v[192:193], v[172:173], v[170:171]
	s_wait_loadcnt_dscnt 0xa00
	v_mul_f64_e32 v[186:187], v[4:5], v[160:161]
	v_mul_f64_e32 v[160:161], v[6:7], v[160:161]
	v_fmac_f64_e32 v[188:189], v[180:181], v[174:175]
	v_fma_f64 v[178:179], v[178:179], v[174:175], -v[176:177]
	ds_load_b128 v[170:173], v2 offset:1376
	scratch_load_b128 v[174:177], off, off offset:640
	v_add_f64_e32 v[182:183], v[182:183], v[184:185]
	v_add_f64_e32 v[180:181], v[192:193], v[190:191]
	v_fmac_f64_e32 v[186:187], v[6:7], v[158:159]
	v_fma_f64 v[190:191], v[4:5], v[158:159], -v[160:161]
	ds_load_b128 v[4:7], v2 offset:1392
	s_wait_loadcnt_dscnt 0xa01
	v_mul_f64_e32 v[184:185], v[170:171], v[10:11]
	v_mul_f64_e32 v[10:11], v[172:173], v[10:11]
	scratch_load_b128 v[158:161], off, off offset:656
	v_add_f64_e32 v[182:183], v[182:183], v[188:189]
	s_wait_loadcnt_dscnt 0xa00
	v_mul_f64_e32 v[188:189], v[4:5], v[128:129]
	v_add_f64_e32 v[192:193], v[180:181], v[178:179]
	v_mul_f64_e32 v[128:129], v[6:7], v[128:129]
	ds_load_b128 v[178:181], v2 offset:1408
	v_fmac_f64_e32 v[184:185], v[172:173], v[8:9]
	v_fma_f64 v[170:171], v[170:171], v[8:9], -v[10:11]
	scratch_load_b128 v[8:11], off, off offset:672
	v_add_f64_e32 v[182:183], v[182:183], v[186:187]
	v_fmac_f64_e32 v[188:189], v[6:7], v[126:127]
	v_add_f64_e32 v[172:173], v[192:193], v[190:191]
	v_fma_f64 v[190:191], v[4:5], v[126:127], -v[128:129]
	ds_load_b128 v[4:7], v2 offset:1424
	s_wait_loadcnt_dscnt 0xa01
	v_mul_f64_e32 v[186:187], v[178:179], v[132:133]
	v_mul_f64_e32 v[132:133], v[180:181], v[132:133]
	scratch_load_b128 v[126:129], off, off offset:688
	v_add_f64_e32 v[182:183], v[182:183], v[184:185]
	s_wait_loadcnt_dscnt 0xa00
	v_mul_f64_e32 v[184:185], v[4:5], v[136:137]
	v_add_f64_e32 v[192:193], v[172:173], v[170:171]
	v_mul_f64_e32 v[136:137], v[6:7], v[136:137]
	ds_load_b128 v[170:173], v2 offset:1440
	v_fmac_f64_e32 v[186:187], v[180:181], v[130:131]
	v_fma_f64 v[178:179], v[178:179], v[130:131], -v[132:133]
	scratch_load_b128 v[130:133], off, off offset:704
	v_add_f64_e32 v[182:183], v[182:183], v[188:189]
	v_fmac_f64_e32 v[184:185], v[6:7], v[134:135]
	v_add_f64_e32 v[180:181], v[192:193], v[190:191]
	v_fma_f64 v[190:191], v[4:5], v[134:135], -v[136:137]
	ds_load_b128 v[4:7], v2 offset:1456
	s_wait_loadcnt_dscnt 0xa01
	v_mul_f64_e32 v[188:189], v[170:171], v[140:141]
	v_mul_f64_e32 v[140:141], v[172:173], v[140:141]
	scratch_load_b128 v[134:137], off, off offset:720
	v_add_f64_e32 v[182:183], v[182:183], v[186:187]
	s_wait_loadcnt_dscnt 0xa00
	v_mul_f64_e32 v[186:187], v[4:5], v[144:145]
	v_add_f64_e32 v[192:193], v[180:181], v[178:179]
	v_mul_f64_e32 v[144:145], v[6:7], v[144:145]
	ds_load_b128 v[178:181], v2 offset:1472
	v_fmac_f64_e32 v[188:189], v[172:173], v[138:139]
	v_fma_f64 v[170:171], v[170:171], v[138:139], -v[140:141]
	scratch_load_b128 v[138:141], off, off offset:736
	v_add_f64_e32 v[182:183], v[182:183], v[184:185]
	v_fmac_f64_e32 v[186:187], v[6:7], v[142:143]
	v_add_f64_e32 v[172:173], v[192:193], v[190:191]
	v_fma_f64 v[190:191], v[4:5], v[142:143], -v[144:145]
	ds_load_b128 v[4:7], v2 offset:1488
	s_wait_loadcnt_dscnt 0xa01
	v_mul_f64_e32 v[184:185], v[178:179], v[148:149]
	v_mul_f64_e32 v[148:149], v[180:181], v[148:149]
	scratch_load_b128 v[142:145], off, off offset:752
	v_add_f64_e32 v[182:183], v[182:183], v[188:189]
	s_wait_loadcnt_dscnt 0xa00
	v_mul_f64_e32 v[188:189], v[4:5], v[152:153]
	v_add_f64_e32 v[192:193], v[172:173], v[170:171]
	v_mul_f64_e32 v[152:153], v[6:7], v[152:153]
	ds_load_b128 v[170:173], v2 offset:1504
	v_fmac_f64_e32 v[184:185], v[180:181], v[146:147]
	v_fma_f64 v[178:179], v[178:179], v[146:147], -v[148:149]
	scratch_load_b128 v[146:149], off, off offset:768
	v_add_f64_e32 v[182:183], v[182:183], v[186:187]
	v_fmac_f64_e32 v[188:189], v[6:7], v[150:151]
	v_add_f64_e32 v[180:181], v[192:193], v[190:191]
	v_fma_f64 v[190:191], v[4:5], v[150:151], -v[152:153]
	ds_load_b128 v[4:7], v2 offset:1520
	s_wait_loadcnt_dscnt 0xa01
	v_mul_f64_e32 v[186:187], v[170:171], v[156:157]
	v_mul_f64_e32 v[156:157], v[172:173], v[156:157]
	scratch_load_b128 v[150:153], off, off offset:784
	v_add_f64_e32 v[182:183], v[182:183], v[184:185]
	s_wait_loadcnt_dscnt 0xa00
	v_mul_f64_e32 v[184:185], v[4:5], v[164:165]
	v_add_f64_e32 v[192:193], v[180:181], v[178:179]
	v_mul_f64_e32 v[164:165], v[6:7], v[164:165]
	ds_load_b128 v[178:181], v2 offset:1536
	v_fmac_f64_e32 v[186:187], v[172:173], v[154:155]
	v_fma_f64 v[170:171], v[170:171], v[154:155], -v[156:157]
	scratch_load_b128 v[154:157], off, off offset:800
	v_add_f64_e32 v[182:183], v[182:183], v[188:189]
	v_fmac_f64_e32 v[184:185], v[6:7], v[162:163]
	v_add_f64_e32 v[172:173], v[192:193], v[190:191]
	v_fma_f64 v[190:191], v[4:5], v[162:163], -v[164:165]
	ds_load_b128 v[4:7], v2 offset:1552
	s_wait_loadcnt_dscnt 0xa01
	v_mul_f64_e32 v[188:189], v[178:179], v[176:177]
	v_mul_f64_e32 v[176:177], v[180:181], v[176:177]
	scratch_load_b128 v[162:165], off, off offset:816
	v_add_f64_e32 v[182:183], v[182:183], v[186:187]
	s_wait_loadcnt_dscnt 0xa00
	v_mul_f64_e32 v[186:187], v[4:5], v[160:161]
	v_add_f64_e32 v[192:193], v[172:173], v[170:171]
	v_mul_f64_e32 v[160:161], v[6:7], v[160:161]
	ds_load_b128 v[170:173], v2 offset:1568
	v_fmac_f64_e32 v[188:189], v[180:181], v[174:175]
	v_fma_f64 v[178:179], v[178:179], v[174:175], -v[176:177]
	scratch_load_b128 v[174:177], off, off offset:832
	v_add_f64_e32 v[182:183], v[182:183], v[184:185]
	v_fmac_f64_e32 v[186:187], v[6:7], v[158:159]
	v_add_f64_e32 v[180:181], v[192:193], v[190:191]
	v_fma_f64 v[190:191], v[4:5], v[158:159], -v[160:161]
	ds_load_b128 v[4:7], v2 offset:1584
	s_wait_loadcnt_dscnt 0xa01
	v_mul_f64_e32 v[184:185], v[170:171], v[10:11]
	v_mul_f64_e32 v[10:11], v[172:173], v[10:11]
	scratch_load_b128 v[158:161], off, off offset:848
	v_add_f64_e32 v[182:183], v[182:183], v[188:189]
	s_wait_loadcnt_dscnt 0xa00
	v_mul_f64_e32 v[188:189], v[4:5], v[128:129]
	v_add_f64_e32 v[192:193], v[180:181], v[178:179]
	v_mul_f64_e32 v[128:129], v[6:7], v[128:129]
	ds_load_b128 v[178:181], v2 offset:1600
	v_fmac_f64_e32 v[184:185], v[172:173], v[8:9]
	v_fma_f64 v[170:171], v[170:171], v[8:9], -v[10:11]
	scratch_load_b128 v[8:11], off, off offset:864
	v_add_f64_e32 v[182:183], v[182:183], v[186:187]
	v_fmac_f64_e32 v[188:189], v[6:7], v[126:127]
	v_add_f64_e32 v[172:173], v[192:193], v[190:191]
	v_fma_f64 v[190:191], v[4:5], v[126:127], -v[128:129]
	ds_load_b128 v[4:7], v2 offset:1616
	s_wait_loadcnt_dscnt 0xa01
	v_mul_f64_e32 v[186:187], v[178:179], v[132:133]
	v_mul_f64_e32 v[132:133], v[180:181], v[132:133]
	scratch_load_b128 v[126:129], off, off offset:880
	v_add_f64_e32 v[182:183], v[182:183], v[184:185]
	s_wait_loadcnt_dscnt 0xa00
	v_mul_f64_e32 v[184:185], v[4:5], v[136:137]
	v_add_f64_e32 v[192:193], v[172:173], v[170:171]
	v_mul_f64_e32 v[136:137], v[6:7], v[136:137]
	ds_load_b128 v[170:173], v2 offset:1632
	v_fmac_f64_e32 v[186:187], v[180:181], v[130:131]
	v_fma_f64 v[130:131], v[178:179], v[130:131], -v[132:133]
	s_wait_loadcnt_dscnt 0x900
	v_mul_f64_e32 v[180:181], v[170:171], v[140:141]
	v_mul_f64_e32 v[140:141], v[172:173], v[140:141]
	v_add_f64_e32 v[178:179], v[182:183], v[188:189]
	v_fmac_f64_e32 v[184:185], v[6:7], v[134:135]
	v_add_f64_e32 v[132:133], v[192:193], v[190:191]
	v_fma_f64 v[134:135], v[4:5], v[134:135], -v[136:137]
	v_fmac_f64_e32 v[180:181], v[172:173], v[138:139]
	v_fma_f64 v[138:139], v[170:171], v[138:139], -v[140:141]
	v_add_f64_e32 v[178:179], v[178:179], v[186:187]
	v_add_f64_e32 v[136:137], v[132:133], v[130:131]
	ds_load_b128 v[4:7], v2 offset:1648
	ds_load_b128 v[130:133], v2 offset:1664
	s_wait_loadcnt_dscnt 0x801
	v_mul_f64_e32 v[182:183], v[4:5], v[144:145]
	v_mul_f64_e32 v[144:145], v[6:7], v[144:145]
	s_wait_loadcnt_dscnt 0x700
	v_mul_f64_e32 v[140:141], v[130:131], v[148:149]
	v_mul_f64_e32 v[148:149], v[132:133], v[148:149]
	v_add_f64_e32 v[134:135], v[136:137], v[134:135]
	v_add_f64_e32 v[136:137], v[178:179], v[184:185]
	v_fmac_f64_e32 v[182:183], v[6:7], v[142:143]
	v_fma_f64 v[142:143], v[4:5], v[142:143], -v[144:145]
	v_fmac_f64_e32 v[140:141], v[132:133], v[146:147]
	v_fma_f64 v[130:131], v[130:131], v[146:147], -v[148:149]
	v_add_f64_e32 v[138:139], v[134:135], v[138:139]
	v_add_f64_e32 v[144:145], v[136:137], v[180:181]
	ds_load_b128 v[4:7], v2 offset:1680
	ds_load_b128 v[134:137], v2 offset:1696
	s_wait_loadcnt_dscnt 0x601
	v_mul_f64_e32 v[170:171], v[4:5], v[152:153]
	v_mul_f64_e32 v[152:153], v[6:7], v[152:153]
	v_add_f64_e32 v[132:133], v[138:139], v[142:143]
	v_add_f64_e32 v[138:139], v[144:145], v[182:183]
	s_wait_loadcnt_dscnt 0x500
	v_mul_f64_e32 v[142:143], v[134:135], v[156:157]
	v_mul_f64_e32 v[144:145], v[136:137], v[156:157]
	v_fmac_f64_e32 v[170:171], v[6:7], v[150:151]
	v_fma_f64 v[146:147], v[4:5], v[150:151], -v[152:153]
	v_add_f64_e32 v[148:149], v[132:133], v[130:131]
	v_add_f64_e32 v[138:139], v[138:139], v[140:141]
	ds_load_b128 v[4:7], v2 offset:1712
	ds_load_b128 v[130:133], v2 offset:1728
	v_fmac_f64_e32 v[142:143], v[136:137], v[154:155]
	v_fma_f64 v[134:135], v[134:135], v[154:155], -v[144:145]
	s_wait_loadcnt_dscnt 0x401
	v_mul_f64_e32 v[140:141], v[4:5], v[164:165]
	v_mul_f64_e32 v[150:151], v[6:7], v[164:165]
	s_wait_loadcnt_dscnt 0x300
	v_mul_f64_e32 v[144:145], v[130:131], v[176:177]
	v_add_f64_e32 v[136:137], v[148:149], v[146:147]
	v_add_f64_e32 v[138:139], v[138:139], v[170:171]
	v_mul_f64_e32 v[146:147], v[132:133], v[176:177]
	v_fmac_f64_e32 v[140:141], v[6:7], v[162:163]
	v_fma_f64 v[148:149], v[4:5], v[162:163], -v[150:151]
	v_fmac_f64_e32 v[144:145], v[132:133], v[174:175]
	v_add_f64_e32 v[150:151], v[136:137], v[134:135]
	v_add_f64_e32 v[138:139], v[138:139], v[142:143]
	ds_load_b128 v[4:7], v2 offset:1744
	ds_load_b128 v[134:137], v2 offset:1760
	v_fma_f64 v[130:131], v[130:131], v[174:175], -v[146:147]
	s_wait_loadcnt_dscnt 0x201
	v_mul_f64_e32 v[142:143], v[4:5], v[160:161]
	v_mul_f64_e32 v[152:153], v[6:7], v[160:161]
	v_add_f64_e32 v[132:133], v[150:151], v[148:149]
	v_add_f64_e32 v[138:139], v[138:139], v[140:141]
	s_wait_loadcnt_dscnt 0x100
	v_mul_f64_e32 v[140:141], v[134:135], v[10:11]
	v_mul_f64_e32 v[10:11], v[136:137], v[10:11]
	v_fmac_f64_e32 v[142:143], v[6:7], v[158:159]
	v_fma_f64 v[146:147], v[4:5], v[158:159], -v[152:153]
	ds_load_b128 v[4:7], v2 offset:1776
	v_add_f64_e32 v[130:131], v[132:133], v[130:131]
	v_add_f64_e32 v[132:133], v[138:139], v[144:145]
	v_fmac_f64_e32 v[140:141], v[136:137], v[8:9]
	v_fma_f64 v[8:9], v[134:135], v[8:9], -v[10:11]
	s_wait_loadcnt_dscnt 0x0
	v_mul_f64_e32 v[138:139], v[4:5], v[128:129]
	v_mul_f64_e32 v[128:129], v[6:7], v[128:129]
	v_add_f64_e32 v[10:11], v[130:131], v[146:147]
	v_add_f64_e32 v[130:131], v[132:133], v[142:143]
	s_delay_alu instid0(VALU_DEP_4) | instskip(NEXT) | instid1(VALU_DEP_4)
	v_fmac_f64_e32 v[138:139], v[6:7], v[126:127]
	v_fma_f64 v[4:5], v[4:5], v[126:127], -v[128:129]
	s_delay_alu instid0(VALU_DEP_4) | instskip(NEXT) | instid1(VALU_DEP_4)
	v_add_f64_e32 v[6:7], v[10:11], v[8:9]
	v_add_f64_e32 v[8:9], v[130:131], v[140:141]
	s_delay_alu instid0(VALU_DEP_2) | instskip(NEXT) | instid1(VALU_DEP_2)
	v_add_f64_e32 v[4:5], v[6:7], v[4:5]
	v_add_f64_e32 v[6:7], v[8:9], v[138:139]
	s_delay_alu instid0(VALU_DEP_2) | instskip(NEXT) | instid1(VALU_DEP_2)
	v_add_f64_e64 v[4:5], v[166:167], -v[4:5]
	v_add_f64_e64 v[6:7], v[168:169], -v[6:7]
	scratch_store_b128 off, v[4:7], off offset:256
	s_wait_xcnt 0x0
	v_cmpx_lt_u32_e32 15, v1
	s_cbranch_execz .LBB55_319
; %bb.318:
	scratch_load_b128 v[6:9], off, s58
	v_dual_mov_b32 v3, v2 :: v_dual_mov_b32 v4, v2
	v_mov_b32_e32 v5, v2
	scratch_store_b128 off, v[2:5], off offset:240
	s_wait_loadcnt 0x0
	ds_store_b128 v12, v[6:9]
.LBB55_319:
	s_wait_xcnt 0x0
	s_or_b32 exec_lo, exec_lo, s2
	s_wait_storecnt_dscnt 0x0
	s_barrier_signal -1
	s_barrier_wait -1
	s_clause 0x9
	scratch_load_b128 v[4:7], off, off offset:256
	scratch_load_b128 v[8:11], off, off offset:272
	;; [unrolled: 1-line block ×10, first 2 shown]
	ds_load_b128 v[158:161], v2 offset:1152
	ds_load_b128 v[166:169], v2 offset:1168
	s_clause 0x2
	scratch_load_b128 v[162:165], off, off offset:416
	scratch_load_b128 v[170:173], off, off offset:240
	scratch_load_b128 v[174:177], off, off offset:432
	s_mov_b32 s2, exec_lo
	s_wait_loadcnt_dscnt 0xc01
	v_mul_f64_e32 v[178:179], v[160:161], v[6:7]
	v_mul_f64_e32 v[182:183], v[158:159], v[6:7]
	s_wait_loadcnt_dscnt 0xb00
	v_mul_f64_e32 v[184:185], v[166:167], v[10:11]
	v_mul_f64_e32 v[10:11], v[168:169], v[10:11]
	s_delay_alu instid0(VALU_DEP_4) | instskip(NEXT) | instid1(VALU_DEP_4)
	v_fma_f64 v[186:187], v[158:159], v[4:5], -v[178:179]
	v_fmac_f64_e32 v[182:183], v[160:161], v[4:5]
	ds_load_b128 v[4:7], v2 offset:1184
	ds_load_b128 v[158:161], v2 offset:1200
	scratch_load_b128 v[178:181], off, off offset:448
	v_fmac_f64_e32 v[184:185], v[168:169], v[8:9]
	v_fma_f64 v[166:167], v[166:167], v[8:9], -v[10:11]
	scratch_load_b128 v[8:11], off, off offset:464
	s_wait_loadcnt_dscnt 0xc01
	v_mul_f64_e32 v[188:189], v[4:5], v[128:129]
	v_mul_f64_e32 v[128:129], v[6:7], v[128:129]
	v_add_f64_e32 v[168:169], 0, v[186:187]
	v_add_f64_e32 v[182:183], 0, v[182:183]
	s_wait_loadcnt_dscnt 0xb00
	v_mul_f64_e32 v[186:187], v[158:159], v[132:133]
	v_mul_f64_e32 v[132:133], v[160:161], v[132:133]
	v_fmac_f64_e32 v[188:189], v[6:7], v[126:127]
	v_fma_f64 v[190:191], v[4:5], v[126:127], -v[128:129]
	ds_load_b128 v[4:7], v2 offset:1216
	ds_load_b128 v[126:129], v2 offset:1232
	v_add_f64_e32 v[192:193], v[168:169], v[166:167]
	v_add_f64_e32 v[182:183], v[182:183], v[184:185]
	scratch_load_b128 v[166:169], off, off offset:480
	v_fmac_f64_e32 v[186:187], v[160:161], v[130:131]
	v_fma_f64 v[158:159], v[158:159], v[130:131], -v[132:133]
	scratch_load_b128 v[130:133], off, off offset:496
	s_wait_loadcnt_dscnt 0xc01
	v_mul_f64_e32 v[184:185], v[4:5], v[136:137]
	v_mul_f64_e32 v[136:137], v[6:7], v[136:137]
	v_add_f64_e32 v[160:161], v[192:193], v[190:191]
	v_add_f64_e32 v[182:183], v[182:183], v[188:189]
	s_wait_loadcnt_dscnt 0xb00
	v_mul_f64_e32 v[188:189], v[126:127], v[140:141]
	v_mul_f64_e32 v[140:141], v[128:129], v[140:141]
	v_fmac_f64_e32 v[184:185], v[6:7], v[134:135]
	v_fma_f64 v[190:191], v[4:5], v[134:135], -v[136:137]
	ds_load_b128 v[4:7], v2 offset:1248
	ds_load_b128 v[134:137], v2 offset:1264
	v_add_f64_e32 v[192:193], v[160:161], v[158:159]
	v_add_f64_e32 v[182:183], v[182:183], v[186:187]
	scratch_load_b128 v[158:161], off, off offset:512
	s_wait_loadcnt_dscnt 0xb01
	v_mul_f64_e32 v[186:187], v[4:5], v[144:145]
	v_mul_f64_e32 v[144:145], v[6:7], v[144:145]
	v_fmac_f64_e32 v[188:189], v[128:129], v[138:139]
	v_fma_f64 v[138:139], v[126:127], v[138:139], -v[140:141]
	scratch_load_b128 v[126:129], off, off offset:528
	v_add_f64_e32 v[140:141], v[192:193], v[190:191]
	v_add_f64_e32 v[182:183], v[182:183], v[184:185]
	s_wait_loadcnt_dscnt 0xb00
	v_mul_f64_e32 v[184:185], v[134:135], v[148:149]
	v_mul_f64_e32 v[148:149], v[136:137], v[148:149]
	v_fmac_f64_e32 v[186:187], v[6:7], v[142:143]
	v_fma_f64 v[190:191], v[4:5], v[142:143], -v[144:145]
	v_add_f64_e32 v[192:193], v[140:141], v[138:139]
	v_add_f64_e32 v[182:183], v[182:183], v[188:189]
	ds_load_b128 v[4:7], v2 offset:1280
	ds_load_b128 v[138:141], v2 offset:1296
	scratch_load_b128 v[142:145], off, off offset:544
	v_fmac_f64_e32 v[184:185], v[136:137], v[146:147]
	v_fma_f64 v[146:147], v[134:135], v[146:147], -v[148:149]
	scratch_load_b128 v[134:137], off, off offset:560
	s_wait_loadcnt_dscnt 0xc01
	v_mul_f64_e32 v[188:189], v[4:5], v[152:153]
	v_mul_f64_e32 v[152:153], v[6:7], v[152:153]
	v_add_f64_e32 v[148:149], v[192:193], v[190:191]
	v_add_f64_e32 v[182:183], v[182:183], v[186:187]
	s_wait_loadcnt_dscnt 0xb00
	v_mul_f64_e32 v[186:187], v[138:139], v[156:157]
	v_mul_f64_e32 v[156:157], v[140:141], v[156:157]
	v_fmac_f64_e32 v[188:189], v[6:7], v[150:151]
	v_fma_f64 v[190:191], v[4:5], v[150:151], -v[152:153]
	v_add_f64_e32 v[192:193], v[148:149], v[146:147]
	v_add_f64_e32 v[182:183], v[182:183], v[184:185]
	ds_load_b128 v[4:7], v2 offset:1312
	ds_load_b128 v[146:149], v2 offset:1328
	scratch_load_b128 v[150:153], off, off offset:576
	v_fmac_f64_e32 v[186:187], v[140:141], v[154:155]
	v_fma_f64 v[154:155], v[138:139], v[154:155], -v[156:157]
	scratch_load_b128 v[138:141], off, off offset:592
	s_wait_loadcnt_dscnt 0xc01
	v_mul_f64_e32 v[184:185], v[4:5], v[164:165]
	v_mul_f64_e32 v[164:165], v[6:7], v[164:165]
	;; [unrolled: 18-line block ×5, first 2 shown]
	v_add_f64_e32 v[176:177], v[192:193], v[190:191]
	v_add_f64_e32 v[182:183], v[182:183], v[188:189]
	s_wait_loadcnt_dscnt 0xa00
	v_mul_f64_e32 v[188:189], v[154:155], v[128:129]
	v_mul_f64_e32 v[128:129], v[156:157], v[128:129]
	v_fmac_f64_e32 v[184:185], v[6:7], v[158:159]
	v_fma_f64 v[190:191], v[4:5], v[158:159], -v[160:161]
	ds_load_b128 v[4:7], v2 offset:1440
	ds_load_b128 v[158:161], v2 offset:1456
	v_add_f64_e32 v[192:193], v[176:177], v[174:175]
	v_add_f64_e32 v[182:183], v[182:183], v[186:187]
	scratch_load_b128 v[174:177], off, off offset:704
	v_fmac_f64_e32 v[188:189], v[156:157], v[126:127]
	v_fma_f64 v[154:155], v[154:155], v[126:127], -v[128:129]
	scratch_load_b128 v[126:129], off, off offset:720
	s_wait_loadcnt_dscnt 0xb01
	v_mul_f64_e32 v[186:187], v[4:5], v[144:145]
	v_mul_f64_e32 v[144:145], v[6:7], v[144:145]
	v_add_f64_e32 v[156:157], v[192:193], v[190:191]
	v_add_f64_e32 v[182:183], v[182:183], v[184:185]
	s_wait_loadcnt_dscnt 0xa00
	v_mul_f64_e32 v[184:185], v[158:159], v[136:137]
	v_mul_f64_e32 v[136:137], v[160:161], v[136:137]
	v_fmac_f64_e32 v[186:187], v[6:7], v[142:143]
	v_fma_f64 v[190:191], v[4:5], v[142:143], -v[144:145]
	ds_load_b128 v[4:7], v2 offset:1472
	ds_load_b128 v[142:145], v2 offset:1488
	v_add_f64_e32 v[192:193], v[156:157], v[154:155]
	v_add_f64_e32 v[182:183], v[182:183], v[188:189]
	scratch_load_b128 v[154:157], off, off offset:736
	s_wait_loadcnt_dscnt 0xa01
	v_mul_f64_e32 v[188:189], v[4:5], v[152:153]
	v_mul_f64_e32 v[152:153], v[6:7], v[152:153]
	v_fmac_f64_e32 v[184:185], v[160:161], v[134:135]
	v_fma_f64 v[158:159], v[158:159], v[134:135], -v[136:137]
	scratch_load_b128 v[134:137], off, off offset:752
	v_add_f64_e32 v[160:161], v[192:193], v[190:191]
	v_add_f64_e32 v[182:183], v[182:183], v[186:187]
	s_wait_loadcnt_dscnt 0xa00
	v_mul_f64_e32 v[186:187], v[142:143], v[140:141]
	v_mul_f64_e32 v[140:141], v[144:145], v[140:141]
	v_fmac_f64_e32 v[188:189], v[6:7], v[150:151]
	v_fma_f64 v[190:191], v[4:5], v[150:151], -v[152:153]
	ds_load_b128 v[4:7], v2 offset:1504
	ds_load_b128 v[150:153], v2 offset:1520
	v_add_f64_e32 v[192:193], v[160:161], v[158:159]
	v_add_f64_e32 v[182:183], v[182:183], v[184:185]
	scratch_load_b128 v[158:161], off, off offset:768
	s_wait_loadcnt_dscnt 0xa01
	v_mul_f64_e32 v[184:185], v[4:5], v[164:165]
	v_mul_f64_e32 v[164:165], v[6:7], v[164:165]
	v_fmac_f64_e32 v[186:187], v[144:145], v[138:139]
	v_fma_f64 v[142:143], v[142:143], v[138:139], -v[140:141]
	scratch_load_b128 v[138:141], off, off offset:784
	v_add_f64_e32 v[144:145], v[192:193], v[190:191]
	v_add_f64_e32 v[182:183], v[182:183], v[188:189]
	s_wait_loadcnt_dscnt 0xa00
	v_mul_f64_e32 v[188:189], v[150:151], v[148:149]
	v_mul_f64_e32 v[148:149], v[152:153], v[148:149]
	v_fmac_f64_e32 v[184:185], v[6:7], v[162:163]
	v_fma_f64 v[190:191], v[4:5], v[162:163], -v[164:165]
	v_add_f64_e32 v[192:193], v[144:145], v[142:143]
	v_add_f64_e32 v[182:183], v[182:183], v[186:187]
	ds_load_b128 v[4:7], v2 offset:1536
	ds_load_b128 v[142:145], v2 offset:1552
	scratch_load_b128 v[162:165], off, off offset:800
	v_fmac_f64_e32 v[188:189], v[152:153], v[146:147]
	v_fma_f64 v[150:151], v[150:151], v[146:147], -v[148:149]
	scratch_load_b128 v[146:149], off, off offset:816
	s_wait_loadcnt_dscnt 0xb01
	v_mul_f64_e32 v[186:187], v[4:5], v[180:181]
	v_mul_f64_e32 v[180:181], v[6:7], v[180:181]
	v_add_f64_e32 v[152:153], v[192:193], v[190:191]
	v_add_f64_e32 v[182:183], v[182:183], v[184:185]
	s_wait_loadcnt_dscnt 0xa00
	v_mul_f64_e32 v[184:185], v[142:143], v[10:11]
	v_mul_f64_e32 v[10:11], v[144:145], v[10:11]
	v_fmac_f64_e32 v[186:187], v[6:7], v[178:179]
	v_fma_f64 v[190:191], v[4:5], v[178:179], -v[180:181]
	v_add_f64_e32 v[192:193], v[152:153], v[150:151]
	v_add_f64_e32 v[182:183], v[182:183], v[188:189]
	ds_load_b128 v[4:7], v2 offset:1568
	ds_load_b128 v[150:153], v2 offset:1584
	scratch_load_b128 v[178:181], off, off offset:832
	v_fmac_f64_e32 v[184:185], v[144:145], v[8:9]
	v_fma_f64 v[142:143], v[142:143], v[8:9], -v[10:11]
	scratch_load_b128 v[8:11], off, off offset:848
	s_wait_loadcnt_dscnt 0xb01
	v_mul_f64_e32 v[188:189], v[4:5], v[168:169]
	v_mul_f64_e32 v[168:169], v[6:7], v[168:169]
	;; [unrolled: 18-line block ×3, first 2 shown]
	v_add_f64_e32 v[152:153], v[192:193], v[190:191]
	v_add_f64_e32 v[182:183], v[182:183], v[188:189]
	s_wait_loadcnt_dscnt 0xa00
	v_mul_f64_e32 v[188:189], v[142:143], v[128:129]
	v_mul_f64_e32 v[128:129], v[144:145], v[128:129]
	v_fmac_f64_e32 v[184:185], v[6:7], v[174:175]
	v_fma_f64 v[174:175], v[4:5], v[174:175], -v[176:177]
	v_add_f64_e32 v[176:177], v[152:153], v[150:151]
	v_add_f64_e32 v[182:183], v[182:183], v[186:187]
	ds_load_b128 v[4:7], v2 offset:1632
	ds_load_b128 v[150:153], v2 offset:1648
	v_fmac_f64_e32 v[188:189], v[144:145], v[126:127]
	v_fma_f64 v[126:127], v[142:143], v[126:127], -v[128:129]
	s_wait_loadcnt_dscnt 0x901
	v_mul_f64_e32 v[186:187], v[4:5], v[156:157]
	v_mul_f64_e32 v[156:157], v[6:7], v[156:157]
	s_wait_loadcnt_dscnt 0x800
	v_mul_f64_e32 v[144:145], v[150:151], v[136:137]
	v_mul_f64_e32 v[136:137], v[152:153], v[136:137]
	v_add_f64_e32 v[128:129], v[176:177], v[174:175]
	v_add_f64_e32 v[142:143], v[182:183], v[184:185]
	v_fmac_f64_e32 v[186:187], v[6:7], v[154:155]
	v_fma_f64 v[154:155], v[4:5], v[154:155], -v[156:157]
	v_fmac_f64_e32 v[144:145], v[152:153], v[134:135]
	v_fma_f64 v[134:135], v[150:151], v[134:135], -v[136:137]
	v_add_f64_e32 v[156:157], v[128:129], v[126:127]
	v_add_f64_e32 v[142:143], v[142:143], v[188:189]
	ds_load_b128 v[4:7], v2 offset:1664
	ds_load_b128 v[126:129], v2 offset:1680
	s_wait_loadcnt_dscnt 0x701
	v_mul_f64_e32 v[174:175], v[4:5], v[160:161]
	v_mul_f64_e32 v[160:161], v[6:7], v[160:161]
	s_wait_loadcnt_dscnt 0x600
	v_mul_f64_e32 v[150:151], v[126:127], v[140:141]
	v_mul_f64_e32 v[140:141], v[128:129], v[140:141]
	v_add_f64_e32 v[136:137], v[156:157], v[154:155]
	v_add_f64_e32 v[142:143], v[142:143], v[186:187]
	v_fmac_f64_e32 v[174:175], v[6:7], v[158:159]
	v_fma_f64 v[152:153], v[4:5], v[158:159], -v[160:161]
	v_fmac_f64_e32 v[150:151], v[128:129], v[138:139]
	v_fma_f64 v[126:127], v[126:127], v[138:139], -v[140:141]
	v_add_f64_e32 v[154:155], v[136:137], v[134:135]
	v_add_f64_e32 v[142:143], v[142:143], v[144:145]
	ds_load_b128 v[4:7], v2 offset:1696
	ds_load_b128 v[134:137], v2 offset:1712
	s_wait_loadcnt_dscnt 0x501
	v_mul_f64_e32 v[144:145], v[4:5], v[164:165]
	v_mul_f64_e32 v[156:157], v[6:7], v[164:165]
	s_wait_loadcnt_dscnt 0x400
	v_mul_f64_e32 v[140:141], v[134:135], v[148:149]
	v_add_f64_e32 v[128:129], v[154:155], v[152:153]
	v_add_f64_e32 v[138:139], v[142:143], v[174:175]
	v_mul_f64_e32 v[142:143], v[136:137], v[148:149]
	v_fmac_f64_e32 v[144:145], v[6:7], v[162:163]
	v_fma_f64 v[148:149], v[4:5], v[162:163], -v[156:157]
	v_fmac_f64_e32 v[140:141], v[136:137], v[146:147]
	v_add_f64_e32 v[152:153], v[128:129], v[126:127]
	v_add_f64_e32 v[138:139], v[138:139], v[150:151]
	ds_load_b128 v[4:7], v2 offset:1728
	ds_load_b128 v[126:129], v2 offset:1744
	v_fma_f64 v[134:135], v[134:135], v[146:147], -v[142:143]
	s_wait_loadcnt_dscnt 0x301
	v_mul_f64_e32 v[150:151], v[4:5], v[180:181]
	v_mul_f64_e32 v[154:155], v[6:7], v[180:181]
	s_wait_loadcnt_dscnt 0x200
	v_mul_f64_e32 v[142:143], v[126:127], v[10:11]
	v_mul_f64_e32 v[10:11], v[128:129], v[10:11]
	v_add_f64_e32 v[136:137], v[152:153], v[148:149]
	v_add_f64_e32 v[138:139], v[138:139], v[144:145]
	v_fmac_f64_e32 v[150:151], v[6:7], v[178:179]
	v_fma_f64 v[144:145], v[4:5], v[178:179], -v[154:155]
	v_fmac_f64_e32 v[142:143], v[128:129], v[8:9]
	v_fma_f64 v[8:9], v[126:127], v[8:9], -v[10:11]
	v_add_f64_e32 v[146:147], v[136:137], v[134:135]
	v_add_f64_e32 v[138:139], v[138:139], v[140:141]
	ds_load_b128 v[4:7], v2 offset:1760
	ds_load_b128 v[134:137], v2 offset:1776
	s_wait_loadcnt_dscnt 0x101
	v_mul_f64_e32 v[2:3], v[4:5], v[168:169]
	v_mul_f64_e32 v[140:141], v[6:7], v[168:169]
	s_wait_loadcnt_dscnt 0x0
	v_mul_f64_e32 v[128:129], v[134:135], v[132:133]
	v_mul_f64_e32 v[132:133], v[136:137], v[132:133]
	v_add_f64_e32 v[10:11], v[146:147], v[144:145]
	v_add_f64_e32 v[126:127], v[138:139], v[150:151]
	v_fmac_f64_e32 v[2:3], v[6:7], v[166:167]
	v_fma_f64 v[4:5], v[4:5], v[166:167], -v[140:141]
	v_fmac_f64_e32 v[128:129], v[136:137], v[130:131]
	v_add_f64_e32 v[6:7], v[10:11], v[8:9]
	v_add_f64_e32 v[8:9], v[126:127], v[142:143]
	v_fma_f64 v[10:11], v[134:135], v[130:131], -v[132:133]
	s_delay_alu instid0(VALU_DEP_3) | instskip(NEXT) | instid1(VALU_DEP_3)
	v_add_f64_e32 v[4:5], v[6:7], v[4:5]
	v_add_f64_e32 v[2:3], v[8:9], v[2:3]
	s_delay_alu instid0(VALU_DEP_2) | instskip(NEXT) | instid1(VALU_DEP_2)
	v_add_f64_e32 v[4:5], v[4:5], v[10:11]
	v_add_f64_e32 v[6:7], v[2:3], v[128:129]
	s_delay_alu instid0(VALU_DEP_2) | instskip(NEXT) | instid1(VALU_DEP_2)
	v_add_f64_e64 v[2:3], v[170:171], -v[4:5]
	v_add_f64_e64 v[4:5], v[172:173], -v[6:7]
	scratch_store_b128 off, v[2:5], off offset:240
	s_wait_xcnt 0x0
	v_cmpx_lt_u32_e32 14, v1
	s_cbranch_execz .LBB55_321
; %bb.320:
	scratch_load_b128 v[2:5], off, s66
	v_mov_b32_e32 v6, 0
	s_delay_alu instid0(VALU_DEP_1)
	v_dual_mov_b32 v7, v6 :: v_dual_mov_b32 v8, v6
	v_mov_b32_e32 v9, v6
	scratch_store_b128 off, v[6:9], off offset:224
	s_wait_loadcnt 0x0
	ds_store_b128 v12, v[2:5]
.LBB55_321:
	s_wait_xcnt 0x0
	s_or_b32 exec_lo, exec_lo, s2
	s_wait_storecnt_dscnt 0x0
	s_barrier_signal -1
	s_barrier_wait -1
	s_clause 0x9
	scratch_load_b128 v[4:7], off, off offset:240
	scratch_load_b128 v[8:11], off, off offset:256
	scratch_load_b128 v[126:129], off, off offset:272
	scratch_load_b128 v[130:133], off, off offset:288
	scratch_load_b128 v[134:137], off, off offset:304
	scratch_load_b128 v[138:141], off, off offset:320
	scratch_load_b128 v[142:145], off, off offset:336
	scratch_load_b128 v[146:149], off, off offset:352
	scratch_load_b128 v[150:153], off, off offset:368
	scratch_load_b128 v[154:157], off, off offset:384
	v_mov_b32_e32 v2, 0
	s_mov_b32 s2, exec_lo
	ds_load_b128 v[158:161], v2 offset:1136
	s_clause 0x2
	scratch_load_b128 v[162:165], off, off offset:400
	scratch_load_b128 v[166:169], off, off offset:224
	scratch_load_b128 v[174:177], off, off offset:416
	s_wait_loadcnt_dscnt 0xc00
	v_mul_f64_e32 v[178:179], v[160:161], v[6:7]
	v_mul_f64_e32 v[182:183], v[158:159], v[6:7]
	ds_load_b128 v[170:173], v2 offset:1152
	v_fma_f64 v[186:187], v[158:159], v[4:5], -v[178:179]
	v_fmac_f64_e32 v[182:183], v[160:161], v[4:5]
	ds_load_b128 v[4:7], v2 offset:1168
	s_wait_loadcnt_dscnt 0xb01
	v_mul_f64_e32 v[184:185], v[170:171], v[10:11]
	v_mul_f64_e32 v[10:11], v[172:173], v[10:11]
	scratch_load_b128 v[158:161], off, off offset:432
	ds_load_b128 v[178:181], v2 offset:1184
	s_wait_loadcnt_dscnt 0xb01
	v_mul_f64_e32 v[188:189], v[4:5], v[128:129]
	v_mul_f64_e32 v[128:129], v[6:7], v[128:129]
	v_add_f64_e32 v[182:183], 0, v[182:183]
	v_fmac_f64_e32 v[184:185], v[172:173], v[8:9]
	v_fma_f64 v[170:171], v[170:171], v[8:9], -v[10:11]
	v_add_f64_e32 v[172:173], 0, v[186:187]
	scratch_load_b128 v[8:11], off, off offset:448
	v_fmac_f64_e32 v[188:189], v[6:7], v[126:127]
	v_fma_f64 v[190:191], v[4:5], v[126:127], -v[128:129]
	ds_load_b128 v[4:7], v2 offset:1200
	s_wait_loadcnt_dscnt 0xb01
	v_mul_f64_e32 v[186:187], v[178:179], v[132:133]
	v_mul_f64_e32 v[132:133], v[180:181], v[132:133]
	scratch_load_b128 v[126:129], off, off offset:464
	v_add_f64_e32 v[182:183], v[182:183], v[184:185]
	v_add_f64_e32 v[192:193], v[172:173], v[170:171]
	ds_load_b128 v[170:173], v2 offset:1216
	s_wait_loadcnt_dscnt 0xb01
	v_mul_f64_e32 v[184:185], v[4:5], v[136:137]
	v_mul_f64_e32 v[136:137], v[6:7], v[136:137]
	v_fmac_f64_e32 v[186:187], v[180:181], v[130:131]
	v_fma_f64 v[178:179], v[178:179], v[130:131], -v[132:133]
	scratch_load_b128 v[130:133], off, off offset:480
	v_add_f64_e32 v[182:183], v[182:183], v[188:189]
	v_add_f64_e32 v[180:181], v[192:193], v[190:191]
	v_fmac_f64_e32 v[184:185], v[6:7], v[134:135]
	v_fma_f64 v[190:191], v[4:5], v[134:135], -v[136:137]
	ds_load_b128 v[4:7], v2 offset:1232
	s_wait_loadcnt_dscnt 0xb01
	v_mul_f64_e32 v[188:189], v[170:171], v[140:141]
	v_mul_f64_e32 v[140:141], v[172:173], v[140:141]
	scratch_load_b128 v[134:137], off, off offset:496
	v_add_f64_e32 v[182:183], v[182:183], v[186:187]
	s_wait_loadcnt_dscnt 0xb00
	v_mul_f64_e32 v[186:187], v[4:5], v[144:145]
	v_add_f64_e32 v[192:193], v[180:181], v[178:179]
	v_mul_f64_e32 v[144:145], v[6:7], v[144:145]
	ds_load_b128 v[178:181], v2 offset:1248
	v_fmac_f64_e32 v[188:189], v[172:173], v[138:139]
	v_fma_f64 v[170:171], v[170:171], v[138:139], -v[140:141]
	scratch_load_b128 v[138:141], off, off offset:512
	v_add_f64_e32 v[182:183], v[182:183], v[184:185]
	v_fmac_f64_e32 v[186:187], v[6:7], v[142:143]
	v_add_f64_e32 v[172:173], v[192:193], v[190:191]
	v_fma_f64 v[190:191], v[4:5], v[142:143], -v[144:145]
	ds_load_b128 v[4:7], v2 offset:1264
	s_wait_loadcnt_dscnt 0xb01
	v_mul_f64_e32 v[184:185], v[178:179], v[148:149]
	v_mul_f64_e32 v[148:149], v[180:181], v[148:149]
	scratch_load_b128 v[142:145], off, off offset:528
	v_add_f64_e32 v[182:183], v[182:183], v[188:189]
	s_wait_loadcnt_dscnt 0xb00
	v_mul_f64_e32 v[188:189], v[4:5], v[152:153]
	v_add_f64_e32 v[192:193], v[172:173], v[170:171]
	v_mul_f64_e32 v[152:153], v[6:7], v[152:153]
	ds_load_b128 v[170:173], v2 offset:1280
	v_fmac_f64_e32 v[184:185], v[180:181], v[146:147]
	v_fma_f64 v[178:179], v[178:179], v[146:147], -v[148:149]
	scratch_load_b128 v[146:149], off, off offset:544
	v_add_f64_e32 v[182:183], v[182:183], v[186:187]
	v_fmac_f64_e32 v[188:189], v[6:7], v[150:151]
	v_add_f64_e32 v[180:181], v[192:193], v[190:191]
	;; [unrolled: 18-line block ×3, first 2 shown]
	v_fma_f64 v[190:191], v[4:5], v[162:163], -v[164:165]
	ds_load_b128 v[4:7], v2 offset:1328
	s_wait_loadcnt_dscnt 0xa01
	v_mul_f64_e32 v[188:189], v[178:179], v[176:177]
	v_mul_f64_e32 v[176:177], v[180:181], v[176:177]
	scratch_load_b128 v[162:165], off, off offset:592
	v_add_f64_e32 v[182:183], v[182:183], v[186:187]
	v_add_f64_e32 v[192:193], v[172:173], v[170:171]
	s_wait_loadcnt_dscnt 0xa00
	v_mul_f64_e32 v[186:187], v[4:5], v[160:161]
	v_mul_f64_e32 v[160:161], v[6:7], v[160:161]
	v_fmac_f64_e32 v[188:189], v[180:181], v[174:175]
	v_fma_f64 v[178:179], v[178:179], v[174:175], -v[176:177]
	ds_load_b128 v[170:173], v2 offset:1344
	scratch_load_b128 v[174:177], off, off offset:608
	v_add_f64_e32 v[182:183], v[182:183], v[184:185]
	v_add_f64_e32 v[180:181], v[192:193], v[190:191]
	v_fmac_f64_e32 v[186:187], v[6:7], v[158:159]
	v_fma_f64 v[190:191], v[4:5], v[158:159], -v[160:161]
	ds_load_b128 v[4:7], v2 offset:1360
	s_wait_loadcnt_dscnt 0xa01
	v_mul_f64_e32 v[184:185], v[170:171], v[10:11]
	v_mul_f64_e32 v[10:11], v[172:173], v[10:11]
	scratch_load_b128 v[158:161], off, off offset:624
	v_add_f64_e32 v[182:183], v[182:183], v[188:189]
	s_wait_loadcnt_dscnt 0xa00
	v_mul_f64_e32 v[188:189], v[4:5], v[128:129]
	v_add_f64_e32 v[192:193], v[180:181], v[178:179]
	v_mul_f64_e32 v[128:129], v[6:7], v[128:129]
	ds_load_b128 v[178:181], v2 offset:1376
	v_fmac_f64_e32 v[184:185], v[172:173], v[8:9]
	v_fma_f64 v[170:171], v[170:171], v[8:9], -v[10:11]
	scratch_load_b128 v[8:11], off, off offset:640
	v_add_f64_e32 v[182:183], v[182:183], v[186:187]
	v_fmac_f64_e32 v[188:189], v[6:7], v[126:127]
	v_add_f64_e32 v[172:173], v[192:193], v[190:191]
	v_fma_f64 v[190:191], v[4:5], v[126:127], -v[128:129]
	ds_load_b128 v[4:7], v2 offset:1392
	s_wait_loadcnt_dscnt 0xa01
	v_mul_f64_e32 v[186:187], v[178:179], v[132:133]
	v_mul_f64_e32 v[132:133], v[180:181], v[132:133]
	scratch_load_b128 v[126:129], off, off offset:656
	v_add_f64_e32 v[182:183], v[182:183], v[184:185]
	s_wait_loadcnt_dscnt 0xa00
	v_mul_f64_e32 v[184:185], v[4:5], v[136:137]
	v_add_f64_e32 v[192:193], v[172:173], v[170:171]
	v_mul_f64_e32 v[136:137], v[6:7], v[136:137]
	ds_load_b128 v[170:173], v2 offset:1408
	v_fmac_f64_e32 v[186:187], v[180:181], v[130:131]
	v_fma_f64 v[178:179], v[178:179], v[130:131], -v[132:133]
	scratch_load_b128 v[130:133], off, off offset:672
	v_add_f64_e32 v[182:183], v[182:183], v[188:189]
	v_fmac_f64_e32 v[184:185], v[6:7], v[134:135]
	v_add_f64_e32 v[180:181], v[192:193], v[190:191]
	;; [unrolled: 18-line block ×8, first 2 shown]
	v_fma_f64 v[190:191], v[4:5], v[134:135], -v[136:137]
	ds_load_b128 v[4:7], v2 offset:1616
	s_wait_loadcnt_dscnt 0xa01
	v_mul_f64_e32 v[188:189], v[170:171], v[140:141]
	v_mul_f64_e32 v[140:141], v[172:173], v[140:141]
	scratch_load_b128 v[134:137], off, off offset:880
	v_add_f64_e32 v[182:183], v[182:183], v[186:187]
	s_wait_loadcnt_dscnt 0xa00
	v_mul_f64_e32 v[186:187], v[4:5], v[144:145]
	v_add_f64_e32 v[192:193], v[180:181], v[178:179]
	v_mul_f64_e32 v[144:145], v[6:7], v[144:145]
	ds_load_b128 v[178:181], v2 offset:1632
	v_fmac_f64_e32 v[188:189], v[172:173], v[138:139]
	v_fma_f64 v[138:139], v[170:171], v[138:139], -v[140:141]
	s_wait_loadcnt_dscnt 0x900
	v_mul_f64_e32 v[172:173], v[178:179], v[148:149]
	v_mul_f64_e32 v[148:149], v[180:181], v[148:149]
	v_add_f64_e32 v[170:171], v[182:183], v[184:185]
	v_fmac_f64_e32 v[186:187], v[6:7], v[142:143]
	v_add_f64_e32 v[140:141], v[192:193], v[190:191]
	v_fma_f64 v[142:143], v[4:5], v[142:143], -v[144:145]
	v_fmac_f64_e32 v[172:173], v[180:181], v[146:147]
	v_fma_f64 v[146:147], v[178:179], v[146:147], -v[148:149]
	v_add_f64_e32 v[170:171], v[170:171], v[188:189]
	v_add_f64_e32 v[144:145], v[140:141], v[138:139]
	ds_load_b128 v[4:7], v2 offset:1648
	ds_load_b128 v[138:141], v2 offset:1664
	s_wait_loadcnt_dscnt 0x801
	v_mul_f64_e32 v[182:183], v[4:5], v[152:153]
	v_mul_f64_e32 v[152:153], v[6:7], v[152:153]
	s_wait_loadcnt_dscnt 0x700
	v_mul_f64_e32 v[148:149], v[138:139], v[156:157]
	v_mul_f64_e32 v[156:157], v[140:141], v[156:157]
	v_add_f64_e32 v[142:143], v[144:145], v[142:143]
	v_add_f64_e32 v[144:145], v[170:171], v[186:187]
	v_fmac_f64_e32 v[182:183], v[6:7], v[150:151]
	v_fma_f64 v[150:151], v[4:5], v[150:151], -v[152:153]
	v_fmac_f64_e32 v[148:149], v[140:141], v[154:155]
	v_fma_f64 v[138:139], v[138:139], v[154:155], -v[156:157]
	v_add_f64_e32 v[146:147], v[142:143], v[146:147]
	v_add_f64_e32 v[152:153], v[144:145], v[172:173]
	ds_load_b128 v[4:7], v2 offset:1680
	ds_load_b128 v[142:145], v2 offset:1696
	s_wait_loadcnt_dscnt 0x601
	v_mul_f64_e32 v[170:171], v[4:5], v[164:165]
	v_mul_f64_e32 v[164:165], v[6:7], v[164:165]
	v_add_f64_e32 v[140:141], v[146:147], v[150:151]
	v_add_f64_e32 v[146:147], v[152:153], v[182:183]
	s_wait_loadcnt_dscnt 0x500
	v_mul_f64_e32 v[150:151], v[142:143], v[176:177]
	v_mul_f64_e32 v[152:153], v[144:145], v[176:177]
	v_fmac_f64_e32 v[170:171], v[6:7], v[162:163]
	v_fma_f64 v[154:155], v[4:5], v[162:163], -v[164:165]
	v_add_f64_e32 v[156:157], v[140:141], v[138:139]
	v_add_f64_e32 v[146:147], v[146:147], v[148:149]
	ds_load_b128 v[4:7], v2 offset:1712
	ds_load_b128 v[138:141], v2 offset:1728
	v_fmac_f64_e32 v[150:151], v[144:145], v[174:175]
	v_fma_f64 v[142:143], v[142:143], v[174:175], -v[152:153]
	s_wait_loadcnt_dscnt 0x401
	v_mul_f64_e32 v[148:149], v[4:5], v[160:161]
	v_mul_f64_e32 v[160:161], v[6:7], v[160:161]
	s_wait_loadcnt_dscnt 0x300
	v_mul_f64_e32 v[152:153], v[138:139], v[10:11]
	v_mul_f64_e32 v[10:11], v[140:141], v[10:11]
	v_add_f64_e32 v[144:145], v[156:157], v[154:155]
	v_add_f64_e32 v[146:147], v[146:147], v[170:171]
	v_fmac_f64_e32 v[148:149], v[6:7], v[158:159]
	v_fma_f64 v[154:155], v[4:5], v[158:159], -v[160:161]
	v_fmac_f64_e32 v[152:153], v[140:141], v[8:9]
	v_fma_f64 v[8:9], v[138:139], v[8:9], -v[10:11]
	v_add_f64_e32 v[156:157], v[144:145], v[142:143]
	v_add_f64_e32 v[146:147], v[146:147], v[150:151]
	ds_load_b128 v[4:7], v2 offset:1744
	ds_load_b128 v[142:145], v2 offset:1760
	s_wait_loadcnt_dscnt 0x201
	v_mul_f64_e32 v[150:151], v[4:5], v[128:129]
	v_mul_f64_e32 v[128:129], v[6:7], v[128:129]
	s_wait_loadcnt_dscnt 0x100
	v_mul_f64_e32 v[140:141], v[142:143], v[132:133]
	v_mul_f64_e32 v[132:133], v[144:145], v[132:133]
	v_add_f64_e32 v[10:11], v[156:157], v[154:155]
	v_add_f64_e32 v[138:139], v[146:147], v[148:149]
	v_fmac_f64_e32 v[150:151], v[6:7], v[126:127]
	v_fma_f64 v[126:127], v[4:5], v[126:127], -v[128:129]
	ds_load_b128 v[4:7], v2 offset:1776
	v_fmac_f64_e32 v[140:141], v[144:145], v[130:131]
	v_fma_f64 v[130:131], v[142:143], v[130:131], -v[132:133]
	v_add_f64_e32 v[8:9], v[10:11], v[8:9]
	v_add_f64_e32 v[10:11], v[138:139], v[152:153]
	s_wait_loadcnt_dscnt 0x0
	v_mul_f64_e32 v[128:129], v[4:5], v[136:137]
	v_mul_f64_e32 v[136:137], v[6:7], v[136:137]
	s_delay_alu instid0(VALU_DEP_4) | instskip(NEXT) | instid1(VALU_DEP_4)
	v_add_f64_e32 v[8:9], v[8:9], v[126:127]
	v_add_f64_e32 v[10:11], v[10:11], v[150:151]
	s_delay_alu instid0(VALU_DEP_4) | instskip(NEXT) | instid1(VALU_DEP_4)
	v_fmac_f64_e32 v[128:129], v[6:7], v[134:135]
	v_fma_f64 v[4:5], v[4:5], v[134:135], -v[136:137]
	s_delay_alu instid0(VALU_DEP_4) | instskip(NEXT) | instid1(VALU_DEP_4)
	v_add_f64_e32 v[6:7], v[8:9], v[130:131]
	v_add_f64_e32 v[8:9], v[10:11], v[140:141]
	s_delay_alu instid0(VALU_DEP_2) | instskip(NEXT) | instid1(VALU_DEP_2)
	v_add_f64_e32 v[4:5], v[6:7], v[4:5]
	v_add_f64_e32 v[6:7], v[8:9], v[128:129]
	s_delay_alu instid0(VALU_DEP_2) | instskip(NEXT) | instid1(VALU_DEP_2)
	v_add_f64_e64 v[4:5], v[166:167], -v[4:5]
	v_add_f64_e64 v[6:7], v[168:169], -v[6:7]
	scratch_store_b128 off, v[4:7], off offset:224
	s_wait_xcnt 0x0
	v_cmpx_lt_u32_e32 13, v1
	s_cbranch_execz .LBB55_323
; %bb.322:
	scratch_load_b128 v[6:9], off, s64
	v_dual_mov_b32 v3, v2 :: v_dual_mov_b32 v4, v2
	v_mov_b32_e32 v5, v2
	scratch_store_b128 off, v[2:5], off offset:208
	s_wait_loadcnt 0x0
	ds_store_b128 v12, v[6:9]
.LBB55_323:
	s_wait_xcnt 0x0
	s_or_b32 exec_lo, exec_lo, s2
	s_wait_storecnt_dscnt 0x0
	s_barrier_signal -1
	s_barrier_wait -1
	s_clause 0x9
	scratch_load_b128 v[4:7], off, off offset:224
	scratch_load_b128 v[8:11], off, off offset:240
	;; [unrolled: 1-line block ×10, first 2 shown]
	ds_load_b128 v[158:161], v2 offset:1120
	ds_load_b128 v[166:169], v2 offset:1136
	s_clause 0x2
	scratch_load_b128 v[162:165], off, off offset:384
	scratch_load_b128 v[170:173], off, off offset:208
	;; [unrolled: 1-line block ×3, first 2 shown]
	s_mov_b32 s2, exec_lo
	s_wait_loadcnt_dscnt 0xc01
	v_mul_f64_e32 v[178:179], v[160:161], v[6:7]
	v_mul_f64_e32 v[182:183], v[158:159], v[6:7]
	s_wait_loadcnt_dscnt 0xb00
	v_mul_f64_e32 v[184:185], v[166:167], v[10:11]
	v_mul_f64_e32 v[10:11], v[168:169], v[10:11]
	s_delay_alu instid0(VALU_DEP_4) | instskip(NEXT) | instid1(VALU_DEP_4)
	v_fma_f64 v[186:187], v[158:159], v[4:5], -v[178:179]
	v_fmac_f64_e32 v[182:183], v[160:161], v[4:5]
	ds_load_b128 v[4:7], v2 offset:1152
	ds_load_b128 v[158:161], v2 offset:1168
	scratch_load_b128 v[178:181], off, off offset:416
	v_fmac_f64_e32 v[184:185], v[168:169], v[8:9]
	v_fma_f64 v[166:167], v[166:167], v[8:9], -v[10:11]
	scratch_load_b128 v[8:11], off, off offset:432
	s_wait_loadcnt_dscnt 0xc01
	v_mul_f64_e32 v[188:189], v[4:5], v[128:129]
	v_mul_f64_e32 v[128:129], v[6:7], v[128:129]
	v_add_f64_e32 v[168:169], 0, v[186:187]
	v_add_f64_e32 v[182:183], 0, v[182:183]
	s_wait_loadcnt_dscnt 0xb00
	v_mul_f64_e32 v[186:187], v[158:159], v[132:133]
	v_mul_f64_e32 v[132:133], v[160:161], v[132:133]
	v_fmac_f64_e32 v[188:189], v[6:7], v[126:127]
	v_fma_f64 v[190:191], v[4:5], v[126:127], -v[128:129]
	ds_load_b128 v[4:7], v2 offset:1184
	ds_load_b128 v[126:129], v2 offset:1200
	v_add_f64_e32 v[192:193], v[168:169], v[166:167]
	v_add_f64_e32 v[182:183], v[182:183], v[184:185]
	scratch_load_b128 v[166:169], off, off offset:448
	v_fmac_f64_e32 v[186:187], v[160:161], v[130:131]
	v_fma_f64 v[158:159], v[158:159], v[130:131], -v[132:133]
	scratch_load_b128 v[130:133], off, off offset:464
	s_wait_loadcnt_dscnt 0xc01
	v_mul_f64_e32 v[184:185], v[4:5], v[136:137]
	v_mul_f64_e32 v[136:137], v[6:7], v[136:137]
	v_add_f64_e32 v[160:161], v[192:193], v[190:191]
	v_add_f64_e32 v[182:183], v[182:183], v[188:189]
	s_wait_loadcnt_dscnt 0xb00
	v_mul_f64_e32 v[188:189], v[126:127], v[140:141]
	v_mul_f64_e32 v[140:141], v[128:129], v[140:141]
	v_fmac_f64_e32 v[184:185], v[6:7], v[134:135]
	v_fma_f64 v[190:191], v[4:5], v[134:135], -v[136:137]
	ds_load_b128 v[4:7], v2 offset:1216
	ds_load_b128 v[134:137], v2 offset:1232
	v_add_f64_e32 v[192:193], v[160:161], v[158:159]
	v_add_f64_e32 v[182:183], v[182:183], v[186:187]
	scratch_load_b128 v[158:161], off, off offset:480
	s_wait_loadcnt_dscnt 0xb01
	v_mul_f64_e32 v[186:187], v[4:5], v[144:145]
	v_mul_f64_e32 v[144:145], v[6:7], v[144:145]
	v_fmac_f64_e32 v[188:189], v[128:129], v[138:139]
	v_fma_f64 v[138:139], v[126:127], v[138:139], -v[140:141]
	scratch_load_b128 v[126:129], off, off offset:496
	v_add_f64_e32 v[140:141], v[192:193], v[190:191]
	v_add_f64_e32 v[182:183], v[182:183], v[184:185]
	s_wait_loadcnt_dscnt 0xb00
	v_mul_f64_e32 v[184:185], v[134:135], v[148:149]
	v_mul_f64_e32 v[148:149], v[136:137], v[148:149]
	v_fmac_f64_e32 v[186:187], v[6:7], v[142:143]
	v_fma_f64 v[190:191], v[4:5], v[142:143], -v[144:145]
	v_add_f64_e32 v[192:193], v[140:141], v[138:139]
	v_add_f64_e32 v[182:183], v[182:183], v[188:189]
	ds_load_b128 v[4:7], v2 offset:1248
	ds_load_b128 v[138:141], v2 offset:1264
	scratch_load_b128 v[142:145], off, off offset:512
	v_fmac_f64_e32 v[184:185], v[136:137], v[146:147]
	v_fma_f64 v[146:147], v[134:135], v[146:147], -v[148:149]
	scratch_load_b128 v[134:137], off, off offset:528
	s_wait_loadcnt_dscnt 0xc01
	v_mul_f64_e32 v[188:189], v[4:5], v[152:153]
	v_mul_f64_e32 v[152:153], v[6:7], v[152:153]
	v_add_f64_e32 v[148:149], v[192:193], v[190:191]
	v_add_f64_e32 v[182:183], v[182:183], v[186:187]
	s_wait_loadcnt_dscnt 0xb00
	v_mul_f64_e32 v[186:187], v[138:139], v[156:157]
	v_mul_f64_e32 v[156:157], v[140:141], v[156:157]
	v_fmac_f64_e32 v[188:189], v[6:7], v[150:151]
	v_fma_f64 v[190:191], v[4:5], v[150:151], -v[152:153]
	v_add_f64_e32 v[192:193], v[148:149], v[146:147]
	v_add_f64_e32 v[182:183], v[182:183], v[184:185]
	ds_load_b128 v[4:7], v2 offset:1280
	ds_load_b128 v[146:149], v2 offset:1296
	scratch_load_b128 v[150:153], off, off offset:544
	v_fmac_f64_e32 v[186:187], v[140:141], v[154:155]
	v_fma_f64 v[154:155], v[138:139], v[154:155], -v[156:157]
	scratch_load_b128 v[138:141], off, off offset:560
	s_wait_loadcnt_dscnt 0xc01
	v_mul_f64_e32 v[184:185], v[4:5], v[164:165]
	v_mul_f64_e32 v[164:165], v[6:7], v[164:165]
	;; [unrolled: 18-line block ×5, first 2 shown]
	v_add_f64_e32 v[176:177], v[192:193], v[190:191]
	v_add_f64_e32 v[182:183], v[182:183], v[188:189]
	s_wait_loadcnt_dscnt 0xa00
	v_mul_f64_e32 v[188:189], v[154:155], v[128:129]
	v_mul_f64_e32 v[128:129], v[156:157], v[128:129]
	v_fmac_f64_e32 v[184:185], v[6:7], v[158:159]
	v_fma_f64 v[190:191], v[4:5], v[158:159], -v[160:161]
	ds_load_b128 v[4:7], v2 offset:1408
	ds_load_b128 v[158:161], v2 offset:1424
	v_add_f64_e32 v[192:193], v[176:177], v[174:175]
	v_add_f64_e32 v[182:183], v[182:183], v[186:187]
	scratch_load_b128 v[174:177], off, off offset:672
	v_fmac_f64_e32 v[188:189], v[156:157], v[126:127]
	v_fma_f64 v[154:155], v[154:155], v[126:127], -v[128:129]
	scratch_load_b128 v[126:129], off, off offset:688
	s_wait_loadcnt_dscnt 0xb01
	v_mul_f64_e32 v[186:187], v[4:5], v[144:145]
	v_mul_f64_e32 v[144:145], v[6:7], v[144:145]
	v_add_f64_e32 v[156:157], v[192:193], v[190:191]
	v_add_f64_e32 v[182:183], v[182:183], v[184:185]
	s_wait_loadcnt_dscnt 0xa00
	v_mul_f64_e32 v[184:185], v[158:159], v[136:137]
	v_mul_f64_e32 v[136:137], v[160:161], v[136:137]
	v_fmac_f64_e32 v[186:187], v[6:7], v[142:143]
	v_fma_f64 v[190:191], v[4:5], v[142:143], -v[144:145]
	ds_load_b128 v[4:7], v2 offset:1440
	ds_load_b128 v[142:145], v2 offset:1456
	v_add_f64_e32 v[192:193], v[156:157], v[154:155]
	v_add_f64_e32 v[182:183], v[182:183], v[188:189]
	scratch_load_b128 v[154:157], off, off offset:704
	s_wait_loadcnt_dscnt 0xa01
	v_mul_f64_e32 v[188:189], v[4:5], v[152:153]
	v_mul_f64_e32 v[152:153], v[6:7], v[152:153]
	v_fmac_f64_e32 v[184:185], v[160:161], v[134:135]
	v_fma_f64 v[158:159], v[158:159], v[134:135], -v[136:137]
	scratch_load_b128 v[134:137], off, off offset:720
	v_add_f64_e32 v[160:161], v[192:193], v[190:191]
	v_add_f64_e32 v[182:183], v[182:183], v[186:187]
	s_wait_loadcnt_dscnt 0xa00
	v_mul_f64_e32 v[186:187], v[142:143], v[140:141]
	v_mul_f64_e32 v[140:141], v[144:145], v[140:141]
	v_fmac_f64_e32 v[188:189], v[6:7], v[150:151]
	v_fma_f64 v[190:191], v[4:5], v[150:151], -v[152:153]
	ds_load_b128 v[4:7], v2 offset:1472
	ds_load_b128 v[150:153], v2 offset:1488
	v_add_f64_e32 v[192:193], v[160:161], v[158:159]
	v_add_f64_e32 v[182:183], v[182:183], v[184:185]
	scratch_load_b128 v[158:161], off, off offset:736
	s_wait_loadcnt_dscnt 0xa01
	v_mul_f64_e32 v[184:185], v[4:5], v[164:165]
	v_mul_f64_e32 v[164:165], v[6:7], v[164:165]
	v_fmac_f64_e32 v[186:187], v[144:145], v[138:139]
	v_fma_f64 v[142:143], v[142:143], v[138:139], -v[140:141]
	scratch_load_b128 v[138:141], off, off offset:752
	v_add_f64_e32 v[144:145], v[192:193], v[190:191]
	v_add_f64_e32 v[182:183], v[182:183], v[188:189]
	s_wait_loadcnt_dscnt 0xa00
	v_mul_f64_e32 v[188:189], v[150:151], v[148:149]
	v_mul_f64_e32 v[148:149], v[152:153], v[148:149]
	v_fmac_f64_e32 v[184:185], v[6:7], v[162:163]
	v_fma_f64 v[190:191], v[4:5], v[162:163], -v[164:165]
	v_add_f64_e32 v[192:193], v[144:145], v[142:143]
	v_add_f64_e32 v[182:183], v[182:183], v[186:187]
	ds_load_b128 v[4:7], v2 offset:1504
	ds_load_b128 v[142:145], v2 offset:1520
	scratch_load_b128 v[162:165], off, off offset:768
	v_fmac_f64_e32 v[188:189], v[152:153], v[146:147]
	v_fma_f64 v[150:151], v[150:151], v[146:147], -v[148:149]
	scratch_load_b128 v[146:149], off, off offset:784
	s_wait_loadcnt_dscnt 0xb01
	v_mul_f64_e32 v[186:187], v[4:5], v[180:181]
	v_mul_f64_e32 v[180:181], v[6:7], v[180:181]
	v_add_f64_e32 v[152:153], v[192:193], v[190:191]
	v_add_f64_e32 v[182:183], v[182:183], v[184:185]
	s_wait_loadcnt_dscnt 0xa00
	v_mul_f64_e32 v[184:185], v[142:143], v[10:11]
	v_mul_f64_e32 v[10:11], v[144:145], v[10:11]
	v_fmac_f64_e32 v[186:187], v[6:7], v[178:179]
	v_fma_f64 v[190:191], v[4:5], v[178:179], -v[180:181]
	v_add_f64_e32 v[192:193], v[152:153], v[150:151]
	v_add_f64_e32 v[182:183], v[182:183], v[188:189]
	ds_load_b128 v[4:7], v2 offset:1536
	ds_load_b128 v[150:153], v2 offset:1552
	scratch_load_b128 v[178:181], off, off offset:800
	v_fmac_f64_e32 v[184:185], v[144:145], v[8:9]
	v_fma_f64 v[142:143], v[142:143], v[8:9], -v[10:11]
	scratch_load_b128 v[8:11], off, off offset:816
	s_wait_loadcnt_dscnt 0xb01
	v_mul_f64_e32 v[188:189], v[4:5], v[168:169]
	v_mul_f64_e32 v[168:169], v[6:7], v[168:169]
	;; [unrolled: 18-line block ×4, first 2 shown]
	v_add_f64_e32 v[144:145], v[192:193], v[190:191]
	v_add_f64_e32 v[182:183], v[182:183], v[184:185]
	s_wait_loadcnt_dscnt 0xa00
	v_mul_f64_e32 v[184:185], v[150:151], v[136:137]
	v_mul_f64_e32 v[136:137], v[152:153], v[136:137]
	v_fmac_f64_e32 v[186:187], v[6:7], v[154:155]
	v_fma_f64 v[154:155], v[4:5], v[154:155], -v[156:157]
	v_add_f64_e32 v[156:157], v[144:145], v[142:143]
	v_add_f64_e32 v[182:183], v[182:183], v[188:189]
	ds_load_b128 v[4:7], v2 offset:1632
	ds_load_b128 v[142:145], v2 offset:1648
	v_fmac_f64_e32 v[184:185], v[152:153], v[134:135]
	v_fma_f64 v[134:135], v[150:151], v[134:135], -v[136:137]
	s_wait_loadcnt_dscnt 0x901
	v_mul_f64_e32 v[188:189], v[4:5], v[160:161]
	v_mul_f64_e32 v[160:161], v[6:7], v[160:161]
	s_wait_loadcnt_dscnt 0x800
	v_mul_f64_e32 v[152:153], v[142:143], v[140:141]
	v_mul_f64_e32 v[140:141], v[144:145], v[140:141]
	v_add_f64_e32 v[136:137], v[156:157], v[154:155]
	v_add_f64_e32 v[150:151], v[182:183], v[186:187]
	v_fmac_f64_e32 v[188:189], v[6:7], v[158:159]
	v_fma_f64 v[154:155], v[4:5], v[158:159], -v[160:161]
	v_fmac_f64_e32 v[152:153], v[144:145], v[138:139]
	v_fma_f64 v[138:139], v[142:143], v[138:139], -v[140:141]
	v_add_f64_e32 v[156:157], v[136:137], v[134:135]
	v_add_f64_e32 v[150:151], v[150:151], v[184:185]
	ds_load_b128 v[4:7], v2 offset:1664
	ds_load_b128 v[134:137], v2 offset:1680
	s_wait_loadcnt_dscnt 0x701
	v_mul_f64_e32 v[158:159], v[4:5], v[164:165]
	v_mul_f64_e32 v[160:161], v[6:7], v[164:165]
	s_wait_loadcnt_dscnt 0x600
	v_mul_f64_e32 v[144:145], v[134:135], v[148:149]
	v_mul_f64_e32 v[148:149], v[136:137], v[148:149]
	v_add_f64_e32 v[140:141], v[156:157], v[154:155]
	v_add_f64_e32 v[142:143], v[150:151], v[188:189]
	v_fmac_f64_e32 v[158:159], v[6:7], v[162:163]
	v_fma_f64 v[150:151], v[4:5], v[162:163], -v[160:161]
	v_fmac_f64_e32 v[144:145], v[136:137], v[146:147]
	v_fma_f64 v[134:135], v[134:135], v[146:147], -v[148:149]
	v_add_f64_e32 v[154:155], v[140:141], v[138:139]
	v_add_f64_e32 v[142:143], v[142:143], v[152:153]
	ds_load_b128 v[4:7], v2 offset:1696
	ds_load_b128 v[138:141], v2 offset:1712
	s_wait_loadcnt_dscnt 0x501
	v_mul_f64_e32 v[152:153], v[4:5], v[180:181]
	v_mul_f64_e32 v[156:157], v[6:7], v[180:181]
	s_wait_loadcnt_dscnt 0x400
	v_mul_f64_e32 v[146:147], v[138:139], v[10:11]
	v_mul_f64_e32 v[10:11], v[140:141], v[10:11]
	v_add_f64_e32 v[136:137], v[154:155], v[150:151]
	v_add_f64_e32 v[142:143], v[142:143], v[158:159]
	v_fmac_f64_e32 v[152:153], v[6:7], v[178:179]
	v_fma_f64 v[148:149], v[4:5], v[178:179], -v[156:157]
	v_fmac_f64_e32 v[146:147], v[140:141], v[8:9]
	v_fma_f64 v[8:9], v[138:139], v[8:9], -v[10:11]
	v_add_f64_e32 v[150:151], v[136:137], v[134:135]
	v_add_f64_e32 v[142:143], v[142:143], v[144:145]
	ds_load_b128 v[4:7], v2 offset:1728
	ds_load_b128 v[134:137], v2 offset:1744
	s_wait_loadcnt_dscnt 0x301
	v_mul_f64_e32 v[144:145], v[4:5], v[168:169]
	v_mul_f64_e32 v[154:155], v[6:7], v[168:169]
	s_wait_loadcnt_dscnt 0x200
	v_mul_f64_e32 v[140:141], v[134:135], v[132:133]
	v_mul_f64_e32 v[132:133], v[136:137], v[132:133]
	v_add_f64_e32 v[10:11], v[150:151], v[148:149]
	v_add_f64_e32 v[138:139], v[142:143], v[152:153]
	v_fmac_f64_e32 v[144:145], v[6:7], v[166:167]
	v_fma_f64 v[142:143], v[4:5], v[166:167], -v[154:155]
	v_fmac_f64_e32 v[140:141], v[136:137], v[130:131]
	v_fma_f64 v[130:131], v[134:135], v[130:131], -v[132:133]
	v_add_f64_e32 v[148:149], v[10:11], v[8:9]
	v_add_f64_e32 v[138:139], v[138:139], v[146:147]
	ds_load_b128 v[4:7], v2 offset:1760
	ds_load_b128 v[8:11], v2 offset:1776
	s_wait_loadcnt_dscnt 0x101
	v_mul_f64_e32 v[2:3], v[4:5], v[176:177]
	v_mul_f64_e32 v[146:147], v[6:7], v[176:177]
	s_wait_loadcnt_dscnt 0x0
	v_mul_f64_e32 v[136:137], v[8:9], v[128:129]
	v_mul_f64_e32 v[128:129], v[10:11], v[128:129]
	v_add_f64_e32 v[132:133], v[148:149], v[142:143]
	v_add_f64_e32 v[134:135], v[138:139], v[144:145]
	v_fmac_f64_e32 v[2:3], v[6:7], v[174:175]
	v_fma_f64 v[4:5], v[4:5], v[174:175], -v[146:147]
	v_fmac_f64_e32 v[136:137], v[10:11], v[126:127]
	v_fma_f64 v[8:9], v[8:9], v[126:127], -v[128:129]
	v_add_f64_e32 v[6:7], v[132:133], v[130:131]
	v_add_f64_e32 v[130:131], v[134:135], v[140:141]
	s_delay_alu instid0(VALU_DEP_2) | instskip(NEXT) | instid1(VALU_DEP_2)
	v_add_f64_e32 v[4:5], v[6:7], v[4:5]
	v_add_f64_e32 v[2:3], v[130:131], v[2:3]
	s_delay_alu instid0(VALU_DEP_2) | instskip(NEXT) | instid1(VALU_DEP_2)
	;; [unrolled: 3-line block ×3, first 2 shown]
	v_add_f64_e64 v[2:3], v[170:171], -v[4:5]
	v_add_f64_e64 v[4:5], v[172:173], -v[6:7]
	scratch_store_b128 off, v[2:5], off offset:208
	s_wait_xcnt 0x0
	v_cmpx_lt_u32_e32 12, v1
	s_cbranch_execz .LBB55_325
; %bb.324:
	scratch_load_b128 v[2:5], off, s62
	v_mov_b32_e32 v6, 0
	s_delay_alu instid0(VALU_DEP_1)
	v_dual_mov_b32 v7, v6 :: v_dual_mov_b32 v8, v6
	v_mov_b32_e32 v9, v6
	scratch_store_b128 off, v[6:9], off offset:192
	s_wait_loadcnt 0x0
	ds_store_b128 v12, v[2:5]
.LBB55_325:
	s_wait_xcnt 0x0
	s_or_b32 exec_lo, exec_lo, s2
	s_wait_storecnt_dscnt 0x0
	s_barrier_signal -1
	s_barrier_wait -1
	s_clause 0x9
	scratch_load_b128 v[4:7], off, off offset:208
	scratch_load_b128 v[8:11], off, off offset:224
	;; [unrolled: 1-line block ×10, first 2 shown]
	v_mov_b32_e32 v2, 0
	s_mov_b32 s2, exec_lo
	ds_load_b128 v[158:161], v2 offset:1104
	s_clause 0x2
	scratch_load_b128 v[162:165], off, off offset:368
	scratch_load_b128 v[166:169], off, off offset:192
	;; [unrolled: 1-line block ×3, first 2 shown]
	s_wait_loadcnt_dscnt 0xc00
	v_mul_f64_e32 v[178:179], v[160:161], v[6:7]
	v_mul_f64_e32 v[182:183], v[158:159], v[6:7]
	ds_load_b128 v[170:173], v2 offset:1120
	v_fma_f64 v[186:187], v[158:159], v[4:5], -v[178:179]
	v_fmac_f64_e32 v[182:183], v[160:161], v[4:5]
	ds_load_b128 v[4:7], v2 offset:1136
	s_wait_loadcnt_dscnt 0xb01
	v_mul_f64_e32 v[184:185], v[170:171], v[10:11]
	v_mul_f64_e32 v[10:11], v[172:173], v[10:11]
	scratch_load_b128 v[158:161], off, off offset:400
	ds_load_b128 v[178:181], v2 offset:1152
	s_wait_loadcnt_dscnt 0xb01
	v_mul_f64_e32 v[188:189], v[4:5], v[128:129]
	v_mul_f64_e32 v[128:129], v[6:7], v[128:129]
	v_add_f64_e32 v[182:183], 0, v[182:183]
	v_fmac_f64_e32 v[184:185], v[172:173], v[8:9]
	v_fma_f64 v[170:171], v[170:171], v[8:9], -v[10:11]
	v_add_f64_e32 v[172:173], 0, v[186:187]
	scratch_load_b128 v[8:11], off, off offset:416
	v_fmac_f64_e32 v[188:189], v[6:7], v[126:127]
	v_fma_f64 v[190:191], v[4:5], v[126:127], -v[128:129]
	ds_load_b128 v[4:7], v2 offset:1168
	s_wait_loadcnt_dscnt 0xb01
	v_mul_f64_e32 v[186:187], v[178:179], v[132:133]
	v_mul_f64_e32 v[132:133], v[180:181], v[132:133]
	scratch_load_b128 v[126:129], off, off offset:432
	v_add_f64_e32 v[182:183], v[182:183], v[184:185]
	v_add_f64_e32 v[192:193], v[172:173], v[170:171]
	ds_load_b128 v[170:173], v2 offset:1184
	s_wait_loadcnt_dscnt 0xb01
	v_mul_f64_e32 v[184:185], v[4:5], v[136:137]
	v_mul_f64_e32 v[136:137], v[6:7], v[136:137]
	v_fmac_f64_e32 v[186:187], v[180:181], v[130:131]
	v_fma_f64 v[178:179], v[178:179], v[130:131], -v[132:133]
	scratch_load_b128 v[130:133], off, off offset:448
	v_add_f64_e32 v[182:183], v[182:183], v[188:189]
	v_add_f64_e32 v[180:181], v[192:193], v[190:191]
	v_fmac_f64_e32 v[184:185], v[6:7], v[134:135]
	v_fma_f64 v[190:191], v[4:5], v[134:135], -v[136:137]
	ds_load_b128 v[4:7], v2 offset:1200
	s_wait_loadcnt_dscnt 0xb01
	v_mul_f64_e32 v[188:189], v[170:171], v[140:141]
	v_mul_f64_e32 v[140:141], v[172:173], v[140:141]
	scratch_load_b128 v[134:137], off, off offset:464
	v_add_f64_e32 v[182:183], v[182:183], v[186:187]
	s_wait_loadcnt_dscnt 0xb00
	v_mul_f64_e32 v[186:187], v[4:5], v[144:145]
	v_add_f64_e32 v[192:193], v[180:181], v[178:179]
	v_mul_f64_e32 v[144:145], v[6:7], v[144:145]
	ds_load_b128 v[178:181], v2 offset:1216
	v_fmac_f64_e32 v[188:189], v[172:173], v[138:139]
	v_fma_f64 v[170:171], v[170:171], v[138:139], -v[140:141]
	scratch_load_b128 v[138:141], off, off offset:480
	v_add_f64_e32 v[182:183], v[182:183], v[184:185]
	v_fmac_f64_e32 v[186:187], v[6:7], v[142:143]
	v_add_f64_e32 v[172:173], v[192:193], v[190:191]
	v_fma_f64 v[190:191], v[4:5], v[142:143], -v[144:145]
	ds_load_b128 v[4:7], v2 offset:1232
	s_wait_loadcnt_dscnt 0xb01
	v_mul_f64_e32 v[184:185], v[178:179], v[148:149]
	v_mul_f64_e32 v[148:149], v[180:181], v[148:149]
	scratch_load_b128 v[142:145], off, off offset:496
	v_add_f64_e32 v[182:183], v[182:183], v[188:189]
	s_wait_loadcnt_dscnt 0xb00
	v_mul_f64_e32 v[188:189], v[4:5], v[152:153]
	v_add_f64_e32 v[192:193], v[172:173], v[170:171]
	v_mul_f64_e32 v[152:153], v[6:7], v[152:153]
	ds_load_b128 v[170:173], v2 offset:1248
	v_fmac_f64_e32 v[184:185], v[180:181], v[146:147]
	v_fma_f64 v[178:179], v[178:179], v[146:147], -v[148:149]
	scratch_load_b128 v[146:149], off, off offset:512
	v_add_f64_e32 v[182:183], v[182:183], v[186:187]
	v_fmac_f64_e32 v[188:189], v[6:7], v[150:151]
	v_add_f64_e32 v[180:181], v[192:193], v[190:191]
	;; [unrolled: 18-line block ×3, first 2 shown]
	v_fma_f64 v[190:191], v[4:5], v[162:163], -v[164:165]
	ds_load_b128 v[4:7], v2 offset:1296
	s_wait_loadcnt_dscnt 0xa01
	v_mul_f64_e32 v[188:189], v[178:179], v[176:177]
	v_mul_f64_e32 v[176:177], v[180:181], v[176:177]
	scratch_load_b128 v[162:165], off, off offset:560
	v_add_f64_e32 v[182:183], v[182:183], v[186:187]
	v_add_f64_e32 v[192:193], v[172:173], v[170:171]
	s_wait_loadcnt_dscnt 0xa00
	v_mul_f64_e32 v[186:187], v[4:5], v[160:161]
	v_mul_f64_e32 v[160:161], v[6:7], v[160:161]
	v_fmac_f64_e32 v[188:189], v[180:181], v[174:175]
	v_fma_f64 v[178:179], v[178:179], v[174:175], -v[176:177]
	ds_load_b128 v[170:173], v2 offset:1312
	scratch_load_b128 v[174:177], off, off offset:576
	v_add_f64_e32 v[182:183], v[182:183], v[184:185]
	v_add_f64_e32 v[180:181], v[192:193], v[190:191]
	v_fmac_f64_e32 v[186:187], v[6:7], v[158:159]
	v_fma_f64 v[190:191], v[4:5], v[158:159], -v[160:161]
	ds_load_b128 v[4:7], v2 offset:1328
	s_wait_loadcnt_dscnt 0xa01
	v_mul_f64_e32 v[184:185], v[170:171], v[10:11]
	v_mul_f64_e32 v[10:11], v[172:173], v[10:11]
	scratch_load_b128 v[158:161], off, off offset:592
	v_add_f64_e32 v[182:183], v[182:183], v[188:189]
	s_wait_loadcnt_dscnt 0xa00
	v_mul_f64_e32 v[188:189], v[4:5], v[128:129]
	v_add_f64_e32 v[192:193], v[180:181], v[178:179]
	v_mul_f64_e32 v[128:129], v[6:7], v[128:129]
	ds_load_b128 v[178:181], v2 offset:1344
	v_fmac_f64_e32 v[184:185], v[172:173], v[8:9]
	v_fma_f64 v[170:171], v[170:171], v[8:9], -v[10:11]
	scratch_load_b128 v[8:11], off, off offset:608
	v_add_f64_e32 v[182:183], v[182:183], v[186:187]
	v_fmac_f64_e32 v[188:189], v[6:7], v[126:127]
	v_add_f64_e32 v[172:173], v[192:193], v[190:191]
	v_fma_f64 v[190:191], v[4:5], v[126:127], -v[128:129]
	ds_load_b128 v[4:7], v2 offset:1360
	s_wait_loadcnt_dscnt 0xa01
	v_mul_f64_e32 v[186:187], v[178:179], v[132:133]
	v_mul_f64_e32 v[132:133], v[180:181], v[132:133]
	scratch_load_b128 v[126:129], off, off offset:624
	v_add_f64_e32 v[182:183], v[182:183], v[184:185]
	s_wait_loadcnt_dscnt 0xa00
	v_mul_f64_e32 v[184:185], v[4:5], v[136:137]
	v_add_f64_e32 v[192:193], v[172:173], v[170:171]
	v_mul_f64_e32 v[136:137], v[6:7], v[136:137]
	ds_load_b128 v[170:173], v2 offset:1376
	v_fmac_f64_e32 v[186:187], v[180:181], v[130:131]
	v_fma_f64 v[178:179], v[178:179], v[130:131], -v[132:133]
	scratch_load_b128 v[130:133], off, off offset:640
	v_add_f64_e32 v[182:183], v[182:183], v[188:189]
	v_fmac_f64_e32 v[184:185], v[6:7], v[134:135]
	v_add_f64_e32 v[180:181], v[192:193], v[190:191]
	;; [unrolled: 18-line block ×9, first 2 shown]
	v_fma_f64 v[190:191], v[4:5], v[142:143], -v[144:145]
	ds_load_b128 v[4:7], v2 offset:1616
	s_wait_loadcnt_dscnt 0xa01
	v_mul_f64_e32 v[184:185], v[178:179], v[148:149]
	v_mul_f64_e32 v[148:149], v[180:181], v[148:149]
	scratch_load_b128 v[142:145], off, off offset:880
	v_add_f64_e32 v[182:183], v[182:183], v[188:189]
	s_wait_loadcnt_dscnt 0xa00
	v_mul_f64_e32 v[188:189], v[4:5], v[152:153]
	v_add_f64_e32 v[192:193], v[172:173], v[170:171]
	v_mul_f64_e32 v[152:153], v[6:7], v[152:153]
	ds_load_b128 v[170:173], v2 offset:1632
	v_fmac_f64_e32 v[184:185], v[180:181], v[146:147]
	v_fma_f64 v[146:147], v[178:179], v[146:147], -v[148:149]
	s_wait_loadcnt_dscnt 0x900
	v_mul_f64_e32 v[180:181], v[170:171], v[156:157]
	v_mul_f64_e32 v[156:157], v[172:173], v[156:157]
	v_add_f64_e32 v[178:179], v[182:183], v[186:187]
	v_fmac_f64_e32 v[188:189], v[6:7], v[150:151]
	v_add_f64_e32 v[148:149], v[192:193], v[190:191]
	v_fma_f64 v[150:151], v[4:5], v[150:151], -v[152:153]
	v_fmac_f64_e32 v[180:181], v[172:173], v[154:155]
	v_fma_f64 v[154:155], v[170:171], v[154:155], -v[156:157]
	v_add_f64_e32 v[178:179], v[178:179], v[184:185]
	v_add_f64_e32 v[152:153], v[148:149], v[146:147]
	ds_load_b128 v[4:7], v2 offset:1648
	ds_load_b128 v[146:149], v2 offset:1664
	s_wait_loadcnt_dscnt 0x801
	v_mul_f64_e32 v[182:183], v[4:5], v[164:165]
	v_mul_f64_e32 v[164:165], v[6:7], v[164:165]
	s_wait_loadcnt_dscnt 0x700
	v_mul_f64_e32 v[156:157], v[146:147], v[176:177]
	v_mul_f64_e32 v[170:171], v[148:149], v[176:177]
	v_add_f64_e32 v[150:151], v[152:153], v[150:151]
	v_add_f64_e32 v[152:153], v[178:179], v[188:189]
	v_fmac_f64_e32 v[182:183], v[6:7], v[162:163]
	v_fma_f64 v[162:163], v[4:5], v[162:163], -v[164:165]
	v_fmac_f64_e32 v[156:157], v[148:149], v[174:175]
	v_fma_f64 v[146:147], v[146:147], v[174:175], -v[170:171]
	v_add_f64_e32 v[154:155], v[150:151], v[154:155]
	v_add_f64_e32 v[164:165], v[152:153], v[180:181]
	ds_load_b128 v[4:7], v2 offset:1680
	ds_load_b128 v[150:153], v2 offset:1696
	s_wait_loadcnt_dscnt 0x601
	v_mul_f64_e32 v[172:173], v[4:5], v[160:161]
	v_mul_f64_e32 v[160:161], v[6:7], v[160:161]
	v_add_f64_e32 v[148:149], v[154:155], v[162:163]
	v_add_f64_e32 v[154:155], v[164:165], v[182:183]
	s_wait_loadcnt_dscnt 0x500
	v_mul_f64_e32 v[162:163], v[150:151], v[10:11]
	v_mul_f64_e32 v[10:11], v[152:153], v[10:11]
	v_fmac_f64_e32 v[172:173], v[6:7], v[158:159]
	v_fma_f64 v[158:159], v[4:5], v[158:159], -v[160:161]
	v_add_f64_e32 v[160:161], v[148:149], v[146:147]
	v_add_f64_e32 v[154:155], v[154:155], v[156:157]
	ds_load_b128 v[4:7], v2 offset:1712
	ds_load_b128 v[146:149], v2 offset:1728
	v_fmac_f64_e32 v[162:163], v[152:153], v[8:9]
	v_fma_f64 v[8:9], v[150:151], v[8:9], -v[10:11]
	s_wait_loadcnt_dscnt 0x401
	v_mul_f64_e32 v[156:157], v[4:5], v[128:129]
	v_mul_f64_e32 v[128:129], v[6:7], v[128:129]
	s_wait_loadcnt_dscnt 0x300
	v_mul_f64_e32 v[152:153], v[146:147], v[132:133]
	v_mul_f64_e32 v[132:133], v[148:149], v[132:133]
	v_add_f64_e32 v[10:11], v[160:161], v[158:159]
	v_add_f64_e32 v[150:151], v[154:155], v[172:173]
	v_fmac_f64_e32 v[156:157], v[6:7], v[126:127]
	v_fma_f64 v[126:127], v[4:5], v[126:127], -v[128:129]
	v_fmac_f64_e32 v[152:153], v[148:149], v[130:131]
	v_fma_f64 v[130:131], v[146:147], v[130:131], -v[132:133]
	v_add_f64_e32 v[128:129], v[10:11], v[8:9]
	v_add_f64_e32 v[150:151], v[150:151], v[162:163]
	ds_load_b128 v[4:7], v2 offset:1744
	ds_load_b128 v[8:11], v2 offset:1760
	s_wait_loadcnt_dscnt 0x201
	v_mul_f64_e32 v[154:155], v[4:5], v[136:137]
	v_mul_f64_e32 v[136:137], v[6:7], v[136:137]
	s_wait_loadcnt_dscnt 0x100
	v_mul_f64_e32 v[132:133], v[8:9], v[140:141]
	v_mul_f64_e32 v[140:141], v[10:11], v[140:141]
	v_add_f64_e32 v[126:127], v[128:129], v[126:127]
	v_add_f64_e32 v[128:129], v[150:151], v[156:157]
	v_fmac_f64_e32 v[154:155], v[6:7], v[134:135]
	v_fma_f64 v[134:135], v[4:5], v[134:135], -v[136:137]
	ds_load_b128 v[4:7], v2 offset:1776
	v_fmac_f64_e32 v[132:133], v[10:11], v[138:139]
	v_fma_f64 v[8:9], v[8:9], v[138:139], -v[140:141]
	v_add_f64_e32 v[126:127], v[126:127], v[130:131]
	v_add_f64_e32 v[128:129], v[128:129], v[152:153]
	s_wait_loadcnt_dscnt 0x0
	v_mul_f64_e32 v[130:131], v[4:5], v[144:145]
	v_mul_f64_e32 v[136:137], v[6:7], v[144:145]
	s_delay_alu instid0(VALU_DEP_4) | instskip(NEXT) | instid1(VALU_DEP_4)
	v_add_f64_e32 v[10:11], v[126:127], v[134:135]
	v_add_f64_e32 v[126:127], v[128:129], v[154:155]
	s_delay_alu instid0(VALU_DEP_4) | instskip(NEXT) | instid1(VALU_DEP_4)
	v_fmac_f64_e32 v[130:131], v[6:7], v[142:143]
	v_fma_f64 v[4:5], v[4:5], v[142:143], -v[136:137]
	s_delay_alu instid0(VALU_DEP_4) | instskip(NEXT) | instid1(VALU_DEP_4)
	v_add_f64_e32 v[6:7], v[10:11], v[8:9]
	v_add_f64_e32 v[8:9], v[126:127], v[132:133]
	s_delay_alu instid0(VALU_DEP_2) | instskip(NEXT) | instid1(VALU_DEP_2)
	v_add_f64_e32 v[4:5], v[6:7], v[4:5]
	v_add_f64_e32 v[6:7], v[8:9], v[130:131]
	s_delay_alu instid0(VALU_DEP_2) | instskip(NEXT) | instid1(VALU_DEP_2)
	v_add_f64_e64 v[4:5], v[166:167], -v[4:5]
	v_add_f64_e64 v[6:7], v[168:169], -v[6:7]
	scratch_store_b128 off, v[4:7], off offset:192
	s_wait_xcnt 0x0
	v_cmpx_lt_u32_e32 11, v1
	s_cbranch_execz .LBB55_327
; %bb.326:
	scratch_load_b128 v[6:9], off, s59
	v_dual_mov_b32 v3, v2 :: v_dual_mov_b32 v4, v2
	v_mov_b32_e32 v5, v2
	scratch_store_b128 off, v[2:5], off offset:176
	s_wait_loadcnt 0x0
	ds_store_b128 v12, v[6:9]
.LBB55_327:
	s_wait_xcnt 0x0
	s_or_b32 exec_lo, exec_lo, s2
	s_wait_storecnt_dscnt 0x0
	s_barrier_signal -1
	s_barrier_wait -1
	s_clause 0x9
	scratch_load_b128 v[4:7], off, off offset:192
	scratch_load_b128 v[8:11], off, off offset:208
	;; [unrolled: 1-line block ×10, first 2 shown]
	ds_load_b128 v[158:161], v2 offset:1088
	ds_load_b128 v[166:169], v2 offset:1104
	s_clause 0x2
	scratch_load_b128 v[162:165], off, off offset:352
	scratch_load_b128 v[170:173], off, off offset:176
	;; [unrolled: 1-line block ×3, first 2 shown]
	s_mov_b32 s2, exec_lo
	s_wait_loadcnt_dscnt 0xc01
	v_mul_f64_e32 v[178:179], v[160:161], v[6:7]
	v_mul_f64_e32 v[182:183], v[158:159], v[6:7]
	s_wait_loadcnt_dscnt 0xb00
	v_mul_f64_e32 v[184:185], v[166:167], v[10:11]
	v_mul_f64_e32 v[10:11], v[168:169], v[10:11]
	s_delay_alu instid0(VALU_DEP_4) | instskip(NEXT) | instid1(VALU_DEP_4)
	v_fma_f64 v[186:187], v[158:159], v[4:5], -v[178:179]
	v_fmac_f64_e32 v[182:183], v[160:161], v[4:5]
	ds_load_b128 v[4:7], v2 offset:1120
	ds_load_b128 v[158:161], v2 offset:1136
	scratch_load_b128 v[178:181], off, off offset:384
	v_fmac_f64_e32 v[184:185], v[168:169], v[8:9]
	v_fma_f64 v[166:167], v[166:167], v[8:9], -v[10:11]
	scratch_load_b128 v[8:11], off, off offset:400
	s_wait_loadcnt_dscnt 0xc01
	v_mul_f64_e32 v[188:189], v[4:5], v[128:129]
	v_mul_f64_e32 v[128:129], v[6:7], v[128:129]
	v_add_f64_e32 v[168:169], 0, v[186:187]
	v_add_f64_e32 v[182:183], 0, v[182:183]
	s_wait_loadcnt_dscnt 0xb00
	v_mul_f64_e32 v[186:187], v[158:159], v[132:133]
	v_mul_f64_e32 v[132:133], v[160:161], v[132:133]
	v_fmac_f64_e32 v[188:189], v[6:7], v[126:127]
	v_fma_f64 v[190:191], v[4:5], v[126:127], -v[128:129]
	ds_load_b128 v[4:7], v2 offset:1152
	ds_load_b128 v[126:129], v2 offset:1168
	v_add_f64_e32 v[192:193], v[168:169], v[166:167]
	v_add_f64_e32 v[182:183], v[182:183], v[184:185]
	scratch_load_b128 v[166:169], off, off offset:416
	v_fmac_f64_e32 v[186:187], v[160:161], v[130:131]
	v_fma_f64 v[158:159], v[158:159], v[130:131], -v[132:133]
	scratch_load_b128 v[130:133], off, off offset:432
	s_wait_loadcnt_dscnt 0xc01
	v_mul_f64_e32 v[184:185], v[4:5], v[136:137]
	v_mul_f64_e32 v[136:137], v[6:7], v[136:137]
	v_add_f64_e32 v[160:161], v[192:193], v[190:191]
	v_add_f64_e32 v[182:183], v[182:183], v[188:189]
	s_wait_loadcnt_dscnt 0xb00
	v_mul_f64_e32 v[188:189], v[126:127], v[140:141]
	v_mul_f64_e32 v[140:141], v[128:129], v[140:141]
	v_fmac_f64_e32 v[184:185], v[6:7], v[134:135]
	v_fma_f64 v[190:191], v[4:5], v[134:135], -v[136:137]
	ds_load_b128 v[4:7], v2 offset:1184
	ds_load_b128 v[134:137], v2 offset:1200
	v_add_f64_e32 v[192:193], v[160:161], v[158:159]
	v_add_f64_e32 v[182:183], v[182:183], v[186:187]
	scratch_load_b128 v[158:161], off, off offset:448
	s_wait_loadcnt_dscnt 0xb01
	v_mul_f64_e32 v[186:187], v[4:5], v[144:145]
	v_mul_f64_e32 v[144:145], v[6:7], v[144:145]
	v_fmac_f64_e32 v[188:189], v[128:129], v[138:139]
	v_fma_f64 v[138:139], v[126:127], v[138:139], -v[140:141]
	scratch_load_b128 v[126:129], off, off offset:464
	v_add_f64_e32 v[140:141], v[192:193], v[190:191]
	v_add_f64_e32 v[182:183], v[182:183], v[184:185]
	s_wait_loadcnt_dscnt 0xb00
	v_mul_f64_e32 v[184:185], v[134:135], v[148:149]
	v_mul_f64_e32 v[148:149], v[136:137], v[148:149]
	v_fmac_f64_e32 v[186:187], v[6:7], v[142:143]
	v_fma_f64 v[190:191], v[4:5], v[142:143], -v[144:145]
	v_add_f64_e32 v[192:193], v[140:141], v[138:139]
	v_add_f64_e32 v[182:183], v[182:183], v[188:189]
	ds_load_b128 v[4:7], v2 offset:1216
	ds_load_b128 v[138:141], v2 offset:1232
	scratch_load_b128 v[142:145], off, off offset:480
	v_fmac_f64_e32 v[184:185], v[136:137], v[146:147]
	v_fma_f64 v[146:147], v[134:135], v[146:147], -v[148:149]
	scratch_load_b128 v[134:137], off, off offset:496
	s_wait_loadcnt_dscnt 0xc01
	v_mul_f64_e32 v[188:189], v[4:5], v[152:153]
	v_mul_f64_e32 v[152:153], v[6:7], v[152:153]
	v_add_f64_e32 v[148:149], v[192:193], v[190:191]
	v_add_f64_e32 v[182:183], v[182:183], v[186:187]
	s_wait_loadcnt_dscnt 0xb00
	v_mul_f64_e32 v[186:187], v[138:139], v[156:157]
	v_mul_f64_e32 v[156:157], v[140:141], v[156:157]
	v_fmac_f64_e32 v[188:189], v[6:7], v[150:151]
	v_fma_f64 v[190:191], v[4:5], v[150:151], -v[152:153]
	v_add_f64_e32 v[192:193], v[148:149], v[146:147]
	v_add_f64_e32 v[182:183], v[182:183], v[184:185]
	ds_load_b128 v[4:7], v2 offset:1248
	ds_load_b128 v[146:149], v2 offset:1264
	scratch_load_b128 v[150:153], off, off offset:512
	v_fmac_f64_e32 v[186:187], v[140:141], v[154:155]
	v_fma_f64 v[154:155], v[138:139], v[154:155], -v[156:157]
	scratch_load_b128 v[138:141], off, off offset:528
	s_wait_loadcnt_dscnt 0xc01
	v_mul_f64_e32 v[184:185], v[4:5], v[164:165]
	v_mul_f64_e32 v[164:165], v[6:7], v[164:165]
	;; [unrolled: 18-line block ×5, first 2 shown]
	v_add_f64_e32 v[176:177], v[192:193], v[190:191]
	v_add_f64_e32 v[182:183], v[182:183], v[188:189]
	s_wait_loadcnt_dscnt 0xa00
	v_mul_f64_e32 v[188:189], v[154:155], v[128:129]
	v_mul_f64_e32 v[128:129], v[156:157], v[128:129]
	v_fmac_f64_e32 v[184:185], v[6:7], v[158:159]
	v_fma_f64 v[190:191], v[4:5], v[158:159], -v[160:161]
	ds_load_b128 v[4:7], v2 offset:1376
	ds_load_b128 v[158:161], v2 offset:1392
	v_add_f64_e32 v[192:193], v[176:177], v[174:175]
	v_add_f64_e32 v[182:183], v[182:183], v[186:187]
	scratch_load_b128 v[174:177], off, off offset:640
	v_fmac_f64_e32 v[188:189], v[156:157], v[126:127]
	v_fma_f64 v[154:155], v[154:155], v[126:127], -v[128:129]
	scratch_load_b128 v[126:129], off, off offset:656
	s_wait_loadcnt_dscnt 0xb01
	v_mul_f64_e32 v[186:187], v[4:5], v[144:145]
	v_mul_f64_e32 v[144:145], v[6:7], v[144:145]
	v_add_f64_e32 v[156:157], v[192:193], v[190:191]
	v_add_f64_e32 v[182:183], v[182:183], v[184:185]
	s_wait_loadcnt_dscnt 0xa00
	v_mul_f64_e32 v[184:185], v[158:159], v[136:137]
	v_mul_f64_e32 v[136:137], v[160:161], v[136:137]
	v_fmac_f64_e32 v[186:187], v[6:7], v[142:143]
	v_fma_f64 v[190:191], v[4:5], v[142:143], -v[144:145]
	ds_load_b128 v[4:7], v2 offset:1408
	ds_load_b128 v[142:145], v2 offset:1424
	v_add_f64_e32 v[192:193], v[156:157], v[154:155]
	v_add_f64_e32 v[182:183], v[182:183], v[188:189]
	scratch_load_b128 v[154:157], off, off offset:672
	s_wait_loadcnt_dscnt 0xa01
	v_mul_f64_e32 v[188:189], v[4:5], v[152:153]
	v_mul_f64_e32 v[152:153], v[6:7], v[152:153]
	v_fmac_f64_e32 v[184:185], v[160:161], v[134:135]
	v_fma_f64 v[158:159], v[158:159], v[134:135], -v[136:137]
	scratch_load_b128 v[134:137], off, off offset:688
	v_add_f64_e32 v[160:161], v[192:193], v[190:191]
	v_add_f64_e32 v[182:183], v[182:183], v[186:187]
	s_wait_loadcnt_dscnt 0xa00
	v_mul_f64_e32 v[186:187], v[142:143], v[140:141]
	v_mul_f64_e32 v[140:141], v[144:145], v[140:141]
	v_fmac_f64_e32 v[188:189], v[6:7], v[150:151]
	v_fma_f64 v[190:191], v[4:5], v[150:151], -v[152:153]
	ds_load_b128 v[4:7], v2 offset:1440
	ds_load_b128 v[150:153], v2 offset:1456
	v_add_f64_e32 v[192:193], v[160:161], v[158:159]
	v_add_f64_e32 v[182:183], v[182:183], v[184:185]
	scratch_load_b128 v[158:161], off, off offset:704
	s_wait_loadcnt_dscnt 0xa01
	v_mul_f64_e32 v[184:185], v[4:5], v[164:165]
	v_mul_f64_e32 v[164:165], v[6:7], v[164:165]
	v_fmac_f64_e32 v[186:187], v[144:145], v[138:139]
	v_fma_f64 v[142:143], v[142:143], v[138:139], -v[140:141]
	scratch_load_b128 v[138:141], off, off offset:720
	v_add_f64_e32 v[144:145], v[192:193], v[190:191]
	v_add_f64_e32 v[182:183], v[182:183], v[188:189]
	s_wait_loadcnt_dscnt 0xa00
	v_mul_f64_e32 v[188:189], v[150:151], v[148:149]
	v_mul_f64_e32 v[148:149], v[152:153], v[148:149]
	v_fmac_f64_e32 v[184:185], v[6:7], v[162:163]
	v_fma_f64 v[190:191], v[4:5], v[162:163], -v[164:165]
	v_add_f64_e32 v[192:193], v[144:145], v[142:143]
	v_add_f64_e32 v[182:183], v[182:183], v[186:187]
	ds_load_b128 v[4:7], v2 offset:1472
	ds_load_b128 v[142:145], v2 offset:1488
	scratch_load_b128 v[162:165], off, off offset:736
	v_fmac_f64_e32 v[188:189], v[152:153], v[146:147]
	v_fma_f64 v[150:151], v[150:151], v[146:147], -v[148:149]
	scratch_load_b128 v[146:149], off, off offset:752
	s_wait_loadcnt_dscnt 0xb01
	v_mul_f64_e32 v[186:187], v[4:5], v[180:181]
	v_mul_f64_e32 v[180:181], v[6:7], v[180:181]
	v_add_f64_e32 v[152:153], v[192:193], v[190:191]
	v_add_f64_e32 v[182:183], v[182:183], v[184:185]
	s_wait_loadcnt_dscnt 0xa00
	v_mul_f64_e32 v[184:185], v[142:143], v[10:11]
	v_mul_f64_e32 v[10:11], v[144:145], v[10:11]
	v_fmac_f64_e32 v[186:187], v[6:7], v[178:179]
	v_fma_f64 v[190:191], v[4:5], v[178:179], -v[180:181]
	v_add_f64_e32 v[192:193], v[152:153], v[150:151]
	v_add_f64_e32 v[182:183], v[182:183], v[188:189]
	ds_load_b128 v[4:7], v2 offset:1504
	ds_load_b128 v[150:153], v2 offset:1520
	scratch_load_b128 v[178:181], off, off offset:768
	v_fmac_f64_e32 v[184:185], v[144:145], v[8:9]
	v_fma_f64 v[142:143], v[142:143], v[8:9], -v[10:11]
	scratch_load_b128 v[8:11], off, off offset:784
	s_wait_loadcnt_dscnt 0xb01
	v_mul_f64_e32 v[188:189], v[4:5], v[168:169]
	v_mul_f64_e32 v[168:169], v[6:7], v[168:169]
	;; [unrolled: 18-line block ×5, first 2 shown]
	v_add_f64_e32 v[152:153], v[192:193], v[190:191]
	v_add_f64_e32 v[182:183], v[182:183], v[186:187]
	s_wait_loadcnt_dscnt 0xa00
	v_mul_f64_e32 v[186:187], v[142:143], v[140:141]
	v_mul_f64_e32 v[140:141], v[144:145], v[140:141]
	v_fmac_f64_e32 v[188:189], v[6:7], v[158:159]
	v_fma_f64 v[158:159], v[4:5], v[158:159], -v[160:161]
	v_add_f64_e32 v[160:161], v[152:153], v[150:151]
	v_add_f64_e32 v[182:183], v[182:183], v[184:185]
	ds_load_b128 v[4:7], v2 offset:1632
	ds_load_b128 v[150:153], v2 offset:1648
	v_fmac_f64_e32 v[186:187], v[144:145], v[138:139]
	v_fma_f64 v[138:139], v[142:143], v[138:139], -v[140:141]
	s_wait_loadcnt_dscnt 0x901
	v_mul_f64_e32 v[184:185], v[4:5], v[164:165]
	v_mul_f64_e32 v[164:165], v[6:7], v[164:165]
	s_wait_loadcnt_dscnt 0x800
	v_mul_f64_e32 v[144:145], v[150:151], v[148:149]
	v_mul_f64_e32 v[148:149], v[152:153], v[148:149]
	v_add_f64_e32 v[140:141], v[160:161], v[158:159]
	v_add_f64_e32 v[142:143], v[182:183], v[188:189]
	v_fmac_f64_e32 v[184:185], v[6:7], v[162:163]
	v_fma_f64 v[158:159], v[4:5], v[162:163], -v[164:165]
	v_fmac_f64_e32 v[144:145], v[152:153], v[146:147]
	v_fma_f64 v[146:147], v[150:151], v[146:147], -v[148:149]
	v_add_f64_e32 v[160:161], v[140:141], v[138:139]
	v_add_f64_e32 v[142:143], v[142:143], v[186:187]
	ds_load_b128 v[4:7], v2 offset:1664
	ds_load_b128 v[138:141], v2 offset:1680
	s_wait_loadcnt_dscnt 0x701
	v_mul_f64_e32 v[162:163], v[4:5], v[180:181]
	v_mul_f64_e32 v[164:165], v[6:7], v[180:181]
	s_wait_loadcnt_dscnt 0x600
	v_mul_f64_e32 v[150:151], v[138:139], v[10:11]
	v_mul_f64_e32 v[10:11], v[140:141], v[10:11]
	v_add_f64_e32 v[148:149], v[160:161], v[158:159]
	v_add_f64_e32 v[142:143], v[142:143], v[184:185]
	v_fmac_f64_e32 v[162:163], v[6:7], v[178:179]
	v_fma_f64 v[152:153], v[4:5], v[178:179], -v[164:165]
	v_fmac_f64_e32 v[150:151], v[140:141], v[8:9]
	v_fma_f64 v[8:9], v[138:139], v[8:9], -v[10:11]
	v_add_f64_e32 v[146:147], v[148:149], v[146:147]
	v_add_f64_e32 v[148:149], v[142:143], v[144:145]
	ds_load_b128 v[4:7], v2 offset:1696
	ds_load_b128 v[142:145], v2 offset:1712
	;; [unrolled: 16-line block ×4, first 2 shown]
	s_wait_loadcnt_dscnt 0x101
	v_mul_f64_e32 v[2:3], v[4:5], v[156:157]
	v_mul_f64_e32 v[140:141], v[6:7], v[156:157]
	v_add_f64_e32 v[10:11], v[132:133], v[146:147]
	v_add_f64_e32 v[126:127], v[138:139], v[150:151]
	s_wait_loadcnt_dscnt 0x0
	v_mul_f64_e32 v[132:133], v[128:129], v[136:137]
	v_mul_f64_e32 v[136:137], v[130:131], v[136:137]
	v_fmac_f64_e32 v[2:3], v[6:7], v[154:155]
	v_fma_f64 v[4:5], v[4:5], v[154:155], -v[140:141]
	v_add_f64_e32 v[6:7], v[10:11], v[8:9]
	v_add_f64_e32 v[8:9], v[126:127], v[142:143]
	v_fmac_f64_e32 v[132:133], v[130:131], v[134:135]
	v_fma_f64 v[10:11], v[128:129], v[134:135], -v[136:137]
	s_delay_alu instid0(VALU_DEP_4) | instskip(NEXT) | instid1(VALU_DEP_4)
	v_add_f64_e32 v[4:5], v[6:7], v[4:5]
	v_add_f64_e32 v[2:3], v[8:9], v[2:3]
	s_delay_alu instid0(VALU_DEP_2) | instskip(NEXT) | instid1(VALU_DEP_2)
	v_add_f64_e32 v[4:5], v[4:5], v[10:11]
	v_add_f64_e32 v[6:7], v[2:3], v[132:133]
	s_delay_alu instid0(VALU_DEP_2) | instskip(NEXT) | instid1(VALU_DEP_2)
	v_add_f64_e64 v[2:3], v[170:171], -v[4:5]
	v_add_f64_e64 v[4:5], v[172:173], -v[6:7]
	scratch_store_b128 off, v[2:5], off offset:176
	s_wait_xcnt 0x0
	v_cmpx_lt_u32_e32 10, v1
	s_cbranch_execz .LBB55_329
; %bb.328:
	scratch_load_b128 v[2:5], off, s56
	v_mov_b32_e32 v6, 0
	s_delay_alu instid0(VALU_DEP_1)
	v_dual_mov_b32 v7, v6 :: v_dual_mov_b32 v8, v6
	v_mov_b32_e32 v9, v6
	scratch_store_b128 off, v[6:9], off offset:160
	s_wait_loadcnt 0x0
	ds_store_b128 v12, v[2:5]
.LBB55_329:
	s_wait_xcnt 0x0
	s_or_b32 exec_lo, exec_lo, s2
	s_wait_storecnt_dscnt 0x0
	s_barrier_signal -1
	s_barrier_wait -1
	s_clause 0x9
	scratch_load_b128 v[4:7], off, off offset:176
	scratch_load_b128 v[8:11], off, off offset:192
	;; [unrolled: 1-line block ×10, first 2 shown]
	v_mov_b32_e32 v2, 0
	s_mov_b32 s2, exec_lo
	ds_load_b128 v[158:161], v2 offset:1072
	s_clause 0x2
	scratch_load_b128 v[162:165], off, off offset:336
	scratch_load_b128 v[166:169], off, off offset:160
	scratch_load_b128 v[174:177], off, off offset:352
	s_wait_loadcnt_dscnt 0xc00
	v_mul_f64_e32 v[178:179], v[160:161], v[6:7]
	v_mul_f64_e32 v[182:183], v[158:159], v[6:7]
	ds_load_b128 v[170:173], v2 offset:1088
	v_fma_f64 v[186:187], v[158:159], v[4:5], -v[178:179]
	v_fmac_f64_e32 v[182:183], v[160:161], v[4:5]
	ds_load_b128 v[4:7], v2 offset:1104
	s_wait_loadcnt_dscnt 0xb01
	v_mul_f64_e32 v[184:185], v[170:171], v[10:11]
	v_mul_f64_e32 v[10:11], v[172:173], v[10:11]
	scratch_load_b128 v[158:161], off, off offset:368
	ds_load_b128 v[178:181], v2 offset:1120
	s_wait_loadcnt_dscnt 0xb01
	v_mul_f64_e32 v[188:189], v[4:5], v[128:129]
	v_mul_f64_e32 v[128:129], v[6:7], v[128:129]
	v_add_f64_e32 v[182:183], 0, v[182:183]
	v_fmac_f64_e32 v[184:185], v[172:173], v[8:9]
	v_fma_f64 v[170:171], v[170:171], v[8:9], -v[10:11]
	v_add_f64_e32 v[172:173], 0, v[186:187]
	scratch_load_b128 v[8:11], off, off offset:384
	v_fmac_f64_e32 v[188:189], v[6:7], v[126:127]
	v_fma_f64 v[190:191], v[4:5], v[126:127], -v[128:129]
	ds_load_b128 v[4:7], v2 offset:1136
	s_wait_loadcnt_dscnt 0xb01
	v_mul_f64_e32 v[186:187], v[178:179], v[132:133]
	v_mul_f64_e32 v[132:133], v[180:181], v[132:133]
	scratch_load_b128 v[126:129], off, off offset:400
	v_add_f64_e32 v[182:183], v[182:183], v[184:185]
	v_add_f64_e32 v[192:193], v[172:173], v[170:171]
	ds_load_b128 v[170:173], v2 offset:1152
	s_wait_loadcnt_dscnt 0xb01
	v_mul_f64_e32 v[184:185], v[4:5], v[136:137]
	v_mul_f64_e32 v[136:137], v[6:7], v[136:137]
	v_fmac_f64_e32 v[186:187], v[180:181], v[130:131]
	v_fma_f64 v[178:179], v[178:179], v[130:131], -v[132:133]
	scratch_load_b128 v[130:133], off, off offset:416
	v_add_f64_e32 v[182:183], v[182:183], v[188:189]
	v_add_f64_e32 v[180:181], v[192:193], v[190:191]
	v_fmac_f64_e32 v[184:185], v[6:7], v[134:135]
	v_fma_f64 v[190:191], v[4:5], v[134:135], -v[136:137]
	ds_load_b128 v[4:7], v2 offset:1168
	s_wait_loadcnt_dscnt 0xb01
	v_mul_f64_e32 v[188:189], v[170:171], v[140:141]
	v_mul_f64_e32 v[140:141], v[172:173], v[140:141]
	scratch_load_b128 v[134:137], off, off offset:432
	v_add_f64_e32 v[182:183], v[182:183], v[186:187]
	s_wait_loadcnt_dscnt 0xb00
	v_mul_f64_e32 v[186:187], v[4:5], v[144:145]
	v_add_f64_e32 v[192:193], v[180:181], v[178:179]
	v_mul_f64_e32 v[144:145], v[6:7], v[144:145]
	ds_load_b128 v[178:181], v2 offset:1184
	v_fmac_f64_e32 v[188:189], v[172:173], v[138:139]
	v_fma_f64 v[170:171], v[170:171], v[138:139], -v[140:141]
	scratch_load_b128 v[138:141], off, off offset:448
	v_add_f64_e32 v[182:183], v[182:183], v[184:185]
	v_fmac_f64_e32 v[186:187], v[6:7], v[142:143]
	v_add_f64_e32 v[172:173], v[192:193], v[190:191]
	v_fma_f64 v[190:191], v[4:5], v[142:143], -v[144:145]
	ds_load_b128 v[4:7], v2 offset:1200
	s_wait_loadcnt_dscnt 0xb01
	v_mul_f64_e32 v[184:185], v[178:179], v[148:149]
	v_mul_f64_e32 v[148:149], v[180:181], v[148:149]
	scratch_load_b128 v[142:145], off, off offset:464
	v_add_f64_e32 v[182:183], v[182:183], v[188:189]
	s_wait_loadcnt_dscnt 0xb00
	v_mul_f64_e32 v[188:189], v[4:5], v[152:153]
	v_add_f64_e32 v[192:193], v[172:173], v[170:171]
	v_mul_f64_e32 v[152:153], v[6:7], v[152:153]
	ds_load_b128 v[170:173], v2 offset:1216
	v_fmac_f64_e32 v[184:185], v[180:181], v[146:147]
	v_fma_f64 v[178:179], v[178:179], v[146:147], -v[148:149]
	scratch_load_b128 v[146:149], off, off offset:480
	v_add_f64_e32 v[182:183], v[182:183], v[186:187]
	v_fmac_f64_e32 v[188:189], v[6:7], v[150:151]
	v_add_f64_e32 v[180:181], v[192:193], v[190:191]
	;; [unrolled: 18-line block ×3, first 2 shown]
	v_fma_f64 v[190:191], v[4:5], v[162:163], -v[164:165]
	ds_load_b128 v[4:7], v2 offset:1264
	s_wait_loadcnt_dscnt 0xa01
	v_mul_f64_e32 v[188:189], v[178:179], v[176:177]
	v_mul_f64_e32 v[176:177], v[180:181], v[176:177]
	scratch_load_b128 v[162:165], off, off offset:528
	v_add_f64_e32 v[182:183], v[182:183], v[186:187]
	v_add_f64_e32 v[192:193], v[172:173], v[170:171]
	s_wait_loadcnt_dscnt 0xa00
	v_mul_f64_e32 v[186:187], v[4:5], v[160:161]
	v_mul_f64_e32 v[160:161], v[6:7], v[160:161]
	v_fmac_f64_e32 v[188:189], v[180:181], v[174:175]
	v_fma_f64 v[178:179], v[178:179], v[174:175], -v[176:177]
	ds_load_b128 v[170:173], v2 offset:1280
	scratch_load_b128 v[174:177], off, off offset:544
	v_add_f64_e32 v[182:183], v[182:183], v[184:185]
	v_add_f64_e32 v[180:181], v[192:193], v[190:191]
	v_fmac_f64_e32 v[186:187], v[6:7], v[158:159]
	v_fma_f64 v[190:191], v[4:5], v[158:159], -v[160:161]
	ds_load_b128 v[4:7], v2 offset:1296
	s_wait_loadcnt_dscnt 0xa01
	v_mul_f64_e32 v[184:185], v[170:171], v[10:11]
	v_mul_f64_e32 v[10:11], v[172:173], v[10:11]
	scratch_load_b128 v[158:161], off, off offset:560
	v_add_f64_e32 v[182:183], v[182:183], v[188:189]
	s_wait_loadcnt_dscnt 0xa00
	v_mul_f64_e32 v[188:189], v[4:5], v[128:129]
	v_add_f64_e32 v[192:193], v[180:181], v[178:179]
	v_mul_f64_e32 v[128:129], v[6:7], v[128:129]
	ds_load_b128 v[178:181], v2 offset:1312
	v_fmac_f64_e32 v[184:185], v[172:173], v[8:9]
	v_fma_f64 v[170:171], v[170:171], v[8:9], -v[10:11]
	scratch_load_b128 v[8:11], off, off offset:576
	v_add_f64_e32 v[182:183], v[182:183], v[186:187]
	v_fmac_f64_e32 v[188:189], v[6:7], v[126:127]
	v_add_f64_e32 v[172:173], v[192:193], v[190:191]
	v_fma_f64 v[190:191], v[4:5], v[126:127], -v[128:129]
	ds_load_b128 v[4:7], v2 offset:1328
	s_wait_loadcnt_dscnt 0xa01
	v_mul_f64_e32 v[186:187], v[178:179], v[132:133]
	v_mul_f64_e32 v[132:133], v[180:181], v[132:133]
	scratch_load_b128 v[126:129], off, off offset:592
	v_add_f64_e32 v[182:183], v[182:183], v[184:185]
	s_wait_loadcnt_dscnt 0xa00
	v_mul_f64_e32 v[184:185], v[4:5], v[136:137]
	v_add_f64_e32 v[192:193], v[172:173], v[170:171]
	v_mul_f64_e32 v[136:137], v[6:7], v[136:137]
	ds_load_b128 v[170:173], v2 offset:1344
	v_fmac_f64_e32 v[186:187], v[180:181], v[130:131]
	v_fma_f64 v[178:179], v[178:179], v[130:131], -v[132:133]
	scratch_load_b128 v[130:133], off, off offset:608
	v_add_f64_e32 v[182:183], v[182:183], v[188:189]
	v_fmac_f64_e32 v[184:185], v[6:7], v[134:135]
	v_add_f64_e32 v[180:181], v[192:193], v[190:191]
	;; [unrolled: 18-line block ×10, first 2 shown]
	v_fma_f64 v[190:191], v[4:5], v[150:151], -v[152:153]
	ds_load_b128 v[4:7], v2 offset:1616
	s_wait_loadcnt_dscnt 0xa01
	v_mul_f64_e32 v[186:187], v[170:171], v[156:157]
	v_mul_f64_e32 v[156:157], v[172:173], v[156:157]
	scratch_load_b128 v[150:153], off, off offset:880
	v_add_f64_e32 v[182:183], v[182:183], v[184:185]
	s_wait_loadcnt_dscnt 0xa00
	v_mul_f64_e32 v[184:185], v[4:5], v[164:165]
	v_add_f64_e32 v[192:193], v[180:181], v[178:179]
	v_mul_f64_e32 v[164:165], v[6:7], v[164:165]
	ds_load_b128 v[178:181], v2 offset:1632
	v_fmac_f64_e32 v[186:187], v[172:173], v[154:155]
	v_fma_f64 v[154:155], v[170:171], v[154:155], -v[156:157]
	s_wait_loadcnt_dscnt 0x900
	v_mul_f64_e32 v[172:173], v[178:179], v[176:177]
	v_mul_f64_e32 v[176:177], v[180:181], v[176:177]
	v_add_f64_e32 v[170:171], v[182:183], v[188:189]
	v_fmac_f64_e32 v[184:185], v[6:7], v[162:163]
	v_add_f64_e32 v[156:157], v[192:193], v[190:191]
	v_fma_f64 v[162:163], v[4:5], v[162:163], -v[164:165]
	v_fmac_f64_e32 v[172:173], v[180:181], v[174:175]
	v_fma_f64 v[174:175], v[178:179], v[174:175], -v[176:177]
	v_add_f64_e32 v[170:171], v[170:171], v[186:187]
	v_add_f64_e32 v[164:165], v[156:157], v[154:155]
	ds_load_b128 v[4:7], v2 offset:1648
	ds_load_b128 v[154:157], v2 offset:1664
	s_wait_loadcnt_dscnt 0x801
	v_mul_f64_e32 v[182:183], v[4:5], v[160:161]
	v_mul_f64_e32 v[160:161], v[6:7], v[160:161]
	v_add_f64_e32 v[162:163], v[164:165], v[162:163]
	v_add_f64_e32 v[164:165], v[170:171], v[184:185]
	s_wait_loadcnt_dscnt 0x700
	v_mul_f64_e32 v[170:171], v[154:155], v[10:11]
	v_mul_f64_e32 v[10:11], v[156:157], v[10:11]
	v_fmac_f64_e32 v[182:183], v[6:7], v[158:159]
	v_fma_f64 v[176:177], v[4:5], v[158:159], -v[160:161]
	ds_load_b128 v[4:7], v2 offset:1680
	ds_load_b128 v[158:161], v2 offset:1696
	v_add_f64_e32 v[162:163], v[162:163], v[174:175]
	v_add_f64_e32 v[164:165], v[164:165], v[172:173]
	v_fmac_f64_e32 v[170:171], v[156:157], v[8:9]
	v_fma_f64 v[8:9], v[154:155], v[8:9], -v[10:11]
	s_wait_loadcnt_dscnt 0x601
	v_mul_f64_e32 v[172:173], v[4:5], v[128:129]
	v_mul_f64_e32 v[128:129], v[6:7], v[128:129]
	s_wait_loadcnt_dscnt 0x500
	v_mul_f64_e32 v[156:157], v[158:159], v[132:133]
	v_mul_f64_e32 v[132:133], v[160:161], v[132:133]
	v_add_f64_e32 v[10:11], v[162:163], v[176:177]
	v_add_f64_e32 v[154:155], v[164:165], v[182:183]
	v_fmac_f64_e32 v[172:173], v[6:7], v[126:127]
	v_fma_f64 v[126:127], v[4:5], v[126:127], -v[128:129]
	v_fmac_f64_e32 v[156:157], v[160:161], v[130:131]
	v_fma_f64 v[130:131], v[158:159], v[130:131], -v[132:133]
	v_add_f64_e32 v[128:129], v[10:11], v[8:9]
	v_add_f64_e32 v[154:155], v[154:155], v[170:171]
	ds_load_b128 v[4:7], v2 offset:1712
	ds_load_b128 v[8:11], v2 offset:1728
	s_wait_loadcnt_dscnt 0x401
	v_mul_f64_e32 v[162:163], v[4:5], v[136:137]
	v_mul_f64_e32 v[136:137], v[6:7], v[136:137]
	s_wait_loadcnt_dscnt 0x300
	v_mul_f64_e32 v[132:133], v[8:9], v[140:141]
	v_mul_f64_e32 v[140:141], v[10:11], v[140:141]
	v_add_f64_e32 v[126:127], v[128:129], v[126:127]
	v_add_f64_e32 v[128:129], v[154:155], v[172:173]
	v_fmac_f64_e32 v[162:163], v[6:7], v[134:135]
	v_fma_f64 v[134:135], v[4:5], v[134:135], -v[136:137]
	v_fmac_f64_e32 v[132:133], v[10:11], v[138:139]
	v_fma_f64 v[8:9], v[8:9], v[138:139], -v[140:141]
	v_add_f64_e32 v[130:131], v[126:127], v[130:131]
	v_add_f64_e32 v[136:137], v[128:129], v[156:157]
	ds_load_b128 v[4:7], v2 offset:1744
	ds_load_b128 v[126:129], v2 offset:1760
	s_wait_loadcnt_dscnt 0x201
	v_mul_f64_e32 v[154:155], v[4:5], v[144:145]
	v_mul_f64_e32 v[144:145], v[6:7], v[144:145]
	v_add_f64_e32 v[10:11], v[130:131], v[134:135]
	v_add_f64_e32 v[130:131], v[136:137], v[162:163]
	s_wait_loadcnt_dscnt 0x100
	v_mul_f64_e32 v[134:135], v[126:127], v[148:149]
	v_mul_f64_e32 v[136:137], v[128:129], v[148:149]
	v_fmac_f64_e32 v[154:155], v[6:7], v[142:143]
	v_fma_f64 v[138:139], v[4:5], v[142:143], -v[144:145]
	ds_load_b128 v[4:7], v2 offset:1776
	v_add_f64_e32 v[8:9], v[10:11], v[8:9]
	v_add_f64_e32 v[10:11], v[130:131], v[132:133]
	v_fmac_f64_e32 v[134:135], v[128:129], v[146:147]
	v_fma_f64 v[126:127], v[126:127], v[146:147], -v[136:137]
	s_wait_loadcnt_dscnt 0x0
	v_mul_f64_e32 v[130:131], v[4:5], v[152:153]
	v_mul_f64_e32 v[132:133], v[6:7], v[152:153]
	v_add_f64_e32 v[8:9], v[8:9], v[138:139]
	v_add_f64_e32 v[10:11], v[10:11], v[154:155]
	s_delay_alu instid0(VALU_DEP_4) | instskip(NEXT) | instid1(VALU_DEP_4)
	v_fmac_f64_e32 v[130:131], v[6:7], v[150:151]
	v_fma_f64 v[4:5], v[4:5], v[150:151], -v[132:133]
	s_delay_alu instid0(VALU_DEP_4) | instskip(NEXT) | instid1(VALU_DEP_4)
	v_add_f64_e32 v[6:7], v[8:9], v[126:127]
	v_add_f64_e32 v[8:9], v[10:11], v[134:135]
	s_delay_alu instid0(VALU_DEP_2) | instskip(NEXT) | instid1(VALU_DEP_2)
	v_add_f64_e32 v[4:5], v[6:7], v[4:5]
	v_add_f64_e32 v[6:7], v[8:9], v[130:131]
	s_delay_alu instid0(VALU_DEP_2) | instskip(NEXT) | instid1(VALU_DEP_2)
	v_add_f64_e64 v[4:5], v[166:167], -v[4:5]
	v_add_f64_e64 v[6:7], v[168:169], -v[6:7]
	scratch_store_b128 off, v[4:7], off offset:160
	s_wait_xcnt 0x0
	v_cmpx_lt_u32_e32 9, v1
	s_cbranch_execz .LBB55_331
; %bb.330:
	scratch_load_b128 v[6:9], off, s54
	v_dual_mov_b32 v3, v2 :: v_dual_mov_b32 v4, v2
	v_mov_b32_e32 v5, v2
	scratch_store_b128 off, v[2:5], off offset:144
	s_wait_loadcnt 0x0
	ds_store_b128 v12, v[6:9]
.LBB55_331:
	s_wait_xcnt 0x0
	s_or_b32 exec_lo, exec_lo, s2
	s_wait_storecnt_dscnt 0x0
	s_barrier_signal -1
	s_barrier_wait -1
	s_clause 0x9
	scratch_load_b128 v[4:7], off, off offset:160
	scratch_load_b128 v[8:11], off, off offset:176
	;; [unrolled: 1-line block ×10, first 2 shown]
	ds_load_b128 v[158:161], v2 offset:1056
	ds_load_b128 v[166:169], v2 offset:1072
	s_clause 0x2
	scratch_load_b128 v[162:165], off, off offset:320
	scratch_load_b128 v[170:173], off, off offset:144
	;; [unrolled: 1-line block ×3, first 2 shown]
	s_mov_b32 s2, exec_lo
	s_wait_loadcnt_dscnt 0xc01
	v_mul_f64_e32 v[178:179], v[160:161], v[6:7]
	v_mul_f64_e32 v[182:183], v[158:159], v[6:7]
	s_wait_loadcnt_dscnt 0xb00
	v_mul_f64_e32 v[184:185], v[166:167], v[10:11]
	v_mul_f64_e32 v[10:11], v[168:169], v[10:11]
	s_delay_alu instid0(VALU_DEP_4) | instskip(NEXT) | instid1(VALU_DEP_4)
	v_fma_f64 v[186:187], v[158:159], v[4:5], -v[178:179]
	v_fmac_f64_e32 v[182:183], v[160:161], v[4:5]
	ds_load_b128 v[4:7], v2 offset:1088
	ds_load_b128 v[158:161], v2 offset:1104
	scratch_load_b128 v[178:181], off, off offset:352
	v_fmac_f64_e32 v[184:185], v[168:169], v[8:9]
	v_fma_f64 v[166:167], v[166:167], v[8:9], -v[10:11]
	scratch_load_b128 v[8:11], off, off offset:368
	s_wait_loadcnt_dscnt 0xc01
	v_mul_f64_e32 v[188:189], v[4:5], v[128:129]
	v_mul_f64_e32 v[128:129], v[6:7], v[128:129]
	v_add_f64_e32 v[168:169], 0, v[186:187]
	v_add_f64_e32 v[182:183], 0, v[182:183]
	s_wait_loadcnt_dscnt 0xb00
	v_mul_f64_e32 v[186:187], v[158:159], v[132:133]
	v_mul_f64_e32 v[132:133], v[160:161], v[132:133]
	v_fmac_f64_e32 v[188:189], v[6:7], v[126:127]
	v_fma_f64 v[190:191], v[4:5], v[126:127], -v[128:129]
	ds_load_b128 v[4:7], v2 offset:1120
	ds_load_b128 v[126:129], v2 offset:1136
	v_add_f64_e32 v[192:193], v[168:169], v[166:167]
	v_add_f64_e32 v[182:183], v[182:183], v[184:185]
	scratch_load_b128 v[166:169], off, off offset:384
	v_fmac_f64_e32 v[186:187], v[160:161], v[130:131]
	v_fma_f64 v[158:159], v[158:159], v[130:131], -v[132:133]
	scratch_load_b128 v[130:133], off, off offset:400
	s_wait_loadcnt_dscnt 0xc01
	v_mul_f64_e32 v[184:185], v[4:5], v[136:137]
	v_mul_f64_e32 v[136:137], v[6:7], v[136:137]
	v_add_f64_e32 v[160:161], v[192:193], v[190:191]
	v_add_f64_e32 v[182:183], v[182:183], v[188:189]
	s_wait_loadcnt_dscnt 0xb00
	v_mul_f64_e32 v[188:189], v[126:127], v[140:141]
	v_mul_f64_e32 v[140:141], v[128:129], v[140:141]
	v_fmac_f64_e32 v[184:185], v[6:7], v[134:135]
	v_fma_f64 v[190:191], v[4:5], v[134:135], -v[136:137]
	ds_load_b128 v[4:7], v2 offset:1152
	ds_load_b128 v[134:137], v2 offset:1168
	v_add_f64_e32 v[192:193], v[160:161], v[158:159]
	v_add_f64_e32 v[182:183], v[182:183], v[186:187]
	scratch_load_b128 v[158:161], off, off offset:416
	s_wait_loadcnt_dscnt 0xb01
	v_mul_f64_e32 v[186:187], v[4:5], v[144:145]
	v_mul_f64_e32 v[144:145], v[6:7], v[144:145]
	v_fmac_f64_e32 v[188:189], v[128:129], v[138:139]
	v_fma_f64 v[138:139], v[126:127], v[138:139], -v[140:141]
	scratch_load_b128 v[126:129], off, off offset:432
	v_add_f64_e32 v[140:141], v[192:193], v[190:191]
	v_add_f64_e32 v[182:183], v[182:183], v[184:185]
	s_wait_loadcnt_dscnt 0xb00
	v_mul_f64_e32 v[184:185], v[134:135], v[148:149]
	v_mul_f64_e32 v[148:149], v[136:137], v[148:149]
	v_fmac_f64_e32 v[186:187], v[6:7], v[142:143]
	v_fma_f64 v[190:191], v[4:5], v[142:143], -v[144:145]
	v_add_f64_e32 v[192:193], v[140:141], v[138:139]
	v_add_f64_e32 v[182:183], v[182:183], v[188:189]
	ds_load_b128 v[4:7], v2 offset:1184
	ds_load_b128 v[138:141], v2 offset:1200
	scratch_load_b128 v[142:145], off, off offset:448
	v_fmac_f64_e32 v[184:185], v[136:137], v[146:147]
	v_fma_f64 v[146:147], v[134:135], v[146:147], -v[148:149]
	scratch_load_b128 v[134:137], off, off offset:464
	s_wait_loadcnt_dscnt 0xc01
	v_mul_f64_e32 v[188:189], v[4:5], v[152:153]
	v_mul_f64_e32 v[152:153], v[6:7], v[152:153]
	v_add_f64_e32 v[148:149], v[192:193], v[190:191]
	v_add_f64_e32 v[182:183], v[182:183], v[186:187]
	s_wait_loadcnt_dscnt 0xb00
	v_mul_f64_e32 v[186:187], v[138:139], v[156:157]
	v_mul_f64_e32 v[156:157], v[140:141], v[156:157]
	v_fmac_f64_e32 v[188:189], v[6:7], v[150:151]
	v_fma_f64 v[190:191], v[4:5], v[150:151], -v[152:153]
	v_add_f64_e32 v[192:193], v[148:149], v[146:147]
	v_add_f64_e32 v[182:183], v[182:183], v[184:185]
	ds_load_b128 v[4:7], v2 offset:1216
	ds_load_b128 v[146:149], v2 offset:1232
	scratch_load_b128 v[150:153], off, off offset:480
	v_fmac_f64_e32 v[186:187], v[140:141], v[154:155]
	v_fma_f64 v[154:155], v[138:139], v[154:155], -v[156:157]
	scratch_load_b128 v[138:141], off, off offset:496
	s_wait_loadcnt_dscnt 0xc01
	v_mul_f64_e32 v[184:185], v[4:5], v[164:165]
	v_mul_f64_e32 v[164:165], v[6:7], v[164:165]
	;; [unrolled: 18-line block ×5, first 2 shown]
	v_add_f64_e32 v[176:177], v[192:193], v[190:191]
	v_add_f64_e32 v[182:183], v[182:183], v[188:189]
	s_wait_loadcnt_dscnt 0xa00
	v_mul_f64_e32 v[188:189], v[154:155], v[128:129]
	v_mul_f64_e32 v[128:129], v[156:157], v[128:129]
	v_fmac_f64_e32 v[184:185], v[6:7], v[158:159]
	v_fma_f64 v[190:191], v[4:5], v[158:159], -v[160:161]
	ds_load_b128 v[4:7], v2 offset:1344
	ds_load_b128 v[158:161], v2 offset:1360
	v_add_f64_e32 v[192:193], v[176:177], v[174:175]
	v_add_f64_e32 v[182:183], v[182:183], v[186:187]
	scratch_load_b128 v[174:177], off, off offset:608
	v_fmac_f64_e32 v[188:189], v[156:157], v[126:127]
	v_fma_f64 v[154:155], v[154:155], v[126:127], -v[128:129]
	scratch_load_b128 v[126:129], off, off offset:624
	s_wait_loadcnt_dscnt 0xb01
	v_mul_f64_e32 v[186:187], v[4:5], v[144:145]
	v_mul_f64_e32 v[144:145], v[6:7], v[144:145]
	v_add_f64_e32 v[156:157], v[192:193], v[190:191]
	v_add_f64_e32 v[182:183], v[182:183], v[184:185]
	s_wait_loadcnt_dscnt 0xa00
	v_mul_f64_e32 v[184:185], v[158:159], v[136:137]
	v_mul_f64_e32 v[136:137], v[160:161], v[136:137]
	v_fmac_f64_e32 v[186:187], v[6:7], v[142:143]
	v_fma_f64 v[190:191], v[4:5], v[142:143], -v[144:145]
	ds_load_b128 v[4:7], v2 offset:1376
	ds_load_b128 v[142:145], v2 offset:1392
	v_add_f64_e32 v[192:193], v[156:157], v[154:155]
	v_add_f64_e32 v[182:183], v[182:183], v[188:189]
	scratch_load_b128 v[154:157], off, off offset:640
	s_wait_loadcnt_dscnt 0xa01
	v_mul_f64_e32 v[188:189], v[4:5], v[152:153]
	v_mul_f64_e32 v[152:153], v[6:7], v[152:153]
	v_fmac_f64_e32 v[184:185], v[160:161], v[134:135]
	v_fma_f64 v[158:159], v[158:159], v[134:135], -v[136:137]
	scratch_load_b128 v[134:137], off, off offset:656
	v_add_f64_e32 v[160:161], v[192:193], v[190:191]
	v_add_f64_e32 v[182:183], v[182:183], v[186:187]
	s_wait_loadcnt_dscnt 0xa00
	v_mul_f64_e32 v[186:187], v[142:143], v[140:141]
	v_mul_f64_e32 v[140:141], v[144:145], v[140:141]
	v_fmac_f64_e32 v[188:189], v[6:7], v[150:151]
	v_fma_f64 v[190:191], v[4:5], v[150:151], -v[152:153]
	ds_load_b128 v[4:7], v2 offset:1408
	ds_load_b128 v[150:153], v2 offset:1424
	v_add_f64_e32 v[192:193], v[160:161], v[158:159]
	v_add_f64_e32 v[182:183], v[182:183], v[184:185]
	scratch_load_b128 v[158:161], off, off offset:672
	s_wait_loadcnt_dscnt 0xa01
	v_mul_f64_e32 v[184:185], v[4:5], v[164:165]
	v_mul_f64_e32 v[164:165], v[6:7], v[164:165]
	v_fmac_f64_e32 v[186:187], v[144:145], v[138:139]
	v_fma_f64 v[142:143], v[142:143], v[138:139], -v[140:141]
	scratch_load_b128 v[138:141], off, off offset:688
	v_add_f64_e32 v[144:145], v[192:193], v[190:191]
	v_add_f64_e32 v[182:183], v[182:183], v[188:189]
	s_wait_loadcnt_dscnt 0xa00
	v_mul_f64_e32 v[188:189], v[150:151], v[148:149]
	v_mul_f64_e32 v[148:149], v[152:153], v[148:149]
	v_fmac_f64_e32 v[184:185], v[6:7], v[162:163]
	v_fma_f64 v[190:191], v[4:5], v[162:163], -v[164:165]
	v_add_f64_e32 v[192:193], v[144:145], v[142:143]
	v_add_f64_e32 v[182:183], v[182:183], v[186:187]
	ds_load_b128 v[4:7], v2 offset:1440
	ds_load_b128 v[142:145], v2 offset:1456
	scratch_load_b128 v[162:165], off, off offset:704
	v_fmac_f64_e32 v[188:189], v[152:153], v[146:147]
	v_fma_f64 v[150:151], v[150:151], v[146:147], -v[148:149]
	scratch_load_b128 v[146:149], off, off offset:720
	s_wait_loadcnt_dscnt 0xb01
	v_mul_f64_e32 v[186:187], v[4:5], v[180:181]
	v_mul_f64_e32 v[180:181], v[6:7], v[180:181]
	v_add_f64_e32 v[152:153], v[192:193], v[190:191]
	v_add_f64_e32 v[182:183], v[182:183], v[184:185]
	s_wait_loadcnt_dscnt 0xa00
	v_mul_f64_e32 v[184:185], v[142:143], v[10:11]
	v_mul_f64_e32 v[10:11], v[144:145], v[10:11]
	v_fmac_f64_e32 v[186:187], v[6:7], v[178:179]
	v_fma_f64 v[190:191], v[4:5], v[178:179], -v[180:181]
	v_add_f64_e32 v[192:193], v[152:153], v[150:151]
	v_add_f64_e32 v[182:183], v[182:183], v[188:189]
	ds_load_b128 v[4:7], v2 offset:1472
	ds_load_b128 v[150:153], v2 offset:1488
	scratch_load_b128 v[178:181], off, off offset:736
	v_fmac_f64_e32 v[184:185], v[144:145], v[8:9]
	v_fma_f64 v[142:143], v[142:143], v[8:9], -v[10:11]
	scratch_load_b128 v[8:11], off, off offset:752
	s_wait_loadcnt_dscnt 0xb01
	v_mul_f64_e32 v[188:189], v[4:5], v[168:169]
	v_mul_f64_e32 v[168:169], v[6:7], v[168:169]
	;; [unrolled: 18-line block ×6, first 2 shown]
	v_add_f64_e32 v[144:145], v[192:193], v[190:191]
	v_add_f64_e32 v[182:183], v[182:183], v[188:189]
	s_wait_loadcnt_dscnt 0xa00
	v_mul_f64_e32 v[188:189], v[150:151], v[148:149]
	v_mul_f64_e32 v[148:149], v[152:153], v[148:149]
	v_fmac_f64_e32 v[184:185], v[6:7], v[162:163]
	v_fma_f64 v[162:163], v[4:5], v[162:163], -v[164:165]
	v_add_f64_e32 v[164:165], v[144:145], v[142:143]
	v_add_f64_e32 v[182:183], v[182:183], v[186:187]
	ds_load_b128 v[4:7], v2 offset:1632
	ds_load_b128 v[142:145], v2 offset:1648
	v_fmac_f64_e32 v[188:189], v[152:153], v[146:147]
	v_fma_f64 v[146:147], v[150:151], v[146:147], -v[148:149]
	s_wait_loadcnt_dscnt 0x901
	v_mul_f64_e32 v[186:187], v[4:5], v[180:181]
	v_mul_f64_e32 v[180:181], v[6:7], v[180:181]
	s_wait_loadcnt_dscnt 0x800
	v_mul_f64_e32 v[152:153], v[142:143], v[10:11]
	v_mul_f64_e32 v[10:11], v[144:145], v[10:11]
	v_add_f64_e32 v[148:149], v[164:165], v[162:163]
	v_add_f64_e32 v[150:151], v[182:183], v[184:185]
	v_fmac_f64_e32 v[186:187], v[6:7], v[178:179]
	v_fma_f64 v[162:163], v[4:5], v[178:179], -v[180:181]
	v_fmac_f64_e32 v[152:153], v[144:145], v[8:9]
	v_fma_f64 v[8:9], v[142:143], v[8:9], -v[10:11]
	v_add_f64_e32 v[164:165], v[148:149], v[146:147]
	v_add_f64_e32 v[150:151], v[150:151], v[188:189]
	ds_load_b128 v[4:7], v2 offset:1664
	ds_load_b128 v[146:149], v2 offset:1680
	s_wait_loadcnt_dscnt 0x701
	v_mul_f64_e32 v[178:179], v[4:5], v[168:169]
	v_mul_f64_e32 v[168:169], v[6:7], v[168:169]
	s_wait_loadcnt_dscnt 0x600
	v_mul_f64_e32 v[144:145], v[146:147], v[132:133]
	v_mul_f64_e32 v[132:133], v[148:149], v[132:133]
	v_add_f64_e32 v[10:11], v[164:165], v[162:163]
	v_add_f64_e32 v[142:143], v[150:151], v[186:187]
	v_fmac_f64_e32 v[178:179], v[6:7], v[166:167]
	v_fma_f64 v[150:151], v[4:5], v[166:167], -v[168:169]
	v_fmac_f64_e32 v[144:145], v[148:149], v[130:131]
	v_fma_f64 v[130:131], v[146:147], v[130:131], -v[132:133]
	v_add_f64_e32 v[162:163], v[10:11], v[8:9]
	v_add_f64_e32 v[142:143], v[142:143], v[152:153]
	ds_load_b128 v[4:7], v2 offset:1696
	ds_load_b128 v[8:11], v2 offset:1712
	;; [unrolled: 16-line block ×3, first 2 shown]
	s_wait_loadcnt_dscnt 0x301
	v_mul_f64_e32 v[144:145], v[4:5], v[156:157]
	v_mul_f64_e32 v[156:157], v[6:7], v[156:157]
	v_add_f64_e32 v[10:11], v[132:133], v[150:151]
	v_add_f64_e32 v[126:127], v[142:143], v[152:153]
	s_wait_loadcnt_dscnt 0x200
	v_mul_f64_e32 v[132:133], v[128:129], v[136:137]
	v_mul_f64_e32 v[136:137], v[130:131], v[136:137]
	v_fmac_f64_e32 v[144:145], v[6:7], v[154:155]
	v_fma_f64 v[142:143], v[4:5], v[154:155], -v[156:157]
	v_add_f64_e32 v[148:149], v[10:11], v[8:9]
	v_add_f64_e32 v[126:127], v[126:127], v[146:147]
	ds_load_b128 v[4:7], v2 offset:1760
	ds_load_b128 v[8:11], v2 offset:1776
	v_fmac_f64_e32 v[132:133], v[130:131], v[134:135]
	v_fma_f64 v[128:129], v[128:129], v[134:135], -v[136:137]
	s_wait_loadcnt_dscnt 0x101
	v_mul_f64_e32 v[2:3], v[4:5], v[160:161]
	v_mul_f64_e32 v[146:147], v[6:7], v[160:161]
	s_wait_loadcnt_dscnt 0x0
	v_mul_f64_e32 v[134:135], v[8:9], v[140:141]
	v_mul_f64_e32 v[136:137], v[10:11], v[140:141]
	v_add_f64_e32 v[130:131], v[148:149], v[142:143]
	v_add_f64_e32 v[126:127], v[126:127], v[144:145]
	v_fmac_f64_e32 v[2:3], v[6:7], v[158:159]
	v_fma_f64 v[4:5], v[4:5], v[158:159], -v[146:147]
	v_fmac_f64_e32 v[134:135], v[10:11], v[138:139]
	v_fma_f64 v[8:9], v[8:9], v[138:139], -v[136:137]
	v_add_f64_e32 v[6:7], v[130:131], v[128:129]
	v_add_f64_e32 v[126:127], v[126:127], v[132:133]
	s_delay_alu instid0(VALU_DEP_2) | instskip(NEXT) | instid1(VALU_DEP_2)
	v_add_f64_e32 v[4:5], v[6:7], v[4:5]
	v_add_f64_e32 v[2:3], v[126:127], v[2:3]
	s_delay_alu instid0(VALU_DEP_2) | instskip(NEXT) | instid1(VALU_DEP_2)
	;; [unrolled: 3-line block ×3, first 2 shown]
	v_add_f64_e64 v[2:3], v[170:171], -v[4:5]
	v_add_f64_e64 v[4:5], v[172:173], -v[6:7]
	scratch_store_b128 off, v[2:5], off offset:144
	s_wait_xcnt 0x0
	v_cmpx_lt_u32_e32 8, v1
	s_cbranch_execz .LBB55_333
; %bb.332:
	scratch_load_b128 v[2:5], off, s53
	v_mov_b32_e32 v6, 0
	s_delay_alu instid0(VALU_DEP_1)
	v_dual_mov_b32 v7, v6 :: v_dual_mov_b32 v8, v6
	v_mov_b32_e32 v9, v6
	scratch_store_b128 off, v[6:9], off offset:128
	s_wait_loadcnt 0x0
	ds_store_b128 v12, v[2:5]
.LBB55_333:
	s_wait_xcnt 0x0
	s_or_b32 exec_lo, exec_lo, s2
	s_wait_storecnt_dscnt 0x0
	s_barrier_signal -1
	s_barrier_wait -1
	s_clause 0x9
	scratch_load_b128 v[4:7], off, off offset:144
	scratch_load_b128 v[8:11], off, off offset:160
	;; [unrolled: 1-line block ×10, first 2 shown]
	v_mov_b32_e32 v2, 0
	s_mov_b32 s2, exec_lo
	ds_load_b128 v[158:161], v2 offset:1040
	s_clause 0x2
	scratch_load_b128 v[162:165], off, off offset:304
	scratch_load_b128 v[166:169], off, off offset:128
	;; [unrolled: 1-line block ×3, first 2 shown]
	s_wait_loadcnt_dscnt 0xc00
	v_mul_f64_e32 v[178:179], v[160:161], v[6:7]
	v_mul_f64_e32 v[182:183], v[158:159], v[6:7]
	ds_load_b128 v[170:173], v2 offset:1056
	v_fma_f64 v[186:187], v[158:159], v[4:5], -v[178:179]
	v_fmac_f64_e32 v[182:183], v[160:161], v[4:5]
	ds_load_b128 v[4:7], v2 offset:1072
	s_wait_loadcnt_dscnt 0xb01
	v_mul_f64_e32 v[184:185], v[170:171], v[10:11]
	v_mul_f64_e32 v[10:11], v[172:173], v[10:11]
	scratch_load_b128 v[158:161], off, off offset:336
	ds_load_b128 v[178:181], v2 offset:1088
	s_wait_loadcnt_dscnt 0xb01
	v_mul_f64_e32 v[188:189], v[4:5], v[128:129]
	v_mul_f64_e32 v[128:129], v[6:7], v[128:129]
	v_add_f64_e32 v[182:183], 0, v[182:183]
	v_fmac_f64_e32 v[184:185], v[172:173], v[8:9]
	v_fma_f64 v[170:171], v[170:171], v[8:9], -v[10:11]
	v_add_f64_e32 v[172:173], 0, v[186:187]
	scratch_load_b128 v[8:11], off, off offset:352
	v_fmac_f64_e32 v[188:189], v[6:7], v[126:127]
	v_fma_f64 v[190:191], v[4:5], v[126:127], -v[128:129]
	ds_load_b128 v[4:7], v2 offset:1104
	s_wait_loadcnt_dscnt 0xb01
	v_mul_f64_e32 v[186:187], v[178:179], v[132:133]
	v_mul_f64_e32 v[132:133], v[180:181], v[132:133]
	scratch_load_b128 v[126:129], off, off offset:368
	v_add_f64_e32 v[182:183], v[182:183], v[184:185]
	v_add_f64_e32 v[192:193], v[172:173], v[170:171]
	ds_load_b128 v[170:173], v2 offset:1120
	s_wait_loadcnt_dscnt 0xb01
	v_mul_f64_e32 v[184:185], v[4:5], v[136:137]
	v_mul_f64_e32 v[136:137], v[6:7], v[136:137]
	v_fmac_f64_e32 v[186:187], v[180:181], v[130:131]
	v_fma_f64 v[178:179], v[178:179], v[130:131], -v[132:133]
	scratch_load_b128 v[130:133], off, off offset:384
	v_add_f64_e32 v[182:183], v[182:183], v[188:189]
	v_add_f64_e32 v[180:181], v[192:193], v[190:191]
	v_fmac_f64_e32 v[184:185], v[6:7], v[134:135]
	v_fma_f64 v[190:191], v[4:5], v[134:135], -v[136:137]
	ds_load_b128 v[4:7], v2 offset:1136
	s_wait_loadcnt_dscnt 0xb01
	v_mul_f64_e32 v[188:189], v[170:171], v[140:141]
	v_mul_f64_e32 v[140:141], v[172:173], v[140:141]
	scratch_load_b128 v[134:137], off, off offset:400
	v_add_f64_e32 v[182:183], v[182:183], v[186:187]
	s_wait_loadcnt_dscnt 0xb00
	v_mul_f64_e32 v[186:187], v[4:5], v[144:145]
	v_add_f64_e32 v[192:193], v[180:181], v[178:179]
	v_mul_f64_e32 v[144:145], v[6:7], v[144:145]
	ds_load_b128 v[178:181], v2 offset:1152
	v_fmac_f64_e32 v[188:189], v[172:173], v[138:139]
	v_fma_f64 v[170:171], v[170:171], v[138:139], -v[140:141]
	scratch_load_b128 v[138:141], off, off offset:416
	v_add_f64_e32 v[182:183], v[182:183], v[184:185]
	v_fmac_f64_e32 v[186:187], v[6:7], v[142:143]
	v_add_f64_e32 v[172:173], v[192:193], v[190:191]
	v_fma_f64 v[190:191], v[4:5], v[142:143], -v[144:145]
	ds_load_b128 v[4:7], v2 offset:1168
	s_wait_loadcnt_dscnt 0xb01
	v_mul_f64_e32 v[184:185], v[178:179], v[148:149]
	v_mul_f64_e32 v[148:149], v[180:181], v[148:149]
	scratch_load_b128 v[142:145], off, off offset:432
	v_add_f64_e32 v[182:183], v[182:183], v[188:189]
	s_wait_loadcnt_dscnt 0xb00
	v_mul_f64_e32 v[188:189], v[4:5], v[152:153]
	v_add_f64_e32 v[192:193], v[172:173], v[170:171]
	v_mul_f64_e32 v[152:153], v[6:7], v[152:153]
	ds_load_b128 v[170:173], v2 offset:1184
	v_fmac_f64_e32 v[184:185], v[180:181], v[146:147]
	v_fma_f64 v[178:179], v[178:179], v[146:147], -v[148:149]
	scratch_load_b128 v[146:149], off, off offset:448
	v_add_f64_e32 v[182:183], v[182:183], v[186:187]
	v_fmac_f64_e32 v[188:189], v[6:7], v[150:151]
	v_add_f64_e32 v[180:181], v[192:193], v[190:191]
	;; [unrolled: 18-line block ×3, first 2 shown]
	v_fma_f64 v[190:191], v[4:5], v[162:163], -v[164:165]
	ds_load_b128 v[4:7], v2 offset:1232
	s_wait_loadcnt_dscnt 0xa01
	v_mul_f64_e32 v[188:189], v[178:179], v[176:177]
	v_mul_f64_e32 v[176:177], v[180:181], v[176:177]
	scratch_load_b128 v[162:165], off, off offset:496
	v_add_f64_e32 v[182:183], v[182:183], v[186:187]
	v_add_f64_e32 v[192:193], v[172:173], v[170:171]
	s_wait_loadcnt_dscnt 0xa00
	v_mul_f64_e32 v[186:187], v[4:5], v[160:161]
	v_mul_f64_e32 v[160:161], v[6:7], v[160:161]
	v_fmac_f64_e32 v[188:189], v[180:181], v[174:175]
	v_fma_f64 v[178:179], v[178:179], v[174:175], -v[176:177]
	ds_load_b128 v[170:173], v2 offset:1248
	scratch_load_b128 v[174:177], off, off offset:512
	v_add_f64_e32 v[182:183], v[182:183], v[184:185]
	v_add_f64_e32 v[180:181], v[192:193], v[190:191]
	v_fmac_f64_e32 v[186:187], v[6:7], v[158:159]
	v_fma_f64 v[190:191], v[4:5], v[158:159], -v[160:161]
	ds_load_b128 v[4:7], v2 offset:1264
	s_wait_loadcnt_dscnt 0xa01
	v_mul_f64_e32 v[184:185], v[170:171], v[10:11]
	v_mul_f64_e32 v[10:11], v[172:173], v[10:11]
	scratch_load_b128 v[158:161], off, off offset:528
	v_add_f64_e32 v[182:183], v[182:183], v[188:189]
	s_wait_loadcnt_dscnt 0xa00
	v_mul_f64_e32 v[188:189], v[4:5], v[128:129]
	v_add_f64_e32 v[192:193], v[180:181], v[178:179]
	v_mul_f64_e32 v[128:129], v[6:7], v[128:129]
	ds_load_b128 v[178:181], v2 offset:1280
	v_fmac_f64_e32 v[184:185], v[172:173], v[8:9]
	v_fma_f64 v[170:171], v[170:171], v[8:9], -v[10:11]
	scratch_load_b128 v[8:11], off, off offset:544
	v_add_f64_e32 v[182:183], v[182:183], v[186:187]
	v_fmac_f64_e32 v[188:189], v[6:7], v[126:127]
	v_add_f64_e32 v[172:173], v[192:193], v[190:191]
	v_fma_f64 v[190:191], v[4:5], v[126:127], -v[128:129]
	ds_load_b128 v[4:7], v2 offset:1296
	s_wait_loadcnt_dscnt 0xa01
	v_mul_f64_e32 v[186:187], v[178:179], v[132:133]
	v_mul_f64_e32 v[132:133], v[180:181], v[132:133]
	scratch_load_b128 v[126:129], off, off offset:560
	v_add_f64_e32 v[182:183], v[182:183], v[184:185]
	s_wait_loadcnt_dscnt 0xa00
	v_mul_f64_e32 v[184:185], v[4:5], v[136:137]
	v_add_f64_e32 v[192:193], v[172:173], v[170:171]
	v_mul_f64_e32 v[136:137], v[6:7], v[136:137]
	ds_load_b128 v[170:173], v2 offset:1312
	v_fmac_f64_e32 v[186:187], v[180:181], v[130:131]
	v_fma_f64 v[178:179], v[178:179], v[130:131], -v[132:133]
	scratch_load_b128 v[130:133], off, off offset:576
	v_add_f64_e32 v[182:183], v[182:183], v[188:189]
	v_fmac_f64_e32 v[184:185], v[6:7], v[134:135]
	v_add_f64_e32 v[180:181], v[192:193], v[190:191]
	;; [unrolled: 18-line block ×11, first 2 shown]
	v_fma_f64 v[190:191], v[4:5], v[162:163], -v[164:165]
	ds_load_b128 v[4:7], v2 offset:1616
	s_wait_loadcnt_dscnt 0xa01
	v_mul_f64_e32 v[188:189], v[178:179], v[176:177]
	v_mul_f64_e32 v[176:177], v[180:181], v[176:177]
	scratch_load_b128 v[162:165], off, off offset:880
	v_add_f64_e32 v[182:183], v[182:183], v[186:187]
	s_wait_loadcnt_dscnt 0xa00
	v_mul_f64_e32 v[186:187], v[4:5], v[160:161]
	v_add_f64_e32 v[192:193], v[172:173], v[170:171]
	v_mul_f64_e32 v[160:161], v[6:7], v[160:161]
	ds_load_b128 v[170:173], v2 offset:1632
	v_fmac_f64_e32 v[188:189], v[180:181], v[174:175]
	v_fma_f64 v[174:175], v[178:179], v[174:175], -v[176:177]
	s_wait_loadcnt_dscnt 0x900
	v_mul_f64_e32 v[180:181], v[170:171], v[10:11]
	v_mul_f64_e32 v[10:11], v[172:173], v[10:11]
	v_add_f64_e32 v[178:179], v[182:183], v[184:185]
	v_fmac_f64_e32 v[186:187], v[6:7], v[158:159]
	v_add_f64_e32 v[176:177], v[192:193], v[190:191]
	v_fma_f64 v[182:183], v[4:5], v[158:159], -v[160:161]
	ds_load_b128 v[4:7], v2 offset:1648
	ds_load_b128 v[158:161], v2 offset:1664
	v_fmac_f64_e32 v[180:181], v[172:173], v[8:9]
	v_fma_f64 v[8:9], v[170:171], v[8:9], -v[10:11]
	v_add_f64_e32 v[174:175], v[176:177], v[174:175]
	v_add_f64_e32 v[176:177], v[178:179], v[188:189]
	s_wait_loadcnt_dscnt 0x801
	v_mul_f64_e32 v[178:179], v[4:5], v[128:129]
	v_mul_f64_e32 v[128:129], v[6:7], v[128:129]
	s_wait_loadcnt_dscnt 0x700
	v_mul_f64_e32 v[172:173], v[158:159], v[132:133]
	v_mul_f64_e32 v[132:133], v[160:161], v[132:133]
	v_add_f64_e32 v[10:11], v[174:175], v[182:183]
	v_add_f64_e32 v[170:171], v[176:177], v[186:187]
	v_fmac_f64_e32 v[178:179], v[6:7], v[126:127]
	v_fma_f64 v[126:127], v[4:5], v[126:127], -v[128:129]
	v_fmac_f64_e32 v[172:173], v[160:161], v[130:131]
	v_fma_f64 v[130:131], v[158:159], v[130:131], -v[132:133]
	v_add_f64_e32 v[128:129], v[10:11], v[8:9]
	v_add_f64_e32 v[170:171], v[170:171], v[180:181]
	ds_load_b128 v[4:7], v2 offset:1680
	ds_load_b128 v[8:11], v2 offset:1696
	s_wait_loadcnt_dscnt 0x601
	v_mul_f64_e32 v[174:175], v[4:5], v[136:137]
	v_mul_f64_e32 v[136:137], v[6:7], v[136:137]
	s_wait_loadcnt_dscnt 0x500
	v_mul_f64_e32 v[132:133], v[8:9], v[140:141]
	v_mul_f64_e32 v[140:141], v[10:11], v[140:141]
	v_add_f64_e32 v[126:127], v[128:129], v[126:127]
	v_add_f64_e32 v[128:129], v[170:171], v[178:179]
	v_fmac_f64_e32 v[174:175], v[6:7], v[134:135]
	v_fma_f64 v[134:135], v[4:5], v[134:135], -v[136:137]
	v_fmac_f64_e32 v[132:133], v[10:11], v[138:139]
	v_fma_f64 v[8:9], v[8:9], v[138:139], -v[140:141]
	v_add_f64_e32 v[130:131], v[126:127], v[130:131]
	v_add_f64_e32 v[136:137], v[128:129], v[172:173]
	ds_load_b128 v[4:7], v2 offset:1712
	ds_load_b128 v[126:129], v2 offset:1728
	s_wait_loadcnt_dscnt 0x401
	v_mul_f64_e32 v[158:159], v[4:5], v[144:145]
	v_mul_f64_e32 v[144:145], v[6:7], v[144:145]
	v_add_f64_e32 v[10:11], v[130:131], v[134:135]
	v_add_f64_e32 v[130:131], v[136:137], v[174:175]
	s_wait_loadcnt_dscnt 0x300
	v_mul_f64_e32 v[134:135], v[126:127], v[148:149]
	v_mul_f64_e32 v[136:137], v[128:129], v[148:149]
	v_fmac_f64_e32 v[158:159], v[6:7], v[142:143]
	v_fma_f64 v[138:139], v[4:5], v[142:143], -v[144:145]
	v_add_f64_e32 v[140:141], v[10:11], v[8:9]
	v_add_f64_e32 v[130:131], v[130:131], v[132:133]
	ds_load_b128 v[4:7], v2 offset:1744
	ds_load_b128 v[8:11], v2 offset:1760
	v_fmac_f64_e32 v[134:135], v[128:129], v[146:147]
	v_fma_f64 v[126:127], v[126:127], v[146:147], -v[136:137]
	s_wait_loadcnt_dscnt 0x201
	v_mul_f64_e32 v[132:133], v[4:5], v[152:153]
	v_mul_f64_e32 v[142:143], v[6:7], v[152:153]
	s_wait_loadcnt_dscnt 0x100
	v_mul_f64_e32 v[136:137], v[8:9], v[156:157]
	v_add_f64_e32 v[128:129], v[140:141], v[138:139]
	v_add_f64_e32 v[130:131], v[130:131], v[158:159]
	v_mul_f64_e32 v[138:139], v[10:11], v[156:157]
	v_fmac_f64_e32 v[132:133], v[6:7], v[150:151]
	v_fma_f64 v[140:141], v[4:5], v[150:151], -v[142:143]
	ds_load_b128 v[4:7], v2 offset:1776
	v_fmac_f64_e32 v[136:137], v[10:11], v[154:155]
	v_add_f64_e32 v[126:127], v[128:129], v[126:127]
	v_add_f64_e32 v[128:129], v[130:131], v[134:135]
	v_fma_f64 v[8:9], v[8:9], v[154:155], -v[138:139]
	s_wait_loadcnt_dscnt 0x0
	v_mul_f64_e32 v[130:131], v[4:5], v[164:165]
	v_mul_f64_e32 v[134:135], v[6:7], v[164:165]
	v_add_f64_e32 v[10:11], v[126:127], v[140:141]
	v_add_f64_e32 v[126:127], v[128:129], v[132:133]
	s_delay_alu instid0(VALU_DEP_4) | instskip(NEXT) | instid1(VALU_DEP_4)
	v_fmac_f64_e32 v[130:131], v[6:7], v[162:163]
	v_fma_f64 v[4:5], v[4:5], v[162:163], -v[134:135]
	s_delay_alu instid0(VALU_DEP_4) | instskip(NEXT) | instid1(VALU_DEP_4)
	v_add_f64_e32 v[6:7], v[10:11], v[8:9]
	v_add_f64_e32 v[8:9], v[126:127], v[136:137]
	s_delay_alu instid0(VALU_DEP_2) | instskip(NEXT) | instid1(VALU_DEP_2)
	v_add_f64_e32 v[4:5], v[6:7], v[4:5]
	v_add_f64_e32 v[6:7], v[8:9], v[130:131]
	s_delay_alu instid0(VALU_DEP_2) | instskip(NEXT) | instid1(VALU_DEP_2)
	v_add_f64_e64 v[4:5], v[166:167], -v[4:5]
	v_add_f64_e64 v[6:7], v[168:169], -v[6:7]
	scratch_store_b128 off, v[4:7], off offset:128
	s_wait_xcnt 0x0
	v_cmpx_lt_u32_e32 7, v1
	s_cbranch_execz .LBB55_335
; %bb.334:
	scratch_load_b128 v[6:9], off, s61
	v_dual_mov_b32 v3, v2 :: v_dual_mov_b32 v4, v2
	v_mov_b32_e32 v5, v2
	scratch_store_b128 off, v[2:5], off offset:112
	s_wait_loadcnt 0x0
	ds_store_b128 v12, v[6:9]
.LBB55_335:
	s_wait_xcnt 0x0
	s_or_b32 exec_lo, exec_lo, s2
	s_wait_storecnt_dscnt 0x0
	s_barrier_signal -1
	s_barrier_wait -1
	s_clause 0x9
	scratch_load_b128 v[4:7], off, off offset:128
	scratch_load_b128 v[8:11], off, off offset:144
	;; [unrolled: 1-line block ×10, first 2 shown]
	ds_load_b128 v[158:161], v2 offset:1024
	ds_load_b128 v[166:169], v2 offset:1040
	s_clause 0x2
	scratch_load_b128 v[162:165], off, off offset:288
	scratch_load_b128 v[170:173], off, off offset:112
	;; [unrolled: 1-line block ×3, first 2 shown]
	s_mov_b32 s2, exec_lo
	s_wait_loadcnt_dscnt 0xc01
	v_mul_f64_e32 v[178:179], v[160:161], v[6:7]
	v_mul_f64_e32 v[182:183], v[158:159], v[6:7]
	s_wait_loadcnt_dscnt 0xb00
	v_mul_f64_e32 v[184:185], v[166:167], v[10:11]
	v_mul_f64_e32 v[10:11], v[168:169], v[10:11]
	s_delay_alu instid0(VALU_DEP_4) | instskip(NEXT) | instid1(VALU_DEP_4)
	v_fma_f64 v[186:187], v[158:159], v[4:5], -v[178:179]
	v_fmac_f64_e32 v[182:183], v[160:161], v[4:5]
	ds_load_b128 v[4:7], v2 offset:1056
	ds_load_b128 v[158:161], v2 offset:1072
	scratch_load_b128 v[178:181], off, off offset:320
	v_fmac_f64_e32 v[184:185], v[168:169], v[8:9]
	v_fma_f64 v[166:167], v[166:167], v[8:9], -v[10:11]
	scratch_load_b128 v[8:11], off, off offset:336
	s_wait_loadcnt_dscnt 0xc01
	v_mul_f64_e32 v[188:189], v[4:5], v[128:129]
	v_mul_f64_e32 v[128:129], v[6:7], v[128:129]
	v_add_f64_e32 v[168:169], 0, v[186:187]
	v_add_f64_e32 v[182:183], 0, v[182:183]
	s_wait_loadcnt_dscnt 0xb00
	v_mul_f64_e32 v[186:187], v[158:159], v[132:133]
	v_mul_f64_e32 v[132:133], v[160:161], v[132:133]
	v_fmac_f64_e32 v[188:189], v[6:7], v[126:127]
	v_fma_f64 v[190:191], v[4:5], v[126:127], -v[128:129]
	ds_load_b128 v[4:7], v2 offset:1088
	ds_load_b128 v[126:129], v2 offset:1104
	v_add_f64_e32 v[192:193], v[168:169], v[166:167]
	v_add_f64_e32 v[182:183], v[182:183], v[184:185]
	scratch_load_b128 v[166:169], off, off offset:352
	v_fmac_f64_e32 v[186:187], v[160:161], v[130:131]
	v_fma_f64 v[158:159], v[158:159], v[130:131], -v[132:133]
	scratch_load_b128 v[130:133], off, off offset:368
	s_wait_loadcnt_dscnt 0xc01
	v_mul_f64_e32 v[184:185], v[4:5], v[136:137]
	v_mul_f64_e32 v[136:137], v[6:7], v[136:137]
	v_add_f64_e32 v[160:161], v[192:193], v[190:191]
	v_add_f64_e32 v[182:183], v[182:183], v[188:189]
	s_wait_loadcnt_dscnt 0xb00
	v_mul_f64_e32 v[188:189], v[126:127], v[140:141]
	v_mul_f64_e32 v[140:141], v[128:129], v[140:141]
	v_fmac_f64_e32 v[184:185], v[6:7], v[134:135]
	v_fma_f64 v[190:191], v[4:5], v[134:135], -v[136:137]
	ds_load_b128 v[4:7], v2 offset:1120
	ds_load_b128 v[134:137], v2 offset:1136
	v_add_f64_e32 v[192:193], v[160:161], v[158:159]
	v_add_f64_e32 v[182:183], v[182:183], v[186:187]
	scratch_load_b128 v[158:161], off, off offset:384
	s_wait_loadcnt_dscnt 0xb01
	v_mul_f64_e32 v[186:187], v[4:5], v[144:145]
	v_mul_f64_e32 v[144:145], v[6:7], v[144:145]
	v_fmac_f64_e32 v[188:189], v[128:129], v[138:139]
	v_fma_f64 v[138:139], v[126:127], v[138:139], -v[140:141]
	scratch_load_b128 v[126:129], off, off offset:400
	v_add_f64_e32 v[140:141], v[192:193], v[190:191]
	v_add_f64_e32 v[182:183], v[182:183], v[184:185]
	s_wait_loadcnt_dscnt 0xb00
	v_mul_f64_e32 v[184:185], v[134:135], v[148:149]
	v_mul_f64_e32 v[148:149], v[136:137], v[148:149]
	v_fmac_f64_e32 v[186:187], v[6:7], v[142:143]
	v_fma_f64 v[190:191], v[4:5], v[142:143], -v[144:145]
	v_add_f64_e32 v[192:193], v[140:141], v[138:139]
	v_add_f64_e32 v[182:183], v[182:183], v[188:189]
	ds_load_b128 v[4:7], v2 offset:1152
	ds_load_b128 v[138:141], v2 offset:1168
	scratch_load_b128 v[142:145], off, off offset:416
	v_fmac_f64_e32 v[184:185], v[136:137], v[146:147]
	v_fma_f64 v[146:147], v[134:135], v[146:147], -v[148:149]
	scratch_load_b128 v[134:137], off, off offset:432
	s_wait_loadcnt_dscnt 0xc01
	v_mul_f64_e32 v[188:189], v[4:5], v[152:153]
	v_mul_f64_e32 v[152:153], v[6:7], v[152:153]
	v_add_f64_e32 v[148:149], v[192:193], v[190:191]
	v_add_f64_e32 v[182:183], v[182:183], v[186:187]
	s_wait_loadcnt_dscnt 0xb00
	v_mul_f64_e32 v[186:187], v[138:139], v[156:157]
	v_mul_f64_e32 v[156:157], v[140:141], v[156:157]
	v_fmac_f64_e32 v[188:189], v[6:7], v[150:151]
	v_fma_f64 v[190:191], v[4:5], v[150:151], -v[152:153]
	v_add_f64_e32 v[192:193], v[148:149], v[146:147]
	v_add_f64_e32 v[182:183], v[182:183], v[184:185]
	ds_load_b128 v[4:7], v2 offset:1184
	ds_load_b128 v[146:149], v2 offset:1200
	scratch_load_b128 v[150:153], off, off offset:448
	v_fmac_f64_e32 v[186:187], v[140:141], v[154:155]
	v_fma_f64 v[154:155], v[138:139], v[154:155], -v[156:157]
	scratch_load_b128 v[138:141], off, off offset:464
	s_wait_loadcnt_dscnt 0xc01
	v_mul_f64_e32 v[184:185], v[4:5], v[164:165]
	v_mul_f64_e32 v[164:165], v[6:7], v[164:165]
	;; [unrolled: 18-line block ×5, first 2 shown]
	v_add_f64_e32 v[176:177], v[192:193], v[190:191]
	v_add_f64_e32 v[182:183], v[182:183], v[188:189]
	s_wait_loadcnt_dscnt 0xa00
	v_mul_f64_e32 v[188:189], v[154:155], v[128:129]
	v_mul_f64_e32 v[128:129], v[156:157], v[128:129]
	v_fmac_f64_e32 v[184:185], v[6:7], v[158:159]
	v_fma_f64 v[190:191], v[4:5], v[158:159], -v[160:161]
	ds_load_b128 v[4:7], v2 offset:1312
	ds_load_b128 v[158:161], v2 offset:1328
	v_add_f64_e32 v[192:193], v[176:177], v[174:175]
	v_add_f64_e32 v[182:183], v[182:183], v[186:187]
	scratch_load_b128 v[174:177], off, off offset:576
	v_fmac_f64_e32 v[188:189], v[156:157], v[126:127]
	v_fma_f64 v[154:155], v[154:155], v[126:127], -v[128:129]
	scratch_load_b128 v[126:129], off, off offset:592
	s_wait_loadcnt_dscnt 0xb01
	v_mul_f64_e32 v[186:187], v[4:5], v[144:145]
	v_mul_f64_e32 v[144:145], v[6:7], v[144:145]
	v_add_f64_e32 v[156:157], v[192:193], v[190:191]
	v_add_f64_e32 v[182:183], v[182:183], v[184:185]
	s_wait_loadcnt_dscnt 0xa00
	v_mul_f64_e32 v[184:185], v[158:159], v[136:137]
	v_mul_f64_e32 v[136:137], v[160:161], v[136:137]
	v_fmac_f64_e32 v[186:187], v[6:7], v[142:143]
	v_fma_f64 v[190:191], v[4:5], v[142:143], -v[144:145]
	ds_load_b128 v[4:7], v2 offset:1344
	ds_load_b128 v[142:145], v2 offset:1360
	v_add_f64_e32 v[192:193], v[156:157], v[154:155]
	v_add_f64_e32 v[182:183], v[182:183], v[188:189]
	scratch_load_b128 v[154:157], off, off offset:608
	s_wait_loadcnt_dscnt 0xa01
	v_mul_f64_e32 v[188:189], v[4:5], v[152:153]
	v_mul_f64_e32 v[152:153], v[6:7], v[152:153]
	v_fmac_f64_e32 v[184:185], v[160:161], v[134:135]
	v_fma_f64 v[158:159], v[158:159], v[134:135], -v[136:137]
	scratch_load_b128 v[134:137], off, off offset:624
	v_add_f64_e32 v[160:161], v[192:193], v[190:191]
	v_add_f64_e32 v[182:183], v[182:183], v[186:187]
	s_wait_loadcnt_dscnt 0xa00
	v_mul_f64_e32 v[186:187], v[142:143], v[140:141]
	v_mul_f64_e32 v[140:141], v[144:145], v[140:141]
	v_fmac_f64_e32 v[188:189], v[6:7], v[150:151]
	v_fma_f64 v[190:191], v[4:5], v[150:151], -v[152:153]
	ds_load_b128 v[4:7], v2 offset:1376
	ds_load_b128 v[150:153], v2 offset:1392
	v_add_f64_e32 v[192:193], v[160:161], v[158:159]
	v_add_f64_e32 v[182:183], v[182:183], v[184:185]
	scratch_load_b128 v[158:161], off, off offset:640
	s_wait_loadcnt_dscnt 0xa01
	v_mul_f64_e32 v[184:185], v[4:5], v[164:165]
	v_mul_f64_e32 v[164:165], v[6:7], v[164:165]
	v_fmac_f64_e32 v[186:187], v[144:145], v[138:139]
	v_fma_f64 v[142:143], v[142:143], v[138:139], -v[140:141]
	scratch_load_b128 v[138:141], off, off offset:656
	v_add_f64_e32 v[144:145], v[192:193], v[190:191]
	v_add_f64_e32 v[182:183], v[182:183], v[188:189]
	s_wait_loadcnt_dscnt 0xa00
	v_mul_f64_e32 v[188:189], v[150:151], v[148:149]
	v_mul_f64_e32 v[148:149], v[152:153], v[148:149]
	v_fmac_f64_e32 v[184:185], v[6:7], v[162:163]
	v_fma_f64 v[190:191], v[4:5], v[162:163], -v[164:165]
	v_add_f64_e32 v[192:193], v[144:145], v[142:143]
	v_add_f64_e32 v[182:183], v[182:183], v[186:187]
	ds_load_b128 v[4:7], v2 offset:1408
	ds_load_b128 v[142:145], v2 offset:1424
	scratch_load_b128 v[162:165], off, off offset:672
	v_fmac_f64_e32 v[188:189], v[152:153], v[146:147]
	v_fma_f64 v[150:151], v[150:151], v[146:147], -v[148:149]
	scratch_load_b128 v[146:149], off, off offset:688
	s_wait_loadcnt_dscnt 0xb01
	v_mul_f64_e32 v[186:187], v[4:5], v[180:181]
	v_mul_f64_e32 v[180:181], v[6:7], v[180:181]
	v_add_f64_e32 v[152:153], v[192:193], v[190:191]
	v_add_f64_e32 v[182:183], v[182:183], v[184:185]
	s_wait_loadcnt_dscnt 0xa00
	v_mul_f64_e32 v[184:185], v[142:143], v[10:11]
	v_mul_f64_e32 v[10:11], v[144:145], v[10:11]
	v_fmac_f64_e32 v[186:187], v[6:7], v[178:179]
	v_fma_f64 v[190:191], v[4:5], v[178:179], -v[180:181]
	v_add_f64_e32 v[192:193], v[152:153], v[150:151]
	v_add_f64_e32 v[182:183], v[182:183], v[188:189]
	ds_load_b128 v[4:7], v2 offset:1440
	ds_load_b128 v[150:153], v2 offset:1456
	scratch_load_b128 v[178:181], off, off offset:704
	v_fmac_f64_e32 v[184:185], v[144:145], v[8:9]
	v_fma_f64 v[142:143], v[142:143], v[8:9], -v[10:11]
	scratch_load_b128 v[8:11], off, off offset:720
	s_wait_loadcnt_dscnt 0xb01
	v_mul_f64_e32 v[188:189], v[4:5], v[168:169]
	v_mul_f64_e32 v[168:169], v[6:7], v[168:169]
	;; [unrolled: 18-line block ×7, first 2 shown]
	v_add_f64_e32 v[152:153], v[192:193], v[190:191]
	v_add_f64_e32 v[182:183], v[182:183], v[184:185]
	s_wait_loadcnt_dscnt 0xa00
	v_mul_f64_e32 v[184:185], v[142:143], v[10:11]
	v_mul_f64_e32 v[10:11], v[144:145], v[10:11]
	v_fmac_f64_e32 v[186:187], v[6:7], v[178:179]
	v_fma_f64 v[178:179], v[4:5], v[178:179], -v[180:181]
	v_add_f64_e32 v[180:181], v[152:153], v[150:151]
	v_add_f64_e32 v[182:183], v[182:183], v[188:189]
	ds_load_b128 v[4:7], v2 offset:1632
	ds_load_b128 v[150:153], v2 offset:1648
	v_fmac_f64_e32 v[184:185], v[144:145], v[8:9]
	v_fma_f64 v[8:9], v[142:143], v[8:9], -v[10:11]
	s_wait_loadcnt_dscnt 0x901
	v_mul_f64_e32 v[188:189], v[4:5], v[168:169]
	v_mul_f64_e32 v[168:169], v[6:7], v[168:169]
	s_wait_loadcnt_dscnt 0x800
	v_mul_f64_e32 v[144:145], v[150:151], v[132:133]
	v_mul_f64_e32 v[132:133], v[152:153], v[132:133]
	v_add_f64_e32 v[10:11], v[180:181], v[178:179]
	v_add_f64_e32 v[142:143], v[182:183], v[186:187]
	v_fmac_f64_e32 v[188:189], v[6:7], v[166:167]
	v_fma_f64 v[166:167], v[4:5], v[166:167], -v[168:169]
	v_fmac_f64_e32 v[144:145], v[152:153], v[130:131]
	v_fma_f64 v[130:131], v[150:151], v[130:131], -v[132:133]
	v_add_f64_e32 v[168:169], v[10:11], v[8:9]
	v_add_f64_e32 v[142:143], v[142:143], v[184:185]
	ds_load_b128 v[4:7], v2 offset:1664
	ds_load_b128 v[8:11], v2 offset:1680
	s_wait_loadcnt_dscnt 0x701
	v_mul_f64_e32 v[178:179], v[4:5], v[176:177]
	v_mul_f64_e32 v[176:177], v[6:7], v[176:177]
	s_wait_loadcnt_dscnt 0x600
	v_mul_f64_e32 v[150:151], v[8:9], v[128:129]
	v_mul_f64_e32 v[152:153], v[10:11], v[128:129]
	v_add_f64_e32 v[132:133], v[168:169], v[166:167]
	v_add_f64_e32 v[142:143], v[142:143], v[188:189]
	v_fmac_f64_e32 v[178:179], v[6:7], v[174:175]
	v_fma_f64 v[166:167], v[4:5], v[174:175], -v[176:177]
	v_fmac_f64_e32 v[150:151], v[10:11], v[126:127]
	v_fma_f64 v[8:9], v[8:9], v[126:127], -v[152:153]
	v_add_f64_e32 v[132:133], v[132:133], v[130:131]
	v_add_f64_e32 v[142:143], v[142:143], v[144:145]
	ds_load_b128 v[4:7], v2 offset:1696
	ds_load_b128 v[128:131], v2 offset:1712
	s_wait_loadcnt_dscnt 0x501
	v_mul_f64_e32 v[144:145], v[4:5], v[156:157]
	v_mul_f64_e32 v[156:157], v[6:7], v[156:157]
	v_add_f64_e32 v[10:11], v[132:133], v[166:167]
	v_add_f64_e32 v[126:127], v[142:143], v[178:179]
	s_wait_loadcnt_dscnt 0x400
	v_mul_f64_e32 v[132:133], v[128:129], v[136:137]
	v_mul_f64_e32 v[136:137], v[130:131], v[136:137]
	v_fmac_f64_e32 v[144:145], v[6:7], v[154:155]
	v_fma_f64 v[142:143], v[4:5], v[154:155], -v[156:157]
	v_add_f64_e32 v[152:153], v[10:11], v[8:9]
	v_add_f64_e32 v[126:127], v[126:127], v[150:151]
	ds_load_b128 v[4:7], v2 offset:1728
	ds_load_b128 v[8:11], v2 offset:1744
	v_fmac_f64_e32 v[132:133], v[130:131], v[134:135]
	v_fma_f64 v[128:129], v[128:129], v[134:135], -v[136:137]
	s_wait_loadcnt_dscnt 0x301
	v_mul_f64_e32 v[150:151], v[4:5], v[160:161]
	v_mul_f64_e32 v[154:155], v[6:7], v[160:161]
	s_wait_loadcnt_dscnt 0x200
	v_mul_f64_e32 v[134:135], v[8:9], v[140:141]
	v_mul_f64_e32 v[136:137], v[10:11], v[140:141]
	v_add_f64_e32 v[130:131], v[152:153], v[142:143]
	v_add_f64_e32 v[126:127], v[126:127], v[144:145]
	v_fmac_f64_e32 v[150:151], v[6:7], v[158:159]
	v_fma_f64 v[140:141], v[4:5], v[158:159], -v[154:155]
	v_fmac_f64_e32 v[134:135], v[10:11], v[138:139]
	v_fma_f64 v[8:9], v[8:9], v[138:139], -v[136:137]
	v_add_f64_e32 v[130:131], v[130:131], v[128:129]
	v_add_f64_e32 v[132:133], v[126:127], v[132:133]
	ds_load_b128 v[4:7], v2 offset:1760
	ds_load_b128 v[126:129], v2 offset:1776
	s_wait_loadcnt_dscnt 0x101
	v_mul_f64_e32 v[2:3], v[4:5], v[164:165]
	v_mul_f64_e32 v[142:143], v[6:7], v[164:165]
	s_wait_loadcnt_dscnt 0x0
	v_mul_f64_e32 v[136:137], v[128:129], v[148:149]
	v_add_f64_e32 v[10:11], v[130:131], v[140:141]
	v_add_f64_e32 v[130:131], v[132:133], v[150:151]
	v_mul_f64_e32 v[132:133], v[126:127], v[148:149]
	v_fmac_f64_e32 v[2:3], v[6:7], v[162:163]
	v_fma_f64 v[4:5], v[4:5], v[162:163], -v[142:143]
	v_add_f64_e32 v[6:7], v[10:11], v[8:9]
	v_add_f64_e32 v[8:9], v[130:131], v[134:135]
	v_fmac_f64_e32 v[132:133], v[128:129], v[146:147]
	v_fma_f64 v[10:11], v[126:127], v[146:147], -v[136:137]
	s_delay_alu instid0(VALU_DEP_4) | instskip(NEXT) | instid1(VALU_DEP_4)
	v_add_f64_e32 v[4:5], v[6:7], v[4:5]
	v_add_f64_e32 v[2:3], v[8:9], v[2:3]
	s_delay_alu instid0(VALU_DEP_2) | instskip(NEXT) | instid1(VALU_DEP_2)
	v_add_f64_e32 v[4:5], v[4:5], v[10:11]
	v_add_f64_e32 v[6:7], v[2:3], v[132:133]
	s_delay_alu instid0(VALU_DEP_2) | instskip(NEXT) | instid1(VALU_DEP_2)
	v_add_f64_e64 v[2:3], v[170:171], -v[4:5]
	v_add_f64_e64 v[4:5], v[172:173], -v[6:7]
	scratch_store_b128 off, v[2:5], off offset:112
	s_wait_xcnt 0x0
	v_cmpx_lt_u32_e32 6, v1
	s_cbranch_execz .LBB55_337
; %bb.336:
	scratch_load_b128 v[2:5], off, s57
	v_mov_b32_e32 v6, 0
	s_delay_alu instid0(VALU_DEP_1)
	v_dual_mov_b32 v7, v6 :: v_dual_mov_b32 v8, v6
	v_mov_b32_e32 v9, v6
	scratch_store_b128 off, v[6:9], off offset:96
	s_wait_loadcnt 0x0
	ds_store_b128 v12, v[2:5]
.LBB55_337:
	s_wait_xcnt 0x0
	s_or_b32 exec_lo, exec_lo, s2
	s_wait_storecnt_dscnt 0x0
	s_barrier_signal -1
	s_barrier_wait -1
	s_clause 0x9
	scratch_load_b128 v[4:7], off, off offset:112
	scratch_load_b128 v[8:11], off, off offset:128
	;; [unrolled: 1-line block ×10, first 2 shown]
	v_mov_b32_e32 v2, 0
	s_mov_b32 s2, exec_lo
	ds_load_b128 v[158:161], v2 offset:1008
	s_clause 0x2
	scratch_load_b128 v[162:165], off, off offset:272
	scratch_load_b128 v[166:169], off, off offset:96
	scratch_load_b128 v[174:177], off, off offset:288
	s_wait_loadcnt_dscnt 0xc00
	v_mul_f64_e32 v[178:179], v[160:161], v[6:7]
	v_mul_f64_e32 v[182:183], v[158:159], v[6:7]
	ds_load_b128 v[170:173], v2 offset:1024
	v_fma_f64 v[186:187], v[158:159], v[4:5], -v[178:179]
	v_fmac_f64_e32 v[182:183], v[160:161], v[4:5]
	ds_load_b128 v[4:7], v2 offset:1040
	s_wait_loadcnt_dscnt 0xb01
	v_mul_f64_e32 v[184:185], v[170:171], v[10:11]
	v_mul_f64_e32 v[10:11], v[172:173], v[10:11]
	scratch_load_b128 v[158:161], off, off offset:304
	ds_load_b128 v[178:181], v2 offset:1056
	s_wait_loadcnt_dscnt 0xb01
	v_mul_f64_e32 v[188:189], v[4:5], v[128:129]
	v_mul_f64_e32 v[128:129], v[6:7], v[128:129]
	v_add_f64_e32 v[182:183], 0, v[182:183]
	v_fmac_f64_e32 v[184:185], v[172:173], v[8:9]
	v_fma_f64 v[170:171], v[170:171], v[8:9], -v[10:11]
	v_add_f64_e32 v[172:173], 0, v[186:187]
	scratch_load_b128 v[8:11], off, off offset:320
	v_fmac_f64_e32 v[188:189], v[6:7], v[126:127]
	v_fma_f64 v[190:191], v[4:5], v[126:127], -v[128:129]
	ds_load_b128 v[4:7], v2 offset:1072
	s_wait_loadcnt_dscnt 0xb01
	v_mul_f64_e32 v[186:187], v[178:179], v[132:133]
	v_mul_f64_e32 v[132:133], v[180:181], v[132:133]
	scratch_load_b128 v[126:129], off, off offset:336
	v_add_f64_e32 v[182:183], v[182:183], v[184:185]
	v_add_f64_e32 v[192:193], v[172:173], v[170:171]
	ds_load_b128 v[170:173], v2 offset:1088
	s_wait_loadcnt_dscnt 0xb01
	v_mul_f64_e32 v[184:185], v[4:5], v[136:137]
	v_mul_f64_e32 v[136:137], v[6:7], v[136:137]
	v_fmac_f64_e32 v[186:187], v[180:181], v[130:131]
	v_fma_f64 v[178:179], v[178:179], v[130:131], -v[132:133]
	scratch_load_b128 v[130:133], off, off offset:352
	v_add_f64_e32 v[182:183], v[182:183], v[188:189]
	v_add_f64_e32 v[180:181], v[192:193], v[190:191]
	v_fmac_f64_e32 v[184:185], v[6:7], v[134:135]
	v_fma_f64 v[190:191], v[4:5], v[134:135], -v[136:137]
	ds_load_b128 v[4:7], v2 offset:1104
	s_wait_loadcnt_dscnt 0xb01
	v_mul_f64_e32 v[188:189], v[170:171], v[140:141]
	v_mul_f64_e32 v[140:141], v[172:173], v[140:141]
	scratch_load_b128 v[134:137], off, off offset:368
	v_add_f64_e32 v[182:183], v[182:183], v[186:187]
	s_wait_loadcnt_dscnt 0xb00
	v_mul_f64_e32 v[186:187], v[4:5], v[144:145]
	v_add_f64_e32 v[192:193], v[180:181], v[178:179]
	v_mul_f64_e32 v[144:145], v[6:7], v[144:145]
	ds_load_b128 v[178:181], v2 offset:1120
	v_fmac_f64_e32 v[188:189], v[172:173], v[138:139]
	v_fma_f64 v[170:171], v[170:171], v[138:139], -v[140:141]
	scratch_load_b128 v[138:141], off, off offset:384
	v_add_f64_e32 v[182:183], v[182:183], v[184:185]
	v_fmac_f64_e32 v[186:187], v[6:7], v[142:143]
	v_add_f64_e32 v[172:173], v[192:193], v[190:191]
	v_fma_f64 v[190:191], v[4:5], v[142:143], -v[144:145]
	ds_load_b128 v[4:7], v2 offset:1136
	s_wait_loadcnt_dscnt 0xb01
	v_mul_f64_e32 v[184:185], v[178:179], v[148:149]
	v_mul_f64_e32 v[148:149], v[180:181], v[148:149]
	scratch_load_b128 v[142:145], off, off offset:400
	v_add_f64_e32 v[182:183], v[182:183], v[188:189]
	s_wait_loadcnt_dscnt 0xb00
	v_mul_f64_e32 v[188:189], v[4:5], v[152:153]
	v_add_f64_e32 v[192:193], v[172:173], v[170:171]
	v_mul_f64_e32 v[152:153], v[6:7], v[152:153]
	ds_load_b128 v[170:173], v2 offset:1152
	v_fmac_f64_e32 v[184:185], v[180:181], v[146:147]
	v_fma_f64 v[178:179], v[178:179], v[146:147], -v[148:149]
	scratch_load_b128 v[146:149], off, off offset:416
	v_add_f64_e32 v[182:183], v[182:183], v[186:187]
	v_fmac_f64_e32 v[188:189], v[6:7], v[150:151]
	v_add_f64_e32 v[180:181], v[192:193], v[190:191]
	;; [unrolled: 18-line block ×3, first 2 shown]
	v_fma_f64 v[190:191], v[4:5], v[162:163], -v[164:165]
	ds_load_b128 v[4:7], v2 offset:1200
	s_wait_loadcnt_dscnt 0xa01
	v_mul_f64_e32 v[188:189], v[178:179], v[176:177]
	v_mul_f64_e32 v[176:177], v[180:181], v[176:177]
	scratch_load_b128 v[162:165], off, off offset:464
	v_add_f64_e32 v[182:183], v[182:183], v[186:187]
	v_add_f64_e32 v[192:193], v[172:173], v[170:171]
	s_wait_loadcnt_dscnt 0xa00
	v_mul_f64_e32 v[186:187], v[4:5], v[160:161]
	v_mul_f64_e32 v[160:161], v[6:7], v[160:161]
	v_fmac_f64_e32 v[188:189], v[180:181], v[174:175]
	v_fma_f64 v[178:179], v[178:179], v[174:175], -v[176:177]
	ds_load_b128 v[170:173], v2 offset:1216
	scratch_load_b128 v[174:177], off, off offset:480
	v_add_f64_e32 v[182:183], v[182:183], v[184:185]
	v_add_f64_e32 v[180:181], v[192:193], v[190:191]
	v_fmac_f64_e32 v[186:187], v[6:7], v[158:159]
	v_fma_f64 v[190:191], v[4:5], v[158:159], -v[160:161]
	ds_load_b128 v[4:7], v2 offset:1232
	s_wait_loadcnt_dscnt 0xa01
	v_mul_f64_e32 v[184:185], v[170:171], v[10:11]
	v_mul_f64_e32 v[10:11], v[172:173], v[10:11]
	scratch_load_b128 v[158:161], off, off offset:496
	v_add_f64_e32 v[182:183], v[182:183], v[188:189]
	s_wait_loadcnt_dscnt 0xa00
	v_mul_f64_e32 v[188:189], v[4:5], v[128:129]
	v_add_f64_e32 v[192:193], v[180:181], v[178:179]
	v_mul_f64_e32 v[128:129], v[6:7], v[128:129]
	ds_load_b128 v[178:181], v2 offset:1248
	v_fmac_f64_e32 v[184:185], v[172:173], v[8:9]
	v_fma_f64 v[170:171], v[170:171], v[8:9], -v[10:11]
	scratch_load_b128 v[8:11], off, off offset:512
	v_add_f64_e32 v[182:183], v[182:183], v[186:187]
	v_fmac_f64_e32 v[188:189], v[6:7], v[126:127]
	v_add_f64_e32 v[172:173], v[192:193], v[190:191]
	v_fma_f64 v[190:191], v[4:5], v[126:127], -v[128:129]
	ds_load_b128 v[4:7], v2 offset:1264
	s_wait_loadcnt_dscnt 0xa01
	v_mul_f64_e32 v[186:187], v[178:179], v[132:133]
	v_mul_f64_e32 v[132:133], v[180:181], v[132:133]
	scratch_load_b128 v[126:129], off, off offset:528
	v_add_f64_e32 v[182:183], v[182:183], v[184:185]
	s_wait_loadcnt_dscnt 0xa00
	v_mul_f64_e32 v[184:185], v[4:5], v[136:137]
	v_add_f64_e32 v[192:193], v[172:173], v[170:171]
	v_mul_f64_e32 v[136:137], v[6:7], v[136:137]
	ds_load_b128 v[170:173], v2 offset:1280
	v_fmac_f64_e32 v[186:187], v[180:181], v[130:131]
	v_fma_f64 v[178:179], v[178:179], v[130:131], -v[132:133]
	scratch_load_b128 v[130:133], off, off offset:544
	v_add_f64_e32 v[182:183], v[182:183], v[188:189]
	v_fmac_f64_e32 v[184:185], v[6:7], v[134:135]
	v_add_f64_e32 v[180:181], v[192:193], v[190:191]
	v_fma_f64 v[190:191], v[4:5], v[134:135], -v[136:137]
	ds_load_b128 v[4:7], v2 offset:1296
	s_wait_loadcnt_dscnt 0xa01
	v_mul_f64_e32 v[188:189], v[170:171], v[140:141]
	v_mul_f64_e32 v[140:141], v[172:173], v[140:141]
	scratch_load_b128 v[134:137], off, off offset:560
	v_add_f64_e32 v[182:183], v[182:183], v[186:187]
	s_wait_loadcnt_dscnt 0xa00
	v_mul_f64_e32 v[186:187], v[4:5], v[144:145]
	v_add_f64_e32 v[192:193], v[180:181], v[178:179]
	v_mul_f64_e32 v[144:145], v[6:7], v[144:145]
	ds_load_b128 v[178:181], v2 offset:1312
	v_fmac_f64_e32 v[188:189], v[172:173], v[138:139]
	v_fma_f64 v[170:171], v[170:171], v[138:139], -v[140:141]
	scratch_load_b128 v[138:141], off, off offset:576
	v_add_f64_e32 v[182:183], v[182:183], v[184:185]
	v_fmac_f64_e32 v[186:187], v[6:7], v[142:143]
	v_add_f64_e32 v[172:173], v[192:193], v[190:191]
	v_fma_f64 v[190:191], v[4:5], v[142:143], -v[144:145]
	ds_load_b128 v[4:7], v2 offset:1328
	s_wait_loadcnt_dscnt 0xa01
	v_mul_f64_e32 v[184:185], v[178:179], v[148:149]
	v_mul_f64_e32 v[148:149], v[180:181], v[148:149]
	scratch_load_b128 v[142:145], off, off offset:592
	v_add_f64_e32 v[182:183], v[182:183], v[188:189]
	s_wait_loadcnt_dscnt 0xa00
	v_mul_f64_e32 v[188:189], v[4:5], v[152:153]
	v_add_f64_e32 v[192:193], v[172:173], v[170:171]
	v_mul_f64_e32 v[152:153], v[6:7], v[152:153]
	ds_load_b128 v[170:173], v2 offset:1344
	v_fmac_f64_e32 v[184:185], v[180:181], v[146:147]
	v_fma_f64 v[178:179], v[178:179], v[146:147], -v[148:149]
	scratch_load_b128 v[146:149], off, off offset:608
	v_add_f64_e32 v[182:183], v[182:183], v[186:187]
	v_fmac_f64_e32 v[188:189], v[6:7], v[150:151]
	v_add_f64_e32 v[180:181], v[192:193], v[190:191]
	v_fma_f64 v[190:191], v[4:5], v[150:151], -v[152:153]
	ds_load_b128 v[4:7], v2 offset:1360
	s_wait_loadcnt_dscnt 0xa01
	v_mul_f64_e32 v[186:187], v[170:171], v[156:157]
	v_mul_f64_e32 v[156:157], v[172:173], v[156:157]
	scratch_load_b128 v[150:153], off, off offset:624
	v_add_f64_e32 v[182:183], v[182:183], v[184:185]
	s_wait_loadcnt_dscnt 0xa00
	v_mul_f64_e32 v[184:185], v[4:5], v[164:165]
	v_add_f64_e32 v[192:193], v[180:181], v[178:179]
	v_mul_f64_e32 v[164:165], v[6:7], v[164:165]
	ds_load_b128 v[178:181], v2 offset:1376
	v_fmac_f64_e32 v[186:187], v[172:173], v[154:155]
	v_fma_f64 v[170:171], v[170:171], v[154:155], -v[156:157]
	scratch_load_b128 v[154:157], off, off offset:640
	v_add_f64_e32 v[182:183], v[182:183], v[188:189]
	v_fmac_f64_e32 v[184:185], v[6:7], v[162:163]
	v_add_f64_e32 v[172:173], v[192:193], v[190:191]
	v_fma_f64 v[190:191], v[4:5], v[162:163], -v[164:165]
	ds_load_b128 v[4:7], v2 offset:1392
	s_wait_loadcnt_dscnt 0xa01
	v_mul_f64_e32 v[188:189], v[178:179], v[176:177]
	v_mul_f64_e32 v[176:177], v[180:181], v[176:177]
	scratch_load_b128 v[162:165], off, off offset:656
	v_add_f64_e32 v[182:183], v[182:183], v[186:187]
	s_wait_loadcnt_dscnt 0xa00
	v_mul_f64_e32 v[186:187], v[4:5], v[160:161]
	v_add_f64_e32 v[192:193], v[172:173], v[170:171]
	v_mul_f64_e32 v[160:161], v[6:7], v[160:161]
	ds_load_b128 v[170:173], v2 offset:1408
	v_fmac_f64_e32 v[188:189], v[180:181], v[174:175]
	v_fma_f64 v[178:179], v[178:179], v[174:175], -v[176:177]
	scratch_load_b128 v[174:177], off, off offset:672
	v_add_f64_e32 v[182:183], v[182:183], v[184:185]
	v_fmac_f64_e32 v[186:187], v[6:7], v[158:159]
	v_add_f64_e32 v[180:181], v[192:193], v[190:191]
	v_fma_f64 v[190:191], v[4:5], v[158:159], -v[160:161]
	ds_load_b128 v[4:7], v2 offset:1424
	s_wait_loadcnt_dscnt 0xa01
	v_mul_f64_e32 v[184:185], v[170:171], v[10:11]
	v_mul_f64_e32 v[10:11], v[172:173], v[10:11]
	scratch_load_b128 v[158:161], off, off offset:688
	v_add_f64_e32 v[182:183], v[182:183], v[188:189]
	s_wait_loadcnt_dscnt 0xa00
	v_mul_f64_e32 v[188:189], v[4:5], v[128:129]
	v_add_f64_e32 v[192:193], v[180:181], v[178:179]
	v_mul_f64_e32 v[128:129], v[6:7], v[128:129]
	ds_load_b128 v[178:181], v2 offset:1440
	v_fmac_f64_e32 v[184:185], v[172:173], v[8:9]
	v_fma_f64 v[170:171], v[170:171], v[8:9], -v[10:11]
	scratch_load_b128 v[8:11], off, off offset:704
	v_add_f64_e32 v[182:183], v[182:183], v[186:187]
	v_fmac_f64_e32 v[188:189], v[6:7], v[126:127]
	v_add_f64_e32 v[172:173], v[192:193], v[190:191]
	v_fma_f64 v[190:191], v[4:5], v[126:127], -v[128:129]
	ds_load_b128 v[4:7], v2 offset:1456
	s_wait_loadcnt_dscnt 0xa01
	v_mul_f64_e32 v[186:187], v[178:179], v[132:133]
	v_mul_f64_e32 v[132:133], v[180:181], v[132:133]
	scratch_load_b128 v[126:129], off, off offset:720
	v_add_f64_e32 v[182:183], v[182:183], v[184:185]
	s_wait_loadcnt_dscnt 0xa00
	v_mul_f64_e32 v[184:185], v[4:5], v[136:137]
	v_add_f64_e32 v[192:193], v[172:173], v[170:171]
	v_mul_f64_e32 v[136:137], v[6:7], v[136:137]
	ds_load_b128 v[170:173], v2 offset:1472
	v_fmac_f64_e32 v[186:187], v[180:181], v[130:131]
	v_fma_f64 v[178:179], v[178:179], v[130:131], -v[132:133]
	scratch_load_b128 v[130:133], off, off offset:736
	v_add_f64_e32 v[182:183], v[182:183], v[188:189]
	v_fmac_f64_e32 v[184:185], v[6:7], v[134:135]
	v_add_f64_e32 v[180:181], v[192:193], v[190:191]
	v_fma_f64 v[190:191], v[4:5], v[134:135], -v[136:137]
	ds_load_b128 v[4:7], v2 offset:1488
	s_wait_loadcnt_dscnt 0xa01
	v_mul_f64_e32 v[188:189], v[170:171], v[140:141]
	v_mul_f64_e32 v[140:141], v[172:173], v[140:141]
	scratch_load_b128 v[134:137], off, off offset:752
	v_add_f64_e32 v[182:183], v[182:183], v[186:187]
	s_wait_loadcnt_dscnt 0xa00
	v_mul_f64_e32 v[186:187], v[4:5], v[144:145]
	v_add_f64_e32 v[192:193], v[180:181], v[178:179]
	v_mul_f64_e32 v[144:145], v[6:7], v[144:145]
	ds_load_b128 v[178:181], v2 offset:1504
	v_fmac_f64_e32 v[188:189], v[172:173], v[138:139]
	v_fma_f64 v[170:171], v[170:171], v[138:139], -v[140:141]
	scratch_load_b128 v[138:141], off, off offset:768
	v_add_f64_e32 v[182:183], v[182:183], v[184:185]
	v_fmac_f64_e32 v[186:187], v[6:7], v[142:143]
	v_add_f64_e32 v[172:173], v[192:193], v[190:191]
	v_fma_f64 v[190:191], v[4:5], v[142:143], -v[144:145]
	ds_load_b128 v[4:7], v2 offset:1520
	s_wait_loadcnt_dscnt 0xa01
	v_mul_f64_e32 v[184:185], v[178:179], v[148:149]
	v_mul_f64_e32 v[148:149], v[180:181], v[148:149]
	scratch_load_b128 v[142:145], off, off offset:784
	v_add_f64_e32 v[182:183], v[182:183], v[188:189]
	s_wait_loadcnt_dscnt 0xa00
	v_mul_f64_e32 v[188:189], v[4:5], v[152:153]
	v_add_f64_e32 v[192:193], v[172:173], v[170:171]
	v_mul_f64_e32 v[152:153], v[6:7], v[152:153]
	ds_load_b128 v[170:173], v2 offset:1536
	v_fmac_f64_e32 v[184:185], v[180:181], v[146:147]
	v_fma_f64 v[178:179], v[178:179], v[146:147], -v[148:149]
	scratch_load_b128 v[146:149], off, off offset:800
	v_add_f64_e32 v[182:183], v[182:183], v[186:187]
	v_fmac_f64_e32 v[188:189], v[6:7], v[150:151]
	v_add_f64_e32 v[180:181], v[192:193], v[190:191]
	v_fma_f64 v[190:191], v[4:5], v[150:151], -v[152:153]
	ds_load_b128 v[4:7], v2 offset:1552
	s_wait_loadcnt_dscnt 0xa01
	v_mul_f64_e32 v[186:187], v[170:171], v[156:157]
	v_mul_f64_e32 v[156:157], v[172:173], v[156:157]
	scratch_load_b128 v[150:153], off, off offset:816
	v_add_f64_e32 v[182:183], v[182:183], v[184:185]
	s_wait_loadcnt_dscnt 0xa00
	v_mul_f64_e32 v[184:185], v[4:5], v[164:165]
	v_add_f64_e32 v[192:193], v[180:181], v[178:179]
	v_mul_f64_e32 v[164:165], v[6:7], v[164:165]
	ds_load_b128 v[178:181], v2 offset:1568
	v_fmac_f64_e32 v[186:187], v[172:173], v[154:155]
	v_fma_f64 v[170:171], v[170:171], v[154:155], -v[156:157]
	scratch_load_b128 v[154:157], off, off offset:832
	v_add_f64_e32 v[182:183], v[182:183], v[188:189]
	v_fmac_f64_e32 v[184:185], v[6:7], v[162:163]
	v_add_f64_e32 v[172:173], v[192:193], v[190:191]
	v_fma_f64 v[190:191], v[4:5], v[162:163], -v[164:165]
	ds_load_b128 v[4:7], v2 offset:1584
	s_wait_loadcnt_dscnt 0xa01
	v_mul_f64_e32 v[188:189], v[178:179], v[176:177]
	v_mul_f64_e32 v[176:177], v[180:181], v[176:177]
	scratch_load_b128 v[162:165], off, off offset:848
	v_add_f64_e32 v[182:183], v[182:183], v[186:187]
	s_wait_loadcnt_dscnt 0xa00
	v_mul_f64_e32 v[186:187], v[4:5], v[160:161]
	v_add_f64_e32 v[192:193], v[172:173], v[170:171]
	v_mul_f64_e32 v[160:161], v[6:7], v[160:161]
	ds_load_b128 v[170:173], v2 offset:1600
	v_fmac_f64_e32 v[188:189], v[180:181], v[174:175]
	v_fma_f64 v[178:179], v[178:179], v[174:175], -v[176:177]
	scratch_load_b128 v[174:177], off, off offset:864
	v_add_f64_e32 v[182:183], v[182:183], v[184:185]
	v_fmac_f64_e32 v[186:187], v[6:7], v[158:159]
	v_add_f64_e32 v[180:181], v[192:193], v[190:191]
	v_fma_f64 v[190:191], v[4:5], v[158:159], -v[160:161]
	ds_load_b128 v[4:7], v2 offset:1616
	s_wait_loadcnt_dscnt 0xa01
	v_mul_f64_e32 v[184:185], v[170:171], v[10:11]
	v_mul_f64_e32 v[10:11], v[172:173], v[10:11]
	scratch_load_b128 v[158:161], off, off offset:880
	v_add_f64_e32 v[182:183], v[182:183], v[188:189]
	s_wait_loadcnt_dscnt 0xa00
	v_mul_f64_e32 v[188:189], v[4:5], v[128:129]
	v_add_f64_e32 v[192:193], v[180:181], v[178:179]
	v_mul_f64_e32 v[128:129], v[6:7], v[128:129]
	ds_load_b128 v[178:181], v2 offset:1632
	v_fmac_f64_e32 v[184:185], v[172:173], v[8:9]
	v_fma_f64 v[8:9], v[170:171], v[8:9], -v[10:11]
	s_wait_loadcnt_dscnt 0x900
	v_mul_f64_e32 v[172:173], v[178:179], v[132:133]
	v_mul_f64_e32 v[132:133], v[180:181], v[132:133]
	v_add_f64_e32 v[170:171], v[182:183], v[186:187]
	v_fmac_f64_e32 v[188:189], v[6:7], v[126:127]
	v_add_f64_e32 v[10:11], v[192:193], v[190:191]
	v_fma_f64 v[126:127], v[4:5], v[126:127], -v[128:129]
	v_fmac_f64_e32 v[172:173], v[180:181], v[130:131]
	v_fma_f64 v[130:131], v[178:179], v[130:131], -v[132:133]
	v_add_f64_e32 v[170:171], v[170:171], v[184:185]
	v_add_f64_e32 v[128:129], v[10:11], v[8:9]
	ds_load_b128 v[4:7], v2 offset:1648
	ds_load_b128 v[8:11], v2 offset:1664
	s_wait_loadcnt_dscnt 0x801
	v_mul_f64_e32 v[182:183], v[4:5], v[136:137]
	v_mul_f64_e32 v[136:137], v[6:7], v[136:137]
	s_wait_loadcnt_dscnt 0x700
	v_mul_f64_e32 v[132:133], v[8:9], v[140:141]
	v_mul_f64_e32 v[140:141], v[10:11], v[140:141]
	v_add_f64_e32 v[126:127], v[128:129], v[126:127]
	v_add_f64_e32 v[128:129], v[170:171], v[188:189]
	v_fmac_f64_e32 v[182:183], v[6:7], v[134:135]
	v_fma_f64 v[134:135], v[4:5], v[134:135], -v[136:137]
	v_fmac_f64_e32 v[132:133], v[10:11], v[138:139]
	v_fma_f64 v[8:9], v[8:9], v[138:139], -v[140:141]
	v_add_f64_e32 v[130:131], v[126:127], v[130:131]
	v_add_f64_e32 v[136:137], v[128:129], v[172:173]
	ds_load_b128 v[4:7], v2 offset:1680
	ds_load_b128 v[126:129], v2 offset:1696
	s_wait_loadcnt_dscnt 0x601
	v_mul_f64_e32 v[170:171], v[4:5], v[144:145]
	v_mul_f64_e32 v[144:145], v[6:7], v[144:145]
	v_add_f64_e32 v[10:11], v[130:131], v[134:135]
	v_add_f64_e32 v[130:131], v[136:137], v[182:183]
	s_wait_loadcnt_dscnt 0x500
	v_mul_f64_e32 v[134:135], v[126:127], v[148:149]
	v_mul_f64_e32 v[136:137], v[128:129], v[148:149]
	v_fmac_f64_e32 v[170:171], v[6:7], v[142:143]
	v_fma_f64 v[138:139], v[4:5], v[142:143], -v[144:145]
	v_add_f64_e32 v[140:141], v[10:11], v[8:9]
	v_add_f64_e32 v[130:131], v[130:131], v[132:133]
	ds_load_b128 v[4:7], v2 offset:1712
	ds_load_b128 v[8:11], v2 offset:1728
	v_fmac_f64_e32 v[134:135], v[128:129], v[146:147]
	v_fma_f64 v[126:127], v[126:127], v[146:147], -v[136:137]
	s_wait_loadcnt_dscnt 0x401
	v_mul_f64_e32 v[132:133], v[4:5], v[152:153]
	v_mul_f64_e32 v[142:143], v[6:7], v[152:153]
	s_wait_loadcnt_dscnt 0x300
	v_mul_f64_e32 v[136:137], v[8:9], v[156:157]
	v_add_f64_e32 v[128:129], v[140:141], v[138:139]
	v_add_f64_e32 v[130:131], v[130:131], v[170:171]
	v_mul_f64_e32 v[138:139], v[10:11], v[156:157]
	v_fmac_f64_e32 v[132:133], v[6:7], v[150:151]
	v_fma_f64 v[140:141], v[4:5], v[150:151], -v[142:143]
	v_fmac_f64_e32 v[136:137], v[10:11], v[154:155]
	v_add_f64_e32 v[142:143], v[128:129], v[126:127]
	v_add_f64_e32 v[130:131], v[130:131], v[134:135]
	ds_load_b128 v[4:7], v2 offset:1744
	ds_load_b128 v[126:129], v2 offset:1760
	v_fma_f64 v[8:9], v[8:9], v[154:155], -v[138:139]
	s_wait_loadcnt_dscnt 0x201
	v_mul_f64_e32 v[134:135], v[4:5], v[164:165]
	v_mul_f64_e32 v[144:145], v[6:7], v[164:165]
	s_wait_loadcnt_dscnt 0x100
	v_mul_f64_e32 v[138:139], v[128:129], v[176:177]
	v_add_f64_e32 v[10:11], v[142:143], v[140:141]
	v_add_f64_e32 v[130:131], v[130:131], v[132:133]
	v_mul_f64_e32 v[132:133], v[126:127], v[176:177]
	v_fmac_f64_e32 v[134:135], v[6:7], v[162:163]
	v_fma_f64 v[140:141], v[4:5], v[162:163], -v[144:145]
	ds_load_b128 v[4:7], v2 offset:1776
	v_fma_f64 v[126:127], v[126:127], v[174:175], -v[138:139]
	v_add_f64_e32 v[8:9], v[10:11], v[8:9]
	v_add_f64_e32 v[10:11], v[130:131], v[136:137]
	v_fmac_f64_e32 v[132:133], v[128:129], v[174:175]
	s_wait_loadcnt_dscnt 0x0
	v_mul_f64_e32 v[130:131], v[4:5], v[160:161]
	v_mul_f64_e32 v[136:137], v[6:7], v[160:161]
	v_add_f64_e32 v[8:9], v[8:9], v[140:141]
	v_add_f64_e32 v[10:11], v[10:11], v[134:135]
	s_delay_alu instid0(VALU_DEP_4) | instskip(NEXT) | instid1(VALU_DEP_4)
	v_fmac_f64_e32 v[130:131], v[6:7], v[158:159]
	v_fma_f64 v[4:5], v[4:5], v[158:159], -v[136:137]
	s_delay_alu instid0(VALU_DEP_4) | instskip(NEXT) | instid1(VALU_DEP_4)
	v_add_f64_e32 v[6:7], v[8:9], v[126:127]
	v_add_f64_e32 v[8:9], v[10:11], v[132:133]
	s_delay_alu instid0(VALU_DEP_2) | instskip(NEXT) | instid1(VALU_DEP_2)
	v_add_f64_e32 v[4:5], v[6:7], v[4:5]
	v_add_f64_e32 v[6:7], v[8:9], v[130:131]
	s_delay_alu instid0(VALU_DEP_2) | instskip(NEXT) | instid1(VALU_DEP_2)
	v_add_f64_e64 v[4:5], v[166:167], -v[4:5]
	v_add_f64_e64 v[6:7], v[168:169], -v[6:7]
	scratch_store_b128 off, v[4:7], off offset:96
	s_wait_xcnt 0x0
	v_cmpx_lt_u32_e32 5, v1
	s_cbranch_execz .LBB55_339
; %bb.338:
	scratch_load_b128 v[6:9], off, s55
	v_dual_mov_b32 v3, v2 :: v_dual_mov_b32 v4, v2
	v_mov_b32_e32 v5, v2
	scratch_store_b128 off, v[2:5], off offset:80
	s_wait_loadcnt 0x0
	ds_store_b128 v12, v[6:9]
.LBB55_339:
	s_wait_xcnt 0x0
	s_or_b32 exec_lo, exec_lo, s2
	s_wait_storecnt_dscnt 0x0
	s_barrier_signal -1
	s_barrier_wait -1
	s_clause 0x9
	scratch_load_b128 v[4:7], off, off offset:96
	scratch_load_b128 v[8:11], off, off offset:112
	;; [unrolled: 1-line block ×10, first 2 shown]
	ds_load_b128 v[158:161], v2 offset:992
	ds_load_b128 v[166:169], v2 offset:1008
	s_clause 0x2
	scratch_load_b128 v[162:165], off, off offset:256
	scratch_load_b128 v[170:173], off, off offset:80
	;; [unrolled: 1-line block ×3, first 2 shown]
	s_mov_b32 s2, exec_lo
	s_wait_loadcnt_dscnt 0xc01
	v_mul_f64_e32 v[178:179], v[160:161], v[6:7]
	v_mul_f64_e32 v[182:183], v[158:159], v[6:7]
	s_wait_loadcnt_dscnt 0xb00
	v_mul_f64_e32 v[184:185], v[166:167], v[10:11]
	v_mul_f64_e32 v[10:11], v[168:169], v[10:11]
	s_delay_alu instid0(VALU_DEP_4) | instskip(NEXT) | instid1(VALU_DEP_4)
	v_fma_f64 v[186:187], v[158:159], v[4:5], -v[178:179]
	v_fmac_f64_e32 v[182:183], v[160:161], v[4:5]
	ds_load_b128 v[4:7], v2 offset:1024
	ds_load_b128 v[158:161], v2 offset:1040
	scratch_load_b128 v[178:181], off, off offset:288
	v_fmac_f64_e32 v[184:185], v[168:169], v[8:9]
	v_fma_f64 v[166:167], v[166:167], v[8:9], -v[10:11]
	scratch_load_b128 v[8:11], off, off offset:304
	s_wait_loadcnt_dscnt 0xc01
	v_mul_f64_e32 v[188:189], v[4:5], v[128:129]
	v_mul_f64_e32 v[128:129], v[6:7], v[128:129]
	v_add_f64_e32 v[168:169], 0, v[186:187]
	v_add_f64_e32 v[182:183], 0, v[182:183]
	s_wait_loadcnt_dscnt 0xb00
	v_mul_f64_e32 v[186:187], v[158:159], v[132:133]
	v_mul_f64_e32 v[132:133], v[160:161], v[132:133]
	v_fmac_f64_e32 v[188:189], v[6:7], v[126:127]
	v_fma_f64 v[190:191], v[4:5], v[126:127], -v[128:129]
	ds_load_b128 v[4:7], v2 offset:1056
	ds_load_b128 v[126:129], v2 offset:1072
	v_add_f64_e32 v[192:193], v[168:169], v[166:167]
	v_add_f64_e32 v[182:183], v[182:183], v[184:185]
	scratch_load_b128 v[166:169], off, off offset:320
	v_fmac_f64_e32 v[186:187], v[160:161], v[130:131]
	v_fma_f64 v[158:159], v[158:159], v[130:131], -v[132:133]
	scratch_load_b128 v[130:133], off, off offset:336
	s_wait_loadcnt_dscnt 0xc01
	v_mul_f64_e32 v[184:185], v[4:5], v[136:137]
	v_mul_f64_e32 v[136:137], v[6:7], v[136:137]
	v_add_f64_e32 v[160:161], v[192:193], v[190:191]
	v_add_f64_e32 v[182:183], v[182:183], v[188:189]
	s_wait_loadcnt_dscnt 0xb00
	v_mul_f64_e32 v[188:189], v[126:127], v[140:141]
	v_mul_f64_e32 v[140:141], v[128:129], v[140:141]
	v_fmac_f64_e32 v[184:185], v[6:7], v[134:135]
	v_fma_f64 v[190:191], v[4:5], v[134:135], -v[136:137]
	ds_load_b128 v[4:7], v2 offset:1088
	ds_load_b128 v[134:137], v2 offset:1104
	v_add_f64_e32 v[192:193], v[160:161], v[158:159]
	v_add_f64_e32 v[182:183], v[182:183], v[186:187]
	scratch_load_b128 v[158:161], off, off offset:352
	s_wait_loadcnt_dscnt 0xb01
	v_mul_f64_e32 v[186:187], v[4:5], v[144:145]
	v_mul_f64_e32 v[144:145], v[6:7], v[144:145]
	v_fmac_f64_e32 v[188:189], v[128:129], v[138:139]
	v_fma_f64 v[138:139], v[126:127], v[138:139], -v[140:141]
	scratch_load_b128 v[126:129], off, off offset:368
	v_add_f64_e32 v[140:141], v[192:193], v[190:191]
	v_add_f64_e32 v[182:183], v[182:183], v[184:185]
	s_wait_loadcnt_dscnt 0xb00
	v_mul_f64_e32 v[184:185], v[134:135], v[148:149]
	v_mul_f64_e32 v[148:149], v[136:137], v[148:149]
	v_fmac_f64_e32 v[186:187], v[6:7], v[142:143]
	v_fma_f64 v[190:191], v[4:5], v[142:143], -v[144:145]
	v_add_f64_e32 v[192:193], v[140:141], v[138:139]
	v_add_f64_e32 v[182:183], v[182:183], v[188:189]
	ds_load_b128 v[4:7], v2 offset:1120
	ds_load_b128 v[138:141], v2 offset:1136
	scratch_load_b128 v[142:145], off, off offset:384
	v_fmac_f64_e32 v[184:185], v[136:137], v[146:147]
	v_fma_f64 v[146:147], v[134:135], v[146:147], -v[148:149]
	scratch_load_b128 v[134:137], off, off offset:400
	s_wait_loadcnt_dscnt 0xc01
	v_mul_f64_e32 v[188:189], v[4:5], v[152:153]
	v_mul_f64_e32 v[152:153], v[6:7], v[152:153]
	v_add_f64_e32 v[148:149], v[192:193], v[190:191]
	v_add_f64_e32 v[182:183], v[182:183], v[186:187]
	s_wait_loadcnt_dscnt 0xb00
	v_mul_f64_e32 v[186:187], v[138:139], v[156:157]
	v_mul_f64_e32 v[156:157], v[140:141], v[156:157]
	v_fmac_f64_e32 v[188:189], v[6:7], v[150:151]
	v_fma_f64 v[190:191], v[4:5], v[150:151], -v[152:153]
	v_add_f64_e32 v[192:193], v[148:149], v[146:147]
	v_add_f64_e32 v[182:183], v[182:183], v[184:185]
	ds_load_b128 v[4:7], v2 offset:1152
	ds_load_b128 v[146:149], v2 offset:1168
	scratch_load_b128 v[150:153], off, off offset:416
	v_fmac_f64_e32 v[186:187], v[140:141], v[154:155]
	v_fma_f64 v[154:155], v[138:139], v[154:155], -v[156:157]
	scratch_load_b128 v[138:141], off, off offset:432
	s_wait_loadcnt_dscnt 0xc01
	v_mul_f64_e32 v[184:185], v[4:5], v[164:165]
	v_mul_f64_e32 v[164:165], v[6:7], v[164:165]
	;; [unrolled: 18-line block ×5, first 2 shown]
	v_add_f64_e32 v[176:177], v[192:193], v[190:191]
	v_add_f64_e32 v[182:183], v[182:183], v[188:189]
	s_wait_loadcnt_dscnt 0xa00
	v_mul_f64_e32 v[188:189], v[154:155], v[128:129]
	v_mul_f64_e32 v[128:129], v[156:157], v[128:129]
	v_fmac_f64_e32 v[184:185], v[6:7], v[158:159]
	v_fma_f64 v[190:191], v[4:5], v[158:159], -v[160:161]
	ds_load_b128 v[4:7], v2 offset:1280
	ds_load_b128 v[158:161], v2 offset:1296
	v_add_f64_e32 v[192:193], v[176:177], v[174:175]
	v_add_f64_e32 v[182:183], v[182:183], v[186:187]
	scratch_load_b128 v[174:177], off, off offset:544
	v_fmac_f64_e32 v[188:189], v[156:157], v[126:127]
	v_fma_f64 v[154:155], v[154:155], v[126:127], -v[128:129]
	scratch_load_b128 v[126:129], off, off offset:560
	s_wait_loadcnt_dscnt 0xb01
	v_mul_f64_e32 v[186:187], v[4:5], v[144:145]
	v_mul_f64_e32 v[144:145], v[6:7], v[144:145]
	v_add_f64_e32 v[156:157], v[192:193], v[190:191]
	v_add_f64_e32 v[182:183], v[182:183], v[184:185]
	s_wait_loadcnt_dscnt 0xa00
	v_mul_f64_e32 v[184:185], v[158:159], v[136:137]
	v_mul_f64_e32 v[136:137], v[160:161], v[136:137]
	v_fmac_f64_e32 v[186:187], v[6:7], v[142:143]
	v_fma_f64 v[190:191], v[4:5], v[142:143], -v[144:145]
	ds_load_b128 v[4:7], v2 offset:1312
	ds_load_b128 v[142:145], v2 offset:1328
	v_add_f64_e32 v[192:193], v[156:157], v[154:155]
	v_add_f64_e32 v[182:183], v[182:183], v[188:189]
	scratch_load_b128 v[154:157], off, off offset:576
	s_wait_loadcnt_dscnt 0xa01
	v_mul_f64_e32 v[188:189], v[4:5], v[152:153]
	v_mul_f64_e32 v[152:153], v[6:7], v[152:153]
	v_fmac_f64_e32 v[184:185], v[160:161], v[134:135]
	v_fma_f64 v[158:159], v[158:159], v[134:135], -v[136:137]
	scratch_load_b128 v[134:137], off, off offset:592
	v_add_f64_e32 v[160:161], v[192:193], v[190:191]
	v_add_f64_e32 v[182:183], v[182:183], v[186:187]
	s_wait_loadcnt_dscnt 0xa00
	v_mul_f64_e32 v[186:187], v[142:143], v[140:141]
	v_mul_f64_e32 v[140:141], v[144:145], v[140:141]
	v_fmac_f64_e32 v[188:189], v[6:7], v[150:151]
	v_fma_f64 v[190:191], v[4:5], v[150:151], -v[152:153]
	ds_load_b128 v[4:7], v2 offset:1344
	ds_load_b128 v[150:153], v2 offset:1360
	v_add_f64_e32 v[192:193], v[160:161], v[158:159]
	v_add_f64_e32 v[182:183], v[182:183], v[184:185]
	scratch_load_b128 v[158:161], off, off offset:608
	s_wait_loadcnt_dscnt 0xa01
	v_mul_f64_e32 v[184:185], v[4:5], v[164:165]
	v_mul_f64_e32 v[164:165], v[6:7], v[164:165]
	v_fmac_f64_e32 v[186:187], v[144:145], v[138:139]
	v_fma_f64 v[142:143], v[142:143], v[138:139], -v[140:141]
	scratch_load_b128 v[138:141], off, off offset:624
	v_add_f64_e32 v[144:145], v[192:193], v[190:191]
	v_add_f64_e32 v[182:183], v[182:183], v[188:189]
	s_wait_loadcnt_dscnt 0xa00
	v_mul_f64_e32 v[188:189], v[150:151], v[148:149]
	v_mul_f64_e32 v[148:149], v[152:153], v[148:149]
	v_fmac_f64_e32 v[184:185], v[6:7], v[162:163]
	v_fma_f64 v[190:191], v[4:5], v[162:163], -v[164:165]
	v_add_f64_e32 v[192:193], v[144:145], v[142:143]
	v_add_f64_e32 v[182:183], v[182:183], v[186:187]
	ds_load_b128 v[4:7], v2 offset:1376
	ds_load_b128 v[142:145], v2 offset:1392
	scratch_load_b128 v[162:165], off, off offset:640
	v_fmac_f64_e32 v[188:189], v[152:153], v[146:147]
	v_fma_f64 v[150:151], v[150:151], v[146:147], -v[148:149]
	scratch_load_b128 v[146:149], off, off offset:656
	s_wait_loadcnt_dscnt 0xb01
	v_mul_f64_e32 v[186:187], v[4:5], v[180:181]
	v_mul_f64_e32 v[180:181], v[6:7], v[180:181]
	v_add_f64_e32 v[152:153], v[192:193], v[190:191]
	v_add_f64_e32 v[182:183], v[182:183], v[184:185]
	s_wait_loadcnt_dscnt 0xa00
	v_mul_f64_e32 v[184:185], v[142:143], v[10:11]
	v_mul_f64_e32 v[10:11], v[144:145], v[10:11]
	v_fmac_f64_e32 v[186:187], v[6:7], v[178:179]
	v_fma_f64 v[190:191], v[4:5], v[178:179], -v[180:181]
	v_add_f64_e32 v[192:193], v[152:153], v[150:151]
	v_add_f64_e32 v[182:183], v[182:183], v[188:189]
	ds_load_b128 v[4:7], v2 offset:1408
	ds_load_b128 v[150:153], v2 offset:1424
	scratch_load_b128 v[178:181], off, off offset:672
	v_fmac_f64_e32 v[184:185], v[144:145], v[8:9]
	v_fma_f64 v[142:143], v[142:143], v[8:9], -v[10:11]
	scratch_load_b128 v[8:11], off, off offset:688
	s_wait_loadcnt_dscnt 0xb01
	v_mul_f64_e32 v[188:189], v[4:5], v[168:169]
	v_mul_f64_e32 v[168:169], v[6:7], v[168:169]
	;; [unrolled: 18-line block ×8, first 2 shown]
	v_add_f64_e32 v[144:145], v[192:193], v[190:191]
	v_add_f64_e32 v[182:183], v[182:183], v[186:187]
	s_wait_loadcnt_dscnt 0xa00
	v_mul_f64_e32 v[186:187], v[150:151], v[132:133]
	v_mul_f64_e32 v[132:133], v[152:153], v[132:133]
	v_fmac_f64_e32 v[188:189], v[6:7], v[166:167]
	v_fma_f64 v[166:167], v[4:5], v[166:167], -v[168:169]
	v_add_f64_e32 v[168:169], v[144:145], v[142:143]
	v_add_f64_e32 v[182:183], v[182:183], v[184:185]
	ds_load_b128 v[4:7], v2 offset:1632
	ds_load_b128 v[142:145], v2 offset:1648
	v_fmac_f64_e32 v[186:187], v[152:153], v[130:131]
	v_fma_f64 v[130:131], v[150:151], v[130:131], -v[132:133]
	s_wait_loadcnt_dscnt 0x901
	v_mul_f64_e32 v[184:185], v[4:5], v[176:177]
	v_mul_f64_e32 v[176:177], v[6:7], v[176:177]
	s_wait_loadcnt_dscnt 0x800
	v_mul_f64_e32 v[152:153], v[142:143], v[128:129]
	v_add_f64_e32 v[132:133], v[168:169], v[166:167]
	v_add_f64_e32 v[150:151], v[182:183], v[188:189]
	v_mul_f64_e32 v[166:167], v[144:145], v[128:129]
	v_fmac_f64_e32 v[184:185], v[6:7], v[174:175]
	v_fma_f64 v[168:169], v[4:5], v[174:175], -v[176:177]
	v_fmac_f64_e32 v[152:153], v[144:145], v[126:127]
	v_add_f64_e32 v[132:133], v[132:133], v[130:131]
	v_add_f64_e32 v[150:151], v[150:151], v[186:187]
	ds_load_b128 v[4:7], v2 offset:1664
	ds_load_b128 v[128:131], v2 offset:1680
	v_fma_f64 v[126:127], v[142:143], v[126:127], -v[166:167]
	s_wait_loadcnt_dscnt 0x701
	v_mul_f64_e32 v[174:175], v[4:5], v[156:157]
	v_mul_f64_e32 v[156:157], v[6:7], v[156:157]
	v_add_f64_e32 v[132:133], v[132:133], v[168:169]
	v_add_f64_e32 v[142:143], v[150:151], v[184:185]
	s_wait_loadcnt_dscnt 0x600
	v_mul_f64_e32 v[150:151], v[128:129], v[136:137]
	v_mul_f64_e32 v[136:137], v[130:131], v[136:137]
	v_fmac_f64_e32 v[174:175], v[6:7], v[154:155]
	v_fma_f64 v[154:155], v[4:5], v[154:155], -v[156:157]
	v_add_f64_e32 v[126:127], v[132:133], v[126:127]
	v_add_f64_e32 v[132:133], v[142:143], v[152:153]
	ds_load_b128 v[4:7], v2 offset:1696
	ds_load_b128 v[142:145], v2 offset:1712
	v_fmac_f64_e32 v[150:151], v[130:131], v[134:135]
	v_fma_f64 v[128:129], v[128:129], v[134:135], -v[136:137]
	s_wait_loadcnt_dscnt 0x501
	v_mul_f64_e32 v[152:153], v[4:5], v[160:161]
	v_mul_f64_e32 v[156:157], v[6:7], v[160:161]
	s_wait_loadcnt_dscnt 0x400
	v_mul_f64_e32 v[134:135], v[144:145], v[140:141]
	v_add_f64_e32 v[126:127], v[126:127], v[154:155]
	v_add_f64_e32 v[130:131], v[132:133], v[174:175]
	v_mul_f64_e32 v[132:133], v[142:143], v[140:141]
	v_fmac_f64_e32 v[152:153], v[6:7], v[158:159]
	v_fma_f64 v[136:137], v[4:5], v[158:159], -v[156:157]
	v_fma_f64 v[134:135], v[142:143], v[138:139], -v[134:135]
	v_add_f64_e32 v[140:141], v[126:127], v[128:129]
	v_add_f64_e32 v[130:131], v[130:131], v[150:151]
	ds_load_b128 v[4:7], v2 offset:1728
	ds_load_b128 v[126:129], v2 offset:1744
	v_fmac_f64_e32 v[132:133], v[144:145], v[138:139]
	s_wait_loadcnt_dscnt 0x301
	v_mul_f64_e32 v[150:151], v[4:5], v[164:165]
	v_mul_f64_e32 v[154:155], v[6:7], v[164:165]
	s_wait_loadcnt_dscnt 0x200
	v_mul_f64_e32 v[138:139], v[126:127], v[148:149]
	v_add_f64_e32 v[136:137], v[140:141], v[136:137]
	v_add_f64_e32 v[130:131], v[130:131], v[152:153]
	v_mul_f64_e32 v[140:141], v[128:129], v[148:149]
	v_fmac_f64_e32 v[150:151], v[6:7], v[162:163]
	v_fma_f64 v[142:143], v[4:5], v[162:163], -v[154:155]
	v_fmac_f64_e32 v[138:139], v[128:129], v[146:147]
	v_add_f64_e32 v[134:135], v[136:137], v[134:135]
	v_add_f64_e32 v[136:137], v[130:131], v[132:133]
	ds_load_b128 v[4:7], v2 offset:1760
	ds_load_b128 v[130:133], v2 offset:1776
	v_fma_f64 v[126:127], v[126:127], v[146:147], -v[140:141]
	s_wait_loadcnt_dscnt 0x101
	v_mul_f64_e32 v[2:3], v[4:5], v[180:181]
	v_mul_f64_e32 v[144:145], v[6:7], v[180:181]
	v_add_f64_e32 v[128:129], v[134:135], v[142:143]
	v_add_f64_e32 v[134:135], v[136:137], v[150:151]
	s_wait_loadcnt_dscnt 0x0
	v_mul_f64_e32 v[136:137], v[130:131], v[10:11]
	v_mul_f64_e32 v[10:11], v[132:133], v[10:11]
	v_fmac_f64_e32 v[2:3], v[6:7], v[178:179]
	v_fma_f64 v[4:5], v[4:5], v[178:179], -v[144:145]
	v_add_f64_e32 v[6:7], v[128:129], v[126:127]
	v_add_f64_e32 v[126:127], v[134:135], v[138:139]
	v_fmac_f64_e32 v[136:137], v[132:133], v[8:9]
	v_fma_f64 v[8:9], v[130:131], v[8:9], -v[10:11]
	s_delay_alu instid0(VALU_DEP_4) | instskip(NEXT) | instid1(VALU_DEP_4)
	v_add_f64_e32 v[4:5], v[6:7], v[4:5]
	v_add_f64_e32 v[2:3], v[126:127], v[2:3]
	s_delay_alu instid0(VALU_DEP_2) | instskip(NEXT) | instid1(VALU_DEP_2)
	v_add_f64_e32 v[4:5], v[4:5], v[8:9]
	v_add_f64_e32 v[6:7], v[2:3], v[136:137]
	s_delay_alu instid0(VALU_DEP_2) | instskip(NEXT) | instid1(VALU_DEP_2)
	v_add_f64_e64 v[2:3], v[170:171], -v[4:5]
	v_add_f64_e64 v[4:5], v[172:173], -v[6:7]
	scratch_store_b128 off, v[2:5], off offset:80
	s_wait_xcnt 0x0
	v_cmpx_lt_u32_e32 4, v1
	s_cbranch_execz .LBB55_341
; %bb.340:
	scratch_load_b128 v[2:5], off, s49
	v_mov_b32_e32 v6, 0
	s_delay_alu instid0(VALU_DEP_1)
	v_dual_mov_b32 v7, v6 :: v_dual_mov_b32 v8, v6
	v_mov_b32_e32 v9, v6
	scratch_store_b128 off, v[6:9], off offset:64
	s_wait_loadcnt 0x0
	ds_store_b128 v12, v[2:5]
.LBB55_341:
	s_wait_xcnt 0x0
	s_or_b32 exec_lo, exec_lo, s2
	s_wait_storecnt_dscnt 0x0
	s_barrier_signal -1
	s_barrier_wait -1
	s_clause 0x9
	scratch_load_b128 v[4:7], off, off offset:80
	scratch_load_b128 v[8:11], off, off offset:96
	;; [unrolled: 1-line block ×10, first 2 shown]
	v_mov_b32_e32 v2, 0
	s_mov_b32 s2, exec_lo
	ds_load_b128 v[158:161], v2 offset:976
	s_clause 0x2
	scratch_load_b128 v[162:165], off, off offset:240
	scratch_load_b128 v[166:169], off, off offset:64
	;; [unrolled: 1-line block ×3, first 2 shown]
	s_wait_loadcnt_dscnt 0xc00
	v_mul_f64_e32 v[178:179], v[160:161], v[6:7]
	v_mul_f64_e32 v[182:183], v[158:159], v[6:7]
	ds_load_b128 v[170:173], v2 offset:992
	v_fma_f64 v[186:187], v[158:159], v[4:5], -v[178:179]
	v_fmac_f64_e32 v[182:183], v[160:161], v[4:5]
	ds_load_b128 v[4:7], v2 offset:1008
	s_wait_loadcnt_dscnt 0xb01
	v_mul_f64_e32 v[184:185], v[170:171], v[10:11]
	v_mul_f64_e32 v[10:11], v[172:173], v[10:11]
	scratch_load_b128 v[158:161], off, off offset:272
	ds_load_b128 v[178:181], v2 offset:1024
	s_wait_loadcnt_dscnt 0xb01
	v_mul_f64_e32 v[188:189], v[4:5], v[128:129]
	v_mul_f64_e32 v[128:129], v[6:7], v[128:129]
	v_add_f64_e32 v[182:183], 0, v[182:183]
	v_fmac_f64_e32 v[184:185], v[172:173], v[8:9]
	v_fma_f64 v[170:171], v[170:171], v[8:9], -v[10:11]
	v_add_f64_e32 v[172:173], 0, v[186:187]
	scratch_load_b128 v[8:11], off, off offset:288
	v_fmac_f64_e32 v[188:189], v[6:7], v[126:127]
	v_fma_f64 v[190:191], v[4:5], v[126:127], -v[128:129]
	ds_load_b128 v[4:7], v2 offset:1040
	s_wait_loadcnt_dscnt 0xb01
	v_mul_f64_e32 v[186:187], v[178:179], v[132:133]
	v_mul_f64_e32 v[132:133], v[180:181], v[132:133]
	scratch_load_b128 v[126:129], off, off offset:304
	v_add_f64_e32 v[182:183], v[182:183], v[184:185]
	v_add_f64_e32 v[192:193], v[172:173], v[170:171]
	ds_load_b128 v[170:173], v2 offset:1056
	s_wait_loadcnt_dscnt 0xb01
	v_mul_f64_e32 v[184:185], v[4:5], v[136:137]
	v_mul_f64_e32 v[136:137], v[6:7], v[136:137]
	v_fmac_f64_e32 v[186:187], v[180:181], v[130:131]
	v_fma_f64 v[178:179], v[178:179], v[130:131], -v[132:133]
	scratch_load_b128 v[130:133], off, off offset:320
	v_add_f64_e32 v[182:183], v[182:183], v[188:189]
	v_add_f64_e32 v[180:181], v[192:193], v[190:191]
	v_fmac_f64_e32 v[184:185], v[6:7], v[134:135]
	v_fma_f64 v[190:191], v[4:5], v[134:135], -v[136:137]
	ds_load_b128 v[4:7], v2 offset:1072
	s_wait_loadcnt_dscnt 0xb01
	v_mul_f64_e32 v[188:189], v[170:171], v[140:141]
	v_mul_f64_e32 v[140:141], v[172:173], v[140:141]
	scratch_load_b128 v[134:137], off, off offset:336
	v_add_f64_e32 v[182:183], v[182:183], v[186:187]
	s_wait_loadcnt_dscnt 0xb00
	v_mul_f64_e32 v[186:187], v[4:5], v[144:145]
	v_add_f64_e32 v[192:193], v[180:181], v[178:179]
	v_mul_f64_e32 v[144:145], v[6:7], v[144:145]
	ds_load_b128 v[178:181], v2 offset:1088
	v_fmac_f64_e32 v[188:189], v[172:173], v[138:139]
	v_fma_f64 v[170:171], v[170:171], v[138:139], -v[140:141]
	scratch_load_b128 v[138:141], off, off offset:352
	v_add_f64_e32 v[182:183], v[182:183], v[184:185]
	v_fmac_f64_e32 v[186:187], v[6:7], v[142:143]
	v_add_f64_e32 v[172:173], v[192:193], v[190:191]
	v_fma_f64 v[190:191], v[4:5], v[142:143], -v[144:145]
	ds_load_b128 v[4:7], v2 offset:1104
	s_wait_loadcnt_dscnt 0xb01
	v_mul_f64_e32 v[184:185], v[178:179], v[148:149]
	v_mul_f64_e32 v[148:149], v[180:181], v[148:149]
	scratch_load_b128 v[142:145], off, off offset:368
	v_add_f64_e32 v[182:183], v[182:183], v[188:189]
	s_wait_loadcnt_dscnt 0xb00
	v_mul_f64_e32 v[188:189], v[4:5], v[152:153]
	v_add_f64_e32 v[192:193], v[172:173], v[170:171]
	v_mul_f64_e32 v[152:153], v[6:7], v[152:153]
	ds_load_b128 v[170:173], v2 offset:1120
	v_fmac_f64_e32 v[184:185], v[180:181], v[146:147]
	v_fma_f64 v[178:179], v[178:179], v[146:147], -v[148:149]
	scratch_load_b128 v[146:149], off, off offset:384
	v_add_f64_e32 v[182:183], v[182:183], v[186:187]
	v_fmac_f64_e32 v[188:189], v[6:7], v[150:151]
	v_add_f64_e32 v[180:181], v[192:193], v[190:191]
	;; [unrolled: 18-line block ×3, first 2 shown]
	v_fma_f64 v[190:191], v[4:5], v[162:163], -v[164:165]
	ds_load_b128 v[4:7], v2 offset:1168
	s_wait_loadcnt_dscnt 0xa01
	v_mul_f64_e32 v[188:189], v[178:179], v[176:177]
	v_mul_f64_e32 v[176:177], v[180:181], v[176:177]
	scratch_load_b128 v[162:165], off, off offset:432
	v_add_f64_e32 v[182:183], v[182:183], v[186:187]
	v_add_f64_e32 v[192:193], v[172:173], v[170:171]
	s_wait_loadcnt_dscnt 0xa00
	v_mul_f64_e32 v[186:187], v[4:5], v[160:161]
	v_mul_f64_e32 v[160:161], v[6:7], v[160:161]
	v_fmac_f64_e32 v[188:189], v[180:181], v[174:175]
	v_fma_f64 v[178:179], v[178:179], v[174:175], -v[176:177]
	ds_load_b128 v[170:173], v2 offset:1184
	scratch_load_b128 v[174:177], off, off offset:448
	v_add_f64_e32 v[182:183], v[182:183], v[184:185]
	v_add_f64_e32 v[180:181], v[192:193], v[190:191]
	v_fmac_f64_e32 v[186:187], v[6:7], v[158:159]
	v_fma_f64 v[190:191], v[4:5], v[158:159], -v[160:161]
	ds_load_b128 v[4:7], v2 offset:1200
	s_wait_loadcnt_dscnt 0xa01
	v_mul_f64_e32 v[184:185], v[170:171], v[10:11]
	v_mul_f64_e32 v[10:11], v[172:173], v[10:11]
	scratch_load_b128 v[158:161], off, off offset:464
	v_add_f64_e32 v[182:183], v[182:183], v[188:189]
	s_wait_loadcnt_dscnt 0xa00
	v_mul_f64_e32 v[188:189], v[4:5], v[128:129]
	v_add_f64_e32 v[192:193], v[180:181], v[178:179]
	v_mul_f64_e32 v[128:129], v[6:7], v[128:129]
	ds_load_b128 v[178:181], v2 offset:1216
	v_fmac_f64_e32 v[184:185], v[172:173], v[8:9]
	v_fma_f64 v[170:171], v[170:171], v[8:9], -v[10:11]
	scratch_load_b128 v[8:11], off, off offset:480
	v_add_f64_e32 v[182:183], v[182:183], v[186:187]
	v_fmac_f64_e32 v[188:189], v[6:7], v[126:127]
	v_add_f64_e32 v[172:173], v[192:193], v[190:191]
	v_fma_f64 v[190:191], v[4:5], v[126:127], -v[128:129]
	ds_load_b128 v[4:7], v2 offset:1232
	s_wait_loadcnt_dscnt 0xa01
	v_mul_f64_e32 v[186:187], v[178:179], v[132:133]
	v_mul_f64_e32 v[132:133], v[180:181], v[132:133]
	scratch_load_b128 v[126:129], off, off offset:496
	v_add_f64_e32 v[182:183], v[182:183], v[184:185]
	s_wait_loadcnt_dscnt 0xa00
	v_mul_f64_e32 v[184:185], v[4:5], v[136:137]
	v_add_f64_e32 v[192:193], v[172:173], v[170:171]
	v_mul_f64_e32 v[136:137], v[6:7], v[136:137]
	ds_load_b128 v[170:173], v2 offset:1248
	v_fmac_f64_e32 v[186:187], v[180:181], v[130:131]
	v_fma_f64 v[178:179], v[178:179], v[130:131], -v[132:133]
	scratch_load_b128 v[130:133], off, off offset:512
	v_add_f64_e32 v[182:183], v[182:183], v[188:189]
	v_fmac_f64_e32 v[184:185], v[6:7], v[134:135]
	v_add_f64_e32 v[180:181], v[192:193], v[190:191]
	;; [unrolled: 18-line block ×13, first 2 shown]
	v_fma_f64 v[190:191], v[4:5], v[126:127], -v[128:129]
	ds_load_b128 v[4:7], v2 offset:1616
	s_wait_loadcnt_dscnt 0xa01
	v_mul_f64_e32 v[186:187], v[178:179], v[132:133]
	v_mul_f64_e32 v[132:133], v[180:181], v[132:133]
	scratch_load_b128 v[126:129], off, off offset:880
	v_add_f64_e32 v[182:183], v[182:183], v[184:185]
	s_wait_loadcnt_dscnt 0xa00
	v_mul_f64_e32 v[184:185], v[4:5], v[136:137]
	v_add_f64_e32 v[192:193], v[172:173], v[170:171]
	v_mul_f64_e32 v[136:137], v[6:7], v[136:137]
	ds_load_b128 v[170:173], v2 offset:1632
	v_fmac_f64_e32 v[186:187], v[180:181], v[130:131]
	v_fma_f64 v[130:131], v[178:179], v[130:131], -v[132:133]
	s_wait_loadcnt_dscnt 0x900
	v_mul_f64_e32 v[180:181], v[170:171], v[140:141]
	v_mul_f64_e32 v[140:141], v[172:173], v[140:141]
	v_add_f64_e32 v[178:179], v[182:183], v[188:189]
	v_fmac_f64_e32 v[184:185], v[6:7], v[134:135]
	v_add_f64_e32 v[132:133], v[192:193], v[190:191]
	v_fma_f64 v[134:135], v[4:5], v[134:135], -v[136:137]
	v_fmac_f64_e32 v[180:181], v[172:173], v[138:139]
	v_fma_f64 v[138:139], v[170:171], v[138:139], -v[140:141]
	v_add_f64_e32 v[178:179], v[178:179], v[186:187]
	v_add_f64_e32 v[136:137], v[132:133], v[130:131]
	ds_load_b128 v[4:7], v2 offset:1648
	ds_load_b128 v[130:133], v2 offset:1664
	s_wait_loadcnt_dscnt 0x801
	v_mul_f64_e32 v[182:183], v[4:5], v[144:145]
	v_mul_f64_e32 v[144:145], v[6:7], v[144:145]
	s_wait_loadcnt_dscnt 0x700
	v_mul_f64_e32 v[140:141], v[130:131], v[148:149]
	v_mul_f64_e32 v[148:149], v[132:133], v[148:149]
	v_add_f64_e32 v[134:135], v[136:137], v[134:135]
	v_add_f64_e32 v[136:137], v[178:179], v[184:185]
	v_fmac_f64_e32 v[182:183], v[6:7], v[142:143]
	v_fma_f64 v[142:143], v[4:5], v[142:143], -v[144:145]
	v_fmac_f64_e32 v[140:141], v[132:133], v[146:147]
	v_fma_f64 v[130:131], v[130:131], v[146:147], -v[148:149]
	v_add_f64_e32 v[138:139], v[134:135], v[138:139]
	v_add_f64_e32 v[144:145], v[136:137], v[180:181]
	ds_load_b128 v[4:7], v2 offset:1680
	ds_load_b128 v[134:137], v2 offset:1696
	s_wait_loadcnt_dscnt 0x601
	v_mul_f64_e32 v[170:171], v[4:5], v[152:153]
	v_mul_f64_e32 v[152:153], v[6:7], v[152:153]
	v_add_f64_e32 v[132:133], v[138:139], v[142:143]
	v_add_f64_e32 v[138:139], v[144:145], v[182:183]
	s_wait_loadcnt_dscnt 0x500
	v_mul_f64_e32 v[142:143], v[134:135], v[156:157]
	v_mul_f64_e32 v[144:145], v[136:137], v[156:157]
	v_fmac_f64_e32 v[170:171], v[6:7], v[150:151]
	v_fma_f64 v[146:147], v[4:5], v[150:151], -v[152:153]
	v_add_f64_e32 v[148:149], v[132:133], v[130:131]
	v_add_f64_e32 v[138:139], v[138:139], v[140:141]
	ds_load_b128 v[4:7], v2 offset:1712
	ds_load_b128 v[130:133], v2 offset:1728
	v_fmac_f64_e32 v[142:143], v[136:137], v[154:155]
	v_fma_f64 v[134:135], v[134:135], v[154:155], -v[144:145]
	s_wait_loadcnt_dscnt 0x401
	v_mul_f64_e32 v[140:141], v[4:5], v[164:165]
	v_mul_f64_e32 v[150:151], v[6:7], v[164:165]
	s_wait_loadcnt_dscnt 0x300
	v_mul_f64_e32 v[144:145], v[130:131], v[176:177]
	v_add_f64_e32 v[136:137], v[148:149], v[146:147]
	v_add_f64_e32 v[138:139], v[138:139], v[170:171]
	v_mul_f64_e32 v[146:147], v[132:133], v[176:177]
	v_fmac_f64_e32 v[140:141], v[6:7], v[162:163]
	v_fma_f64 v[148:149], v[4:5], v[162:163], -v[150:151]
	v_fmac_f64_e32 v[144:145], v[132:133], v[174:175]
	v_add_f64_e32 v[150:151], v[136:137], v[134:135]
	v_add_f64_e32 v[138:139], v[138:139], v[142:143]
	ds_load_b128 v[4:7], v2 offset:1744
	ds_load_b128 v[134:137], v2 offset:1760
	v_fma_f64 v[130:131], v[130:131], v[174:175], -v[146:147]
	s_wait_loadcnt_dscnt 0x201
	v_mul_f64_e32 v[142:143], v[4:5], v[160:161]
	v_mul_f64_e32 v[152:153], v[6:7], v[160:161]
	v_add_f64_e32 v[132:133], v[150:151], v[148:149]
	v_add_f64_e32 v[138:139], v[138:139], v[140:141]
	s_wait_loadcnt_dscnt 0x100
	v_mul_f64_e32 v[140:141], v[134:135], v[10:11]
	v_mul_f64_e32 v[10:11], v[136:137], v[10:11]
	v_fmac_f64_e32 v[142:143], v[6:7], v[158:159]
	v_fma_f64 v[146:147], v[4:5], v[158:159], -v[152:153]
	ds_load_b128 v[4:7], v2 offset:1776
	v_add_f64_e32 v[130:131], v[132:133], v[130:131]
	v_add_f64_e32 v[132:133], v[138:139], v[144:145]
	v_fmac_f64_e32 v[140:141], v[136:137], v[8:9]
	v_fma_f64 v[8:9], v[134:135], v[8:9], -v[10:11]
	s_wait_loadcnt_dscnt 0x0
	v_mul_f64_e32 v[138:139], v[4:5], v[128:129]
	v_mul_f64_e32 v[128:129], v[6:7], v[128:129]
	v_add_f64_e32 v[10:11], v[130:131], v[146:147]
	v_add_f64_e32 v[130:131], v[132:133], v[142:143]
	s_delay_alu instid0(VALU_DEP_4) | instskip(NEXT) | instid1(VALU_DEP_4)
	v_fmac_f64_e32 v[138:139], v[6:7], v[126:127]
	v_fma_f64 v[4:5], v[4:5], v[126:127], -v[128:129]
	s_delay_alu instid0(VALU_DEP_4) | instskip(NEXT) | instid1(VALU_DEP_4)
	v_add_f64_e32 v[6:7], v[10:11], v[8:9]
	v_add_f64_e32 v[8:9], v[130:131], v[140:141]
	s_delay_alu instid0(VALU_DEP_2) | instskip(NEXT) | instid1(VALU_DEP_2)
	v_add_f64_e32 v[4:5], v[6:7], v[4:5]
	v_add_f64_e32 v[6:7], v[8:9], v[138:139]
	s_delay_alu instid0(VALU_DEP_2) | instskip(NEXT) | instid1(VALU_DEP_2)
	v_add_f64_e64 v[4:5], v[166:167], -v[4:5]
	v_add_f64_e64 v[6:7], v[168:169], -v[6:7]
	scratch_store_b128 off, v[4:7], off offset:64
	s_wait_xcnt 0x0
	v_cmpx_lt_u32_e32 3, v1
	s_cbranch_execz .LBB55_343
; %bb.342:
	scratch_load_b128 v[6:9], off, s50
	v_dual_mov_b32 v3, v2 :: v_dual_mov_b32 v4, v2
	v_mov_b32_e32 v5, v2
	scratch_store_b128 off, v[2:5], off offset:48
	s_wait_loadcnt 0x0
	ds_store_b128 v12, v[6:9]
.LBB55_343:
	s_wait_xcnt 0x0
	s_or_b32 exec_lo, exec_lo, s2
	s_wait_storecnt_dscnt 0x0
	s_barrier_signal -1
	s_barrier_wait -1
	s_clause 0x9
	scratch_load_b128 v[4:7], off, off offset:64
	scratch_load_b128 v[8:11], off, off offset:80
	;; [unrolled: 1-line block ×10, first 2 shown]
	ds_load_b128 v[158:161], v2 offset:960
	ds_load_b128 v[166:169], v2 offset:976
	s_clause 0x2
	scratch_load_b128 v[162:165], off, off offset:224
	scratch_load_b128 v[170:173], off, off offset:48
	;; [unrolled: 1-line block ×3, first 2 shown]
	s_mov_b32 s2, exec_lo
	s_wait_loadcnt_dscnt 0xc01
	v_mul_f64_e32 v[178:179], v[160:161], v[6:7]
	v_mul_f64_e32 v[182:183], v[158:159], v[6:7]
	s_wait_loadcnt_dscnt 0xb00
	v_mul_f64_e32 v[184:185], v[166:167], v[10:11]
	v_mul_f64_e32 v[10:11], v[168:169], v[10:11]
	s_delay_alu instid0(VALU_DEP_4) | instskip(NEXT) | instid1(VALU_DEP_4)
	v_fma_f64 v[186:187], v[158:159], v[4:5], -v[178:179]
	v_fmac_f64_e32 v[182:183], v[160:161], v[4:5]
	ds_load_b128 v[4:7], v2 offset:992
	ds_load_b128 v[158:161], v2 offset:1008
	scratch_load_b128 v[178:181], off, off offset:256
	v_fmac_f64_e32 v[184:185], v[168:169], v[8:9]
	v_fma_f64 v[166:167], v[166:167], v[8:9], -v[10:11]
	scratch_load_b128 v[8:11], off, off offset:272
	s_wait_loadcnt_dscnt 0xc01
	v_mul_f64_e32 v[188:189], v[4:5], v[128:129]
	v_mul_f64_e32 v[128:129], v[6:7], v[128:129]
	v_add_f64_e32 v[168:169], 0, v[186:187]
	v_add_f64_e32 v[182:183], 0, v[182:183]
	s_wait_loadcnt_dscnt 0xb00
	v_mul_f64_e32 v[186:187], v[158:159], v[132:133]
	v_mul_f64_e32 v[132:133], v[160:161], v[132:133]
	v_fmac_f64_e32 v[188:189], v[6:7], v[126:127]
	v_fma_f64 v[190:191], v[4:5], v[126:127], -v[128:129]
	ds_load_b128 v[4:7], v2 offset:1024
	ds_load_b128 v[126:129], v2 offset:1040
	v_add_f64_e32 v[192:193], v[168:169], v[166:167]
	v_add_f64_e32 v[182:183], v[182:183], v[184:185]
	scratch_load_b128 v[166:169], off, off offset:288
	v_fmac_f64_e32 v[186:187], v[160:161], v[130:131]
	v_fma_f64 v[158:159], v[158:159], v[130:131], -v[132:133]
	scratch_load_b128 v[130:133], off, off offset:304
	s_wait_loadcnt_dscnt 0xc01
	v_mul_f64_e32 v[184:185], v[4:5], v[136:137]
	v_mul_f64_e32 v[136:137], v[6:7], v[136:137]
	v_add_f64_e32 v[160:161], v[192:193], v[190:191]
	v_add_f64_e32 v[182:183], v[182:183], v[188:189]
	s_wait_loadcnt_dscnt 0xb00
	v_mul_f64_e32 v[188:189], v[126:127], v[140:141]
	v_mul_f64_e32 v[140:141], v[128:129], v[140:141]
	v_fmac_f64_e32 v[184:185], v[6:7], v[134:135]
	v_fma_f64 v[190:191], v[4:5], v[134:135], -v[136:137]
	ds_load_b128 v[4:7], v2 offset:1056
	ds_load_b128 v[134:137], v2 offset:1072
	v_add_f64_e32 v[192:193], v[160:161], v[158:159]
	v_add_f64_e32 v[182:183], v[182:183], v[186:187]
	scratch_load_b128 v[158:161], off, off offset:320
	s_wait_loadcnt_dscnt 0xb01
	v_mul_f64_e32 v[186:187], v[4:5], v[144:145]
	v_mul_f64_e32 v[144:145], v[6:7], v[144:145]
	v_fmac_f64_e32 v[188:189], v[128:129], v[138:139]
	v_fma_f64 v[138:139], v[126:127], v[138:139], -v[140:141]
	scratch_load_b128 v[126:129], off, off offset:336
	v_add_f64_e32 v[140:141], v[192:193], v[190:191]
	v_add_f64_e32 v[182:183], v[182:183], v[184:185]
	s_wait_loadcnt_dscnt 0xb00
	v_mul_f64_e32 v[184:185], v[134:135], v[148:149]
	v_mul_f64_e32 v[148:149], v[136:137], v[148:149]
	v_fmac_f64_e32 v[186:187], v[6:7], v[142:143]
	v_fma_f64 v[190:191], v[4:5], v[142:143], -v[144:145]
	v_add_f64_e32 v[192:193], v[140:141], v[138:139]
	v_add_f64_e32 v[182:183], v[182:183], v[188:189]
	ds_load_b128 v[4:7], v2 offset:1088
	ds_load_b128 v[138:141], v2 offset:1104
	scratch_load_b128 v[142:145], off, off offset:352
	v_fmac_f64_e32 v[184:185], v[136:137], v[146:147]
	v_fma_f64 v[146:147], v[134:135], v[146:147], -v[148:149]
	scratch_load_b128 v[134:137], off, off offset:368
	s_wait_loadcnt_dscnt 0xc01
	v_mul_f64_e32 v[188:189], v[4:5], v[152:153]
	v_mul_f64_e32 v[152:153], v[6:7], v[152:153]
	v_add_f64_e32 v[148:149], v[192:193], v[190:191]
	v_add_f64_e32 v[182:183], v[182:183], v[186:187]
	s_wait_loadcnt_dscnt 0xb00
	v_mul_f64_e32 v[186:187], v[138:139], v[156:157]
	v_mul_f64_e32 v[156:157], v[140:141], v[156:157]
	v_fmac_f64_e32 v[188:189], v[6:7], v[150:151]
	v_fma_f64 v[190:191], v[4:5], v[150:151], -v[152:153]
	v_add_f64_e32 v[192:193], v[148:149], v[146:147]
	v_add_f64_e32 v[182:183], v[182:183], v[184:185]
	ds_load_b128 v[4:7], v2 offset:1120
	ds_load_b128 v[146:149], v2 offset:1136
	scratch_load_b128 v[150:153], off, off offset:384
	v_fmac_f64_e32 v[186:187], v[140:141], v[154:155]
	v_fma_f64 v[154:155], v[138:139], v[154:155], -v[156:157]
	scratch_load_b128 v[138:141], off, off offset:400
	s_wait_loadcnt_dscnt 0xc01
	v_mul_f64_e32 v[184:185], v[4:5], v[164:165]
	v_mul_f64_e32 v[164:165], v[6:7], v[164:165]
	v_add_f64_e32 v[156:157], v[192:193], v[190:191]
	v_add_f64_e32 v[182:183], v[182:183], v[188:189]
	s_wait_loadcnt_dscnt 0xa00
	v_mul_f64_e32 v[188:189], v[146:147], v[176:177]
	v_mul_f64_e32 v[176:177], v[148:149], v[176:177]
	v_fmac_f64_e32 v[184:185], v[6:7], v[162:163]
	v_fma_f64 v[190:191], v[4:5], v[162:163], -v[164:165]
	v_add_f64_e32 v[192:193], v[156:157], v[154:155]
	v_add_f64_e32 v[182:183], v[182:183], v[186:187]
	ds_load_b128 v[4:7], v2 offset:1152
	ds_load_b128 v[154:157], v2 offset:1168
	scratch_load_b128 v[162:165], off, off offset:416
	v_fmac_f64_e32 v[188:189], v[148:149], v[174:175]
	v_fma_f64 v[174:175], v[146:147], v[174:175], -v[176:177]
	scratch_load_b128 v[146:149], off, off offset:432
	s_wait_loadcnt_dscnt 0xb01
	v_mul_f64_e32 v[186:187], v[4:5], v[180:181]
	v_mul_f64_e32 v[180:181], v[6:7], v[180:181]
	v_add_f64_e32 v[176:177], v[192:193], v[190:191]
	v_add_f64_e32 v[182:183], v[182:183], v[184:185]
	s_wait_loadcnt_dscnt 0xa00
	v_mul_f64_e32 v[184:185], v[154:155], v[10:11]
	v_mul_f64_e32 v[10:11], v[156:157], v[10:11]
	v_fmac_f64_e32 v[186:187], v[6:7], v[178:179]
	v_fma_f64 v[190:191], v[4:5], v[178:179], -v[180:181]
	v_add_f64_e32 v[192:193], v[176:177], v[174:175]
	v_add_f64_e32 v[182:183], v[182:183], v[188:189]
	ds_load_b128 v[4:7], v2 offset:1184
	ds_load_b128 v[174:177], v2 offset:1200
	scratch_load_b128 v[178:181], off, off offset:448
	v_fmac_f64_e32 v[184:185], v[156:157], v[8:9]
	v_fma_f64 v[154:155], v[154:155], v[8:9], -v[10:11]
	scratch_load_b128 v[8:11], off, off offset:464
	s_wait_loadcnt_dscnt 0xb01
	v_mul_f64_e32 v[188:189], v[4:5], v[168:169]
	v_mul_f64_e32 v[168:169], v[6:7], v[168:169]
	v_add_f64_e32 v[156:157], v[192:193], v[190:191]
	v_add_f64_e32 v[182:183], v[182:183], v[186:187]
	s_wait_loadcnt_dscnt 0xa00
	v_mul_f64_e32 v[186:187], v[174:175], v[132:133]
	v_mul_f64_e32 v[132:133], v[176:177], v[132:133]
	v_fmac_f64_e32 v[188:189], v[6:7], v[166:167]
	v_fma_f64 v[190:191], v[4:5], v[166:167], -v[168:169]
	v_add_f64_e32 v[192:193], v[156:157], v[154:155]
	v_add_f64_e32 v[182:183], v[182:183], v[184:185]
	ds_load_b128 v[4:7], v2 offset:1216
	ds_load_b128 v[154:157], v2 offset:1232
	scratch_load_b128 v[166:169], off, off offset:480
	v_fmac_f64_e32 v[186:187], v[176:177], v[130:131]
	v_fma_f64 v[174:175], v[174:175], v[130:131], -v[132:133]
	scratch_load_b128 v[130:133], off, off offset:496
	s_wait_loadcnt_dscnt 0xb01
	v_mul_f64_e32 v[184:185], v[4:5], v[160:161]
	v_mul_f64_e32 v[160:161], v[6:7], v[160:161]
	v_add_f64_e32 v[176:177], v[192:193], v[190:191]
	v_add_f64_e32 v[182:183], v[182:183], v[188:189]
	s_wait_loadcnt_dscnt 0xa00
	v_mul_f64_e32 v[188:189], v[154:155], v[128:129]
	v_mul_f64_e32 v[128:129], v[156:157], v[128:129]
	v_fmac_f64_e32 v[184:185], v[6:7], v[158:159]
	v_fma_f64 v[190:191], v[4:5], v[158:159], -v[160:161]
	ds_load_b128 v[4:7], v2 offset:1248
	ds_load_b128 v[158:161], v2 offset:1264
	v_add_f64_e32 v[192:193], v[176:177], v[174:175]
	v_add_f64_e32 v[182:183], v[182:183], v[186:187]
	scratch_load_b128 v[174:177], off, off offset:512
	v_fmac_f64_e32 v[188:189], v[156:157], v[126:127]
	v_fma_f64 v[154:155], v[154:155], v[126:127], -v[128:129]
	scratch_load_b128 v[126:129], off, off offset:528
	s_wait_loadcnt_dscnt 0xb01
	v_mul_f64_e32 v[186:187], v[4:5], v[144:145]
	v_mul_f64_e32 v[144:145], v[6:7], v[144:145]
	v_add_f64_e32 v[156:157], v[192:193], v[190:191]
	v_add_f64_e32 v[182:183], v[182:183], v[184:185]
	s_wait_loadcnt_dscnt 0xa00
	v_mul_f64_e32 v[184:185], v[158:159], v[136:137]
	v_mul_f64_e32 v[136:137], v[160:161], v[136:137]
	v_fmac_f64_e32 v[186:187], v[6:7], v[142:143]
	v_fma_f64 v[190:191], v[4:5], v[142:143], -v[144:145]
	ds_load_b128 v[4:7], v2 offset:1280
	ds_load_b128 v[142:145], v2 offset:1296
	v_add_f64_e32 v[192:193], v[156:157], v[154:155]
	v_add_f64_e32 v[182:183], v[182:183], v[188:189]
	scratch_load_b128 v[154:157], off, off offset:544
	s_wait_loadcnt_dscnt 0xa01
	v_mul_f64_e32 v[188:189], v[4:5], v[152:153]
	v_mul_f64_e32 v[152:153], v[6:7], v[152:153]
	v_fmac_f64_e32 v[184:185], v[160:161], v[134:135]
	v_fma_f64 v[158:159], v[158:159], v[134:135], -v[136:137]
	scratch_load_b128 v[134:137], off, off offset:560
	v_add_f64_e32 v[160:161], v[192:193], v[190:191]
	v_add_f64_e32 v[182:183], v[182:183], v[186:187]
	s_wait_loadcnt_dscnt 0xa00
	v_mul_f64_e32 v[186:187], v[142:143], v[140:141]
	v_mul_f64_e32 v[140:141], v[144:145], v[140:141]
	v_fmac_f64_e32 v[188:189], v[6:7], v[150:151]
	v_fma_f64 v[190:191], v[4:5], v[150:151], -v[152:153]
	ds_load_b128 v[4:7], v2 offset:1312
	ds_load_b128 v[150:153], v2 offset:1328
	v_add_f64_e32 v[192:193], v[160:161], v[158:159]
	v_add_f64_e32 v[182:183], v[182:183], v[184:185]
	scratch_load_b128 v[158:161], off, off offset:576
	s_wait_loadcnt_dscnt 0xa01
	v_mul_f64_e32 v[184:185], v[4:5], v[164:165]
	v_mul_f64_e32 v[164:165], v[6:7], v[164:165]
	v_fmac_f64_e32 v[186:187], v[144:145], v[138:139]
	v_fma_f64 v[142:143], v[142:143], v[138:139], -v[140:141]
	scratch_load_b128 v[138:141], off, off offset:592
	v_add_f64_e32 v[144:145], v[192:193], v[190:191]
	v_add_f64_e32 v[182:183], v[182:183], v[188:189]
	s_wait_loadcnt_dscnt 0xa00
	v_mul_f64_e32 v[188:189], v[150:151], v[148:149]
	v_mul_f64_e32 v[148:149], v[152:153], v[148:149]
	v_fmac_f64_e32 v[184:185], v[6:7], v[162:163]
	v_fma_f64 v[190:191], v[4:5], v[162:163], -v[164:165]
	v_add_f64_e32 v[192:193], v[144:145], v[142:143]
	v_add_f64_e32 v[182:183], v[182:183], v[186:187]
	ds_load_b128 v[4:7], v2 offset:1344
	ds_load_b128 v[142:145], v2 offset:1360
	scratch_load_b128 v[162:165], off, off offset:608
	v_fmac_f64_e32 v[188:189], v[152:153], v[146:147]
	v_fma_f64 v[150:151], v[150:151], v[146:147], -v[148:149]
	scratch_load_b128 v[146:149], off, off offset:624
	s_wait_loadcnt_dscnt 0xb01
	v_mul_f64_e32 v[186:187], v[4:5], v[180:181]
	v_mul_f64_e32 v[180:181], v[6:7], v[180:181]
	v_add_f64_e32 v[152:153], v[192:193], v[190:191]
	v_add_f64_e32 v[182:183], v[182:183], v[184:185]
	s_wait_loadcnt_dscnt 0xa00
	v_mul_f64_e32 v[184:185], v[142:143], v[10:11]
	v_mul_f64_e32 v[10:11], v[144:145], v[10:11]
	v_fmac_f64_e32 v[186:187], v[6:7], v[178:179]
	v_fma_f64 v[190:191], v[4:5], v[178:179], -v[180:181]
	v_add_f64_e32 v[192:193], v[152:153], v[150:151]
	v_add_f64_e32 v[182:183], v[182:183], v[188:189]
	ds_load_b128 v[4:7], v2 offset:1376
	ds_load_b128 v[150:153], v2 offset:1392
	scratch_load_b128 v[178:181], off, off offset:640
	v_fmac_f64_e32 v[184:185], v[144:145], v[8:9]
	v_fma_f64 v[142:143], v[142:143], v[8:9], -v[10:11]
	scratch_load_b128 v[8:11], off, off offset:656
	s_wait_loadcnt_dscnt 0xb01
	v_mul_f64_e32 v[188:189], v[4:5], v[168:169]
	v_mul_f64_e32 v[168:169], v[6:7], v[168:169]
	;; [unrolled: 18-line block ×9, first 2 shown]
	v_add_f64_e32 v[152:153], v[192:193], v[190:191]
	v_add_f64_e32 v[182:183], v[182:183], v[188:189]
	s_wait_loadcnt_dscnt 0xa00
	v_mul_f64_e32 v[188:189], v[142:143], v[128:129]
	v_mul_f64_e32 v[128:129], v[144:145], v[128:129]
	v_fmac_f64_e32 v[184:185], v[6:7], v[174:175]
	v_fma_f64 v[174:175], v[4:5], v[174:175], -v[176:177]
	v_add_f64_e32 v[176:177], v[152:153], v[150:151]
	v_add_f64_e32 v[182:183], v[182:183], v[186:187]
	ds_load_b128 v[4:7], v2 offset:1632
	ds_load_b128 v[150:153], v2 offset:1648
	v_fmac_f64_e32 v[188:189], v[144:145], v[126:127]
	v_fma_f64 v[126:127], v[142:143], v[126:127], -v[128:129]
	s_wait_loadcnt_dscnt 0x901
	v_mul_f64_e32 v[186:187], v[4:5], v[156:157]
	v_mul_f64_e32 v[156:157], v[6:7], v[156:157]
	s_wait_loadcnt_dscnt 0x800
	v_mul_f64_e32 v[144:145], v[150:151], v[136:137]
	v_mul_f64_e32 v[136:137], v[152:153], v[136:137]
	v_add_f64_e32 v[128:129], v[176:177], v[174:175]
	v_add_f64_e32 v[142:143], v[182:183], v[184:185]
	v_fmac_f64_e32 v[186:187], v[6:7], v[154:155]
	v_fma_f64 v[154:155], v[4:5], v[154:155], -v[156:157]
	v_fmac_f64_e32 v[144:145], v[152:153], v[134:135]
	v_fma_f64 v[134:135], v[150:151], v[134:135], -v[136:137]
	v_add_f64_e32 v[156:157], v[128:129], v[126:127]
	v_add_f64_e32 v[142:143], v[142:143], v[188:189]
	ds_load_b128 v[4:7], v2 offset:1664
	ds_load_b128 v[126:129], v2 offset:1680
	s_wait_loadcnt_dscnt 0x701
	v_mul_f64_e32 v[174:175], v[4:5], v[160:161]
	v_mul_f64_e32 v[160:161], v[6:7], v[160:161]
	s_wait_loadcnt_dscnt 0x600
	v_mul_f64_e32 v[150:151], v[126:127], v[140:141]
	v_mul_f64_e32 v[140:141], v[128:129], v[140:141]
	v_add_f64_e32 v[136:137], v[156:157], v[154:155]
	v_add_f64_e32 v[142:143], v[142:143], v[186:187]
	v_fmac_f64_e32 v[174:175], v[6:7], v[158:159]
	v_fma_f64 v[152:153], v[4:5], v[158:159], -v[160:161]
	v_fmac_f64_e32 v[150:151], v[128:129], v[138:139]
	v_fma_f64 v[126:127], v[126:127], v[138:139], -v[140:141]
	v_add_f64_e32 v[154:155], v[136:137], v[134:135]
	v_add_f64_e32 v[142:143], v[142:143], v[144:145]
	ds_load_b128 v[4:7], v2 offset:1696
	ds_load_b128 v[134:137], v2 offset:1712
	s_wait_loadcnt_dscnt 0x501
	v_mul_f64_e32 v[144:145], v[4:5], v[164:165]
	v_mul_f64_e32 v[156:157], v[6:7], v[164:165]
	s_wait_loadcnt_dscnt 0x400
	v_mul_f64_e32 v[140:141], v[134:135], v[148:149]
	v_add_f64_e32 v[128:129], v[154:155], v[152:153]
	v_add_f64_e32 v[138:139], v[142:143], v[174:175]
	v_mul_f64_e32 v[142:143], v[136:137], v[148:149]
	v_fmac_f64_e32 v[144:145], v[6:7], v[162:163]
	v_fma_f64 v[148:149], v[4:5], v[162:163], -v[156:157]
	v_fmac_f64_e32 v[140:141], v[136:137], v[146:147]
	v_add_f64_e32 v[152:153], v[128:129], v[126:127]
	v_add_f64_e32 v[138:139], v[138:139], v[150:151]
	ds_load_b128 v[4:7], v2 offset:1728
	ds_load_b128 v[126:129], v2 offset:1744
	v_fma_f64 v[134:135], v[134:135], v[146:147], -v[142:143]
	s_wait_loadcnt_dscnt 0x301
	v_mul_f64_e32 v[150:151], v[4:5], v[180:181]
	v_mul_f64_e32 v[154:155], v[6:7], v[180:181]
	s_wait_loadcnt_dscnt 0x200
	v_mul_f64_e32 v[142:143], v[126:127], v[10:11]
	v_mul_f64_e32 v[10:11], v[128:129], v[10:11]
	v_add_f64_e32 v[136:137], v[152:153], v[148:149]
	v_add_f64_e32 v[138:139], v[138:139], v[144:145]
	v_fmac_f64_e32 v[150:151], v[6:7], v[178:179]
	v_fma_f64 v[144:145], v[4:5], v[178:179], -v[154:155]
	v_fmac_f64_e32 v[142:143], v[128:129], v[8:9]
	v_fma_f64 v[8:9], v[126:127], v[8:9], -v[10:11]
	v_add_f64_e32 v[146:147], v[136:137], v[134:135]
	v_add_f64_e32 v[138:139], v[138:139], v[140:141]
	ds_load_b128 v[4:7], v2 offset:1760
	ds_load_b128 v[134:137], v2 offset:1776
	s_wait_loadcnt_dscnt 0x101
	v_mul_f64_e32 v[2:3], v[4:5], v[168:169]
	v_mul_f64_e32 v[140:141], v[6:7], v[168:169]
	s_wait_loadcnt_dscnt 0x0
	v_mul_f64_e32 v[128:129], v[134:135], v[132:133]
	v_mul_f64_e32 v[132:133], v[136:137], v[132:133]
	v_add_f64_e32 v[10:11], v[146:147], v[144:145]
	v_add_f64_e32 v[126:127], v[138:139], v[150:151]
	v_fmac_f64_e32 v[2:3], v[6:7], v[166:167]
	v_fma_f64 v[4:5], v[4:5], v[166:167], -v[140:141]
	v_fmac_f64_e32 v[128:129], v[136:137], v[130:131]
	v_add_f64_e32 v[6:7], v[10:11], v[8:9]
	v_add_f64_e32 v[8:9], v[126:127], v[142:143]
	v_fma_f64 v[10:11], v[134:135], v[130:131], -v[132:133]
	s_delay_alu instid0(VALU_DEP_3) | instskip(NEXT) | instid1(VALU_DEP_3)
	v_add_f64_e32 v[4:5], v[6:7], v[4:5]
	v_add_f64_e32 v[2:3], v[8:9], v[2:3]
	s_delay_alu instid0(VALU_DEP_2) | instskip(NEXT) | instid1(VALU_DEP_2)
	v_add_f64_e32 v[4:5], v[4:5], v[10:11]
	v_add_f64_e32 v[6:7], v[2:3], v[128:129]
	s_delay_alu instid0(VALU_DEP_2) | instskip(NEXT) | instid1(VALU_DEP_2)
	v_add_f64_e64 v[2:3], v[170:171], -v[4:5]
	v_add_f64_e64 v[4:5], v[172:173], -v[6:7]
	scratch_store_b128 off, v[2:5], off offset:48
	s_wait_xcnt 0x0
	v_cmpx_lt_u32_e32 2, v1
	s_cbranch_execz .LBB55_345
; %bb.344:
	scratch_load_b128 v[2:5], off, s51
	v_mov_b32_e32 v6, 0
	s_delay_alu instid0(VALU_DEP_1)
	v_dual_mov_b32 v7, v6 :: v_dual_mov_b32 v8, v6
	v_mov_b32_e32 v9, v6
	scratch_store_b128 off, v[6:9], off offset:32
	s_wait_loadcnt 0x0
	ds_store_b128 v12, v[2:5]
.LBB55_345:
	s_wait_xcnt 0x0
	s_or_b32 exec_lo, exec_lo, s2
	s_wait_storecnt_dscnt 0x0
	s_barrier_signal -1
	s_barrier_wait -1
	s_clause 0x9
	scratch_load_b128 v[4:7], off, off offset:48
	scratch_load_b128 v[8:11], off, off offset:64
	;; [unrolled: 1-line block ×10, first 2 shown]
	v_mov_b32_e32 v2, 0
	s_mov_b32 s2, exec_lo
	v_dual_ashrrev_i32 v21, 31, v20 :: v_dual_ashrrev_i32 v19, 31, v18
	v_ashrrev_i32_e32 v25, 31, v24
	ds_load_b128 v[158:161], v2 offset:944
	s_clause 0x2
	scratch_load_b128 v[162:165], off, off offset:208
	scratch_load_b128 v[166:169], off, off offset:32
	;; [unrolled: 1-line block ×3, first 2 shown]
	v_dual_ashrrev_i32 v29, 31, v28 :: v_dual_ashrrev_i32 v23, 31, v22
	v_ashrrev_i32_e32 v27, 31, v26
	v_dual_ashrrev_i32 v31, 31, v30 :: v_dual_ashrrev_i32 v33, 31, v32
	v_dual_ashrrev_i32 v37, 31, v36 :: v_dual_ashrrev_i32 v35, 31, v34
	;; [unrolled: 1-line block ×4, first 2 shown]
	v_ashrrev_i32_e32 v47, 31, v46
	v_dual_ashrrev_i32 v51, 31, v50 :: v_dual_ashrrev_i32 v49, 31, v48
	v_dual_ashrrev_i32 v53, 31, v52 :: v_dual_ashrrev_i32 v55, 31, v54
	v_dual_ashrrev_i32 v57, 31, v56 :: v_dual_ashrrev_i32 v59, 31, v58
	v_dual_ashrrev_i32 v63, 31, v62 :: v_dual_ashrrev_i32 v61, 31, v60
	v_dual_ashrrev_i32 v65, 31, v64 :: v_dual_ashrrev_i32 v67, 31, v66
	v_dual_ashrrev_i32 v71, 31, v70 :: v_dual_ashrrev_i32 v69, 31, v68
	v_dual_ashrrev_i32 v73, 31, v72 :: v_dual_ashrrev_i32 v75, 31, v74
	v_dual_ashrrev_i32 v77, 31, v76 :: v_dual_ashrrev_i32 v79, 31, v78
	v_dual_ashrrev_i32 v83, 31, v82 :: v_dual_ashrrev_i32 v81, 31, v80
	v_dual_ashrrev_i32 v87, 31, v86 :: v_dual_ashrrev_i32 v85, 31, v84
	v_ashrrev_i32_e32 v91, 31, v90
	v_dual_ashrrev_i32 v95, 31, v94 :: v_dual_ashrrev_i32 v89, 31, v88
	v_ashrrev_i32_e32 v93, 31, v92
	v_dual_ashrrev_i32 v97, 31, v96 :: v_dual_ashrrev_i32 v99, 31, v98
	v_dual_ashrrev_i32 v103, 31, v102 :: v_dual_ashrrev_i32 v101, 31, v100
	;; [unrolled: 1-line block ×3, first 2 shown]
	v_ashrrev_i32_e32 v111, 31, v110
	v_dual_ashrrev_i32 v115, 31, v114 :: v_dual_ashrrev_i32 v109, 31, v108
	v_dual_ashrrev_i32 v119, 31, v118 :: v_dual_ashrrev_i32 v113, 31, v112
	;; [unrolled: 1-line block ×3, first 2 shown]
	v_ashrrev_i32_e32 v121, 31, v120
	s_wait_loadcnt_dscnt 0xc00
	v_dual_mul_f64 v[178:179], v[160:161], v[6:7] :: v_dual_ashrrev_i32 v125, 31, v124
	v_mul_f64_e32 v[182:183], v[158:159], v[6:7]
	ds_load_b128 v[170:173], v2 offset:960
	v_fma_f64 v[186:187], v[158:159], v[4:5], -v[178:179]
	v_fmac_f64_e32 v[182:183], v[160:161], v[4:5]
	ds_load_b128 v[4:7], v2 offset:976
	s_wait_loadcnt_dscnt 0xb01
	v_mul_f64_e32 v[184:185], v[170:171], v[10:11]
	v_mul_f64_e32 v[10:11], v[172:173], v[10:11]
	scratch_load_b128 v[158:161], off, off offset:240
	ds_load_b128 v[178:181], v2 offset:992
	s_wait_loadcnt_dscnt 0xb01
	v_mul_f64_e32 v[188:189], v[4:5], v[128:129]
	v_mul_f64_e32 v[128:129], v[6:7], v[128:129]
	v_add_f64_e32 v[182:183], 0, v[182:183]
	v_fmac_f64_e32 v[184:185], v[172:173], v[8:9]
	v_fma_f64 v[170:171], v[170:171], v[8:9], -v[10:11]
	v_add_f64_e32 v[172:173], 0, v[186:187]
	scratch_load_b128 v[8:11], off, off offset:256
	v_fmac_f64_e32 v[188:189], v[6:7], v[126:127]
	v_fma_f64 v[190:191], v[4:5], v[126:127], -v[128:129]
	ds_load_b128 v[4:7], v2 offset:1008
	s_wait_loadcnt_dscnt 0xb01
	v_mul_f64_e32 v[186:187], v[178:179], v[132:133]
	v_mul_f64_e32 v[132:133], v[180:181], v[132:133]
	scratch_load_b128 v[126:129], off, off offset:272
	v_add_f64_e32 v[182:183], v[182:183], v[184:185]
	v_add_f64_e32 v[192:193], v[172:173], v[170:171]
	ds_load_b128 v[170:173], v2 offset:1024
	s_wait_loadcnt_dscnt 0xb01
	v_mul_f64_e32 v[184:185], v[4:5], v[136:137]
	v_mul_f64_e32 v[136:137], v[6:7], v[136:137]
	v_fmac_f64_e32 v[186:187], v[180:181], v[130:131]
	v_fma_f64 v[178:179], v[178:179], v[130:131], -v[132:133]
	scratch_load_b128 v[130:133], off, off offset:288
	v_add_f64_e32 v[182:183], v[182:183], v[188:189]
	v_add_f64_e32 v[180:181], v[192:193], v[190:191]
	v_fmac_f64_e32 v[184:185], v[6:7], v[134:135]
	v_fma_f64 v[190:191], v[4:5], v[134:135], -v[136:137]
	ds_load_b128 v[4:7], v2 offset:1040
	s_wait_loadcnt_dscnt 0xb01
	v_mul_f64_e32 v[188:189], v[170:171], v[140:141]
	v_mul_f64_e32 v[140:141], v[172:173], v[140:141]
	scratch_load_b128 v[134:137], off, off offset:304
	v_add_f64_e32 v[182:183], v[182:183], v[186:187]
	s_wait_loadcnt_dscnt 0xb00
	v_mul_f64_e32 v[186:187], v[4:5], v[144:145]
	v_add_f64_e32 v[192:193], v[180:181], v[178:179]
	v_mul_f64_e32 v[144:145], v[6:7], v[144:145]
	ds_load_b128 v[178:181], v2 offset:1056
	v_fmac_f64_e32 v[188:189], v[172:173], v[138:139]
	v_fma_f64 v[170:171], v[170:171], v[138:139], -v[140:141]
	scratch_load_b128 v[138:141], off, off offset:320
	v_add_f64_e32 v[182:183], v[182:183], v[184:185]
	v_fmac_f64_e32 v[186:187], v[6:7], v[142:143]
	v_add_f64_e32 v[172:173], v[192:193], v[190:191]
	v_fma_f64 v[190:191], v[4:5], v[142:143], -v[144:145]
	ds_load_b128 v[4:7], v2 offset:1072
	s_wait_loadcnt_dscnt 0xb01
	v_mul_f64_e32 v[184:185], v[178:179], v[148:149]
	v_mul_f64_e32 v[148:149], v[180:181], v[148:149]
	scratch_load_b128 v[142:145], off, off offset:336
	v_add_f64_e32 v[182:183], v[182:183], v[188:189]
	s_wait_loadcnt_dscnt 0xb00
	v_mul_f64_e32 v[188:189], v[4:5], v[152:153]
	v_add_f64_e32 v[192:193], v[172:173], v[170:171]
	v_mul_f64_e32 v[152:153], v[6:7], v[152:153]
	ds_load_b128 v[170:173], v2 offset:1088
	v_fmac_f64_e32 v[184:185], v[180:181], v[146:147]
	v_fma_f64 v[178:179], v[178:179], v[146:147], -v[148:149]
	scratch_load_b128 v[146:149], off, off offset:352
	v_add_f64_e32 v[182:183], v[182:183], v[186:187]
	v_fmac_f64_e32 v[188:189], v[6:7], v[150:151]
	v_add_f64_e32 v[180:181], v[192:193], v[190:191]
	;; [unrolled: 18-line block ×3, first 2 shown]
	v_fma_f64 v[190:191], v[4:5], v[162:163], -v[164:165]
	ds_load_b128 v[4:7], v2 offset:1136
	s_wait_loadcnt_dscnt 0xa01
	v_mul_f64_e32 v[188:189], v[178:179], v[176:177]
	v_mul_f64_e32 v[176:177], v[180:181], v[176:177]
	scratch_load_b128 v[162:165], off, off offset:400
	v_add_f64_e32 v[182:183], v[182:183], v[186:187]
	v_add_f64_e32 v[192:193], v[172:173], v[170:171]
	s_wait_loadcnt_dscnt 0xa00
	v_mul_f64_e32 v[186:187], v[4:5], v[160:161]
	v_mul_f64_e32 v[160:161], v[6:7], v[160:161]
	v_fmac_f64_e32 v[188:189], v[180:181], v[174:175]
	v_fma_f64 v[178:179], v[178:179], v[174:175], -v[176:177]
	ds_load_b128 v[170:173], v2 offset:1152
	scratch_load_b128 v[174:177], off, off offset:416
	v_add_f64_e32 v[182:183], v[182:183], v[184:185]
	v_add_f64_e32 v[180:181], v[192:193], v[190:191]
	v_fmac_f64_e32 v[186:187], v[6:7], v[158:159]
	v_fma_f64 v[190:191], v[4:5], v[158:159], -v[160:161]
	ds_load_b128 v[4:7], v2 offset:1168
	s_wait_loadcnt_dscnt 0xa01
	v_mul_f64_e32 v[184:185], v[170:171], v[10:11]
	v_mul_f64_e32 v[10:11], v[172:173], v[10:11]
	scratch_load_b128 v[158:161], off, off offset:432
	v_add_f64_e32 v[182:183], v[182:183], v[188:189]
	s_wait_loadcnt_dscnt 0xa00
	v_mul_f64_e32 v[188:189], v[4:5], v[128:129]
	v_add_f64_e32 v[192:193], v[180:181], v[178:179]
	v_mul_f64_e32 v[128:129], v[6:7], v[128:129]
	ds_load_b128 v[178:181], v2 offset:1184
	v_fmac_f64_e32 v[184:185], v[172:173], v[8:9]
	v_fma_f64 v[170:171], v[170:171], v[8:9], -v[10:11]
	scratch_load_b128 v[8:11], off, off offset:448
	v_add_f64_e32 v[182:183], v[182:183], v[186:187]
	v_fmac_f64_e32 v[188:189], v[6:7], v[126:127]
	v_add_f64_e32 v[172:173], v[192:193], v[190:191]
	v_fma_f64 v[190:191], v[4:5], v[126:127], -v[128:129]
	ds_load_b128 v[4:7], v2 offset:1200
	s_wait_loadcnt_dscnt 0xa01
	v_mul_f64_e32 v[186:187], v[178:179], v[132:133]
	v_mul_f64_e32 v[132:133], v[180:181], v[132:133]
	scratch_load_b128 v[126:129], off, off offset:464
	v_add_f64_e32 v[182:183], v[182:183], v[184:185]
	s_wait_loadcnt_dscnt 0xa00
	v_mul_f64_e32 v[184:185], v[4:5], v[136:137]
	v_add_f64_e32 v[192:193], v[172:173], v[170:171]
	v_mul_f64_e32 v[136:137], v[6:7], v[136:137]
	ds_load_b128 v[170:173], v2 offset:1216
	v_fmac_f64_e32 v[186:187], v[180:181], v[130:131]
	v_fma_f64 v[178:179], v[178:179], v[130:131], -v[132:133]
	scratch_load_b128 v[130:133], off, off offset:480
	v_add_f64_e32 v[182:183], v[182:183], v[188:189]
	v_fmac_f64_e32 v[184:185], v[6:7], v[134:135]
	v_add_f64_e32 v[180:181], v[192:193], v[190:191]
	;; [unrolled: 18-line block ×14, first 2 shown]
	v_fma_f64 v[190:191], v[4:5], v[134:135], -v[136:137]
	ds_load_b128 v[4:7], v2 offset:1616
	s_wait_loadcnt_dscnt 0xa01
	v_mul_f64_e32 v[188:189], v[170:171], v[140:141]
	v_mul_f64_e32 v[140:141], v[172:173], v[140:141]
	scratch_load_b128 v[134:137], off, off offset:880
	v_add_f64_e32 v[182:183], v[182:183], v[186:187]
	s_wait_loadcnt_dscnt 0xa00
	v_mul_f64_e32 v[186:187], v[4:5], v[144:145]
	v_add_f64_e32 v[192:193], v[180:181], v[178:179]
	v_mul_f64_e32 v[144:145], v[6:7], v[144:145]
	ds_load_b128 v[178:181], v2 offset:1632
	v_fmac_f64_e32 v[188:189], v[172:173], v[138:139]
	v_fma_f64 v[138:139], v[170:171], v[138:139], -v[140:141]
	s_wait_loadcnt_dscnt 0x900
	v_mul_f64_e32 v[172:173], v[178:179], v[148:149]
	v_mul_f64_e32 v[148:149], v[180:181], v[148:149]
	v_add_f64_e32 v[170:171], v[182:183], v[184:185]
	v_fmac_f64_e32 v[186:187], v[6:7], v[142:143]
	v_add_f64_e32 v[140:141], v[192:193], v[190:191]
	v_fma_f64 v[142:143], v[4:5], v[142:143], -v[144:145]
	v_fmac_f64_e32 v[172:173], v[180:181], v[146:147]
	v_fma_f64 v[146:147], v[178:179], v[146:147], -v[148:149]
	v_add_f64_e32 v[170:171], v[170:171], v[188:189]
	v_add_f64_e32 v[144:145], v[140:141], v[138:139]
	ds_load_b128 v[4:7], v2 offset:1648
	ds_load_b128 v[138:141], v2 offset:1664
	s_wait_loadcnt_dscnt 0x801
	v_mul_f64_e32 v[182:183], v[4:5], v[152:153]
	v_mul_f64_e32 v[152:153], v[6:7], v[152:153]
	s_wait_loadcnt_dscnt 0x700
	v_mul_f64_e32 v[148:149], v[138:139], v[156:157]
	v_mul_f64_e32 v[156:157], v[140:141], v[156:157]
	v_add_f64_e32 v[142:143], v[144:145], v[142:143]
	v_add_f64_e32 v[144:145], v[170:171], v[186:187]
	v_fmac_f64_e32 v[182:183], v[6:7], v[150:151]
	v_fma_f64 v[150:151], v[4:5], v[150:151], -v[152:153]
	v_fmac_f64_e32 v[148:149], v[140:141], v[154:155]
	v_fma_f64 v[138:139], v[138:139], v[154:155], -v[156:157]
	v_add_f64_e32 v[146:147], v[142:143], v[146:147]
	v_add_f64_e32 v[152:153], v[144:145], v[172:173]
	ds_load_b128 v[4:7], v2 offset:1680
	ds_load_b128 v[142:145], v2 offset:1696
	s_wait_loadcnt_dscnt 0x601
	v_mul_f64_e32 v[170:171], v[4:5], v[164:165]
	v_mul_f64_e32 v[164:165], v[6:7], v[164:165]
	v_add_f64_e32 v[140:141], v[146:147], v[150:151]
	v_add_f64_e32 v[146:147], v[152:153], v[182:183]
	s_wait_loadcnt_dscnt 0x500
	v_mul_f64_e32 v[150:151], v[142:143], v[176:177]
	v_mul_f64_e32 v[152:153], v[144:145], v[176:177]
	v_fmac_f64_e32 v[170:171], v[6:7], v[162:163]
	v_fma_f64 v[154:155], v[4:5], v[162:163], -v[164:165]
	v_add_f64_e32 v[156:157], v[140:141], v[138:139]
	v_add_f64_e32 v[146:147], v[146:147], v[148:149]
	ds_load_b128 v[4:7], v2 offset:1712
	ds_load_b128 v[138:141], v2 offset:1728
	v_fmac_f64_e32 v[150:151], v[144:145], v[174:175]
	v_fma_f64 v[142:143], v[142:143], v[174:175], -v[152:153]
	s_wait_loadcnt_dscnt 0x401
	v_mul_f64_e32 v[148:149], v[4:5], v[160:161]
	v_mul_f64_e32 v[160:161], v[6:7], v[160:161]
	s_wait_loadcnt_dscnt 0x300
	v_mul_f64_e32 v[152:153], v[138:139], v[10:11]
	v_mul_f64_e32 v[10:11], v[140:141], v[10:11]
	v_add_f64_e32 v[144:145], v[156:157], v[154:155]
	v_add_f64_e32 v[146:147], v[146:147], v[170:171]
	v_fmac_f64_e32 v[148:149], v[6:7], v[158:159]
	v_fma_f64 v[154:155], v[4:5], v[158:159], -v[160:161]
	v_fmac_f64_e32 v[152:153], v[140:141], v[8:9]
	v_fma_f64 v[8:9], v[138:139], v[8:9], -v[10:11]
	v_add_f64_e32 v[156:157], v[144:145], v[142:143]
	v_add_f64_e32 v[146:147], v[146:147], v[150:151]
	ds_load_b128 v[4:7], v2 offset:1744
	ds_load_b128 v[142:145], v2 offset:1760
	s_wait_loadcnt_dscnt 0x201
	v_mul_f64_e32 v[150:151], v[4:5], v[128:129]
	v_mul_f64_e32 v[128:129], v[6:7], v[128:129]
	s_wait_loadcnt_dscnt 0x100
	v_mul_f64_e32 v[140:141], v[142:143], v[132:133]
	v_mul_f64_e32 v[132:133], v[144:145], v[132:133]
	v_add_f64_e32 v[10:11], v[156:157], v[154:155]
	v_add_f64_e32 v[138:139], v[146:147], v[148:149]
	v_fmac_f64_e32 v[150:151], v[6:7], v[126:127]
	v_fma_f64 v[126:127], v[4:5], v[126:127], -v[128:129]
	ds_load_b128 v[4:7], v2 offset:1776
	v_fmac_f64_e32 v[140:141], v[144:145], v[130:131]
	v_fma_f64 v[130:131], v[142:143], v[130:131], -v[132:133]
	v_add_f64_e32 v[8:9], v[10:11], v[8:9]
	v_add_f64_e32 v[10:11], v[138:139], v[152:153]
	s_wait_loadcnt_dscnt 0x0
	v_mul_f64_e32 v[128:129], v[4:5], v[136:137]
	v_mul_f64_e32 v[136:137], v[6:7], v[136:137]
	s_delay_alu instid0(VALU_DEP_4) | instskip(NEXT) | instid1(VALU_DEP_4)
	v_add_f64_e32 v[8:9], v[8:9], v[126:127]
	v_add_f64_e32 v[10:11], v[10:11], v[150:151]
	s_delay_alu instid0(VALU_DEP_4) | instskip(NEXT) | instid1(VALU_DEP_4)
	v_fmac_f64_e32 v[128:129], v[6:7], v[134:135]
	v_fma_f64 v[4:5], v[4:5], v[134:135], -v[136:137]
	s_delay_alu instid0(VALU_DEP_4) | instskip(NEXT) | instid1(VALU_DEP_4)
	v_add_f64_e32 v[6:7], v[8:9], v[130:131]
	v_add_f64_e32 v[8:9], v[10:11], v[140:141]
	s_delay_alu instid0(VALU_DEP_2) | instskip(NEXT) | instid1(VALU_DEP_2)
	v_add_f64_e32 v[4:5], v[6:7], v[4:5]
	v_add_f64_e32 v[6:7], v[8:9], v[128:129]
	s_delay_alu instid0(VALU_DEP_2) | instskip(NEXT) | instid1(VALU_DEP_2)
	v_add_f64_e64 v[4:5], v[166:167], -v[4:5]
	v_add_f64_e64 v[6:7], v[168:169], -v[6:7]
	scratch_store_b128 off, v[4:7], off offset:32
	s_wait_xcnt 0x0
	v_cmpx_lt_u32_e32 1, v1
	s_cbranch_execz .LBB55_347
; %bb.346:
	scratch_load_b128 v[6:9], off, s52
	v_dual_mov_b32 v3, v2 :: v_dual_mov_b32 v4, v2
	v_mov_b32_e32 v5, v2
	scratch_store_b128 off, v[2:5], off offset:16
	s_wait_loadcnt 0x0
	ds_store_b128 v12, v[6:9]
.LBB55_347:
	s_wait_xcnt 0x0
	s_or_b32 exec_lo, exec_lo, s2
	s_wait_storecnt_dscnt 0x0
	s_barrier_signal -1
	s_barrier_wait -1
	s_clause 0x9
	scratch_load_b128 v[4:7], off, off offset:32
	scratch_load_b128 v[8:11], off, off offset:48
	;; [unrolled: 1-line block ×10, first 2 shown]
	ds_load_b128 v[158:161], v2 offset:928
	ds_load_b128 v[166:169], v2 offset:944
	s_clause 0x2
	scratch_load_b128 v[162:165], off, off offset:192
	scratch_load_b128 v[170:173], off, off offset:16
	;; [unrolled: 1-line block ×3, first 2 shown]
	s_mov_b32 s2, exec_lo
	s_wait_loadcnt_dscnt 0xc01
	v_mul_f64_e32 v[178:179], v[160:161], v[6:7]
	v_mul_f64_e32 v[182:183], v[158:159], v[6:7]
	s_wait_loadcnt_dscnt 0xb00
	v_mul_f64_e32 v[184:185], v[166:167], v[10:11]
	v_mul_f64_e32 v[10:11], v[168:169], v[10:11]
	s_delay_alu instid0(VALU_DEP_4) | instskip(NEXT) | instid1(VALU_DEP_4)
	v_fma_f64 v[186:187], v[158:159], v[4:5], -v[178:179]
	v_fmac_f64_e32 v[182:183], v[160:161], v[4:5]
	ds_load_b128 v[4:7], v2 offset:960
	ds_load_b128 v[158:161], v2 offset:976
	scratch_load_b128 v[178:181], off, off offset:224
	v_fmac_f64_e32 v[184:185], v[168:169], v[8:9]
	v_fma_f64 v[166:167], v[166:167], v[8:9], -v[10:11]
	scratch_load_b128 v[8:11], off, off offset:240
	s_wait_loadcnt_dscnt 0xc01
	v_mul_f64_e32 v[188:189], v[4:5], v[128:129]
	v_mul_f64_e32 v[128:129], v[6:7], v[128:129]
	v_add_f64_e32 v[168:169], 0, v[186:187]
	v_add_f64_e32 v[182:183], 0, v[182:183]
	s_wait_loadcnt_dscnt 0xb00
	v_mul_f64_e32 v[186:187], v[158:159], v[132:133]
	v_mul_f64_e32 v[132:133], v[160:161], v[132:133]
	v_fmac_f64_e32 v[188:189], v[6:7], v[126:127]
	v_fma_f64 v[190:191], v[4:5], v[126:127], -v[128:129]
	ds_load_b128 v[4:7], v2 offset:992
	ds_load_b128 v[126:129], v2 offset:1008
	v_add_f64_e32 v[192:193], v[168:169], v[166:167]
	v_add_f64_e32 v[182:183], v[182:183], v[184:185]
	scratch_load_b128 v[166:169], off, off offset:256
	v_fmac_f64_e32 v[186:187], v[160:161], v[130:131]
	v_fma_f64 v[158:159], v[158:159], v[130:131], -v[132:133]
	scratch_load_b128 v[130:133], off, off offset:272
	s_wait_loadcnt_dscnt 0xc01
	v_mul_f64_e32 v[184:185], v[4:5], v[136:137]
	v_mul_f64_e32 v[136:137], v[6:7], v[136:137]
	v_add_f64_e32 v[160:161], v[192:193], v[190:191]
	v_add_f64_e32 v[182:183], v[182:183], v[188:189]
	s_wait_loadcnt_dscnt 0xb00
	v_mul_f64_e32 v[188:189], v[126:127], v[140:141]
	v_mul_f64_e32 v[140:141], v[128:129], v[140:141]
	v_fmac_f64_e32 v[184:185], v[6:7], v[134:135]
	v_fma_f64 v[190:191], v[4:5], v[134:135], -v[136:137]
	ds_load_b128 v[4:7], v2 offset:1024
	ds_load_b128 v[134:137], v2 offset:1040
	v_add_f64_e32 v[192:193], v[160:161], v[158:159]
	v_add_f64_e32 v[182:183], v[182:183], v[186:187]
	scratch_load_b128 v[158:161], off, off offset:288
	s_wait_loadcnt_dscnt 0xb01
	v_mul_f64_e32 v[186:187], v[4:5], v[144:145]
	v_mul_f64_e32 v[144:145], v[6:7], v[144:145]
	v_fmac_f64_e32 v[188:189], v[128:129], v[138:139]
	v_fma_f64 v[138:139], v[126:127], v[138:139], -v[140:141]
	scratch_load_b128 v[126:129], off, off offset:304
	v_add_f64_e32 v[140:141], v[192:193], v[190:191]
	v_add_f64_e32 v[182:183], v[182:183], v[184:185]
	s_wait_loadcnt_dscnt 0xb00
	v_mul_f64_e32 v[184:185], v[134:135], v[148:149]
	v_mul_f64_e32 v[148:149], v[136:137], v[148:149]
	v_fmac_f64_e32 v[186:187], v[6:7], v[142:143]
	v_fma_f64 v[190:191], v[4:5], v[142:143], -v[144:145]
	v_add_f64_e32 v[192:193], v[140:141], v[138:139]
	v_add_f64_e32 v[182:183], v[182:183], v[188:189]
	ds_load_b128 v[4:7], v2 offset:1056
	ds_load_b128 v[138:141], v2 offset:1072
	scratch_load_b128 v[142:145], off, off offset:320
	v_fmac_f64_e32 v[184:185], v[136:137], v[146:147]
	v_fma_f64 v[146:147], v[134:135], v[146:147], -v[148:149]
	scratch_load_b128 v[134:137], off, off offset:336
	s_wait_loadcnt_dscnt 0xc01
	v_mul_f64_e32 v[188:189], v[4:5], v[152:153]
	v_mul_f64_e32 v[152:153], v[6:7], v[152:153]
	v_add_f64_e32 v[148:149], v[192:193], v[190:191]
	v_add_f64_e32 v[182:183], v[182:183], v[186:187]
	s_wait_loadcnt_dscnt 0xb00
	v_mul_f64_e32 v[186:187], v[138:139], v[156:157]
	v_mul_f64_e32 v[156:157], v[140:141], v[156:157]
	v_fmac_f64_e32 v[188:189], v[6:7], v[150:151]
	v_fma_f64 v[190:191], v[4:5], v[150:151], -v[152:153]
	v_add_f64_e32 v[192:193], v[148:149], v[146:147]
	v_add_f64_e32 v[182:183], v[182:183], v[184:185]
	ds_load_b128 v[4:7], v2 offset:1088
	ds_load_b128 v[146:149], v2 offset:1104
	scratch_load_b128 v[150:153], off, off offset:352
	v_fmac_f64_e32 v[186:187], v[140:141], v[154:155]
	v_fma_f64 v[154:155], v[138:139], v[154:155], -v[156:157]
	scratch_load_b128 v[138:141], off, off offset:368
	s_wait_loadcnt_dscnt 0xc01
	v_mul_f64_e32 v[184:185], v[4:5], v[164:165]
	v_mul_f64_e32 v[164:165], v[6:7], v[164:165]
	v_add_f64_e32 v[156:157], v[192:193], v[190:191]
	v_add_f64_e32 v[182:183], v[182:183], v[188:189]
	s_wait_loadcnt_dscnt 0xa00
	v_mul_f64_e32 v[188:189], v[146:147], v[176:177]
	v_mul_f64_e32 v[176:177], v[148:149], v[176:177]
	v_fmac_f64_e32 v[184:185], v[6:7], v[162:163]
	v_fma_f64 v[190:191], v[4:5], v[162:163], -v[164:165]
	v_add_f64_e32 v[192:193], v[156:157], v[154:155]
	v_add_f64_e32 v[182:183], v[182:183], v[186:187]
	ds_load_b128 v[4:7], v2 offset:1120
	ds_load_b128 v[154:157], v2 offset:1136
	scratch_load_b128 v[162:165], off, off offset:384
	v_fmac_f64_e32 v[188:189], v[148:149], v[174:175]
	v_fma_f64 v[174:175], v[146:147], v[174:175], -v[176:177]
	scratch_load_b128 v[146:149], off, off offset:400
	s_wait_loadcnt_dscnt 0xb01
	v_mul_f64_e32 v[186:187], v[4:5], v[180:181]
	v_mul_f64_e32 v[180:181], v[6:7], v[180:181]
	v_add_f64_e32 v[176:177], v[192:193], v[190:191]
	v_add_f64_e32 v[182:183], v[182:183], v[184:185]
	s_wait_loadcnt_dscnt 0xa00
	v_mul_f64_e32 v[184:185], v[154:155], v[10:11]
	v_mul_f64_e32 v[10:11], v[156:157], v[10:11]
	v_fmac_f64_e32 v[186:187], v[6:7], v[178:179]
	v_fma_f64 v[190:191], v[4:5], v[178:179], -v[180:181]
	v_add_f64_e32 v[192:193], v[176:177], v[174:175]
	v_add_f64_e32 v[182:183], v[182:183], v[188:189]
	ds_load_b128 v[4:7], v2 offset:1152
	ds_load_b128 v[174:177], v2 offset:1168
	scratch_load_b128 v[178:181], off, off offset:416
	v_fmac_f64_e32 v[184:185], v[156:157], v[8:9]
	v_fma_f64 v[154:155], v[154:155], v[8:9], -v[10:11]
	scratch_load_b128 v[8:11], off, off offset:432
	s_wait_loadcnt_dscnt 0xb01
	v_mul_f64_e32 v[188:189], v[4:5], v[168:169]
	v_mul_f64_e32 v[168:169], v[6:7], v[168:169]
	v_add_f64_e32 v[156:157], v[192:193], v[190:191]
	v_add_f64_e32 v[182:183], v[182:183], v[186:187]
	s_wait_loadcnt_dscnt 0xa00
	v_mul_f64_e32 v[186:187], v[174:175], v[132:133]
	v_mul_f64_e32 v[132:133], v[176:177], v[132:133]
	v_fmac_f64_e32 v[188:189], v[6:7], v[166:167]
	v_fma_f64 v[190:191], v[4:5], v[166:167], -v[168:169]
	v_add_f64_e32 v[192:193], v[156:157], v[154:155]
	v_add_f64_e32 v[182:183], v[182:183], v[184:185]
	ds_load_b128 v[4:7], v2 offset:1184
	ds_load_b128 v[154:157], v2 offset:1200
	scratch_load_b128 v[166:169], off, off offset:448
	v_fmac_f64_e32 v[186:187], v[176:177], v[130:131]
	v_fma_f64 v[174:175], v[174:175], v[130:131], -v[132:133]
	scratch_load_b128 v[130:133], off, off offset:464
	s_wait_loadcnt_dscnt 0xb01
	v_mul_f64_e32 v[184:185], v[4:5], v[160:161]
	v_mul_f64_e32 v[160:161], v[6:7], v[160:161]
	v_add_f64_e32 v[176:177], v[192:193], v[190:191]
	v_add_f64_e32 v[182:183], v[182:183], v[188:189]
	s_wait_loadcnt_dscnt 0xa00
	v_mul_f64_e32 v[188:189], v[154:155], v[128:129]
	v_mul_f64_e32 v[128:129], v[156:157], v[128:129]
	v_fmac_f64_e32 v[184:185], v[6:7], v[158:159]
	v_fma_f64 v[190:191], v[4:5], v[158:159], -v[160:161]
	ds_load_b128 v[4:7], v2 offset:1216
	ds_load_b128 v[158:161], v2 offset:1232
	v_add_f64_e32 v[192:193], v[176:177], v[174:175]
	v_add_f64_e32 v[182:183], v[182:183], v[186:187]
	scratch_load_b128 v[174:177], off, off offset:480
	v_fmac_f64_e32 v[188:189], v[156:157], v[126:127]
	v_fma_f64 v[154:155], v[154:155], v[126:127], -v[128:129]
	scratch_load_b128 v[126:129], off, off offset:496
	s_wait_loadcnt_dscnt 0xb01
	v_mul_f64_e32 v[186:187], v[4:5], v[144:145]
	v_mul_f64_e32 v[144:145], v[6:7], v[144:145]
	v_add_f64_e32 v[156:157], v[192:193], v[190:191]
	v_add_f64_e32 v[182:183], v[182:183], v[184:185]
	s_wait_loadcnt_dscnt 0xa00
	v_mul_f64_e32 v[184:185], v[158:159], v[136:137]
	v_mul_f64_e32 v[136:137], v[160:161], v[136:137]
	v_fmac_f64_e32 v[186:187], v[6:7], v[142:143]
	v_fma_f64 v[190:191], v[4:5], v[142:143], -v[144:145]
	ds_load_b128 v[4:7], v2 offset:1248
	ds_load_b128 v[142:145], v2 offset:1264
	v_add_f64_e32 v[192:193], v[156:157], v[154:155]
	v_add_f64_e32 v[182:183], v[182:183], v[188:189]
	scratch_load_b128 v[154:157], off, off offset:512
	s_wait_loadcnt_dscnt 0xa01
	v_mul_f64_e32 v[188:189], v[4:5], v[152:153]
	v_mul_f64_e32 v[152:153], v[6:7], v[152:153]
	v_fmac_f64_e32 v[184:185], v[160:161], v[134:135]
	v_fma_f64 v[158:159], v[158:159], v[134:135], -v[136:137]
	scratch_load_b128 v[134:137], off, off offset:528
	v_add_f64_e32 v[160:161], v[192:193], v[190:191]
	v_add_f64_e32 v[182:183], v[182:183], v[186:187]
	s_wait_loadcnt_dscnt 0xa00
	v_mul_f64_e32 v[186:187], v[142:143], v[140:141]
	v_mul_f64_e32 v[140:141], v[144:145], v[140:141]
	v_fmac_f64_e32 v[188:189], v[6:7], v[150:151]
	v_fma_f64 v[190:191], v[4:5], v[150:151], -v[152:153]
	ds_load_b128 v[4:7], v2 offset:1280
	ds_load_b128 v[150:153], v2 offset:1296
	v_add_f64_e32 v[192:193], v[160:161], v[158:159]
	v_add_f64_e32 v[182:183], v[182:183], v[184:185]
	scratch_load_b128 v[158:161], off, off offset:544
	s_wait_loadcnt_dscnt 0xa01
	v_mul_f64_e32 v[184:185], v[4:5], v[164:165]
	v_mul_f64_e32 v[164:165], v[6:7], v[164:165]
	v_fmac_f64_e32 v[186:187], v[144:145], v[138:139]
	v_fma_f64 v[142:143], v[142:143], v[138:139], -v[140:141]
	scratch_load_b128 v[138:141], off, off offset:560
	v_add_f64_e32 v[144:145], v[192:193], v[190:191]
	v_add_f64_e32 v[182:183], v[182:183], v[188:189]
	s_wait_loadcnt_dscnt 0xa00
	v_mul_f64_e32 v[188:189], v[150:151], v[148:149]
	v_mul_f64_e32 v[148:149], v[152:153], v[148:149]
	v_fmac_f64_e32 v[184:185], v[6:7], v[162:163]
	v_fma_f64 v[190:191], v[4:5], v[162:163], -v[164:165]
	v_add_f64_e32 v[192:193], v[144:145], v[142:143]
	v_add_f64_e32 v[182:183], v[182:183], v[186:187]
	ds_load_b128 v[4:7], v2 offset:1312
	ds_load_b128 v[142:145], v2 offset:1328
	scratch_load_b128 v[162:165], off, off offset:576
	v_fmac_f64_e32 v[188:189], v[152:153], v[146:147]
	v_fma_f64 v[150:151], v[150:151], v[146:147], -v[148:149]
	scratch_load_b128 v[146:149], off, off offset:592
	s_wait_loadcnt_dscnt 0xb01
	v_mul_f64_e32 v[186:187], v[4:5], v[180:181]
	v_mul_f64_e32 v[180:181], v[6:7], v[180:181]
	v_add_f64_e32 v[152:153], v[192:193], v[190:191]
	v_add_f64_e32 v[182:183], v[182:183], v[184:185]
	s_wait_loadcnt_dscnt 0xa00
	v_mul_f64_e32 v[184:185], v[142:143], v[10:11]
	v_mul_f64_e32 v[10:11], v[144:145], v[10:11]
	v_fmac_f64_e32 v[186:187], v[6:7], v[178:179]
	v_fma_f64 v[190:191], v[4:5], v[178:179], -v[180:181]
	v_add_f64_e32 v[192:193], v[152:153], v[150:151]
	v_add_f64_e32 v[182:183], v[182:183], v[188:189]
	ds_load_b128 v[4:7], v2 offset:1344
	ds_load_b128 v[150:153], v2 offset:1360
	scratch_load_b128 v[178:181], off, off offset:608
	v_fmac_f64_e32 v[184:185], v[144:145], v[8:9]
	v_fma_f64 v[142:143], v[142:143], v[8:9], -v[10:11]
	scratch_load_b128 v[8:11], off, off offset:624
	s_wait_loadcnt_dscnt 0xb01
	v_mul_f64_e32 v[188:189], v[4:5], v[168:169]
	v_mul_f64_e32 v[168:169], v[6:7], v[168:169]
	;; [unrolled: 18-line block ×10, first 2 shown]
	v_add_f64_e32 v[144:145], v[192:193], v[190:191]
	v_add_f64_e32 v[182:183], v[182:183], v[184:185]
	s_wait_loadcnt_dscnt 0xa00
	v_mul_f64_e32 v[184:185], v[150:151], v[136:137]
	v_mul_f64_e32 v[136:137], v[152:153], v[136:137]
	v_fmac_f64_e32 v[186:187], v[6:7], v[154:155]
	v_fma_f64 v[154:155], v[4:5], v[154:155], -v[156:157]
	v_add_f64_e32 v[156:157], v[144:145], v[142:143]
	v_add_f64_e32 v[182:183], v[182:183], v[188:189]
	ds_load_b128 v[4:7], v2 offset:1632
	ds_load_b128 v[142:145], v2 offset:1648
	v_fmac_f64_e32 v[184:185], v[152:153], v[134:135]
	v_fma_f64 v[134:135], v[150:151], v[134:135], -v[136:137]
	s_wait_loadcnt_dscnt 0x901
	v_mul_f64_e32 v[188:189], v[4:5], v[160:161]
	v_mul_f64_e32 v[160:161], v[6:7], v[160:161]
	s_wait_loadcnt_dscnt 0x800
	v_mul_f64_e32 v[152:153], v[142:143], v[140:141]
	v_mul_f64_e32 v[140:141], v[144:145], v[140:141]
	v_add_f64_e32 v[136:137], v[156:157], v[154:155]
	v_add_f64_e32 v[150:151], v[182:183], v[186:187]
	v_fmac_f64_e32 v[188:189], v[6:7], v[158:159]
	v_fma_f64 v[154:155], v[4:5], v[158:159], -v[160:161]
	v_fmac_f64_e32 v[152:153], v[144:145], v[138:139]
	v_fma_f64 v[138:139], v[142:143], v[138:139], -v[140:141]
	v_add_f64_e32 v[156:157], v[136:137], v[134:135]
	v_add_f64_e32 v[150:151], v[150:151], v[184:185]
	ds_load_b128 v[4:7], v2 offset:1664
	ds_load_b128 v[134:137], v2 offset:1680
	s_wait_loadcnt_dscnt 0x701
	v_mul_f64_e32 v[158:159], v[4:5], v[164:165]
	v_mul_f64_e32 v[160:161], v[6:7], v[164:165]
	s_wait_loadcnt_dscnt 0x600
	v_mul_f64_e32 v[144:145], v[134:135], v[148:149]
	v_mul_f64_e32 v[148:149], v[136:137], v[148:149]
	v_add_f64_e32 v[140:141], v[156:157], v[154:155]
	v_add_f64_e32 v[142:143], v[150:151], v[188:189]
	v_fmac_f64_e32 v[158:159], v[6:7], v[162:163]
	v_fma_f64 v[150:151], v[4:5], v[162:163], -v[160:161]
	v_fmac_f64_e32 v[144:145], v[136:137], v[146:147]
	v_fma_f64 v[134:135], v[134:135], v[146:147], -v[148:149]
	v_add_f64_e32 v[154:155], v[140:141], v[138:139]
	v_add_f64_e32 v[142:143], v[142:143], v[152:153]
	ds_load_b128 v[4:7], v2 offset:1696
	ds_load_b128 v[138:141], v2 offset:1712
	;; [unrolled: 16-line block ×4, first 2 shown]
	s_wait_loadcnt_dscnt 0x101
	v_mul_f64_e32 v[2:3], v[4:5], v[176:177]
	v_mul_f64_e32 v[146:147], v[6:7], v[176:177]
	s_wait_loadcnt_dscnt 0x0
	v_mul_f64_e32 v[136:137], v[8:9], v[128:129]
	v_mul_f64_e32 v[128:129], v[10:11], v[128:129]
	v_add_f64_e32 v[132:133], v[148:149], v[142:143]
	v_add_f64_e32 v[134:135], v[138:139], v[144:145]
	v_fmac_f64_e32 v[2:3], v[6:7], v[174:175]
	v_fma_f64 v[4:5], v[4:5], v[174:175], -v[146:147]
	v_fmac_f64_e32 v[136:137], v[10:11], v[126:127]
	v_fma_f64 v[8:9], v[8:9], v[126:127], -v[128:129]
	v_add_f64_e32 v[6:7], v[132:133], v[130:131]
	v_add_f64_e32 v[130:131], v[134:135], v[140:141]
	s_delay_alu instid0(VALU_DEP_2) | instskip(NEXT) | instid1(VALU_DEP_2)
	v_add_f64_e32 v[4:5], v[6:7], v[4:5]
	v_add_f64_e32 v[2:3], v[130:131], v[2:3]
	s_delay_alu instid0(VALU_DEP_2) | instskip(NEXT) | instid1(VALU_DEP_2)
	;; [unrolled: 3-line block ×3, first 2 shown]
	v_add_f64_e64 v[2:3], v[170:171], -v[4:5]
	v_add_f64_e64 v[4:5], v[172:173], -v[6:7]
	scratch_store_b128 off, v[2:5], off offset:16
	s_wait_xcnt 0x0
	v_cmpx_ne_u32_e32 0, v1
	s_cbranch_execz .LBB55_349
; %bb.348:
	scratch_load_b128 v[2:5], off, off
	v_mov_b32_e32 v6, 0
	s_delay_alu instid0(VALU_DEP_1)
	v_dual_mov_b32 v7, v6 :: v_dual_mov_b32 v8, v6
	v_mov_b32_e32 v9, v6
	scratch_store_b128 off, v[6:9], off
	s_wait_loadcnt 0x0
	ds_store_b128 v12, v[2:5]
.LBB55_349:
	s_wait_xcnt 0x0
	s_or_b32 exec_lo, exec_lo, s2
	s_wait_storecnt_dscnt 0x0
	s_barrier_signal -1
	s_barrier_wait -1
	s_clause 0x9
	scratch_load_b128 v[2:5], off, off offset:16
	scratch_load_b128 v[6:9], off, off offset:32
	;; [unrolled: 1-line block ×10, first 2 shown]
	v_mov_b32_e32 v148, 0
	s_and_b32 vcc_lo, exec_lo, s68
	ds_load_b128 v[158:161], v148 offset:912
	s_clause 0x2
	scratch_load_b128 v[162:165], off, off offset:176
	scratch_load_b128 v[166:169], off, off
	scratch_load_b128 v[174:177], off, off offset:192
	s_wait_loadcnt_dscnt 0xc00
	v_mul_f64_e32 v[146:147], v[160:161], v[4:5]
	v_mul_f64_e32 v[182:183], v[158:159], v[4:5]
	ds_load_b128 v[170:173], v148 offset:928
	ds_load_b128 v[178:181], v148 offset:960
	v_fma_f64 v[146:147], v[158:159], v[2:3], -v[146:147]
	v_fmac_f64_e32 v[182:183], v[160:161], v[2:3]
	ds_load_b128 v[2:5], v148 offset:944
	s_wait_loadcnt_dscnt 0xb02
	v_mul_f64_e32 v[184:185], v[170:171], v[8:9]
	v_mul_f64_e32 v[8:9], v[172:173], v[8:9]
	scratch_load_b128 v[158:161], off, off offset:208
	s_wait_loadcnt_dscnt 0xb00
	v_mul_f64_e32 v[186:187], v[2:3], v[12:13]
	v_mul_f64_e32 v[12:13], v[4:5], v[12:13]
	v_add_f64_e32 v[146:147], 0, v[146:147]
	v_fmac_f64_e32 v[184:185], v[172:173], v[6:7]
	v_fma_f64 v[170:171], v[170:171], v[6:7], -v[8:9]
	v_add_f64_e32 v[172:173], 0, v[182:183]
	scratch_load_b128 v[6:9], off, off offset:224
	v_fmac_f64_e32 v[186:187], v[4:5], v[10:11]
	v_fma_f64 v[188:189], v[2:3], v[10:11], -v[12:13]
	ds_load_b128 v[2:5], v148 offset:976
	s_wait_loadcnt 0xb
	v_mul_f64_e32 v[182:183], v[178:179], v[128:129]
	v_mul_f64_e32 v[128:129], v[180:181], v[128:129]
	scratch_load_b128 v[10:13], off, off offset:240
	v_add_f64_e32 v[146:147], v[146:147], v[170:171]
	v_add_f64_e32 v[184:185], v[172:173], v[184:185]
	ds_load_b128 v[170:173], v148 offset:992
	s_wait_loadcnt_dscnt 0xb01
	v_mul_f64_e32 v[190:191], v[2:3], v[132:133]
	v_mul_f64_e32 v[132:133], v[4:5], v[132:133]
	v_fmac_f64_e32 v[182:183], v[180:181], v[126:127]
	v_fma_f64 v[178:179], v[178:179], v[126:127], -v[128:129]
	scratch_load_b128 v[126:129], off, off offset:256
	v_add_f64_e32 v[146:147], v[146:147], v[188:189]
	v_add_f64_e32 v[180:181], v[184:185], v[186:187]
	v_fmac_f64_e32 v[190:191], v[4:5], v[130:131]
	v_fma_f64 v[186:187], v[2:3], v[130:131], -v[132:133]
	ds_load_b128 v[2:5], v148 offset:1008
	s_wait_loadcnt_dscnt 0xb01
	v_mul_f64_e32 v[184:185], v[170:171], v[136:137]
	v_mul_f64_e32 v[136:137], v[172:173], v[136:137]
	scratch_load_b128 v[130:133], off, off offset:272
	s_wait_loadcnt_dscnt 0xb00
	v_mul_f64_e32 v[188:189], v[2:3], v[140:141]
	v_mul_f64_e32 v[140:141], v[4:5], v[140:141]
	v_add_f64_e32 v[146:147], v[146:147], v[178:179]
	v_add_f64_e32 v[182:183], v[180:181], v[182:183]
	ds_load_b128 v[178:181], v148 offset:1024
	v_fmac_f64_e32 v[184:185], v[172:173], v[134:135]
	v_fma_f64 v[170:171], v[170:171], v[134:135], -v[136:137]
	scratch_load_b128 v[134:137], off, off offset:288
	v_fmac_f64_e32 v[188:189], v[4:5], v[138:139]
	v_add_f64_e32 v[146:147], v[146:147], v[186:187]
	v_add_f64_e32 v[172:173], v[182:183], v[190:191]
	v_fma_f64 v[190:191], v[2:3], v[138:139], -v[140:141]
	ds_load_b128 v[2:5], v148 offset:1040
	s_wait_loadcnt_dscnt 0xb01
	v_mul_f64_e32 v[182:183], v[178:179], v[144:145]
	v_mul_f64_e32 v[186:187], v[180:181], v[144:145]
	scratch_load_b128 v[138:141], off, off offset:304
	v_add_f64_e32 v[170:171], v[146:147], v[170:171]
	v_add_f64_e32 v[172:173], v[172:173], v[184:185]
	s_wait_loadcnt_dscnt 0xb00
	v_mul_f64_e32 v[184:185], v[2:3], v[152:153]
	v_mul_f64_e32 v[152:153], v[4:5], v[152:153]
	v_fmac_f64_e32 v[182:183], v[180:181], v[142:143]
	v_fma_f64 v[142:143], v[178:179], v[142:143], -v[186:187]
	ds_load_b128 v[144:147], v148 offset:1056
	v_add_f64_e32 v[178:179], v[170:171], v[190:191]
	v_add_f64_e32 v[180:181], v[172:173], v[188:189]
	scratch_load_b128 v[170:173], off, off offset:320
	v_fmac_f64_e32 v[184:185], v[4:5], v[150:151]
	v_fma_f64 v[188:189], v[2:3], v[150:151], -v[152:153]
	ds_load_b128 v[2:5], v148 offset:1072
	s_wait_loadcnt_dscnt 0xb01
	v_mul_f64_e32 v[186:187], v[144:145], v[156:157]
	v_mul_f64_e32 v[156:157], v[146:147], v[156:157]
	scratch_load_b128 v[150:153], off, off offset:336
	s_wait_loadcnt_dscnt 0xb00
	v_mul_f64_e32 v[190:191], v[2:3], v[164:165]
	v_mul_f64_e32 v[164:165], v[4:5], v[164:165]
	v_add_f64_e32 v[142:143], v[178:179], v[142:143]
	v_add_f64_e32 v[182:183], v[180:181], v[182:183]
	ds_load_b128 v[178:181], v148 offset:1088
	v_fmac_f64_e32 v[186:187], v[146:147], v[154:155]
	v_fma_f64 v[146:147], v[144:145], v[154:155], -v[156:157]
	v_fmac_f64_e32 v[190:191], v[4:5], v[162:163]
	v_add_f64_e32 v[154:155], v[142:143], v[188:189]
	v_add_f64_e32 v[156:157], v[182:183], v[184:185]
	scratch_load_b128 v[142:145], off, off offset:352
	v_fma_f64 v[184:185], v[2:3], v[162:163], -v[164:165]
	ds_load_b128 v[2:5], v148 offset:1104
	s_wait_loadcnt_dscnt 0xa01
	v_mul_f64_e32 v[182:183], v[178:179], v[176:177]
	v_mul_f64_e32 v[176:177], v[180:181], v[176:177]
	ds_load_b128 v[162:165], v148 offset:1120
	v_add_f64_e32 v[146:147], v[154:155], v[146:147]
	v_add_f64_e32 v[186:187], v[156:157], v[186:187]
	scratch_load_b128 v[154:157], off, off offset:368
	s_wait_loadcnt_dscnt 0xa01
	v_mul_f64_e32 v[188:189], v[2:3], v[160:161]
	v_mul_f64_e32 v[160:161], v[4:5], v[160:161]
	v_fmac_f64_e32 v[182:183], v[180:181], v[174:175]
	v_fma_f64 v[178:179], v[178:179], v[174:175], -v[176:177]
	scratch_load_b128 v[174:177], off, off offset:384
	v_add_f64_e32 v[146:147], v[146:147], v[184:185]
	v_add_f64_e32 v[180:181], v[186:187], v[190:191]
	v_fmac_f64_e32 v[188:189], v[4:5], v[158:159]
	v_fma_f64 v[186:187], v[2:3], v[158:159], -v[160:161]
	ds_load_b128 v[2:5], v148 offset:1136
	s_wait_loadcnt_dscnt 0xa01
	v_mul_f64_e32 v[184:185], v[162:163], v[8:9]
	v_mul_f64_e32 v[8:9], v[164:165], v[8:9]
	scratch_load_b128 v[158:161], off, off offset:400
	s_wait_loadcnt_dscnt 0xa00
	v_mul_f64_e32 v[190:191], v[2:3], v[12:13]
	v_mul_f64_e32 v[12:13], v[4:5], v[12:13]
	v_add_f64_e32 v[146:147], v[146:147], v[178:179]
	v_add_f64_e32 v[182:183], v[180:181], v[182:183]
	ds_load_b128 v[178:181], v148 offset:1152
	v_fmac_f64_e32 v[184:185], v[164:165], v[6:7]
	v_fma_f64 v[162:163], v[162:163], v[6:7], -v[8:9]
	scratch_load_b128 v[6:9], off, off offset:416
	v_fmac_f64_e32 v[190:191], v[4:5], v[10:11]
	v_add_f64_e32 v[146:147], v[146:147], v[186:187]
	v_add_f64_e32 v[164:165], v[182:183], v[188:189]
	v_fma_f64 v[186:187], v[2:3], v[10:11], -v[12:13]
	ds_load_b128 v[2:5], v148 offset:1168
	s_wait_loadcnt_dscnt 0xa01
	v_mul_f64_e32 v[182:183], v[178:179], v[128:129]
	v_mul_f64_e32 v[128:129], v[180:181], v[128:129]
	scratch_load_b128 v[10:13], off, off offset:432
	s_wait_loadcnt_dscnt 0xa00
	v_mul_f64_e32 v[188:189], v[2:3], v[132:133]
	v_mul_f64_e32 v[132:133], v[4:5], v[132:133]
	v_add_f64_e32 v[146:147], v[146:147], v[162:163]
	v_add_f64_e32 v[184:185], v[164:165], v[184:185]
	ds_load_b128 v[162:165], v148 offset:1184
	v_fmac_f64_e32 v[182:183], v[180:181], v[126:127]
	v_fma_f64 v[178:179], v[178:179], v[126:127], -v[128:129]
	scratch_load_b128 v[126:129], off, off offset:448
	v_fmac_f64_e32 v[188:189], v[4:5], v[130:131]
	v_add_f64_e32 v[146:147], v[146:147], v[186:187]
	v_add_f64_e32 v[180:181], v[184:185], v[190:191]
	;; [unrolled: 18-line block ×4, first 2 shown]
	v_fma_f64 v[190:191], v[2:3], v[150:151], -v[152:153]
	ds_load_b128 v[2:5], v148 offset:1264
	s_wait_loadcnt_dscnt 0xa01
	v_mul_f64_e32 v[184:185], v[162:163], v[144:145]
	v_mul_f64_e32 v[186:187], v[164:165], v[144:145]
	ds_load_b128 v[150:153], v148 offset:1280
	v_add_f64_e32 v[178:179], v[146:147], v[178:179]
	v_add_f64_e32 v[180:181], v[180:181], v[182:183]
	scratch_load_b128 v[144:147], off, off offset:528
	s_wait_loadcnt_dscnt 0xa01
	v_mul_f64_e32 v[182:183], v[2:3], v[156:157]
	v_mul_f64_e32 v[156:157], v[4:5], v[156:157]
	v_fmac_f64_e32 v[184:185], v[164:165], v[142:143]
	v_fma_f64 v[142:143], v[162:163], v[142:143], -v[186:187]
	scratch_load_b128 v[162:165], off, off offset:544
	v_add_f64_e32 v[178:179], v[178:179], v[190:191]
	v_add_f64_e32 v[180:181], v[180:181], v[188:189]
	v_fmac_f64_e32 v[182:183], v[4:5], v[154:155]
	v_fma_f64 v[190:191], v[2:3], v[154:155], -v[156:157]
	ds_load_b128 v[2:5], v148 offset:1296
	s_wait_loadcnt_dscnt 0xa01
	v_mul_f64_e32 v[186:187], v[150:151], v[176:177]
	v_mul_f64_e32 v[188:189], v[152:153], v[176:177]
	scratch_load_b128 v[154:157], off, off offset:560
	v_add_f64_e32 v[142:143], v[178:179], v[142:143]
	v_add_f64_e32 v[180:181], v[180:181], v[184:185]
	s_wait_loadcnt_dscnt 0xa00
	v_mul_f64_e32 v[184:185], v[2:3], v[160:161]
	v_mul_f64_e32 v[160:161], v[4:5], v[160:161]
	ds_load_b128 v[176:179], v148 offset:1312
	v_fmac_f64_e32 v[186:187], v[152:153], v[174:175]
	v_fma_f64 v[174:175], v[150:151], v[174:175], -v[188:189]
	scratch_load_b128 v[150:153], off, off offset:576
	v_add_f64_e32 v[142:143], v[142:143], v[190:191]
	v_add_f64_e32 v[180:181], v[180:181], v[182:183]
	v_fmac_f64_e32 v[184:185], v[4:5], v[158:159]
	v_fma_f64 v[190:191], v[2:3], v[158:159], -v[160:161]
	ds_load_b128 v[2:5], v148 offset:1328
	s_wait_loadcnt_dscnt 0xa01
	v_mul_f64_e32 v[188:189], v[176:177], v[8:9]
	v_mul_f64_e32 v[8:9], v[178:179], v[8:9]
	scratch_load_b128 v[158:161], off, off offset:592
	v_add_f64_e32 v[142:143], v[142:143], v[174:175]
	v_add_f64_e32 v[174:175], v[180:181], v[186:187]
	s_wait_loadcnt_dscnt 0xa00
	v_mul_f64_e32 v[186:187], v[2:3], v[12:13]
	v_mul_f64_e32 v[12:13], v[4:5], v[12:13]
	ds_load_b128 v[180:183], v148 offset:1344
	v_fmac_f64_e32 v[188:189], v[178:179], v[6:7]
	v_fma_f64 v[176:177], v[176:177], v[6:7], -v[8:9]
	scratch_load_b128 v[6:9], off, off offset:608
	v_add_f64_e32 v[142:143], v[142:143], v[190:191]
	v_add_f64_e32 v[174:175], v[174:175], v[184:185]
	v_fmac_f64_e32 v[186:187], v[4:5], v[10:11]
	v_fma_f64 v[184:185], v[2:3], v[10:11], -v[12:13]
	ds_load_b128 v[2:5], v148 offset:1360
	s_wait_loadcnt_dscnt 0xa01
	v_mul_f64_e32 v[178:179], v[180:181], v[128:129]
	v_mul_f64_e32 v[128:129], v[182:183], v[128:129]
	scratch_load_b128 v[10:13], off, off offset:624
	s_wait_loadcnt_dscnt 0xa00
	v_mul_f64_e32 v[190:191], v[2:3], v[132:133]
	v_mul_f64_e32 v[132:133], v[4:5], v[132:133]
	v_add_f64_e32 v[142:143], v[142:143], v[176:177]
	v_add_f64_e32 v[188:189], v[174:175], v[188:189]
	ds_load_b128 v[174:177], v148 offset:1376
	v_fmac_f64_e32 v[178:179], v[182:183], v[126:127]
	v_fma_f64 v[180:181], v[180:181], v[126:127], -v[128:129]
	scratch_load_b128 v[126:129], off, off offset:640
	v_fmac_f64_e32 v[190:191], v[4:5], v[130:131]
	v_add_f64_e32 v[142:143], v[142:143], v[184:185]
	v_add_f64_e32 v[182:183], v[188:189], v[186:187]
	v_fma_f64 v[186:187], v[2:3], v[130:131], -v[132:133]
	ds_load_b128 v[2:5], v148 offset:1392
	s_wait_loadcnt_dscnt 0xa01
	v_mul_f64_e32 v[184:185], v[174:175], v[136:137]
	v_mul_f64_e32 v[136:137], v[176:177], v[136:137]
	scratch_load_b128 v[130:133], off, off offset:656
	s_wait_loadcnt_dscnt 0xa00
	v_mul_f64_e32 v[188:189], v[2:3], v[140:141]
	v_mul_f64_e32 v[140:141], v[4:5], v[140:141]
	v_add_f64_e32 v[142:143], v[142:143], v[180:181]
	v_add_f64_e32 v[182:183], v[182:183], v[178:179]
	ds_load_b128 v[178:181], v148 offset:1408
	v_fmac_f64_e32 v[184:185], v[176:177], v[134:135]
	v_fma_f64 v[174:175], v[174:175], v[134:135], -v[136:137]
	scratch_load_b128 v[134:137], off, off offset:672
	v_fmac_f64_e32 v[188:189], v[4:5], v[138:139]
	v_add_f64_e32 v[142:143], v[142:143], v[186:187]
	v_add_f64_e32 v[176:177], v[182:183], v[190:191]
	v_fma_f64 v[190:191], v[2:3], v[138:139], -v[140:141]
	ds_load_b128 v[2:5], v148 offset:1424
	s_wait_loadcnt_dscnt 0xa01
	v_mul_f64_e32 v[182:183], v[178:179], v[172:173]
	v_mul_f64_e32 v[186:187], v[180:181], v[172:173]
	scratch_load_b128 v[138:141], off, off offset:688
	v_add_f64_e32 v[142:143], v[142:143], v[174:175]
	v_add_f64_e32 v[176:177], v[176:177], v[184:185]
	s_wait_loadcnt_dscnt 0xa00
	v_mul_f64_e32 v[184:185], v[2:3], v[146:147]
	v_mul_f64_e32 v[146:147], v[4:5], v[146:147]
	v_fmac_f64_e32 v[182:183], v[180:181], v[170:171]
	v_fma_f64 v[170:171], v[178:179], v[170:171], -v[186:187]
	ds_load_b128 v[172:175], v148 offset:1440
	v_add_f64_e32 v[142:143], v[142:143], v[190:191]
	v_add_f64_e32 v[180:181], v[176:177], v[188:189]
	scratch_load_b128 v[176:179], off, off offset:704
	v_fmac_f64_e32 v[184:185], v[4:5], v[144:145]
	v_fma_f64 v[146:147], v[2:3], v[144:145], -v[146:147]
	ds_load_b128 v[2:5], v148 offset:1456
	s_wait_loadcnt_dscnt 0xa01
	v_mul_f64_e32 v[186:187], v[172:173], v[164:165]
	v_mul_f64_e32 v[164:165], v[174:175], v[164:165]
	s_wait_loadcnt_dscnt 0x900
	v_mul_f64_e32 v[190:191], v[2:3], v[156:157]
	v_mul_f64_e32 v[156:157], v[4:5], v[156:157]
	v_add_f64_e32 v[170:171], v[142:143], v[170:171]
	v_add_f64_e32 v[188:189], v[180:181], v[182:183]
	scratch_load_b128 v[142:145], off, off offset:720
	ds_load_b128 v[180:183], v148 offset:1472
	v_fmac_f64_e32 v[186:187], v[174:175], v[162:163]
	v_fma_f64 v[172:173], v[172:173], v[162:163], -v[164:165]
	scratch_load_b128 v[162:165], off, off offset:736
	v_fmac_f64_e32 v[190:191], v[4:5], v[154:155]
	v_fma_f64 v[156:157], v[2:3], v[154:155], -v[156:157]
	ds_load_b128 v[2:5], v148 offset:1488
	s_wait_loadcnt_dscnt 0xa01
	v_mul_f64_e32 v[174:175], v[180:181], v[152:153]
	v_add_f64_e32 v[146:147], v[170:171], v[146:147]
	v_add_f64_e32 v[170:171], v[188:189], v[184:185]
	v_mul_f64_e32 v[184:185], v[182:183], v[152:153]
	scratch_load_b128 v[152:155], off, off offset:752
	s_wait_loadcnt_dscnt 0xa00
	v_mul_f64_e32 v[188:189], v[2:3], v[160:161]
	v_mul_f64_e32 v[160:161], v[4:5], v[160:161]
	v_fmac_f64_e32 v[174:175], v[182:183], v[150:151]
	v_add_f64_e32 v[146:147], v[146:147], v[172:173]
	v_add_f64_e32 v[186:187], v[170:171], v[186:187]
	v_fma_f64 v[150:151], v[180:181], v[150:151], -v[184:185]
	ds_load_b128 v[170:173], v148 offset:1504
	scratch_load_b128 v[180:183], off, off offset:768
	v_fmac_f64_e32 v[188:189], v[4:5], v[158:159]
	v_fma_f64 v[160:161], v[2:3], v[158:159], -v[160:161]
	ds_load_b128 v[2:5], v148 offset:1520
	v_add_f64_e32 v[146:147], v[146:147], v[156:157]
	v_add_f64_e32 v[156:157], v[186:187], v[190:191]
	s_wait_loadcnt_dscnt 0xa01
	v_mul_f64_e32 v[190:191], v[170:171], v[8:9]
	v_mul_f64_e32 v[8:9], v[172:173], v[8:9]
	ds_load_b128 v[184:187], v148 offset:1536
	v_add_f64_e32 v[146:147], v[146:147], v[150:151]
	v_add_f64_e32 v[150:151], v[156:157], v[174:175]
	scratch_load_b128 v[156:159], off, off offset:784
	s_wait_loadcnt_dscnt 0xa01
	v_mul_f64_e32 v[174:175], v[2:3], v[12:13]
	v_mul_f64_e32 v[12:13], v[4:5], v[12:13]
	v_fmac_f64_e32 v[190:191], v[172:173], v[6:7]
	v_fma_f64 v[170:171], v[170:171], v[6:7], -v[8:9]
	scratch_load_b128 v[6:9], off, off offset:800
	v_add_f64_e32 v[146:147], v[146:147], v[160:161]
	v_add_f64_e32 v[150:151], v[150:151], v[188:189]
	v_fmac_f64_e32 v[174:175], v[4:5], v[10:11]
	v_fma_f64 v[188:189], v[2:3], v[10:11], -v[12:13]
	ds_load_b128 v[2:5], v148 offset:1552
	s_wait_loadcnt_dscnt 0xa01
	v_mul_f64_e32 v[160:161], v[184:185], v[128:129]
	v_mul_f64_e32 v[128:129], v[186:187], v[128:129]
	scratch_load_b128 v[10:13], off, off offset:816
	v_add_f64_e32 v[146:147], v[146:147], v[170:171]
	v_add_f64_e32 v[150:151], v[150:151], v[190:191]
	s_wait_loadcnt_dscnt 0xa00
	v_mul_f64_e32 v[190:191], v[2:3], v[132:133]
	v_mul_f64_e32 v[132:133], v[4:5], v[132:133]
	ds_load_b128 v[170:173], v148 offset:1568
	v_fmac_f64_e32 v[160:161], v[186:187], v[126:127]
	v_fma_f64 v[184:185], v[184:185], v[126:127], -v[128:129]
	scratch_load_b128 v[126:129], off, off offset:832
	v_add_f64_e32 v[146:147], v[146:147], v[188:189]
	v_add_f64_e32 v[150:151], v[150:151], v[174:175]
	v_fmac_f64_e32 v[190:191], v[4:5], v[130:131]
	v_fma_f64 v[188:189], v[2:3], v[130:131], -v[132:133]
	ds_load_b128 v[2:5], v148 offset:1584
	s_wait_loadcnt_dscnt 0xa01
	v_mul_f64_e32 v[174:175], v[170:171], v[136:137]
	v_mul_f64_e32 v[136:137], v[172:173], v[136:137]
	scratch_load_b128 v[130:133], off, off offset:848
	v_add_f64_e32 v[146:147], v[146:147], v[184:185]
	v_add_f64_e32 v[150:151], v[150:151], v[160:161]
	s_wait_loadcnt_dscnt 0xa00
	v_mul_f64_e32 v[160:161], v[2:3], v[140:141]
	v_mul_f64_e32 v[140:141], v[4:5], v[140:141]
	ds_load_b128 v[184:187], v148 offset:1600
	;; [unrolled: 18-line block ×3, first 2 shown]
	v_fmac_f64_e32 v[188:189], v[186:187], v[176:177]
	v_fma_f64 v[176:177], v[184:185], v[176:177], -v[178:179]
	v_add_f64_e32 v[146:147], v[146:147], v[190:191]
	v_add_f64_e32 v[150:151], v[150:151], v[160:161]
	s_wait_loadcnt_dscnt 0x900
	v_mul_f64_e32 v[160:161], v[170:171], v[164:165]
	v_mul_f64_e32 v[164:165], v[172:173], v[164:165]
	v_fmac_f64_e32 v[174:175], v[4:5], v[142:143]
	v_fma_f64 v[178:179], v[2:3], v[142:143], -v[144:145]
	ds_load_b128 v[2:5], v148 offset:1648
	ds_load_b128 v[142:145], v148 offset:1664
	v_add_f64_e32 v[146:147], v[146:147], v[176:177]
	v_add_f64_e32 v[150:151], v[150:151], v[188:189]
	s_wait_loadcnt_dscnt 0x801
	v_mul_f64_e32 v[176:177], v[2:3], v[154:155]
	v_mul_f64_e32 v[154:155], v[4:5], v[154:155]
	v_fmac_f64_e32 v[160:161], v[172:173], v[162:163]
	v_fma_f64 v[162:163], v[170:171], v[162:163], -v[164:165]
	s_wait_loadcnt_dscnt 0x700
	v_mul_f64_e32 v[164:165], v[142:143], v[182:183]
	v_mul_f64_e32 v[170:171], v[144:145], v[182:183]
	v_add_f64_e32 v[146:147], v[146:147], v[178:179]
	v_add_f64_e32 v[150:151], v[150:151], v[174:175]
	v_fmac_f64_e32 v[176:177], v[4:5], v[152:153]
	v_fma_f64 v[154:155], v[2:3], v[152:153], -v[154:155]
	v_fmac_f64_e32 v[164:165], v[144:145], v[180:181]
	v_fma_f64 v[142:143], v[142:143], v[180:181], -v[170:171]
	v_add_f64_e32 v[146:147], v[146:147], v[162:163]
	v_add_f64_e32 v[160:161], v[150:151], v[160:161]
	ds_load_b128 v[2:5], v148 offset:1680
	ds_load_b128 v[150:153], v148 offset:1696
	s_wait_loadcnt_dscnt 0x601
	v_mul_f64_e32 v[162:163], v[2:3], v[158:159]
	v_mul_f64_e32 v[158:159], v[4:5], v[158:159]
	v_add_f64_e32 v[144:145], v[146:147], v[154:155]
	v_add_f64_e32 v[146:147], v[160:161], v[176:177]
	s_wait_loadcnt_dscnt 0x500
	v_mul_f64_e32 v[154:155], v[150:151], v[8:9]
	v_mul_f64_e32 v[8:9], v[152:153], v[8:9]
	v_fmac_f64_e32 v[162:163], v[4:5], v[156:157]
	v_fma_f64 v[156:157], v[2:3], v[156:157], -v[158:159]
	v_add_f64_e32 v[158:159], v[144:145], v[142:143]
	v_add_f64_e32 v[146:147], v[146:147], v[164:165]
	ds_load_b128 v[2:5], v148 offset:1712
	ds_load_b128 v[142:145], v148 offset:1728
	v_fmac_f64_e32 v[154:155], v[152:153], v[6:7]
	v_fma_f64 v[6:7], v[150:151], v[6:7], -v[8:9]
	s_wait_loadcnt_dscnt 0x401
	v_mul_f64_e32 v[160:161], v[2:3], v[12:13]
	v_mul_f64_e32 v[12:13], v[4:5], v[12:13]
	s_wait_loadcnt_dscnt 0x300
	v_mul_f64_e32 v[150:151], v[142:143], v[128:129]
	v_mul_f64_e32 v[128:129], v[144:145], v[128:129]
	v_add_f64_e32 v[8:9], v[158:159], v[156:157]
	v_add_f64_e32 v[146:147], v[146:147], v[162:163]
	v_fmac_f64_e32 v[160:161], v[4:5], v[10:11]
	v_fma_f64 v[10:11], v[2:3], v[10:11], -v[12:13]
	v_fmac_f64_e32 v[150:151], v[144:145], v[126:127]
	v_fma_f64 v[126:127], v[142:143], v[126:127], -v[128:129]
	v_lshl_add_u64 v[144:145], v[18:19], 4, s[4:5]
	v_lshl_add_u64 v[142:143], v[22:23], 4, s[4:5]
	;; [unrolled: 1-line block ×7, first 2 shown]
	v_add_f64_e32 v[12:13], v[8:9], v[6:7]
	v_add_f64_e32 v[146:147], v[146:147], v[154:155]
	ds_load_b128 v[2:5], v148 offset:1744
	ds_load_b128 v[6:9], v148 offset:1760
	s_wait_loadcnt_dscnt 0x201
	v_mul_f64_e32 v[152:153], v[2:3], v[132:133]
	v_mul_f64_e32 v[132:133], v[4:5], v[132:133]
	s_wait_loadcnt_dscnt 0x100
	v_mul_f64_e32 v[128:129], v[6:7], v[136:137]
	v_mul_f64_e32 v[136:137], v[8:9], v[136:137]
	v_add_f64_e32 v[10:11], v[12:13], v[10:11]
	v_add_f64_e32 v[12:13], v[146:147], v[160:161]
	v_lshl_add_u64 v[146:147], v[20:21], 4, s[4:5]
	v_lshl_add_u64 v[20:21], v[56:57], 4, s[4:5]
	;; [unrolled: 1-line block ×4, first 2 shown]
	v_fmac_f64_e32 v[152:153], v[4:5], v[130:131]
	v_fma_f64 v[130:131], v[2:3], v[130:131], -v[132:133]
	ds_load_b128 v[2:5], v148 offset:1776
	v_fmac_f64_e32 v[128:129], v[8:9], v[134:135]
	v_fma_f64 v[6:7], v[6:7], v[134:135], -v[136:137]
	v_lshl_add_u64 v[136:137], v[26:27], 4, s[4:5]
	v_lshl_add_u64 v[134:135], v[30:31], 4, s[4:5]
	;; [unrolled: 1-line block ×6, first 2 shown]
	v_add_f64_e32 v[10:11], v[10:11], v[126:127]
	v_add_f64_e32 v[12:13], v[12:13], v[150:151]
	v_lshl_add_u64 v[74:75], v[108:109], 4, s[4:5]
	s_wait_loadcnt_dscnt 0x0
	v_mul_f64_e32 v[126:127], v[2:3], v[140:141]
	v_mul_f64_e32 v[132:133], v[4:5], v[140:141]
	v_lshl_add_u64 v[140:141], v[24:25], 4, s[4:5]
	v_lshl_add_u64 v[24:25], v[60:61], 4, s[4:5]
	;; [unrolled: 1-line block ×3, first 2 shown]
	v_add_f64_e32 v[8:9], v[10:11], v[130:131]
	v_add_f64_e32 v[10:11], v[12:13], v[152:153]
	v_lshl_add_u64 v[130:131], v[36:37], 4, s[4:5]
	v_lshl_add_u64 v[12:13], v[52:53], 4, s[4:5]
	;; [unrolled: 1-line block ×6, first 2 shown]
	v_fmac_f64_e32 v[126:127], v[4:5], v[138:139]
	v_fma_f64 v[2:3], v[2:3], v[138:139], -v[132:133]
	v_lshl_add_u64 v[138:139], v[28:29], 4, s[4:5]
	v_lshl_add_u64 v[132:133], v[32:33], 4, s[4:5]
	;; [unrolled: 1-line block ×6, first 2 shown]
	v_add_f64_e32 v[4:5], v[8:9], v[6:7]
	v_add_f64_e32 v[6:7], v[10:11], v[128:129]
	v_lshl_add_u64 v[128:129], v[34:35], 4, s[4:5]
	v_lshl_add_u64 v[8:9], v[48:49], 4, s[4:5]
	;; [unrolled: 1-line block ×9, first 2 shown]
	v_add_f64_e32 v[150:151], v[4:5], v[2:3]
	v_add_f64_e32 v[152:153], v[6:7], v[126:127]
	v_lshl_add_u64 v[126:127], v[38:39], 4, s[4:5]
	v_lshl_add_u64 v[2:3], v[42:43], 4, s[4:5]
	;; [unrolled: 1-line block ×12, first 2 shown]
	v_add_f64_e64 v[150:151], v[166:167], -v[150:151]
	v_add_f64_e64 v[152:153], v[168:169], -v[152:153]
	scratch_store_b128 off, v[150:153], off
	s_cbranch_vccz .LBB55_460
; %bb.350:
	global_load_b32 v92, v148, s[16:17] offset:216
	s_load_b64 s[2:3], s[0:1], 0x4
	v_bfe_u32 v93, v0, 10, 10
	v_bfe_u32 v0, v0, 20, 10
	s_wait_kmcnt 0x0
	s_lshr_b32 s0, s2, 16
	s_delay_alu instid0(VALU_DEP_2) | instskip(SKIP_1) | instid1(SALU_CYCLE_1)
	v_mul_u32_u24_e32 v93, s3, v93
	s_mul_i32 s0, s0, s3
	v_mul_u32_u24_e32 v1, s0, v1
	s_delay_alu instid0(VALU_DEP_1) | instskip(NEXT) | instid1(VALU_DEP_1)
	v_add3_u32 v0, v1, v93, v0
	v_lshl_add_u32 v0, v0, 4, 0x708
	s_wait_loadcnt 0x0
	v_cmp_ne_u32_e32 vcc_lo, 55, v92
	s_cbranch_vccz .LBB55_352
; %bb.351:
	v_lshlrev_b32_e32 v1, 4, v92
	s_clause 0x1
	scratch_load_b128 v[92:95], off, s34
	scratch_load_b128 v[96:99], v1, off offset:-16
	s_wait_loadcnt 0x1
	ds_store_2addr_b64 v0, v[92:93], v[94:95] offset1:1
	s_wait_loadcnt 0x0
	s_clause 0x1
	scratch_store_b128 off, v[96:99], s34
	scratch_store_b128 v1, v[92:95], off offset:-16
.LBB55_352:
	s_wait_xcnt 0x0
	v_mov_b32_e32 v1, 0
	global_load_b32 v92, v1, s[16:17] offset:212
	s_wait_loadcnt 0x0
	v_cmp_eq_u32_e32 vcc_lo, 54, v92
	s_cbranch_vccnz .LBB55_354
; %bb.353:
	v_lshlrev_b32_e32 v92, 4, v92
	s_delay_alu instid0(VALU_DEP_1)
	v_mov_b32_e32 v100, v92
	s_clause 0x1
	scratch_load_b128 v[92:95], off, s29
	scratch_load_b128 v[96:99], v100, off offset:-16
	s_wait_loadcnt 0x1
	ds_store_2addr_b64 v0, v[92:93], v[94:95] offset1:1
	s_wait_loadcnt 0x0
	s_clause 0x1
	scratch_store_b128 off, v[96:99], s29
	scratch_store_b128 v100, v[92:95], off offset:-16
.LBB55_354:
	global_load_b32 v1, v1, s[16:17] offset:208
	s_wait_loadcnt 0x0
	v_cmp_eq_u32_e32 vcc_lo, 53, v1
	s_cbranch_vccnz .LBB55_356
; %bb.355:
	s_wait_xcnt 0x0
	v_lshlrev_b32_e32 v1, 4, v1
	s_clause 0x1
	scratch_load_b128 v[92:95], off, s38
	scratch_load_b128 v[96:99], v1, off offset:-16
	s_wait_loadcnt 0x1
	ds_store_2addr_b64 v0, v[92:93], v[94:95] offset1:1
	s_wait_loadcnt 0x0
	s_clause 0x1
	scratch_store_b128 off, v[96:99], s38
	scratch_store_b128 v1, v[92:95], off offset:-16
.LBB55_356:
	s_wait_xcnt 0x0
	v_mov_b32_e32 v1, 0
	global_load_b32 v92, v1, s[16:17] offset:204
	s_wait_loadcnt 0x0
	v_cmp_eq_u32_e32 vcc_lo, 52, v92
	s_cbranch_vccnz .LBB55_358
; %bb.357:
	v_lshlrev_b32_e32 v92, 4, v92
	s_delay_alu instid0(VALU_DEP_1)
	v_mov_b32_e32 v100, v92
	s_clause 0x1
	scratch_load_b128 v[92:95], off, s36
	scratch_load_b128 v[96:99], v100, off offset:-16
	s_wait_loadcnt 0x1
	ds_store_2addr_b64 v0, v[92:93], v[94:95] offset1:1
	s_wait_loadcnt 0x0
	s_clause 0x1
	scratch_store_b128 off, v[96:99], s36
	scratch_store_b128 v100, v[92:95], off offset:-16
.LBB55_358:
	global_load_b32 v1, v1, s[16:17] offset:200
	s_wait_loadcnt 0x0
	v_cmp_eq_u32_e32 vcc_lo, 51, v1
	s_cbranch_vccnz .LBB55_360
; %bb.359:
	s_wait_xcnt 0x0
	v_lshlrev_b32_e32 v1, 4, v1
	s_clause 0x1
	scratch_load_b128 v[92:95], off, s43
	scratch_load_b128 v[96:99], v1, off offset:-16
	s_wait_loadcnt 0x1
	ds_store_2addr_b64 v0, v[92:93], v[94:95] offset1:1
	s_wait_loadcnt 0x0
	s_clause 0x1
	scratch_store_b128 off, v[96:99], s43
	scratch_store_b128 v1, v[92:95], off offset:-16
.LBB55_360:
	;; [unrolled: 37-line block ×26, first 2 shown]
	s_wait_xcnt 0x0
	v_mov_b32_e32 v1, 0
	global_load_b32 v92, v1, s[16:17] offset:4
	s_wait_loadcnt 0x0
	v_cmp_eq_u32_e32 vcc_lo, 2, v92
	s_cbranch_vccnz .LBB55_458
; %bb.457:
	v_lshlrev_b32_e32 v92, 4, v92
	s_delay_alu instid0(VALU_DEP_1)
	v_mov_b32_e32 v100, v92
	s_clause 0x1
	scratch_load_b128 v[92:95], off, s52
	scratch_load_b128 v[96:99], v100, off offset:-16
	s_wait_loadcnt 0x1
	ds_store_2addr_b64 v0, v[92:93], v[94:95] offset1:1
	s_wait_loadcnt 0x0
	s_clause 0x1
	scratch_store_b128 off, v[96:99], s52
	scratch_store_b128 v100, v[92:95], off offset:-16
.LBB55_458:
	global_load_b32 v1, v1, s[16:17]
	s_wait_loadcnt 0x0
	v_cmp_eq_u32_e32 vcc_lo, 1, v1
	s_cbranch_vccnz .LBB55_460
; %bb.459:
	s_wait_xcnt 0x0
	v_lshlrev_b32_e32 v1, 4, v1
	scratch_load_b128 v[92:95], off, off
	scratch_load_b128 v[96:99], v1, off offset:-16
	s_wait_loadcnt 0x1
	ds_store_2addr_b64 v0, v[92:93], v[94:95] offset1:1
	s_wait_loadcnt 0x0
	scratch_store_b128 off, v[96:99], off
	scratch_store_b128 v1, v[92:95], off offset:-16
.LBB55_460:
	scratch_load_b128 v[92:95], off, off
	s_clause 0x20
	scratch_load_b128 v[96:99], off, s52
	scratch_load_b128 v[100:103], off, s51
	;; [unrolled: 1-line block ×19, first 2 shown]
	; meta instruction
	; meta instruction
	; meta instruction
	; meta instruction
	; meta instruction
	; meta instruction
	; meta instruction
	; meta instruction
	; meta instruction
	; meta instruction
	; meta instruction
	; meta instruction
	; meta instruction
	; meta instruction
	; meta instruction
	scratch_load_b128 v[196:199], off, s39
	scratch_load_b128 v[200:203], off, s23
	;; [unrolled: 1-line block ×14, first 2 shown]
	s_wait_loadcnt 0x21
	global_store_b128 v[14:15], v[92:95], off
	s_clause 0x1
	scratch_load_b128 v[92:95], off, s31
	scratch_load_b128 v[252:255], off, s33
	s_wait_loadcnt 0x22
	global_store_b128 v[16:17], v[96:99], off
	s_clause 0x1
	scratch_load_b128 v[14:17], off, s26
	scratch_load_b128 v[96:99], off, s28
	s_wait_loadcnt 0x23
	global_store_b128 v[144:145], v[100:103], off
	s_wait_loadcnt 0x22
	global_store_b128 v[146:147], v[104:107], off
	s_clause 0x1
	scratch_load_b128 v[100:103], off, s22
	scratch_load_b128 v[104:107], off, s24
	s_wait_loadcnt 0x23
	global_store_b128 v[142:143], v[108:111], off
	s_clause 0x1
	scratch_load_b128 v[108:111], off, s20
	scratch_load_b128 v[142:145], off, s21
	s_wait_loadcnt 0x24
	global_store_b128 v[140:141], v[112:115], off
	s_clause 0x2
	scratch_load_b128 v[112:115], off, s14
	s_set_vgpr_msb 64                       ;  msbs: dst=1 src0=0 src1=0 src2=0
	scratch_load_b128 v[0:3] /*v[256:259]*/, off, s15
	s_wait_loadcnt 0x25
	global_store_b128 v[136:137], v[116:119], off
	s_wait_loadcnt 0x24
	global_store_b128 v[138:139], v[120:123], off
	s_set_vgpr_msb 0                        ;  msbs: dst=0 src0=0 src1=0 src2=0
	s_clause 0x1
	scratch_load_b128 v[116:119], off, s12
	scratch_load_b128 v[120:123], off, s13
	s_wait_loadcnt 0x25
	global_store_b128 v[134:135], v[148:151], off
	s_clause 0x1
	scratch_load_b128 v[134:137], off, s10
	scratch_load_b128 v[138:141], off, s11
	s_wait_loadcnt 0x26
	global_store_b128 v[132:133], v[152:155], off
	;; [unrolled: 5-line block ×3, first 2 shown]
	s_wait_loadcnt 0x26
	global_store_b128 v[130:131], v[160:163], off
	s_clause 0x1
	scratch_load_b128 v[128:131], off, s41
	scratch_load_b128 v[154:157], off, s43
	s_wait_loadcnt 0x27
	global_store_b128 v[126:127], v[164:167], off
	s_clause 0x1
	scratch_load_b128 v[124:127], off, s36
	scratch_load_b128 v[158:161], off, s38
	;; [unrolled: 5-line block ×3, first 2 shown]
	s_wait_loadcnt 0x29
	global_store_b128 v[2:3], v[172:175], off
	s_wait_loadcnt 0x28
	global_store_b128 v[4:5], v[176:179], off
	;; [unrolled: 2-line block ×28, first 2 shown]
	s_wait_loadcnt 0xc
	s_set_vgpr_msb 4                        ;  msbs: dst=0 src0=0 src1=1 src2=0
	global_store_b128 v[64:65], v[0:3] /*v[256:259]*/, off
	s_wait_loadcnt 0xb
	s_set_vgpr_msb 0                        ;  msbs: dst=0 src0=0 src1=0 src2=0
	global_store_b128 v[66:67], v[116:119], off
	s_wait_loadcnt 0xa
	global_store_b128 v[68:69], v[120:123], off
	s_wait_loadcnt 0x9
	;; [unrolled: 2-line block ×11, first 2 shown]
	s_clause 0x1
	global_store_b128 v[88:89], v[166:169], off
	global_store_b128 v[90:91], v[248:251], off
	s_sendmsg sendmsg(MSG_DEALLOC_VGPRS)
	s_endpgm
	.section	.rodata,"a",@progbits
	.p2align	6, 0x0
	.amdhsa_kernel _ZN9rocsolver6v33100L18getri_kernel_smallILi56E19rocblas_complex_numIdEPS3_EEvT1_iilPiilS6_bb
		.amdhsa_group_segment_fixed_size 2824
		.amdhsa_private_segment_fixed_size 912
		.amdhsa_kernarg_size 60
		.amdhsa_user_sgpr_count 4
		.amdhsa_user_sgpr_dispatch_ptr 1
		.amdhsa_user_sgpr_queue_ptr 0
		.amdhsa_user_sgpr_kernarg_segment_ptr 1
		.amdhsa_user_sgpr_dispatch_id 0
		.amdhsa_user_sgpr_kernarg_preload_length 0
		.amdhsa_user_sgpr_kernarg_preload_offset 0
		.amdhsa_user_sgpr_private_segment_size 0
		.amdhsa_wavefront_size32 1
		.amdhsa_uses_dynamic_stack 0
		.amdhsa_enable_private_segment 1
		.amdhsa_system_sgpr_workgroup_id_x 1
		.amdhsa_system_sgpr_workgroup_id_y 0
		.amdhsa_system_sgpr_workgroup_id_z 0
		.amdhsa_system_sgpr_workgroup_info 0
		.amdhsa_system_vgpr_workitem_id 2
		.amdhsa_next_free_vgpr 264
		.amdhsa_next_free_sgpr 92
		.amdhsa_named_barrier_count 0
		.amdhsa_reserve_vcc 1
		.amdhsa_float_round_mode_32 0
		.amdhsa_float_round_mode_16_64 0
		.amdhsa_float_denorm_mode_32 3
		.amdhsa_float_denorm_mode_16_64 3
		.amdhsa_fp16_overflow 0
		.amdhsa_memory_ordered 1
		.amdhsa_forward_progress 1
		.amdhsa_inst_pref_size 255
		.amdhsa_round_robin_scheduling 0
		.amdhsa_exception_fp_ieee_invalid_op 0
		.amdhsa_exception_fp_denorm_src 0
		.amdhsa_exception_fp_ieee_div_zero 0
		.amdhsa_exception_fp_ieee_overflow 0
		.amdhsa_exception_fp_ieee_underflow 0
		.amdhsa_exception_fp_ieee_inexact 0
		.amdhsa_exception_int_div_zero 0
	.end_amdhsa_kernel
	.section	.text._ZN9rocsolver6v33100L18getri_kernel_smallILi56E19rocblas_complex_numIdEPS3_EEvT1_iilPiilS6_bb,"axG",@progbits,_ZN9rocsolver6v33100L18getri_kernel_smallILi56E19rocblas_complex_numIdEPS3_EEvT1_iilPiilS6_bb,comdat
.Lfunc_end55:
	.size	_ZN9rocsolver6v33100L18getri_kernel_smallILi56E19rocblas_complex_numIdEPS3_EEvT1_iilPiilS6_bb, .Lfunc_end55-_ZN9rocsolver6v33100L18getri_kernel_smallILi56E19rocblas_complex_numIdEPS3_EEvT1_iilPiilS6_bb
                                        ; -- End function
	.set _ZN9rocsolver6v33100L18getri_kernel_smallILi56E19rocblas_complex_numIdEPS3_EEvT1_iilPiilS6_bb.num_vgpr, 264
	.set _ZN9rocsolver6v33100L18getri_kernel_smallILi56E19rocblas_complex_numIdEPS3_EEvT1_iilPiilS6_bb.num_agpr, 0
	.set _ZN9rocsolver6v33100L18getri_kernel_smallILi56E19rocblas_complex_numIdEPS3_EEvT1_iilPiilS6_bb.numbered_sgpr, 92
	.set _ZN9rocsolver6v33100L18getri_kernel_smallILi56E19rocblas_complex_numIdEPS3_EEvT1_iilPiilS6_bb.num_named_barrier, 0
	.set _ZN9rocsolver6v33100L18getri_kernel_smallILi56E19rocblas_complex_numIdEPS3_EEvT1_iilPiilS6_bb.private_seg_size, 912
	.set _ZN9rocsolver6v33100L18getri_kernel_smallILi56E19rocblas_complex_numIdEPS3_EEvT1_iilPiilS6_bb.uses_vcc, 1
	.set _ZN9rocsolver6v33100L18getri_kernel_smallILi56E19rocblas_complex_numIdEPS3_EEvT1_iilPiilS6_bb.uses_flat_scratch, 1
	.set _ZN9rocsolver6v33100L18getri_kernel_smallILi56E19rocblas_complex_numIdEPS3_EEvT1_iilPiilS6_bb.has_dyn_sized_stack, 0
	.set _ZN9rocsolver6v33100L18getri_kernel_smallILi56E19rocblas_complex_numIdEPS3_EEvT1_iilPiilS6_bb.has_recursion, 0
	.set _ZN9rocsolver6v33100L18getri_kernel_smallILi56E19rocblas_complex_numIdEPS3_EEvT1_iilPiilS6_bb.has_indirect_call, 0
	.section	.AMDGPU.csdata,"",@progbits
; Kernel info:
; codeLenInByte = 114984
; TotalNumSgprs: 94
; NumVgprs: 264
; ScratchSize: 912
; MemoryBound: 0
; FloatMode: 240
; IeeeMode: 1
; LDSByteSize: 2824 bytes/workgroup (compile time only)
; SGPRBlocks: 0
; VGPRBlocks: 16
; NumSGPRsForWavesPerEU: 94
; NumVGPRsForWavesPerEU: 264
; NamedBarCnt: 0
; Occupancy: 3
; WaveLimiterHint : 1
; COMPUTE_PGM_RSRC2:SCRATCH_EN: 1
; COMPUTE_PGM_RSRC2:USER_SGPR: 4
; COMPUTE_PGM_RSRC2:TRAP_HANDLER: 0
; COMPUTE_PGM_RSRC2:TGID_X_EN: 1
; COMPUTE_PGM_RSRC2:TGID_Y_EN: 0
; COMPUTE_PGM_RSRC2:TGID_Z_EN: 0
; COMPUTE_PGM_RSRC2:TIDIG_COMP_CNT: 2
	.section	.text._ZN9rocsolver6v33100L18getri_kernel_smallILi57E19rocblas_complex_numIdEPS3_EEvT1_iilPiilS6_bb,"axG",@progbits,_ZN9rocsolver6v33100L18getri_kernel_smallILi57E19rocblas_complex_numIdEPS3_EEvT1_iilPiilS6_bb,comdat
	.globl	_ZN9rocsolver6v33100L18getri_kernel_smallILi57E19rocblas_complex_numIdEPS3_EEvT1_iilPiilS6_bb ; -- Begin function _ZN9rocsolver6v33100L18getri_kernel_smallILi57E19rocblas_complex_numIdEPS3_EEvT1_iilPiilS6_bb
	.p2align	8
	.type	_ZN9rocsolver6v33100L18getri_kernel_smallILi57E19rocblas_complex_numIdEPS3_EEvT1_iilPiilS6_bb,@function
_ZN9rocsolver6v33100L18getri_kernel_smallILi57E19rocblas_complex_numIdEPS3_EEvT1_iilPiilS6_bb: ; @_ZN9rocsolver6v33100L18getri_kernel_smallILi57E19rocblas_complex_numIdEPS3_EEvT1_iilPiilS6_bb
; %bb.0:
	v_and_b32_e32 v1, 0x3ff, v0
	s_mov_b32 s4, exec_lo
	s_delay_alu instid0(VALU_DEP_1)
	v_cmpx_gt_u32_e32 57, v1
	s_cbranch_execz .LBB56_242
; %bb.1:
	s_clause 0x2
	s_load_b32 s8, s[2:3], 0x38
	s_load_b128 s[12:15], s[2:3], 0x10
	s_load_b128 s[4:7], s[2:3], 0x28
	s_getreg_b32 s11, hwreg(HW_REG_IB_STS2, 6, 4)
                                        ; implicit-def: $sgpr16_sgpr17
	s_wait_kmcnt 0x0
	s_bitcmp1_b32 s8, 8
	s_cselect_b32 s69, -1, 0
	s_bfe_u32 s9, ttmp6, 0x4000c
	s_and_b32 s10, ttmp6, 15
	s_add_co_i32 s9, s9, 1
	s_delay_alu instid0(SALU_CYCLE_1) | instskip(NEXT) | instid1(SALU_CYCLE_1)
	s_mul_i32 s9, ttmp9, s9
	s_add_co_i32 s10, s10, s9
	s_cmp_eq_u32 s11, 0
	s_cselect_b32 s18, ttmp9, s10
	s_bfe_u32 s8, s8, 0x10008
	s_ashr_i32 s19, s18, 31
	s_cmp_eq_u32 s8, 0
	s_cbranch_scc1 .LBB56_3
; %bb.2:
	s_load_b32 s8, s[2:3], 0x20
	s_mul_u64 s[4:5], s[4:5], s[18:19]
	s_delay_alu instid0(SALU_CYCLE_1) | instskip(NEXT) | instid1(SALU_CYCLE_1)
	s_lshl_b64 s[4:5], s[4:5], 2
	s_add_nc_u64 s[4:5], s[14:15], s[4:5]
	s_wait_kmcnt 0x0
	s_ashr_i32 s9, s8, 31
	s_delay_alu instid0(SALU_CYCLE_1) | instskip(NEXT) | instid1(SALU_CYCLE_1)
	s_lshl_b64 s[8:9], s[8:9], 2
	s_add_nc_u64 s[16:17], s[4:5], s[8:9]
.LBB56_3:
	s_clause 0x1
	s_load_b128 s[8:11], s[2:3], 0x0
	s_load_b32 s70, s[2:3], 0x38
	s_wait_xcnt 0x0
	s_mul_u64 s[2:3], s[12:13], s[18:19]
	s_movk_i32 s71, 0x210
	s_lshl_b64 s[2:3], s[2:3], 4
	s_movk_i32 s72, 0x220
	s_movk_i32 s73, 0x230
	;; [unrolled: 1-line block ×15, first 2 shown]
	s_wait_kmcnt 0x0
	v_add3_u32 v18, s11, s11, v1
	s_ashr_i32 s5, s10, 31
	s_mov_b32 s4, s10
	s_add_nc_u64 s[2:3], s[8:9], s[2:3]
	s_lshl_b64 s[4:5], s[4:5], 4
	v_add_nc_u32_e32 v20, s11, v18
	s_add_nc_u64 s[4:5], s[2:3], s[4:5]
	s_ashr_i32 s3, s11, 31
	s_mov_b32 s2, s11
	s_movk_i32 s87, 0x310
	v_add_nc_u32_e32 v22, s11, v20
	s_movk_i32 s88, 0x320
	s_movk_i32 s89, 0x330
	;; [unrolled: 1-line block ×4, first 2 shown]
	v_add_nc_u32_e32 v24, s11, v22
	s_movk_i32 s92, 0x360
	s_movk_i32 s93, 0x370
	;; [unrolled: 1-line block ×3, first 2 shown]
	s_mov_b32 s52, 16
	v_add_nc_u32_e32 v26, s11, v24
	s_clause 0x1
	global_load_b128 v[2:5], v18, s[4:5] scale_offset
	global_load_b128 v[6:9], v20, s[4:5] scale_offset
	s_mov_b32 s51, 32
	s_mov_b32 s50, 48
	;; [unrolled: 1-line block ×3, first 2 shown]
	v_add_nc_u32_e32 v28, s11, v26
	global_load_b128 v[10:13], v22, s[4:5] scale_offset
	s_movk_i32 s68, 0x50
	s_movk_i32 s56, 0x60
	s_movk_i32 s59, 0x70
	v_add_nc_u32_e32 v30, s11, v28
	s_movk_i32 s53, 0x80
	s_movk_i32 s54, 0x90
	;; [unrolled: 1-line block ×4, first 2 shown]
	v_dual_add_nc_u32 v32, s11, v30 :: v_dual_lshlrev_b32 v128, 4, v1
	s_movk_i32 s61, 0xc0
	s_movk_i32 s63, 0xd0
	;; [unrolled: 1-line block ×3, first 2 shown]
	s_delay_alu instid0(VALU_DEP_1) | instskip(SKIP_3) | instid1(VALU_DEP_1)
	v_dual_mov_b32 v129, 0 :: v_dual_add_nc_u32 v34, s11, v32
	s_movk_i32 s57, 0xf0
	s_movk_i32 s60, 0x100
	;; [unrolled: 1-line block ×3, first 2 shown]
	v_add_nc_u32_e32 v36, s11, v34
	v_add_nc_u64_e32 v[14:15], s[4:5], v[128:129]
	s_movk_i32 s64, 0x120
	s_movk_i32 s66, 0x130
	;; [unrolled: 1-line block ×3, first 2 shown]
	v_add_nc_u32_e32 v38, s11, v36
	s_movk_i32 s35, 0x150
	s_movk_i32 s38, 0x160
	v_lshl_add_u64 v[16:17], s[2:3], 4, v[14:15]
	s_movk_i32 s40, 0x170
	v_add_nc_u32_e32 v40, s11, v38
	s_clause 0x6
	global_load_b128 v[114:117], v1, s[4:5] scale_offset
	global_load_b128 v[118:121], v[16:17], off
	global_load_b128 v[122:125], v24, s[4:5] scale_offset
	global_load_b128 v[130:133], v26, s[4:5] scale_offset
	;; [unrolled: 1-line block ×5, first 2 shown]
	v_add_nc_u32_e32 v42, s11, v40
	s_movk_i32 s42, 0x180
	s_movk_i32 s44, 0x190
	;; [unrolled: 1-line block ×4, first 2 shown]
	v_add_nc_u32_e32 v44, s11, v42
	s_clause 0x2
	global_load_b128 v[146:149], v34, s[4:5] scale_offset
	global_load_b128 v[150:153], v36, s[4:5] scale_offset
	;; [unrolled: 1-line block ×3, first 2 shown]
	s_movk_i32 s41, 0x1c0
	s_movk_i32 s43, 0x1d0
	;; [unrolled: 1-line block ×3, first 2 shown]
	v_add_nc_u32_e32 v46, s11, v44
	s_clause 0x1
	global_load_b128 v[158:161], v40, s[4:5] scale_offset
	global_load_b128 v[162:165], v42, s[4:5] scale_offset
	s_movk_i32 s47, 0x1f0
	s_movk_i32 s48, 0x200
	s_mov_b32 s36, s71
	v_add_nc_u32_e32 v48, s11, v46
	s_mov_b32 s37, s72
	s_mov_b32 s33, s73
	s_mov_b32 s34, s74
	s_mov_b32 s30, s75
	v_add_nc_u32_e32 v50, s11, v48
	s_mov_b32 s31, s76
	s_mov_b32 s27, s77
	s_mov_b32 s28, s78
	s_mov_b32 s24, s79
	v_add_nc_u32_e32 v52, s11, v50
	s_mov_b32 s26, s80
	s_mov_b32 s21, s81
	s_mov_b32 s22, s82
	s_mov_b32 s15, s83
	v_add_nc_u32_e32 v54, s11, v52
	s_clause 0x2
	global_load_b128 v[166:169], v44, s[4:5] scale_offset
	global_load_b128 v[170:173], v46, s[4:5] scale_offset
	;; [unrolled: 1-line block ×3, first 2 shown]
	s_mov_b32 s20, s84
	s_mov_b32 s13, s85
	;; [unrolled: 1-line block ×3, first 2 shown]
	v_add_nc_u32_e32 v56, s11, v54
	s_mov_b32 s12, s88
	s_mov_b32 s9, s89
	;; [unrolled: 1-line block ×4, first 2 shown]
	v_add_nc_u32_e32 v58, s11, v56
	s_clause 0x3
	global_load_b128 v[178:181], v50, s[4:5] scale_offset
	global_load_b128 v[182:185], v52, s[4:5] scale_offset
	;; [unrolled: 1-line block ×4, first 2 shown]
	s_mov_b32 s29, s92
	s_mov_b32 s23, s93
	v_add_nc_u32_e32 v60, s11, v58
	s_mov_b32 s25, s94
	s_bitcmp0_b32 s70, 0
	s_mov_b32 s3, -1
	s_delay_alu instid0(VALU_DEP_1) | instskip(NEXT) | instid1(VALU_DEP_1)
	v_add_nc_u32_e32 v62, s11, v60
	v_add_nc_u32_e32 v64, s11, v62
	s_delay_alu instid0(VALU_DEP_1) | instskip(SKIP_4) | instid1(VALU_DEP_1)
	v_add_nc_u32_e32 v68, s11, v64
	s_clause 0x1
	global_load_b128 v[194:197], v58, s[4:5] scale_offset
	global_load_b128 v[198:201], v60, s[4:5] scale_offset
	v_add_nc_u32_e32 v66, s11, v68
	v_add_nc_u32_e32 v70, s11, v66
	s_clause 0x1
	global_load_b128 v[202:205], v62, s[4:5] scale_offset
	global_load_b128 v[206:209], v64, s[4:5] scale_offset
	v_add_nc_u32_e32 v72, s11, v70
	s_delay_alu instid0(VALU_DEP_1) | instskip(NEXT) | instid1(VALU_DEP_1)
	v_add_nc_u32_e32 v74, s11, v72
	v_add_nc_u32_e32 v76, s11, v74
	s_delay_alu instid0(VALU_DEP_1)
	v_add_nc_u32_e32 v78, s11, v76
	s_clause 0x3
	global_load_b128 v[210:213], v68, s[4:5] scale_offset
	global_load_b128 v[214:217], v66, s[4:5] scale_offset
	;; [unrolled: 1-line block ×4, first 2 shown]
	v_add_nc_u32_e32 v80, s11, v78
	s_delay_alu instid0(VALU_DEP_1)
	v_add_nc_u32_e32 v82, s11, v80
	s_clause 0x3
	global_load_b128 v[226:229], v74, s[4:5] scale_offset
	global_load_b128 v[230:233], v76, s[4:5] scale_offset
	;; [unrolled: 1-line block ×4, first 2 shown]
	v_add_nc_u32_e32 v84, s11, v82
	s_delay_alu instid0(VALU_DEP_1) | instskip(NEXT) | instid1(VALU_DEP_1)
	v_add_nc_u32_e32 v86, s11, v84
	v_add_nc_u32_e32 v88, s11, v86
	s_delay_alu instid0(VALU_DEP_1) | instskip(NEXT) | instid1(VALU_DEP_1)
	v_add_nc_u32_e32 v90, s11, v88
	v_add_nc_u32_e32 v92, s11, v90
	s_delay_alu instid0(VALU_DEP_1)
	v_add_nc_u32_e32 v94, s11, v92
	s_clause 0x3
	global_load_b128 v[242:245], v82, s[4:5] scale_offset
	global_load_b128 v[246:249], v84, s[4:5] scale_offset
	;; [unrolled: 1-line block ×4, first 2 shown]
	v_add_nc_u32_e32 v96, s11, v94
	s_delay_alu instid0(VALU_DEP_1) | instskip(NEXT) | instid1(VALU_DEP_1)
	v_add_nc_u32_e32 v98, s11, v96
	v_add_nc_u32_e32 v100, s11, v98
	s_delay_alu instid0(VALU_DEP_1) | instskip(NEXT) | instid1(VALU_DEP_1)
	v_add_nc_u32_e32 v102, s11, v100
	;; [unrolled: 3-line block ×4, first 2 shown]
	v_add_nc_u32_e32 v112, s11, v110
	s_wait_loadcnt 0x25
	scratch_store_b128 off, v[2:5], off offset:32
	s_wait_loadcnt 0x24
	scratch_store_b128 off, v[6:9], off offset:48
	;; [unrolled: 2-line block ×3, first 2 shown]
	s_clause 0x1
	global_load_b128 v[2:5], v90, s[4:5] scale_offset
	global_load_b128 v[6:9], v92, s[4:5] scale_offset
	s_wait_loadcnt 0x24
	scratch_store_b128 off, v[114:117], off
	s_wait_loadcnt 0x23
	scratch_store_b128 off, v[118:121], off offset:16
	s_wait_xcnt 0x1
	v_add_nc_u32_e32 v114, s11, v112
	s_clause 0x2
	global_load_b128 v[10:13], v94, s[4:5] scale_offset
	s_set_vgpr_msb 64                       ;  msbs: dst=1 src0=0 src1=0 src2=0
	global_load_b128 v[2:5] /*v[258:261]*/, v96, s[4:5] scale_offset
	s_wait_loadcnt 0x24
	scratch_store_b128 off, v[122:125], off offset:80
	s_wait_loadcnt 0x23
	scratch_store_b128 off, v[130:133], off offset:96
	;; [unrolled: 2-line block ×3, first 2 shown]
	s_set_vgpr_msb 0                        ;  msbs: dst=0 src0=0 src1=0 src2=0
	s_clause 0x1
	global_load_b128 v[130:133], v98, s[4:5] scale_offset
	global_load_b128 v[134:137], v100, s[4:5] scale_offset
	v_add_nc_u32_e32 v116, s11, v114
	s_wait_loadcnt 0x23
	scratch_store_b128 off, v[138:141], off offset:128
	s_wait_loadcnt 0x22
	scratch_store_b128 off, v[142:145], off offset:144
	s_clause 0x1
	global_load_b128 v[138:141], v102, s[4:5] scale_offset
	global_load_b128 v[142:145], v104, s[4:5] scale_offset
	s_wait_loadcnt 0x23
	scratch_store_b128 off, v[146:149], off offset:160
	s_wait_loadcnt 0x22
	scratch_store_b128 off, v[150:153], off offset:176
	;; [unrolled: 2-line block ×3, first 2 shown]
	v_add_nc_u32_e32 v118, s11, v116
	s_clause 0x1
	global_load_b128 v[146:149], v106, s[4:5] scale_offset
	global_load_b128 v[150:153], v108, s[4:5] scale_offset
	s_wait_loadcnt 0x22
	scratch_store_b128 off, v[158:161], off offset:208
	s_wait_loadcnt 0x21
	scratch_store_b128 off, v[162:165], off offset:224
	v_add_nc_u32_e32 v120, s11, v118
	s_clause 0x1
	global_load_b128 v[154:157], v110, s[4:5] scale_offset
	global_load_b128 v[158:161], v112, s[4:5] scale_offset
	v_add_nc_u32_e32 v122, s11, v120
	s_delay_alu instid0(VALU_DEP_1) | instskip(NEXT) | instid1(VALU_DEP_1)
	v_add_nc_u32_e32 v124, s11, v122
	v_add_nc_u32_e32 v126, s11, v124
	s_mov_b32 s11, s87
	s_wait_loadcnt 0x22
	scratch_store_b128 off, v[166:169], off offset:240
	s_wait_loadcnt 0x21
	scratch_store_b128 off, v[170:173], off offset:256
	;; [unrolled: 2-line block ×3, first 2 shown]
	s_clause 0x1
	global_load_b128 v[162:165], v114, s[4:5] scale_offset
	global_load_b128 v[166:169], v116, s[4:5] scale_offset
	s_wait_loadcnt 0x21
	scratch_store_b128 off, v[178:181], off offset:288
	s_wait_loadcnt 0x20
	scratch_store_b128 off, v[182:185], off offset:304
	s_clause 0x1
	global_load_b128 v[170:173], v118, s[4:5] scale_offset
	global_load_b128 v[174:177], v120, s[4:5] scale_offset
	s_wait_loadcnt 0x21
	scratch_store_b128 off, v[186:189], off offset:320
	s_wait_loadcnt 0x20
	scratch_store_b128 off, v[190:193], off offset:336
	s_clause 0x2
	global_load_b128 v[178:181], v122, s[4:5] scale_offset
	global_load_b128 v[182:185], v124, s[4:5] scale_offset
	;; [unrolled: 1-line block ×3, first 2 shown]
	s_wait_loadcnt 0x22
	scratch_store_b128 off, v[194:197], off offset:352
	s_wait_loadcnt 0x21
	scratch_store_b128 off, v[198:201], off offset:368
	;; [unrolled: 2-line block ×19, first 2 shown]
	s_wait_loadcnt 0xf
	s_set_vgpr_msb 4                        ;  msbs: dst=0 src0=0 src1=1 src2=0
	scratch_store_b128 off, v[2:5] /*v[258:261]*/, off offset:656
	s_wait_loadcnt 0xe
	s_set_vgpr_msb 0                        ;  msbs: dst=0 src0=0 src1=0 src2=0
	scratch_store_b128 off, v[130:133], off offset:672
	s_wait_loadcnt 0xd
	scratch_store_b128 off, v[134:137], off offset:688
	s_wait_loadcnt 0xc
	;; [unrolled: 2-line block ×14, first 2 shown]
	scratch_store_b128 off, v[186:189], off offset:896
	s_cbranch_scc1 .LBB56_240
; %bb.4:
	v_cmp_eq_u32_e64 s2, 0, v1
	s_wait_xcnt 0x0
	s_and_saveexec_b32 s3, s2
; %bb.5:
	v_mov_b32_e32 v2, 0
	ds_store_b32 v2, v2 offset:1824
; %bb.6:
	s_or_b32 exec_lo, exec_lo, s3
	s_wait_storecnt_dscnt 0x0
	s_barrier_signal -1
	s_barrier_wait -1
	scratch_load_b128 v[2:5], v1, off scale_offset
	s_wait_loadcnt 0x0
	v_cmp_eq_f64_e32 vcc_lo, 0, v[2:3]
	v_cmp_eq_f64_e64 s3, 0, v[4:5]
	s_and_b32 s3, vcc_lo, s3
	s_delay_alu instid0(SALU_CYCLE_1)
	s_and_saveexec_b32 s70, s3
	s_cbranch_execz .LBB56_10
; %bb.7:
	v_mov_b32_e32 v2, 0
	s_mov_b32 s71, 0
	ds_load_b32 v3, v2 offset:1824
	s_wait_dscnt 0x0
	v_readfirstlane_b32 s3, v3
	v_add_nc_u32_e32 v3, 1, v1
	s_cmp_eq_u32 s3, 0
	s_delay_alu instid0(VALU_DEP_1) | instskip(SKIP_1) | instid1(SALU_CYCLE_1)
	v_cmp_gt_i32_e32 vcc_lo, s3, v3
	s_cselect_b32 s72, -1, 0
	s_or_b32 s72, s72, vcc_lo
	s_delay_alu instid0(SALU_CYCLE_1)
	s_and_b32 exec_lo, exec_lo, s72
	s_cbranch_execz .LBB56_10
; %bb.8:
	v_mov_b32_e32 v4, s3
.LBB56_9:                               ; =>This Inner Loop Header: Depth=1
	ds_cmpstore_rtn_b32 v4, v2, v3, v4 offset:1824
	s_wait_dscnt 0x0
	v_cmp_ne_u32_e32 vcc_lo, 0, v4
	v_cmp_le_i32_e64 s3, v4, v3
	s_and_b32 s3, vcc_lo, s3
	s_delay_alu instid0(SALU_CYCLE_1) | instskip(NEXT) | instid1(SALU_CYCLE_1)
	s_and_b32 s3, exec_lo, s3
	s_or_b32 s71, s3, s71
	s_delay_alu instid0(SALU_CYCLE_1)
	s_and_not1_b32 exec_lo, exec_lo, s71
	s_cbranch_execnz .LBB56_9
.LBB56_10:
	s_or_b32 exec_lo, exec_lo, s70
	v_mov_b32_e32 v2, 0
	s_barrier_signal -1
	s_barrier_wait -1
	ds_load_b32 v3, v2 offset:1824
	s_and_saveexec_b32 s3, s2
	s_cbranch_execz .LBB56_12
; %bb.11:
	s_lshl_b64 s[70:71], s[18:19], 2
	s_delay_alu instid0(SALU_CYCLE_1)
	s_add_nc_u64 s[70:71], s[6:7], s[70:71]
	s_wait_dscnt 0x0
	global_store_b32 v2, v3, s[70:71]
.LBB56_12:
	s_wait_xcnt 0x0
	s_or_b32 exec_lo, exec_lo, s3
	s_wait_dscnt 0x0
	v_cmp_ne_u32_e32 vcc_lo, 0, v3
	s_mov_b32 s3, 0
	s_cbranch_vccnz .LBB56_240
; %bb.13:
	v_lshl_add_u32 v19, v1, 4, 0
                                        ; implicit-def: $vgpr6_vgpr7
                                        ; implicit-def: $vgpr10_vgpr11
	scratch_load_b128 v[2:5], v19, off
	s_wait_loadcnt 0x0
	v_cmp_ngt_f64_e64 s3, |v[2:3]|, |v[4:5]|
	s_wait_xcnt 0x0
	s_and_saveexec_b32 s70, s3
	s_delay_alu instid0(SALU_CYCLE_1)
	s_xor_b32 s3, exec_lo, s70
	s_cbranch_execz .LBB56_15
; %bb.14:
	v_div_scale_f64 v[6:7], null, v[4:5], v[4:5], v[2:3]
	v_div_scale_f64 v[12:13], vcc_lo, v[2:3], v[4:5], v[2:3]
	s_delay_alu instid0(VALU_DEP_2) | instskip(SKIP_1) | instid1(TRANS32_DEP_1)
	v_rcp_f64_e32 v[8:9], v[6:7]
	v_nop
	v_fma_f64 v[10:11], -v[6:7], v[8:9], 1.0
	s_delay_alu instid0(VALU_DEP_1) | instskip(NEXT) | instid1(VALU_DEP_1)
	v_fmac_f64_e32 v[8:9], v[8:9], v[10:11]
	v_fma_f64 v[10:11], -v[6:7], v[8:9], 1.0
	s_delay_alu instid0(VALU_DEP_1) | instskip(NEXT) | instid1(VALU_DEP_1)
	v_fmac_f64_e32 v[8:9], v[8:9], v[10:11]
	v_mul_f64_e32 v[10:11], v[12:13], v[8:9]
	s_delay_alu instid0(VALU_DEP_1) | instskip(NEXT) | instid1(VALU_DEP_1)
	v_fma_f64 v[6:7], -v[6:7], v[10:11], v[12:13]
	v_div_fmas_f64 v[6:7], v[6:7], v[8:9], v[10:11]
	s_delay_alu instid0(VALU_DEP_1) | instskip(NEXT) | instid1(VALU_DEP_1)
	v_div_fixup_f64 v[6:7], v[6:7], v[4:5], v[2:3]
	v_fmac_f64_e32 v[4:5], v[2:3], v[6:7]
	s_delay_alu instid0(VALU_DEP_1) | instskip(SKIP_1) | instid1(VALU_DEP_2)
	v_div_scale_f64 v[2:3], null, v[4:5], v[4:5], 1.0
	v_div_scale_f64 v[12:13], vcc_lo, 1.0, v[4:5], 1.0
	v_rcp_f64_e32 v[8:9], v[2:3]
	v_nop
	s_delay_alu instid0(TRANS32_DEP_1) | instskip(NEXT) | instid1(VALU_DEP_1)
	v_fma_f64 v[10:11], -v[2:3], v[8:9], 1.0
	v_fmac_f64_e32 v[8:9], v[8:9], v[10:11]
	s_delay_alu instid0(VALU_DEP_1) | instskip(NEXT) | instid1(VALU_DEP_1)
	v_fma_f64 v[10:11], -v[2:3], v[8:9], 1.0
	v_fmac_f64_e32 v[8:9], v[8:9], v[10:11]
	s_delay_alu instid0(VALU_DEP_1) | instskip(NEXT) | instid1(VALU_DEP_1)
	v_mul_f64_e32 v[10:11], v[12:13], v[8:9]
	v_fma_f64 v[2:3], -v[2:3], v[10:11], v[12:13]
	s_delay_alu instid0(VALU_DEP_1) | instskip(NEXT) | instid1(VALU_DEP_1)
	v_div_fmas_f64 v[2:3], v[2:3], v[8:9], v[10:11]
	v_div_fixup_f64 v[8:9], v[2:3], v[4:5], 1.0
                                        ; implicit-def: $vgpr2_vgpr3
	s_delay_alu instid0(VALU_DEP_1) | instskip(SKIP_1) | instid1(VALU_DEP_2)
	v_mul_f64_e32 v[6:7], v[6:7], v[8:9]
	v_xor_b32_e32 v9, 0x80000000, v9
	v_xor_b32_e32 v11, 0x80000000, v7
	s_delay_alu instid0(VALU_DEP_3)
	v_mov_b32_e32 v10, v6
.LBB56_15:
	s_and_not1_saveexec_b32 s3, s3
	s_cbranch_execz .LBB56_17
; %bb.16:
	v_div_scale_f64 v[6:7], null, v[2:3], v[2:3], v[4:5]
	v_div_scale_f64 v[12:13], vcc_lo, v[4:5], v[2:3], v[4:5]
	s_delay_alu instid0(VALU_DEP_2) | instskip(SKIP_1) | instid1(TRANS32_DEP_1)
	v_rcp_f64_e32 v[8:9], v[6:7]
	v_nop
	v_fma_f64 v[10:11], -v[6:7], v[8:9], 1.0
	s_delay_alu instid0(VALU_DEP_1) | instskip(NEXT) | instid1(VALU_DEP_1)
	v_fmac_f64_e32 v[8:9], v[8:9], v[10:11]
	v_fma_f64 v[10:11], -v[6:7], v[8:9], 1.0
	s_delay_alu instid0(VALU_DEP_1) | instskip(NEXT) | instid1(VALU_DEP_1)
	v_fmac_f64_e32 v[8:9], v[8:9], v[10:11]
	v_mul_f64_e32 v[10:11], v[12:13], v[8:9]
	s_delay_alu instid0(VALU_DEP_1) | instskip(NEXT) | instid1(VALU_DEP_1)
	v_fma_f64 v[6:7], -v[6:7], v[10:11], v[12:13]
	v_div_fmas_f64 v[6:7], v[6:7], v[8:9], v[10:11]
	s_delay_alu instid0(VALU_DEP_1) | instskip(NEXT) | instid1(VALU_DEP_1)
	v_div_fixup_f64 v[8:9], v[6:7], v[2:3], v[4:5]
	v_fmac_f64_e32 v[2:3], v[4:5], v[8:9]
	s_delay_alu instid0(VALU_DEP_1) | instskip(NEXT) | instid1(VALU_DEP_1)
	v_div_scale_f64 v[4:5], null, v[2:3], v[2:3], 1.0
	v_rcp_f64_e32 v[6:7], v[4:5]
	v_nop
	s_delay_alu instid0(TRANS32_DEP_1) | instskip(NEXT) | instid1(VALU_DEP_1)
	v_fma_f64 v[10:11], -v[4:5], v[6:7], 1.0
	v_fmac_f64_e32 v[6:7], v[6:7], v[10:11]
	s_delay_alu instid0(VALU_DEP_1) | instskip(NEXT) | instid1(VALU_DEP_1)
	v_fma_f64 v[10:11], -v[4:5], v[6:7], 1.0
	v_fmac_f64_e32 v[6:7], v[6:7], v[10:11]
	v_div_scale_f64 v[10:11], vcc_lo, 1.0, v[2:3], 1.0
	s_delay_alu instid0(VALU_DEP_1) | instskip(NEXT) | instid1(VALU_DEP_1)
	v_mul_f64_e32 v[12:13], v[10:11], v[6:7]
	v_fma_f64 v[4:5], -v[4:5], v[12:13], v[10:11]
	s_delay_alu instid0(VALU_DEP_1) | instskip(NEXT) | instid1(VALU_DEP_1)
	v_div_fmas_f64 v[4:5], v[4:5], v[6:7], v[12:13]
	v_div_fixup_f64 v[6:7], v[4:5], v[2:3], 1.0
	s_delay_alu instid0(VALU_DEP_1)
	v_mul_f64_e64 v[8:9], v[8:9], -v[6:7]
	v_xor_b32_e32 v11, 0x80000000, v7
	v_mov_b32_e32 v10, v6
.LBB56_17:
	s_or_b32 exec_lo, exec_lo, s3
	s_clause 0x1
	scratch_store_b128 v19, v[6:9], off
	scratch_load_b128 v[2:5], off, s52
	v_xor_b32_e32 v13, 0x80000000, v9
	v_mov_b32_e32 v12, v8
	s_wait_xcnt 0x1
	v_add_nc_u32_e32 v6, 0x390, v128
	ds_store_b128 v128, v[10:13]
	s_wait_loadcnt 0x0
	ds_store_b128 v128, v[2:5] offset:912
	s_wait_storecnt_dscnt 0x0
	s_barrier_signal -1
	s_barrier_wait -1
	s_wait_xcnt 0x0
	s_and_saveexec_b32 s3, s2
	s_cbranch_execz .LBB56_19
; %bb.18:
	scratch_load_b128 v[2:5], v19, off
	ds_load_b128 v[8:11], v6
	v_mov_b32_e32 v7, 0
	ds_load_b128 v[130:133], v7 offset:16
	s_wait_loadcnt_dscnt 0x1
	v_mul_f64_e32 v[12:13], v[8:9], v[4:5]
	v_mul_f64_e32 v[4:5], v[10:11], v[4:5]
	s_delay_alu instid0(VALU_DEP_2) | instskip(NEXT) | instid1(VALU_DEP_2)
	v_fmac_f64_e32 v[12:13], v[10:11], v[2:3]
	v_fma_f64 v[2:3], v[8:9], v[2:3], -v[4:5]
	s_delay_alu instid0(VALU_DEP_2) | instskip(NEXT) | instid1(VALU_DEP_2)
	v_add_f64_e32 v[8:9], 0, v[12:13]
	v_add_f64_e32 v[2:3], 0, v[2:3]
	s_wait_dscnt 0x0
	s_delay_alu instid0(VALU_DEP_2) | instskip(NEXT) | instid1(VALU_DEP_2)
	v_mul_f64_e32 v[10:11], v[8:9], v[132:133]
	v_mul_f64_e32 v[4:5], v[2:3], v[132:133]
	s_delay_alu instid0(VALU_DEP_2) | instskip(NEXT) | instid1(VALU_DEP_2)
	v_fma_f64 v[2:3], v[2:3], v[130:131], -v[10:11]
	v_fmac_f64_e32 v[4:5], v[8:9], v[130:131]
	scratch_store_b128 off, v[2:5], off offset:16
.LBB56_19:
	s_wait_xcnt 0x0
	s_or_b32 exec_lo, exec_lo, s3
	s_wait_storecnt 0x0
	s_barrier_signal -1
	s_barrier_wait -1
	scratch_load_b128 v[2:5], off, s51
	s_mov_b32 s3, exec_lo
	s_wait_loadcnt 0x0
	ds_store_b128 v6, v[2:5]
	s_wait_dscnt 0x0
	s_barrier_signal -1
	s_barrier_wait -1
	v_cmpx_gt_u32_e32 2, v1
	s_cbranch_execz .LBB56_23
; %bb.20:
	scratch_load_b128 v[2:5], v19, off
	ds_load_b128 v[8:11], v6
	s_wait_loadcnt_dscnt 0x0
	v_mul_f64_e32 v[12:13], v[10:11], v[4:5]
	v_mul_f64_e32 v[130:131], v[8:9], v[4:5]
	s_delay_alu instid0(VALU_DEP_2) | instskip(NEXT) | instid1(VALU_DEP_2)
	v_fma_f64 v[4:5], v[8:9], v[2:3], -v[12:13]
	v_fmac_f64_e32 v[130:131], v[10:11], v[2:3]
	s_delay_alu instid0(VALU_DEP_2) | instskip(NEXT) | instid1(VALU_DEP_2)
	v_add_f64_e32 v[4:5], 0, v[4:5]
	v_add_f64_e32 v[2:3], 0, v[130:131]
	s_and_saveexec_b32 s70, s2
	s_cbranch_execz .LBB56_22
; %bb.21:
	scratch_load_b128 v[8:11], off, off offset:16
	v_mov_b32_e32 v7, 0
	ds_load_b128 v[130:133], v7 offset:928
	s_wait_loadcnt_dscnt 0x0
	v_mul_f64_e32 v[12:13], v[130:131], v[10:11]
	v_mul_f64_e32 v[10:11], v[132:133], v[10:11]
	s_delay_alu instid0(VALU_DEP_2) | instskip(NEXT) | instid1(VALU_DEP_2)
	v_fmac_f64_e32 v[12:13], v[132:133], v[8:9]
	v_fma_f64 v[8:9], v[130:131], v[8:9], -v[10:11]
	s_delay_alu instid0(VALU_DEP_2) | instskip(NEXT) | instid1(VALU_DEP_2)
	v_add_f64_e32 v[2:3], v[2:3], v[12:13]
	v_add_f64_e32 v[4:5], v[4:5], v[8:9]
.LBB56_22:
	s_or_b32 exec_lo, exec_lo, s70
	v_mov_b32_e32 v7, 0
	ds_load_b128 v[8:11], v7 offset:32
	s_wait_dscnt 0x0
	v_mul_f64_e32 v[130:131], v[2:3], v[10:11]
	v_mul_f64_e32 v[12:13], v[4:5], v[10:11]
	s_delay_alu instid0(VALU_DEP_2) | instskip(NEXT) | instid1(VALU_DEP_2)
	v_fma_f64 v[10:11], v[4:5], v[8:9], -v[130:131]
	v_fmac_f64_e32 v[12:13], v[2:3], v[8:9]
	scratch_store_b128 off, v[10:13], off offset:32
.LBB56_23:
	s_wait_xcnt 0x0
	s_or_b32 exec_lo, exec_lo, s3
	s_wait_storecnt 0x0
	s_barrier_signal -1
	s_barrier_wait -1
	scratch_load_b128 v[2:5], off, s50
	v_add_nc_u32_e32 v7, -1, v1
	s_mov_b32 s2, exec_lo
	s_wait_loadcnt 0x0
	ds_store_b128 v6, v[2:5]
	s_wait_dscnt 0x0
	s_barrier_signal -1
	s_barrier_wait -1
	v_cmpx_gt_u32_e32 3, v1
	s_cbranch_execz .LBB56_27
; %bb.24:
	v_dual_mov_b32 v10, v128 :: v_dual_add_nc_u32 v8, -1, v1
	v_mov_b64_e32 v[2:3], 0
	v_mov_b64_e32 v[4:5], 0
	v_add_nc_u32_e32 v9, 0x390, v128
	s_delay_alu instid0(VALU_DEP_4)
	v_or_b32_e32 v10, 8, v10
	s_mov_b32 s3, 0
.LBB56_25:                              ; =>This Inner Loop Header: Depth=1
	scratch_load_b128 v[130:133], v10, off offset:-8
	ds_load_b128 v[134:137], v9
	s_wait_xcnt 0x0
	v_dual_add_nc_u32 v9, 16, v9 :: v_dual_add_nc_u32 v10, 16, v10
	v_add_nc_u32_e32 v8, 1, v8
	s_delay_alu instid0(VALU_DEP_1) | instskip(SKIP_4) | instid1(VALU_DEP_2)
	v_cmp_lt_u32_e32 vcc_lo, 1, v8
	s_or_b32 s3, vcc_lo, s3
	s_wait_loadcnt_dscnt 0x0
	v_mul_f64_e32 v[12:13], v[136:137], v[132:133]
	v_mul_f64_e32 v[132:133], v[134:135], v[132:133]
	v_fma_f64 v[12:13], v[134:135], v[130:131], -v[12:13]
	s_delay_alu instid0(VALU_DEP_2) | instskip(NEXT) | instid1(VALU_DEP_2)
	v_fmac_f64_e32 v[132:133], v[136:137], v[130:131]
	v_add_f64_e32 v[4:5], v[4:5], v[12:13]
	s_delay_alu instid0(VALU_DEP_2)
	v_add_f64_e32 v[2:3], v[2:3], v[132:133]
	s_and_not1_b32 exec_lo, exec_lo, s3
	s_cbranch_execnz .LBB56_25
; %bb.26:
	s_or_b32 exec_lo, exec_lo, s3
	v_mov_b32_e32 v8, 0
	ds_load_b128 v[8:11], v8 offset:48
	s_wait_dscnt 0x0
	v_mul_f64_e32 v[130:131], v[2:3], v[10:11]
	v_mul_f64_e32 v[12:13], v[4:5], v[10:11]
	s_delay_alu instid0(VALU_DEP_2) | instskip(NEXT) | instid1(VALU_DEP_2)
	v_fma_f64 v[10:11], v[4:5], v[8:9], -v[130:131]
	v_fmac_f64_e32 v[12:13], v[2:3], v[8:9]
	scratch_store_b128 off, v[10:13], off offset:48
.LBB56_27:
	s_wait_xcnt 0x0
	s_or_b32 exec_lo, exec_lo, s2
	s_wait_storecnt 0x0
	s_barrier_signal -1
	s_barrier_wait -1
	scratch_load_b128 v[2:5], off, s49
	s_mov_b32 s2, exec_lo
	s_wait_loadcnt 0x0
	ds_store_b128 v6, v[2:5]
	s_wait_dscnt 0x0
	s_barrier_signal -1
	s_barrier_wait -1
	v_cmpx_gt_u32_e32 4, v1
	s_cbranch_execz .LBB56_31
; %bb.28:
	v_dual_mov_b32 v10, v128 :: v_dual_add_nc_u32 v8, -1, v1
	v_mov_b64_e32 v[2:3], 0
	v_mov_b64_e32 v[4:5], 0
	v_add_nc_u32_e32 v9, 0x390, v128
	s_delay_alu instid0(VALU_DEP_4)
	v_or_b32_e32 v10, 8, v10
	s_mov_b32 s3, 0
.LBB56_29:                              ; =>This Inner Loop Header: Depth=1
	scratch_load_b128 v[130:133], v10, off offset:-8
	ds_load_b128 v[134:137], v9
	s_wait_xcnt 0x0
	v_dual_add_nc_u32 v9, 16, v9 :: v_dual_add_nc_u32 v10, 16, v10
	v_add_nc_u32_e32 v8, 1, v8
	s_delay_alu instid0(VALU_DEP_1) | instskip(SKIP_4) | instid1(VALU_DEP_2)
	v_cmp_lt_u32_e32 vcc_lo, 2, v8
	s_or_b32 s3, vcc_lo, s3
	s_wait_loadcnt_dscnt 0x0
	v_mul_f64_e32 v[12:13], v[136:137], v[132:133]
	v_mul_f64_e32 v[132:133], v[134:135], v[132:133]
	v_fma_f64 v[12:13], v[134:135], v[130:131], -v[12:13]
	s_delay_alu instid0(VALU_DEP_2) | instskip(NEXT) | instid1(VALU_DEP_2)
	v_fmac_f64_e32 v[132:133], v[136:137], v[130:131]
	v_add_f64_e32 v[4:5], v[4:5], v[12:13]
	s_delay_alu instid0(VALU_DEP_2)
	v_add_f64_e32 v[2:3], v[2:3], v[132:133]
	s_and_not1_b32 exec_lo, exec_lo, s3
	s_cbranch_execnz .LBB56_29
; %bb.30:
	s_or_b32 exec_lo, exec_lo, s3
	v_mov_b32_e32 v8, 0
	ds_load_b128 v[8:11], v8 offset:64
	s_wait_dscnt 0x0
	v_mul_f64_e32 v[130:131], v[2:3], v[10:11]
	v_mul_f64_e32 v[12:13], v[4:5], v[10:11]
	s_delay_alu instid0(VALU_DEP_2) | instskip(NEXT) | instid1(VALU_DEP_2)
	v_fma_f64 v[10:11], v[4:5], v[8:9], -v[130:131]
	v_fmac_f64_e32 v[12:13], v[2:3], v[8:9]
	scratch_store_b128 off, v[10:13], off offset:64
.LBB56_31:
	s_wait_xcnt 0x0
	s_or_b32 exec_lo, exec_lo, s2
	s_wait_storecnt 0x0
	s_barrier_signal -1
	s_barrier_wait -1
	scratch_load_b128 v[2:5], off, s68
	;; [unrolled: 54-line block ×19, first 2 shown]
	s_mov_b32 s2, exec_lo
	s_wait_loadcnt 0x0
	ds_store_b128 v6, v[2:5]
	s_wait_dscnt 0x0
	s_barrier_signal -1
	s_barrier_wait -1
	v_cmpx_gt_u32_e32 22, v1
	s_cbranch_execz .LBB56_103
; %bb.100:
	v_dual_mov_b32 v10, v128 :: v_dual_add_nc_u32 v8, -1, v1
	v_mov_b64_e32 v[2:3], 0
	v_mov_b64_e32 v[4:5], 0
	v_add_nc_u32_e32 v9, 0x390, v128
	s_delay_alu instid0(VALU_DEP_4)
	v_or_b32_e32 v10, 8, v10
	s_mov_b32 s3, 0
.LBB56_101:                             ; =>This Inner Loop Header: Depth=1
	scratch_load_b128 v[130:133], v10, off offset:-8
	ds_load_b128 v[134:137], v9
	s_wait_xcnt 0x0
	v_dual_add_nc_u32 v9, 16, v9 :: v_dual_add_nc_u32 v10, 16, v10
	v_add_nc_u32_e32 v8, 1, v8
	s_delay_alu instid0(VALU_DEP_1) | instskip(SKIP_4) | instid1(VALU_DEP_2)
	v_cmp_lt_u32_e32 vcc_lo, 20, v8
	s_or_b32 s3, vcc_lo, s3
	s_wait_loadcnt_dscnt 0x0
	v_mul_f64_e32 v[12:13], v[136:137], v[132:133]
	v_mul_f64_e32 v[132:133], v[134:135], v[132:133]
	v_fma_f64 v[12:13], v[134:135], v[130:131], -v[12:13]
	s_delay_alu instid0(VALU_DEP_2) | instskip(NEXT) | instid1(VALU_DEP_2)
	v_fmac_f64_e32 v[132:133], v[136:137], v[130:131]
	v_add_f64_e32 v[4:5], v[4:5], v[12:13]
	s_delay_alu instid0(VALU_DEP_2)
	v_add_f64_e32 v[2:3], v[2:3], v[132:133]
	s_and_not1_b32 exec_lo, exec_lo, s3
	s_cbranch_execnz .LBB56_101
; %bb.102:
	s_or_b32 exec_lo, exec_lo, s3
	v_mov_b32_e32 v8, 0
	ds_load_b128 v[8:11], v8 offset:352
	s_wait_dscnt 0x0
	v_mul_f64_e32 v[130:131], v[2:3], v[10:11]
	v_mul_f64_e32 v[12:13], v[4:5], v[10:11]
	s_delay_alu instid0(VALU_DEP_2) | instskip(NEXT) | instid1(VALU_DEP_2)
	v_fma_f64 v[10:11], v[4:5], v[8:9], -v[130:131]
	v_fmac_f64_e32 v[12:13], v[2:3], v[8:9]
	scratch_store_b128 off, v[10:13], off offset:352
.LBB56_103:
	s_wait_xcnt 0x0
	s_or_b32 exec_lo, exec_lo, s2
	s_wait_storecnt 0x0
	s_barrier_signal -1
	s_barrier_wait -1
	scratch_load_b128 v[2:5], off, s40
	s_mov_b32 s2, exec_lo
	s_wait_loadcnt 0x0
	ds_store_b128 v6, v[2:5]
	s_wait_dscnt 0x0
	s_barrier_signal -1
	s_barrier_wait -1
	v_cmpx_gt_u32_e32 23, v1
	s_cbranch_execz .LBB56_107
; %bb.104:
	v_dual_mov_b32 v10, v128 :: v_dual_add_nc_u32 v8, -1, v1
	v_mov_b64_e32 v[2:3], 0
	v_mov_b64_e32 v[4:5], 0
	v_add_nc_u32_e32 v9, 0x390, v128
	s_delay_alu instid0(VALU_DEP_4)
	v_or_b32_e32 v10, 8, v10
	s_mov_b32 s3, 0
.LBB56_105:                             ; =>This Inner Loop Header: Depth=1
	scratch_load_b128 v[130:133], v10, off offset:-8
	ds_load_b128 v[134:137], v9
	s_wait_xcnt 0x0
	v_dual_add_nc_u32 v9, 16, v9 :: v_dual_add_nc_u32 v10, 16, v10
	v_add_nc_u32_e32 v8, 1, v8
	s_delay_alu instid0(VALU_DEP_1) | instskip(SKIP_4) | instid1(VALU_DEP_2)
	v_cmp_lt_u32_e32 vcc_lo, 21, v8
	s_or_b32 s3, vcc_lo, s3
	s_wait_loadcnt_dscnt 0x0
	v_mul_f64_e32 v[12:13], v[136:137], v[132:133]
	v_mul_f64_e32 v[132:133], v[134:135], v[132:133]
	v_fma_f64 v[12:13], v[134:135], v[130:131], -v[12:13]
	s_delay_alu instid0(VALU_DEP_2) | instskip(NEXT) | instid1(VALU_DEP_2)
	v_fmac_f64_e32 v[132:133], v[136:137], v[130:131]
	v_add_f64_e32 v[4:5], v[4:5], v[12:13]
	s_delay_alu instid0(VALU_DEP_2)
	v_add_f64_e32 v[2:3], v[2:3], v[132:133]
	s_and_not1_b32 exec_lo, exec_lo, s3
	s_cbranch_execnz .LBB56_105
; %bb.106:
	s_or_b32 exec_lo, exec_lo, s3
	v_mov_b32_e32 v8, 0
	ds_load_b128 v[8:11], v8 offset:368
	s_wait_dscnt 0x0
	v_mul_f64_e32 v[130:131], v[2:3], v[10:11]
	v_mul_f64_e32 v[12:13], v[4:5], v[10:11]
	s_delay_alu instid0(VALU_DEP_2) | instskip(NEXT) | instid1(VALU_DEP_2)
	v_fma_f64 v[10:11], v[4:5], v[8:9], -v[130:131]
	v_fmac_f64_e32 v[12:13], v[2:3], v[8:9]
	scratch_store_b128 off, v[10:13], off offset:368
.LBB56_107:
	s_wait_xcnt 0x0
	s_or_b32 exec_lo, exec_lo, s2
	s_wait_storecnt 0x0
	s_barrier_signal -1
	s_barrier_wait -1
	scratch_load_b128 v[2:5], off, s42
	;; [unrolled: 54-line block ×34, first 2 shown]
	s_mov_b32 s2, exec_lo
	s_wait_loadcnt 0x0
	ds_store_b128 v6, v[2:5]
	s_wait_dscnt 0x0
	s_barrier_signal -1
	s_barrier_wait -1
	v_cmpx_ne_u32_e32 56, v1
	s_cbranch_execz .LBB56_239
; %bb.236:
	v_mov_b32_e32 v8, v128
	v_mov_b64_e32 v[2:3], 0
	v_mov_b64_e32 v[4:5], 0
	s_mov_b32 s3, 0
	s_delay_alu instid0(VALU_DEP_3)
	v_or_b32_e32 v8, 8, v8
.LBB56_237:                             ; =>This Inner Loop Header: Depth=1
	scratch_load_b128 v[10:13], v8, off offset:-8
	ds_load_b128 v[128:131], v6
	v_dual_add_nc_u32 v7, 1, v7 :: v_dual_add_nc_u32 v6, 16, v6
	s_wait_xcnt 0x0
	v_add_nc_u32_e32 v8, 16, v8
	s_delay_alu instid0(VALU_DEP_2) | instskip(SKIP_4) | instid1(VALU_DEP_2)
	v_cmp_lt_u32_e32 vcc_lo, 54, v7
	s_or_b32 s3, vcc_lo, s3
	s_wait_loadcnt_dscnt 0x0
	v_mul_f64_e32 v[132:133], v[130:131], v[12:13]
	v_mul_f64_e32 v[12:13], v[128:129], v[12:13]
	v_fma_f64 v[128:129], v[128:129], v[10:11], -v[132:133]
	s_delay_alu instid0(VALU_DEP_2) | instskip(NEXT) | instid1(VALU_DEP_2)
	v_fmac_f64_e32 v[12:13], v[130:131], v[10:11]
	v_add_f64_e32 v[4:5], v[4:5], v[128:129]
	s_delay_alu instid0(VALU_DEP_2)
	v_add_f64_e32 v[2:3], v[2:3], v[12:13]
	s_and_not1_b32 exec_lo, exec_lo, s3
	s_cbranch_execnz .LBB56_237
; %bb.238:
	s_or_b32 exec_lo, exec_lo, s3
	v_mov_b32_e32 v6, 0
	ds_load_b128 v[6:9], v6 offset:896
	s_wait_dscnt 0x0
	v_mul_f64_e32 v[12:13], v[2:3], v[8:9]
	v_mul_f64_e32 v[10:11], v[4:5], v[8:9]
	s_delay_alu instid0(VALU_DEP_2) | instskip(NEXT) | instid1(VALU_DEP_2)
	v_fma_f64 v[8:9], v[4:5], v[6:7], -v[12:13]
	v_fmac_f64_e32 v[10:11], v[2:3], v[6:7]
	scratch_store_b128 off, v[8:11], off offset:896
.LBB56_239:
	s_wait_xcnt 0x0
	s_or_b32 exec_lo, exec_lo, s2
	s_mov_b32 s3, -1
	s_wait_storecnt 0x0
	s_barrier_signal -1
	s_barrier_wait -1
.LBB56_240:
	s_and_b32 vcc_lo, exec_lo, s3
	s_cbranch_vccz .LBB56_242
; %bb.241:
	s_wait_xcnt 0x12
	v_mov_b32_e32 v2, 0
	s_lshl_b64 s[2:3], s[18:19], 2
	s_delay_alu instid0(SALU_CYCLE_1)
	s_add_nc_u64 s[2:3], s[6:7], s[2:3]
	global_load_b32 v2, v2, s[2:3]
	s_wait_loadcnt 0x0
	v_cmp_ne_u32_e32 vcc_lo, 0, v2
	s_cbranch_vccz .LBB56_243
.LBB56_242:
	s_sendmsg sendmsg(MSG_DEALLOC_VGPRS)
	s_endpgm
.LBB56_243:
	s_wait_xcnt 0x11
	v_lshl_add_u32 v12, v1, 4, 0x390
	s_wait_xcnt 0x0
	s_mov_b32 s2, exec_lo
	v_cmpx_eq_u32_e32 56, v1
	s_cbranch_execz .LBB56_245
; %bb.244:
	scratch_load_b128 v[2:5], off, s23
	v_mov_b32_e32 v6, 0
	s_delay_alu instid0(VALU_DEP_1)
	v_dual_mov_b32 v7, v6 :: v_dual_mov_b32 v8, v6
	v_mov_b32_e32 v9, v6
	scratch_store_b128 off, v[6:9], off offset:880
	s_wait_loadcnt 0x0
	ds_store_b128 v12, v[2:5]
.LBB56_245:
	s_wait_xcnt 0x0
	s_or_b32 exec_lo, exec_lo, s2
	s_wait_storecnt_dscnt 0x0
	s_barrier_signal -1
	s_barrier_wait -1
	s_clause 0x1
	scratch_load_b128 v[4:7], off, off offset:896
	scratch_load_b128 v[8:11], off, off offset:880
	v_mov_b32_e32 v2, 0
	s_mov_b32 s2, exec_lo
	ds_load_b128 v[128:131], v2 offset:1808
	s_wait_loadcnt_dscnt 0x100
	v_mul_f64_e32 v[132:133], v[130:131], v[6:7]
	v_mul_f64_e32 v[6:7], v[128:129], v[6:7]
	s_delay_alu instid0(VALU_DEP_2) | instskip(NEXT) | instid1(VALU_DEP_2)
	v_fma_f64 v[128:129], v[128:129], v[4:5], -v[132:133]
	v_fmac_f64_e32 v[6:7], v[130:131], v[4:5]
	s_delay_alu instid0(VALU_DEP_2) | instskip(NEXT) | instid1(VALU_DEP_2)
	v_add_f64_e32 v[4:5], 0, v[128:129]
	v_add_f64_e32 v[6:7], 0, v[6:7]
	s_wait_loadcnt 0x0
	s_delay_alu instid0(VALU_DEP_2) | instskip(NEXT) | instid1(VALU_DEP_2)
	v_add_f64_e64 v[4:5], v[8:9], -v[4:5]
	v_add_f64_e64 v[6:7], v[10:11], -v[6:7]
	scratch_store_b128 off, v[4:7], off offset:880
	s_wait_xcnt 0x0
	v_cmpx_lt_u32_e32 54, v1
	s_cbranch_execz .LBB56_247
; %bb.246:
	scratch_load_b128 v[6:9], off, s29
	v_dual_mov_b32 v3, v2 :: v_dual_mov_b32 v4, v2
	v_mov_b32_e32 v5, v2
	scratch_store_b128 off, v[2:5], off offset:864
	s_wait_loadcnt 0x0
	ds_store_b128 v12, v[6:9]
.LBB56_247:
	s_wait_xcnt 0x0
	s_or_b32 exec_lo, exec_lo, s2
	s_wait_storecnt_dscnt 0x0
	s_barrier_signal -1
	s_barrier_wait -1
	s_clause 0x2
	scratch_load_b128 v[4:7], off, off offset:880
	scratch_load_b128 v[8:11], off, off offset:896
	;; [unrolled: 1-line block ×3, first 2 shown]
	ds_load_b128 v[132:135], v2 offset:1792
	ds_load_b128 v[136:139], v2 offset:1808
	s_mov_b32 s2, exec_lo
	s_wait_loadcnt_dscnt 0x201
	v_mul_f64_e32 v[2:3], v[134:135], v[6:7]
	v_mul_f64_e32 v[6:7], v[132:133], v[6:7]
	s_wait_loadcnt_dscnt 0x100
	v_mul_f64_e32 v[140:141], v[136:137], v[10:11]
	v_mul_f64_e32 v[10:11], v[138:139], v[10:11]
	s_delay_alu instid0(VALU_DEP_4) | instskip(NEXT) | instid1(VALU_DEP_4)
	v_fma_f64 v[2:3], v[132:133], v[4:5], -v[2:3]
	v_fmac_f64_e32 v[6:7], v[134:135], v[4:5]
	s_delay_alu instid0(VALU_DEP_4) | instskip(NEXT) | instid1(VALU_DEP_4)
	v_fmac_f64_e32 v[140:141], v[138:139], v[8:9]
	v_fma_f64 v[4:5], v[136:137], v[8:9], -v[10:11]
	s_delay_alu instid0(VALU_DEP_4) | instskip(NEXT) | instid1(VALU_DEP_4)
	v_add_f64_e32 v[2:3], 0, v[2:3]
	v_add_f64_e32 v[6:7], 0, v[6:7]
	s_delay_alu instid0(VALU_DEP_2) | instskip(NEXT) | instid1(VALU_DEP_2)
	v_add_f64_e32 v[2:3], v[2:3], v[4:5]
	v_add_f64_e32 v[4:5], v[6:7], v[140:141]
	s_wait_loadcnt 0x0
	s_delay_alu instid0(VALU_DEP_2) | instskip(NEXT) | instid1(VALU_DEP_2)
	v_add_f64_e64 v[2:3], v[128:129], -v[2:3]
	v_add_f64_e64 v[4:5], v[130:131], -v[4:5]
	scratch_store_b128 off, v[2:5], off offset:864
	s_wait_xcnt 0x0
	v_cmpx_lt_u32_e32 53, v1
	s_cbranch_execz .LBB56_249
; %bb.248:
	scratch_load_b128 v[2:5], off, s8
	v_mov_b32_e32 v6, 0
	s_delay_alu instid0(VALU_DEP_1)
	v_dual_mov_b32 v7, v6 :: v_dual_mov_b32 v8, v6
	v_mov_b32_e32 v9, v6
	scratch_store_b128 off, v[6:9], off offset:848
	s_wait_loadcnt 0x0
	ds_store_b128 v12, v[2:5]
.LBB56_249:
	s_wait_xcnt 0x0
	s_or_b32 exec_lo, exec_lo, s2
	s_wait_storecnt_dscnt 0x0
	s_barrier_signal -1
	s_barrier_wait -1
	s_clause 0x3
	scratch_load_b128 v[4:7], off, off offset:864
	scratch_load_b128 v[8:11], off, off offset:880
	;; [unrolled: 1-line block ×4, first 2 shown]
	v_mov_b32_e32 v2, 0
	ds_load_b128 v[136:139], v2 offset:1776
	ds_load_b128 v[140:143], v2 offset:1792
	s_mov_b32 s2, exec_lo
	s_wait_loadcnt_dscnt 0x301
	v_mul_f64_e32 v[144:145], v[138:139], v[6:7]
	v_mul_f64_e32 v[146:147], v[136:137], v[6:7]
	s_wait_loadcnt_dscnt 0x200
	v_mul_f64_e32 v[148:149], v[140:141], v[10:11]
	v_mul_f64_e32 v[10:11], v[142:143], v[10:11]
	s_delay_alu instid0(VALU_DEP_4) | instskip(NEXT) | instid1(VALU_DEP_4)
	v_fma_f64 v[136:137], v[136:137], v[4:5], -v[144:145]
	v_fmac_f64_e32 v[146:147], v[138:139], v[4:5]
	ds_load_b128 v[4:7], v2 offset:1808
	v_fmac_f64_e32 v[148:149], v[142:143], v[8:9]
	v_fma_f64 v[8:9], v[140:141], v[8:9], -v[10:11]
	s_wait_loadcnt_dscnt 0x100
	v_mul_f64_e32 v[138:139], v[4:5], v[130:131]
	v_mul_f64_e32 v[130:131], v[6:7], v[130:131]
	v_add_f64_e32 v[10:11], 0, v[136:137]
	v_add_f64_e32 v[136:137], 0, v[146:147]
	s_delay_alu instid0(VALU_DEP_4) | instskip(NEXT) | instid1(VALU_DEP_4)
	v_fmac_f64_e32 v[138:139], v[6:7], v[128:129]
	v_fma_f64 v[4:5], v[4:5], v[128:129], -v[130:131]
	s_delay_alu instid0(VALU_DEP_4) | instskip(NEXT) | instid1(VALU_DEP_4)
	v_add_f64_e32 v[6:7], v[10:11], v[8:9]
	v_add_f64_e32 v[8:9], v[136:137], v[148:149]
	s_delay_alu instid0(VALU_DEP_2) | instskip(NEXT) | instid1(VALU_DEP_2)
	v_add_f64_e32 v[4:5], v[6:7], v[4:5]
	v_add_f64_e32 v[6:7], v[8:9], v[138:139]
	s_wait_loadcnt 0x0
	s_delay_alu instid0(VALU_DEP_2) | instskip(NEXT) | instid1(VALU_DEP_2)
	v_add_f64_e64 v[4:5], v[132:133], -v[4:5]
	v_add_f64_e64 v[6:7], v[134:135], -v[6:7]
	scratch_store_b128 off, v[4:7], off offset:848
	s_wait_xcnt 0x0
	v_cmpx_lt_u32_e32 52, v1
	s_cbranch_execz .LBB56_251
; %bb.250:
	scratch_load_b128 v[6:9], off, s10
	v_dual_mov_b32 v3, v2 :: v_dual_mov_b32 v4, v2
	v_mov_b32_e32 v5, v2
	scratch_store_b128 off, v[2:5], off offset:832
	s_wait_loadcnt 0x0
	ds_store_b128 v12, v[6:9]
.LBB56_251:
	s_wait_xcnt 0x0
	s_or_b32 exec_lo, exec_lo, s2
	s_wait_storecnt_dscnt 0x0
	s_barrier_signal -1
	s_barrier_wait -1
	s_clause 0x4
	scratch_load_b128 v[4:7], off, off offset:848
	scratch_load_b128 v[8:11], off, off offset:864
	;; [unrolled: 1-line block ×5, first 2 shown]
	ds_load_b128 v[140:143], v2 offset:1760
	ds_load_b128 v[144:147], v2 offset:1776
	s_mov_b32 s2, exec_lo
	s_wait_loadcnt_dscnt 0x401
	v_mul_f64_e32 v[148:149], v[142:143], v[6:7]
	v_mul_f64_e32 v[150:151], v[140:141], v[6:7]
	s_wait_loadcnt_dscnt 0x300
	v_mul_f64_e32 v[152:153], v[144:145], v[10:11]
	v_mul_f64_e32 v[10:11], v[146:147], v[10:11]
	s_delay_alu instid0(VALU_DEP_4) | instskip(NEXT) | instid1(VALU_DEP_4)
	v_fma_f64 v[148:149], v[140:141], v[4:5], -v[148:149]
	v_fmac_f64_e32 v[150:151], v[142:143], v[4:5]
	ds_load_b128 v[4:7], v2 offset:1792
	ds_load_b128 v[140:143], v2 offset:1808
	v_fmac_f64_e32 v[152:153], v[146:147], v[8:9]
	v_fma_f64 v[8:9], v[144:145], v[8:9], -v[10:11]
	s_wait_loadcnt_dscnt 0x201
	v_mul_f64_e32 v[2:3], v[4:5], v[130:131]
	v_mul_f64_e32 v[130:131], v[6:7], v[130:131]
	s_wait_loadcnt_dscnt 0x100
	v_mul_f64_e32 v[146:147], v[140:141], v[134:135]
	v_mul_f64_e32 v[134:135], v[142:143], v[134:135]
	v_add_f64_e32 v[10:11], 0, v[148:149]
	v_add_f64_e32 v[144:145], 0, v[150:151]
	v_fmac_f64_e32 v[2:3], v[6:7], v[128:129]
	v_fma_f64 v[4:5], v[4:5], v[128:129], -v[130:131]
	v_fmac_f64_e32 v[146:147], v[142:143], v[132:133]
	v_add_f64_e32 v[6:7], v[10:11], v[8:9]
	v_add_f64_e32 v[8:9], v[144:145], v[152:153]
	v_fma_f64 v[10:11], v[140:141], v[132:133], -v[134:135]
	s_delay_alu instid0(VALU_DEP_3) | instskip(NEXT) | instid1(VALU_DEP_3)
	v_add_f64_e32 v[4:5], v[6:7], v[4:5]
	v_add_f64_e32 v[2:3], v[8:9], v[2:3]
	s_delay_alu instid0(VALU_DEP_2) | instskip(NEXT) | instid1(VALU_DEP_2)
	v_add_f64_e32 v[4:5], v[4:5], v[10:11]
	v_add_f64_e32 v[6:7], v[2:3], v[146:147]
	s_wait_loadcnt 0x0
	s_delay_alu instid0(VALU_DEP_2) | instskip(NEXT) | instid1(VALU_DEP_2)
	v_add_f64_e64 v[2:3], v[136:137], -v[4:5]
	v_add_f64_e64 v[4:5], v[138:139], -v[6:7]
	scratch_store_b128 off, v[2:5], off offset:832
	s_wait_xcnt 0x0
	v_cmpx_lt_u32_e32 51, v1
	s_cbranch_execz .LBB56_253
; %bb.252:
	scratch_load_b128 v[2:5], off, s9
	v_mov_b32_e32 v6, 0
	s_delay_alu instid0(VALU_DEP_1)
	v_dual_mov_b32 v7, v6 :: v_dual_mov_b32 v8, v6
	v_mov_b32_e32 v9, v6
	scratch_store_b128 off, v[6:9], off offset:816
	s_wait_loadcnt 0x0
	ds_store_b128 v12, v[2:5]
.LBB56_253:
	s_wait_xcnt 0x0
	s_or_b32 exec_lo, exec_lo, s2
	s_wait_storecnt_dscnt 0x0
	s_barrier_signal -1
	s_barrier_wait -1
	s_clause 0x5
	scratch_load_b128 v[4:7], off, off offset:832
	scratch_load_b128 v[8:11], off, off offset:848
	;; [unrolled: 1-line block ×6, first 2 shown]
	v_mov_b32_e32 v2, 0
	ds_load_b128 v[144:147], v2 offset:1744
	ds_load_b128 v[148:151], v2 offset:1760
	s_mov_b32 s2, exec_lo
	s_wait_loadcnt_dscnt 0x501
	v_mul_f64_e32 v[152:153], v[146:147], v[6:7]
	v_mul_f64_e32 v[154:155], v[144:145], v[6:7]
	s_wait_loadcnt_dscnt 0x400
	v_mul_f64_e32 v[156:157], v[148:149], v[10:11]
	v_mul_f64_e32 v[10:11], v[150:151], v[10:11]
	s_delay_alu instid0(VALU_DEP_4) | instskip(NEXT) | instid1(VALU_DEP_4)
	v_fma_f64 v[152:153], v[144:145], v[4:5], -v[152:153]
	v_fmac_f64_e32 v[154:155], v[146:147], v[4:5]
	ds_load_b128 v[4:7], v2 offset:1776
	ds_load_b128 v[144:147], v2 offset:1792
	v_fmac_f64_e32 v[156:157], v[150:151], v[8:9]
	v_fma_f64 v[8:9], v[148:149], v[8:9], -v[10:11]
	s_wait_loadcnt_dscnt 0x301
	v_mul_f64_e32 v[158:159], v[4:5], v[130:131]
	v_mul_f64_e32 v[130:131], v[6:7], v[130:131]
	s_wait_loadcnt_dscnt 0x200
	v_mul_f64_e32 v[150:151], v[144:145], v[134:135]
	v_mul_f64_e32 v[134:135], v[146:147], v[134:135]
	v_add_f64_e32 v[10:11], 0, v[152:153]
	v_add_f64_e32 v[148:149], 0, v[154:155]
	v_fmac_f64_e32 v[158:159], v[6:7], v[128:129]
	v_fma_f64 v[128:129], v[4:5], v[128:129], -v[130:131]
	ds_load_b128 v[4:7], v2 offset:1808
	v_fmac_f64_e32 v[150:151], v[146:147], v[132:133]
	v_fma_f64 v[132:133], v[144:145], v[132:133], -v[134:135]
	v_add_f64_e32 v[8:9], v[10:11], v[8:9]
	v_add_f64_e32 v[10:11], v[148:149], v[156:157]
	s_wait_loadcnt_dscnt 0x100
	v_mul_f64_e32 v[130:131], v[4:5], v[138:139]
	v_mul_f64_e32 v[138:139], v[6:7], v[138:139]
	s_delay_alu instid0(VALU_DEP_4) | instskip(NEXT) | instid1(VALU_DEP_4)
	v_add_f64_e32 v[8:9], v[8:9], v[128:129]
	v_add_f64_e32 v[10:11], v[10:11], v[158:159]
	s_delay_alu instid0(VALU_DEP_4) | instskip(NEXT) | instid1(VALU_DEP_4)
	v_fmac_f64_e32 v[130:131], v[6:7], v[136:137]
	v_fma_f64 v[4:5], v[4:5], v[136:137], -v[138:139]
	s_delay_alu instid0(VALU_DEP_4) | instskip(NEXT) | instid1(VALU_DEP_4)
	v_add_f64_e32 v[6:7], v[8:9], v[132:133]
	v_add_f64_e32 v[8:9], v[10:11], v[150:151]
	s_delay_alu instid0(VALU_DEP_2) | instskip(NEXT) | instid1(VALU_DEP_2)
	v_add_f64_e32 v[4:5], v[6:7], v[4:5]
	v_add_f64_e32 v[6:7], v[8:9], v[130:131]
	s_wait_loadcnt 0x0
	s_delay_alu instid0(VALU_DEP_2) | instskip(NEXT) | instid1(VALU_DEP_2)
	v_add_f64_e64 v[4:5], v[140:141], -v[4:5]
	v_add_f64_e64 v[6:7], v[142:143], -v[6:7]
	scratch_store_b128 off, v[4:7], off offset:816
	s_wait_xcnt 0x0
	v_cmpx_lt_u32_e32 50, v1
	s_cbranch_execz .LBB56_255
; %bb.254:
	scratch_load_b128 v[6:9], off, s12
	v_dual_mov_b32 v3, v2 :: v_dual_mov_b32 v4, v2
	v_mov_b32_e32 v5, v2
	scratch_store_b128 off, v[2:5], off offset:800
	s_wait_loadcnt 0x0
	ds_store_b128 v12, v[6:9]
.LBB56_255:
	s_wait_xcnt 0x0
	s_or_b32 exec_lo, exec_lo, s2
	s_wait_storecnt_dscnt 0x0
	s_barrier_signal -1
	s_barrier_wait -1
	s_clause 0x6
	scratch_load_b128 v[4:7], off, off offset:816
	scratch_load_b128 v[8:11], off, off offset:832
	;; [unrolled: 1-line block ×7, first 2 shown]
	ds_load_b128 v[148:151], v2 offset:1728
	ds_load_b128 v[152:155], v2 offset:1744
	s_mov_b32 s2, exec_lo
	s_wait_loadcnt_dscnt 0x601
	v_mul_f64_e32 v[156:157], v[150:151], v[6:7]
	v_mul_f64_e32 v[158:159], v[148:149], v[6:7]
	s_wait_loadcnt_dscnt 0x500
	v_mul_f64_e32 v[160:161], v[152:153], v[10:11]
	v_mul_f64_e32 v[10:11], v[154:155], v[10:11]
	s_delay_alu instid0(VALU_DEP_4) | instskip(NEXT) | instid1(VALU_DEP_4)
	v_fma_f64 v[156:157], v[148:149], v[4:5], -v[156:157]
	v_fmac_f64_e32 v[158:159], v[150:151], v[4:5]
	ds_load_b128 v[4:7], v2 offset:1760
	ds_load_b128 v[148:151], v2 offset:1776
	v_fmac_f64_e32 v[160:161], v[154:155], v[8:9]
	v_fma_f64 v[8:9], v[152:153], v[8:9], -v[10:11]
	s_wait_loadcnt_dscnt 0x401
	v_mul_f64_e32 v[162:163], v[4:5], v[130:131]
	v_mul_f64_e32 v[130:131], v[6:7], v[130:131]
	s_wait_loadcnt_dscnt 0x300
	v_mul_f64_e32 v[154:155], v[148:149], v[134:135]
	v_mul_f64_e32 v[134:135], v[150:151], v[134:135]
	v_add_f64_e32 v[10:11], 0, v[156:157]
	v_add_f64_e32 v[152:153], 0, v[158:159]
	v_fmac_f64_e32 v[162:163], v[6:7], v[128:129]
	v_fma_f64 v[128:129], v[4:5], v[128:129], -v[130:131]
	v_fmac_f64_e32 v[154:155], v[150:151], v[132:133]
	v_fma_f64 v[132:133], v[148:149], v[132:133], -v[134:135]
	v_add_f64_e32 v[130:131], v[10:11], v[8:9]
	v_add_f64_e32 v[152:153], v[152:153], v[160:161]
	ds_load_b128 v[4:7], v2 offset:1792
	ds_load_b128 v[8:11], v2 offset:1808
	s_wait_loadcnt_dscnt 0x201
	v_mul_f64_e32 v[2:3], v[4:5], v[138:139]
	v_mul_f64_e32 v[138:139], v[6:7], v[138:139]
	s_wait_loadcnt_dscnt 0x100
	v_mul_f64_e32 v[134:135], v[8:9], v[142:143]
	v_mul_f64_e32 v[142:143], v[10:11], v[142:143]
	v_add_f64_e32 v[128:129], v[130:131], v[128:129]
	v_add_f64_e32 v[130:131], v[152:153], v[162:163]
	v_fmac_f64_e32 v[2:3], v[6:7], v[136:137]
	v_fma_f64 v[4:5], v[4:5], v[136:137], -v[138:139]
	v_fmac_f64_e32 v[134:135], v[10:11], v[140:141]
	v_fma_f64 v[8:9], v[8:9], v[140:141], -v[142:143]
	v_add_f64_e32 v[6:7], v[128:129], v[132:133]
	v_add_f64_e32 v[128:129], v[130:131], v[154:155]
	s_delay_alu instid0(VALU_DEP_2) | instskip(NEXT) | instid1(VALU_DEP_2)
	v_add_f64_e32 v[4:5], v[6:7], v[4:5]
	v_add_f64_e32 v[2:3], v[128:129], v[2:3]
	s_delay_alu instid0(VALU_DEP_2) | instskip(NEXT) | instid1(VALU_DEP_2)
	v_add_f64_e32 v[4:5], v[4:5], v[8:9]
	v_add_f64_e32 v[6:7], v[2:3], v[134:135]
	s_wait_loadcnt 0x0
	s_delay_alu instid0(VALU_DEP_2) | instskip(NEXT) | instid1(VALU_DEP_2)
	v_add_f64_e64 v[2:3], v[144:145], -v[4:5]
	v_add_f64_e64 v[4:5], v[146:147], -v[6:7]
	scratch_store_b128 off, v[2:5], off offset:800
	s_wait_xcnt 0x0
	v_cmpx_lt_u32_e32 49, v1
	s_cbranch_execz .LBB56_257
; %bb.256:
	scratch_load_b128 v[2:5], off, s11
	v_mov_b32_e32 v6, 0
	s_delay_alu instid0(VALU_DEP_1)
	v_dual_mov_b32 v7, v6 :: v_dual_mov_b32 v8, v6
	v_mov_b32_e32 v9, v6
	scratch_store_b128 off, v[6:9], off offset:784
	s_wait_loadcnt 0x0
	ds_store_b128 v12, v[2:5]
.LBB56_257:
	s_wait_xcnt 0x0
	s_or_b32 exec_lo, exec_lo, s2
	s_wait_storecnt_dscnt 0x0
	s_barrier_signal -1
	s_barrier_wait -1
	s_clause 0x7
	scratch_load_b128 v[4:7], off, off offset:800
	scratch_load_b128 v[8:11], off, off offset:816
	;; [unrolled: 1-line block ×8, first 2 shown]
	v_mov_b32_e32 v2, 0
	ds_load_b128 v[152:155], v2 offset:1712
	ds_load_b128 v[156:159], v2 offset:1728
	s_mov_b32 s2, exec_lo
	s_wait_loadcnt_dscnt 0x701
	v_mul_f64_e32 v[160:161], v[154:155], v[6:7]
	v_mul_f64_e32 v[162:163], v[152:153], v[6:7]
	s_wait_loadcnt_dscnt 0x600
	v_mul_f64_e32 v[164:165], v[156:157], v[10:11]
	v_mul_f64_e32 v[10:11], v[158:159], v[10:11]
	s_delay_alu instid0(VALU_DEP_4) | instskip(NEXT) | instid1(VALU_DEP_4)
	v_fma_f64 v[160:161], v[152:153], v[4:5], -v[160:161]
	v_fmac_f64_e32 v[162:163], v[154:155], v[4:5]
	ds_load_b128 v[4:7], v2 offset:1744
	ds_load_b128 v[152:155], v2 offset:1760
	v_fmac_f64_e32 v[164:165], v[158:159], v[8:9]
	v_fma_f64 v[8:9], v[156:157], v[8:9], -v[10:11]
	s_wait_loadcnt_dscnt 0x501
	v_mul_f64_e32 v[166:167], v[4:5], v[130:131]
	v_mul_f64_e32 v[130:131], v[6:7], v[130:131]
	s_wait_loadcnt_dscnt 0x400
	v_mul_f64_e32 v[158:159], v[152:153], v[134:135]
	v_mul_f64_e32 v[134:135], v[154:155], v[134:135]
	v_add_f64_e32 v[10:11], 0, v[160:161]
	v_add_f64_e32 v[156:157], 0, v[162:163]
	v_fmac_f64_e32 v[166:167], v[6:7], v[128:129]
	v_fma_f64 v[128:129], v[4:5], v[128:129], -v[130:131]
	v_fmac_f64_e32 v[158:159], v[154:155], v[132:133]
	v_fma_f64 v[132:133], v[152:153], v[132:133], -v[134:135]
	v_add_f64_e32 v[130:131], v[10:11], v[8:9]
	v_add_f64_e32 v[156:157], v[156:157], v[164:165]
	ds_load_b128 v[4:7], v2 offset:1776
	ds_load_b128 v[8:11], v2 offset:1792
	s_wait_loadcnt_dscnt 0x301
	v_mul_f64_e32 v[160:161], v[4:5], v[138:139]
	v_mul_f64_e32 v[138:139], v[6:7], v[138:139]
	s_wait_loadcnt_dscnt 0x200
	v_mul_f64_e32 v[134:135], v[8:9], v[142:143]
	v_mul_f64_e32 v[142:143], v[10:11], v[142:143]
	v_add_f64_e32 v[128:129], v[130:131], v[128:129]
	v_add_f64_e32 v[130:131], v[156:157], v[166:167]
	v_fmac_f64_e32 v[160:161], v[6:7], v[136:137]
	v_fma_f64 v[136:137], v[4:5], v[136:137], -v[138:139]
	ds_load_b128 v[4:7], v2 offset:1808
	v_fmac_f64_e32 v[134:135], v[10:11], v[140:141]
	v_fma_f64 v[8:9], v[8:9], v[140:141], -v[142:143]
	v_add_f64_e32 v[128:129], v[128:129], v[132:133]
	v_add_f64_e32 v[130:131], v[130:131], v[158:159]
	s_wait_loadcnt_dscnt 0x100
	v_mul_f64_e32 v[132:133], v[4:5], v[146:147]
	v_mul_f64_e32 v[138:139], v[6:7], v[146:147]
	s_delay_alu instid0(VALU_DEP_4) | instskip(NEXT) | instid1(VALU_DEP_4)
	v_add_f64_e32 v[10:11], v[128:129], v[136:137]
	v_add_f64_e32 v[128:129], v[130:131], v[160:161]
	s_delay_alu instid0(VALU_DEP_4) | instskip(NEXT) | instid1(VALU_DEP_4)
	v_fmac_f64_e32 v[132:133], v[6:7], v[144:145]
	v_fma_f64 v[4:5], v[4:5], v[144:145], -v[138:139]
	s_delay_alu instid0(VALU_DEP_4) | instskip(NEXT) | instid1(VALU_DEP_4)
	v_add_f64_e32 v[6:7], v[10:11], v[8:9]
	v_add_f64_e32 v[8:9], v[128:129], v[134:135]
	s_delay_alu instid0(VALU_DEP_2) | instskip(NEXT) | instid1(VALU_DEP_2)
	v_add_f64_e32 v[4:5], v[6:7], v[4:5]
	v_add_f64_e32 v[6:7], v[8:9], v[132:133]
	s_wait_loadcnt 0x0
	s_delay_alu instid0(VALU_DEP_2) | instskip(NEXT) | instid1(VALU_DEP_2)
	v_add_f64_e64 v[4:5], v[148:149], -v[4:5]
	v_add_f64_e64 v[6:7], v[150:151], -v[6:7]
	scratch_store_b128 off, v[4:7], off offset:784
	s_wait_xcnt 0x0
	v_cmpx_lt_u32_e32 48, v1
	s_cbranch_execz .LBB56_259
; %bb.258:
	scratch_load_b128 v[6:9], off, s14
	v_dual_mov_b32 v3, v2 :: v_dual_mov_b32 v4, v2
	v_mov_b32_e32 v5, v2
	scratch_store_b128 off, v[2:5], off offset:768
	s_wait_loadcnt 0x0
	ds_store_b128 v12, v[6:9]
.LBB56_259:
	s_wait_xcnt 0x0
	s_or_b32 exec_lo, exec_lo, s2
	s_wait_storecnt_dscnt 0x0
	s_barrier_signal -1
	s_barrier_wait -1
	s_clause 0x7
	scratch_load_b128 v[4:7], off, off offset:784
	scratch_load_b128 v[8:11], off, off offset:800
	;; [unrolled: 1-line block ×8, first 2 shown]
	ds_load_b128 v[152:155], v2 offset:1696
	ds_load_b128 v[156:159], v2 offset:1712
	scratch_load_b128 v[160:163], off, off offset:768
	s_mov_b32 s2, exec_lo
	s_wait_loadcnt_dscnt 0x801
	v_mul_f64_e32 v[164:165], v[154:155], v[6:7]
	v_mul_f64_e32 v[166:167], v[152:153], v[6:7]
	s_wait_loadcnt_dscnt 0x700
	v_mul_f64_e32 v[168:169], v[156:157], v[10:11]
	v_mul_f64_e32 v[10:11], v[158:159], v[10:11]
	s_delay_alu instid0(VALU_DEP_4) | instskip(NEXT) | instid1(VALU_DEP_4)
	v_fma_f64 v[164:165], v[152:153], v[4:5], -v[164:165]
	v_fmac_f64_e32 v[166:167], v[154:155], v[4:5]
	ds_load_b128 v[4:7], v2 offset:1728
	ds_load_b128 v[152:155], v2 offset:1744
	v_fmac_f64_e32 v[168:169], v[158:159], v[8:9]
	v_fma_f64 v[8:9], v[156:157], v[8:9], -v[10:11]
	s_wait_loadcnt_dscnt 0x601
	v_mul_f64_e32 v[170:171], v[4:5], v[130:131]
	v_mul_f64_e32 v[130:131], v[6:7], v[130:131]
	s_wait_loadcnt_dscnt 0x500
	v_mul_f64_e32 v[158:159], v[152:153], v[134:135]
	v_mul_f64_e32 v[134:135], v[154:155], v[134:135]
	v_add_f64_e32 v[10:11], 0, v[164:165]
	v_add_f64_e32 v[156:157], 0, v[166:167]
	v_fmac_f64_e32 v[170:171], v[6:7], v[128:129]
	v_fma_f64 v[128:129], v[4:5], v[128:129], -v[130:131]
	v_fmac_f64_e32 v[158:159], v[154:155], v[132:133]
	v_fma_f64 v[132:133], v[152:153], v[132:133], -v[134:135]
	v_add_f64_e32 v[130:131], v[10:11], v[8:9]
	v_add_f64_e32 v[156:157], v[156:157], v[168:169]
	ds_load_b128 v[4:7], v2 offset:1760
	ds_load_b128 v[8:11], v2 offset:1776
	s_wait_loadcnt_dscnt 0x401
	v_mul_f64_e32 v[164:165], v[4:5], v[138:139]
	v_mul_f64_e32 v[138:139], v[6:7], v[138:139]
	s_wait_loadcnt_dscnt 0x300
	v_mul_f64_e32 v[134:135], v[8:9], v[142:143]
	v_mul_f64_e32 v[142:143], v[10:11], v[142:143]
	v_add_f64_e32 v[128:129], v[130:131], v[128:129]
	v_add_f64_e32 v[130:131], v[156:157], v[170:171]
	v_fmac_f64_e32 v[164:165], v[6:7], v[136:137]
	v_fma_f64 v[136:137], v[4:5], v[136:137], -v[138:139]
	v_fmac_f64_e32 v[134:135], v[10:11], v[140:141]
	v_fma_f64 v[8:9], v[8:9], v[140:141], -v[142:143]
	v_add_f64_e32 v[132:133], v[128:129], v[132:133]
	v_add_f64_e32 v[138:139], v[130:131], v[158:159]
	ds_load_b128 v[4:7], v2 offset:1792
	ds_load_b128 v[128:131], v2 offset:1808
	s_wait_loadcnt_dscnt 0x201
	v_mul_f64_e32 v[2:3], v[4:5], v[146:147]
	v_mul_f64_e32 v[146:147], v[6:7], v[146:147]
	v_add_f64_e32 v[10:11], v[132:133], v[136:137]
	v_add_f64_e32 v[132:133], v[138:139], v[164:165]
	s_wait_loadcnt_dscnt 0x100
	v_mul_f64_e32 v[136:137], v[128:129], v[150:151]
	v_mul_f64_e32 v[138:139], v[130:131], v[150:151]
	v_fmac_f64_e32 v[2:3], v[6:7], v[144:145]
	v_fma_f64 v[4:5], v[4:5], v[144:145], -v[146:147]
	v_add_f64_e32 v[6:7], v[10:11], v[8:9]
	v_add_f64_e32 v[8:9], v[132:133], v[134:135]
	v_fmac_f64_e32 v[136:137], v[130:131], v[148:149]
	v_fma_f64 v[10:11], v[128:129], v[148:149], -v[138:139]
	s_delay_alu instid0(VALU_DEP_4) | instskip(NEXT) | instid1(VALU_DEP_4)
	v_add_f64_e32 v[4:5], v[6:7], v[4:5]
	v_add_f64_e32 v[2:3], v[8:9], v[2:3]
	s_delay_alu instid0(VALU_DEP_2) | instskip(NEXT) | instid1(VALU_DEP_2)
	v_add_f64_e32 v[4:5], v[4:5], v[10:11]
	v_add_f64_e32 v[6:7], v[2:3], v[136:137]
	s_wait_loadcnt 0x0
	s_delay_alu instid0(VALU_DEP_2) | instskip(NEXT) | instid1(VALU_DEP_2)
	v_add_f64_e64 v[2:3], v[160:161], -v[4:5]
	v_add_f64_e64 v[4:5], v[162:163], -v[6:7]
	scratch_store_b128 off, v[2:5], off offset:768
	s_wait_xcnt 0x0
	v_cmpx_lt_u32_e32 47, v1
	s_cbranch_execz .LBB56_261
; %bb.260:
	scratch_load_b128 v[2:5], off, s13
	v_mov_b32_e32 v6, 0
	s_delay_alu instid0(VALU_DEP_1)
	v_dual_mov_b32 v7, v6 :: v_dual_mov_b32 v8, v6
	v_mov_b32_e32 v9, v6
	scratch_store_b128 off, v[6:9], off offset:752
	s_wait_loadcnt 0x0
	ds_store_b128 v12, v[2:5]
.LBB56_261:
	s_wait_xcnt 0x0
	s_or_b32 exec_lo, exec_lo, s2
	s_wait_storecnt_dscnt 0x0
	s_barrier_signal -1
	s_barrier_wait -1
	s_clause 0x8
	scratch_load_b128 v[4:7], off, off offset:768
	scratch_load_b128 v[8:11], off, off offset:784
	;; [unrolled: 1-line block ×9, first 2 shown]
	v_mov_b32_e32 v2, 0
	scratch_load_b128 v[160:163], off, off offset:752
	s_mov_b32 s2, exec_lo
	ds_load_b128 v[156:159], v2 offset:1680
	ds_load_b128 v[164:167], v2 offset:1696
	s_wait_loadcnt_dscnt 0x901
	v_mul_f64_e32 v[168:169], v[158:159], v[6:7]
	v_mul_f64_e32 v[170:171], v[156:157], v[6:7]
	s_wait_loadcnt_dscnt 0x800
	v_mul_f64_e32 v[172:173], v[164:165], v[10:11]
	v_mul_f64_e32 v[10:11], v[166:167], v[10:11]
	s_delay_alu instid0(VALU_DEP_4) | instskip(NEXT) | instid1(VALU_DEP_4)
	v_fma_f64 v[168:169], v[156:157], v[4:5], -v[168:169]
	v_fmac_f64_e32 v[170:171], v[158:159], v[4:5]
	ds_load_b128 v[4:7], v2 offset:1712
	ds_load_b128 v[156:159], v2 offset:1728
	v_fmac_f64_e32 v[172:173], v[166:167], v[8:9]
	v_fma_f64 v[8:9], v[164:165], v[8:9], -v[10:11]
	s_wait_loadcnt_dscnt 0x701
	v_mul_f64_e32 v[174:175], v[4:5], v[130:131]
	v_mul_f64_e32 v[130:131], v[6:7], v[130:131]
	s_wait_loadcnt_dscnt 0x600
	v_mul_f64_e32 v[166:167], v[156:157], v[134:135]
	v_mul_f64_e32 v[134:135], v[158:159], v[134:135]
	v_add_f64_e32 v[10:11], 0, v[168:169]
	v_add_f64_e32 v[164:165], 0, v[170:171]
	v_fmac_f64_e32 v[174:175], v[6:7], v[128:129]
	v_fma_f64 v[128:129], v[4:5], v[128:129], -v[130:131]
	v_fmac_f64_e32 v[166:167], v[158:159], v[132:133]
	v_fma_f64 v[132:133], v[156:157], v[132:133], -v[134:135]
	v_add_f64_e32 v[130:131], v[10:11], v[8:9]
	v_add_f64_e32 v[164:165], v[164:165], v[172:173]
	ds_load_b128 v[4:7], v2 offset:1744
	ds_load_b128 v[8:11], v2 offset:1760
	s_wait_loadcnt_dscnt 0x501
	v_mul_f64_e32 v[168:169], v[4:5], v[138:139]
	v_mul_f64_e32 v[138:139], v[6:7], v[138:139]
	s_wait_loadcnt_dscnt 0x400
	v_mul_f64_e32 v[134:135], v[8:9], v[142:143]
	v_mul_f64_e32 v[142:143], v[10:11], v[142:143]
	v_add_f64_e32 v[128:129], v[130:131], v[128:129]
	v_add_f64_e32 v[130:131], v[164:165], v[174:175]
	v_fmac_f64_e32 v[168:169], v[6:7], v[136:137]
	v_fma_f64 v[136:137], v[4:5], v[136:137], -v[138:139]
	v_fmac_f64_e32 v[134:135], v[10:11], v[140:141]
	v_fma_f64 v[8:9], v[8:9], v[140:141], -v[142:143]
	v_add_f64_e32 v[132:133], v[128:129], v[132:133]
	v_add_f64_e32 v[138:139], v[130:131], v[166:167]
	ds_load_b128 v[4:7], v2 offset:1776
	ds_load_b128 v[128:131], v2 offset:1792
	s_wait_loadcnt_dscnt 0x301
	v_mul_f64_e32 v[156:157], v[4:5], v[146:147]
	v_mul_f64_e32 v[146:147], v[6:7], v[146:147]
	v_add_f64_e32 v[10:11], v[132:133], v[136:137]
	v_add_f64_e32 v[132:133], v[138:139], v[168:169]
	s_wait_loadcnt_dscnt 0x200
	v_mul_f64_e32 v[136:137], v[128:129], v[150:151]
	v_mul_f64_e32 v[138:139], v[130:131], v[150:151]
	v_fmac_f64_e32 v[156:157], v[6:7], v[144:145]
	v_fma_f64 v[140:141], v[4:5], v[144:145], -v[146:147]
	ds_load_b128 v[4:7], v2 offset:1808
	v_add_f64_e32 v[8:9], v[10:11], v[8:9]
	v_add_f64_e32 v[10:11], v[132:133], v[134:135]
	v_fmac_f64_e32 v[136:137], v[130:131], v[148:149]
	v_fma_f64 v[128:129], v[128:129], v[148:149], -v[138:139]
	s_wait_loadcnt_dscnt 0x100
	v_mul_f64_e32 v[132:133], v[4:5], v[154:155]
	v_mul_f64_e32 v[134:135], v[6:7], v[154:155]
	v_add_f64_e32 v[8:9], v[8:9], v[140:141]
	v_add_f64_e32 v[10:11], v[10:11], v[156:157]
	s_delay_alu instid0(VALU_DEP_4) | instskip(NEXT) | instid1(VALU_DEP_4)
	v_fmac_f64_e32 v[132:133], v[6:7], v[152:153]
	v_fma_f64 v[4:5], v[4:5], v[152:153], -v[134:135]
	s_delay_alu instid0(VALU_DEP_4) | instskip(NEXT) | instid1(VALU_DEP_4)
	v_add_f64_e32 v[6:7], v[8:9], v[128:129]
	v_add_f64_e32 v[8:9], v[10:11], v[136:137]
	s_delay_alu instid0(VALU_DEP_2) | instskip(NEXT) | instid1(VALU_DEP_2)
	v_add_f64_e32 v[4:5], v[6:7], v[4:5]
	v_add_f64_e32 v[6:7], v[8:9], v[132:133]
	s_wait_loadcnt 0x0
	s_delay_alu instid0(VALU_DEP_2) | instskip(NEXT) | instid1(VALU_DEP_2)
	v_add_f64_e64 v[4:5], v[160:161], -v[4:5]
	v_add_f64_e64 v[6:7], v[162:163], -v[6:7]
	scratch_store_b128 off, v[4:7], off offset:752
	s_wait_xcnt 0x0
	v_cmpx_lt_u32_e32 46, v1
	s_cbranch_execz .LBB56_263
; %bb.262:
	scratch_load_b128 v[6:9], off, s20
	v_dual_mov_b32 v3, v2 :: v_dual_mov_b32 v4, v2
	v_mov_b32_e32 v5, v2
	scratch_store_b128 off, v[2:5], off offset:736
	s_wait_loadcnt 0x0
	ds_store_b128 v12, v[6:9]
.LBB56_263:
	s_wait_xcnt 0x0
	s_or_b32 exec_lo, exec_lo, s2
	s_wait_storecnt_dscnt 0x0
	s_barrier_signal -1
	s_barrier_wait -1
	s_clause 0x9
	scratch_load_b128 v[4:7], off, off offset:752
	scratch_load_b128 v[8:11], off, off offset:768
	;; [unrolled: 1-line block ×10, first 2 shown]
	ds_load_b128 v[160:163], v2 offset:1664
	ds_load_b128 v[164:167], v2 offset:1680
	scratch_load_b128 v[168:171], off, off offset:736
	s_mov_b32 s2, exec_lo
	s_wait_loadcnt_dscnt 0xa01
	v_mul_f64_e32 v[172:173], v[162:163], v[6:7]
	v_mul_f64_e32 v[174:175], v[160:161], v[6:7]
	s_wait_loadcnt_dscnt 0x900
	v_mul_f64_e32 v[176:177], v[164:165], v[10:11]
	v_mul_f64_e32 v[10:11], v[166:167], v[10:11]
	s_delay_alu instid0(VALU_DEP_4) | instskip(NEXT) | instid1(VALU_DEP_4)
	v_fma_f64 v[172:173], v[160:161], v[4:5], -v[172:173]
	v_fmac_f64_e32 v[174:175], v[162:163], v[4:5]
	ds_load_b128 v[4:7], v2 offset:1696
	ds_load_b128 v[160:163], v2 offset:1712
	v_fmac_f64_e32 v[176:177], v[166:167], v[8:9]
	v_fma_f64 v[8:9], v[164:165], v[8:9], -v[10:11]
	s_wait_loadcnt_dscnt 0x801
	v_mul_f64_e32 v[178:179], v[4:5], v[130:131]
	v_mul_f64_e32 v[130:131], v[6:7], v[130:131]
	s_wait_loadcnt_dscnt 0x700
	v_mul_f64_e32 v[166:167], v[160:161], v[134:135]
	v_mul_f64_e32 v[134:135], v[162:163], v[134:135]
	v_add_f64_e32 v[10:11], 0, v[172:173]
	v_add_f64_e32 v[164:165], 0, v[174:175]
	v_fmac_f64_e32 v[178:179], v[6:7], v[128:129]
	v_fma_f64 v[128:129], v[4:5], v[128:129], -v[130:131]
	v_fmac_f64_e32 v[166:167], v[162:163], v[132:133]
	v_fma_f64 v[132:133], v[160:161], v[132:133], -v[134:135]
	v_add_f64_e32 v[130:131], v[10:11], v[8:9]
	v_add_f64_e32 v[164:165], v[164:165], v[176:177]
	ds_load_b128 v[4:7], v2 offset:1728
	ds_load_b128 v[8:11], v2 offset:1744
	s_wait_loadcnt_dscnt 0x601
	v_mul_f64_e32 v[172:173], v[4:5], v[138:139]
	v_mul_f64_e32 v[138:139], v[6:7], v[138:139]
	s_wait_loadcnt_dscnt 0x500
	v_mul_f64_e32 v[134:135], v[8:9], v[142:143]
	v_mul_f64_e32 v[142:143], v[10:11], v[142:143]
	v_add_f64_e32 v[128:129], v[130:131], v[128:129]
	v_add_f64_e32 v[130:131], v[164:165], v[178:179]
	v_fmac_f64_e32 v[172:173], v[6:7], v[136:137]
	v_fma_f64 v[136:137], v[4:5], v[136:137], -v[138:139]
	v_fmac_f64_e32 v[134:135], v[10:11], v[140:141]
	v_fma_f64 v[8:9], v[8:9], v[140:141], -v[142:143]
	v_add_f64_e32 v[132:133], v[128:129], v[132:133]
	v_add_f64_e32 v[138:139], v[130:131], v[166:167]
	ds_load_b128 v[4:7], v2 offset:1760
	ds_load_b128 v[128:131], v2 offset:1776
	s_wait_loadcnt_dscnt 0x401
	v_mul_f64_e32 v[160:161], v[4:5], v[146:147]
	v_mul_f64_e32 v[146:147], v[6:7], v[146:147]
	v_add_f64_e32 v[10:11], v[132:133], v[136:137]
	v_add_f64_e32 v[132:133], v[138:139], v[172:173]
	s_wait_loadcnt_dscnt 0x300
	v_mul_f64_e32 v[136:137], v[128:129], v[150:151]
	v_mul_f64_e32 v[138:139], v[130:131], v[150:151]
	v_fmac_f64_e32 v[160:161], v[6:7], v[144:145]
	v_fma_f64 v[140:141], v[4:5], v[144:145], -v[146:147]
	v_add_f64_e32 v[142:143], v[10:11], v[8:9]
	v_add_f64_e32 v[132:133], v[132:133], v[134:135]
	ds_load_b128 v[4:7], v2 offset:1792
	ds_load_b128 v[8:11], v2 offset:1808
	v_fmac_f64_e32 v[136:137], v[130:131], v[148:149]
	v_fma_f64 v[128:129], v[128:129], v[148:149], -v[138:139]
	s_wait_loadcnt_dscnt 0x201
	v_mul_f64_e32 v[2:3], v[4:5], v[154:155]
	v_mul_f64_e32 v[134:135], v[6:7], v[154:155]
	s_wait_loadcnt_dscnt 0x100
	v_mul_f64_e32 v[138:139], v[8:9], v[158:159]
	v_add_f64_e32 v[130:131], v[142:143], v[140:141]
	v_add_f64_e32 v[132:133], v[132:133], v[160:161]
	v_mul_f64_e32 v[140:141], v[10:11], v[158:159]
	v_fmac_f64_e32 v[2:3], v[6:7], v[152:153]
	v_fma_f64 v[4:5], v[4:5], v[152:153], -v[134:135]
	v_fmac_f64_e32 v[138:139], v[10:11], v[156:157]
	v_add_f64_e32 v[6:7], v[130:131], v[128:129]
	v_add_f64_e32 v[128:129], v[132:133], v[136:137]
	v_fma_f64 v[8:9], v[8:9], v[156:157], -v[140:141]
	s_delay_alu instid0(VALU_DEP_3) | instskip(NEXT) | instid1(VALU_DEP_3)
	v_add_f64_e32 v[4:5], v[6:7], v[4:5]
	v_add_f64_e32 v[2:3], v[128:129], v[2:3]
	s_delay_alu instid0(VALU_DEP_2) | instskip(NEXT) | instid1(VALU_DEP_2)
	v_add_f64_e32 v[4:5], v[4:5], v[8:9]
	v_add_f64_e32 v[6:7], v[2:3], v[138:139]
	s_wait_loadcnt 0x0
	s_delay_alu instid0(VALU_DEP_2) | instskip(NEXT) | instid1(VALU_DEP_2)
	v_add_f64_e64 v[2:3], v[168:169], -v[4:5]
	v_add_f64_e64 v[4:5], v[170:171], -v[6:7]
	scratch_store_b128 off, v[2:5], off offset:736
	s_wait_xcnt 0x0
	v_cmpx_lt_u32_e32 45, v1
	s_cbranch_execz .LBB56_265
; %bb.264:
	scratch_load_b128 v[2:5], off, s15
	v_mov_b32_e32 v6, 0
	s_delay_alu instid0(VALU_DEP_1)
	v_dual_mov_b32 v7, v6 :: v_dual_mov_b32 v8, v6
	v_mov_b32_e32 v9, v6
	scratch_store_b128 off, v[6:9], off offset:720
	s_wait_loadcnt 0x0
	ds_store_b128 v12, v[2:5]
.LBB56_265:
	s_wait_xcnt 0x0
	s_or_b32 exec_lo, exec_lo, s2
	s_wait_storecnt_dscnt 0x0
	s_barrier_signal -1
	s_barrier_wait -1
	s_clause 0x9
	scratch_load_b128 v[4:7], off, off offset:736
	scratch_load_b128 v[8:11], off, off offset:752
	;; [unrolled: 1-line block ×10, first 2 shown]
	v_mov_b32_e32 v2, 0
	s_mov_b32 s2, exec_lo
	ds_load_b128 v[160:163], v2 offset:1648
	s_clause 0x1
	scratch_load_b128 v[164:167], off, off offset:896
	scratch_load_b128 v[168:171], off, off offset:720
	s_wait_loadcnt_dscnt 0xb00
	v_mul_f64_e32 v[176:177], v[162:163], v[6:7]
	v_mul_f64_e32 v[178:179], v[160:161], v[6:7]
	ds_load_b128 v[172:175], v2 offset:1664
	s_wait_loadcnt_dscnt 0xa00
	v_mul_f64_e32 v[180:181], v[172:173], v[10:11]
	v_mul_f64_e32 v[10:11], v[174:175], v[10:11]
	v_fma_f64 v[176:177], v[160:161], v[4:5], -v[176:177]
	v_fmac_f64_e32 v[178:179], v[162:163], v[4:5]
	ds_load_b128 v[4:7], v2 offset:1680
	ds_load_b128 v[160:163], v2 offset:1696
	s_wait_loadcnt_dscnt 0x901
	v_mul_f64_e32 v[182:183], v[4:5], v[130:131]
	v_mul_f64_e32 v[130:131], v[6:7], v[130:131]
	v_fmac_f64_e32 v[180:181], v[174:175], v[8:9]
	v_fma_f64 v[8:9], v[172:173], v[8:9], -v[10:11]
	s_wait_loadcnt_dscnt 0x800
	v_mul_f64_e32 v[174:175], v[160:161], v[134:135]
	v_mul_f64_e32 v[134:135], v[162:163], v[134:135]
	v_add_f64_e32 v[10:11], 0, v[176:177]
	v_add_f64_e32 v[172:173], 0, v[178:179]
	v_fmac_f64_e32 v[182:183], v[6:7], v[128:129]
	v_fma_f64 v[128:129], v[4:5], v[128:129], -v[130:131]
	v_fmac_f64_e32 v[174:175], v[162:163], v[132:133]
	v_fma_f64 v[132:133], v[160:161], v[132:133], -v[134:135]
	v_add_f64_e32 v[130:131], v[10:11], v[8:9]
	v_add_f64_e32 v[172:173], v[172:173], v[180:181]
	ds_load_b128 v[4:7], v2 offset:1712
	ds_load_b128 v[8:11], v2 offset:1728
	s_wait_loadcnt_dscnt 0x701
	v_mul_f64_e32 v[176:177], v[4:5], v[138:139]
	v_mul_f64_e32 v[138:139], v[6:7], v[138:139]
	s_wait_loadcnt_dscnt 0x600
	v_mul_f64_e32 v[134:135], v[8:9], v[142:143]
	v_mul_f64_e32 v[142:143], v[10:11], v[142:143]
	v_add_f64_e32 v[128:129], v[130:131], v[128:129]
	v_add_f64_e32 v[130:131], v[172:173], v[182:183]
	v_fmac_f64_e32 v[176:177], v[6:7], v[136:137]
	v_fma_f64 v[136:137], v[4:5], v[136:137], -v[138:139]
	v_fmac_f64_e32 v[134:135], v[10:11], v[140:141]
	v_fma_f64 v[8:9], v[8:9], v[140:141], -v[142:143]
	v_add_f64_e32 v[132:133], v[128:129], v[132:133]
	v_add_f64_e32 v[138:139], v[130:131], v[174:175]
	ds_load_b128 v[4:7], v2 offset:1744
	ds_load_b128 v[128:131], v2 offset:1760
	s_wait_loadcnt_dscnt 0x501
	v_mul_f64_e32 v[160:161], v[4:5], v[146:147]
	v_mul_f64_e32 v[146:147], v[6:7], v[146:147]
	v_add_f64_e32 v[10:11], v[132:133], v[136:137]
	v_add_f64_e32 v[132:133], v[138:139], v[176:177]
	s_wait_loadcnt_dscnt 0x400
	v_mul_f64_e32 v[136:137], v[128:129], v[150:151]
	v_mul_f64_e32 v[138:139], v[130:131], v[150:151]
	v_fmac_f64_e32 v[160:161], v[6:7], v[144:145]
	v_fma_f64 v[140:141], v[4:5], v[144:145], -v[146:147]
	v_add_f64_e32 v[142:143], v[10:11], v[8:9]
	v_add_f64_e32 v[132:133], v[132:133], v[134:135]
	ds_load_b128 v[4:7], v2 offset:1776
	ds_load_b128 v[8:11], v2 offset:1792
	v_fmac_f64_e32 v[136:137], v[130:131], v[148:149]
	v_fma_f64 v[128:129], v[128:129], v[148:149], -v[138:139]
	s_wait_loadcnt_dscnt 0x301
	v_mul_f64_e32 v[134:135], v[4:5], v[154:155]
	v_mul_f64_e32 v[144:145], v[6:7], v[154:155]
	s_wait_loadcnt_dscnt 0x200
	v_mul_f64_e32 v[138:139], v[8:9], v[158:159]
	v_add_f64_e32 v[130:131], v[142:143], v[140:141]
	v_add_f64_e32 v[132:133], v[132:133], v[160:161]
	v_mul_f64_e32 v[140:141], v[10:11], v[158:159]
	v_fmac_f64_e32 v[134:135], v[6:7], v[152:153]
	v_fma_f64 v[142:143], v[4:5], v[152:153], -v[144:145]
	ds_load_b128 v[4:7], v2 offset:1808
	v_fmac_f64_e32 v[138:139], v[10:11], v[156:157]
	v_add_f64_e32 v[128:129], v[130:131], v[128:129]
	v_add_f64_e32 v[130:131], v[132:133], v[136:137]
	v_fma_f64 v[8:9], v[8:9], v[156:157], -v[140:141]
	s_wait_loadcnt_dscnt 0x100
	v_mul_f64_e32 v[132:133], v[4:5], v[166:167]
	v_mul_f64_e32 v[136:137], v[6:7], v[166:167]
	v_add_f64_e32 v[10:11], v[128:129], v[142:143]
	v_add_f64_e32 v[128:129], v[130:131], v[134:135]
	s_delay_alu instid0(VALU_DEP_4) | instskip(NEXT) | instid1(VALU_DEP_4)
	v_fmac_f64_e32 v[132:133], v[6:7], v[164:165]
	v_fma_f64 v[4:5], v[4:5], v[164:165], -v[136:137]
	s_delay_alu instid0(VALU_DEP_4) | instskip(NEXT) | instid1(VALU_DEP_4)
	v_add_f64_e32 v[6:7], v[10:11], v[8:9]
	v_add_f64_e32 v[8:9], v[128:129], v[138:139]
	s_delay_alu instid0(VALU_DEP_2) | instskip(NEXT) | instid1(VALU_DEP_2)
	v_add_f64_e32 v[4:5], v[6:7], v[4:5]
	v_add_f64_e32 v[6:7], v[8:9], v[132:133]
	s_wait_loadcnt 0x0
	s_delay_alu instid0(VALU_DEP_2) | instskip(NEXT) | instid1(VALU_DEP_2)
	v_add_f64_e64 v[4:5], v[168:169], -v[4:5]
	v_add_f64_e64 v[6:7], v[170:171], -v[6:7]
	scratch_store_b128 off, v[4:7], off offset:720
	s_wait_xcnt 0x0
	v_cmpx_lt_u32_e32 44, v1
	s_cbranch_execz .LBB56_267
; %bb.266:
	scratch_load_b128 v[6:9], off, s22
	v_dual_mov_b32 v3, v2 :: v_dual_mov_b32 v4, v2
	v_mov_b32_e32 v5, v2
	scratch_store_b128 off, v[2:5], off offset:704
	s_wait_loadcnt 0x0
	ds_store_b128 v12, v[6:9]
.LBB56_267:
	s_wait_xcnt 0x0
	s_or_b32 exec_lo, exec_lo, s2
	s_wait_storecnt_dscnt 0x0
	s_barrier_signal -1
	s_barrier_wait -1
	s_clause 0x9
	scratch_load_b128 v[4:7], off, off offset:720
	scratch_load_b128 v[8:11], off, off offset:736
	;; [unrolled: 1-line block ×10, first 2 shown]
	ds_load_b128 v[160:163], v2 offset:1632
	ds_load_b128 v[168:171], v2 offset:1648
	s_clause 0x2
	scratch_load_b128 v[164:167], off, off offset:880
	scratch_load_b128 v[172:175], off, off offset:704
	scratch_load_b128 v[176:179], off, off offset:896
	s_mov_b32 s2, exec_lo
	s_wait_loadcnt_dscnt 0xc01
	v_mul_f64_e32 v[180:181], v[162:163], v[6:7]
	v_mul_f64_e32 v[182:183], v[160:161], v[6:7]
	s_wait_loadcnt_dscnt 0xb00
	v_mul_f64_e32 v[184:185], v[168:169], v[10:11]
	v_mul_f64_e32 v[10:11], v[170:171], v[10:11]
	s_delay_alu instid0(VALU_DEP_4) | instskip(NEXT) | instid1(VALU_DEP_4)
	v_fma_f64 v[180:181], v[160:161], v[4:5], -v[180:181]
	v_fmac_f64_e32 v[182:183], v[162:163], v[4:5]
	ds_load_b128 v[4:7], v2 offset:1664
	ds_load_b128 v[160:163], v2 offset:1680
	v_fmac_f64_e32 v[184:185], v[170:171], v[8:9]
	v_fma_f64 v[8:9], v[168:169], v[8:9], -v[10:11]
	s_wait_loadcnt_dscnt 0xa01
	v_mul_f64_e32 v[186:187], v[4:5], v[130:131]
	v_mul_f64_e32 v[130:131], v[6:7], v[130:131]
	s_wait_loadcnt_dscnt 0x900
	v_mul_f64_e32 v[170:171], v[160:161], v[134:135]
	v_mul_f64_e32 v[134:135], v[162:163], v[134:135]
	v_add_f64_e32 v[10:11], 0, v[180:181]
	v_add_f64_e32 v[168:169], 0, v[182:183]
	v_fmac_f64_e32 v[186:187], v[6:7], v[128:129]
	v_fma_f64 v[128:129], v[4:5], v[128:129], -v[130:131]
	v_fmac_f64_e32 v[170:171], v[162:163], v[132:133]
	v_fma_f64 v[132:133], v[160:161], v[132:133], -v[134:135]
	v_add_f64_e32 v[130:131], v[10:11], v[8:9]
	v_add_f64_e32 v[168:169], v[168:169], v[184:185]
	ds_load_b128 v[4:7], v2 offset:1696
	ds_load_b128 v[8:11], v2 offset:1712
	s_wait_loadcnt_dscnt 0x801
	v_mul_f64_e32 v[180:181], v[4:5], v[138:139]
	v_mul_f64_e32 v[138:139], v[6:7], v[138:139]
	s_wait_loadcnt_dscnt 0x700
	v_mul_f64_e32 v[134:135], v[8:9], v[142:143]
	v_mul_f64_e32 v[142:143], v[10:11], v[142:143]
	v_add_f64_e32 v[128:129], v[130:131], v[128:129]
	v_add_f64_e32 v[130:131], v[168:169], v[186:187]
	v_fmac_f64_e32 v[180:181], v[6:7], v[136:137]
	v_fma_f64 v[136:137], v[4:5], v[136:137], -v[138:139]
	v_fmac_f64_e32 v[134:135], v[10:11], v[140:141]
	v_fma_f64 v[8:9], v[8:9], v[140:141], -v[142:143]
	v_add_f64_e32 v[132:133], v[128:129], v[132:133]
	v_add_f64_e32 v[138:139], v[130:131], v[170:171]
	ds_load_b128 v[4:7], v2 offset:1728
	ds_load_b128 v[128:131], v2 offset:1744
	s_wait_loadcnt_dscnt 0x601
	v_mul_f64_e32 v[160:161], v[4:5], v[146:147]
	v_mul_f64_e32 v[146:147], v[6:7], v[146:147]
	v_add_f64_e32 v[10:11], v[132:133], v[136:137]
	v_add_f64_e32 v[132:133], v[138:139], v[180:181]
	s_wait_loadcnt_dscnt 0x500
	v_mul_f64_e32 v[136:137], v[128:129], v[150:151]
	v_mul_f64_e32 v[138:139], v[130:131], v[150:151]
	v_fmac_f64_e32 v[160:161], v[6:7], v[144:145]
	v_fma_f64 v[140:141], v[4:5], v[144:145], -v[146:147]
	v_add_f64_e32 v[142:143], v[10:11], v[8:9]
	v_add_f64_e32 v[132:133], v[132:133], v[134:135]
	ds_load_b128 v[4:7], v2 offset:1760
	ds_load_b128 v[8:11], v2 offset:1776
	v_fmac_f64_e32 v[136:137], v[130:131], v[148:149]
	v_fma_f64 v[128:129], v[128:129], v[148:149], -v[138:139]
	s_wait_loadcnt_dscnt 0x401
	v_mul_f64_e32 v[134:135], v[4:5], v[154:155]
	v_mul_f64_e32 v[144:145], v[6:7], v[154:155]
	s_wait_loadcnt_dscnt 0x300
	v_mul_f64_e32 v[138:139], v[8:9], v[158:159]
	v_add_f64_e32 v[130:131], v[142:143], v[140:141]
	v_add_f64_e32 v[132:133], v[132:133], v[160:161]
	v_mul_f64_e32 v[140:141], v[10:11], v[158:159]
	v_fmac_f64_e32 v[134:135], v[6:7], v[152:153]
	v_fma_f64 v[142:143], v[4:5], v[152:153], -v[144:145]
	v_fmac_f64_e32 v[138:139], v[10:11], v[156:157]
	v_add_f64_e32 v[144:145], v[130:131], v[128:129]
	v_add_f64_e32 v[132:133], v[132:133], v[136:137]
	ds_load_b128 v[4:7], v2 offset:1792
	ds_load_b128 v[128:131], v2 offset:1808
	v_fma_f64 v[8:9], v[8:9], v[156:157], -v[140:141]
	s_wait_loadcnt_dscnt 0x201
	v_mul_f64_e32 v[2:3], v[4:5], v[166:167]
	v_mul_f64_e32 v[136:137], v[6:7], v[166:167]
	s_wait_loadcnt_dscnt 0x0
	v_mul_f64_e32 v[140:141], v[130:131], v[178:179]
	v_add_f64_e32 v[10:11], v[144:145], v[142:143]
	v_add_f64_e32 v[132:133], v[132:133], v[134:135]
	v_mul_f64_e32 v[134:135], v[128:129], v[178:179]
	v_fmac_f64_e32 v[2:3], v[6:7], v[164:165]
	v_fma_f64 v[4:5], v[4:5], v[164:165], -v[136:137]
	v_add_f64_e32 v[6:7], v[10:11], v[8:9]
	v_add_f64_e32 v[8:9], v[132:133], v[138:139]
	v_fmac_f64_e32 v[134:135], v[130:131], v[176:177]
	v_fma_f64 v[10:11], v[128:129], v[176:177], -v[140:141]
	s_delay_alu instid0(VALU_DEP_4) | instskip(NEXT) | instid1(VALU_DEP_4)
	v_add_f64_e32 v[4:5], v[6:7], v[4:5]
	v_add_f64_e32 v[2:3], v[8:9], v[2:3]
	s_delay_alu instid0(VALU_DEP_2) | instskip(NEXT) | instid1(VALU_DEP_2)
	v_add_f64_e32 v[4:5], v[4:5], v[10:11]
	v_add_f64_e32 v[6:7], v[2:3], v[134:135]
	s_delay_alu instid0(VALU_DEP_2) | instskip(NEXT) | instid1(VALU_DEP_2)
	v_add_f64_e64 v[2:3], v[172:173], -v[4:5]
	v_add_f64_e64 v[4:5], v[174:175], -v[6:7]
	scratch_store_b128 off, v[2:5], off offset:704
	s_wait_xcnt 0x0
	v_cmpx_lt_u32_e32 43, v1
	s_cbranch_execz .LBB56_269
; %bb.268:
	scratch_load_b128 v[2:5], off, s21
	v_mov_b32_e32 v6, 0
	s_delay_alu instid0(VALU_DEP_1)
	v_dual_mov_b32 v7, v6 :: v_dual_mov_b32 v8, v6
	v_mov_b32_e32 v9, v6
	scratch_store_b128 off, v[6:9], off offset:688
	s_wait_loadcnt 0x0
	ds_store_b128 v12, v[2:5]
.LBB56_269:
	s_wait_xcnt 0x0
	s_or_b32 exec_lo, exec_lo, s2
	s_wait_storecnt_dscnt 0x0
	s_barrier_signal -1
	s_barrier_wait -1
	s_clause 0x9
	scratch_load_b128 v[4:7], off, off offset:704
	scratch_load_b128 v[8:11], off, off offset:720
	;; [unrolled: 1-line block ×10, first 2 shown]
	v_mov_b32_e32 v2, 0
	s_mov_b32 s2, exec_lo
	ds_load_b128 v[160:163], v2 offset:1616
	s_clause 0x2
	scratch_load_b128 v[164:167], off, off offset:864
	scratch_load_b128 v[168:171], off, off offset:688
	;; [unrolled: 1-line block ×3, first 2 shown]
	s_wait_loadcnt_dscnt 0xc00
	v_mul_f64_e32 v[180:181], v[162:163], v[6:7]
	v_mul_f64_e32 v[184:185], v[160:161], v[6:7]
	ds_load_b128 v[172:175], v2 offset:1632
	v_fma_f64 v[188:189], v[160:161], v[4:5], -v[180:181]
	v_fmac_f64_e32 v[184:185], v[162:163], v[4:5]
	ds_load_b128 v[4:7], v2 offset:1648
	s_wait_loadcnt_dscnt 0xb01
	v_mul_f64_e32 v[186:187], v[172:173], v[10:11]
	v_mul_f64_e32 v[10:11], v[174:175], v[10:11]
	scratch_load_b128 v[160:163], off, off offset:896
	ds_load_b128 v[180:183], v2 offset:1664
	s_wait_loadcnt_dscnt 0xb01
	v_mul_f64_e32 v[190:191], v[4:5], v[130:131]
	v_mul_f64_e32 v[130:131], v[6:7], v[130:131]
	v_fmac_f64_e32 v[186:187], v[174:175], v[8:9]
	v_fma_f64 v[8:9], v[172:173], v[8:9], -v[10:11]
	v_add_f64_e32 v[10:11], 0, v[188:189]
	v_add_f64_e32 v[172:173], 0, v[184:185]
	s_wait_loadcnt_dscnt 0xa00
	v_mul_f64_e32 v[174:175], v[180:181], v[134:135]
	v_mul_f64_e32 v[134:135], v[182:183], v[134:135]
	v_fmac_f64_e32 v[190:191], v[6:7], v[128:129]
	v_fma_f64 v[128:129], v[4:5], v[128:129], -v[130:131]
	v_add_f64_e32 v[130:131], v[10:11], v[8:9]
	v_add_f64_e32 v[172:173], v[172:173], v[186:187]
	ds_load_b128 v[4:7], v2 offset:1680
	ds_load_b128 v[8:11], v2 offset:1696
	v_fmac_f64_e32 v[174:175], v[182:183], v[132:133]
	v_fma_f64 v[132:133], v[180:181], v[132:133], -v[134:135]
	s_wait_loadcnt_dscnt 0x901
	v_mul_f64_e32 v[184:185], v[4:5], v[138:139]
	v_mul_f64_e32 v[138:139], v[6:7], v[138:139]
	s_wait_loadcnt_dscnt 0x800
	v_mul_f64_e32 v[134:135], v[8:9], v[142:143]
	v_mul_f64_e32 v[142:143], v[10:11], v[142:143]
	v_add_f64_e32 v[128:129], v[130:131], v[128:129]
	v_add_f64_e32 v[130:131], v[172:173], v[190:191]
	v_fmac_f64_e32 v[184:185], v[6:7], v[136:137]
	v_fma_f64 v[136:137], v[4:5], v[136:137], -v[138:139]
	v_fmac_f64_e32 v[134:135], v[10:11], v[140:141]
	v_fma_f64 v[8:9], v[8:9], v[140:141], -v[142:143]
	v_add_f64_e32 v[132:133], v[128:129], v[132:133]
	v_add_f64_e32 v[138:139], v[130:131], v[174:175]
	ds_load_b128 v[4:7], v2 offset:1712
	ds_load_b128 v[128:131], v2 offset:1728
	s_wait_loadcnt_dscnt 0x701
	v_mul_f64_e32 v[172:173], v[4:5], v[146:147]
	v_mul_f64_e32 v[146:147], v[6:7], v[146:147]
	v_add_f64_e32 v[10:11], v[132:133], v[136:137]
	v_add_f64_e32 v[132:133], v[138:139], v[184:185]
	s_wait_loadcnt_dscnt 0x600
	v_mul_f64_e32 v[136:137], v[128:129], v[150:151]
	v_mul_f64_e32 v[138:139], v[130:131], v[150:151]
	v_fmac_f64_e32 v[172:173], v[6:7], v[144:145]
	v_fma_f64 v[140:141], v[4:5], v[144:145], -v[146:147]
	v_add_f64_e32 v[142:143], v[10:11], v[8:9]
	v_add_f64_e32 v[132:133], v[132:133], v[134:135]
	ds_load_b128 v[4:7], v2 offset:1744
	ds_load_b128 v[8:11], v2 offset:1760
	v_fmac_f64_e32 v[136:137], v[130:131], v[148:149]
	v_fma_f64 v[128:129], v[128:129], v[148:149], -v[138:139]
	s_wait_loadcnt_dscnt 0x501
	v_mul_f64_e32 v[134:135], v[4:5], v[154:155]
	v_mul_f64_e32 v[144:145], v[6:7], v[154:155]
	s_wait_loadcnt_dscnt 0x400
	v_mul_f64_e32 v[138:139], v[8:9], v[158:159]
	v_add_f64_e32 v[130:131], v[142:143], v[140:141]
	v_add_f64_e32 v[132:133], v[132:133], v[172:173]
	v_mul_f64_e32 v[140:141], v[10:11], v[158:159]
	v_fmac_f64_e32 v[134:135], v[6:7], v[152:153]
	v_fma_f64 v[142:143], v[4:5], v[152:153], -v[144:145]
	v_fmac_f64_e32 v[138:139], v[10:11], v[156:157]
	v_add_f64_e32 v[144:145], v[130:131], v[128:129]
	v_add_f64_e32 v[132:133], v[132:133], v[136:137]
	ds_load_b128 v[4:7], v2 offset:1776
	ds_load_b128 v[128:131], v2 offset:1792
	v_fma_f64 v[8:9], v[8:9], v[156:157], -v[140:141]
	s_wait_loadcnt_dscnt 0x301
	v_mul_f64_e32 v[136:137], v[4:5], v[166:167]
	v_mul_f64_e32 v[146:147], v[6:7], v[166:167]
	s_wait_loadcnt_dscnt 0x100
	v_mul_f64_e32 v[140:141], v[130:131], v[178:179]
	v_add_f64_e32 v[10:11], v[144:145], v[142:143]
	v_add_f64_e32 v[132:133], v[132:133], v[134:135]
	v_mul_f64_e32 v[134:135], v[128:129], v[178:179]
	v_fmac_f64_e32 v[136:137], v[6:7], v[164:165]
	v_fma_f64 v[142:143], v[4:5], v[164:165], -v[146:147]
	ds_load_b128 v[4:7], v2 offset:1808
	v_fma_f64 v[128:129], v[128:129], v[176:177], -v[140:141]
	v_add_f64_e32 v[8:9], v[10:11], v[8:9]
	v_add_f64_e32 v[10:11], v[132:133], v[138:139]
	v_fmac_f64_e32 v[134:135], v[130:131], v[176:177]
	s_wait_loadcnt_dscnt 0x0
	v_mul_f64_e32 v[132:133], v[4:5], v[162:163]
	v_mul_f64_e32 v[138:139], v[6:7], v[162:163]
	v_add_f64_e32 v[8:9], v[8:9], v[142:143]
	v_add_f64_e32 v[10:11], v[10:11], v[136:137]
	s_delay_alu instid0(VALU_DEP_4) | instskip(NEXT) | instid1(VALU_DEP_4)
	v_fmac_f64_e32 v[132:133], v[6:7], v[160:161]
	v_fma_f64 v[4:5], v[4:5], v[160:161], -v[138:139]
	s_delay_alu instid0(VALU_DEP_4) | instskip(NEXT) | instid1(VALU_DEP_4)
	v_add_f64_e32 v[6:7], v[8:9], v[128:129]
	v_add_f64_e32 v[8:9], v[10:11], v[134:135]
	s_delay_alu instid0(VALU_DEP_2) | instskip(NEXT) | instid1(VALU_DEP_2)
	v_add_f64_e32 v[4:5], v[6:7], v[4:5]
	v_add_f64_e32 v[6:7], v[8:9], v[132:133]
	s_delay_alu instid0(VALU_DEP_2) | instskip(NEXT) | instid1(VALU_DEP_2)
	v_add_f64_e64 v[4:5], v[168:169], -v[4:5]
	v_add_f64_e64 v[6:7], v[170:171], -v[6:7]
	scratch_store_b128 off, v[4:7], off offset:688
	s_wait_xcnt 0x0
	v_cmpx_lt_u32_e32 42, v1
	s_cbranch_execz .LBB56_271
; %bb.270:
	scratch_load_b128 v[6:9], off, s26
	v_dual_mov_b32 v3, v2 :: v_dual_mov_b32 v4, v2
	v_mov_b32_e32 v5, v2
	scratch_store_b128 off, v[2:5], off offset:672
	s_wait_loadcnt 0x0
	ds_store_b128 v12, v[6:9]
.LBB56_271:
	s_wait_xcnt 0x0
	s_or_b32 exec_lo, exec_lo, s2
	s_wait_storecnt_dscnt 0x0
	s_barrier_signal -1
	s_barrier_wait -1
	s_clause 0x9
	scratch_load_b128 v[4:7], off, off offset:688
	scratch_load_b128 v[8:11], off, off offset:704
	;; [unrolled: 1-line block ×10, first 2 shown]
	ds_load_b128 v[160:163], v2 offset:1600
	ds_load_b128 v[168:171], v2 offset:1616
	s_clause 0x2
	scratch_load_b128 v[164:167], off, off offset:848
	scratch_load_b128 v[172:175], off, off offset:672
	;; [unrolled: 1-line block ×3, first 2 shown]
	s_mov_b32 s2, exec_lo
	s_wait_loadcnt_dscnt 0xc01
	v_mul_f64_e32 v[180:181], v[162:163], v[6:7]
	v_mul_f64_e32 v[184:185], v[160:161], v[6:7]
	s_wait_loadcnt_dscnt 0xb00
	v_mul_f64_e32 v[186:187], v[168:169], v[10:11]
	v_mul_f64_e32 v[10:11], v[170:171], v[10:11]
	s_delay_alu instid0(VALU_DEP_4) | instskip(NEXT) | instid1(VALU_DEP_4)
	v_fma_f64 v[188:189], v[160:161], v[4:5], -v[180:181]
	v_fmac_f64_e32 v[184:185], v[162:163], v[4:5]
	ds_load_b128 v[4:7], v2 offset:1632
	ds_load_b128 v[160:163], v2 offset:1648
	scratch_load_b128 v[180:183], off, off offset:880
	v_fmac_f64_e32 v[186:187], v[170:171], v[8:9]
	v_fma_f64 v[168:169], v[168:169], v[8:9], -v[10:11]
	scratch_load_b128 v[8:11], off, off offset:896
	s_wait_loadcnt_dscnt 0xc01
	v_mul_f64_e32 v[190:191], v[4:5], v[130:131]
	v_mul_f64_e32 v[130:131], v[6:7], v[130:131]
	v_add_f64_e32 v[170:171], 0, v[188:189]
	v_add_f64_e32 v[184:185], 0, v[184:185]
	s_wait_loadcnt_dscnt 0xb00
	v_mul_f64_e32 v[188:189], v[160:161], v[134:135]
	v_mul_f64_e32 v[134:135], v[162:163], v[134:135]
	v_fmac_f64_e32 v[190:191], v[6:7], v[128:129]
	v_fma_f64 v[192:193], v[4:5], v[128:129], -v[130:131]
	ds_load_b128 v[4:7], v2 offset:1664
	ds_load_b128 v[128:131], v2 offset:1680
	v_add_f64_e32 v[168:169], v[170:171], v[168:169]
	v_add_f64_e32 v[170:171], v[184:185], v[186:187]
	v_fmac_f64_e32 v[188:189], v[162:163], v[132:133]
	v_fma_f64 v[132:133], v[160:161], v[132:133], -v[134:135]
	s_wait_loadcnt_dscnt 0xa01
	v_mul_f64_e32 v[184:185], v[4:5], v[138:139]
	v_mul_f64_e32 v[138:139], v[6:7], v[138:139]
	s_wait_loadcnt_dscnt 0x900
	v_mul_f64_e32 v[162:163], v[128:129], v[142:143]
	v_mul_f64_e32 v[142:143], v[130:131], v[142:143]
	v_add_f64_e32 v[134:135], v[168:169], v[192:193]
	v_add_f64_e32 v[160:161], v[170:171], v[190:191]
	v_fmac_f64_e32 v[184:185], v[6:7], v[136:137]
	v_fma_f64 v[136:137], v[4:5], v[136:137], -v[138:139]
	v_fmac_f64_e32 v[162:163], v[130:131], v[140:141]
	v_fma_f64 v[128:129], v[128:129], v[140:141], -v[142:143]
	v_add_f64_e32 v[138:139], v[134:135], v[132:133]
	v_add_f64_e32 v[160:161], v[160:161], v[188:189]
	ds_load_b128 v[4:7], v2 offset:1696
	ds_load_b128 v[132:135], v2 offset:1712
	s_wait_loadcnt_dscnt 0x801
	v_mul_f64_e32 v[168:169], v[4:5], v[146:147]
	v_mul_f64_e32 v[146:147], v[6:7], v[146:147]
	s_wait_loadcnt_dscnt 0x700
	v_mul_f64_e32 v[140:141], v[134:135], v[150:151]
	v_add_f64_e32 v[130:131], v[138:139], v[136:137]
	v_add_f64_e32 v[136:137], v[160:161], v[184:185]
	v_mul_f64_e32 v[138:139], v[132:133], v[150:151]
	v_fmac_f64_e32 v[168:169], v[6:7], v[144:145]
	v_fma_f64 v[142:143], v[4:5], v[144:145], -v[146:147]
	v_fma_f64 v[132:133], v[132:133], v[148:149], -v[140:141]
	v_add_f64_e32 v[144:145], v[130:131], v[128:129]
	v_add_f64_e32 v[136:137], v[136:137], v[162:163]
	ds_load_b128 v[4:7], v2 offset:1728
	ds_load_b128 v[128:131], v2 offset:1744
	v_fmac_f64_e32 v[138:139], v[134:135], v[148:149]
	s_wait_loadcnt_dscnt 0x601
	v_mul_f64_e32 v[146:147], v[4:5], v[154:155]
	v_mul_f64_e32 v[150:151], v[6:7], v[154:155]
	s_wait_loadcnt_dscnt 0x500
	v_mul_f64_e32 v[140:141], v[128:129], v[158:159]
	v_add_f64_e32 v[134:135], v[144:145], v[142:143]
	v_add_f64_e32 v[136:137], v[136:137], v[168:169]
	v_mul_f64_e32 v[142:143], v[130:131], v[158:159]
	v_fmac_f64_e32 v[146:147], v[6:7], v[152:153]
	v_fma_f64 v[144:145], v[4:5], v[152:153], -v[150:151]
	v_fmac_f64_e32 v[140:141], v[130:131], v[156:157]
	v_add_f64_e32 v[148:149], v[134:135], v[132:133]
	v_add_f64_e32 v[136:137], v[136:137], v[138:139]
	ds_load_b128 v[4:7], v2 offset:1760
	ds_load_b128 v[132:135], v2 offset:1776
	v_fma_f64 v[128:129], v[128:129], v[156:157], -v[142:143]
	s_wait_loadcnt_dscnt 0x401
	v_mul_f64_e32 v[138:139], v[4:5], v[166:167]
	v_mul_f64_e32 v[150:151], v[6:7], v[166:167]
	s_wait_loadcnt_dscnt 0x200
	v_mul_f64_e32 v[142:143], v[132:133], v[178:179]
	v_add_f64_e32 v[130:131], v[148:149], v[144:145]
	v_add_f64_e32 v[136:137], v[136:137], v[146:147]
	v_mul_f64_e32 v[144:145], v[134:135], v[178:179]
	v_fmac_f64_e32 v[138:139], v[6:7], v[164:165]
	v_fma_f64 v[146:147], v[4:5], v[164:165], -v[150:151]
	v_fmac_f64_e32 v[142:143], v[134:135], v[176:177]
	v_add_f64_e32 v[148:149], v[130:131], v[128:129]
	v_add_f64_e32 v[136:137], v[136:137], v[140:141]
	ds_load_b128 v[4:7], v2 offset:1792
	ds_load_b128 v[128:131], v2 offset:1808
	v_fma_f64 v[132:133], v[132:133], v[176:177], -v[144:145]
	s_wait_loadcnt_dscnt 0x101
	v_mul_f64_e32 v[2:3], v[4:5], v[182:183]
	v_mul_f64_e32 v[140:141], v[6:7], v[182:183]
	v_add_f64_e32 v[134:135], v[148:149], v[146:147]
	v_add_f64_e32 v[136:137], v[136:137], v[138:139]
	s_wait_loadcnt_dscnt 0x0
	v_mul_f64_e32 v[138:139], v[128:129], v[10:11]
	v_mul_f64_e32 v[10:11], v[130:131], v[10:11]
	v_fmac_f64_e32 v[2:3], v[6:7], v[180:181]
	v_fma_f64 v[4:5], v[4:5], v[180:181], -v[140:141]
	v_add_f64_e32 v[6:7], v[134:135], v[132:133]
	v_add_f64_e32 v[132:133], v[136:137], v[142:143]
	v_fmac_f64_e32 v[138:139], v[130:131], v[8:9]
	v_fma_f64 v[8:9], v[128:129], v[8:9], -v[10:11]
	s_delay_alu instid0(VALU_DEP_4) | instskip(NEXT) | instid1(VALU_DEP_4)
	v_add_f64_e32 v[4:5], v[6:7], v[4:5]
	v_add_f64_e32 v[2:3], v[132:133], v[2:3]
	s_delay_alu instid0(VALU_DEP_2) | instskip(NEXT) | instid1(VALU_DEP_2)
	v_add_f64_e32 v[4:5], v[4:5], v[8:9]
	v_add_f64_e32 v[6:7], v[2:3], v[138:139]
	s_delay_alu instid0(VALU_DEP_2) | instskip(NEXT) | instid1(VALU_DEP_2)
	v_add_f64_e64 v[2:3], v[172:173], -v[4:5]
	v_add_f64_e64 v[4:5], v[174:175], -v[6:7]
	scratch_store_b128 off, v[2:5], off offset:672
	s_wait_xcnt 0x0
	v_cmpx_lt_u32_e32 41, v1
	s_cbranch_execz .LBB56_273
; %bb.272:
	scratch_load_b128 v[2:5], off, s24
	v_mov_b32_e32 v6, 0
	s_delay_alu instid0(VALU_DEP_1)
	v_dual_mov_b32 v7, v6 :: v_dual_mov_b32 v8, v6
	v_mov_b32_e32 v9, v6
	scratch_store_b128 off, v[6:9], off offset:656
	s_wait_loadcnt 0x0
	ds_store_b128 v12, v[2:5]
.LBB56_273:
	s_wait_xcnt 0x0
	s_or_b32 exec_lo, exec_lo, s2
	s_wait_storecnt_dscnt 0x0
	s_barrier_signal -1
	s_barrier_wait -1
	s_clause 0x9
	scratch_load_b128 v[4:7], off, off offset:672
	scratch_load_b128 v[8:11], off, off offset:688
	;; [unrolled: 1-line block ×10, first 2 shown]
	v_mov_b32_e32 v2, 0
	s_mov_b32 s2, exec_lo
	ds_load_b128 v[160:163], v2 offset:1584
	s_clause 0x2
	scratch_load_b128 v[164:167], off, off offset:832
	scratch_load_b128 v[168:171], off, off offset:656
	scratch_load_b128 v[176:179], off, off offset:848
	s_wait_loadcnt_dscnt 0xc00
	v_mul_f64_e32 v[180:181], v[162:163], v[6:7]
	v_mul_f64_e32 v[184:185], v[160:161], v[6:7]
	ds_load_b128 v[172:175], v2 offset:1600
	v_fma_f64 v[188:189], v[160:161], v[4:5], -v[180:181]
	v_fmac_f64_e32 v[184:185], v[162:163], v[4:5]
	ds_load_b128 v[4:7], v2 offset:1616
	s_wait_loadcnt_dscnt 0xb01
	v_mul_f64_e32 v[186:187], v[172:173], v[10:11]
	v_mul_f64_e32 v[10:11], v[174:175], v[10:11]
	scratch_load_b128 v[160:163], off, off offset:864
	ds_load_b128 v[180:183], v2 offset:1632
	s_wait_loadcnt_dscnt 0xb01
	v_mul_f64_e32 v[190:191], v[4:5], v[130:131]
	v_mul_f64_e32 v[130:131], v[6:7], v[130:131]
	v_add_f64_e32 v[184:185], 0, v[184:185]
	v_fmac_f64_e32 v[186:187], v[174:175], v[8:9]
	v_fma_f64 v[172:173], v[172:173], v[8:9], -v[10:11]
	v_add_f64_e32 v[174:175], 0, v[188:189]
	scratch_load_b128 v[8:11], off, off offset:880
	v_fmac_f64_e32 v[190:191], v[6:7], v[128:129]
	v_fma_f64 v[192:193], v[4:5], v[128:129], -v[130:131]
	ds_load_b128 v[4:7], v2 offset:1648
	s_wait_loadcnt_dscnt 0xb01
	v_mul_f64_e32 v[188:189], v[180:181], v[134:135]
	v_mul_f64_e32 v[134:135], v[182:183], v[134:135]
	scratch_load_b128 v[128:131], off, off offset:896
	v_add_f64_e32 v[184:185], v[184:185], v[186:187]
	v_add_f64_e32 v[194:195], v[174:175], v[172:173]
	ds_load_b128 v[172:175], v2 offset:1664
	s_wait_loadcnt_dscnt 0xb01
	v_mul_f64_e32 v[186:187], v[4:5], v[138:139]
	v_mul_f64_e32 v[138:139], v[6:7], v[138:139]
	v_fmac_f64_e32 v[188:189], v[182:183], v[132:133]
	v_fma_f64 v[132:133], v[180:181], v[132:133], -v[134:135]
	s_wait_loadcnt_dscnt 0xa00
	v_mul_f64_e32 v[182:183], v[172:173], v[142:143]
	v_mul_f64_e32 v[142:143], v[174:175], v[142:143]
	v_add_f64_e32 v[180:181], v[184:185], v[190:191]
	v_add_f64_e32 v[134:135], v[194:195], v[192:193]
	v_fmac_f64_e32 v[186:187], v[6:7], v[136:137]
	v_fma_f64 v[136:137], v[4:5], v[136:137], -v[138:139]
	v_fmac_f64_e32 v[182:183], v[174:175], v[140:141]
	v_fma_f64 v[140:141], v[172:173], v[140:141], -v[142:143]
	v_add_f64_e32 v[180:181], v[180:181], v[188:189]
	v_add_f64_e32 v[138:139], v[134:135], v[132:133]
	ds_load_b128 v[4:7], v2 offset:1680
	ds_load_b128 v[132:135], v2 offset:1696
	s_wait_loadcnt_dscnt 0x901
	v_mul_f64_e32 v[184:185], v[4:5], v[146:147]
	v_mul_f64_e32 v[146:147], v[6:7], v[146:147]
	s_wait_loadcnt_dscnt 0x800
	v_mul_f64_e32 v[142:143], v[132:133], v[150:151]
	v_mul_f64_e32 v[150:151], v[134:135], v[150:151]
	v_add_f64_e32 v[136:137], v[138:139], v[136:137]
	v_add_f64_e32 v[138:139], v[180:181], v[186:187]
	v_fmac_f64_e32 v[184:185], v[6:7], v[144:145]
	v_fma_f64 v[144:145], v[4:5], v[144:145], -v[146:147]
	v_fmac_f64_e32 v[142:143], v[134:135], v[148:149]
	v_fma_f64 v[132:133], v[132:133], v[148:149], -v[150:151]
	v_add_f64_e32 v[140:141], v[136:137], v[140:141]
	v_add_f64_e32 v[146:147], v[138:139], v[182:183]
	ds_load_b128 v[4:7], v2 offset:1712
	ds_load_b128 v[136:139], v2 offset:1728
	s_wait_loadcnt_dscnt 0x701
	v_mul_f64_e32 v[172:173], v[4:5], v[154:155]
	v_mul_f64_e32 v[154:155], v[6:7], v[154:155]
	v_add_f64_e32 v[134:135], v[140:141], v[144:145]
	v_add_f64_e32 v[140:141], v[146:147], v[184:185]
	s_wait_loadcnt_dscnt 0x600
	v_mul_f64_e32 v[144:145], v[136:137], v[158:159]
	v_mul_f64_e32 v[146:147], v[138:139], v[158:159]
	v_fmac_f64_e32 v[172:173], v[6:7], v[152:153]
	v_fma_f64 v[148:149], v[4:5], v[152:153], -v[154:155]
	v_add_f64_e32 v[150:151], v[134:135], v[132:133]
	v_add_f64_e32 v[140:141], v[140:141], v[142:143]
	ds_load_b128 v[4:7], v2 offset:1744
	ds_load_b128 v[132:135], v2 offset:1760
	v_fmac_f64_e32 v[144:145], v[138:139], v[156:157]
	v_fma_f64 v[136:137], v[136:137], v[156:157], -v[146:147]
	s_wait_loadcnt_dscnt 0x501
	v_mul_f64_e32 v[142:143], v[4:5], v[166:167]
	v_mul_f64_e32 v[152:153], v[6:7], v[166:167]
	s_wait_loadcnt_dscnt 0x300
	v_mul_f64_e32 v[146:147], v[132:133], v[178:179]
	v_add_f64_e32 v[138:139], v[150:151], v[148:149]
	v_add_f64_e32 v[140:141], v[140:141], v[172:173]
	v_mul_f64_e32 v[148:149], v[134:135], v[178:179]
	v_fmac_f64_e32 v[142:143], v[6:7], v[164:165]
	v_fma_f64 v[150:151], v[4:5], v[164:165], -v[152:153]
	v_fmac_f64_e32 v[146:147], v[134:135], v[176:177]
	v_add_f64_e32 v[152:153], v[138:139], v[136:137]
	v_add_f64_e32 v[140:141], v[140:141], v[144:145]
	ds_load_b128 v[4:7], v2 offset:1776
	ds_load_b128 v[136:139], v2 offset:1792
	v_fma_f64 v[132:133], v[132:133], v[176:177], -v[148:149]
	s_wait_loadcnt_dscnt 0x201
	v_mul_f64_e32 v[144:145], v[4:5], v[162:163]
	v_mul_f64_e32 v[154:155], v[6:7], v[162:163]
	v_add_f64_e32 v[134:135], v[152:153], v[150:151]
	v_add_f64_e32 v[140:141], v[140:141], v[142:143]
	s_wait_loadcnt_dscnt 0x100
	v_mul_f64_e32 v[142:143], v[136:137], v[10:11]
	v_mul_f64_e32 v[10:11], v[138:139], v[10:11]
	v_fmac_f64_e32 v[144:145], v[6:7], v[160:161]
	v_fma_f64 v[148:149], v[4:5], v[160:161], -v[154:155]
	ds_load_b128 v[4:7], v2 offset:1808
	v_add_f64_e32 v[132:133], v[134:135], v[132:133]
	v_add_f64_e32 v[134:135], v[140:141], v[146:147]
	v_fmac_f64_e32 v[142:143], v[138:139], v[8:9]
	v_fma_f64 v[8:9], v[136:137], v[8:9], -v[10:11]
	s_wait_loadcnt_dscnt 0x0
	v_mul_f64_e32 v[140:141], v[4:5], v[130:131]
	v_mul_f64_e32 v[130:131], v[6:7], v[130:131]
	v_add_f64_e32 v[10:11], v[132:133], v[148:149]
	v_add_f64_e32 v[132:133], v[134:135], v[144:145]
	s_delay_alu instid0(VALU_DEP_4) | instskip(NEXT) | instid1(VALU_DEP_4)
	v_fmac_f64_e32 v[140:141], v[6:7], v[128:129]
	v_fma_f64 v[4:5], v[4:5], v[128:129], -v[130:131]
	s_delay_alu instid0(VALU_DEP_4) | instskip(NEXT) | instid1(VALU_DEP_4)
	v_add_f64_e32 v[6:7], v[10:11], v[8:9]
	v_add_f64_e32 v[8:9], v[132:133], v[142:143]
	s_delay_alu instid0(VALU_DEP_2) | instskip(NEXT) | instid1(VALU_DEP_2)
	v_add_f64_e32 v[4:5], v[6:7], v[4:5]
	v_add_f64_e32 v[6:7], v[8:9], v[140:141]
	s_delay_alu instid0(VALU_DEP_2) | instskip(NEXT) | instid1(VALU_DEP_2)
	v_add_f64_e64 v[4:5], v[168:169], -v[4:5]
	v_add_f64_e64 v[6:7], v[170:171], -v[6:7]
	scratch_store_b128 off, v[4:7], off offset:656
	s_wait_xcnt 0x0
	v_cmpx_lt_u32_e32 40, v1
	s_cbranch_execz .LBB56_275
; %bb.274:
	scratch_load_b128 v[6:9], off, s28
	v_dual_mov_b32 v3, v2 :: v_dual_mov_b32 v4, v2
	v_mov_b32_e32 v5, v2
	scratch_store_b128 off, v[2:5], off offset:640
	s_wait_loadcnt 0x0
	ds_store_b128 v12, v[6:9]
.LBB56_275:
	s_wait_xcnt 0x0
	s_or_b32 exec_lo, exec_lo, s2
	s_wait_storecnt_dscnt 0x0
	s_barrier_signal -1
	s_barrier_wait -1
	s_clause 0x9
	scratch_load_b128 v[4:7], off, off offset:656
	scratch_load_b128 v[8:11], off, off offset:672
	scratch_load_b128 v[128:131], off, off offset:688
	scratch_load_b128 v[132:135], off, off offset:704
	scratch_load_b128 v[136:139], off, off offset:720
	scratch_load_b128 v[140:143], off, off offset:736
	scratch_load_b128 v[144:147], off, off offset:752
	scratch_load_b128 v[148:151], off, off offset:768
	scratch_load_b128 v[152:155], off, off offset:784
	scratch_load_b128 v[156:159], off, off offset:800
	ds_load_b128 v[160:163], v2 offset:1568
	ds_load_b128 v[168:171], v2 offset:1584
	s_clause 0x2
	scratch_load_b128 v[164:167], off, off offset:816
	scratch_load_b128 v[172:175], off, off offset:640
	;; [unrolled: 1-line block ×3, first 2 shown]
	s_mov_b32 s2, exec_lo
	s_wait_loadcnt_dscnt 0xc01
	v_mul_f64_e32 v[180:181], v[162:163], v[6:7]
	v_mul_f64_e32 v[184:185], v[160:161], v[6:7]
	s_wait_loadcnt_dscnt 0xb00
	v_mul_f64_e32 v[186:187], v[168:169], v[10:11]
	v_mul_f64_e32 v[10:11], v[170:171], v[10:11]
	s_delay_alu instid0(VALU_DEP_4) | instskip(NEXT) | instid1(VALU_DEP_4)
	v_fma_f64 v[188:189], v[160:161], v[4:5], -v[180:181]
	v_fmac_f64_e32 v[184:185], v[162:163], v[4:5]
	ds_load_b128 v[4:7], v2 offset:1600
	ds_load_b128 v[160:163], v2 offset:1616
	scratch_load_b128 v[180:183], off, off offset:848
	v_fmac_f64_e32 v[186:187], v[170:171], v[8:9]
	v_fma_f64 v[168:169], v[168:169], v[8:9], -v[10:11]
	scratch_load_b128 v[8:11], off, off offset:864
	s_wait_loadcnt_dscnt 0xc01
	v_mul_f64_e32 v[190:191], v[4:5], v[130:131]
	v_mul_f64_e32 v[130:131], v[6:7], v[130:131]
	v_add_f64_e32 v[170:171], 0, v[188:189]
	v_add_f64_e32 v[184:185], 0, v[184:185]
	s_wait_loadcnt_dscnt 0xb00
	v_mul_f64_e32 v[188:189], v[160:161], v[134:135]
	v_mul_f64_e32 v[134:135], v[162:163], v[134:135]
	v_fmac_f64_e32 v[190:191], v[6:7], v[128:129]
	v_fma_f64 v[192:193], v[4:5], v[128:129], -v[130:131]
	ds_load_b128 v[4:7], v2 offset:1632
	ds_load_b128 v[128:131], v2 offset:1648
	v_add_f64_e32 v[194:195], v[170:171], v[168:169]
	v_add_f64_e32 v[184:185], v[184:185], v[186:187]
	scratch_load_b128 v[168:171], off, off offset:880
	v_fmac_f64_e32 v[188:189], v[162:163], v[132:133]
	v_fma_f64 v[160:161], v[160:161], v[132:133], -v[134:135]
	scratch_load_b128 v[132:135], off, off offset:896
	s_wait_loadcnt_dscnt 0xc01
	v_mul_f64_e32 v[186:187], v[4:5], v[138:139]
	v_mul_f64_e32 v[138:139], v[6:7], v[138:139]
	v_add_f64_e32 v[162:163], v[194:195], v[192:193]
	v_add_f64_e32 v[184:185], v[184:185], v[190:191]
	s_wait_loadcnt_dscnt 0xb00
	v_mul_f64_e32 v[190:191], v[128:129], v[142:143]
	v_mul_f64_e32 v[142:143], v[130:131], v[142:143]
	v_fmac_f64_e32 v[186:187], v[6:7], v[136:137]
	v_fma_f64 v[192:193], v[4:5], v[136:137], -v[138:139]
	ds_load_b128 v[4:7], v2 offset:1664
	ds_load_b128 v[136:139], v2 offset:1680
	v_add_f64_e32 v[160:161], v[162:163], v[160:161]
	v_add_f64_e32 v[162:163], v[184:185], v[188:189]
	s_wait_loadcnt_dscnt 0xa01
	v_mul_f64_e32 v[184:185], v[4:5], v[146:147]
	v_mul_f64_e32 v[146:147], v[6:7], v[146:147]
	v_fmac_f64_e32 v[190:191], v[130:131], v[140:141]
	v_fma_f64 v[128:129], v[128:129], v[140:141], -v[142:143]
	s_wait_loadcnt_dscnt 0x900
	v_mul_f64_e32 v[142:143], v[136:137], v[150:151]
	v_mul_f64_e32 v[150:151], v[138:139], v[150:151]
	v_add_f64_e32 v[130:131], v[160:161], v[192:193]
	v_add_f64_e32 v[140:141], v[162:163], v[186:187]
	v_fmac_f64_e32 v[184:185], v[6:7], v[144:145]
	v_fma_f64 v[144:145], v[4:5], v[144:145], -v[146:147]
	v_fmac_f64_e32 v[142:143], v[138:139], v[148:149]
	v_fma_f64 v[136:137], v[136:137], v[148:149], -v[150:151]
	v_add_f64_e32 v[146:147], v[130:131], v[128:129]
	v_add_f64_e32 v[140:141], v[140:141], v[190:191]
	ds_load_b128 v[4:7], v2 offset:1696
	ds_load_b128 v[128:131], v2 offset:1712
	s_wait_loadcnt_dscnt 0x801
	v_mul_f64_e32 v[160:161], v[4:5], v[154:155]
	v_mul_f64_e32 v[154:155], v[6:7], v[154:155]
	v_add_f64_e32 v[138:139], v[146:147], v[144:145]
	v_add_f64_e32 v[140:141], v[140:141], v[184:185]
	s_wait_loadcnt_dscnt 0x700
	v_mul_f64_e32 v[144:145], v[128:129], v[158:159]
	v_mul_f64_e32 v[146:147], v[130:131], v[158:159]
	v_fmac_f64_e32 v[160:161], v[6:7], v[152:153]
	v_fma_f64 v[148:149], v[4:5], v[152:153], -v[154:155]
	v_add_f64_e32 v[150:151], v[138:139], v[136:137]
	v_add_f64_e32 v[140:141], v[140:141], v[142:143]
	ds_load_b128 v[4:7], v2 offset:1728
	ds_load_b128 v[136:139], v2 offset:1744
	v_fmac_f64_e32 v[144:145], v[130:131], v[156:157]
	v_fma_f64 v[128:129], v[128:129], v[156:157], -v[146:147]
	s_wait_loadcnt_dscnt 0x601
	v_mul_f64_e32 v[142:143], v[4:5], v[166:167]
	v_mul_f64_e32 v[152:153], v[6:7], v[166:167]
	s_wait_loadcnt_dscnt 0x400
	v_mul_f64_e32 v[146:147], v[136:137], v[178:179]
	v_add_f64_e32 v[130:131], v[150:151], v[148:149]
	v_add_f64_e32 v[140:141], v[140:141], v[160:161]
	v_mul_f64_e32 v[148:149], v[138:139], v[178:179]
	v_fmac_f64_e32 v[142:143], v[6:7], v[164:165]
	v_fma_f64 v[150:151], v[4:5], v[164:165], -v[152:153]
	v_fmac_f64_e32 v[146:147], v[138:139], v[176:177]
	v_add_f64_e32 v[152:153], v[130:131], v[128:129]
	v_add_f64_e32 v[140:141], v[140:141], v[144:145]
	ds_load_b128 v[4:7], v2 offset:1760
	ds_load_b128 v[128:131], v2 offset:1776
	v_fma_f64 v[136:137], v[136:137], v[176:177], -v[148:149]
	s_wait_loadcnt_dscnt 0x301
	v_mul_f64_e32 v[144:145], v[4:5], v[182:183]
	v_mul_f64_e32 v[154:155], v[6:7], v[182:183]
	v_add_f64_e32 v[138:139], v[152:153], v[150:151]
	v_add_f64_e32 v[140:141], v[140:141], v[142:143]
	s_wait_loadcnt_dscnt 0x200
	v_mul_f64_e32 v[142:143], v[128:129], v[10:11]
	v_mul_f64_e32 v[10:11], v[130:131], v[10:11]
	v_fmac_f64_e32 v[144:145], v[6:7], v[180:181]
	v_fma_f64 v[148:149], v[4:5], v[180:181], -v[154:155]
	v_add_f64_e32 v[150:151], v[138:139], v[136:137]
	v_add_f64_e32 v[140:141], v[140:141], v[146:147]
	ds_load_b128 v[4:7], v2 offset:1792
	ds_load_b128 v[136:139], v2 offset:1808
	v_fmac_f64_e32 v[142:143], v[130:131], v[8:9]
	v_fma_f64 v[8:9], v[128:129], v[8:9], -v[10:11]
	s_wait_loadcnt_dscnt 0x101
	v_mul_f64_e32 v[2:3], v[4:5], v[170:171]
	v_mul_f64_e32 v[146:147], v[6:7], v[170:171]
	s_wait_loadcnt_dscnt 0x0
	v_mul_f64_e32 v[130:131], v[136:137], v[134:135]
	v_mul_f64_e32 v[134:135], v[138:139], v[134:135]
	v_add_f64_e32 v[10:11], v[150:151], v[148:149]
	v_add_f64_e32 v[128:129], v[140:141], v[144:145]
	v_fmac_f64_e32 v[2:3], v[6:7], v[168:169]
	v_fma_f64 v[4:5], v[4:5], v[168:169], -v[146:147]
	v_fmac_f64_e32 v[130:131], v[138:139], v[132:133]
	v_add_f64_e32 v[6:7], v[10:11], v[8:9]
	v_add_f64_e32 v[8:9], v[128:129], v[142:143]
	v_fma_f64 v[10:11], v[136:137], v[132:133], -v[134:135]
	s_delay_alu instid0(VALU_DEP_3) | instskip(NEXT) | instid1(VALU_DEP_3)
	v_add_f64_e32 v[4:5], v[6:7], v[4:5]
	v_add_f64_e32 v[2:3], v[8:9], v[2:3]
	s_delay_alu instid0(VALU_DEP_2) | instskip(NEXT) | instid1(VALU_DEP_2)
	v_add_f64_e32 v[4:5], v[4:5], v[10:11]
	v_add_f64_e32 v[6:7], v[2:3], v[130:131]
	s_delay_alu instid0(VALU_DEP_2) | instskip(NEXT) | instid1(VALU_DEP_2)
	v_add_f64_e64 v[2:3], v[172:173], -v[4:5]
	v_add_f64_e64 v[4:5], v[174:175], -v[6:7]
	scratch_store_b128 off, v[2:5], off offset:640
	s_wait_xcnt 0x0
	v_cmpx_lt_u32_e32 39, v1
	s_cbranch_execz .LBB56_277
; %bb.276:
	scratch_load_b128 v[2:5], off, s27
	v_mov_b32_e32 v6, 0
	s_delay_alu instid0(VALU_DEP_1)
	v_dual_mov_b32 v7, v6 :: v_dual_mov_b32 v8, v6
	v_mov_b32_e32 v9, v6
	scratch_store_b128 off, v[6:9], off offset:624
	s_wait_loadcnt 0x0
	ds_store_b128 v12, v[2:5]
.LBB56_277:
	s_wait_xcnt 0x0
	s_or_b32 exec_lo, exec_lo, s2
	s_wait_storecnt_dscnt 0x0
	s_barrier_signal -1
	s_barrier_wait -1
	s_clause 0x9
	scratch_load_b128 v[4:7], off, off offset:640
	scratch_load_b128 v[8:11], off, off offset:656
	;; [unrolled: 1-line block ×10, first 2 shown]
	v_mov_b32_e32 v2, 0
	s_mov_b32 s2, exec_lo
	ds_load_b128 v[160:163], v2 offset:1552
	s_clause 0x2
	scratch_load_b128 v[164:167], off, off offset:800
	scratch_load_b128 v[168:171], off, off offset:624
	;; [unrolled: 1-line block ×3, first 2 shown]
	s_wait_loadcnt_dscnt 0xc00
	v_mul_f64_e32 v[180:181], v[162:163], v[6:7]
	v_mul_f64_e32 v[184:185], v[160:161], v[6:7]
	ds_load_b128 v[172:175], v2 offset:1568
	v_fma_f64 v[188:189], v[160:161], v[4:5], -v[180:181]
	v_fmac_f64_e32 v[184:185], v[162:163], v[4:5]
	ds_load_b128 v[4:7], v2 offset:1584
	s_wait_loadcnt_dscnt 0xb01
	v_mul_f64_e32 v[186:187], v[172:173], v[10:11]
	v_mul_f64_e32 v[10:11], v[174:175], v[10:11]
	scratch_load_b128 v[160:163], off, off offset:832
	ds_load_b128 v[180:183], v2 offset:1600
	s_wait_loadcnt_dscnt 0xb01
	v_mul_f64_e32 v[190:191], v[4:5], v[130:131]
	v_mul_f64_e32 v[130:131], v[6:7], v[130:131]
	v_add_f64_e32 v[184:185], 0, v[184:185]
	v_fmac_f64_e32 v[186:187], v[174:175], v[8:9]
	v_fma_f64 v[172:173], v[172:173], v[8:9], -v[10:11]
	v_add_f64_e32 v[174:175], 0, v[188:189]
	scratch_load_b128 v[8:11], off, off offset:848
	v_fmac_f64_e32 v[190:191], v[6:7], v[128:129]
	v_fma_f64 v[192:193], v[4:5], v[128:129], -v[130:131]
	ds_load_b128 v[4:7], v2 offset:1616
	s_wait_loadcnt_dscnt 0xb01
	v_mul_f64_e32 v[188:189], v[180:181], v[134:135]
	v_mul_f64_e32 v[134:135], v[182:183], v[134:135]
	scratch_load_b128 v[128:131], off, off offset:864
	v_add_f64_e32 v[184:185], v[184:185], v[186:187]
	v_add_f64_e32 v[194:195], v[174:175], v[172:173]
	ds_load_b128 v[172:175], v2 offset:1632
	s_wait_loadcnt_dscnt 0xb01
	v_mul_f64_e32 v[186:187], v[4:5], v[138:139]
	v_mul_f64_e32 v[138:139], v[6:7], v[138:139]
	v_fmac_f64_e32 v[188:189], v[182:183], v[132:133]
	v_fma_f64 v[180:181], v[180:181], v[132:133], -v[134:135]
	scratch_load_b128 v[132:135], off, off offset:880
	v_add_f64_e32 v[184:185], v[184:185], v[190:191]
	v_add_f64_e32 v[182:183], v[194:195], v[192:193]
	v_fmac_f64_e32 v[186:187], v[6:7], v[136:137]
	v_fma_f64 v[192:193], v[4:5], v[136:137], -v[138:139]
	ds_load_b128 v[4:7], v2 offset:1648
	s_wait_loadcnt_dscnt 0xb01
	v_mul_f64_e32 v[190:191], v[172:173], v[142:143]
	v_mul_f64_e32 v[142:143], v[174:175], v[142:143]
	scratch_load_b128 v[136:139], off, off offset:896
	v_add_f64_e32 v[184:185], v[184:185], v[188:189]
	s_wait_loadcnt_dscnt 0xb00
	v_mul_f64_e32 v[188:189], v[4:5], v[146:147]
	v_add_f64_e32 v[194:195], v[182:183], v[180:181]
	v_mul_f64_e32 v[146:147], v[6:7], v[146:147]
	ds_load_b128 v[180:183], v2 offset:1664
	v_fmac_f64_e32 v[190:191], v[174:175], v[140:141]
	v_fma_f64 v[140:141], v[172:173], v[140:141], -v[142:143]
	s_wait_loadcnt_dscnt 0xa00
	v_mul_f64_e32 v[174:175], v[180:181], v[150:151]
	v_mul_f64_e32 v[150:151], v[182:183], v[150:151]
	v_add_f64_e32 v[172:173], v[184:185], v[186:187]
	v_fmac_f64_e32 v[188:189], v[6:7], v[144:145]
	v_add_f64_e32 v[142:143], v[194:195], v[192:193]
	v_fma_f64 v[144:145], v[4:5], v[144:145], -v[146:147]
	v_fmac_f64_e32 v[174:175], v[182:183], v[148:149]
	v_fma_f64 v[148:149], v[180:181], v[148:149], -v[150:151]
	v_add_f64_e32 v[172:173], v[172:173], v[190:191]
	v_add_f64_e32 v[146:147], v[142:143], v[140:141]
	ds_load_b128 v[4:7], v2 offset:1680
	ds_load_b128 v[140:143], v2 offset:1696
	s_wait_loadcnt_dscnt 0x901
	v_mul_f64_e32 v[184:185], v[4:5], v[154:155]
	v_mul_f64_e32 v[154:155], v[6:7], v[154:155]
	s_wait_loadcnt_dscnt 0x800
	v_mul_f64_e32 v[150:151], v[140:141], v[158:159]
	v_mul_f64_e32 v[158:159], v[142:143], v[158:159]
	v_add_f64_e32 v[144:145], v[146:147], v[144:145]
	v_add_f64_e32 v[146:147], v[172:173], v[188:189]
	v_fmac_f64_e32 v[184:185], v[6:7], v[152:153]
	v_fma_f64 v[152:153], v[4:5], v[152:153], -v[154:155]
	v_fmac_f64_e32 v[150:151], v[142:143], v[156:157]
	v_fma_f64 v[140:141], v[140:141], v[156:157], -v[158:159]
	v_add_f64_e32 v[148:149], v[144:145], v[148:149]
	v_add_f64_e32 v[154:155], v[146:147], v[174:175]
	ds_load_b128 v[4:7], v2 offset:1712
	ds_load_b128 v[144:147], v2 offset:1728
	s_wait_loadcnt_dscnt 0x701
	v_mul_f64_e32 v[172:173], v[4:5], v[166:167]
	v_mul_f64_e32 v[166:167], v[6:7], v[166:167]
	v_add_f64_e32 v[142:143], v[148:149], v[152:153]
	v_add_f64_e32 v[148:149], v[154:155], v[184:185]
	s_wait_loadcnt_dscnt 0x500
	v_mul_f64_e32 v[152:153], v[144:145], v[178:179]
	v_mul_f64_e32 v[154:155], v[146:147], v[178:179]
	v_fmac_f64_e32 v[172:173], v[6:7], v[164:165]
	v_fma_f64 v[156:157], v[4:5], v[164:165], -v[166:167]
	v_add_f64_e32 v[158:159], v[142:143], v[140:141]
	v_add_f64_e32 v[148:149], v[148:149], v[150:151]
	ds_load_b128 v[4:7], v2 offset:1744
	ds_load_b128 v[140:143], v2 offset:1760
	v_fmac_f64_e32 v[152:153], v[146:147], v[176:177]
	v_fma_f64 v[144:145], v[144:145], v[176:177], -v[154:155]
	s_wait_loadcnt_dscnt 0x401
	v_mul_f64_e32 v[150:151], v[4:5], v[162:163]
	v_mul_f64_e32 v[162:163], v[6:7], v[162:163]
	v_add_f64_e32 v[146:147], v[158:159], v[156:157]
	v_add_f64_e32 v[148:149], v[148:149], v[172:173]
	s_wait_loadcnt_dscnt 0x300
	v_mul_f64_e32 v[154:155], v[140:141], v[10:11]
	v_mul_f64_e32 v[10:11], v[142:143], v[10:11]
	v_fmac_f64_e32 v[150:151], v[6:7], v[160:161]
	v_fma_f64 v[156:157], v[4:5], v[160:161], -v[162:163]
	v_add_f64_e32 v[158:159], v[146:147], v[144:145]
	v_add_f64_e32 v[148:149], v[148:149], v[152:153]
	ds_load_b128 v[4:7], v2 offset:1776
	ds_load_b128 v[144:147], v2 offset:1792
	v_fmac_f64_e32 v[154:155], v[142:143], v[8:9]
	v_fma_f64 v[8:9], v[140:141], v[8:9], -v[10:11]
	s_wait_loadcnt_dscnt 0x201
	v_mul_f64_e32 v[152:153], v[4:5], v[130:131]
	v_mul_f64_e32 v[130:131], v[6:7], v[130:131]
	s_wait_loadcnt_dscnt 0x100
	v_mul_f64_e32 v[142:143], v[144:145], v[134:135]
	v_mul_f64_e32 v[134:135], v[146:147], v[134:135]
	v_add_f64_e32 v[10:11], v[158:159], v[156:157]
	v_add_f64_e32 v[140:141], v[148:149], v[150:151]
	v_fmac_f64_e32 v[152:153], v[6:7], v[128:129]
	v_fma_f64 v[128:129], v[4:5], v[128:129], -v[130:131]
	ds_load_b128 v[4:7], v2 offset:1808
	v_fmac_f64_e32 v[142:143], v[146:147], v[132:133]
	v_fma_f64 v[132:133], v[144:145], v[132:133], -v[134:135]
	v_add_f64_e32 v[8:9], v[10:11], v[8:9]
	v_add_f64_e32 v[10:11], v[140:141], v[154:155]
	s_wait_loadcnt_dscnt 0x0
	v_mul_f64_e32 v[130:131], v[4:5], v[138:139]
	v_mul_f64_e32 v[138:139], v[6:7], v[138:139]
	s_delay_alu instid0(VALU_DEP_4) | instskip(NEXT) | instid1(VALU_DEP_4)
	v_add_f64_e32 v[8:9], v[8:9], v[128:129]
	v_add_f64_e32 v[10:11], v[10:11], v[152:153]
	s_delay_alu instid0(VALU_DEP_4) | instskip(NEXT) | instid1(VALU_DEP_4)
	v_fmac_f64_e32 v[130:131], v[6:7], v[136:137]
	v_fma_f64 v[4:5], v[4:5], v[136:137], -v[138:139]
	s_delay_alu instid0(VALU_DEP_4) | instskip(NEXT) | instid1(VALU_DEP_4)
	v_add_f64_e32 v[6:7], v[8:9], v[132:133]
	v_add_f64_e32 v[8:9], v[10:11], v[142:143]
	s_delay_alu instid0(VALU_DEP_2) | instskip(NEXT) | instid1(VALU_DEP_2)
	v_add_f64_e32 v[4:5], v[6:7], v[4:5]
	v_add_f64_e32 v[6:7], v[8:9], v[130:131]
	s_delay_alu instid0(VALU_DEP_2) | instskip(NEXT) | instid1(VALU_DEP_2)
	v_add_f64_e64 v[4:5], v[168:169], -v[4:5]
	v_add_f64_e64 v[6:7], v[170:171], -v[6:7]
	scratch_store_b128 off, v[4:7], off offset:624
	s_wait_xcnt 0x0
	v_cmpx_lt_u32_e32 38, v1
	s_cbranch_execz .LBB56_279
; %bb.278:
	scratch_load_b128 v[6:9], off, s31
	v_dual_mov_b32 v3, v2 :: v_dual_mov_b32 v4, v2
	v_mov_b32_e32 v5, v2
	scratch_store_b128 off, v[2:5], off offset:608
	s_wait_loadcnt 0x0
	ds_store_b128 v12, v[6:9]
.LBB56_279:
	s_wait_xcnt 0x0
	s_or_b32 exec_lo, exec_lo, s2
	s_wait_storecnt_dscnt 0x0
	s_barrier_signal -1
	s_barrier_wait -1
	s_clause 0x9
	scratch_load_b128 v[4:7], off, off offset:624
	scratch_load_b128 v[8:11], off, off offset:640
	;; [unrolled: 1-line block ×10, first 2 shown]
	ds_load_b128 v[160:163], v2 offset:1536
	ds_load_b128 v[168:171], v2 offset:1552
	s_clause 0x2
	scratch_load_b128 v[164:167], off, off offset:784
	scratch_load_b128 v[172:175], off, off offset:608
	;; [unrolled: 1-line block ×3, first 2 shown]
	s_mov_b32 s2, exec_lo
	s_wait_loadcnt_dscnt 0xc01
	v_mul_f64_e32 v[180:181], v[162:163], v[6:7]
	v_mul_f64_e32 v[184:185], v[160:161], v[6:7]
	s_wait_loadcnt_dscnt 0xb00
	v_mul_f64_e32 v[186:187], v[168:169], v[10:11]
	v_mul_f64_e32 v[10:11], v[170:171], v[10:11]
	s_delay_alu instid0(VALU_DEP_4) | instskip(NEXT) | instid1(VALU_DEP_4)
	v_fma_f64 v[188:189], v[160:161], v[4:5], -v[180:181]
	v_fmac_f64_e32 v[184:185], v[162:163], v[4:5]
	ds_load_b128 v[4:7], v2 offset:1568
	ds_load_b128 v[160:163], v2 offset:1584
	scratch_load_b128 v[180:183], off, off offset:816
	v_fmac_f64_e32 v[186:187], v[170:171], v[8:9]
	v_fma_f64 v[168:169], v[168:169], v[8:9], -v[10:11]
	scratch_load_b128 v[8:11], off, off offset:832
	s_wait_loadcnt_dscnt 0xc01
	v_mul_f64_e32 v[190:191], v[4:5], v[130:131]
	v_mul_f64_e32 v[130:131], v[6:7], v[130:131]
	v_add_f64_e32 v[170:171], 0, v[188:189]
	v_add_f64_e32 v[184:185], 0, v[184:185]
	s_wait_loadcnt_dscnt 0xb00
	v_mul_f64_e32 v[188:189], v[160:161], v[134:135]
	v_mul_f64_e32 v[134:135], v[162:163], v[134:135]
	v_fmac_f64_e32 v[190:191], v[6:7], v[128:129]
	v_fma_f64 v[192:193], v[4:5], v[128:129], -v[130:131]
	ds_load_b128 v[4:7], v2 offset:1600
	ds_load_b128 v[128:131], v2 offset:1616
	v_add_f64_e32 v[194:195], v[170:171], v[168:169]
	v_add_f64_e32 v[184:185], v[184:185], v[186:187]
	scratch_load_b128 v[168:171], off, off offset:848
	v_fmac_f64_e32 v[188:189], v[162:163], v[132:133]
	v_fma_f64 v[160:161], v[160:161], v[132:133], -v[134:135]
	scratch_load_b128 v[132:135], off, off offset:864
	s_wait_loadcnt_dscnt 0xc01
	v_mul_f64_e32 v[186:187], v[4:5], v[138:139]
	v_mul_f64_e32 v[138:139], v[6:7], v[138:139]
	v_add_f64_e32 v[162:163], v[194:195], v[192:193]
	v_add_f64_e32 v[184:185], v[184:185], v[190:191]
	s_wait_loadcnt_dscnt 0xb00
	v_mul_f64_e32 v[190:191], v[128:129], v[142:143]
	v_mul_f64_e32 v[142:143], v[130:131], v[142:143]
	v_fmac_f64_e32 v[186:187], v[6:7], v[136:137]
	v_fma_f64 v[192:193], v[4:5], v[136:137], -v[138:139]
	ds_load_b128 v[4:7], v2 offset:1632
	ds_load_b128 v[136:139], v2 offset:1648
	v_add_f64_e32 v[194:195], v[162:163], v[160:161]
	v_add_f64_e32 v[184:185], v[184:185], v[188:189]
	scratch_load_b128 v[160:163], off, off offset:880
	s_wait_loadcnt_dscnt 0xb01
	v_mul_f64_e32 v[188:189], v[4:5], v[146:147]
	v_mul_f64_e32 v[146:147], v[6:7], v[146:147]
	v_fmac_f64_e32 v[190:191], v[130:131], v[140:141]
	v_fma_f64 v[140:141], v[128:129], v[140:141], -v[142:143]
	scratch_load_b128 v[128:131], off, off offset:896
	v_add_f64_e32 v[142:143], v[194:195], v[192:193]
	v_add_f64_e32 v[184:185], v[184:185], v[186:187]
	s_wait_loadcnt_dscnt 0xb00
	v_mul_f64_e32 v[186:187], v[136:137], v[150:151]
	v_mul_f64_e32 v[150:151], v[138:139], v[150:151]
	v_fmac_f64_e32 v[188:189], v[6:7], v[144:145]
	v_fma_f64 v[144:145], v[4:5], v[144:145], -v[146:147]
	v_add_f64_e32 v[146:147], v[142:143], v[140:141]
	v_add_f64_e32 v[184:185], v[184:185], v[190:191]
	ds_load_b128 v[4:7], v2 offset:1664
	ds_load_b128 v[140:143], v2 offset:1680
	v_fmac_f64_e32 v[186:187], v[138:139], v[148:149]
	v_fma_f64 v[136:137], v[136:137], v[148:149], -v[150:151]
	s_wait_loadcnt_dscnt 0xa01
	v_mul_f64_e32 v[190:191], v[4:5], v[154:155]
	v_mul_f64_e32 v[154:155], v[6:7], v[154:155]
	s_wait_loadcnt_dscnt 0x900
	v_mul_f64_e32 v[148:149], v[142:143], v[158:159]
	v_add_f64_e32 v[138:139], v[146:147], v[144:145]
	v_add_f64_e32 v[144:145], v[184:185], v[188:189]
	v_mul_f64_e32 v[146:147], v[140:141], v[158:159]
	v_fmac_f64_e32 v[190:191], v[6:7], v[152:153]
	v_fma_f64 v[150:151], v[4:5], v[152:153], -v[154:155]
	v_fma_f64 v[140:141], v[140:141], v[156:157], -v[148:149]
	v_add_f64_e32 v[152:153], v[138:139], v[136:137]
	v_add_f64_e32 v[144:145], v[144:145], v[186:187]
	ds_load_b128 v[4:7], v2 offset:1696
	ds_load_b128 v[136:139], v2 offset:1712
	v_fmac_f64_e32 v[146:147], v[142:143], v[156:157]
	s_wait_loadcnt_dscnt 0x801
	v_mul_f64_e32 v[154:155], v[4:5], v[166:167]
	v_mul_f64_e32 v[158:159], v[6:7], v[166:167]
	s_wait_loadcnt_dscnt 0x600
	v_mul_f64_e32 v[148:149], v[136:137], v[178:179]
	v_add_f64_e32 v[142:143], v[152:153], v[150:151]
	v_add_f64_e32 v[144:145], v[144:145], v[190:191]
	v_mul_f64_e32 v[150:151], v[138:139], v[178:179]
	v_fmac_f64_e32 v[154:155], v[6:7], v[164:165]
	v_fma_f64 v[152:153], v[4:5], v[164:165], -v[158:159]
	v_fmac_f64_e32 v[148:149], v[138:139], v[176:177]
	v_add_f64_e32 v[156:157], v[142:143], v[140:141]
	v_add_f64_e32 v[144:145], v[144:145], v[146:147]
	ds_load_b128 v[4:7], v2 offset:1728
	ds_load_b128 v[140:143], v2 offset:1744
	v_fma_f64 v[136:137], v[136:137], v[176:177], -v[150:151]
	s_wait_loadcnt_dscnt 0x501
	v_mul_f64_e32 v[146:147], v[4:5], v[182:183]
	v_mul_f64_e32 v[158:159], v[6:7], v[182:183]
	s_wait_loadcnt_dscnt 0x400
	v_mul_f64_e32 v[150:151], v[140:141], v[10:11]
	v_mul_f64_e32 v[10:11], v[142:143], v[10:11]
	v_add_f64_e32 v[138:139], v[156:157], v[152:153]
	v_add_f64_e32 v[144:145], v[144:145], v[154:155]
	v_fmac_f64_e32 v[146:147], v[6:7], v[180:181]
	v_fma_f64 v[152:153], v[4:5], v[180:181], -v[158:159]
	v_fmac_f64_e32 v[150:151], v[142:143], v[8:9]
	v_fma_f64 v[8:9], v[140:141], v[8:9], -v[10:11]
	v_add_f64_e32 v[154:155], v[138:139], v[136:137]
	v_add_f64_e32 v[144:145], v[144:145], v[148:149]
	ds_load_b128 v[4:7], v2 offset:1760
	ds_load_b128 v[136:139], v2 offset:1776
	s_wait_loadcnt_dscnt 0x301
	v_mul_f64_e32 v[148:149], v[4:5], v[170:171]
	v_mul_f64_e32 v[156:157], v[6:7], v[170:171]
	s_wait_loadcnt_dscnt 0x200
	v_mul_f64_e32 v[142:143], v[136:137], v[134:135]
	v_mul_f64_e32 v[134:135], v[138:139], v[134:135]
	v_add_f64_e32 v[10:11], v[154:155], v[152:153]
	v_add_f64_e32 v[140:141], v[144:145], v[146:147]
	v_fmac_f64_e32 v[148:149], v[6:7], v[168:169]
	v_fma_f64 v[144:145], v[4:5], v[168:169], -v[156:157]
	v_fmac_f64_e32 v[142:143], v[138:139], v[132:133]
	v_fma_f64 v[132:133], v[136:137], v[132:133], -v[134:135]
	v_add_f64_e32 v[146:147], v[10:11], v[8:9]
	v_add_f64_e32 v[140:141], v[140:141], v[150:151]
	ds_load_b128 v[4:7], v2 offset:1792
	ds_load_b128 v[8:11], v2 offset:1808
	s_wait_loadcnt_dscnt 0x101
	v_mul_f64_e32 v[2:3], v[4:5], v[162:163]
	v_mul_f64_e32 v[150:151], v[6:7], v[162:163]
	s_wait_loadcnt_dscnt 0x0
	v_mul_f64_e32 v[138:139], v[8:9], v[130:131]
	v_mul_f64_e32 v[130:131], v[10:11], v[130:131]
	v_add_f64_e32 v[134:135], v[146:147], v[144:145]
	v_add_f64_e32 v[136:137], v[140:141], v[148:149]
	v_fmac_f64_e32 v[2:3], v[6:7], v[160:161]
	v_fma_f64 v[4:5], v[4:5], v[160:161], -v[150:151]
	v_fmac_f64_e32 v[138:139], v[10:11], v[128:129]
	v_fma_f64 v[8:9], v[8:9], v[128:129], -v[130:131]
	v_add_f64_e32 v[6:7], v[134:135], v[132:133]
	v_add_f64_e32 v[132:133], v[136:137], v[142:143]
	s_delay_alu instid0(VALU_DEP_2) | instskip(NEXT) | instid1(VALU_DEP_2)
	v_add_f64_e32 v[4:5], v[6:7], v[4:5]
	v_add_f64_e32 v[2:3], v[132:133], v[2:3]
	s_delay_alu instid0(VALU_DEP_2) | instskip(NEXT) | instid1(VALU_DEP_2)
	;; [unrolled: 3-line block ×3, first 2 shown]
	v_add_f64_e64 v[2:3], v[172:173], -v[4:5]
	v_add_f64_e64 v[4:5], v[174:175], -v[6:7]
	scratch_store_b128 off, v[2:5], off offset:608
	s_wait_xcnt 0x0
	v_cmpx_lt_u32_e32 37, v1
	s_cbranch_execz .LBB56_281
; %bb.280:
	scratch_load_b128 v[2:5], off, s30
	v_mov_b32_e32 v6, 0
	s_delay_alu instid0(VALU_DEP_1)
	v_dual_mov_b32 v7, v6 :: v_dual_mov_b32 v8, v6
	v_mov_b32_e32 v9, v6
	scratch_store_b128 off, v[6:9], off offset:592
	s_wait_loadcnt 0x0
	ds_store_b128 v12, v[2:5]
.LBB56_281:
	s_wait_xcnt 0x0
	s_or_b32 exec_lo, exec_lo, s2
	s_wait_storecnt_dscnt 0x0
	s_barrier_signal -1
	s_barrier_wait -1
	s_clause 0x9
	scratch_load_b128 v[4:7], off, off offset:608
	scratch_load_b128 v[8:11], off, off offset:624
	;; [unrolled: 1-line block ×10, first 2 shown]
	v_mov_b32_e32 v2, 0
	s_mov_b32 s2, exec_lo
	ds_load_b128 v[160:163], v2 offset:1520
	s_clause 0x2
	scratch_load_b128 v[164:167], off, off offset:768
	scratch_load_b128 v[168:171], off, off offset:592
	;; [unrolled: 1-line block ×3, first 2 shown]
	s_wait_loadcnt_dscnt 0xc00
	v_mul_f64_e32 v[180:181], v[162:163], v[6:7]
	v_mul_f64_e32 v[184:185], v[160:161], v[6:7]
	ds_load_b128 v[172:175], v2 offset:1536
	v_fma_f64 v[188:189], v[160:161], v[4:5], -v[180:181]
	v_fmac_f64_e32 v[184:185], v[162:163], v[4:5]
	ds_load_b128 v[4:7], v2 offset:1552
	s_wait_loadcnt_dscnt 0xb01
	v_mul_f64_e32 v[186:187], v[172:173], v[10:11]
	v_mul_f64_e32 v[10:11], v[174:175], v[10:11]
	scratch_load_b128 v[160:163], off, off offset:800
	ds_load_b128 v[180:183], v2 offset:1568
	s_wait_loadcnt_dscnt 0xb01
	v_mul_f64_e32 v[190:191], v[4:5], v[130:131]
	v_mul_f64_e32 v[130:131], v[6:7], v[130:131]
	v_add_f64_e32 v[184:185], 0, v[184:185]
	v_fmac_f64_e32 v[186:187], v[174:175], v[8:9]
	v_fma_f64 v[172:173], v[172:173], v[8:9], -v[10:11]
	v_add_f64_e32 v[174:175], 0, v[188:189]
	scratch_load_b128 v[8:11], off, off offset:816
	v_fmac_f64_e32 v[190:191], v[6:7], v[128:129]
	v_fma_f64 v[192:193], v[4:5], v[128:129], -v[130:131]
	ds_load_b128 v[4:7], v2 offset:1584
	s_wait_loadcnt_dscnt 0xb01
	v_mul_f64_e32 v[188:189], v[180:181], v[134:135]
	v_mul_f64_e32 v[134:135], v[182:183], v[134:135]
	scratch_load_b128 v[128:131], off, off offset:832
	v_add_f64_e32 v[184:185], v[184:185], v[186:187]
	v_add_f64_e32 v[194:195], v[174:175], v[172:173]
	ds_load_b128 v[172:175], v2 offset:1600
	s_wait_loadcnt_dscnt 0xb01
	v_mul_f64_e32 v[186:187], v[4:5], v[138:139]
	v_mul_f64_e32 v[138:139], v[6:7], v[138:139]
	v_fmac_f64_e32 v[188:189], v[182:183], v[132:133]
	v_fma_f64 v[180:181], v[180:181], v[132:133], -v[134:135]
	scratch_load_b128 v[132:135], off, off offset:848
	v_add_f64_e32 v[184:185], v[184:185], v[190:191]
	v_add_f64_e32 v[182:183], v[194:195], v[192:193]
	v_fmac_f64_e32 v[186:187], v[6:7], v[136:137]
	v_fma_f64 v[192:193], v[4:5], v[136:137], -v[138:139]
	ds_load_b128 v[4:7], v2 offset:1616
	s_wait_loadcnt_dscnt 0xb01
	v_mul_f64_e32 v[190:191], v[172:173], v[142:143]
	v_mul_f64_e32 v[142:143], v[174:175], v[142:143]
	scratch_load_b128 v[136:139], off, off offset:864
	v_add_f64_e32 v[184:185], v[184:185], v[188:189]
	s_wait_loadcnt_dscnt 0xb00
	v_mul_f64_e32 v[188:189], v[4:5], v[146:147]
	v_add_f64_e32 v[194:195], v[182:183], v[180:181]
	v_mul_f64_e32 v[146:147], v[6:7], v[146:147]
	ds_load_b128 v[180:183], v2 offset:1632
	v_fmac_f64_e32 v[190:191], v[174:175], v[140:141]
	v_fma_f64 v[172:173], v[172:173], v[140:141], -v[142:143]
	scratch_load_b128 v[140:143], off, off offset:880
	v_add_f64_e32 v[184:185], v[184:185], v[186:187]
	v_fmac_f64_e32 v[188:189], v[6:7], v[144:145]
	v_add_f64_e32 v[174:175], v[194:195], v[192:193]
	v_fma_f64 v[192:193], v[4:5], v[144:145], -v[146:147]
	ds_load_b128 v[4:7], v2 offset:1648
	s_wait_loadcnt_dscnt 0xb01
	v_mul_f64_e32 v[186:187], v[180:181], v[150:151]
	v_mul_f64_e32 v[150:151], v[182:183], v[150:151]
	scratch_load_b128 v[144:147], off, off offset:896
	v_add_f64_e32 v[184:185], v[184:185], v[190:191]
	s_wait_loadcnt_dscnt 0xb00
	v_mul_f64_e32 v[190:191], v[4:5], v[154:155]
	v_add_f64_e32 v[194:195], v[174:175], v[172:173]
	v_mul_f64_e32 v[154:155], v[6:7], v[154:155]
	ds_load_b128 v[172:175], v2 offset:1664
	v_fmac_f64_e32 v[186:187], v[182:183], v[148:149]
	v_fma_f64 v[148:149], v[180:181], v[148:149], -v[150:151]
	s_wait_loadcnt_dscnt 0xa00
	v_mul_f64_e32 v[182:183], v[172:173], v[158:159]
	v_mul_f64_e32 v[158:159], v[174:175], v[158:159]
	v_add_f64_e32 v[180:181], v[184:185], v[188:189]
	v_fmac_f64_e32 v[190:191], v[6:7], v[152:153]
	v_add_f64_e32 v[150:151], v[194:195], v[192:193]
	v_fma_f64 v[152:153], v[4:5], v[152:153], -v[154:155]
	v_fmac_f64_e32 v[182:183], v[174:175], v[156:157]
	v_fma_f64 v[156:157], v[172:173], v[156:157], -v[158:159]
	v_add_f64_e32 v[180:181], v[180:181], v[186:187]
	v_add_f64_e32 v[154:155], v[150:151], v[148:149]
	ds_load_b128 v[4:7], v2 offset:1680
	ds_load_b128 v[148:151], v2 offset:1696
	s_wait_loadcnt_dscnt 0x901
	v_mul_f64_e32 v[184:185], v[4:5], v[166:167]
	v_mul_f64_e32 v[166:167], v[6:7], v[166:167]
	s_wait_loadcnt_dscnt 0x700
	v_mul_f64_e32 v[158:159], v[148:149], v[178:179]
	v_mul_f64_e32 v[172:173], v[150:151], v[178:179]
	v_add_f64_e32 v[152:153], v[154:155], v[152:153]
	v_add_f64_e32 v[154:155], v[180:181], v[190:191]
	v_fmac_f64_e32 v[184:185], v[6:7], v[164:165]
	v_fma_f64 v[164:165], v[4:5], v[164:165], -v[166:167]
	v_fmac_f64_e32 v[158:159], v[150:151], v[176:177]
	v_fma_f64 v[148:149], v[148:149], v[176:177], -v[172:173]
	v_add_f64_e32 v[156:157], v[152:153], v[156:157]
	v_add_f64_e32 v[166:167], v[154:155], v[182:183]
	ds_load_b128 v[4:7], v2 offset:1712
	ds_load_b128 v[152:155], v2 offset:1728
	s_wait_loadcnt_dscnt 0x601
	v_mul_f64_e32 v[174:175], v[4:5], v[162:163]
	v_mul_f64_e32 v[162:163], v[6:7], v[162:163]
	v_add_f64_e32 v[150:151], v[156:157], v[164:165]
	v_add_f64_e32 v[156:157], v[166:167], v[184:185]
	s_wait_loadcnt_dscnt 0x500
	v_mul_f64_e32 v[164:165], v[152:153], v[10:11]
	v_mul_f64_e32 v[10:11], v[154:155], v[10:11]
	v_fmac_f64_e32 v[174:175], v[6:7], v[160:161]
	v_fma_f64 v[160:161], v[4:5], v[160:161], -v[162:163]
	v_add_f64_e32 v[162:163], v[150:151], v[148:149]
	v_add_f64_e32 v[156:157], v[156:157], v[158:159]
	ds_load_b128 v[4:7], v2 offset:1744
	ds_load_b128 v[148:151], v2 offset:1760
	v_fmac_f64_e32 v[164:165], v[154:155], v[8:9]
	v_fma_f64 v[8:9], v[152:153], v[8:9], -v[10:11]
	s_wait_loadcnt_dscnt 0x401
	v_mul_f64_e32 v[158:159], v[4:5], v[130:131]
	v_mul_f64_e32 v[130:131], v[6:7], v[130:131]
	s_wait_loadcnt_dscnt 0x300
	v_mul_f64_e32 v[154:155], v[148:149], v[134:135]
	v_mul_f64_e32 v[134:135], v[150:151], v[134:135]
	v_add_f64_e32 v[10:11], v[162:163], v[160:161]
	v_add_f64_e32 v[152:153], v[156:157], v[174:175]
	v_fmac_f64_e32 v[158:159], v[6:7], v[128:129]
	v_fma_f64 v[128:129], v[4:5], v[128:129], -v[130:131]
	v_fmac_f64_e32 v[154:155], v[150:151], v[132:133]
	v_fma_f64 v[132:133], v[148:149], v[132:133], -v[134:135]
	v_add_f64_e32 v[130:131], v[10:11], v[8:9]
	v_add_f64_e32 v[152:153], v[152:153], v[164:165]
	ds_load_b128 v[4:7], v2 offset:1776
	ds_load_b128 v[8:11], v2 offset:1792
	s_wait_loadcnt_dscnt 0x201
	v_mul_f64_e32 v[156:157], v[4:5], v[138:139]
	v_mul_f64_e32 v[138:139], v[6:7], v[138:139]
	s_wait_loadcnt_dscnt 0x100
	v_mul_f64_e32 v[134:135], v[8:9], v[142:143]
	v_mul_f64_e32 v[142:143], v[10:11], v[142:143]
	v_add_f64_e32 v[128:129], v[130:131], v[128:129]
	v_add_f64_e32 v[130:131], v[152:153], v[158:159]
	v_fmac_f64_e32 v[156:157], v[6:7], v[136:137]
	v_fma_f64 v[136:137], v[4:5], v[136:137], -v[138:139]
	ds_load_b128 v[4:7], v2 offset:1808
	v_fmac_f64_e32 v[134:135], v[10:11], v[140:141]
	v_fma_f64 v[8:9], v[8:9], v[140:141], -v[142:143]
	v_add_f64_e32 v[128:129], v[128:129], v[132:133]
	v_add_f64_e32 v[130:131], v[130:131], v[154:155]
	s_wait_loadcnt_dscnt 0x0
	v_mul_f64_e32 v[132:133], v[4:5], v[146:147]
	v_mul_f64_e32 v[138:139], v[6:7], v[146:147]
	s_delay_alu instid0(VALU_DEP_4) | instskip(NEXT) | instid1(VALU_DEP_4)
	v_add_f64_e32 v[10:11], v[128:129], v[136:137]
	v_add_f64_e32 v[128:129], v[130:131], v[156:157]
	s_delay_alu instid0(VALU_DEP_4) | instskip(NEXT) | instid1(VALU_DEP_4)
	v_fmac_f64_e32 v[132:133], v[6:7], v[144:145]
	v_fma_f64 v[4:5], v[4:5], v[144:145], -v[138:139]
	s_delay_alu instid0(VALU_DEP_4) | instskip(NEXT) | instid1(VALU_DEP_4)
	v_add_f64_e32 v[6:7], v[10:11], v[8:9]
	v_add_f64_e32 v[8:9], v[128:129], v[134:135]
	s_delay_alu instid0(VALU_DEP_2) | instskip(NEXT) | instid1(VALU_DEP_2)
	v_add_f64_e32 v[4:5], v[6:7], v[4:5]
	v_add_f64_e32 v[6:7], v[8:9], v[132:133]
	s_delay_alu instid0(VALU_DEP_2) | instskip(NEXT) | instid1(VALU_DEP_2)
	v_add_f64_e64 v[4:5], v[168:169], -v[4:5]
	v_add_f64_e64 v[6:7], v[170:171], -v[6:7]
	scratch_store_b128 off, v[4:7], off offset:592
	s_wait_xcnt 0x0
	v_cmpx_lt_u32_e32 36, v1
	s_cbranch_execz .LBB56_283
; %bb.282:
	scratch_load_b128 v[6:9], off, s34
	v_dual_mov_b32 v3, v2 :: v_dual_mov_b32 v4, v2
	v_mov_b32_e32 v5, v2
	scratch_store_b128 off, v[2:5], off offset:576
	s_wait_loadcnt 0x0
	ds_store_b128 v12, v[6:9]
.LBB56_283:
	s_wait_xcnt 0x0
	s_or_b32 exec_lo, exec_lo, s2
	s_wait_storecnt_dscnt 0x0
	s_barrier_signal -1
	s_barrier_wait -1
	s_clause 0x9
	scratch_load_b128 v[4:7], off, off offset:592
	scratch_load_b128 v[8:11], off, off offset:608
	;; [unrolled: 1-line block ×10, first 2 shown]
	ds_load_b128 v[160:163], v2 offset:1504
	ds_load_b128 v[168:171], v2 offset:1520
	s_clause 0x2
	scratch_load_b128 v[164:167], off, off offset:752
	scratch_load_b128 v[172:175], off, off offset:576
	;; [unrolled: 1-line block ×3, first 2 shown]
	s_mov_b32 s2, exec_lo
	s_wait_loadcnt_dscnt 0xc01
	v_mul_f64_e32 v[180:181], v[162:163], v[6:7]
	v_mul_f64_e32 v[184:185], v[160:161], v[6:7]
	s_wait_loadcnt_dscnt 0xb00
	v_mul_f64_e32 v[186:187], v[168:169], v[10:11]
	v_mul_f64_e32 v[10:11], v[170:171], v[10:11]
	s_delay_alu instid0(VALU_DEP_4) | instskip(NEXT) | instid1(VALU_DEP_4)
	v_fma_f64 v[188:189], v[160:161], v[4:5], -v[180:181]
	v_fmac_f64_e32 v[184:185], v[162:163], v[4:5]
	ds_load_b128 v[4:7], v2 offset:1536
	ds_load_b128 v[160:163], v2 offset:1552
	scratch_load_b128 v[180:183], off, off offset:784
	v_fmac_f64_e32 v[186:187], v[170:171], v[8:9]
	v_fma_f64 v[168:169], v[168:169], v[8:9], -v[10:11]
	scratch_load_b128 v[8:11], off, off offset:800
	s_wait_loadcnt_dscnt 0xc01
	v_mul_f64_e32 v[190:191], v[4:5], v[130:131]
	v_mul_f64_e32 v[130:131], v[6:7], v[130:131]
	v_add_f64_e32 v[170:171], 0, v[188:189]
	v_add_f64_e32 v[184:185], 0, v[184:185]
	s_wait_loadcnt_dscnt 0xb00
	v_mul_f64_e32 v[188:189], v[160:161], v[134:135]
	v_mul_f64_e32 v[134:135], v[162:163], v[134:135]
	v_fmac_f64_e32 v[190:191], v[6:7], v[128:129]
	v_fma_f64 v[192:193], v[4:5], v[128:129], -v[130:131]
	ds_load_b128 v[4:7], v2 offset:1568
	ds_load_b128 v[128:131], v2 offset:1584
	v_add_f64_e32 v[194:195], v[170:171], v[168:169]
	v_add_f64_e32 v[184:185], v[184:185], v[186:187]
	scratch_load_b128 v[168:171], off, off offset:816
	v_fmac_f64_e32 v[188:189], v[162:163], v[132:133]
	v_fma_f64 v[160:161], v[160:161], v[132:133], -v[134:135]
	scratch_load_b128 v[132:135], off, off offset:832
	s_wait_loadcnt_dscnt 0xc01
	v_mul_f64_e32 v[186:187], v[4:5], v[138:139]
	v_mul_f64_e32 v[138:139], v[6:7], v[138:139]
	v_add_f64_e32 v[162:163], v[194:195], v[192:193]
	v_add_f64_e32 v[184:185], v[184:185], v[190:191]
	s_wait_loadcnt_dscnt 0xb00
	v_mul_f64_e32 v[190:191], v[128:129], v[142:143]
	v_mul_f64_e32 v[142:143], v[130:131], v[142:143]
	v_fmac_f64_e32 v[186:187], v[6:7], v[136:137]
	v_fma_f64 v[192:193], v[4:5], v[136:137], -v[138:139]
	ds_load_b128 v[4:7], v2 offset:1600
	ds_load_b128 v[136:139], v2 offset:1616
	v_add_f64_e32 v[194:195], v[162:163], v[160:161]
	v_add_f64_e32 v[184:185], v[184:185], v[188:189]
	scratch_load_b128 v[160:163], off, off offset:848
	s_wait_loadcnt_dscnt 0xb01
	v_mul_f64_e32 v[188:189], v[4:5], v[146:147]
	v_mul_f64_e32 v[146:147], v[6:7], v[146:147]
	v_fmac_f64_e32 v[190:191], v[130:131], v[140:141]
	v_fma_f64 v[140:141], v[128:129], v[140:141], -v[142:143]
	scratch_load_b128 v[128:131], off, off offset:864
	v_add_f64_e32 v[142:143], v[194:195], v[192:193]
	v_add_f64_e32 v[184:185], v[184:185], v[186:187]
	s_wait_loadcnt_dscnt 0xb00
	v_mul_f64_e32 v[186:187], v[136:137], v[150:151]
	v_mul_f64_e32 v[150:151], v[138:139], v[150:151]
	v_fmac_f64_e32 v[188:189], v[6:7], v[144:145]
	v_fma_f64 v[192:193], v[4:5], v[144:145], -v[146:147]
	v_add_f64_e32 v[194:195], v[142:143], v[140:141]
	v_add_f64_e32 v[184:185], v[184:185], v[190:191]
	ds_load_b128 v[4:7], v2 offset:1632
	ds_load_b128 v[140:143], v2 offset:1648
	scratch_load_b128 v[144:147], off, off offset:880
	v_fmac_f64_e32 v[186:187], v[138:139], v[148:149]
	v_fma_f64 v[148:149], v[136:137], v[148:149], -v[150:151]
	scratch_load_b128 v[136:139], off, off offset:896
	s_wait_loadcnt_dscnt 0xc01
	v_mul_f64_e32 v[190:191], v[4:5], v[154:155]
	v_mul_f64_e32 v[154:155], v[6:7], v[154:155]
	v_add_f64_e32 v[150:151], v[194:195], v[192:193]
	v_add_f64_e32 v[184:185], v[184:185], v[188:189]
	s_wait_loadcnt_dscnt 0xb00
	v_mul_f64_e32 v[188:189], v[140:141], v[158:159]
	v_mul_f64_e32 v[158:159], v[142:143], v[158:159]
	v_fmac_f64_e32 v[190:191], v[6:7], v[152:153]
	v_fma_f64 v[152:153], v[4:5], v[152:153], -v[154:155]
	v_add_f64_e32 v[154:155], v[150:151], v[148:149]
	v_add_f64_e32 v[184:185], v[184:185], v[186:187]
	ds_load_b128 v[4:7], v2 offset:1664
	ds_load_b128 v[148:151], v2 offset:1680
	v_fmac_f64_e32 v[188:189], v[142:143], v[156:157]
	v_fma_f64 v[140:141], v[140:141], v[156:157], -v[158:159]
	s_wait_loadcnt_dscnt 0xa01
	v_mul_f64_e32 v[186:187], v[4:5], v[166:167]
	v_mul_f64_e32 v[166:167], v[6:7], v[166:167]
	s_wait_loadcnt_dscnt 0x800
	v_mul_f64_e32 v[156:157], v[150:151], v[178:179]
	v_add_f64_e32 v[142:143], v[154:155], v[152:153]
	v_add_f64_e32 v[152:153], v[184:185], v[190:191]
	v_mul_f64_e32 v[154:155], v[148:149], v[178:179]
	v_fmac_f64_e32 v[186:187], v[6:7], v[164:165]
	v_fma_f64 v[158:159], v[4:5], v[164:165], -v[166:167]
	v_fma_f64 v[148:149], v[148:149], v[176:177], -v[156:157]
	v_add_f64_e32 v[164:165], v[142:143], v[140:141]
	v_add_f64_e32 v[152:153], v[152:153], v[188:189]
	ds_load_b128 v[4:7], v2 offset:1696
	ds_load_b128 v[140:143], v2 offset:1712
	v_fmac_f64_e32 v[154:155], v[150:151], v[176:177]
	s_wait_loadcnt_dscnt 0x701
	v_mul_f64_e32 v[166:167], v[4:5], v[182:183]
	v_mul_f64_e32 v[178:179], v[6:7], v[182:183]
	s_wait_loadcnt_dscnt 0x600
	v_mul_f64_e32 v[156:157], v[140:141], v[10:11]
	v_mul_f64_e32 v[10:11], v[142:143], v[10:11]
	v_add_f64_e32 v[150:151], v[164:165], v[158:159]
	v_add_f64_e32 v[152:153], v[152:153], v[186:187]
	v_fmac_f64_e32 v[166:167], v[6:7], v[180:181]
	v_fma_f64 v[158:159], v[4:5], v[180:181], -v[178:179]
	v_fmac_f64_e32 v[156:157], v[142:143], v[8:9]
	v_fma_f64 v[8:9], v[140:141], v[8:9], -v[10:11]
	v_add_f64_e32 v[164:165], v[150:151], v[148:149]
	v_add_f64_e32 v[152:153], v[152:153], v[154:155]
	ds_load_b128 v[4:7], v2 offset:1728
	ds_load_b128 v[148:151], v2 offset:1744
	s_wait_loadcnt_dscnt 0x501
	v_mul_f64_e32 v[154:155], v[4:5], v[170:171]
	v_mul_f64_e32 v[170:171], v[6:7], v[170:171]
	s_wait_loadcnt_dscnt 0x400
	v_mul_f64_e32 v[142:143], v[148:149], v[134:135]
	v_mul_f64_e32 v[134:135], v[150:151], v[134:135]
	v_add_f64_e32 v[10:11], v[164:165], v[158:159]
	v_add_f64_e32 v[140:141], v[152:153], v[166:167]
	v_fmac_f64_e32 v[154:155], v[6:7], v[168:169]
	v_fma_f64 v[152:153], v[4:5], v[168:169], -v[170:171]
	v_fmac_f64_e32 v[142:143], v[150:151], v[132:133]
	v_fma_f64 v[132:133], v[148:149], v[132:133], -v[134:135]
	v_add_f64_e32 v[158:159], v[10:11], v[8:9]
	v_add_f64_e32 v[140:141], v[140:141], v[156:157]
	ds_load_b128 v[4:7], v2 offset:1760
	ds_load_b128 v[8:11], v2 offset:1776
	;; [unrolled: 16-line block ×3, first 2 shown]
	s_wait_loadcnt_dscnt 0x101
	v_mul_f64_e32 v[2:3], v[4:5], v[146:147]
	v_mul_f64_e32 v[142:143], v[6:7], v[146:147]
	v_add_f64_e32 v[10:11], v[134:135], v[152:153]
	v_add_f64_e32 v[128:129], v[140:141], v[156:157]
	s_wait_loadcnt_dscnt 0x0
	v_mul_f64_e32 v[134:135], v[130:131], v[138:139]
	v_mul_f64_e32 v[138:139], v[132:133], v[138:139]
	v_fmac_f64_e32 v[2:3], v[6:7], v[144:145]
	v_fma_f64 v[4:5], v[4:5], v[144:145], -v[142:143]
	v_add_f64_e32 v[6:7], v[10:11], v[8:9]
	v_add_f64_e32 v[8:9], v[128:129], v[148:149]
	v_fmac_f64_e32 v[134:135], v[132:133], v[136:137]
	v_fma_f64 v[10:11], v[130:131], v[136:137], -v[138:139]
	s_delay_alu instid0(VALU_DEP_4) | instskip(NEXT) | instid1(VALU_DEP_4)
	v_add_f64_e32 v[4:5], v[6:7], v[4:5]
	v_add_f64_e32 v[2:3], v[8:9], v[2:3]
	s_delay_alu instid0(VALU_DEP_2) | instskip(NEXT) | instid1(VALU_DEP_2)
	v_add_f64_e32 v[4:5], v[4:5], v[10:11]
	v_add_f64_e32 v[6:7], v[2:3], v[134:135]
	s_delay_alu instid0(VALU_DEP_2) | instskip(NEXT) | instid1(VALU_DEP_2)
	v_add_f64_e64 v[2:3], v[172:173], -v[4:5]
	v_add_f64_e64 v[4:5], v[174:175], -v[6:7]
	scratch_store_b128 off, v[2:5], off offset:576
	s_wait_xcnt 0x0
	v_cmpx_lt_u32_e32 35, v1
	s_cbranch_execz .LBB56_285
; %bb.284:
	scratch_load_b128 v[2:5], off, s33
	v_mov_b32_e32 v6, 0
	s_delay_alu instid0(VALU_DEP_1)
	v_dual_mov_b32 v7, v6 :: v_dual_mov_b32 v8, v6
	v_mov_b32_e32 v9, v6
	scratch_store_b128 off, v[6:9], off offset:560
	s_wait_loadcnt 0x0
	ds_store_b128 v12, v[2:5]
.LBB56_285:
	s_wait_xcnt 0x0
	s_or_b32 exec_lo, exec_lo, s2
	s_wait_storecnt_dscnt 0x0
	s_barrier_signal -1
	s_barrier_wait -1
	s_clause 0x9
	scratch_load_b128 v[4:7], off, off offset:576
	scratch_load_b128 v[8:11], off, off offset:592
	;; [unrolled: 1-line block ×10, first 2 shown]
	v_mov_b32_e32 v2, 0
	s_mov_b32 s2, exec_lo
	ds_load_b128 v[160:163], v2 offset:1488
	s_clause 0x2
	scratch_load_b128 v[164:167], off, off offset:736
	scratch_load_b128 v[168:171], off, off offset:560
	;; [unrolled: 1-line block ×3, first 2 shown]
	s_wait_loadcnt_dscnt 0xc00
	v_mul_f64_e32 v[180:181], v[162:163], v[6:7]
	v_mul_f64_e32 v[184:185], v[160:161], v[6:7]
	ds_load_b128 v[172:175], v2 offset:1504
	v_fma_f64 v[188:189], v[160:161], v[4:5], -v[180:181]
	v_fmac_f64_e32 v[184:185], v[162:163], v[4:5]
	ds_load_b128 v[4:7], v2 offset:1520
	s_wait_loadcnt_dscnt 0xb01
	v_mul_f64_e32 v[186:187], v[172:173], v[10:11]
	v_mul_f64_e32 v[10:11], v[174:175], v[10:11]
	scratch_load_b128 v[160:163], off, off offset:768
	ds_load_b128 v[180:183], v2 offset:1536
	s_wait_loadcnt_dscnt 0xb01
	v_mul_f64_e32 v[190:191], v[4:5], v[130:131]
	v_mul_f64_e32 v[130:131], v[6:7], v[130:131]
	v_add_f64_e32 v[184:185], 0, v[184:185]
	v_fmac_f64_e32 v[186:187], v[174:175], v[8:9]
	v_fma_f64 v[172:173], v[172:173], v[8:9], -v[10:11]
	v_add_f64_e32 v[174:175], 0, v[188:189]
	scratch_load_b128 v[8:11], off, off offset:784
	v_fmac_f64_e32 v[190:191], v[6:7], v[128:129]
	v_fma_f64 v[192:193], v[4:5], v[128:129], -v[130:131]
	ds_load_b128 v[4:7], v2 offset:1552
	s_wait_loadcnt_dscnt 0xb01
	v_mul_f64_e32 v[188:189], v[180:181], v[134:135]
	v_mul_f64_e32 v[134:135], v[182:183], v[134:135]
	scratch_load_b128 v[128:131], off, off offset:800
	v_add_f64_e32 v[184:185], v[184:185], v[186:187]
	v_add_f64_e32 v[194:195], v[174:175], v[172:173]
	ds_load_b128 v[172:175], v2 offset:1568
	s_wait_loadcnt_dscnt 0xb01
	v_mul_f64_e32 v[186:187], v[4:5], v[138:139]
	v_mul_f64_e32 v[138:139], v[6:7], v[138:139]
	v_fmac_f64_e32 v[188:189], v[182:183], v[132:133]
	v_fma_f64 v[180:181], v[180:181], v[132:133], -v[134:135]
	scratch_load_b128 v[132:135], off, off offset:816
	v_add_f64_e32 v[184:185], v[184:185], v[190:191]
	v_add_f64_e32 v[182:183], v[194:195], v[192:193]
	v_fmac_f64_e32 v[186:187], v[6:7], v[136:137]
	v_fma_f64 v[192:193], v[4:5], v[136:137], -v[138:139]
	ds_load_b128 v[4:7], v2 offset:1584
	s_wait_loadcnt_dscnt 0xb01
	v_mul_f64_e32 v[190:191], v[172:173], v[142:143]
	v_mul_f64_e32 v[142:143], v[174:175], v[142:143]
	scratch_load_b128 v[136:139], off, off offset:832
	v_add_f64_e32 v[184:185], v[184:185], v[188:189]
	s_wait_loadcnt_dscnt 0xb00
	v_mul_f64_e32 v[188:189], v[4:5], v[146:147]
	v_add_f64_e32 v[194:195], v[182:183], v[180:181]
	v_mul_f64_e32 v[146:147], v[6:7], v[146:147]
	ds_load_b128 v[180:183], v2 offset:1600
	v_fmac_f64_e32 v[190:191], v[174:175], v[140:141]
	v_fma_f64 v[172:173], v[172:173], v[140:141], -v[142:143]
	scratch_load_b128 v[140:143], off, off offset:848
	v_add_f64_e32 v[184:185], v[184:185], v[186:187]
	v_fmac_f64_e32 v[188:189], v[6:7], v[144:145]
	v_add_f64_e32 v[174:175], v[194:195], v[192:193]
	v_fma_f64 v[192:193], v[4:5], v[144:145], -v[146:147]
	ds_load_b128 v[4:7], v2 offset:1616
	s_wait_loadcnt_dscnt 0xb01
	v_mul_f64_e32 v[186:187], v[180:181], v[150:151]
	v_mul_f64_e32 v[150:151], v[182:183], v[150:151]
	scratch_load_b128 v[144:147], off, off offset:864
	v_add_f64_e32 v[184:185], v[184:185], v[190:191]
	s_wait_loadcnt_dscnt 0xb00
	v_mul_f64_e32 v[190:191], v[4:5], v[154:155]
	v_add_f64_e32 v[194:195], v[174:175], v[172:173]
	v_mul_f64_e32 v[154:155], v[6:7], v[154:155]
	ds_load_b128 v[172:175], v2 offset:1632
	v_fmac_f64_e32 v[186:187], v[182:183], v[148:149]
	v_fma_f64 v[180:181], v[180:181], v[148:149], -v[150:151]
	scratch_load_b128 v[148:151], off, off offset:880
	v_add_f64_e32 v[184:185], v[184:185], v[188:189]
	v_fmac_f64_e32 v[190:191], v[6:7], v[152:153]
	v_add_f64_e32 v[182:183], v[194:195], v[192:193]
	v_fma_f64 v[192:193], v[4:5], v[152:153], -v[154:155]
	ds_load_b128 v[4:7], v2 offset:1648
	s_wait_loadcnt_dscnt 0xb01
	v_mul_f64_e32 v[188:189], v[172:173], v[158:159]
	v_mul_f64_e32 v[158:159], v[174:175], v[158:159]
	scratch_load_b128 v[152:155], off, off offset:896
	v_add_f64_e32 v[184:185], v[184:185], v[186:187]
	s_wait_loadcnt_dscnt 0xb00
	v_mul_f64_e32 v[186:187], v[4:5], v[166:167]
	v_add_f64_e32 v[194:195], v[182:183], v[180:181]
	v_mul_f64_e32 v[166:167], v[6:7], v[166:167]
	ds_load_b128 v[180:183], v2 offset:1664
	v_fmac_f64_e32 v[188:189], v[174:175], v[156:157]
	v_fma_f64 v[156:157], v[172:173], v[156:157], -v[158:159]
	s_wait_loadcnt_dscnt 0x900
	v_mul_f64_e32 v[174:175], v[180:181], v[178:179]
	v_mul_f64_e32 v[178:179], v[182:183], v[178:179]
	v_add_f64_e32 v[172:173], v[184:185], v[190:191]
	v_fmac_f64_e32 v[186:187], v[6:7], v[164:165]
	v_add_f64_e32 v[158:159], v[194:195], v[192:193]
	v_fma_f64 v[164:165], v[4:5], v[164:165], -v[166:167]
	v_fmac_f64_e32 v[174:175], v[182:183], v[176:177]
	v_fma_f64 v[176:177], v[180:181], v[176:177], -v[178:179]
	v_add_f64_e32 v[172:173], v[172:173], v[188:189]
	v_add_f64_e32 v[166:167], v[158:159], v[156:157]
	ds_load_b128 v[4:7], v2 offset:1680
	ds_load_b128 v[156:159], v2 offset:1696
	s_wait_loadcnt_dscnt 0x801
	v_mul_f64_e32 v[184:185], v[4:5], v[162:163]
	v_mul_f64_e32 v[162:163], v[6:7], v[162:163]
	v_add_f64_e32 v[164:165], v[166:167], v[164:165]
	v_add_f64_e32 v[166:167], v[172:173], v[186:187]
	s_wait_loadcnt_dscnt 0x700
	v_mul_f64_e32 v[172:173], v[156:157], v[10:11]
	v_mul_f64_e32 v[10:11], v[158:159], v[10:11]
	v_fmac_f64_e32 v[184:185], v[6:7], v[160:161]
	v_fma_f64 v[178:179], v[4:5], v[160:161], -v[162:163]
	ds_load_b128 v[4:7], v2 offset:1712
	ds_load_b128 v[160:163], v2 offset:1728
	v_add_f64_e32 v[164:165], v[164:165], v[176:177]
	v_add_f64_e32 v[166:167], v[166:167], v[174:175]
	v_fmac_f64_e32 v[172:173], v[158:159], v[8:9]
	v_fma_f64 v[8:9], v[156:157], v[8:9], -v[10:11]
	s_wait_loadcnt_dscnt 0x601
	v_mul_f64_e32 v[174:175], v[4:5], v[130:131]
	v_mul_f64_e32 v[130:131], v[6:7], v[130:131]
	s_wait_loadcnt_dscnt 0x500
	v_mul_f64_e32 v[158:159], v[160:161], v[134:135]
	v_mul_f64_e32 v[134:135], v[162:163], v[134:135]
	v_add_f64_e32 v[10:11], v[164:165], v[178:179]
	v_add_f64_e32 v[156:157], v[166:167], v[184:185]
	v_fmac_f64_e32 v[174:175], v[6:7], v[128:129]
	v_fma_f64 v[128:129], v[4:5], v[128:129], -v[130:131]
	v_fmac_f64_e32 v[158:159], v[162:163], v[132:133]
	v_fma_f64 v[132:133], v[160:161], v[132:133], -v[134:135]
	v_add_f64_e32 v[130:131], v[10:11], v[8:9]
	v_add_f64_e32 v[156:157], v[156:157], v[172:173]
	ds_load_b128 v[4:7], v2 offset:1744
	ds_load_b128 v[8:11], v2 offset:1760
	s_wait_loadcnt_dscnt 0x401
	v_mul_f64_e32 v[164:165], v[4:5], v[138:139]
	v_mul_f64_e32 v[138:139], v[6:7], v[138:139]
	s_wait_loadcnt_dscnt 0x300
	v_mul_f64_e32 v[134:135], v[8:9], v[142:143]
	v_mul_f64_e32 v[142:143], v[10:11], v[142:143]
	v_add_f64_e32 v[128:129], v[130:131], v[128:129]
	v_add_f64_e32 v[130:131], v[156:157], v[174:175]
	v_fmac_f64_e32 v[164:165], v[6:7], v[136:137]
	v_fma_f64 v[136:137], v[4:5], v[136:137], -v[138:139]
	v_fmac_f64_e32 v[134:135], v[10:11], v[140:141]
	v_fma_f64 v[8:9], v[8:9], v[140:141], -v[142:143]
	v_add_f64_e32 v[132:133], v[128:129], v[132:133]
	v_add_f64_e32 v[138:139], v[130:131], v[158:159]
	ds_load_b128 v[4:7], v2 offset:1776
	ds_load_b128 v[128:131], v2 offset:1792
	s_wait_loadcnt_dscnt 0x201
	v_mul_f64_e32 v[156:157], v[4:5], v[146:147]
	v_mul_f64_e32 v[146:147], v[6:7], v[146:147]
	v_add_f64_e32 v[10:11], v[132:133], v[136:137]
	v_add_f64_e32 v[132:133], v[138:139], v[164:165]
	s_wait_loadcnt_dscnt 0x100
	v_mul_f64_e32 v[136:137], v[128:129], v[150:151]
	v_mul_f64_e32 v[138:139], v[130:131], v[150:151]
	v_fmac_f64_e32 v[156:157], v[6:7], v[144:145]
	v_fma_f64 v[140:141], v[4:5], v[144:145], -v[146:147]
	ds_load_b128 v[4:7], v2 offset:1808
	v_add_f64_e32 v[8:9], v[10:11], v[8:9]
	v_add_f64_e32 v[10:11], v[132:133], v[134:135]
	v_fmac_f64_e32 v[136:137], v[130:131], v[148:149]
	v_fma_f64 v[128:129], v[128:129], v[148:149], -v[138:139]
	s_wait_loadcnt_dscnt 0x0
	v_mul_f64_e32 v[132:133], v[4:5], v[154:155]
	v_mul_f64_e32 v[134:135], v[6:7], v[154:155]
	v_add_f64_e32 v[8:9], v[8:9], v[140:141]
	v_add_f64_e32 v[10:11], v[10:11], v[156:157]
	s_delay_alu instid0(VALU_DEP_4) | instskip(NEXT) | instid1(VALU_DEP_4)
	v_fmac_f64_e32 v[132:133], v[6:7], v[152:153]
	v_fma_f64 v[4:5], v[4:5], v[152:153], -v[134:135]
	s_delay_alu instid0(VALU_DEP_4) | instskip(NEXT) | instid1(VALU_DEP_4)
	v_add_f64_e32 v[6:7], v[8:9], v[128:129]
	v_add_f64_e32 v[8:9], v[10:11], v[136:137]
	s_delay_alu instid0(VALU_DEP_2) | instskip(NEXT) | instid1(VALU_DEP_2)
	v_add_f64_e32 v[4:5], v[6:7], v[4:5]
	v_add_f64_e32 v[6:7], v[8:9], v[132:133]
	s_delay_alu instid0(VALU_DEP_2) | instskip(NEXT) | instid1(VALU_DEP_2)
	v_add_f64_e64 v[4:5], v[168:169], -v[4:5]
	v_add_f64_e64 v[6:7], v[170:171], -v[6:7]
	scratch_store_b128 off, v[4:7], off offset:560
	s_wait_xcnt 0x0
	v_cmpx_lt_u32_e32 34, v1
	s_cbranch_execz .LBB56_287
; %bb.286:
	scratch_load_b128 v[6:9], off, s37
	v_dual_mov_b32 v3, v2 :: v_dual_mov_b32 v4, v2
	v_mov_b32_e32 v5, v2
	scratch_store_b128 off, v[2:5], off offset:544
	s_wait_loadcnt 0x0
	ds_store_b128 v12, v[6:9]
.LBB56_287:
	s_wait_xcnt 0x0
	s_or_b32 exec_lo, exec_lo, s2
	s_wait_storecnt_dscnt 0x0
	s_barrier_signal -1
	s_barrier_wait -1
	s_clause 0x9
	scratch_load_b128 v[4:7], off, off offset:560
	scratch_load_b128 v[8:11], off, off offset:576
	;; [unrolled: 1-line block ×10, first 2 shown]
	ds_load_b128 v[160:163], v2 offset:1472
	ds_load_b128 v[168:171], v2 offset:1488
	s_clause 0x2
	scratch_load_b128 v[164:167], off, off offset:720
	scratch_load_b128 v[172:175], off, off offset:544
	scratch_load_b128 v[176:179], off, off offset:736
	s_mov_b32 s2, exec_lo
	s_wait_loadcnt_dscnt 0xc01
	v_mul_f64_e32 v[180:181], v[162:163], v[6:7]
	v_mul_f64_e32 v[184:185], v[160:161], v[6:7]
	s_wait_loadcnt_dscnt 0xb00
	v_mul_f64_e32 v[186:187], v[168:169], v[10:11]
	v_mul_f64_e32 v[10:11], v[170:171], v[10:11]
	s_delay_alu instid0(VALU_DEP_4) | instskip(NEXT) | instid1(VALU_DEP_4)
	v_fma_f64 v[188:189], v[160:161], v[4:5], -v[180:181]
	v_fmac_f64_e32 v[184:185], v[162:163], v[4:5]
	ds_load_b128 v[4:7], v2 offset:1504
	ds_load_b128 v[160:163], v2 offset:1520
	scratch_load_b128 v[180:183], off, off offset:752
	v_fmac_f64_e32 v[186:187], v[170:171], v[8:9]
	v_fma_f64 v[168:169], v[168:169], v[8:9], -v[10:11]
	scratch_load_b128 v[8:11], off, off offset:768
	s_wait_loadcnt_dscnt 0xc01
	v_mul_f64_e32 v[190:191], v[4:5], v[130:131]
	v_mul_f64_e32 v[130:131], v[6:7], v[130:131]
	v_add_f64_e32 v[170:171], 0, v[188:189]
	v_add_f64_e32 v[184:185], 0, v[184:185]
	s_wait_loadcnt_dscnt 0xb00
	v_mul_f64_e32 v[188:189], v[160:161], v[134:135]
	v_mul_f64_e32 v[134:135], v[162:163], v[134:135]
	v_fmac_f64_e32 v[190:191], v[6:7], v[128:129]
	v_fma_f64 v[192:193], v[4:5], v[128:129], -v[130:131]
	ds_load_b128 v[4:7], v2 offset:1536
	ds_load_b128 v[128:131], v2 offset:1552
	v_add_f64_e32 v[194:195], v[170:171], v[168:169]
	v_add_f64_e32 v[184:185], v[184:185], v[186:187]
	scratch_load_b128 v[168:171], off, off offset:784
	v_fmac_f64_e32 v[188:189], v[162:163], v[132:133]
	v_fma_f64 v[160:161], v[160:161], v[132:133], -v[134:135]
	scratch_load_b128 v[132:135], off, off offset:800
	s_wait_loadcnt_dscnt 0xc01
	v_mul_f64_e32 v[186:187], v[4:5], v[138:139]
	v_mul_f64_e32 v[138:139], v[6:7], v[138:139]
	v_add_f64_e32 v[162:163], v[194:195], v[192:193]
	v_add_f64_e32 v[184:185], v[184:185], v[190:191]
	s_wait_loadcnt_dscnt 0xb00
	v_mul_f64_e32 v[190:191], v[128:129], v[142:143]
	v_mul_f64_e32 v[142:143], v[130:131], v[142:143]
	v_fmac_f64_e32 v[186:187], v[6:7], v[136:137]
	v_fma_f64 v[192:193], v[4:5], v[136:137], -v[138:139]
	ds_load_b128 v[4:7], v2 offset:1568
	ds_load_b128 v[136:139], v2 offset:1584
	v_add_f64_e32 v[194:195], v[162:163], v[160:161]
	v_add_f64_e32 v[184:185], v[184:185], v[188:189]
	scratch_load_b128 v[160:163], off, off offset:816
	s_wait_loadcnt_dscnt 0xb01
	v_mul_f64_e32 v[188:189], v[4:5], v[146:147]
	v_mul_f64_e32 v[146:147], v[6:7], v[146:147]
	v_fmac_f64_e32 v[190:191], v[130:131], v[140:141]
	v_fma_f64 v[140:141], v[128:129], v[140:141], -v[142:143]
	scratch_load_b128 v[128:131], off, off offset:832
	v_add_f64_e32 v[142:143], v[194:195], v[192:193]
	v_add_f64_e32 v[184:185], v[184:185], v[186:187]
	s_wait_loadcnt_dscnt 0xb00
	v_mul_f64_e32 v[186:187], v[136:137], v[150:151]
	v_mul_f64_e32 v[150:151], v[138:139], v[150:151]
	v_fmac_f64_e32 v[188:189], v[6:7], v[144:145]
	v_fma_f64 v[192:193], v[4:5], v[144:145], -v[146:147]
	v_add_f64_e32 v[194:195], v[142:143], v[140:141]
	v_add_f64_e32 v[184:185], v[184:185], v[190:191]
	ds_load_b128 v[4:7], v2 offset:1600
	ds_load_b128 v[140:143], v2 offset:1616
	scratch_load_b128 v[144:147], off, off offset:848
	v_fmac_f64_e32 v[186:187], v[138:139], v[148:149]
	v_fma_f64 v[148:149], v[136:137], v[148:149], -v[150:151]
	scratch_load_b128 v[136:139], off, off offset:864
	s_wait_loadcnt_dscnt 0xc01
	v_mul_f64_e32 v[190:191], v[4:5], v[154:155]
	v_mul_f64_e32 v[154:155], v[6:7], v[154:155]
	v_add_f64_e32 v[150:151], v[194:195], v[192:193]
	v_add_f64_e32 v[184:185], v[184:185], v[188:189]
	s_wait_loadcnt_dscnt 0xb00
	v_mul_f64_e32 v[188:189], v[140:141], v[158:159]
	v_mul_f64_e32 v[158:159], v[142:143], v[158:159]
	v_fmac_f64_e32 v[190:191], v[6:7], v[152:153]
	v_fma_f64 v[192:193], v[4:5], v[152:153], -v[154:155]
	v_add_f64_e32 v[194:195], v[150:151], v[148:149]
	v_add_f64_e32 v[184:185], v[184:185], v[186:187]
	ds_load_b128 v[4:7], v2 offset:1632
	ds_load_b128 v[148:151], v2 offset:1648
	scratch_load_b128 v[152:155], off, off offset:880
	v_fmac_f64_e32 v[188:189], v[142:143], v[156:157]
	v_fma_f64 v[156:157], v[140:141], v[156:157], -v[158:159]
	scratch_load_b128 v[140:143], off, off offset:896
	s_wait_loadcnt_dscnt 0xc01
	v_mul_f64_e32 v[186:187], v[4:5], v[166:167]
	v_mul_f64_e32 v[166:167], v[6:7], v[166:167]
	v_add_f64_e32 v[158:159], v[194:195], v[192:193]
	v_add_f64_e32 v[184:185], v[184:185], v[190:191]
	s_wait_loadcnt_dscnt 0xa00
	v_mul_f64_e32 v[190:191], v[148:149], v[178:179]
	v_mul_f64_e32 v[178:179], v[150:151], v[178:179]
	v_fmac_f64_e32 v[186:187], v[6:7], v[164:165]
	v_fma_f64 v[164:165], v[4:5], v[164:165], -v[166:167]
	v_add_f64_e32 v[166:167], v[158:159], v[156:157]
	v_add_f64_e32 v[184:185], v[184:185], v[188:189]
	ds_load_b128 v[4:7], v2 offset:1664
	ds_load_b128 v[156:159], v2 offset:1680
	v_fmac_f64_e32 v[190:191], v[150:151], v[176:177]
	v_fma_f64 v[148:149], v[148:149], v[176:177], -v[178:179]
	s_wait_loadcnt_dscnt 0x901
	v_mul_f64_e32 v[188:189], v[4:5], v[182:183]
	v_mul_f64_e32 v[182:183], v[6:7], v[182:183]
	v_add_f64_e32 v[150:151], v[166:167], v[164:165]
	v_add_f64_e32 v[164:165], v[184:185], v[186:187]
	s_wait_loadcnt_dscnt 0x800
	v_mul_f64_e32 v[166:167], v[156:157], v[10:11]
	v_mul_f64_e32 v[10:11], v[158:159], v[10:11]
	v_fmac_f64_e32 v[188:189], v[6:7], v[180:181]
	v_fma_f64 v[176:177], v[4:5], v[180:181], -v[182:183]
	v_add_f64_e32 v[178:179], v[150:151], v[148:149]
	v_add_f64_e32 v[164:165], v[164:165], v[190:191]
	ds_load_b128 v[4:7], v2 offset:1696
	ds_load_b128 v[148:151], v2 offset:1712
	v_fmac_f64_e32 v[166:167], v[158:159], v[8:9]
	v_fma_f64 v[8:9], v[156:157], v[8:9], -v[10:11]
	s_wait_loadcnt_dscnt 0x701
	v_mul_f64_e32 v[180:181], v[4:5], v[170:171]
	v_mul_f64_e32 v[170:171], v[6:7], v[170:171]
	s_wait_loadcnt_dscnt 0x600
	v_mul_f64_e32 v[158:159], v[148:149], v[134:135]
	v_mul_f64_e32 v[134:135], v[150:151], v[134:135]
	v_add_f64_e32 v[10:11], v[178:179], v[176:177]
	v_add_f64_e32 v[156:157], v[164:165], v[188:189]
	v_fmac_f64_e32 v[180:181], v[6:7], v[168:169]
	v_fma_f64 v[164:165], v[4:5], v[168:169], -v[170:171]
	v_fmac_f64_e32 v[158:159], v[150:151], v[132:133]
	v_fma_f64 v[132:133], v[148:149], v[132:133], -v[134:135]
	v_add_f64_e32 v[168:169], v[10:11], v[8:9]
	v_add_f64_e32 v[156:157], v[156:157], v[166:167]
	ds_load_b128 v[4:7], v2 offset:1728
	ds_load_b128 v[8:11], v2 offset:1744
	s_wait_loadcnt_dscnt 0x501
	v_mul_f64_e32 v[166:167], v[4:5], v[162:163]
	v_mul_f64_e32 v[162:163], v[6:7], v[162:163]
	s_wait_loadcnt_dscnt 0x400
	v_mul_f64_e32 v[150:151], v[8:9], v[130:131]
	v_add_f64_e32 v[134:135], v[168:169], v[164:165]
	v_add_f64_e32 v[148:149], v[156:157], v[180:181]
	v_mul_f64_e32 v[156:157], v[10:11], v[130:131]
	v_fmac_f64_e32 v[166:167], v[6:7], v[160:161]
	v_fma_f64 v[160:161], v[4:5], v[160:161], -v[162:163]
	v_fmac_f64_e32 v[150:151], v[10:11], v[128:129]
	v_add_f64_e32 v[134:135], v[134:135], v[132:133]
	v_add_f64_e32 v[148:149], v[148:149], v[158:159]
	ds_load_b128 v[4:7], v2 offset:1760
	ds_load_b128 v[130:133], v2 offset:1776
	v_fma_f64 v[8:9], v[8:9], v[128:129], -v[156:157]
	s_wait_loadcnt_dscnt 0x301
	v_mul_f64_e32 v[158:159], v[4:5], v[146:147]
	v_mul_f64_e32 v[146:147], v[6:7], v[146:147]
	v_add_f64_e32 v[10:11], v[134:135], v[160:161]
	v_add_f64_e32 v[128:129], v[148:149], v[166:167]
	s_wait_loadcnt_dscnt 0x200
	v_mul_f64_e32 v[134:135], v[130:131], v[138:139]
	v_mul_f64_e32 v[138:139], v[132:133], v[138:139]
	v_fmac_f64_e32 v[158:159], v[6:7], v[144:145]
	v_fma_f64 v[144:145], v[4:5], v[144:145], -v[146:147]
	v_add_f64_e32 v[146:147], v[10:11], v[8:9]
	v_add_f64_e32 v[128:129], v[128:129], v[150:151]
	ds_load_b128 v[4:7], v2 offset:1792
	ds_load_b128 v[8:11], v2 offset:1808
	v_fmac_f64_e32 v[134:135], v[132:133], v[136:137]
	v_fma_f64 v[130:131], v[130:131], v[136:137], -v[138:139]
	s_wait_loadcnt_dscnt 0x101
	v_mul_f64_e32 v[2:3], v[4:5], v[154:155]
	v_mul_f64_e32 v[148:149], v[6:7], v[154:155]
	s_wait_loadcnt_dscnt 0x0
	v_mul_f64_e32 v[136:137], v[8:9], v[142:143]
	v_mul_f64_e32 v[138:139], v[10:11], v[142:143]
	v_add_f64_e32 v[132:133], v[146:147], v[144:145]
	v_add_f64_e32 v[128:129], v[128:129], v[158:159]
	v_fmac_f64_e32 v[2:3], v[6:7], v[152:153]
	v_fma_f64 v[4:5], v[4:5], v[152:153], -v[148:149]
	v_fmac_f64_e32 v[136:137], v[10:11], v[140:141]
	v_fma_f64 v[8:9], v[8:9], v[140:141], -v[138:139]
	v_add_f64_e32 v[6:7], v[132:133], v[130:131]
	v_add_f64_e32 v[128:129], v[128:129], v[134:135]
	s_delay_alu instid0(VALU_DEP_2) | instskip(NEXT) | instid1(VALU_DEP_2)
	v_add_f64_e32 v[4:5], v[6:7], v[4:5]
	v_add_f64_e32 v[2:3], v[128:129], v[2:3]
	s_delay_alu instid0(VALU_DEP_2) | instskip(NEXT) | instid1(VALU_DEP_2)
	;; [unrolled: 3-line block ×3, first 2 shown]
	v_add_f64_e64 v[2:3], v[172:173], -v[4:5]
	v_add_f64_e64 v[4:5], v[174:175], -v[6:7]
	scratch_store_b128 off, v[2:5], off offset:544
	s_wait_xcnt 0x0
	v_cmpx_lt_u32_e32 33, v1
	s_cbranch_execz .LBB56_289
; %bb.288:
	scratch_load_b128 v[2:5], off, s36
	v_mov_b32_e32 v6, 0
	s_delay_alu instid0(VALU_DEP_1)
	v_dual_mov_b32 v7, v6 :: v_dual_mov_b32 v8, v6
	v_mov_b32_e32 v9, v6
	scratch_store_b128 off, v[6:9], off offset:528
	s_wait_loadcnt 0x0
	ds_store_b128 v12, v[2:5]
.LBB56_289:
	s_wait_xcnt 0x0
	s_or_b32 exec_lo, exec_lo, s2
	s_wait_storecnt_dscnt 0x0
	s_barrier_signal -1
	s_barrier_wait -1
	s_clause 0x9
	scratch_load_b128 v[4:7], off, off offset:544
	scratch_load_b128 v[8:11], off, off offset:560
	;; [unrolled: 1-line block ×10, first 2 shown]
	v_mov_b32_e32 v2, 0
	s_mov_b32 s2, exec_lo
	ds_load_b128 v[160:163], v2 offset:1456
	s_clause 0x2
	scratch_load_b128 v[164:167], off, off offset:704
	scratch_load_b128 v[168:171], off, off offset:528
	;; [unrolled: 1-line block ×3, first 2 shown]
	s_wait_loadcnt_dscnt 0xc00
	v_mul_f64_e32 v[180:181], v[162:163], v[6:7]
	v_mul_f64_e32 v[184:185], v[160:161], v[6:7]
	ds_load_b128 v[172:175], v2 offset:1472
	v_fma_f64 v[188:189], v[160:161], v[4:5], -v[180:181]
	v_fmac_f64_e32 v[184:185], v[162:163], v[4:5]
	ds_load_b128 v[4:7], v2 offset:1488
	s_wait_loadcnt_dscnt 0xb01
	v_mul_f64_e32 v[186:187], v[172:173], v[10:11]
	v_mul_f64_e32 v[10:11], v[174:175], v[10:11]
	scratch_load_b128 v[160:163], off, off offset:736
	ds_load_b128 v[180:183], v2 offset:1504
	s_wait_loadcnt_dscnt 0xb01
	v_mul_f64_e32 v[190:191], v[4:5], v[130:131]
	v_mul_f64_e32 v[130:131], v[6:7], v[130:131]
	v_add_f64_e32 v[184:185], 0, v[184:185]
	v_fmac_f64_e32 v[186:187], v[174:175], v[8:9]
	v_fma_f64 v[172:173], v[172:173], v[8:9], -v[10:11]
	v_add_f64_e32 v[174:175], 0, v[188:189]
	scratch_load_b128 v[8:11], off, off offset:752
	v_fmac_f64_e32 v[190:191], v[6:7], v[128:129]
	v_fma_f64 v[192:193], v[4:5], v[128:129], -v[130:131]
	ds_load_b128 v[4:7], v2 offset:1520
	s_wait_loadcnt_dscnt 0xb01
	v_mul_f64_e32 v[188:189], v[180:181], v[134:135]
	v_mul_f64_e32 v[134:135], v[182:183], v[134:135]
	scratch_load_b128 v[128:131], off, off offset:768
	v_add_f64_e32 v[184:185], v[184:185], v[186:187]
	v_add_f64_e32 v[194:195], v[174:175], v[172:173]
	ds_load_b128 v[172:175], v2 offset:1536
	s_wait_loadcnt_dscnt 0xb01
	v_mul_f64_e32 v[186:187], v[4:5], v[138:139]
	v_mul_f64_e32 v[138:139], v[6:7], v[138:139]
	v_fmac_f64_e32 v[188:189], v[182:183], v[132:133]
	v_fma_f64 v[180:181], v[180:181], v[132:133], -v[134:135]
	scratch_load_b128 v[132:135], off, off offset:784
	v_add_f64_e32 v[184:185], v[184:185], v[190:191]
	v_add_f64_e32 v[182:183], v[194:195], v[192:193]
	v_fmac_f64_e32 v[186:187], v[6:7], v[136:137]
	v_fma_f64 v[192:193], v[4:5], v[136:137], -v[138:139]
	ds_load_b128 v[4:7], v2 offset:1552
	s_wait_loadcnt_dscnt 0xb01
	v_mul_f64_e32 v[190:191], v[172:173], v[142:143]
	v_mul_f64_e32 v[142:143], v[174:175], v[142:143]
	scratch_load_b128 v[136:139], off, off offset:800
	v_add_f64_e32 v[184:185], v[184:185], v[188:189]
	s_wait_loadcnt_dscnt 0xb00
	v_mul_f64_e32 v[188:189], v[4:5], v[146:147]
	v_add_f64_e32 v[194:195], v[182:183], v[180:181]
	v_mul_f64_e32 v[146:147], v[6:7], v[146:147]
	ds_load_b128 v[180:183], v2 offset:1568
	v_fmac_f64_e32 v[190:191], v[174:175], v[140:141]
	v_fma_f64 v[172:173], v[172:173], v[140:141], -v[142:143]
	scratch_load_b128 v[140:143], off, off offset:816
	v_add_f64_e32 v[184:185], v[184:185], v[186:187]
	v_fmac_f64_e32 v[188:189], v[6:7], v[144:145]
	v_add_f64_e32 v[174:175], v[194:195], v[192:193]
	v_fma_f64 v[192:193], v[4:5], v[144:145], -v[146:147]
	ds_load_b128 v[4:7], v2 offset:1584
	s_wait_loadcnt_dscnt 0xb01
	v_mul_f64_e32 v[186:187], v[180:181], v[150:151]
	v_mul_f64_e32 v[150:151], v[182:183], v[150:151]
	scratch_load_b128 v[144:147], off, off offset:832
	v_add_f64_e32 v[184:185], v[184:185], v[190:191]
	s_wait_loadcnt_dscnt 0xb00
	v_mul_f64_e32 v[190:191], v[4:5], v[154:155]
	v_add_f64_e32 v[194:195], v[174:175], v[172:173]
	v_mul_f64_e32 v[154:155], v[6:7], v[154:155]
	ds_load_b128 v[172:175], v2 offset:1600
	v_fmac_f64_e32 v[186:187], v[182:183], v[148:149]
	v_fma_f64 v[180:181], v[180:181], v[148:149], -v[150:151]
	scratch_load_b128 v[148:151], off, off offset:848
	v_add_f64_e32 v[184:185], v[184:185], v[188:189]
	v_fmac_f64_e32 v[190:191], v[6:7], v[152:153]
	v_add_f64_e32 v[182:183], v[194:195], v[192:193]
	;; [unrolled: 18-line block ×3, first 2 shown]
	v_fma_f64 v[192:193], v[4:5], v[164:165], -v[166:167]
	ds_load_b128 v[4:7], v2 offset:1648
	s_wait_loadcnt_dscnt 0xa01
	v_mul_f64_e32 v[190:191], v[180:181], v[178:179]
	v_mul_f64_e32 v[178:179], v[182:183], v[178:179]
	scratch_load_b128 v[164:167], off, off offset:896
	v_add_f64_e32 v[184:185], v[184:185], v[188:189]
	v_add_f64_e32 v[194:195], v[174:175], v[172:173]
	s_wait_loadcnt_dscnt 0xa00
	v_mul_f64_e32 v[188:189], v[4:5], v[162:163]
	v_mul_f64_e32 v[162:163], v[6:7], v[162:163]
	v_fmac_f64_e32 v[190:191], v[182:183], v[176:177]
	v_fma_f64 v[176:177], v[180:181], v[176:177], -v[178:179]
	ds_load_b128 v[172:175], v2 offset:1664
	v_add_f64_e32 v[180:181], v[184:185], v[186:187]
	v_add_f64_e32 v[178:179], v[194:195], v[192:193]
	s_wait_loadcnt_dscnt 0x900
	v_mul_f64_e32 v[182:183], v[172:173], v[10:11]
	v_mul_f64_e32 v[10:11], v[174:175], v[10:11]
	v_fmac_f64_e32 v[188:189], v[6:7], v[160:161]
	v_fma_f64 v[184:185], v[4:5], v[160:161], -v[162:163]
	ds_load_b128 v[4:7], v2 offset:1680
	ds_load_b128 v[160:163], v2 offset:1696
	v_add_f64_e32 v[176:177], v[178:179], v[176:177]
	v_add_f64_e32 v[178:179], v[180:181], v[190:191]
	s_wait_loadcnt_dscnt 0x801
	v_mul_f64_e32 v[180:181], v[4:5], v[130:131]
	v_mul_f64_e32 v[130:131], v[6:7], v[130:131]
	v_fmac_f64_e32 v[182:183], v[174:175], v[8:9]
	v_fma_f64 v[8:9], v[172:173], v[8:9], -v[10:11]
	s_wait_loadcnt_dscnt 0x700
	v_mul_f64_e32 v[174:175], v[160:161], v[134:135]
	v_mul_f64_e32 v[134:135], v[162:163], v[134:135]
	v_add_f64_e32 v[10:11], v[176:177], v[184:185]
	v_add_f64_e32 v[172:173], v[178:179], v[188:189]
	v_fmac_f64_e32 v[180:181], v[6:7], v[128:129]
	v_fma_f64 v[128:129], v[4:5], v[128:129], -v[130:131]
	v_fmac_f64_e32 v[174:175], v[162:163], v[132:133]
	v_fma_f64 v[132:133], v[160:161], v[132:133], -v[134:135]
	v_add_f64_e32 v[130:131], v[10:11], v[8:9]
	v_add_f64_e32 v[172:173], v[172:173], v[182:183]
	ds_load_b128 v[4:7], v2 offset:1712
	ds_load_b128 v[8:11], v2 offset:1728
	s_wait_loadcnt_dscnt 0x601
	v_mul_f64_e32 v[176:177], v[4:5], v[138:139]
	v_mul_f64_e32 v[138:139], v[6:7], v[138:139]
	s_wait_loadcnt_dscnt 0x500
	v_mul_f64_e32 v[134:135], v[8:9], v[142:143]
	v_mul_f64_e32 v[142:143], v[10:11], v[142:143]
	v_add_f64_e32 v[128:129], v[130:131], v[128:129]
	v_add_f64_e32 v[130:131], v[172:173], v[180:181]
	v_fmac_f64_e32 v[176:177], v[6:7], v[136:137]
	v_fma_f64 v[136:137], v[4:5], v[136:137], -v[138:139]
	v_fmac_f64_e32 v[134:135], v[10:11], v[140:141]
	v_fma_f64 v[8:9], v[8:9], v[140:141], -v[142:143]
	v_add_f64_e32 v[132:133], v[128:129], v[132:133]
	v_add_f64_e32 v[138:139], v[130:131], v[174:175]
	ds_load_b128 v[4:7], v2 offset:1744
	ds_load_b128 v[128:131], v2 offset:1760
	s_wait_loadcnt_dscnt 0x401
	v_mul_f64_e32 v[160:161], v[4:5], v[146:147]
	v_mul_f64_e32 v[146:147], v[6:7], v[146:147]
	v_add_f64_e32 v[10:11], v[132:133], v[136:137]
	v_add_f64_e32 v[132:133], v[138:139], v[176:177]
	s_wait_loadcnt_dscnt 0x300
	v_mul_f64_e32 v[136:137], v[128:129], v[150:151]
	v_mul_f64_e32 v[138:139], v[130:131], v[150:151]
	v_fmac_f64_e32 v[160:161], v[6:7], v[144:145]
	v_fma_f64 v[140:141], v[4:5], v[144:145], -v[146:147]
	v_add_f64_e32 v[142:143], v[10:11], v[8:9]
	v_add_f64_e32 v[132:133], v[132:133], v[134:135]
	ds_load_b128 v[4:7], v2 offset:1776
	ds_load_b128 v[8:11], v2 offset:1792
	v_fmac_f64_e32 v[136:137], v[130:131], v[148:149]
	v_fma_f64 v[128:129], v[128:129], v[148:149], -v[138:139]
	s_wait_loadcnt_dscnt 0x201
	v_mul_f64_e32 v[134:135], v[4:5], v[154:155]
	v_mul_f64_e32 v[144:145], v[6:7], v[154:155]
	s_wait_loadcnt_dscnt 0x100
	v_mul_f64_e32 v[138:139], v[8:9], v[158:159]
	v_add_f64_e32 v[130:131], v[142:143], v[140:141]
	v_add_f64_e32 v[132:133], v[132:133], v[160:161]
	v_mul_f64_e32 v[140:141], v[10:11], v[158:159]
	v_fmac_f64_e32 v[134:135], v[6:7], v[152:153]
	v_fma_f64 v[142:143], v[4:5], v[152:153], -v[144:145]
	ds_load_b128 v[4:7], v2 offset:1808
	v_fmac_f64_e32 v[138:139], v[10:11], v[156:157]
	v_add_f64_e32 v[128:129], v[130:131], v[128:129]
	v_add_f64_e32 v[130:131], v[132:133], v[136:137]
	v_fma_f64 v[8:9], v[8:9], v[156:157], -v[140:141]
	s_wait_loadcnt_dscnt 0x0
	v_mul_f64_e32 v[132:133], v[4:5], v[166:167]
	v_mul_f64_e32 v[136:137], v[6:7], v[166:167]
	v_add_f64_e32 v[10:11], v[128:129], v[142:143]
	v_add_f64_e32 v[128:129], v[130:131], v[134:135]
	s_delay_alu instid0(VALU_DEP_4) | instskip(NEXT) | instid1(VALU_DEP_4)
	v_fmac_f64_e32 v[132:133], v[6:7], v[164:165]
	v_fma_f64 v[4:5], v[4:5], v[164:165], -v[136:137]
	s_delay_alu instid0(VALU_DEP_4) | instskip(NEXT) | instid1(VALU_DEP_4)
	v_add_f64_e32 v[6:7], v[10:11], v[8:9]
	v_add_f64_e32 v[8:9], v[128:129], v[138:139]
	s_delay_alu instid0(VALU_DEP_2) | instskip(NEXT) | instid1(VALU_DEP_2)
	v_add_f64_e32 v[4:5], v[6:7], v[4:5]
	v_add_f64_e32 v[6:7], v[8:9], v[132:133]
	s_delay_alu instid0(VALU_DEP_2) | instskip(NEXT) | instid1(VALU_DEP_2)
	v_add_f64_e64 v[4:5], v[168:169], -v[4:5]
	v_add_f64_e64 v[6:7], v[170:171], -v[6:7]
	scratch_store_b128 off, v[4:7], off offset:528
	s_wait_xcnt 0x0
	v_cmpx_lt_u32_e32 32, v1
	s_cbranch_execz .LBB56_291
; %bb.290:
	scratch_load_b128 v[6:9], off, s48
	v_dual_mov_b32 v3, v2 :: v_dual_mov_b32 v4, v2
	v_mov_b32_e32 v5, v2
	scratch_store_b128 off, v[2:5], off offset:512
	s_wait_loadcnt 0x0
	ds_store_b128 v12, v[6:9]
.LBB56_291:
	s_wait_xcnt 0x0
	s_or_b32 exec_lo, exec_lo, s2
	s_wait_storecnt_dscnt 0x0
	s_barrier_signal -1
	s_barrier_wait -1
	s_clause 0x9
	scratch_load_b128 v[4:7], off, off offset:528
	scratch_load_b128 v[8:11], off, off offset:544
	;; [unrolled: 1-line block ×10, first 2 shown]
	ds_load_b128 v[160:163], v2 offset:1440
	ds_load_b128 v[168:171], v2 offset:1456
	s_clause 0x2
	scratch_load_b128 v[164:167], off, off offset:688
	scratch_load_b128 v[172:175], off, off offset:512
	;; [unrolled: 1-line block ×3, first 2 shown]
	s_mov_b32 s2, exec_lo
	s_wait_loadcnt_dscnt 0xc01
	v_mul_f64_e32 v[180:181], v[162:163], v[6:7]
	v_mul_f64_e32 v[184:185], v[160:161], v[6:7]
	s_wait_loadcnt_dscnt 0xb00
	v_mul_f64_e32 v[186:187], v[168:169], v[10:11]
	v_mul_f64_e32 v[10:11], v[170:171], v[10:11]
	s_delay_alu instid0(VALU_DEP_4) | instskip(NEXT) | instid1(VALU_DEP_4)
	v_fma_f64 v[188:189], v[160:161], v[4:5], -v[180:181]
	v_fmac_f64_e32 v[184:185], v[162:163], v[4:5]
	ds_load_b128 v[4:7], v2 offset:1472
	ds_load_b128 v[160:163], v2 offset:1488
	scratch_load_b128 v[180:183], off, off offset:720
	v_fmac_f64_e32 v[186:187], v[170:171], v[8:9]
	v_fma_f64 v[168:169], v[168:169], v[8:9], -v[10:11]
	scratch_load_b128 v[8:11], off, off offset:736
	s_wait_loadcnt_dscnt 0xc01
	v_mul_f64_e32 v[190:191], v[4:5], v[130:131]
	v_mul_f64_e32 v[130:131], v[6:7], v[130:131]
	v_add_f64_e32 v[170:171], 0, v[188:189]
	v_add_f64_e32 v[184:185], 0, v[184:185]
	s_wait_loadcnt_dscnt 0xb00
	v_mul_f64_e32 v[188:189], v[160:161], v[134:135]
	v_mul_f64_e32 v[134:135], v[162:163], v[134:135]
	v_fmac_f64_e32 v[190:191], v[6:7], v[128:129]
	v_fma_f64 v[192:193], v[4:5], v[128:129], -v[130:131]
	ds_load_b128 v[4:7], v2 offset:1504
	ds_load_b128 v[128:131], v2 offset:1520
	v_add_f64_e32 v[194:195], v[170:171], v[168:169]
	v_add_f64_e32 v[184:185], v[184:185], v[186:187]
	scratch_load_b128 v[168:171], off, off offset:752
	v_fmac_f64_e32 v[188:189], v[162:163], v[132:133]
	v_fma_f64 v[160:161], v[160:161], v[132:133], -v[134:135]
	scratch_load_b128 v[132:135], off, off offset:768
	s_wait_loadcnt_dscnt 0xc01
	v_mul_f64_e32 v[186:187], v[4:5], v[138:139]
	v_mul_f64_e32 v[138:139], v[6:7], v[138:139]
	v_add_f64_e32 v[162:163], v[194:195], v[192:193]
	v_add_f64_e32 v[184:185], v[184:185], v[190:191]
	s_wait_loadcnt_dscnt 0xb00
	v_mul_f64_e32 v[190:191], v[128:129], v[142:143]
	v_mul_f64_e32 v[142:143], v[130:131], v[142:143]
	v_fmac_f64_e32 v[186:187], v[6:7], v[136:137]
	v_fma_f64 v[192:193], v[4:5], v[136:137], -v[138:139]
	ds_load_b128 v[4:7], v2 offset:1536
	ds_load_b128 v[136:139], v2 offset:1552
	v_add_f64_e32 v[194:195], v[162:163], v[160:161]
	v_add_f64_e32 v[184:185], v[184:185], v[188:189]
	scratch_load_b128 v[160:163], off, off offset:784
	s_wait_loadcnt_dscnt 0xb01
	v_mul_f64_e32 v[188:189], v[4:5], v[146:147]
	v_mul_f64_e32 v[146:147], v[6:7], v[146:147]
	v_fmac_f64_e32 v[190:191], v[130:131], v[140:141]
	v_fma_f64 v[140:141], v[128:129], v[140:141], -v[142:143]
	scratch_load_b128 v[128:131], off, off offset:800
	v_add_f64_e32 v[142:143], v[194:195], v[192:193]
	v_add_f64_e32 v[184:185], v[184:185], v[186:187]
	s_wait_loadcnt_dscnt 0xb00
	v_mul_f64_e32 v[186:187], v[136:137], v[150:151]
	v_mul_f64_e32 v[150:151], v[138:139], v[150:151]
	v_fmac_f64_e32 v[188:189], v[6:7], v[144:145]
	v_fma_f64 v[192:193], v[4:5], v[144:145], -v[146:147]
	v_add_f64_e32 v[194:195], v[142:143], v[140:141]
	v_add_f64_e32 v[184:185], v[184:185], v[190:191]
	ds_load_b128 v[4:7], v2 offset:1568
	ds_load_b128 v[140:143], v2 offset:1584
	scratch_load_b128 v[144:147], off, off offset:816
	v_fmac_f64_e32 v[186:187], v[138:139], v[148:149]
	v_fma_f64 v[148:149], v[136:137], v[148:149], -v[150:151]
	scratch_load_b128 v[136:139], off, off offset:832
	s_wait_loadcnt_dscnt 0xc01
	v_mul_f64_e32 v[190:191], v[4:5], v[154:155]
	v_mul_f64_e32 v[154:155], v[6:7], v[154:155]
	v_add_f64_e32 v[150:151], v[194:195], v[192:193]
	v_add_f64_e32 v[184:185], v[184:185], v[188:189]
	s_wait_loadcnt_dscnt 0xb00
	v_mul_f64_e32 v[188:189], v[140:141], v[158:159]
	v_mul_f64_e32 v[158:159], v[142:143], v[158:159]
	v_fmac_f64_e32 v[190:191], v[6:7], v[152:153]
	v_fma_f64 v[192:193], v[4:5], v[152:153], -v[154:155]
	v_add_f64_e32 v[194:195], v[150:151], v[148:149]
	v_add_f64_e32 v[184:185], v[184:185], v[186:187]
	ds_load_b128 v[4:7], v2 offset:1600
	ds_load_b128 v[148:151], v2 offset:1616
	scratch_load_b128 v[152:155], off, off offset:848
	v_fmac_f64_e32 v[188:189], v[142:143], v[156:157]
	v_fma_f64 v[156:157], v[140:141], v[156:157], -v[158:159]
	scratch_load_b128 v[140:143], off, off offset:864
	s_wait_loadcnt_dscnt 0xc01
	v_mul_f64_e32 v[186:187], v[4:5], v[166:167]
	v_mul_f64_e32 v[166:167], v[6:7], v[166:167]
	;; [unrolled: 18-line block ×3, first 2 shown]
	v_add_f64_e32 v[178:179], v[194:195], v[192:193]
	v_add_f64_e32 v[184:185], v[184:185], v[186:187]
	s_wait_loadcnt_dscnt 0xa00
	v_mul_f64_e32 v[186:187], v[156:157], v[10:11]
	v_mul_f64_e32 v[10:11], v[158:159], v[10:11]
	v_fmac_f64_e32 v[188:189], v[6:7], v[180:181]
	v_fma_f64 v[180:181], v[4:5], v[180:181], -v[182:183]
	v_add_f64_e32 v[182:183], v[178:179], v[176:177]
	v_add_f64_e32 v[184:185], v[184:185], v[190:191]
	ds_load_b128 v[4:7], v2 offset:1664
	ds_load_b128 v[176:179], v2 offset:1680
	v_fmac_f64_e32 v[186:187], v[158:159], v[8:9]
	v_fma_f64 v[8:9], v[156:157], v[8:9], -v[10:11]
	s_wait_loadcnt_dscnt 0x901
	v_mul_f64_e32 v[190:191], v[4:5], v[170:171]
	v_mul_f64_e32 v[170:171], v[6:7], v[170:171]
	s_wait_loadcnt_dscnt 0x800
	v_mul_f64_e32 v[158:159], v[176:177], v[134:135]
	v_mul_f64_e32 v[134:135], v[178:179], v[134:135]
	v_add_f64_e32 v[10:11], v[182:183], v[180:181]
	v_add_f64_e32 v[156:157], v[184:185], v[188:189]
	v_fmac_f64_e32 v[190:191], v[6:7], v[168:169]
	v_fma_f64 v[168:169], v[4:5], v[168:169], -v[170:171]
	v_fmac_f64_e32 v[158:159], v[178:179], v[132:133]
	v_fma_f64 v[132:133], v[176:177], v[132:133], -v[134:135]
	v_add_f64_e32 v[170:171], v[10:11], v[8:9]
	v_add_f64_e32 v[156:157], v[156:157], v[186:187]
	ds_load_b128 v[4:7], v2 offset:1696
	ds_load_b128 v[8:11], v2 offset:1712
	s_wait_loadcnt_dscnt 0x701
	v_mul_f64_e32 v[180:181], v[4:5], v[162:163]
	v_mul_f64_e32 v[162:163], v[6:7], v[162:163]
	v_add_f64_e32 v[134:135], v[170:171], v[168:169]
	v_add_f64_e32 v[156:157], v[156:157], v[190:191]
	s_wait_loadcnt_dscnt 0x600
	v_mul_f64_e32 v[168:169], v[8:9], v[130:131]
	v_mul_f64_e32 v[170:171], v[10:11], v[130:131]
	v_fmac_f64_e32 v[180:181], v[6:7], v[160:161]
	v_fma_f64 v[160:161], v[4:5], v[160:161], -v[162:163]
	v_add_f64_e32 v[134:135], v[134:135], v[132:133]
	v_add_f64_e32 v[156:157], v[156:157], v[158:159]
	ds_load_b128 v[4:7], v2 offset:1728
	ds_load_b128 v[130:133], v2 offset:1744
	v_fmac_f64_e32 v[168:169], v[10:11], v[128:129]
	v_fma_f64 v[8:9], v[8:9], v[128:129], -v[170:171]
	s_wait_loadcnt_dscnt 0x501
	v_mul_f64_e32 v[158:159], v[4:5], v[146:147]
	v_mul_f64_e32 v[146:147], v[6:7], v[146:147]
	v_add_f64_e32 v[10:11], v[134:135], v[160:161]
	v_add_f64_e32 v[128:129], v[156:157], v[180:181]
	s_wait_loadcnt_dscnt 0x400
	v_mul_f64_e32 v[134:135], v[130:131], v[138:139]
	v_mul_f64_e32 v[138:139], v[132:133], v[138:139]
	v_fmac_f64_e32 v[158:159], v[6:7], v[144:145]
	v_fma_f64 v[144:145], v[4:5], v[144:145], -v[146:147]
	v_add_f64_e32 v[146:147], v[10:11], v[8:9]
	v_add_f64_e32 v[128:129], v[128:129], v[168:169]
	ds_load_b128 v[4:7], v2 offset:1760
	ds_load_b128 v[8:11], v2 offset:1776
	v_fmac_f64_e32 v[134:135], v[132:133], v[136:137]
	v_fma_f64 v[130:131], v[130:131], v[136:137], -v[138:139]
	s_wait_loadcnt_dscnt 0x301
	v_mul_f64_e32 v[156:157], v[4:5], v[154:155]
	v_mul_f64_e32 v[154:155], v[6:7], v[154:155]
	s_wait_loadcnt_dscnt 0x200
	v_mul_f64_e32 v[136:137], v[8:9], v[142:143]
	v_mul_f64_e32 v[138:139], v[10:11], v[142:143]
	v_add_f64_e32 v[132:133], v[146:147], v[144:145]
	v_add_f64_e32 v[128:129], v[128:129], v[158:159]
	v_fmac_f64_e32 v[156:157], v[6:7], v[152:153]
	v_fma_f64 v[142:143], v[4:5], v[152:153], -v[154:155]
	v_fmac_f64_e32 v[136:137], v[10:11], v[140:141]
	v_fma_f64 v[8:9], v[8:9], v[140:141], -v[138:139]
	v_add_f64_e32 v[132:133], v[132:133], v[130:131]
	v_add_f64_e32 v[134:135], v[128:129], v[134:135]
	ds_load_b128 v[4:7], v2 offset:1792
	ds_load_b128 v[128:131], v2 offset:1808
	s_wait_loadcnt_dscnt 0x101
	v_mul_f64_e32 v[2:3], v[4:5], v[166:167]
	v_mul_f64_e32 v[144:145], v[6:7], v[166:167]
	s_wait_loadcnt_dscnt 0x0
	v_mul_f64_e32 v[138:139], v[130:131], v[150:151]
	v_add_f64_e32 v[10:11], v[132:133], v[142:143]
	v_add_f64_e32 v[132:133], v[134:135], v[156:157]
	v_mul_f64_e32 v[134:135], v[128:129], v[150:151]
	v_fmac_f64_e32 v[2:3], v[6:7], v[164:165]
	v_fma_f64 v[4:5], v[4:5], v[164:165], -v[144:145]
	v_add_f64_e32 v[6:7], v[10:11], v[8:9]
	v_add_f64_e32 v[8:9], v[132:133], v[136:137]
	v_fmac_f64_e32 v[134:135], v[130:131], v[148:149]
	v_fma_f64 v[10:11], v[128:129], v[148:149], -v[138:139]
	s_delay_alu instid0(VALU_DEP_4) | instskip(NEXT) | instid1(VALU_DEP_4)
	v_add_f64_e32 v[4:5], v[6:7], v[4:5]
	v_add_f64_e32 v[2:3], v[8:9], v[2:3]
	s_delay_alu instid0(VALU_DEP_2) | instskip(NEXT) | instid1(VALU_DEP_2)
	v_add_f64_e32 v[4:5], v[4:5], v[10:11]
	v_add_f64_e32 v[6:7], v[2:3], v[134:135]
	s_delay_alu instid0(VALU_DEP_2) | instskip(NEXT) | instid1(VALU_DEP_2)
	v_add_f64_e64 v[2:3], v[172:173], -v[4:5]
	v_add_f64_e64 v[4:5], v[174:175], -v[6:7]
	scratch_store_b128 off, v[2:5], off offset:512
	s_wait_xcnt 0x0
	v_cmpx_lt_u32_e32 31, v1
	s_cbranch_execz .LBB56_293
; %bb.292:
	scratch_load_b128 v[2:5], off, s47
	v_mov_b32_e32 v6, 0
	s_delay_alu instid0(VALU_DEP_1)
	v_dual_mov_b32 v7, v6 :: v_dual_mov_b32 v8, v6
	v_mov_b32_e32 v9, v6
	scratch_store_b128 off, v[6:9], off offset:496
	s_wait_loadcnt 0x0
	ds_store_b128 v12, v[2:5]
.LBB56_293:
	s_wait_xcnt 0x0
	s_or_b32 exec_lo, exec_lo, s2
	s_wait_storecnt_dscnt 0x0
	s_barrier_signal -1
	s_barrier_wait -1
	s_clause 0x9
	scratch_load_b128 v[4:7], off, off offset:512
	scratch_load_b128 v[8:11], off, off offset:528
	;; [unrolled: 1-line block ×10, first 2 shown]
	v_mov_b32_e32 v2, 0
	s_mov_b32 s2, exec_lo
	ds_load_b128 v[160:163], v2 offset:1424
	s_clause 0x2
	scratch_load_b128 v[164:167], off, off offset:672
	scratch_load_b128 v[168:171], off, off offset:496
	;; [unrolled: 1-line block ×3, first 2 shown]
	s_wait_loadcnt_dscnt 0xc00
	v_mul_f64_e32 v[180:181], v[162:163], v[6:7]
	v_mul_f64_e32 v[184:185], v[160:161], v[6:7]
	ds_load_b128 v[172:175], v2 offset:1440
	v_fma_f64 v[188:189], v[160:161], v[4:5], -v[180:181]
	v_fmac_f64_e32 v[184:185], v[162:163], v[4:5]
	ds_load_b128 v[4:7], v2 offset:1456
	s_wait_loadcnt_dscnt 0xb01
	v_mul_f64_e32 v[186:187], v[172:173], v[10:11]
	v_mul_f64_e32 v[10:11], v[174:175], v[10:11]
	scratch_load_b128 v[160:163], off, off offset:704
	ds_load_b128 v[180:183], v2 offset:1472
	s_wait_loadcnt_dscnt 0xb01
	v_mul_f64_e32 v[190:191], v[4:5], v[130:131]
	v_mul_f64_e32 v[130:131], v[6:7], v[130:131]
	v_add_f64_e32 v[184:185], 0, v[184:185]
	v_fmac_f64_e32 v[186:187], v[174:175], v[8:9]
	v_fma_f64 v[172:173], v[172:173], v[8:9], -v[10:11]
	v_add_f64_e32 v[174:175], 0, v[188:189]
	scratch_load_b128 v[8:11], off, off offset:720
	v_fmac_f64_e32 v[190:191], v[6:7], v[128:129]
	v_fma_f64 v[192:193], v[4:5], v[128:129], -v[130:131]
	ds_load_b128 v[4:7], v2 offset:1488
	s_wait_loadcnt_dscnt 0xb01
	v_mul_f64_e32 v[188:189], v[180:181], v[134:135]
	v_mul_f64_e32 v[134:135], v[182:183], v[134:135]
	scratch_load_b128 v[128:131], off, off offset:736
	v_add_f64_e32 v[184:185], v[184:185], v[186:187]
	v_add_f64_e32 v[194:195], v[174:175], v[172:173]
	ds_load_b128 v[172:175], v2 offset:1504
	s_wait_loadcnt_dscnt 0xb01
	v_mul_f64_e32 v[186:187], v[4:5], v[138:139]
	v_mul_f64_e32 v[138:139], v[6:7], v[138:139]
	v_fmac_f64_e32 v[188:189], v[182:183], v[132:133]
	v_fma_f64 v[180:181], v[180:181], v[132:133], -v[134:135]
	scratch_load_b128 v[132:135], off, off offset:752
	v_add_f64_e32 v[184:185], v[184:185], v[190:191]
	v_add_f64_e32 v[182:183], v[194:195], v[192:193]
	v_fmac_f64_e32 v[186:187], v[6:7], v[136:137]
	v_fma_f64 v[192:193], v[4:5], v[136:137], -v[138:139]
	ds_load_b128 v[4:7], v2 offset:1520
	s_wait_loadcnt_dscnt 0xb01
	v_mul_f64_e32 v[190:191], v[172:173], v[142:143]
	v_mul_f64_e32 v[142:143], v[174:175], v[142:143]
	scratch_load_b128 v[136:139], off, off offset:768
	v_add_f64_e32 v[184:185], v[184:185], v[188:189]
	s_wait_loadcnt_dscnt 0xb00
	v_mul_f64_e32 v[188:189], v[4:5], v[146:147]
	v_add_f64_e32 v[194:195], v[182:183], v[180:181]
	v_mul_f64_e32 v[146:147], v[6:7], v[146:147]
	ds_load_b128 v[180:183], v2 offset:1536
	v_fmac_f64_e32 v[190:191], v[174:175], v[140:141]
	v_fma_f64 v[172:173], v[172:173], v[140:141], -v[142:143]
	scratch_load_b128 v[140:143], off, off offset:784
	v_add_f64_e32 v[184:185], v[184:185], v[186:187]
	v_fmac_f64_e32 v[188:189], v[6:7], v[144:145]
	v_add_f64_e32 v[174:175], v[194:195], v[192:193]
	v_fma_f64 v[192:193], v[4:5], v[144:145], -v[146:147]
	ds_load_b128 v[4:7], v2 offset:1552
	s_wait_loadcnt_dscnt 0xb01
	v_mul_f64_e32 v[186:187], v[180:181], v[150:151]
	v_mul_f64_e32 v[150:151], v[182:183], v[150:151]
	scratch_load_b128 v[144:147], off, off offset:800
	v_add_f64_e32 v[184:185], v[184:185], v[190:191]
	s_wait_loadcnt_dscnt 0xb00
	v_mul_f64_e32 v[190:191], v[4:5], v[154:155]
	v_add_f64_e32 v[194:195], v[174:175], v[172:173]
	v_mul_f64_e32 v[154:155], v[6:7], v[154:155]
	ds_load_b128 v[172:175], v2 offset:1568
	v_fmac_f64_e32 v[186:187], v[182:183], v[148:149]
	v_fma_f64 v[180:181], v[180:181], v[148:149], -v[150:151]
	scratch_load_b128 v[148:151], off, off offset:816
	v_add_f64_e32 v[184:185], v[184:185], v[188:189]
	v_fmac_f64_e32 v[190:191], v[6:7], v[152:153]
	v_add_f64_e32 v[182:183], v[194:195], v[192:193]
	;; [unrolled: 18-line block ×3, first 2 shown]
	v_fma_f64 v[192:193], v[4:5], v[164:165], -v[166:167]
	ds_load_b128 v[4:7], v2 offset:1616
	s_wait_loadcnt_dscnt 0xa01
	v_mul_f64_e32 v[190:191], v[180:181], v[178:179]
	v_mul_f64_e32 v[178:179], v[182:183], v[178:179]
	scratch_load_b128 v[164:167], off, off offset:864
	v_add_f64_e32 v[184:185], v[184:185], v[188:189]
	v_add_f64_e32 v[194:195], v[174:175], v[172:173]
	s_wait_loadcnt_dscnt 0xa00
	v_mul_f64_e32 v[188:189], v[4:5], v[162:163]
	v_mul_f64_e32 v[162:163], v[6:7], v[162:163]
	v_fmac_f64_e32 v[190:191], v[182:183], v[176:177]
	v_fma_f64 v[180:181], v[180:181], v[176:177], -v[178:179]
	ds_load_b128 v[172:175], v2 offset:1632
	scratch_load_b128 v[176:179], off, off offset:880
	v_add_f64_e32 v[184:185], v[184:185], v[186:187]
	v_add_f64_e32 v[182:183], v[194:195], v[192:193]
	v_fmac_f64_e32 v[188:189], v[6:7], v[160:161]
	v_fma_f64 v[192:193], v[4:5], v[160:161], -v[162:163]
	ds_load_b128 v[4:7], v2 offset:1648
	s_wait_loadcnt_dscnt 0xa01
	v_mul_f64_e32 v[186:187], v[172:173], v[10:11]
	v_mul_f64_e32 v[10:11], v[174:175], v[10:11]
	scratch_load_b128 v[160:163], off, off offset:896
	v_add_f64_e32 v[184:185], v[184:185], v[190:191]
	s_wait_loadcnt_dscnt 0xa00
	v_mul_f64_e32 v[190:191], v[4:5], v[130:131]
	v_add_f64_e32 v[194:195], v[182:183], v[180:181]
	v_mul_f64_e32 v[130:131], v[6:7], v[130:131]
	ds_load_b128 v[180:183], v2 offset:1664
	v_fmac_f64_e32 v[186:187], v[174:175], v[8:9]
	v_fma_f64 v[8:9], v[172:173], v[8:9], -v[10:11]
	s_wait_loadcnt_dscnt 0x900
	v_mul_f64_e32 v[174:175], v[180:181], v[134:135]
	v_mul_f64_e32 v[134:135], v[182:183], v[134:135]
	v_add_f64_e32 v[172:173], v[184:185], v[188:189]
	v_fmac_f64_e32 v[190:191], v[6:7], v[128:129]
	v_add_f64_e32 v[10:11], v[194:195], v[192:193]
	v_fma_f64 v[128:129], v[4:5], v[128:129], -v[130:131]
	v_fmac_f64_e32 v[174:175], v[182:183], v[132:133]
	v_fma_f64 v[132:133], v[180:181], v[132:133], -v[134:135]
	v_add_f64_e32 v[172:173], v[172:173], v[186:187]
	v_add_f64_e32 v[130:131], v[10:11], v[8:9]
	ds_load_b128 v[4:7], v2 offset:1680
	ds_load_b128 v[8:11], v2 offset:1696
	s_wait_loadcnt_dscnt 0x801
	v_mul_f64_e32 v[184:185], v[4:5], v[138:139]
	v_mul_f64_e32 v[138:139], v[6:7], v[138:139]
	s_wait_loadcnt_dscnt 0x700
	v_mul_f64_e32 v[134:135], v[8:9], v[142:143]
	v_mul_f64_e32 v[142:143], v[10:11], v[142:143]
	v_add_f64_e32 v[128:129], v[130:131], v[128:129]
	v_add_f64_e32 v[130:131], v[172:173], v[190:191]
	v_fmac_f64_e32 v[184:185], v[6:7], v[136:137]
	v_fma_f64 v[136:137], v[4:5], v[136:137], -v[138:139]
	v_fmac_f64_e32 v[134:135], v[10:11], v[140:141]
	v_fma_f64 v[8:9], v[8:9], v[140:141], -v[142:143]
	v_add_f64_e32 v[132:133], v[128:129], v[132:133]
	v_add_f64_e32 v[138:139], v[130:131], v[174:175]
	ds_load_b128 v[4:7], v2 offset:1712
	ds_load_b128 v[128:131], v2 offset:1728
	s_wait_loadcnt_dscnt 0x601
	v_mul_f64_e32 v[172:173], v[4:5], v[146:147]
	v_mul_f64_e32 v[146:147], v[6:7], v[146:147]
	v_add_f64_e32 v[10:11], v[132:133], v[136:137]
	v_add_f64_e32 v[132:133], v[138:139], v[184:185]
	s_wait_loadcnt_dscnt 0x500
	v_mul_f64_e32 v[136:137], v[128:129], v[150:151]
	v_mul_f64_e32 v[138:139], v[130:131], v[150:151]
	v_fmac_f64_e32 v[172:173], v[6:7], v[144:145]
	v_fma_f64 v[140:141], v[4:5], v[144:145], -v[146:147]
	v_add_f64_e32 v[142:143], v[10:11], v[8:9]
	v_add_f64_e32 v[132:133], v[132:133], v[134:135]
	ds_load_b128 v[4:7], v2 offset:1744
	ds_load_b128 v[8:11], v2 offset:1760
	v_fmac_f64_e32 v[136:137], v[130:131], v[148:149]
	v_fma_f64 v[128:129], v[128:129], v[148:149], -v[138:139]
	s_wait_loadcnt_dscnt 0x401
	v_mul_f64_e32 v[134:135], v[4:5], v[154:155]
	v_mul_f64_e32 v[144:145], v[6:7], v[154:155]
	s_wait_loadcnt_dscnt 0x300
	v_mul_f64_e32 v[138:139], v[8:9], v[158:159]
	v_add_f64_e32 v[130:131], v[142:143], v[140:141]
	v_add_f64_e32 v[132:133], v[132:133], v[172:173]
	v_mul_f64_e32 v[140:141], v[10:11], v[158:159]
	v_fmac_f64_e32 v[134:135], v[6:7], v[152:153]
	v_fma_f64 v[142:143], v[4:5], v[152:153], -v[144:145]
	v_fmac_f64_e32 v[138:139], v[10:11], v[156:157]
	v_add_f64_e32 v[144:145], v[130:131], v[128:129]
	v_add_f64_e32 v[132:133], v[132:133], v[136:137]
	ds_load_b128 v[4:7], v2 offset:1776
	ds_load_b128 v[128:131], v2 offset:1792
	v_fma_f64 v[8:9], v[8:9], v[156:157], -v[140:141]
	s_wait_loadcnt_dscnt 0x201
	v_mul_f64_e32 v[136:137], v[4:5], v[166:167]
	v_mul_f64_e32 v[146:147], v[6:7], v[166:167]
	s_wait_loadcnt_dscnt 0x100
	v_mul_f64_e32 v[140:141], v[130:131], v[178:179]
	v_add_f64_e32 v[10:11], v[144:145], v[142:143]
	v_add_f64_e32 v[132:133], v[132:133], v[134:135]
	v_mul_f64_e32 v[134:135], v[128:129], v[178:179]
	v_fmac_f64_e32 v[136:137], v[6:7], v[164:165]
	v_fma_f64 v[142:143], v[4:5], v[164:165], -v[146:147]
	ds_load_b128 v[4:7], v2 offset:1808
	v_fma_f64 v[128:129], v[128:129], v[176:177], -v[140:141]
	v_add_f64_e32 v[8:9], v[10:11], v[8:9]
	v_add_f64_e32 v[10:11], v[132:133], v[138:139]
	v_fmac_f64_e32 v[134:135], v[130:131], v[176:177]
	s_wait_loadcnt_dscnt 0x0
	v_mul_f64_e32 v[132:133], v[4:5], v[162:163]
	v_mul_f64_e32 v[138:139], v[6:7], v[162:163]
	v_add_f64_e32 v[8:9], v[8:9], v[142:143]
	v_add_f64_e32 v[10:11], v[10:11], v[136:137]
	s_delay_alu instid0(VALU_DEP_4) | instskip(NEXT) | instid1(VALU_DEP_4)
	v_fmac_f64_e32 v[132:133], v[6:7], v[160:161]
	v_fma_f64 v[4:5], v[4:5], v[160:161], -v[138:139]
	s_delay_alu instid0(VALU_DEP_4) | instskip(NEXT) | instid1(VALU_DEP_4)
	v_add_f64_e32 v[6:7], v[8:9], v[128:129]
	v_add_f64_e32 v[8:9], v[10:11], v[134:135]
	s_delay_alu instid0(VALU_DEP_2) | instskip(NEXT) | instid1(VALU_DEP_2)
	v_add_f64_e32 v[4:5], v[6:7], v[4:5]
	v_add_f64_e32 v[6:7], v[8:9], v[132:133]
	s_delay_alu instid0(VALU_DEP_2) | instskip(NEXT) | instid1(VALU_DEP_2)
	v_add_f64_e64 v[4:5], v[168:169], -v[4:5]
	v_add_f64_e64 v[6:7], v[170:171], -v[6:7]
	scratch_store_b128 off, v[4:7], off offset:496
	s_wait_xcnt 0x0
	v_cmpx_lt_u32_e32 30, v1
	s_cbranch_execz .LBB56_295
; %bb.294:
	scratch_load_b128 v[6:9], off, s45
	v_dual_mov_b32 v3, v2 :: v_dual_mov_b32 v4, v2
	v_mov_b32_e32 v5, v2
	scratch_store_b128 off, v[2:5], off offset:480
	s_wait_loadcnt 0x0
	ds_store_b128 v12, v[6:9]
.LBB56_295:
	s_wait_xcnt 0x0
	s_or_b32 exec_lo, exec_lo, s2
	s_wait_storecnt_dscnt 0x0
	s_barrier_signal -1
	s_barrier_wait -1
	s_clause 0x9
	scratch_load_b128 v[4:7], off, off offset:496
	scratch_load_b128 v[8:11], off, off offset:512
	;; [unrolled: 1-line block ×10, first 2 shown]
	ds_load_b128 v[160:163], v2 offset:1408
	ds_load_b128 v[168:171], v2 offset:1424
	s_clause 0x2
	scratch_load_b128 v[164:167], off, off offset:656
	scratch_load_b128 v[172:175], off, off offset:480
	;; [unrolled: 1-line block ×3, first 2 shown]
	s_mov_b32 s2, exec_lo
	s_wait_loadcnt_dscnt 0xc01
	v_mul_f64_e32 v[180:181], v[162:163], v[6:7]
	v_mul_f64_e32 v[184:185], v[160:161], v[6:7]
	s_wait_loadcnt_dscnt 0xb00
	v_mul_f64_e32 v[186:187], v[168:169], v[10:11]
	v_mul_f64_e32 v[10:11], v[170:171], v[10:11]
	s_delay_alu instid0(VALU_DEP_4) | instskip(NEXT) | instid1(VALU_DEP_4)
	v_fma_f64 v[188:189], v[160:161], v[4:5], -v[180:181]
	v_fmac_f64_e32 v[184:185], v[162:163], v[4:5]
	ds_load_b128 v[4:7], v2 offset:1440
	ds_load_b128 v[160:163], v2 offset:1456
	scratch_load_b128 v[180:183], off, off offset:688
	v_fmac_f64_e32 v[186:187], v[170:171], v[8:9]
	v_fma_f64 v[168:169], v[168:169], v[8:9], -v[10:11]
	scratch_load_b128 v[8:11], off, off offset:704
	s_wait_loadcnt_dscnt 0xc01
	v_mul_f64_e32 v[190:191], v[4:5], v[130:131]
	v_mul_f64_e32 v[130:131], v[6:7], v[130:131]
	v_add_f64_e32 v[170:171], 0, v[188:189]
	v_add_f64_e32 v[184:185], 0, v[184:185]
	s_wait_loadcnt_dscnt 0xb00
	v_mul_f64_e32 v[188:189], v[160:161], v[134:135]
	v_mul_f64_e32 v[134:135], v[162:163], v[134:135]
	v_fmac_f64_e32 v[190:191], v[6:7], v[128:129]
	v_fma_f64 v[192:193], v[4:5], v[128:129], -v[130:131]
	ds_load_b128 v[4:7], v2 offset:1472
	ds_load_b128 v[128:131], v2 offset:1488
	v_add_f64_e32 v[194:195], v[170:171], v[168:169]
	v_add_f64_e32 v[184:185], v[184:185], v[186:187]
	scratch_load_b128 v[168:171], off, off offset:720
	v_fmac_f64_e32 v[188:189], v[162:163], v[132:133]
	v_fma_f64 v[160:161], v[160:161], v[132:133], -v[134:135]
	scratch_load_b128 v[132:135], off, off offset:736
	s_wait_loadcnt_dscnt 0xc01
	v_mul_f64_e32 v[186:187], v[4:5], v[138:139]
	v_mul_f64_e32 v[138:139], v[6:7], v[138:139]
	v_add_f64_e32 v[162:163], v[194:195], v[192:193]
	v_add_f64_e32 v[184:185], v[184:185], v[190:191]
	s_wait_loadcnt_dscnt 0xb00
	v_mul_f64_e32 v[190:191], v[128:129], v[142:143]
	v_mul_f64_e32 v[142:143], v[130:131], v[142:143]
	v_fmac_f64_e32 v[186:187], v[6:7], v[136:137]
	v_fma_f64 v[192:193], v[4:5], v[136:137], -v[138:139]
	ds_load_b128 v[4:7], v2 offset:1504
	ds_load_b128 v[136:139], v2 offset:1520
	v_add_f64_e32 v[194:195], v[162:163], v[160:161]
	v_add_f64_e32 v[184:185], v[184:185], v[188:189]
	scratch_load_b128 v[160:163], off, off offset:752
	s_wait_loadcnt_dscnt 0xb01
	v_mul_f64_e32 v[188:189], v[4:5], v[146:147]
	v_mul_f64_e32 v[146:147], v[6:7], v[146:147]
	v_fmac_f64_e32 v[190:191], v[130:131], v[140:141]
	v_fma_f64 v[140:141], v[128:129], v[140:141], -v[142:143]
	scratch_load_b128 v[128:131], off, off offset:768
	v_add_f64_e32 v[142:143], v[194:195], v[192:193]
	v_add_f64_e32 v[184:185], v[184:185], v[186:187]
	s_wait_loadcnt_dscnt 0xb00
	v_mul_f64_e32 v[186:187], v[136:137], v[150:151]
	v_mul_f64_e32 v[150:151], v[138:139], v[150:151]
	v_fmac_f64_e32 v[188:189], v[6:7], v[144:145]
	v_fma_f64 v[192:193], v[4:5], v[144:145], -v[146:147]
	v_add_f64_e32 v[194:195], v[142:143], v[140:141]
	v_add_f64_e32 v[184:185], v[184:185], v[190:191]
	ds_load_b128 v[4:7], v2 offset:1536
	ds_load_b128 v[140:143], v2 offset:1552
	scratch_load_b128 v[144:147], off, off offset:784
	v_fmac_f64_e32 v[186:187], v[138:139], v[148:149]
	v_fma_f64 v[148:149], v[136:137], v[148:149], -v[150:151]
	scratch_load_b128 v[136:139], off, off offset:800
	s_wait_loadcnt_dscnt 0xc01
	v_mul_f64_e32 v[190:191], v[4:5], v[154:155]
	v_mul_f64_e32 v[154:155], v[6:7], v[154:155]
	v_add_f64_e32 v[150:151], v[194:195], v[192:193]
	v_add_f64_e32 v[184:185], v[184:185], v[188:189]
	s_wait_loadcnt_dscnt 0xb00
	v_mul_f64_e32 v[188:189], v[140:141], v[158:159]
	v_mul_f64_e32 v[158:159], v[142:143], v[158:159]
	v_fmac_f64_e32 v[190:191], v[6:7], v[152:153]
	v_fma_f64 v[192:193], v[4:5], v[152:153], -v[154:155]
	v_add_f64_e32 v[194:195], v[150:151], v[148:149]
	v_add_f64_e32 v[184:185], v[184:185], v[186:187]
	ds_load_b128 v[4:7], v2 offset:1568
	ds_load_b128 v[148:151], v2 offset:1584
	scratch_load_b128 v[152:155], off, off offset:816
	v_fmac_f64_e32 v[188:189], v[142:143], v[156:157]
	v_fma_f64 v[156:157], v[140:141], v[156:157], -v[158:159]
	scratch_load_b128 v[140:143], off, off offset:832
	s_wait_loadcnt_dscnt 0xc01
	v_mul_f64_e32 v[186:187], v[4:5], v[166:167]
	v_mul_f64_e32 v[166:167], v[6:7], v[166:167]
	;; [unrolled: 18-line block ×4, first 2 shown]
	v_add_f64_e32 v[158:159], v[194:195], v[192:193]
	v_add_f64_e32 v[184:185], v[184:185], v[188:189]
	s_wait_loadcnt_dscnt 0xa00
	v_mul_f64_e32 v[188:189], v[176:177], v[134:135]
	v_mul_f64_e32 v[134:135], v[178:179], v[134:135]
	v_fmac_f64_e32 v[190:191], v[6:7], v[168:169]
	v_fma_f64 v[168:169], v[4:5], v[168:169], -v[170:171]
	v_add_f64_e32 v[170:171], v[158:159], v[156:157]
	v_add_f64_e32 v[184:185], v[184:185], v[186:187]
	ds_load_b128 v[4:7], v2 offset:1664
	ds_load_b128 v[156:159], v2 offset:1680
	v_fmac_f64_e32 v[188:189], v[178:179], v[132:133]
	v_fma_f64 v[132:133], v[176:177], v[132:133], -v[134:135]
	s_wait_loadcnt_dscnt 0x901
	v_mul_f64_e32 v[186:187], v[4:5], v[162:163]
	v_mul_f64_e32 v[162:163], v[6:7], v[162:163]
	s_wait_loadcnt_dscnt 0x800
	v_mul_f64_e32 v[176:177], v[158:159], v[130:131]
	v_add_f64_e32 v[134:135], v[170:171], v[168:169]
	v_add_f64_e32 v[168:169], v[184:185], v[190:191]
	v_mul_f64_e32 v[170:171], v[156:157], v[130:131]
	v_fmac_f64_e32 v[186:187], v[6:7], v[160:161]
	v_fma_f64 v[160:161], v[4:5], v[160:161], -v[162:163]
	v_add_f64_e32 v[134:135], v[134:135], v[132:133]
	v_add_f64_e32 v[162:163], v[168:169], v[188:189]
	ds_load_b128 v[4:7], v2 offset:1696
	ds_load_b128 v[130:133], v2 offset:1712
	v_fmac_f64_e32 v[170:171], v[158:159], v[128:129]
	v_fma_f64 v[128:129], v[156:157], v[128:129], -v[176:177]
	s_wait_loadcnt_dscnt 0x701
	v_mul_f64_e32 v[168:169], v[4:5], v[146:147]
	v_mul_f64_e32 v[146:147], v[6:7], v[146:147]
	s_wait_loadcnt_dscnt 0x600
	v_mul_f64_e32 v[158:159], v[130:131], v[138:139]
	v_mul_f64_e32 v[138:139], v[132:133], v[138:139]
	v_add_f64_e32 v[134:135], v[134:135], v[160:161]
	v_add_f64_e32 v[156:157], v[162:163], v[186:187]
	v_fmac_f64_e32 v[168:169], v[6:7], v[144:145]
	v_fma_f64 v[160:161], v[4:5], v[144:145], -v[146:147]
	ds_load_b128 v[4:7], v2 offset:1728
	ds_load_b128 v[144:147], v2 offset:1744
	v_fmac_f64_e32 v[158:159], v[132:133], v[136:137]
	v_fma_f64 v[130:131], v[130:131], v[136:137], -v[138:139]
	v_add_f64_e32 v[128:129], v[134:135], v[128:129]
	v_add_f64_e32 v[134:135], v[156:157], v[170:171]
	s_wait_loadcnt_dscnt 0x501
	v_mul_f64_e32 v[156:157], v[4:5], v[154:155]
	v_mul_f64_e32 v[154:155], v[6:7], v[154:155]
	s_wait_loadcnt_dscnt 0x400
	v_mul_f64_e32 v[136:137], v[146:147], v[142:143]
	v_add_f64_e32 v[128:129], v[128:129], v[160:161]
	v_add_f64_e32 v[132:133], v[134:135], v[168:169]
	v_mul_f64_e32 v[134:135], v[144:145], v[142:143]
	v_fmac_f64_e32 v[156:157], v[6:7], v[152:153]
	v_fma_f64 v[138:139], v[4:5], v[152:153], -v[154:155]
	v_fma_f64 v[136:137], v[144:145], v[140:141], -v[136:137]
	v_add_f64_e32 v[142:143], v[128:129], v[130:131]
	v_add_f64_e32 v[132:133], v[132:133], v[158:159]
	ds_load_b128 v[4:7], v2 offset:1760
	ds_load_b128 v[128:131], v2 offset:1776
	v_fmac_f64_e32 v[134:135], v[146:147], v[140:141]
	s_wait_loadcnt_dscnt 0x301
	v_mul_f64_e32 v[152:153], v[4:5], v[166:167]
	v_mul_f64_e32 v[154:155], v[6:7], v[166:167]
	s_wait_loadcnt_dscnt 0x200
	v_mul_f64_e32 v[140:141], v[128:129], v[150:151]
	v_add_f64_e32 v[138:139], v[142:143], v[138:139]
	v_add_f64_e32 v[132:133], v[132:133], v[156:157]
	v_mul_f64_e32 v[142:143], v[130:131], v[150:151]
	v_fmac_f64_e32 v[152:153], v[6:7], v[164:165]
	v_fma_f64 v[144:145], v[4:5], v[164:165], -v[154:155]
	v_fmac_f64_e32 v[140:141], v[130:131], v[148:149]
	v_add_f64_e32 v[136:137], v[138:139], v[136:137]
	v_add_f64_e32 v[138:139], v[132:133], v[134:135]
	ds_load_b128 v[4:7], v2 offset:1792
	ds_load_b128 v[132:135], v2 offset:1808
	v_fma_f64 v[128:129], v[128:129], v[148:149], -v[142:143]
	s_wait_loadcnt_dscnt 0x101
	v_mul_f64_e32 v[2:3], v[4:5], v[182:183]
	v_mul_f64_e32 v[146:147], v[6:7], v[182:183]
	v_add_f64_e32 v[130:131], v[136:137], v[144:145]
	v_add_f64_e32 v[136:137], v[138:139], v[152:153]
	s_wait_loadcnt_dscnt 0x0
	v_mul_f64_e32 v[138:139], v[132:133], v[10:11]
	v_mul_f64_e32 v[10:11], v[134:135], v[10:11]
	v_fmac_f64_e32 v[2:3], v[6:7], v[180:181]
	v_fma_f64 v[4:5], v[4:5], v[180:181], -v[146:147]
	v_add_f64_e32 v[6:7], v[130:131], v[128:129]
	v_add_f64_e32 v[128:129], v[136:137], v[140:141]
	v_fmac_f64_e32 v[138:139], v[134:135], v[8:9]
	v_fma_f64 v[8:9], v[132:133], v[8:9], -v[10:11]
	s_delay_alu instid0(VALU_DEP_4) | instskip(NEXT) | instid1(VALU_DEP_4)
	v_add_f64_e32 v[4:5], v[6:7], v[4:5]
	v_add_f64_e32 v[2:3], v[128:129], v[2:3]
	s_delay_alu instid0(VALU_DEP_2) | instskip(NEXT) | instid1(VALU_DEP_2)
	v_add_f64_e32 v[4:5], v[4:5], v[8:9]
	v_add_f64_e32 v[6:7], v[2:3], v[138:139]
	s_delay_alu instid0(VALU_DEP_2) | instskip(NEXT) | instid1(VALU_DEP_2)
	v_add_f64_e64 v[2:3], v[172:173], -v[4:5]
	v_add_f64_e64 v[4:5], v[174:175], -v[6:7]
	scratch_store_b128 off, v[2:5], off offset:480
	s_wait_xcnt 0x0
	v_cmpx_lt_u32_e32 29, v1
	s_cbranch_execz .LBB56_297
; %bb.296:
	scratch_load_b128 v[2:5], off, s43
	v_mov_b32_e32 v6, 0
	s_delay_alu instid0(VALU_DEP_1)
	v_dual_mov_b32 v7, v6 :: v_dual_mov_b32 v8, v6
	v_mov_b32_e32 v9, v6
	scratch_store_b128 off, v[6:9], off offset:464
	s_wait_loadcnt 0x0
	ds_store_b128 v12, v[2:5]
.LBB56_297:
	s_wait_xcnt 0x0
	s_or_b32 exec_lo, exec_lo, s2
	s_wait_storecnt_dscnt 0x0
	s_barrier_signal -1
	s_barrier_wait -1
	s_clause 0x9
	scratch_load_b128 v[4:7], off, off offset:480
	scratch_load_b128 v[8:11], off, off offset:496
	;; [unrolled: 1-line block ×10, first 2 shown]
	v_mov_b32_e32 v2, 0
	s_mov_b32 s2, exec_lo
	ds_load_b128 v[160:163], v2 offset:1392
	s_clause 0x2
	scratch_load_b128 v[164:167], off, off offset:640
	scratch_load_b128 v[168:171], off, off offset:464
	;; [unrolled: 1-line block ×3, first 2 shown]
	s_wait_loadcnt_dscnt 0xc00
	v_mul_f64_e32 v[180:181], v[162:163], v[6:7]
	v_mul_f64_e32 v[184:185], v[160:161], v[6:7]
	ds_load_b128 v[172:175], v2 offset:1408
	v_fma_f64 v[188:189], v[160:161], v[4:5], -v[180:181]
	v_fmac_f64_e32 v[184:185], v[162:163], v[4:5]
	ds_load_b128 v[4:7], v2 offset:1424
	s_wait_loadcnt_dscnt 0xb01
	v_mul_f64_e32 v[186:187], v[172:173], v[10:11]
	v_mul_f64_e32 v[10:11], v[174:175], v[10:11]
	scratch_load_b128 v[160:163], off, off offset:672
	ds_load_b128 v[180:183], v2 offset:1440
	s_wait_loadcnt_dscnt 0xb01
	v_mul_f64_e32 v[190:191], v[4:5], v[130:131]
	v_mul_f64_e32 v[130:131], v[6:7], v[130:131]
	v_add_f64_e32 v[184:185], 0, v[184:185]
	v_fmac_f64_e32 v[186:187], v[174:175], v[8:9]
	v_fma_f64 v[172:173], v[172:173], v[8:9], -v[10:11]
	v_add_f64_e32 v[174:175], 0, v[188:189]
	scratch_load_b128 v[8:11], off, off offset:688
	v_fmac_f64_e32 v[190:191], v[6:7], v[128:129]
	v_fma_f64 v[192:193], v[4:5], v[128:129], -v[130:131]
	ds_load_b128 v[4:7], v2 offset:1456
	s_wait_loadcnt_dscnt 0xb01
	v_mul_f64_e32 v[188:189], v[180:181], v[134:135]
	v_mul_f64_e32 v[134:135], v[182:183], v[134:135]
	scratch_load_b128 v[128:131], off, off offset:704
	v_add_f64_e32 v[184:185], v[184:185], v[186:187]
	v_add_f64_e32 v[194:195], v[174:175], v[172:173]
	ds_load_b128 v[172:175], v2 offset:1472
	s_wait_loadcnt_dscnt 0xb01
	v_mul_f64_e32 v[186:187], v[4:5], v[138:139]
	v_mul_f64_e32 v[138:139], v[6:7], v[138:139]
	v_fmac_f64_e32 v[188:189], v[182:183], v[132:133]
	v_fma_f64 v[180:181], v[180:181], v[132:133], -v[134:135]
	scratch_load_b128 v[132:135], off, off offset:720
	v_add_f64_e32 v[184:185], v[184:185], v[190:191]
	v_add_f64_e32 v[182:183], v[194:195], v[192:193]
	v_fmac_f64_e32 v[186:187], v[6:7], v[136:137]
	v_fma_f64 v[192:193], v[4:5], v[136:137], -v[138:139]
	ds_load_b128 v[4:7], v2 offset:1488
	s_wait_loadcnt_dscnt 0xb01
	v_mul_f64_e32 v[190:191], v[172:173], v[142:143]
	v_mul_f64_e32 v[142:143], v[174:175], v[142:143]
	scratch_load_b128 v[136:139], off, off offset:736
	v_add_f64_e32 v[184:185], v[184:185], v[188:189]
	s_wait_loadcnt_dscnt 0xb00
	v_mul_f64_e32 v[188:189], v[4:5], v[146:147]
	v_add_f64_e32 v[194:195], v[182:183], v[180:181]
	v_mul_f64_e32 v[146:147], v[6:7], v[146:147]
	ds_load_b128 v[180:183], v2 offset:1504
	v_fmac_f64_e32 v[190:191], v[174:175], v[140:141]
	v_fma_f64 v[172:173], v[172:173], v[140:141], -v[142:143]
	scratch_load_b128 v[140:143], off, off offset:752
	v_add_f64_e32 v[184:185], v[184:185], v[186:187]
	v_fmac_f64_e32 v[188:189], v[6:7], v[144:145]
	v_add_f64_e32 v[174:175], v[194:195], v[192:193]
	v_fma_f64 v[192:193], v[4:5], v[144:145], -v[146:147]
	ds_load_b128 v[4:7], v2 offset:1520
	s_wait_loadcnt_dscnt 0xb01
	v_mul_f64_e32 v[186:187], v[180:181], v[150:151]
	v_mul_f64_e32 v[150:151], v[182:183], v[150:151]
	scratch_load_b128 v[144:147], off, off offset:768
	v_add_f64_e32 v[184:185], v[184:185], v[190:191]
	s_wait_loadcnt_dscnt 0xb00
	v_mul_f64_e32 v[190:191], v[4:5], v[154:155]
	v_add_f64_e32 v[194:195], v[174:175], v[172:173]
	v_mul_f64_e32 v[154:155], v[6:7], v[154:155]
	ds_load_b128 v[172:175], v2 offset:1536
	v_fmac_f64_e32 v[186:187], v[182:183], v[148:149]
	v_fma_f64 v[180:181], v[180:181], v[148:149], -v[150:151]
	scratch_load_b128 v[148:151], off, off offset:784
	v_add_f64_e32 v[184:185], v[184:185], v[188:189]
	v_fmac_f64_e32 v[190:191], v[6:7], v[152:153]
	v_add_f64_e32 v[182:183], v[194:195], v[192:193]
	v_fma_f64 v[192:193], v[4:5], v[152:153], -v[154:155]
	ds_load_b128 v[4:7], v2 offset:1552
	s_wait_loadcnt_dscnt 0xb01
	v_mul_f64_e32 v[188:189], v[172:173], v[158:159]
	v_mul_f64_e32 v[158:159], v[174:175], v[158:159]
	scratch_load_b128 v[152:155], off, off offset:800
	v_add_f64_e32 v[184:185], v[184:185], v[186:187]
	s_wait_loadcnt_dscnt 0xb00
	v_mul_f64_e32 v[186:187], v[4:5], v[166:167]
	v_add_f64_e32 v[194:195], v[182:183], v[180:181]
	v_mul_f64_e32 v[166:167], v[6:7], v[166:167]
	ds_load_b128 v[180:183], v2 offset:1568
	v_fmac_f64_e32 v[188:189], v[174:175], v[156:157]
	v_fma_f64 v[172:173], v[172:173], v[156:157], -v[158:159]
	scratch_load_b128 v[156:159], off, off offset:816
	v_add_f64_e32 v[184:185], v[184:185], v[190:191]
	v_fmac_f64_e32 v[186:187], v[6:7], v[164:165]
	v_add_f64_e32 v[174:175], v[194:195], v[192:193]
	v_fma_f64 v[192:193], v[4:5], v[164:165], -v[166:167]
	ds_load_b128 v[4:7], v2 offset:1584
	s_wait_loadcnt_dscnt 0xa01
	v_mul_f64_e32 v[190:191], v[180:181], v[178:179]
	v_mul_f64_e32 v[178:179], v[182:183], v[178:179]
	scratch_load_b128 v[164:167], off, off offset:832
	v_add_f64_e32 v[184:185], v[184:185], v[188:189]
	v_add_f64_e32 v[194:195], v[174:175], v[172:173]
	s_wait_loadcnt_dscnt 0xa00
	v_mul_f64_e32 v[188:189], v[4:5], v[162:163]
	v_mul_f64_e32 v[162:163], v[6:7], v[162:163]
	v_fmac_f64_e32 v[190:191], v[182:183], v[176:177]
	v_fma_f64 v[180:181], v[180:181], v[176:177], -v[178:179]
	ds_load_b128 v[172:175], v2 offset:1600
	scratch_load_b128 v[176:179], off, off offset:848
	v_add_f64_e32 v[184:185], v[184:185], v[186:187]
	v_add_f64_e32 v[182:183], v[194:195], v[192:193]
	v_fmac_f64_e32 v[188:189], v[6:7], v[160:161]
	v_fma_f64 v[192:193], v[4:5], v[160:161], -v[162:163]
	ds_load_b128 v[4:7], v2 offset:1616
	s_wait_loadcnt_dscnt 0xa01
	v_mul_f64_e32 v[186:187], v[172:173], v[10:11]
	v_mul_f64_e32 v[10:11], v[174:175], v[10:11]
	scratch_load_b128 v[160:163], off, off offset:864
	v_add_f64_e32 v[184:185], v[184:185], v[190:191]
	s_wait_loadcnt_dscnt 0xa00
	v_mul_f64_e32 v[190:191], v[4:5], v[130:131]
	v_add_f64_e32 v[194:195], v[182:183], v[180:181]
	v_mul_f64_e32 v[130:131], v[6:7], v[130:131]
	ds_load_b128 v[180:183], v2 offset:1632
	v_fmac_f64_e32 v[186:187], v[174:175], v[8:9]
	v_fma_f64 v[172:173], v[172:173], v[8:9], -v[10:11]
	scratch_load_b128 v[8:11], off, off offset:880
	v_add_f64_e32 v[184:185], v[184:185], v[188:189]
	v_fmac_f64_e32 v[190:191], v[6:7], v[128:129]
	v_add_f64_e32 v[174:175], v[194:195], v[192:193]
	v_fma_f64 v[192:193], v[4:5], v[128:129], -v[130:131]
	ds_load_b128 v[4:7], v2 offset:1648
	s_wait_loadcnt_dscnt 0xa01
	v_mul_f64_e32 v[188:189], v[180:181], v[134:135]
	v_mul_f64_e32 v[134:135], v[182:183], v[134:135]
	scratch_load_b128 v[128:131], off, off offset:896
	v_add_f64_e32 v[184:185], v[184:185], v[186:187]
	s_wait_loadcnt_dscnt 0xa00
	v_mul_f64_e32 v[186:187], v[4:5], v[138:139]
	v_add_f64_e32 v[194:195], v[174:175], v[172:173]
	v_mul_f64_e32 v[138:139], v[6:7], v[138:139]
	ds_load_b128 v[172:175], v2 offset:1664
	v_fmac_f64_e32 v[188:189], v[182:183], v[132:133]
	v_fma_f64 v[132:133], v[180:181], v[132:133], -v[134:135]
	s_wait_loadcnt_dscnt 0x900
	v_mul_f64_e32 v[182:183], v[172:173], v[142:143]
	v_mul_f64_e32 v[142:143], v[174:175], v[142:143]
	v_add_f64_e32 v[180:181], v[184:185], v[190:191]
	v_fmac_f64_e32 v[186:187], v[6:7], v[136:137]
	v_add_f64_e32 v[134:135], v[194:195], v[192:193]
	v_fma_f64 v[136:137], v[4:5], v[136:137], -v[138:139]
	v_fmac_f64_e32 v[182:183], v[174:175], v[140:141]
	v_fma_f64 v[140:141], v[172:173], v[140:141], -v[142:143]
	v_add_f64_e32 v[180:181], v[180:181], v[188:189]
	v_add_f64_e32 v[138:139], v[134:135], v[132:133]
	ds_load_b128 v[4:7], v2 offset:1680
	ds_load_b128 v[132:135], v2 offset:1696
	s_wait_loadcnt_dscnt 0x801
	v_mul_f64_e32 v[184:185], v[4:5], v[146:147]
	v_mul_f64_e32 v[146:147], v[6:7], v[146:147]
	s_wait_loadcnt_dscnt 0x700
	v_mul_f64_e32 v[142:143], v[132:133], v[150:151]
	v_mul_f64_e32 v[150:151], v[134:135], v[150:151]
	v_add_f64_e32 v[136:137], v[138:139], v[136:137]
	v_add_f64_e32 v[138:139], v[180:181], v[186:187]
	v_fmac_f64_e32 v[184:185], v[6:7], v[144:145]
	v_fma_f64 v[144:145], v[4:5], v[144:145], -v[146:147]
	v_fmac_f64_e32 v[142:143], v[134:135], v[148:149]
	v_fma_f64 v[132:133], v[132:133], v[148:149], -v[150:151]
	v_add_f64_e32 v[140:141], v[136:137], v[140:141]
	v_add_f64_e32 v[146:147], v[138:139], v[182:183]
	ds_load_b128 v[4:7], v2 offset:1712
	ds_load_b128 v[136:139], v2 offset:1728
	s_wait_loadcnt_dscnt 0x601
	v_mul_f64_e32 v[172:173], v[4:5], v[154:155]
	v_mul_f64_e32 v[154:155], v[6:7], v[154:155]
	v_add_f64_e32 v[134:135], v[140:141], v[144:145]
	v_add_f64_e32 v[140:141], v[146:147], v[184:185]
	s_wait_loadcnt_dscnt 0x500
	v_mul_f64_e32 v[144:145], v[136:137], v[158:159]
	v_mul_f64_e32 v[146:147], v[138:139], v[158:159]
	v_fmac_f64_e32 v[172:173], v[6:7], v[152:153]
	v_fma_f64 v[148:149], v[4:5], v[152:153], -v[154:155]
	v_add_f64_e32 v[150:151], v[134:135], v[132:133]
	v_add_f64_e32 v[140:141], v[140:141], v[142:143]
	ds_load_b128 v[4:7], v2 offset:1744
	ds_load_b128 v[132:135], v2 offset:1760
	v_fmac_f64_e32 v[144:145], v[138:139], v[156:157]
	v_fma_f64 v[136:137], v[136:137], v[156:157], -v[146:147]
	s_wait_loadcnt_dscnt 0x401
	v_mul_f64_e32 v[142:143], v[4:5], v[166:167]
	v_mul_f64_e32 v[152:153], v[6:7], v[166:167]
	s_wait_loadcnt_dscnt 0x300
	v_mul_f64_e32 v[146:147], v[132:133], v[178:179]
	v_add_f64_e32 v[138:139], v[150:151], v[148:149]
	v_add_f64_e32 v[140:141], v[140:141], v[172:173]
	v_mul_f64_e32 v[148:149], v[134:135], v[178:179]
	v_fmac_f64_e32 v[142:143], v[6:7], v[164:165]
	v_fma_f64 v[150:151], v[4:5], v[164:165], -v[152:153]
	v_fmac_f64_e32 v[146:147], v[134:135], v[176:177]
	v_add_f64_e32 v[152:153], v[138:139], v[136:137]
	v_add_f64_e32 v[140:141], v[140:141], v[144:145]
	ds_load_b128 v[4:7], v2 offset:1776
	ds_load_b128 v[136:139], v2 offset:1792
	v_fma_f64 v[132:133], v[132:133], v[176:177], -v[148:149]
	s_wait_loadcnt_dscnt 0x201
	v_mul_f64_e32 v[144:145], v[4:5], v[162:163]
	v_mul_f64_e32 v[154:155], v[6:7], v[162:163]
	v_add_f64_e32 v[134:135], v[152:153], v[150:151]
	v_add_f64_e32 v[140:141], v[140:141], v[142:143]
	s_wait_loadcnt_dscnt 0x100
	v_mul_f64_e32 v[142:143], v[136:137], v[10:11]
	v_mul_f64_e32 v[10:11], v[138:139], v[10:11]
	v_fmac_f64_e32 v[144:145], v[6:7], v[160:161]
	v_fma_f64 v[148:149], v[4:5], v[160:161], -v[154:155]
	ds_load_b128 v[4:7], v2 offset:1808
	v_add_f64_e32 v[132:133], v[134:135], v[132:133]
	v_add_f64_e32 v[134:135], v[140:141], v[146:147]
	v_fmac_f64_e32 v[142:143], v[138:139], v[8:9]
	v_fma_f64 v[8:9], v[136:137], v[8:9], -v[10:11]
	s_wait_loadcnt_dscnt 0x0
	v_mul_f64_e32 v[140:141], v[4:5], v[130:131]
	v_mul_f64_e32 v[130:131], v[6:7], v[130:131]
	v_add_f64_e32 v[10:11], v[132:133], v[148:149]
	v_add_f64_e32 v[132:133], v[134:135], v[144:145]
	s_delay_alu instid0(VALU_DEP_4) | instskip(NEXT) | instid1(VALU_DEP_4)
	v_fmac_f64_e32 v[140:141], v[6:7], v[128:129]
	v_fma_f64 v[4:5], v[4:5], v[128:129], -v[130:131]
	s_delay_alu instid0(VALU_DEP_4) | instskip(NEXT) | instid1(VALU_DEP_4)
	v_add_f64_e32 v[6:7], v[10:11], v[8:9]
	v_add_f64_e32 v[8:9], v[132:133], v[142:143]
	s_delay_alu instid0(VALU_DEP_2) | instskip(NEXT) | instid1(VALU_DEP_2)
	v_add_f64_e32 v[4:5], v[6:7], v[4:5]
	v_add_f64_e32 v[6:7], v[8:9], v[140:141]
	s_delay_alu instid0(VALU_DEP_2) | instskip(NEXT) | instid1(VALU_DEP_2)
	v_add_f64_e64 v[4:5], v[168:169], -v[4:5]
	v_add_f64_e64 v[6:7], v[170:171], -v[6:7]
	scratch_store_b128 off, v[4:7], off offset:464
	s_wait_xcnt 0x0
	v_cmpx_lt_u32_e32 28, v1
	s_cbranch_execz .LBB56_299
; %bb.298:
	scratch_load_b128 v[6:9], off, s41
	v_dual_mov_b32 v3, v2 :: v_dual_mov_b32 v4, v2
	v_mov_b32_e32 v5, v2
	scratch_store_b128 off, v[2:5], off offset:448
	s_wait_loadcnt 0x0
	ds_store_b128 v12, v[6:9]
.LBB56_299:
	s_wait_xcnt 0x0
	s_or_b32 exec_lo, exec_lo, s2
	s_wait_storecnt_dscnt 0x0
	s_barrier_signal -1
	s_barrier_wait -1
	s_clause 0x9
	scratch_load_b128 v[4:7], off, off offset:464
	scratch_load_b128 v[8:11], off, off offset:480
	;; [unrolled: 1-line block ×10, first 2 shown]
	ds_load_b128 v[160:163], v2 offset:1376
	ds_load_b128 v[168:171], v2 offset:1392
	s_clause 0x2
	scratch_load_b128 v[164:167], off, off offset:624
	scratch_load_b128 v[172:175], off, off offset:448
	;; [unrolled: 1-line block ×3, first 2 shown]
	s_mov_b32 s2, exec_lo
	s_wait_loadcnt_dscnt 0xc01
	v_mul_f64_e32 v[180:181], v[162:163], v[6:7]
	v_mul_f64_e32 v[184:185], v[160:161], v[6:7]
	s_wait_loadcnt_dscnt 0xb00
	v_mul_f64_e32 v[186:187], v[168:169], v[10:11]
	v_mul_f64_e32 v[10:11], v[170:171], v[10:11]
	s_delay_alu instid0(VALU_DEP_4) | instskip(NEXT) | instid1(VALU_DEP_4)
	v_fma_f64 v[188:189], v[160:161], v[4:5], -v[180:181]
	v_fmac_f64_e32 v[184:185], v[162:163], v[4:5]
	ds_load_b128 v[4:7], v2 offset:1408
	ds_load_b128 v[160:163], v2 offset:1424
	scratch_load_b128 v[180:183], off, off offset:656
	v_fmac_f64_e32 v[186:187], v[170:171], v[8:9]
	v_fma_f64 v[168:169], v[168:169], v[8:9], -v[10:11]
	scratch_load_b128 v[8:11], off, off offset:672
	s_wait_loadcnt_dscnt 0xc01
	v_mul_f64_e32 v[190:191], v[4:5], v[130:131]
	v_mul_f64_e32 v[130:131], v[6:7], v[130:131]
	v_add_f64_e32 v[170:171], 0, v[188:189]
	v_add_f64_e32 v[184:185], 0, v[184:185]
	s_wait_loadcnt_dscnt 0xb00
	v_mul_f64_e32 v[188:189], v[160:161], v[134:135]
	v_mul_f64_e32 v[134:135], v[162:163], v[134:135]
	v_fmac_f64_e32 v[190:191], v[6:7], v[128:129]
	v_fma_f64 v[192:193], v[4:5], v[128:129], -v[130:131]
	ds_load_b128 v[4:7], v2 offset:1440
	ds_load_b128 v[128:131], v2 offset:1456
	v_add_f64_e32 v[194:195], v[170:171], v[168:169]
	v_add_f64_e32 v[184:185], v[184:185], v[186:187]
	scratch_load_b128 v[168:171], off, off offset:688
	v_fmac_f64_e32 v[188:189], v[162:163], v[132:133]
	v_fma_f64 v[160:161], v[160:161], v[132:133], -v[134:135]
	scratch_load_b128 v[132:135], off, off offset:704
	s_wait_loadcnt_dscnt 0xc01
	v_mul_f64_e32 v[186:187], v[4:5], v[138:139]
	v_mul_f64_e32 v[138:139], v[6:7], v[138:139]
	v_add_f64_e32 v[162:163], v[194:195], v[192:193]
	v_add_f64_e32 v[184:185], v[184:185], v[190:191]
	s_wait_loadcnt_dscnt 0xb00
	v_mul_f64_e32 v[190:191], v[128:129], v[142:143]
	v_mul_f64_e32 v[142:143], v[130:131], v[142:143]
	v_fmac_f64_e32 v[186:187], v[6:7], v[136:137]
	v_fma_f64 v[192:193], v[4:5], v[136:137], -v[138:139]
	ds_load_b128 v[4:7], v2 offset:1472
	ds_load_b128 v[136:139], v2 offset:1488
	v_add_f64_e32 v[194:195], v[162:163], v[160:161]
	v_add_f64_e32 v[184:185], v[184:185], v[188:189]
	scratch_load_b128 v[160:163], off, off offset:720
	s_wait_loadcnt_dscnt 0xb01
	v_mul_f64_e32 v[188:189], v[4:5], v[146:147]
	v_mul_f64_e32 v[146:147], v[6:7], v[146:147]
	v_fmac_f64_e32 v[190:191], v[130:131], v[140:141]
	v_fma_f64 v[140:141], v[128:129], v[140:141], -v[142:143]
	scratch_load_b128 v[128:131], off, off offset:736
	v_add_f64_e32 v[142:143], v[194:195], v[192:193]
	v_add_f64_e32 v[184:185], v[184:185], v[186:187]
	s_wait_loadcnt_dscnt 0xb00
	v_mul_f64_e32 v[186:187], v[136:137], v[150:151]
	v_mul_f64_e32 v[150:151], v[138:139], v[150:151]
	v_fmac_f64_e32 v[188:189], v[6:7], v[144:145]
	v_fma_f64 v[192:193], v[4:5], v[144:145], -v[146:147]
	v_add_f64_e32 v[194:195], v[142:143], v[140:141]
	v_add_f64_e32 v[184:185], v[184:185], v[190:191]
	ds_load_b128 v[4:7], v2 offset:1504
	ds_load_b128 v[140:143], v2 offset:1520
	scratch_load_b128 v[144:147], off, off offset:752
	v_fmac_f64_e32 v[186:187], v[138:139], v[148:149]
	v_fma_f64 v[148:149], v[136:137], v[148:149], -v[150:151]
	scratch_load_b128 v[136:139], off, off offset:768
	s_wait_loadcnt_dscnt 0xc01
	v_mul_f64_e32 v[190:191], v[4:5], v[154:155]
	v_mul_f64_e32 v[154:155], v[6:7], v[154:155]
	v_add_f64_e32 v[150:151], v[194:195], v[192:193]
	v_add_f64_e32 v[184:185], v[184:185], v[188:189]
	s_wait_loadcnt_dscnt 0xb00
	v_mul_f64_e32 v[188:189], v[140:141], v[158:159]
	v_mul_f64_e32 v[158:159], v[142:143], v[158:159]
	v_fmac_f64_e32 v[190:191], v[6:7], v[152:153]
	v_fma_f64 v[192:193], v[4:5], v[152:153], -v[154:155]
	v_add_f64_e32 v[194:195], v[150:151], v[148:149]
	v_add_f64_e32 v[184:185], v[184:185], v[186:187]
	ds_load_b128 v[4:7], v2 offset:1536
	ds_load_b128 v[148:151], v2 offset:1552
	scratch_load_b128 v[152:155], off, off offset:784
	v_fmac_f64_e32 v[188:189], v[142:143], v[156:157]
	v_fma_f64 v[156:157], v[140:141], v[156:157], -v[158:159]
	scratch_load_b128 v[140:143], off, off offset:800
	s_wait_loadcnt_dscnt 0xc01
	v_mul_f64_e32 v[186:187], v[4:5], v[166:167]
	v_mul_f64_e32 v[166:167], v[6:7], v[166:167]
	;; [unrolled: 18-line block ×5, first 2 shown]
	v_add_f64_e32 v[178:179], v[194:195], v[192:193]
	v_add_f64_e32 v[184:185], v[184:185], v[190:191]
	s_wait_loadcnt_dscnt 0xa00
	v_mul_f64_e32 v[190:191], v[156:157], v[130:131]
	v_mul_f64_e32 v[130:131], v[158:159], v[130:131]
	v_fmac_f64_e32 v[186:187], v[6:7], v[160:161]
	v_fma_f64 v[192:193], v[4:5], v[160:161], -v[162:163]
	ds_load_b128 v[4:7], v2 offset:1664
	ds_load_b128 v[160:163], v2 offset:1680
	v_add_f64_e32 v[176:177], v[178:179], v[176:177]
	v_add_f64_e32 v[178:179], v[184:185], v[188:189]
	v_fmac_f64_e32 v[190:191], v[158:159], v[128:129]
	v_fma_f64 v[128:129], v[156:157], v[128:129], -v[130:131]
	s_wait_loadcnt_dscnt 0x901
	v_mul_f64_e32 v[184:185], v[4:5], v[146:147]
	v_mul_f64_e32 v[146:147], v[6:7], v[146:147]
	s_wait_loadcnt_dscnt 0x800
	v_mul_f64_e32 v[158:159], v[160:161], v[138:139]
	v_mul_f64_e32 v[138:139], v[162:163], v[138:139]
	v_add_f64_e32 v[130:131], v[176:177], v[192:193]
	v_add_f64_e32 v[156:157], v[178:179], v[186:187]
	v_fmac_f64_e32 v[184:185], v[6:7], v[144:145]
	v_fma_f64 v[144:145], v[4:5], v[144:145], -v[146:147]
	v_fmac_f64_e32 v[158:159], v[162:163], v[136:137]
	v_fma_f64 v[136:137], v[160:161], v[136:137], -v[138:139]
	v_add_f64_e32 v[146:147], v[130:131], v[128:129]
	v_add_f64_e32 v[156:157], v[156:157], v[190:191]
	ds_load_b128 v[4:7], v2 offset:1696
	ds_load_b128 v[128:131], v2 offset:1712
	s_wait_loadcnt_dscnt 0x701
	v_mul_f64_e32 v[176:177], v[4:5], v[154:155]
	v_mul_f64_e32 v[154:155], v[6:7], v[154:155]
	v_add_f64_e32 v[138:139], v[146:147], v[144:145]
	v_add_f64_e32 v[144:145], v[156:157], v[184:185]
	s_wait_loadcnt_dscnt 0x600
	v_mul_f64_e32 v[146:147], v[128:129], v[142:143]
	v_mul_f64_e32 v[142:143], v[130:131], v[142:143]
	v_fmac_f64_e32 v[176:177], v[6:7], v[152:153]
	v_fma_f64 v[152:153], v[4:5], v[152:153], -v[154:155]
	v_add_f64_e32 v[154:155], v[138:139], v[136:137]
	v_add_f64_e32 v[144:145], v[144:145], v[158:159]
	ds_load_b128 v[4:7], v2 offset:1728
	ds_load_b128 v[136:139], v2 offset:1744
	v_fmac_f64_e32 v[146:147], v[130:131], v[140:141]
	v_fma_f64 v[128:129], v[128:129], v[140:141], -v[142:143]
	s_wait_loadcnt_dscnt 0x501
	v_mul_f64_e32 v[156:157], v[4:5], v[166:167]
	v_mul_f64_e32 v[158:159], v[6:7], v[166:167]
	s_wait_loadcnt_dscnt 0x400
	v_mul_f64_e32 v[142:143], v[136:137], v[150:151]
	v_add_f64_e32 v[130:131], v[154:155], v[152:153]
	v_add_f64_e32 v[140:141], v[144:145], v[176:177]
	v_mul_f64_e32 v[144:145], v[138:139], v[150:151]
	v_fmac_f64_e32 v[156:157], v[6:7], v[164:165]
	v_fma_f64 v[150:151], v[4:5], v[164:165], -v[158:159]
	v_fmac_f64_e32 v[142:143], v[138:139], v[148:149]
	v_add_f64_e32 v[152:153], v[130:131], v[128:129]
	v_add_f64_e32 v[140:141], v[140:141], v[146:147]
	ds_load_b128 v[4:7], v2 offset:1760
	ds_load_b128 v[128:131], v2 offset:1776
	v_fma_f64 v[136:137], v[136:137], v[148:149], -v[144:145]
	s_wait_loadcnt_dscnt 0x301
	v_mul_f64_e32 v[146:147], v[4:5], v[182:183]
	v_mul_f64_e32 v[154:155], v[6:7], v[182:183]
	s_wait_loadcnt_dscnt 0x200
	v_mul_f64_e32 v[144:145], v[128:129], v[10:11]
	v_mul_f64_e32 v[10:11], v[130:131], v[10:11]
	v_add_f64_e32 v[138:139], v[152:153], v[150:151]
	v_add_f64_e32 v[140:141], v[140:141], v[156:157]
	v_fmac_f64_e32 v[146:147], v[6:7], v[180:181]
	v_fma_f64 v[148:149], v[4:5], v[180:181], -v[154:155]
	v_fmac_f64_e32 v[144:145], v[130:131], v[8:9]
	v_fma_f64 v[8:9], v[128:129], v[8:9], -v[10:11]
	v_add_f64_e32 v[150:151], v[138:139], v[136:137]
	v_add_f64_e32 v[140:141], v[140:141], v[142:143]
	ds_load_b128 v[4:7], v2 offset:1792
	ds_load_b128 v[136:139], v2 offset:1808
	s_wait_loadcnt_dscnt 0x101
	v_mul_f64_e32 v[2:3], v[4:5], v[170:171]
	v_mul_f64_e32 v[142:143], v[6:7], v[170:171]
	s_wait_loadcnt_dscnt 0x0
	v_mul_f64_e32 v[130:131], v[136:137], v[134:135]
	v_mul_f64_e32 v[134:135], v[138:139], v[134:135]
	v_add_f64_e32 v[10:11], v[150:151], v[148:149]
	v_add_f64_e32 v[128:129], v[140:141], v[146:147]
	v_fmac_f64_e32 v[2:3], v[6:7], v[168:169]
	v_fma_f64 v[4:5], v[4:5], v[168:169], -v[142:143]
	v_fmac_f64_e32 v[130:131], v[138:139], v[132:133]
	v_add_f64_e32 v[6:7], v[10:11], v[8:9]
	v_add_f64_e32 v[8:9], v[128:129], v[144:145]
	v_fma_f64 v[10:11], v[136:137], v[132:133], -v[134:135]
	s_delay_alu instid0(VALU_DEP_3) | instskip(NEXT) | instid1(VALU_DEP_3)
	v_add_f64_e32 v[4:5], v[6:7], v[4:5]
	v_add_f64_e32 v[2:3], v[8:9], v[2:3]
	s_delay_alu instid0(VALU_DEP_2) | instskip(NEXT) | instid1(VALU_DEP_2)
	v_add_f64_e32 v[4:5], v[4:5], v[10:11]
	v_add_f64_e32 v[6:7], v[2:3], v[130:131]
	s_delay_alu instid0(VALU_DEP_2) | instskip(NEXT) | instid1(VALU_DEP_2)
	v_add_f64_e64 v[2:3], v[172:173], -v[4:5]
	v_add_f64_e64 v[4:5], v[174:175], -v[6:7]
	scratch_store_b128 off, v[2:5], off offset:448
	s_wait_xcnt 0x0
	v_cmpx_lt_u32_e32 27, v1
	s_cbranch_execz .LBB56_301
; %bb.300:
	scratch_load_b128 v[2:5], off, s39
	v_mov_b32_e32 v6, 0
	s_delay_alu instid0(VALU_DEP_1)
	v_dual_mov_b32 v7, v6 :: v_dual_mov_b32 v8, v6
	v_mov_b32_e32 v9, v6
	scratch_store_b128 off, v[6:9], off offset:432
	s_wait_loadcnt 0x0
	ds_store_b128 v12, v[2:5]
.LBB56_301:
	s_wait_xcnt 0x0
	s_or_b32 exec_lo, exec_lo, s2
	s_wait_storecnt_dscnt 0x0
	s_barrier_signal -1
	s_barrier_wait -1
	s_clause 0x9
	scratch_load_b128 v[4:7], off, off offset:448
	scratch_load_b128 v[8:11], off, off offset:464
	;; [unrolled: 1-line block ×10, first 2 shown]
	v_mov_b32_e32 v2, 0
	s_mov_b32 s2, exec_lo
	ds_load_b128 v[160:163], v2 offset:1360
	s_clause 0x2
	scratch_load_b128 v[164:167], off, off offset:608
	scratch_load_b128 v[168:171], off, off offset:432
	;; [unrolled: 1-line block ×3, first 2 shown]
	s_wait_loadcnt_dscnt 0xc00
	v_mul_f64_e32 v[180:181], v[162:163], v[6:7]
	v_mul_f64_e32 v[184:185], v[160:161], v[6:7]
	ds_load_b128 v[172:175], v2 offset:1376
	v_fma_f64 v[188:189], v[160:161], v[4:5], -v[180:181]
	v_fmac_f64_e32 v[184:185], v[162:163], v[4:5]
	ds_load_b128 v[4:7], v2 offset:1392
	s_wait_loadcnt_dscnt 0xb01
	v_mul_f64_e32 v[186:187], v[172:173], v[10:11]
	v_mul_f64_e32 v[10:11], v[174:175], v[10:11]
	scratch_load_b128 v[160:163], off, off offset:640
	ds_load_b128 v[180:183], v2 offset:1408
	s_wait_loadcnt_dscnt 0xb01
	v_mul_f64_e32 v[190:191], v[4:5], v[130:131]
	v_mul_f64_e32 v[130:131], v[6:7], v[130:131]
	v_add_f64_e32 v[184:185], 0, v[184:185]
	v_fmac_f64_e32 v[186:187], v[174:175], v[8:9]
	v_fma_f64 v[172:173], v[172:173], v[8:9], -v[10:11]
	v_add_f64_e32 v[174:175], 0, v[188:189]
	scratch_load_b128 v[8:11], off, off offset:656
	v_fmac_f64_e32 v[190:191], v[6:7], v[128:129]
	v_fma_f64 v[192:193], v[4:5], v[128:129], -v[130:131]
	ds_load_b128 v[4:7], v2 offset:1424
	s_wait_loadcnt_dscnt 0xb01
	v_mul_f64_e32 v[188:189], v[180:181], v[134:135]
	v_mul_f64_e32 v[134:135], v[182:183], v[134:135]
	scratch_load_b128 v[128:131], off, off offset:672
	v_add_f64_e32 v[184:185], v[184:185], v[186:187]
	v_add_f64_e32 v[194:195], v[174:175], v[172:173]
	ds_load_b128 v[172:175], v2 offset:1440
	s_wait_loadcnt_dscnt 0xb01
	v_mul_f64_e32 v[186:187], v[4:5], v[138:139]
	v_mul_f64_e32 v[138:139], v[6:7], v[138:139]
	v_fmac_f64_e32 v[188:189], v[182:183], v[132:133]
	v_fma_f64 v[180:181], v[180:181], v[132:133], -v[134:135]
	scratch_load_b128 v[132:135], off, off offset:688
	v_add_f64_e32 v[184:185], v[184:185], v[190:191]
	v_add_f64_e32 v[182:183], v[194:195], v[192:193]
	v_fmac_f64_e32 v[186:187], v[6:7], v[136:137]
	v_fma_f64 v[192:193], v[4:5], v[136:137], -v[138:139]
	ds_load_b128 v[4:7], v2 offset:1456
	s_wait_loadcnt_dscnt 0xb01
	v_mul_f64_e32 v[190:191], v[172:173], v[142:143]
	v_mul_f64_e32 v[142:143], v[174:175], v[142:143]
	scratch_load_b128 v[136:139], off, off offset:704
	v_add_f64_e32 v[184:185], v[184:185], v[188:189]
	s_wait_loadcnt_dscnt 0xb00
	v_mul_f64_e32 v[188:189], v[4:5], v[146:147]
	v_add_f64_e32 v[194:195], v[182:183], v[180:181]
	v_mul_f64_e32 v[146:147], v[6:7], v[146:147]
	ds_load_b128 v[180:183], v2 offset:1472
	v_fmac_f64_e32 v[190:191], v[174:175], v[140:141]
	v_fma_f64 v[172:173], v[172:173], v[140:141], -v[142:143]
	scratch_load_b128 v[140:143], off, off offset:720
	v_add_f64_e32 v[184:185], v[184:185], v[186:187]
	v_fmac_f64_e32 v[188:189], v[6:7], v[144:145]
	v_add_f64_e32 v[174:175], v[194:195], v[192:193]
	v_fma_f64 v[192:193], v[4:5], v[144:145], -v[146:147]
	ds_load_b128 v[4:7], v2 offset:1488
	s_wait_loadcnt_dscnt 0xb01
	v_mul_f64_e32 v[186:187], v[180:181], v[150:151]
	v_mul_f64_e32 v[150:151], v[182:183], v[150:151]
	scratch_load_b128 v[144:147], off, off offset:736
	v_add_f64_e32 v[184:185], v[184:185], v[190:191]
	s_wait_loadcnt_dscnt 0xb00
	v_mul_f64_e32 v[190:191], v[4:5], v[154:155]
	v_add_f64_e32 v[194:195], v[174:175], v[172:173]
	v_mul_f64_e32 v[154:155], v[6:7], v[154:155]
	ds_load_b128 v[172:175], v2 offset:1504
	v_fmac_f64_e32 v[186:187], v[182:183], v[148:149]
	v_fma_f64 v[180:181], v[180:181], v[148:149], -v[150:151]
	scratch_load_b128 v[148:151], off, off offset:752
	v_add_f64_e32 v[184:185], v[184:185], v[188:189]
	v_fmac_f64_e32 v[190:191], v[6:7], v[152:153]
	v_add_f64_e32 v[182:183], v[194:195], v[192:193]
	;; [unrolled: 18-line block ×3, first 2 shown]
	v_fma_f64 v[192:193], v[4:5], v[164:165], -v[166:167]
	ds_load_b128 v[4:7], v2 offset:1552
	s_wait_loadcnt_dscnt 0xa01
	v_mul_f64_e32 v[190:191], v[180:181], v[178:179]
	v_mul_f64_e32 v[178:179], v[182:183], v[178:179]
	scratch_load_b128 v[164:167], off, off offset:800
	v_add_f64_e32 v[184:185], v[184:185], v[188:189]
	v_add_f64_e32 v[194:195], v[174:175], v[172:173]
	s_wait_loadcnt_dscnt 0xa00
	v_mul_f64_e32 v[188:189], v[4:5], v[162:163]
	v_mul_f64_e32 v[162:163], v[6:7], v[162:163]
	v_fmac_f64_e32 v[190:191], v[182:183], v[176:177]
	v_fma_f64 v[180:181], v[180:181], v[176:177], -v[178:179]
	ds_load_b128 v[172:175], v2 offset:1568
	scratch_load_b128 v[176:179], off, off offset:816
	v_add_f64_e32 v[184:185], v[184:185], v[186:187]
	v_add_f64_e32 v[182:183], v[194:195], v[192:193]
	v_fmac_f64_e32 v[188:189], v[6:7], v[160:161]
	v_fma_f64 v[192:193], v[4:5], v[160:161], -v[162:163]
	ds_load_b128 v[4:7], v2 offset:1584
	s_wait_loadcnt_dscnt 0xa01
	v_mul_f64_e32 v[186:187], v[172:173], v[10:11]
	v_mul_f64_e32 v[10:11], v[174:175], v[10:11]
	scratch_load_b128 v[160:163], off, off offset:832
	v_add_f64_e32 v[184:185], v[184:185], v[190:191]
	s_wait_loadcnt_dscnt 0xa00
	v_mul_f64_e32 v[190:191], v[4:5], v[130:131]
	v_add_f64_e32 v[194:195], v[182:183], v[180:181]
	v_mul_f64_e32 v[130:131], v[6:7], v[130:131]
	ds_load_b128 v[180:183], v2 offset:1600
	v_fmac_f64_e32 v[186:187], v[174:175], v[8:9]
	v_fma_f64 v[172:173], v[172:173], v[8:9], -v[10:11]
	scratch_load_b128 v[8:11], off, off offset:848
	v_add_f64_e32 v[184:185], v[184:185], v[188:189]
	v_fmac_f64_e32 v[190:191], v[6:7], v[128:129]
	v_add_f64_e32 v[174:175], v[194:195], v[192:193]
	v_fma_f64 v[192:193], v[4:5], v[128:129], -v[130:131]
	ds_load_b128 v[4:7], v2 offset:1616
	s_wait_loadcnt_dscnt 0xa01
	v_mul_f64_e32 v[188:189], v[180:181], v[134:135]
	v_mul_f64_e32 v[134:135], v[182:183], v[134:135]
	scratch_load_b128 v[128:131], off, off offset:864
	v_add_f64_e32 v[184:185], v[184:185], v[186:187]
	s_wait_loadcnt_dscnt 0xa00
	v_mul_f64_e32 v[186:187], v[4:5], v[138:139]
	v_add_f64_e32 v[194:195], v[174:175], v[172:173]
	v_mul_f64_e32 v[138:139], v[6:7], v[138:139]
	ds_load_b128 v[172:175], v2 offset:1632
	v_fmac_f64_e32 v[188:189], v[182:183], v[132:133]
	v_fma_f64 v[180:181], v[180:181], v[132:133], -v[134:135]
	scratch_load_b128 v[132:135], off, off offset:880
	v_add_f64_e32 v[184:185], v[184:185], v[190:191]
	v_fmac_f64_e32 v[186:187], v[6:7], v[136:137]
	v_add_f64_e32 v[182:183], v[194:195], v[192:193]
	v_fma_f64 v[192:193], v[4:5], v[136:137], -v[138:139]
	ds_load_b128 v[4:7], v2 offset:1648
	s_wait_loadcnt_dscnt 0xa01
	v_mul_f64_e32 v[190:191], v[172:173], v[142:143]
	v_mul_f64_e32 v[142:143], v[174:175], v[142:143]
	scratch_load_b128 v[136:139], off, off offset:896
	v_add_f64_e32 v[184:185], v[184:185], v[188:189]
	s_wait_loadcnt_dscnt 0xa00
	v_mul_f64_e32 v[188:189], v[4:5], v[146:147]
	v_add_f64_e32 v[194:195], v[182:183], v[180:181]
	v_mul_f64_e32 v[146:147], v[6:7], v[146:147]
	ds_load_b128 v[180:183], v2 offset:1664
	v_fmac_f64_e32 v[190:191], v[174:175], v[140:141]
	v_fma_f64 v[140:141], v[172:173], v[140:141], -v[142:143]
	s_wait_loadcnt_dscnt 0x900
	v_mul_f64_e32 v[174:175], v[180:181], v[150:151]
	v_mul_f64_e32 v[150:151], v[182:183], v[150:151]
	v_add_f64_e32 v[172:173], v[184:185], v[186:187]
	v_fmac_f64_e32 v[188:189], v[6:7], v[144:145]
	v_add_f64_e32 v[142:143], v[194:195], v[192:193]
	v_fma_f64 v[144:145], v[4:5], v[144:145], -v[146:147]
	v_fmac_f64_e32 v[174:175], v[182:183], v[148:149]
	v_fma_f64 v[148:149], v[180:181], v[148:149], -v[150:151]
	v_add_f64_e32 v[172:173], v[172:173], v[190:191]
	v_add_f64_e32 v[146:147], v[142:143], v[140:141]
	ds_load_b128 v[4:7], v2 offset:1680
	ds_load_b128 v[140:143], v2 offset:1696
	s_wait_loadcnt_dscnt 0x801
	v_mul_f64_e32 v[184:185], v[4:5], v[154:155]
	v_mul_f64_e32 v[154:155], v[6:7], v[154:155]
	s_wait_loadcnt_dscnt 0x700
	v_mul_f64_e32 v[150:151], v[140:141], v[158:159]
	v_mul_f64_e32 v[158:159], v[142:143], v[158:159]
	v_add_f64_e32 v[144:145], v[146:147], v[144:145]
	v_add_f64_e32 v[146:147], v[172:173], v[188:189]
	v_fmac_f64_e32 v[184:185], v[6:7], v[152:153]
	v_fma_f64 v[152:153], v[4:5], v[152:153], -v[154:155]
	v_fmac_f64_e32 v[150:151], v[142:143], v[156:157]
	v_fma_f64 v[140:141], v[140:141], v[156:157], -v[158:159]
	v_add_f64_e32 v[148:149], v[144:145], v[148:149]
	v_add_f64_e32 v[154:155], v[146:147], v[174:175]
	ds_load_b128 v[4:7], v2 offset:1712
	ds_load_b128 v[144:147], v2 offset:1728
	s_wait_loadcnt_dscnt 0x601
	v_mul_f64_e32 v[172:173], v[4:5], v[166:167]
	v_mul_f64_e32 v[166:167], v[6:7], v[166:167]
	v_add_f64_e32 v[142:143], v[148:149], v[152:153]
	v_add_f64_e32 v[148:149], v[154:155], v[184:185]
	s_wait_loadcnt_dscnt 0x500
	v_mul_f64_e32 v[152:153], v[144:145], v[178:179]
	v_mul_f64_e32 v[154:155], v[146:147], v[178:179]
	v_fmac_f64_e32 v[172:173], v[6:7], v[164:165]
	v_fma_f64 v[156:157], v[4:5], v[164:165], -v[166:167]
	v_add_f64_e32 v[158:159], v[142:143], v[140:141]
	v_add_f64_e32 v[148:149], v[148:149], v[150:151]
	ds_load_b128 v[4:7], v2 offset:1744
	ds_load_b128 v[140:143], v2 offset:1760
	v_fmac_f64_e32 v[152:153], v[146:147], v[176:177]
	v_fma_f64 v[144:145], v[144:145], v[176:177], -v[154:155]
	s_wait_loadcnt_dscnt 0x401
	v_mul_f64_e32 v[150:151], v[4:5], v[162:163]
	v_mul_f64_e32 v[162:163], v[6:7], v[162:163]
	s_wait_loadcnt_dscnt 0x300
	v_mul_f64_e32 v[154:155], v[140:141], v[10:11]
	v_mul_f64_e32 v[10:11], v[142:143], v[10:11]
	v_add_f64_e32 v[146:147], v[158:159], v[156:157]
	v_add_f64_e32 v[148:149], v[148:149], v[172:173]
	v_fmac_f64_e32 v[150:151], v[6:7], v[160:161]
	v_fma_f64 v[156:157], v[4:5], v[160:161], -v[162:163]
	v_fmac_f64_e32 v[154:155], v[142:143], v[8:9]
	v_fma_f64 v[8:9], v[140:141], v[8:9], -v[10:11]
	v_add_f64_e32 v[158:159], v[146:147], v[144:145]
	v_add_f64_e32 v[148:149], v[148:149], v[152:153]
	ds_load_b128 v[4:7], v2 offset:1776
	ds_load_b128 v[144:147], v2 offset:1792
	s_wait_loadcnt_dscnt 0x201
	v_mul_f64_e32 v[152:153], v[4:5], v[130:131]
	v_mul_f64_e32 v[130:131], v[6:7], v[130:131]
	s_wait_loadcnt_dscnt 0x100
	v_mul_f64_e32 v[142:143], v[144:145], v[134:135]
	v_mul_f64_e32 v[134:135], v[146:147], v[134:135]
	v_add_f64_e32 v[10:11], v[158:159], v[156:157]
	v_add_f64_e32 v[140:141], v[148:149], v[150:151]
	v_fmac_f64_e32 v[152:153], v[6:7], v[128:129]
	v_fma_f64 v[128:129], v[4:5], v[128:129], -v[130:131]
	ds_load_b128 v[4:7], v2 offset:1808
	v_fmac_f64_e32 v[142:143], v[146:147], v[132:133]
	v_fma_f64 v[132:133], v[144:145], v[132:133], -v[134:135]
	v_add_f64_e32 v[8:9], v[10:11], v[8:9]
	v_add_f64_e32 v[10:11], v[140:141], v[154:155]
	s_wait_loadcnt_dscnt 0x0
	v_mul_f64_e32 v[130:131], v[4:5], v[138:139]
	v_mul_f64_e32 v[138:139], v[6:7], v[138:139]
	s_delay_alu instid0(VALU_DEP_4) | instskip(NEXT) | instid1(VALU_DEP_4)
	v_add_f64_e32 v[8:9], v[8:9], v[128:129]
	v_add_f64_e32 v[10:11], v[10:11], v[152:153]
	s_delay_alu instid0(VALU_DEP_4) | instskip(NEXT) | instid1(VALU_DEP_4)
	v_fmac_f64_e32 v[130:131], v[6:7], v[136:137]
	v_fma_f64 v[4:5], v[4:5], v[136:137], -v[138:139]
	s_delay_alu instid0(VALU_DEP_4) | instskip(NEXT) | instid1(VALU_DEP_4)
	v_add_f64_e32 v[6:7], v[8:9], v[132:133]
	v_add_f64_e32 v[8:9], v[10:11], v[142:143]
	s_delay_alu instid0(VALU_DEP_2) | instskip(NEXT) | instid1(VALU_DEP_2)
	v_add_f64_e32 v[4:5], v[6:7], v[4:5]
	v_add_f64_e32 v[6:7], v[8:9], v[130:131]
	s_delay_alu instid0(VALU_DEP_2) | instskip(NEXT) | instid1(VALU_DEP_2)
	v_add_f64_e64 v[4:5], v[168:169], -v[4:5]
	v_add_f64_e64 v[6:7], v[170:171], -v[6:7]
	scratch_store_b128 off, v[4:7], off offset:432
	s_wait_xcnt 0x0
	v_cmpx_lt_u32_e32 26, v1
	s_cbranch_execz .LBB56_303
; %bb.302:
	scratch_load_b128 v[6:9], off, s46
	v_dual_mov_b32 v3, v2 :: v_dual_mov_b32 v4, v2
	v_mov_b32_e32 v5, v2
	scratch_store_b128 off, v[2:5], off offset:416
	s_wait_loadcnt 0x0
	ds_store_b128 v12, v[6:9]
.LBB56_303:
	s_wait_xcnt 0x0
	s_or_b32 exec_lo, exec_lo, s2
	s_wait_storecnt_dscnt 0x0
	s_barrier_signal -1
	s_barrier_wait -1
	s_clause 0x9
	scratch_load_b128 v[4:7], off, off offset:432
	scratch_load_b128 v[8:11], off, off offset:448
	;; [unrolled: 1-line block ×10, first 2 shown]
	ds_load_b128 v[160:163], v2 offset:1344
	ds_load_b128 v[168:171], v2 offset:1360
	s_clause 0x2
	scratch_load_b128 v[164:167], off, off offset:592
	scratch_load_b128 v[172:175], off, off offset:416
	;; [unrolled: 1-line block ×3, first 2 shown]
	s_mov_b32 s2, exec_lo
	s_wait_loadcnt_dscnt 0xc01
	v_mul_f64_e32 v[180:181], v[162:163], v[6:7]
	v_mul_f64_e32 v[184:185], v[160:161], v[6:7]
	s_wait_loadcnt_dscnt 0xb00
	v_mul_f64_e32 v[186:187], v[168:169], v[10:11]
	v_mul_f64_e32 v[10:11], v[170:171], v[10:11]
	s_delay_alu instid0(VALU_DEP_4) | instskip(NEXT) | instid1(VALU_DEP_4)
	v_fma_f64 v[188:189], v[160:161], v[4:5], -v[180:181]
	v_fmac_f64_e32 v[184:185], v[162:163], v[4:5]
	ds_load_b128 v[4:7], v2 offset:1376
	ds_load_b128 v[160:163], v2 offset:1392
	scratch_load_b128 v[180:183], off, off offset:624
	v_fmac_f64_e32 v[186:187], v[170:171], v[8:9]
	v_fma_f64 v[168:169], v[168:169], v[8:9], -v[10:11]
	scratch_load_b128 v[8:11], off, off offset:640
	s_wait_loadcnt_dscnt 0xc01
	v_mul_f64_e32 v[190:191], v[4:5], v[130:131]
	v_mul_f64_e32 v[130:131], v[6:7], v[130:131]
	v_add_f64_e32 v[170:171], 0, v[188:189]
	v_add_f64_e32 v[184:185], 0, v[184:185]
	s_wait_loadcnt_dscnt 0xb00
	v_mul_f64_e32 v[188:189], v[160:161], v[134:135]
	v_mul_f64_e32 v[134:135], v[162:163], v[134:135]
	v_fmac_f64_e32 v[190:191], v[6:7], v[128:129]
	v_fma_f64 v[192:193], v[4:5], v[128:129], -v[130:131]
	ds_load_b128 v[4:7], v2 offset:1408
	ds_load_b128 v[128:131], v2 offset:1424
	v_add_f64_e32 v[194:195], v[170:171], v[168:169]
	v_add_f64_e32 v[184:185], v[184:185], v[186:187]
	scratch_load_b128 v[168:171], off, off offset:656
	v_fmac_f64_e32 v[188:189], v[162:163], v[132:133]
	v_fma_f64 v[160:161], v[160:161], v[132:133], -v[134:135]
	scratch_load_b128 v[132:135], off, off offset:672
	s_wait_loadcnt_dscnt 0xc01
	v_mul_f64_e32 v[186:187], v[4:5], v[138:139]
	v_mul_f64_e32 v[138:139], v[6:7], v[138:139]
	v_add_f64_e32 v[162:163], v[194:195], v[192:193]
	v_add_f64_e32 v[184:185], v[184:185], v[190:191]
	s_wait_loadcnt_dscnt 0xb00
	v_mul_f64_e32 v[190:191], v[128:129], v[142:143]
	v_mul_f64_e32 v[142:143], v[130:131], v[142:143]
	v_fmac_f64_e32 v[186:187], v[6:7], v[136:137]
	v_fma_f64 v[192:193], v[4:5], v[136:137], -v[138:139]
	ds_load_b128 v[4:7], v2 offset:1440
	ds_load_b128 v[136:139], v2 offset:1456
	v_add_f64_e32 v[194:195], v[162:163], v[160:161]
	v_add_f64_e32 v[184:185], v[184:185], v[188:189]
	scratch_load_b128 v[160:163], off, off offset:688
	s_wait_loadcnt_dscnt 0xb01
	v_mul_f64_e32 v[188:189], v[4:5], v[146:147]
	v_mul_f64_e32 v[146:147], v[6:7], v[146:147]
	v_fmac_f64_e32 v[190:191], v[130:131], v[140:141]
	v_fma_f64 v[140:141], v[128:129], v[140:141], -v[142:143]
	scratch_load_b128 v[128:131], off, off offset:704
	v_add_f64_e32 v[142:143], v[194:195], v[192:193]
	v_add_f64_e32 v[184:185], v[184:185], v[186:187]
	s_wait_loadcnt_dscnt 0xb00
	v_mul_f64_e32 v[186:187], v[136:137], v[150:151]
	v_mul_f64_e32 v[150:151], v[138:139], v[150:151]
	v_fmac_f64_e32 v[188:189], v[6:7], v[144:145]
	v_fma_f64 v[192:193], v[4:5], v[144:145], -v[146:147]
	v_add_f64_e32 v[194:195], v[142:143], v[140:141]
	v_add_f64_e32 v[184:185], v[184:185], v[190:191]
	ds_load_b128 v[4:7], v2 offset:1472
	ds_load_b128 v[140:143], v2 offset:1488
	scratch_load_b128 v[144:147], off, off offset:720
	v_fmac_f64_e32 v[186:187], v[138:139], v[148:149]
	v_fma_f64 v[148:149], v[136:137], v[148:149], -v[150:151]
	scratch_load_b128 v[136:139], off, off offset:736
	s_wait_loadcnt_dscnt 0xc01
	v_mul_f64_e32 v[190:191], v[4:5], v[154:155]
	v_mul_f64_e32 v[154:155], v[6:7], v[154:155]
	v_add_f64_e32 v[150:151], v[194:195], v[192:193]
	v_add_f64_e32 v[184:185], v[184:185], v[188:189]
	s_wait_loadcnt_dscnt 0xb00
	v_mul_f64_e32 v[188:189], v[140:141], v[158:159]
	v_mul_f64_e32 v[158:159], v[142:143], v[158:159]
	v_fmac_f64_e32 v[190:191], v[6:7], v[152:153]
	v_fma_f64 v[192:193], v[4:5], v[152:153], -v[154:155]
	v_add_f64_e32 v[194:195], v[150:151], v[148:149]
	v_add_f64_e32 v[184:185], v[184:185], v[186:187]
	ds_load_b128 v[4:7], v2 offset:1504
	ds_load_b128 v[148:151], v2 offset:1520
	scratch_load_b128 v[152:155], off, off offset:752
	v_fmac_f64_e32 v[188:189], v[142:143], v[156:157]
	v_fma_f64 v[156:157], v[140:141], v[156:157], -v[158:159]
	scratch_load_b128 v[140:143], off, off offset:768
	s_wait_loadcnt_dscnt 0xc01
	v_mul_f64_e32 v[186:187], v[4:5], v[166:167]
	v_mul_f64_e32 v[166:167], v[6:7], v[166:167]
	;; [unrolled: 18-line block ×5, first 2 shown]
	v_add_f64_e32 v[178:179], v[194:195], v[192:193]
	v_add_f64_e32 v[184:185], v[184:185], v[190:191]
	s_wait_loadcnt_dscnt 0xa00
	v_mul_f64_e32 v[190:191], v[156:157], v[130:131]
	v_mul_f64_e32 v[130:131], v[158:159], v[130:131]
	v_fmac_f64_e32 v[186:187], v[6:7], v[160:161]
	v_fma_f64 v[192:193], v[4:5], v[160:161], -v[162:163]
	ds_load_b128 v[4:7], v2 offset:1632
	ds_load_b128 v[160:163], v2 offset:1648
	v_add_f64_e32 v[194:195], v[178:179], v[176:177]
	v_add_f64_e32 v[184:185], v[184:185], v[188:189]
	scratch_load_b128 v[176:179], off, off offset:880
	v_fmac_f64_e32 v[190:191], v[158:159], v[128:129]
	v_fma_f64 v[156:157], v[156:157], v[128:129], -v[130:131]
	scratch_load_b128 v[128:131], off, off offset:896
	s_wait_loadcnt_dscnt 0xb01
	v_mul_f64_e32 v[188:189], v[4:5], v[146:147]
	v_mul_f64_e32 v[146:147], v[6:7], v[146:147]
	v_add_f64_e32 v[158:159], v[194:195], v[192:193]
	v_add_f64_e32 v[184:185], v[184:185], v[186:187]
	s_wait_loadcnt_dscnt 0xa00
	v_mul_f64_e32 v[186:187], v[160:161], v[138:139]
	v_mul_f64_e32 v[138:139], v[162:163], v[138:139]
	v_fmac_f64_e32 v[188:189], v[6:7], v[144:145]
	v_fma_f64 v[192:193], v[4:5], v[144:145], -v[146:147]
	ds_load_b128 v[4:7], v2 offset:1664
	ds_load_b128 v[144:147], v2 offset:1680
	v_add_f64_e32 v[156:157], v[158:159], v[156:157]
	v_add_f64_e32 v[158:159], v[184:185], v[190:191]
	v_fmac_f64_e32 v[186:187], v[162:163], v[136:137]
	s_wait_loadcnt_dscnt 0x901
	v_mul_f64_e32 v[184:185], v[4:5], v[154:155]
	v_mul_f64_e32 v[154:155], v[6:7], v[154:155]
	v_fma_f64 v[136:137], v[160:161], v[136:137], -v[138:139]
	v_add_f64_e32 v[138:139], v[156:157], v[192:193]
	v_add_f64_e32 v[156:157], v[158:159], v[188:189]
	s_wait_loadcnt_dscnt 0x800
	v_mul_f64_e32 v[158:159], v[144:145], v[142:143]
	v_mul_f64_e32 v[142:143], v[146:147], v[142:143]
	v_fmac_f64_e32 v[184:185], v[6:7], v[152:153]
	v_fma_f64 v[152:153], v[4:5], v[152:153], -v[154:155]
	v_add_f64_e32 v[154:155], v[138:139], v[136:137]
	v_add_f64_e32 v[156:157], v[156:157], v[186:187]
	ds_load_b128 v[4:7], v2 offset:1696
	ds_load_b128 v[136:139], v2 offset:1712
	v_fmac_f64_e32 v[158:159], v[146:147], v[140:141]
	v_fma_f64 v[140:141], v[144:145], v[140:141], -v[142:143]
	s_wait_loadcnt_dscnt 0x701
	v_mul_f64_e32 v[160:161], v[4:5], v[166:167]
	v_mul_f64_e32 v[162:163], v[6:7], v[166:167]
	s_wait_loadcnt_dscnt 0x600
	v_mul_f64_e32 v[146:147], v[136:137], v[150:151]
	v_mul_f64_e32 v[150:151], v[138:139], v[150:151]
	v_add_f64_e32 v[142:143], v[154:155], v[152:153]
	v_add_f64_e32 v[144:145], v[156:157], v[184:185]
	v_fmac_f64_e32 v[160:161], v[6:7], v[164:165]
	v_fma_f64 v[152:153], v[4:5], v[164:165], -v[162:163]
	v_fmac_f64_e32 v[146:147], v[138:139], v[148:149]
	v_fma_f64 v[136:137], v[136:137], v[148:149], -v[150:151]
	v_add_f64_e32 v[154:155], v[142:143], v[140:141]
	v_add_f64_e32 v[144:145], v[144:145], v[158:159]
	ds_load_b128 v[4:7], v2 offset:1728
	ds_load_b128 v[140:143], v2 offset:1744
	s_wait_loadcnt_dscnt 0x501
	v_mul_f64_e32 v[156:157], v[4:5], v[182:183]
	v_mul_f64_e32 v[158:159], v[6:7], v[182:183]
	s_wait_loadcnt_dscnt 0x400
	v_mul_f64_e32 v[148:149], v[140:141], v[10:11]
	v_mul_f64_e32 v[10:11], v[142:143], v[10:11]
	v_add_f64_e32 v[138:139], v[154:155], v[152:153]
	v_add_f64_e32 v[144:145], v[144:145], v[160:161]
	v_fmac_f64_e32 v[156:157], v[6:7], v[180:181]
	v_fma_f64 v[150:151], v[4:5], v[180:181], -v[158:159]
	v_fmac_f64_e32 v[148:149], v[142:143], v[8:9]
	v_fma_f64 v[8:9], v[140:141], v[8:9], -v[10:11]
	v_add_f64_e32 v[152:153], v[138:139], v[136:137]
	v_add_f64_e32 v[144:145], v[144:145], v[146:147]
	ds_load_b128 v[4:7], v2 offset:1760
	ds_load_b128 v[136:139], v2 offset:1776
	;; [unrolled: 16-line block ×3, first 2 shown]
	s_wait_loadcnt_dscnt 0x101
	v_mul_f64_e32 v[2:3], v[4:5], v[178:179]
	v_mul_f64_e32 v[148:149], v[6:7], v[178:179]
	s_wait_loadcnt_dscnt 0x0
	v_mul_f64_e32 v[138:139], v[8:9], v[130:131]
	v_mul_f64_e32 v[130:131], v[10:11], v[130:131]
	v_add_f64_e32 v[134:135], v[150:151], v[144:145]
	v_add_f64_e32 v[136:137], v[140:141], v[146:147]
	v_fmac_f64_e32 v[2:3], v[6:7], v[176:177]
	v_fma_f64 v[4:5], v[4:5], v[176:177], -v[148:149]
	v_fmac_f64_e32 v[138:139], v[10:11], v[128:129]
	v_fma_f64 v[8:9], v[8:9], v[128:129], -v[130:131]
	v_add_f64_e32 v[6:7], v[134:135], v[132:133]
	v_add_f64_e32 v[132:133], v[136:137], v[142:143]
	s_delay_alu instid0(VALU_DEP_2) | instskip(NEXT) | instid1(VALU_DEP_2)
	v_add_f64_e32 v[4:5], v[6:7], v[4:5]
	v_add_f64_e32 v[2:3], v[132:133], v[2:3]
	s_delay_alu instid0(VALU_DEP_2) | instskip(NEXT) | instid1(VALU_DEP_2)
	;; [unrolled: 3-line block ×3, first 2 shown]
	v_add_f64_e64 v[2:3], v[172:173], -v[4:5]
	v_add_f64_e64 v[4:5], v[174:175], -v[6:7]
	scratch_store_b128 off, v[2:5], off offset:416
	s_wait_xcnt 0x0
	v_cmpx_lt_u32_e32 25, v1
	s_cbranch_execz .LBB56_305
; %bb.304:
	scratch_load_b128 v[2:5], off, s44
	v_mov_b32_e32 v6, 0
	s_delay_alu instid0(VALU_DEP_1)
	v_dual_mov_b32 v7, v6 :: v_dual_mov_b32 v8, v6
	v_mov_b32_e32 v9, v6
	scratch_store_b128 off, v[6:9], off offset:400
	s_wait_loadcnt 0x0
	ds_store_b128 v12, v[2:5]
.LBB56_305:
	s_wait_xcnt 0x0
	s_or_b32 exec_lo, exec_lo, s2
	s_wait_storecnt_dscnt 0x0
	s_barrier_signal -1
	s_barrier_wait -1
	s_clause 0x9
	scratch_load_b128 v[4:7], off, off offset:416
	scratch_load_b128 v[8:11], off, off offset:432
	;; [unrolled: 1-line block ×10, first 2 shown]
	v_mov_b32_e32 v2, 0
	s_mov_b32 s2, exec_lo
	ds_load_b128 v[160:163], v2 offset:1328
	s_clause 0x2
	scratch_load_b128 v[164:167], off, off offset:576
	scratch_load_b128 v[168:171], off, off offset:400
	scratch_load_b128 v[176:179], off, off offset:592
	s_wait_loadcnt_dscnt 0xc00
	v_mul_f64_e32 v[180:181], v[162:163], v[6:7]
	v_mul_f64_e32 v[184:185], v[160:161], v[6:7]
	ds_load_b128 v[172:175], v2 offset:1344
	v_fma_f64 v[188:189], v[160:161], v[4:5], -v[180:181]
	v_fmac_f64_e32 v[184:185], v[162:163], v[4:5]
	ds_load_b128 v[4:7], v2 offset:1360
	s_wait_loadcnt_dscnt 0xb01
	v_mul_f64_e32 v[186:187], v[172:173], v[10:11]
	v_mul_f64_e32 v[10:11], v[174:175], v[10:11]
	scratch_load_b128 v[160:163], off, off offset:608
	ds_load_b128 v[180:183], v2 offset:1376
	s_wait_loadcnt_dscnt 0xb01
	v_mul_f64_e32 v[190:191], v[4:5], v[130:131]
	v_mul_f64_e32 v[130:131], v[6:7], v[130:131]
	v_add_f64_e32 v[184:185], 0, v[184:185]
	v_fmac_f64_e32 v[186:187], v[174:175], v[8:9]
	v_fma_f64 v[172:173], v[172:173], v[8:9], -v[10:11]
	v_add_f64_e32 v[174:175], 0, v[188:189]
	scratch_load_b128 v[8:11], off, off offset:624
	v_fmac_f64_e32 v[190:191], v[6:7], v[128:129]
	v_fma_f64 v[192:193], v[4:5], v[128:129], -v[130:131]
	ds_load_b128 v[4:7], v2 offset:1392
	s_wait_loadcnt_dscnt 0xb01
	v_mul_f64_e32 v[188:189], v[180:181], v[134:135]
	v_mul_f64_e32 v[134:135], v[182:183], v[134:135]
	scratch_load_b128 v[128:131], off, off offset:640
	v_add_f64_e32 v[184:185], v[184:185], v[186:187]
	v_add_f64_e32 v[194:195], v[174:175], v[172:173]
	ds_load_b128 v[172:175], v2 offset:1408
	s_wait_loadcnt_dscnt 0xb01
	v_mul_f64_e32 v[186:187], v[4:5], v[138:139]
	v_mul_f64_e32 v[138:139], v[6:7], v[138:139]
	v_fmac_f64_e32 v[188:189], v[182:183], v[132:133]
	v_fma_f64 v[180:181], v[180:181], v[132:133], -v[134:135]
	scratch_load_b128 v[132:135], off, off offset:656
	v_add_f64_e32 v[184:185], v[184:185], v[190:191]
	v_add_f64_e32 v[182:183], v[194:195], v[192:193]
	v_fmac_f64_e32 v[186:187], v[6:7], v[136:137]
	v_fma_f64 v[192:193], v[4:5], v[136:137], -v[138:139]
	ds_load_b128 v[4:7], v2 offset:1424
	s_wait_loadcnt_dscnt 0xb01
	v_mul_f64_e32 v[190:191], v[172:173], v[142:143]
	v_mul_f64_e32 v[142:143], v[174:175], v[142:143]
	scratch_load_b128 v[136:139], off, off offset:672
	v_add_f64_e32 v[184:185], v[184:185], v[188:189]
	s_wait_loadcnt_dscnt 0xb00
	v_mul_f64_e32 v[188:189], v[4:5], v[146:147]
	v_add_f64_e32 v[194:195], v[182:183], v[180:181]
	v_mul_f64_e32 v[146:147], v[6:7], v[146:147]
	ds_load_b128 v[180:183], v2 offset:1440
	v_fmac_f64_e32 v[190:191], v[174:175], v[140:141]
	v_fma_f64 v[172:173], v[172:173], v[140:141], -v[142:143]
	scratch_load_b128 v[140:143], off, off offset:688
	v_add_f64_e32 v[184:185], v[184:185], v[186:187]
	v_fmac_f64_e32 v[188:189], v[6:7], v[144:145]
	v_add_f64_e32 v[174:175], v[194:195], v[192:193]
	v_fma_f64 v[192:193], v[4:5], v[144:145], -v[146:147]
	ds_load_b128 v[4:7], v2 offset:1456
	s_wait_loadcnt_dscnt 0xb01
	v_mul_f64_e32 v[186:187], v[180:181], v[150:151]
	v_mul_f64_e32 v[150:151], v[182:183], v[150:151]
	scratch_load_b128 v[144:147], off, off offset:704
	v_add_f64_e32 v[184:185], v[184:185], v[190:191]
	s_wait_loadcnt_dscnt 0xb00
	v_mul_f64_e32 v[190:191], v[4:5], v[154:155]
	v_add_f64_e32 v[194:195], v[174:175], v[172:173]
	v_mul_f64_e32 v[154:155], v[6:7], v[154:155]
	ds_load_b128 v[172:175], v2 offset:1472
	v_fmac_f64_e32 v[186:187], v[182:183], v[148:149]
	v_fma_f64 v[180:181], v[180:181], v[148:149], -v[150:151]
	scratch_load_b128 v[148:151], off, off offset:720
	v_add_f64_e32 v[184:185], v[184:185], v[188:189]
	v_fmac_f64_e32 v[190:191], v[6:7], v[152:153]
	v_add_f64_e32 v[182:183], v[194:195], v[192:193]
	;; [unrolled: 18-line block ×3, first 2 shown]
	v_fma_f64 v[192:193], v[4:5], v[164:165], -v[166:167]
	ds_load_b128 v[4:7], v2 offset:1520
	s_wait_loadcnt_dscnt 0xa01
	v_mul_f64_e32 v[190:191], v[180:181], v[178:179]
	v_mul_f64_e32 v[178:179], v[182:183], v[178:179]
	scratch_load_b128 v[164:167], off, off offset:768
	v_add_f64_e32 v[184:185], v[184:185], v[188:189]
	v_add_f64_e32 v[194:195], v[174:175], v[172:173]
	s_wait_loadcnt_dscnt 0xa00
	v_mul_f64_e32 v[188:189], v[4:5], v[162:163]
	v_mul_f64_e32 v[162:163], v[6:7], v[162:163]
	v_fmac_f64_e32 v[190:191], v[182:183], v[176:177]
	v_fma_f64 v[180:181], v[180:181], v[176:177], -v[178:179]
	ds_load_b128 v[172:175], v2 offset:1536
	scratch_load_b128 v[176:179], off, off offset:784
	v_add_f64_e32 v[184:185], v[184:185], v[186:187]
	v_add_f64_e32 v[182:183], v[194:195], v[192:193]
	v_fmac_f64_e32 v[188:189], v[6:7], v[160:161]
	v_fma_f64 v[192:193], v[4:5], v[160:161], -v[162:163]
	ds_load_b128 v[4:7], v2 offset:1552
	s_wait_loadcnt_dscnt 0xa01
	v_mul_f64_e32 v[186:187], v[172:173], v[10:11]
	v_mul_f64_e32 v[10:11], v[174:175], v[10:11]
	scratch_load_b128 v[160:163], off, off offset:800
	v_add_f64_e32 v[184:185], v[184:185], v[190:191]
	s_wait_loadcnt_dscnt 0xa00
	v_mul_f64_e32 v[190:191], v[4:5], v[130:131]
	v_add_f64_e32 v[194:195], v[182:183], v[180:181]
	v_mul_f64_e32 v[130:131], v[6:7], v[130:131]
	ds_load_b128 v[180:183], v2 offset:1568
	v_fmac_f64_e32 v[186:187], v[174:175], v[8:9]
	v_fma_f64 v[172:173], v[172:173], v[8:9], -v[10:11]
	scratch_load_b128 v[8:11], off, off offset:816
	v_add_f64_e32 v[184:185], v[184:185], v[188:189]
	v_fmac_f64_e32 v[190:191], v[6:7], v[128:129]
	v_add_f64_e32 v[174:175], v[194:195], v[192:193]
	v_fma_f64 v[192:193], v[4:5], v[128:129], -v[130:131]
	ds_load_b128 v[4:7], v2 offset:1584
	s_wait_loadcnt_dscnt 0xa01
	v_mul_f64_e32 v[188:189], v[180:181], v[134:135]
	v_mul_f64_e32 v[134:135], v[182:183], v[134:135]
	scratch_load_b128 v[128:131], off, off offset:832
	v_add_f64_e32 v[184:185], v[184:185], v[186:187]
	s_wait_loadcnt_dscnt 0xa00
	v_mul_f64_e32 v[186:187], v[4:5], v[138:139]
	v_add_f64_e32 v[194:195], v[174:175], v[172:173]
	v_mul_f64_e32 v[138:139], v[6:7], v[138:139]
	ds_load_b128 v[172:175], v2 offset:1600
	v_fmac_f64_e32 v[188:189], v[182:183], v[132:133]
	v_fma_f64 v[180:181], v[180:181], v[132:133], -v[134:135]
	scratch_load_b128 v[132:135], off, off offset:848
	v_add_f64_e32 v[184:185], v[184:185], v[190:191]
	v_fmac_f64_e32 v[186:187], v[6:7], v[136:137]
	v_add_f64_e32 v[182:183], v[194:195], v[192:193]
	;; [unrolled: 18-line block ×3, first 2 shown]
	v_fma_f64 v[192:193], v[4:5], v[144:145], -v[146:147]
	ds_load_b128 v[4:7], v2 offset:1648
	s_wait_loadcnt_dscnt 0xa01
	v_mul_f64_e32 v[186:187], v[180:181], v[150:151]
	v_mul_f64_e32 v[150:151], v[182:183], v[150:151]
	scratch_load_b128 v[144:147], off, off offset:896
	v_add_f64_e32 v[184:185], v[184:185], v[190:191]
	s_wait_loadcnt_dscnt 0xa00
	v_mul_f64_e32 v[190:191], v[4:5], v[154:155]
	v_add_f64_e32 v[194:195], v[174:175], v[172:173]
	v_mul_f64_e32 v[154:155], v[6:7], v[154:155]
	ds_load_b128 v[172:175], v2 offset:1664
	v_fmac_f64_e32 v[186:187], v[182:183], v[148:149]
	v_fma_f64 v[148:149], v[180:181], v[148:149], -v[150:151]
	s_wait_loadcnt_dscnt 0x900
	v_mul_f64_e32 v[182:183], v[172:173], v[158:159]
	v_mul_f64_e32 v[158:159], v[174:175], v[158:159]
	v_add_f64_e32 v[180:181], v[184:185], v[188:189]
	v_fmac_f64_e32 v[190:191], v[6:7], v[152:153]
	v_add_f64_e32 v[150:151], v[194:195], v[192:193]
	v_fma_f64 v[152:153], v[4:5], v[152:153], -v[154:155]
	v_fmac_f64_e32 v[182:183], v[174:175], v[156:157]
	v_fma_f64 v[156:157], v[172:173], v[156:157], -v[158:159]
	v_add_f64_e32 v[180:181], v[180:181], v[186:187]
	v_add_f64_e32 v[154:155], v[150:151], v[148:149]
	ds_load_b128 v[4:7], v2 offset:1680
	ds_load_b128 v[148:151], v2 offset:1696
	s_wait_loadcnt_dscnt 0x801
	v_mul_f64_e32 v[184:185], v[4:5], v[166:167]
	v_mul_f64_e32 v[166:167], v[6:7], v[166:167]
	s_wait_loadcnt_dscnt 0x700
	v_mul_f64_e32 v[158:159], v[148:149], v[178:179]
	v_mul_f64_e32 v[172:173], v[150:151], v[178:179]
	v_add_f64_e32 v[152:153], v[154:155], v[152:153]
	v_add_f64_e32 v[154:155], v[180:181], v[190:191]
	v_fmac_f64_e32 v[184:185], v[6:7], v[164:165]
	v_fma_f64 v[164:165], v[4:5], v[164:165], -v[166:167]
	v_fmac_f64_e32 v[158:159], v[150:151], v[176:177]
	v_fma_f64 v[148:149], v[148:149], v[176:177], -v[172:173]
	v_add_f64_e32 v[156:157], v[152:153], v[156:157]
	v_add_f64_e32 v[166:167], v[154:155], v[182:183]
	ds_load_b128 v[4:7], v2 offset:1712
	ds_load_b128 v[152:155], v2 offset:1728
	s_wait_loadcnt_dscnt 0x601
	v_mul_f64_e32 v[174:175], v[4:5], v[162:163]
	v_mul_f64_e32 v[162:163], v[6:7], v[162:163]
	v_add_f64_e32 v[150:151], v[156:157], v[164:165]
	v_add_f64_e32 v[156:157], v[166:167], v[184:185]
	s_wait_loadcnt_dscnt 0x500
	v_mul_f64_e32 v[164:165], v[152:153], v[10:11]
	v_mul_f64_e32 v[10:11], v[154:155], v[10:11]
	v_fmac_f64_e32 v[174:175], v[6:7], v[160:161]
	v_fma_f64 v[160:161], v[4:5], v[160:161], -v[162:163]
	v_add_f64_e32 v[162:163], v[150:151], v[148:149]
	v_add_f64_e32 v[156:157], v[156:157], v[158:159]
	ds_load_b128 v[4:7], v2 offset:1744
	ds_load_b128 v[148:151], v2 offset:1760
	v_fmac_f64_e32 v[164:165], v[154:155], v[8:9]
	v_fma_f64 v[8:9], v[152:153], v[8:9], -v[10:11]
	s_wait_loadcnt_dscnt 0x401
	v_mul_f64_e32 v[158:159], v[4:5], v[130:131]
	v_mul_f64_e32 v[130:131], v[6:7], v[130:131]
	s_wait_loadcnt_dscnt 0x300
	v_mul_f64_e32 v[154:155], v[148:149], v[134:135]
	v_mul_f64_e32 v[134:135], v[150:151], v[134:135]
	v_add_f64_e32 v[10:11], v[162:163], v[160:161]
	v_add_f64_e32 v[152:153], v[156:157], v[174:175]
	v_fmac_f64_e32 v[158:159], v[6:7], v[128:129]
	v_fma_f64 v[128:129], v[4:5], v[128:129], -v[130:131]
	v_fmac_f64_e32 v[154:155], v[150:151], v[132:133]
	v_fma_f64 v[132:133], v[148:149], v[132:133], -v[134:135]
	v_add_f64_e32 v[130:131], v[10:11], v[8:9]
	v_add_f64_e32 v[152:153], v[152:153], v[164:165]
	ds_load_b128 v[4:7], v2 offset:1776
	ds_load_b128 v[8:11], v2 offset:1792
	s_wait_loadcnt_dscnt 0x201
	v_mul_f64_e32 v[156:157], v[4:5], v[138:139]
	v_mul_f64_e32 v[138:139], v[6:7], v[138:139]
	s_wait_loadcnt_dscnt 0x100
	v_mul_f64_e32 v[134:135], v[8:9], v[142:143]
	v_mul_f64_e32 v[142:143], v[10:11], v[142:143]
	v_add_f64_e32 v[128:129], v[130:131], v[128:129]
	v_add_f64_e32 v[130:131], v[152:153], v[158:159]
	v_fmac_f64_e32 v[156:157], v[6:7], v[136:137]
	v_fma_f64 v[136:137], v[4:5], v[136:137], -v[138:139]
	ds_load_b128 v[4:7], v2 offset:1808
	v_fmac_f64_e32 v[134:135], v[10:11], v[140:141]
	v_fma_f64 v[8:9], v[8:9], v[140:141], -v[142:143]
	v_add_f64_e32 v[128:129], v[128:129], v[132:133]
	v_add_f64_e32 v[130:131], v[130:131], v[154:155]
	s_wait_loadcnt_dscnt 0x0
	v_mul_f64_e32 v[132:133], v[4:5], v[146:147]
	v_mul_f64_e32 v[138:139], v[6:7], v[146:147]
	s_delay_alu instid0(VALU_DEP_4) | instskip(NEXT) | instid1(VALU_DEP_4)
	v_add_f64_e32 v[10:11], v[128:129], v[136:137]
	v_add_f64_e32 v[128:129], v[130:131], v[156:157]
	s_delay_alu instid0(VALU_DEP_4) | instskip(NEXT) | instid1(VALU_DEP_4)
	v_fmac_f64_e32 v[132:133], v[6:7], v[144:145]
	v_fma_f64 v[4:5], v[4:5], v[144:145], -v[138:139]
	s_delay_alu instid0(VALU_DEP_4) | instskip(NEXT) | instid1(VALU_DEP_4)
	v_add_f64_e32 v[6:7], v[10:11], v[8:9]
	v_add_f64_e32 v[8:9], v[128:129], v[134:135]
	s_delay_alu instid0(VALU_DEP_2) | instskip(NEXT) | instid1(VALU_DEP_2)
	v_add_f64_e32 v[4:5], v[6:7], v[4:5]
	v_add_f64_e32 v[6:7], v[8:9], v[132:133]
	s_delay_alu instid0(VALU_DEP_2) | instskip(NEXT) | instid1(VALU_DEP_2)
	v_add_f64_e64 v[4:5], v[168:169], -v[4:5]
	v_add_f64_e64 v[6:7], v[170:171], -v[6:7]
	scratch_store_b128 off, v[4:7], off offset:400
	s_wait_xcnt 0x0
	v_cmpx_lt_u32_e32 24, v1
	s_cbranch_execz .LBB56_307
; %bb.306:
	scratch_load_b128 v[6:9], off, s42
	v_dual_mov_b32 v3, v2 :: v_dual_mov_b32 v4, v2
	v_mov_b32_e32 v5, v2
	scratch_store_b128 off, v[2:5], off offset:384
	s_wait_loadcnt 0x0
	ds_store_b128 v12, v[6:9]
.LBB56_307:
	s_wait_xcnt 0x0
	s_or_b32 exec_lo, exec_lo, s2
	s_wait_storecnt_dscnt 0x0
	s_barrier_signal -1
	s_barrier_wait -1
	s_clause 0x9
	scratch_load_b128 v[4:7], off, off offset:400
	scratch_load_b128 v[8:11], off, off offset:416
	;; [unrolled: 1-line block ×10, first 2 shown]
	ds_load_b128 v[160:163], v2 offset:1312
	ds_load_b128 v[168:171], v2 offset:1328
	s_clause 0x2
	scratch_load_b128 v[164:167], off, off offset:560
	scratch_load_b128 v[172:175], off, off offset:384
	;; [unrolled: 1-line block ×3, first 2 shown]
	s_mov_b32 s2, exec_lo
	s_wait_loadcnt_dscnt 0xc01
	v_mul_f64_e32 v[180:181], v[162:163], v[6:7]
	v_mul_f64_e32 v[184:185], v[160:161], v[6:7]
	s_wait_loadcnt_dscnt 0xb00
	v_mul_f64_e32 v[186:187], v[168:169], v[10:11]
	v_mul_f64_e32 v[10:11], v[170:171], v[10:11]
	s_delay_alu instid0(VALU_DEP_4) | instskip(NEXT) | instid1(VALU_DEP_4)
	v_fma_f64 v[188:189], v[160:161], v[4:5], -v[180:181]
	v_fmac_f64_e32 v[184:185], v[162:163], v[4:5]
	ds_load_b128 v[4:7], v2 offset:1344
	ds_load_b128 v[160:163], v2 offset:1360
	scratch_load_b128 v[180:183], off, off offset:592
	v_fmac_f64_e32 v[186:187], v[170:171], v[8:9]
	v_fma_f64 v[168:169], v[168:169], v[8:9], -v[10:11]
	scratch_load_b128 v[8:11], off, off offset:608
	s_wait_loadcnt_dscnt 0xc01
	v_mul_f64_e32 v[190:191], v[4:5], v[130:131]
	v_mul_f64_e32 v[130:131], v[6:7], v[130:131]
	v_add_f64_e32 v[170:171], 0, v[188:189]
	v_add_f64_e32 v[184:185], 0, v[184:185]
	s_wait_loadcnt_dscnt 0xb00
	v_mul_f64_e32 v[188:189], v[160:161], v[134:135]
	v_mul_f64_e32 v[134:135], v[162:163], v[134:135]
	v_fmac_f64_e32 v[190:191], v[6:7], v[128:129]
	v_fma_f64 v[192:193], v[4:5], v[128:129], -v[130:131]
	ds_load_b128 v[4:7], v2 offset:1376
	ds_load_b128 v[128:131], v2 offset:1392
	v_add_f64_e32 v[194:195], v[170:171], v[168:169]
	v_add_f64_e32 v[184:185], v[184:185], v[186:187]
	scratch_load_b128 v[168:171], off, off offset:624
	v_fmac_f64_e32 v[188:189], v[162:163], v[132:133]
	v_fma_f64 v[160:161], v[160:161], v[132:133], -v[134:135]
	scratch_load_b128 v[132:135], off, off offset:640
	s_wait_loadcnt_dscnt 0xc01
	v_mul_f64_e32 v[186:187], v[4:5], v[138:139]
	v_mul_f64_e32 v[138:139], v[6:7], v[138:139]
	v_add_f64_e32 v[162:163], v[194:195], v[192:193]
	v_add_f64_e32 v[184:185], v[184:185], v[190:191]
	s_wait_loadcnt_dscnt 0xb00
	v_mul_f64_e32 v[190:191], v[128:129], v[142:143]
	v_mul_f64_e32 v[142:143], v[130:131], v[142:143]
	v_fmac_f64_e32 v[186:187], v[6:7], v[136:137]
	v_fma_f64 v[192:193], v[4:5], v[136:137], -v[138:139]
	ds_load_b128 v[4:7], v2 offset:1408
	ds_load_b128 v[136:139], v2 offset:1424
	v_add_f64_e32 v[194:195], v[162:163], v[160:161]
	v_add_f64_e32 v[184:185], v[184:185], v[188:189]
	scratch_load_b128 v[160:163], off, off offset:656
	s_wait_loadcnt_dscnt 0xb01
	v_mul_f64_e32 v[188:189], v[4:5], v[146:147]
	v_mul_f64_e32 v[146:147], v[6:7], v[146:147]
	v_fmac_f64_e32 v[190:191], v[130:131], v[140:141]
	v_fma_f64 v[140:141], v[128:129], v[140:141], -v[142:143]
	scratch_load_b128 v[128:131], off, off offset:672
	v_add_f64_e32 v[142:143], v[194:195], v[192:193]
	v_add_f64_e32 v[184:185], v[184:185], v[186:187]
	s_wait_loadcnt_dscnt 0xb00
	v_mul_f64_e32 v[186:187], v[136:137], v[150:151]
	v_mul_f64_e32 v[150:151], v[138:139], v[150:151]
	v_fmac_f64_e32 v[188:189], v[6:7], v[144:145]
	v_fma_f64 v[192:193], v[4:5], v[144:145], -v[146:147]
	v_add_f64_e32 v[194:195], v[142:143], v[140:141]
	v_add_f64_e32 v[184:185], v[184:185], v[190:191]
	ds_load_b128 v[4:7], v2 offset:1440
	ds_load_b128 v[140:143], v2 offset:1456
	scratch_load_b128 v[144:147], off, off offset:688
	v_fmac_f64_e32 v[186:187], v[138:139], v[148:149]
	v_fma_f64 v[148:149], v[136:137], v[148:149], -v[150:151]
	scratch_load_b128 v[136:139], off, off offset:704
	s_wait_loadcnt_dscnt 0xc01
	v_mul_f64_e32 v[190:191], v[4:5], v[154:155]
	v_mul_f64_e32 v[154:155], v[6:7], v[154:155]
	v_add_f64_e32 v[150:151], v[194:195], v[192:193]
	v_add_f64_e32 v[184:185], v[184:185], v[188:189]
	s_wait_loadcnt_dscnt 0xb00
	v_mul_f64_e32 v[188:189], v[140:141], v[158:159]
	v_mul_f64_e32 v[158:159], v[142:143], v[158:159]
	v_fmac_f64_e32 v[190:191], v[6:7], v[152:153]
	v_fma_f64 v[192:193], v[4:5], v[152:153], -v[154:155]
	v_add_f64_e32 v[194:195], v[150:151], v[148:149]
	v_add_f64_e32 v[184:185], v[184:185], v[186:187]
	ds_load_b128 v[4:7], v2 offset:1472
	ds_load_b128 v[148:151], v2 offset:1488
	scratch_load_b128 v[152:155], off, off offset:720
	v_fmac_f64_e32 v[188:189], v[142:143], v[156:157]
	v_fma_f64 v[156:157], v[140:141], v[156:157], -v[158:159]
	scratch_load_b128 v[140:143], off, off offset:736
	s_wait_loadcnt_dscnt 0xc01
	v_mul_f64_e32 v[186:187], v[4:5], v[166:167]
	v_mul_f64_e32 v[166:167], v[6:7], v[166:167]
	;; [unrolled: 18-line block ×5, first 2 shown]
	v_add_f64_e32 v[178:179], v[194:195], v[192:193]
	v_add_f64_e32 v[184:185], v[184:185], v[190:191]
	s_wait_loadcnt_dscnt 0xa00
	v_mul_f64_e32 v[190:191], v[156:157], v[130:131]
	v_mul_f64_e32 v[130:131], v[158:159], v[130:131]
	v_fmac_f64_e32 v[186:187], v[6:7], v[160:161]
	v_fma_f64 v[192:193], v[4:5], v[160:161], -v[162:163]
	ds_load_b128 v[4:7], v2 offset:1600
	ds_load_b128 v[160:163], v2 offset:1616
	v_add_f64_e32 v[194:195], v[178:179], v[176:177]
	v_add_f64_e32 v[184:185], v[184:185], v[188:189]
	scratch_load_b128 v[176:179], off, off offset:848
	v_fmac_f64_e32 v[190:191], v[158:159], v[128:129]
	v_fma_f64 v[156:157], v[156:157], v[128:129], -v[130:131]
	scratch_load_b128 v[128:131], off, off offset:864
	s_wait_loadcnt_dscnt 0xb01
	v_mul_f64_e32 v[188:189], v[4:5], v[146:147]
	v_mul_f64_e32 v[146:147], v[6:7], v[146:147]
	v_add_f64_e32 v[158:159], v[194:195], v[192:193]
	v_add_f64_e32 v[184:185], v[184:185], v[186:187]
	s_wait_loadcnt_dscnt 0xa00
	v_mul_f64_e32 v[186:187], v[160:161], v[138:139]
	v_mul_f64_e32 v[138:139], v[162:163], v[138:139]
	v_fmac_f64_e32 v[188:189], v[6:7], v[144:145]
	v_fma_f64 v[192:193], v[4:5], v[144:145], -v[146:147]
	ds_load_b128 v[4:7], v2 offset:1632
	ds_load_b128 v[144:147], v2 offset:1648
	v_add_f64_e32 v[194:195], v[158:159], v[156:157]
	v_add_f64_e32 v[184:185], v[184:185], v[190:191]
	scratch_load_b128 v[156:159], off, off offset:880
	s_wait_loadcnt_dscnt 0xa01
	v_mul_f64_e32 v[190:191], v[4:5], v[154:155]
	v_mul_f64_e32 v[154:155], v[6:7], v[154:155]
	v_fmac_f64_e32 v[186:187], v[162:163], v[136:137]
	v_fma_f64 v[160:161], v[160:161], v[136:137], -v[138:139]
	scratch_load_b128 v[136:139], off, off offset:896
	v_add_f64_e32 v[162:163], v[194:195], v[192:193]
	v_add_f64_e32 v[184:185], v[184:185], v[188:189]
	s_wait_loadcnt_dscnt 0xa00
	v_mul_f64_e32 v[188:189], v[144:145], v[142:143]
	v_mul_f64_e32 v[142:143], v[146:147], v[142:143]
	v_fmac_f64_e32 v[190:191], v[6:7], v[152:153]
	v_fma_f64 v[192:193], v[4:5], v[152:153], -v[154:155]
	ds_load_b128 v[4:7], v2 offset:1664
	ds_load_b128 v[152:155], v2 offset:1680
	v_add_f64_e32 v[160:161], v[162:163], v[160:161]
	v_add_f64_e32 v[162:163], v[184:185], v[186:187]
	v_fmac_f64_e32 v[188:189], v[146:147], v[140:141]
	s_wait_loadcnt_dscnt 0x901
	v_mul_f64_e32 v[184:185], v[4:5], v[166:167]
	v_mul_f64_e32 v[166:167], v[6:7], v[166:167]
	v_fma_f64 v[140:141], v[144:145], v[140:141], -v[142:143]
	s_wait_loadcnt_dscnt 0x800
	v_mul_f64_e32 v[146:147], v[152:153], v[150:151]
	v_mul_f64_e32 v[150:151], v[154:155], v[150:151]
	v_add_f64_e32 v[142:143], v[160:161], v[192:193]
	v_add_f64_e32 v[144:145], v[162:163], v[190:191]
	v_fmac_f64_e32 v[184:185], v[6:7], v[164:165]
	v_fma_f64 v[160:161], v[4:5], v[164:165], -v[166:167]
	v_fmac_f64_e32 v[146:147], v[154:155], v[148:149]
	v_fma_f64 v[148:149], v[152:153], v[148:149], -v[150:151]
	v_add_f64_e32 v[162:163], v[142:143], v[140:141]
	v_add_f64_e32 v[144:145], v[144:145], v[188:189]
	ds_load_b128 v[4:7], v2 offset:1696
	ds_load_b128 v[140:143], v2 offset:1712
	s_wait_loadcnt_dscnt 0x701
	v_mul_f64_e32 v[164:165], v[4:5], v[182:183]
	v_mul_f64_e32 v[166:167], v[6:7], v[182:183]
	s_wait_loadcnt_dscnt 0x600
	v_mul_f64_e32 v[152:153], v[140:141], v[10:11]
	v_mul_f64_e32 v[10:11], v[142:143], v[10:11]
	v_add_f64_e32 v[150:151], v[162:163], v[160:161]
	v_add_f64_e32 v[144:145], v[144:145], v[184:185]
	v_fmac_f64_e32 v[164:165], v[6:7], v[180:181]
	v_fma_f64 v[154:155], v[4:5], v[180:181], -v[166:167]
	v_fmac_f64_e32 v[152:153], v[142:143], v[8:9]
	v_fma_f64 v[8:9], v[140:141], v[8:9], -v[10:11]
	v_add_f64_e32 v[148:149], v[150:151], v[148:149]
	v_add_f64_e32 v[150:151], v[144:145], v[146:147]
	ds_load_b128 v[4:7], v2 offset:1728
	ds_load_b128 v[144:147], v2 offset:1744
	s_wait_loadcnt_dscnt 0x501
	v_mul_f64_e32 v[160:161], v[4:5], v[170:171]
	v_mul_f64_e32 v[162:163], v[6:7], v[170:171]
	;; [unrolled: 16-line block ×4, first 2 shown]
	v_add_f64_e32 v[10:11], v[134:135], v[148:149]
	v_add_f64_e32 v[128:129], v[140:141], v[152:153]
	s_wait_loadcnt_dscnt 0x0
	v_mul_f64_e32 v[134:135], v[130:131], v[138:139]
	v_mul_f64_e32 v[138:139], v[132:133], v[138:139]
	v_fmac_f64_e32 v[2:3], v[6:7], v[156:157]
	v_fma_f64 v[4:5], v[4:5], v[156:157], -v[142:143]
	v_add_f64_e32 v[6:7], v[10:11], v[8:9]
	v_add_f64_e32 v[8:9], v[128:129], v[144:145]
	v_fmac_f64_e32 v[134:135], v[132:133], v[136:137]
	v_fma_f64 v[10:11], v[130:131], v[136:137], -v[138:139]
	s_delay_alu instid0(VALU_DEP_4) | instskip(NEXT) | instid1(VALU_DEP_4)
	v_add_f64_e32 v[4:5], v[6:7], v[4:5]
	v_add_f64_e32 v[2:3], v[8:9], v[2:3]
	s_delay_alu instid0(VALU_DEP_2) | instskip(NEXT) | instid1(VALU_DEP_2)
	v_add_f64_e32 v[4:5], v[4:5], v[10:11]
	v_add_f64_e32 v[6:7], v[2:3], v[134:135]
	s_delay_alu instid0(VALU_DEP_2) | instskip(NEXT) | instid1(VALU_DEP_2)
	v_add_f64_e64 v[2:3], v[172:173], -v[4:5]
	v_add_f64_e64 v[4:5], v[174:175], -v[6:7]
	scratch_store_b128 off, v[2:5], off offset:384
	s_wait_xcnt 0x0
	v_cmpx_lt_u32_e32 23, v1
	s_cbranch_execz .LBB56_309
; %bb.308:
	scratch_load_b128 v[2:5], off, s40
	v_mov_b32_e32 v6, 0
	s_delay_alu instid0(VALU_DEP_1)
	v_dual_mov_b32 v7, v6 :: v_dual_mov_b32 v8, v6
	v_mov_b32_e32 v9, v6
	scratch_store_b128 off, v[6:9], off offset:368
	s_wait_loadcnt 0x0
	ds_store_b128 v12, v[2:5]
.LBB56_309:
	s_wait_xcnt 0x0
	s_or_b32 exec_lo, exec_lo, s2
	s_wait_storecnt_dscnt 0x0
	s_barrier_signal -1
	s_barrier_wait -1
	s_clause 0x9
	scratch_load_b128 v[4:7], off, off offset:384
	scratch_load_b128 v[8:11], off, off offset:400
	;; [unrolled: 1-line block ×10, first 2 shown]
	v_mov_b32_e32 v2, 0
	s_mov_b32 s2, exec_lo
	ds_load_b128 v[160:163], v2 offset:1296
	s_clause 0x2
	scratch_load_b128 v[164:167], off, off offset:544
	scratch_load_b128 v[168:171], off, off offset:368
	;; [unrolled: 1-line block ×3, first 2 shown]
	s_wait_loadcnt_dscnt 0xc00
	v_mul_f64_e32 v[180:181], v[162:163], v[6:7]
	v_mul_f64_e32 v[184:185], v[160:161], v[6:7]
	ds_load_b128 v[172:175], v2 offset:1312
	v_fma_f64 v[188:189], v[160:161], v[4:5], -v[180:181]
	v_fmac_f64_e32 v[184:185], v[162:163], v[4:5]
	ds_load_b128 v[4:7], v2 offset:1328
	s_wait_loadcnt_dscnt 0xb01
	v_mul_f64_e32 v[186:187], v[172:173], v[10:11]
	v_mul_f64_e32 v[10:11], v[174:175], v[10:11]
	scratch_load_b128 v[160:163], off, off offset:576
	ds_load_b128 v[180:183], v2 offset:1344
	s_wait_loadcnt_dscnt 0xb01
	v_mul_f64_e32 v[190:191], v[4:5], v[130:131]
	v_mul_f64_e32 v[130:131], v[6:7], v[130:131]
	v_add_f64_e32 v[184:185], 0, v[184:185]
	v_fmac_f64_e32 v[186:187], v[174:175], v[8:9]
	v_fma_f64 v[172:173], v[172:173], v[8:9], -v[10:11]
	v_add_f64_e32 v[174:175], 0, v[188:189]
	scratch_load_b128 v[8:11], off, off offset:592
	v_fmac_f64_e32 v[190:191], v[6:7], v[128:129]
	v_fma_f64 v[192:193], v[4:5], v[128:129], -v[130:131]
	ds_load_b128 v[4:7], v2 offset:1360
	s_wait_loadcnt_dscnt 0xb01
	v_mul_f64_e32 v[188:189], v[180:181], v[134:135]
	v_mul_f64_e32 v[134:135], v[182:183], v[134:135]
	scratch_load_b128 v[128:131], off, off offset:608
	v_add_f64_e32 v[184:185], v[184:185], v[186:187]
	v_add_f64_e32 v[194:195], v[174:175], v[172:173]
	ds_load_b128 v[172:175], v2 offset:1376
	s_wait_loadcnt_dscnt 0xb01
	v_mul_f64_e32 v[186:187], v[4:5], v[138:139]
	v_mul_f64_e32 v[138:139], v[6:7], v[138:139]
	v_fmac_f64_e32 v[188:189], v[182:183], v[132:133]
	v_fma_f64 v[180:181], v[180:181], v[132:133], -v[134:135]
	scratch_load_b128 v[132:135], off, off offset:624
	v_add_f64_e32 v[184:185], v[184:185], v[190:191]
	v_add_f64_e32 v[182:183], v[194:195], v[192:193]
	v_fmac_f64_e32 v[186:187], v[6:7], v[136:137]
	v_fma_f64 v[192:193], v[4:5], v[136:137], -v[138:139]
	ds_load_b128 v[4:7], v2 offset:1392
	s_wait_loadcnt_dscnt 0xb01
	v_mul_f64_e32 v[190:191], v[172:173], v[142:143]
	v_mul_f64_e32 v[142:143], v[174:175], v[142:143]
	scratch_load_b128 v[136:139], off, off offset:640
	v_add_f64_e32 v[184:185], v[184:185], v[188:189]
	s_wait_loadcnt_dscnt 0xb00
	v_mul_f64_e32 v[188:189], v[4:5], v[146:147]
	v_add_f64_e32 v[194:195], v[182:183], v[180:181]
	v_mul_f64_e32 v[146:147], v[6:7], v[146:147]
	ds_load_b128 v[180:183], v2 offset:1408
	v_fmac_f64_e32 v[190:191], v[174:175], v[140:141]
	v_fma_f64 v[172:173], v[172:173], v[140:141], -v[142:143]
	scratch_load_b128 v[140:143], off, off offset:656
	v_add_f64_e32 v[184:185], v[184:185], v[186:187]
	v_fmac_f64_e32 v[188:189], v[6:7], v[144:145]
	v_add_f64_e32 v[174:175], v[194:195], v[192:193]
	v_fma_f64 v[192:193], v[4:5], v[144:145], -v[146:147]
	ds_load_b128 v[4:7], v2 offset:1424
	s_wait_loadcnt_dscnt 0xb01
	v_mul_f64_e32 v[186:187], v[180:181], v[150:151]
	v_mul_f64_e32 v[150:151], v[182:183], v[150:151]
	scratch_load_b128 v[144:147], off, off offset:672
	v_add_f64_e32 v[184:185], v[184:185], v[190:191]
	s_wait_loadcnt_dscnt 0xb00
	v_mul_f64_e32 v[190:191], v[4:5], v[154:155]
	v_add_f64_e32 v[194:195], v[174:175], v[172:173]
	v_mul_f64_e32 v[154:155], v[6:7], v[154:155]
	ds_load_b128 v[172:175], v2 offset:1440
	v_fmac_f64_e32 v[186:187], v[182:183], v[148:149]
	v_fma_f64 v[180:181], v[180:181], v[148:149], -v[150:151]
	scratch_load_b128 v[148:151], off, off offset:688
	v_add_f64_e32 v[184:185], v[184:185], v[188:189]
	v_fmac_f64_e32 v[190:191], v[6:7], v[152:153]
	v_add_f64_e32 v[182:183], v[194:195], v[192:193]
	;; [unrolled: 18-line block ×3, first 2 shown]
	v_fma_f64 v[192:193], v[4:5], v[164:165], -v[166:167]
	ds_load_b128 v[4:7], v2 offset:1488
	s_wait_loadcnt_dscnt 0xa01
	v_mul_f64_e32 v[190:191], v[180:181], v[178:179]
	v_mul_f64_e32 v[178:179], v[182:183], v[178:179]
	scratch_load_b128 v[164:167], off, off offset:736
	v_add_f64_e32 v[184:185], v[184:185], v[188:189]
	v_add_f64_e32 v[194:195], v[174:175], v[172:173]
	s_wait_loadcnt_dscnt 0xa00
	v_mul_f64_e32 v[188:189], v[4:5], v[162:163]
	v_mul_f64_e32 v[162:163], v[6:7], v[162:163]
	v_fmac_f64_e32 v[190:191], v[182:183], v[176:177]
	v_fma_f64 v[180:181], v[180:181], v[176:177], -v[178:179]
	ds_load_b128 v[172:175], v2 offset:1504
	scratch_load_b128 v[176:179], off, off offset:752
	v_add_f64_e32 v[184:185], v[184:185], v[186:187]
	v_add_f64_e32 v[182:183], v[194:195], v[192:193]
	v_fmac_f64_e32 v[188:189], v[6:7], v[160:161]
	v_fma_f64 v[192:193], v[4:5], v[160:161], -v[162:163]
	ds_load_b128 v[4:7], v2 offset:1520
	s_wait_loadcnt_dscnt 0xa01
	v_mul_f64_e32 v[186:187], v[172:173], v[10:11]
	v_mul_f64_e32 v[10:11], v[174:175], v[10:11]
	scratch_load_b128 v[160:163], off, off offset:768
	v_add_f64_e32 v[184:185], v[184:185], v[190:191]
	s_wait_loadcnt_dscnt 0xa00
	v_mul_f64_e32 v[190:191], v[4:5], v[130:131]
	v_add_f64_e32 v[194:195], v[182:183], v[180:181]
	v_mul_f64_e32 v[130:131], v[6:7], v[130:131]
	ds_load_b128 v[180:183], v2 offset:1536
	v_fmac_f64_e32 v[186:187], v[174:175], v[8:9]
	v_fma_f64 v[172:173], v[172:173], v[8:9], -v[10:11]
	scratch_load_b128 v[8:11], off, off offset:784
	v_add_f64_e32 v[184:185], v[184:185], v[188:189]
	v_fmac_f64_e32 v[190:191], v[6:7], v[128:129]
	v_add_f64_e32 v[174:175], v[194:195], v[192:193]
	v_fma_f64 v[192:193], v[4:5], v[128:129], -v[130:131]
	ds_load_b128 v[4:7], v2 offset:1552
	s_wait_loadcnt_dscnt 0xa01
	v_mul_f64_e32 v[188:189], v[180:181], v[134:135]
	v_mul_f64_e32 v[134:135], v[182:183], v[134:135]
	scratch_load_b128 v[128:131], off, off offset:800
	v_add_f64_e32 v[184:185], v[184:185], v[186:187]
	s_wait_loadcnt_dscnt 0xa00
	v_mul_f64_e32 v[186:187], v[4:5], v[138:139]
	v_add_f64_e32 v[194:195], v[174:175], v[172:173]
	v_mul_f64_e32 v[138:139], v[6:7], v[138:139]
	ds_load_b128 v[172:175], v2 offset:1568
	v_fmac_f64_e32 v[188:189], v[182:183], v[132:133]
	v_fma_f64 v[180:181], v[180:181], v[132:133], -v[134:135]
	scratch_load_b128 v[132:135], off, off offset:816
	v_add_f64_e32 v[184:185], v[184:185], v[190:191]
	v_fmac_f64_e32 v[186:187], v[6:7], v[136:137]
	v_add_f64_e32 v[182:183], v[194:195], v[192:193]
	;; [unrolled: 18-line block ×4, first 2 shown]
	v_fma_f64 v[192:193], v[4:5], v[152:153], -v[154:155]
	ds_load_b128 v[4:7], v2 offset:1648
	s_wait_loadcnt_dscnt 0xa01
	v_mul_f64_e32 v[188:189], v[172:173], v[158:159]
	v_mul_f64_e32 v[158:159], v[174:175], v[158:159]
	scratch_load_b128 v[152:155], off, off offset:896
	v_add_f64_e32 v[184:185], v[184:185], v[186:187]
	s_wait_loadcnt_dscnt 0xa00
	v_mul_f64_e32 v[186:187], v[4:5], v[166:167]
	v_add_f64_e32 v[194:195], v[182:183], v[180:181]
	v_mul_f64_e32 v[166:167], v[6:7], v[166:167]
	ds_load_b128 v[180:183], v2 offset:1664
	v_fmac_f64_e32 v[188:189], v[174:175], v[156:157]
	v_fma_f64 v[156:157], v[172:173], v[156:157], -v[158:159]
	s_wait_loadcnt_dscnt 0x900
	v_mul_f64_e32 v[174:175], v[180:181], v[178:179]
	v_mul_f64_e32 v[178:179], v[182:183], v[178:179]
	v_add_f64_e32 v[172:173], v[184:185], v[190:191]
	v_fmac_f64_e32 v[186:187], v[6:7], v[164:165]
	v_add_f64_e32 v[158:159], v[194:195], v[192:193]
	v_fma_f64 v[164:165], v[4:5], v[164:165], -v[166:167]
	v_fmac_f64_e32 v[174:175], v[182:183], v[176:177]
	v_fma_f64 v[176:177], v[180:181], v[176:177], -v[178:179]
	v_add_f64_e32 v[172:173], v[172:173], v[188:189]
	v_add_f64_e32 v[166:167], v[158:159], v[156:157]
	ds_load_b128 v[4:7], v2 offset:1680
	ds_load_b128 v[156:159], v2 offset:1696
	s_wait_loadcnt_dscnt 0x801
	v_mul_f64_e32 v[184:185], v[4:5], v[162:163]
	v_mul_f64_e32 v[162:163], v[6:7], v[162:163]
	v_add_f64_e32 v[164:165], v[166:167], v[164:165]
	v_add_f64_e32 v[166:167], v[172:173], v[186:187]
	s_wait_loadcnt_dscnt 0x700
	v_mul_f64_e32 v[172:173], v[156:157], v[10:11]
	v_mul_f64_e32 v[10:11], v[158:159], v[10:11]
	v_fmac_f64_e32 v[184:185], v[6:7], v[160:161]
	v_fma_f64 v[178:179], v[4:5], v[160:161], -v[162:163]
	ds_load_b128 v[4:7], v2 offset:1712
	ds_load_b128 v[160:163], v2 offset:1728
	v_add_f64_e32 v[164:165], v[164:165], v[176:177]
	v_add_f64_e32 v[166:167], v[166:167], v[174:175]
	v_fmac_f64_e32 v[172:173], v[158:159], v[8:9]
	v_fma_f64 v[8:9], v[156:157], v[8:9], -v[10:11]
	s_wait_loadcnt_dscnt 0x601
	v_mul_f64_e32 v[174:175], v[4:5], v[130:131]
	v_mul_f64_e32 v[130:131], v[6:7], v[130:131]
	s_wait_loadcnt_dscnt 0x500
	v_mul_f64_e32 v[158:159], v[160:161], v[134:135]
	v_mul_f64_e32 v[134:135], v[162:163], v[134:135]
	v_add_f64_e32 v[10:11], v[164:165], v[178:179]
	v_add_f64_e32 v[156:157], v[166:167], v[184:185]
	v_fmac_f64_e32 v[174:175], v[6:7], v[128:129]
	v_fma_f64 v[128:129], v[4:5], v[128:129], -v[130:131]
	v_fmac_f64_e32 v[158:159], v[162:163], v[132:133]
	v_fma_f64 v[132:133], v[160:161], v[132:133], -v[134:135]
	v_add_f64_e32 v[130:131], v[10:11], v[8:9]
	v_add_f64_e32 v[156:157], v[156:157], v[172:173]
	ds_load_b128 v[4:7], v2 offset:1744
	ds_load_b128 v[8:11], v2 offset:1760
	s_wait_loadcnt_dscnt 0x401
	v_mul_f64_e32 v[164:165], v[4:5], v[138:139]
	v_mul_f64_e32 v[138:139], v[6:7], v[138:139]
	s_wait_loadcnt_dscnt 0x300
	v_mul_f64_e32 v[134:135], v[8:9], v[142:143]
	v_mul_f64_e32 v[142:143], v[10:11], v[142:143]
	v_add_f64_e32 v[128:129], v[130:131], v[128:129]
	v_add_f64_e32 v[130:131], v[156:157], v[174:175]
	v_fmac_f64_e32 v[164:165], v[6:7], v[136:137]
	v_fma_f64 v[136:137], v[4:5], v[136:137], -v[138:139]
	v_fmac_f64_e32 v[134:135], v[10:11], v[140:141]
	v_fma_f64 v[8:9], v[8:9], v[140:141], -v[142:143]
	v_add_f64_e32 v[132:133], v[128:129], v[132:133]
	v_add_f64_e32 v[138:139], v[130:131], v[158:159]
	ds_load_b128 v[4:7], v2 offset:1776
	ds_load_b128 v[128:131], v2 offset:1792
	s_wait_loadcnt_dscnt 0x201
	v_mul_f64_e32 v[156:157], v[4:5], v[146:147]
	v_mul_f64_e32 v[146:147], v[6:7], v[146:147]
	v_add_f64_e32 v[10:11], v[132:133], v[136:137]
	v_add_f64_e32 v[132:133], v[138:139], v[164:165]
	s_wait_loadcnt_dscnt 0x100
	v_mul_f64_e32 v[136:137], v[128:129], v[150:151]
	v_mul_f64_e32 v[138:139], v[130:131], v[150:151]
	v_fmac_f64_e32 v[156:157], v[6:7], v[144:145]
	v_fma_f64 v[140:141], v[4:5], v[144:145], -v[146:147]
	ds_load_b128 v[4:7], v2 offset:1808
	v_add_f64_e32 v[8:9], v[10:11], v[8:9]
	v_add_f64_e32 v[10:11], v[132:133], v[134:135]
	v_fmac_f64_e32 v[136:137], v[130:131], v[148:149]
	v_fma_f64 v[128:129], v[128:129], v[148:149], -v[138:139]
	s_wait_loadcnt_dscnt 0x0
	v_mul_f64_e32 v[132:133], v[4:5], v[154:155]
	v_mul_f64_e32 v[134:135], v[6:7], v[154:155]
	v_add_f64_e32 v[8:9], v[8:9], v[140:141]
	v_add_f64_e32 v[10:11], v[10:11], v[156:157]
	s_delay_alu instid0(VALU_DEP_4) | instskip(NEXT) | instid1(VALU_DEP_4)
	v_fmac_f64_e32 v[132:133], v[6:7], v[152:153]
	v_fma_f64 v[4:5], v[4:5], v[152:153], -v[134:135]
	s_delay_alu instid0(VALU_DEP_4) | instskip(NEXT) | instid1(VALU_DEP_4)
	v_add_f64_e32 v[6:7], v[8:9], v[128:129]
	v_add_f64_e32 v[8:9], v[10:11], v[136:137]
	s_delay_alu instid0(VALU_DEP_2) | instskip(NEXT) | instid1(VALU_DEP_2)
	v_add_f64_e32 v[4:5], v[6:7], v[4:5]
	v_add_f64_e32 v[6:7], v[8:9], v[132:133]
	s_delay_alu instid0(VALU_DEP_2) | instskip(NEXT) | instid1(VALU_DEP_2)
	v_add_f64_e64 v[4:5], v[168:169], -v[4:5]
	v_add_f64_e64 v[6:7], v[170:171], -v[6:7]
	scratch_store_b128 off, v[4:7], off offset:368
	s_wait_xcnt 0x0
	v_cmpx_lt_u32_e32 22, v1
	s_cbranch_execz .LBB56_311
; %bb.310:
	scratch_load_b128 v[6:9], off, s38
	v_dual_mov_b32 v3, v2 :: v_dual_mov_b32 v4, v2
	v_mov_b32_e32 v5, v2
	scratch_store_b128 off, v[2:5], off offset:352
	s_wait_loadcnt 0x0
	ds_store_b128 v12, v[6:9]
.LBB56_311:
	s_wait_xcnt 0x0
	s_or_b32 exec_lo, exec_lo, s2
	s_wait_storecnt_dscnt 0x0
	s_barrier_signal -1
	s_barrier_wait -1
	s_clause 0x9
	scratch_load_b128 v[4:7], off, off offset:368
	scratch_load_b128 v[8:11], off, off offset:384
	;; [unrolled: 1-line block ×10, first 2 shown]
	ds_load_b128 v[160:163], v2 offset:1280
	ds_load_b128 v[168:171], v2 offset:1296
	s_clause 0x2
	scratch_load_b128 v[164:167], off, off offset:528
	scratch_load_b128 v[172:175], off, off offset:352
	;; [unrolled: 1-line block ×3, first 2 shown]
	s_mov_b32 s2, exec_lo
	s_wait_loadcnt_dscnt 0xc01
	v_mul_f64_e32 v[180:181], v[162:163], v[6:7]
	v_mul_f64_e32 v[184:185], v[160:161], v[6:7]
	s_wait_loadcnt_dscnt 0xb00
	v_mul_f64_e32 v[186:187], v[168:169], v[10:11]
	v_mul_f64_e32 v[10:11], v[170:171], v[10:11]
	s_delay_alu instid0(VALU_DEP_4) | instskip(NEXT) | instid1(VALU_DEP_4)
	v_fma_f64 v[188:189], v[160:161], v[4:5], -v[180:181]
	v_fmac_f64_e32 v[184:185], v[162:163], v[4:5]
	ds_load_b128 v[4:7], v2 offset:1312
	ds_load_b128 v[160:163], v2 offset:1328
	scratch_load_b128 v[180:183], off, off offset:560
	v_fmac_f64_e32 v[186:187], v[170:171], v[8:9]
	v_fma_f64 v[168:169], v[168:169], v[8:9], -v[10:11]
	scratch_load_b128 v[8:11], off, off offset:576
	s_wait_loadcnt_dscnt 0xc01
	v_mul_f64_e32 v[190:191], v[4:5], v[130:131]
	v_mul_f64_e32 v[130:131], v[6:7], v[130:131]
	v_add_f64_e32 v[170:171], 0, v[188:189]
	v_add_f64_e32 v[184:185], 0, v[184:185]
	s_wait_loadcnt_dscnt 0xb00
	v_mul_f64_e32 v[188:189], v[160:161], v[134:135]
	v_mul_f64_e32 v[134:135], v[162:163], v[134:135]
	v_fmac_f64_e32 v[190:191], v[6:7], v[128:129]
	v_fma_f64 v[192:193], v[4:5], v[128:129], -v[130:131]
	ds_load_b128 v[4:7], v2 offset:1344
	ds_load_b128 v[128:131], v2 offset:1360
	v_add_f64_e32 v[194:195], v[170:171], v[168:169]
	v_add_f64_e32 v[184:185], v[184:185], v[186:187]
	scratch_load_b128 v[168:171], off, off offset:592
	v_fmac_f64_e32 v[188:189], v[162:163], v[132:133]
	v_fma_f64 v[160:161], v[160:161], v[132:133], -v[134:135]
	scratch_load_b128 v[132:135], off, off offset:608
	s_wait_loadcnt_dscnt 0xc01
	v_mul_f64_e32 v[186:187], v[4:5], v[138:139]
	v_mul_f64_e32 v[138:139], v[6:7], v[138:139]
	v_add_f64_e32 v[162:163], v[194:195], v[192:193]
	v_add_f64_e32 v[184:185], v[184:185], v[190:191]
	s_wait_loadcnt_dscnt 0xb00
	v_mul_f64_e32 v[190:191], v[128:129], v[142:143]
	v_mul_f64_e32 v[142:143], v[130:131], v[142:143]
	v_fmac_f64_e32 v[186:187], v[6:7], v[136:137]
	v_fma_f64 v[192:193], v[4:5], v[136:137], -v[138:139]
	ds_load_b128 v[4:7], v2 offset:1376
	ds_load_b128 v[136:139], v2 offset:1392
	v_add_f64_e32 v[194:195], v[162:163], v[160:161]
	v_add_f64_e32 v[184:185], v[184:185], v[188:189]
	scratch_load_b128 v[160:163], off, off offset:624
	s_wait_loadcnt_dscnt 0xb01
	v_mul_f64_e32 v[188:189], v[4:5], v[146:147]
	v_mul_f64_e32 v[146:147], v[6:7], v[146:147]
	v_fmac_f64_e32 v[190:191], v[130:131], v[140:141]
	v_fma_f64 v[140:141], v[128:129], v[140:141], -v[142:143]
	scratch_load_b128 v[128:131], off, off offset:640
	v_add_f64_e32 v[142:143], v[194:195], v[192:193]
	v_add_f64_e32 v[184:185], v[184:185], v[186:187]
	s_wait_loadcnt_dscnt 0xb00
	v_mul_f64_e32 v[186:187], v[136:137], v[150:151]
	v_mul_f64_e32 v[150:151], v[138:139], v[150:151]
	v_fmac_f64_e32 v[188:189], v[6:7], v[144:145]
	v_fma_f64 v[192:193], v[4:5], v[144:145], -v[146:147]
	v_add_f64_e32 v[194:195], v[142:143], v[140:141]
	v_add_f64_e32 v[184:185], v[184:185], v[190:191]
	ds_load_b128 v[4:7], v2 offset:1408
	ds_load_b128 v[140:143], v2 offset:1424
	scratch_load_b128 v[144:147], off, off offset:656
	v_fmac_f64_e32 v[186:187], v[138:139], v[148:149]
	v_fma_f64 v[148:149], v[136:137], v[148:149], -v[150:151]
	scratch_load_b128 v[136:139], off, off offset:672
	s_wait_loadcnt_dscnt 0xc01
	v_mul_f64_e32 v[190:191], v[4:5], v[154:155]
	v_mul_f64_e32 v[154:155], v[6:7], v[154:155]
	v_add_f64_e32 v[150:151], v[194:195], v[192:193]
	v_add_f64_e32 v[184:185], v[184:185], v[188:189]
	s_wait_loadcnt_dscnt 0xb00
	v_mul_f64_e32 v[188:189], v[140:141], v[158:159]
	v_mul_f64_e32 v[158:159], v[142:143], v[158:159]
	v_fmac_f64_e32 v[190:191], v[6:7], v[152:153]
	v_fma_f64 v[192:193], v[4:5], v[152:153], -v[154:155]
	v_add_f64_e32 v[194:195], v[150:151], v[148:149]
	v_add_f64_e32 v[184:185], v[184:185], v[186:187]
	ds_load_b128 v[4:7], v2 offset:1440
	ds_load_b128 v[148:151], v2 offset:1456
	scratch_load_b128 v[152:155], off, off offset:688
	v_fmac_f64_e32 v[188:189], v[142:143], v[156:157]
	v_fma_f64 v[156:157], v[140:141], v[156:157], -v[158:159]
	scratch_load_b128 v[140:143], off, off offset:704
	s_wait_loadcnt_dscnt 0xc01
	v_mul_f64_e32 v[186:187], v[4:5], v[166:167]
	v_mul_f64_e32 v[166:167], v[6:7], v[166:167]
	;; [unrolled: 18-line block ×5, first 2 shown]
	v_add_f64_e32 v[178:179], v[194:195], v[192:193]
	v_add_f64_e32 v[184:185], v[184:185], v[190:191]
	s_wait_loadcnt_dscnt 0xa00
	v_mul_f64_e32 v[190:191], v[156:157], v[130:131]
	v_mul_f64_e32 v[130:131], v[158:159], v[130:131]
	v_fmac_f64_e32 v[186:187], v[6:7], v[160:161]
	v_fma_f64 v[192:193], v[4:5], v[160:161], -v[162:163]
	ds_load_b128 v[4:7], v2 offset:1568
	ds_load_b128 v[160:163], v2 offset:1584
	v_add_f64_e32 v[194:195], v[178:179], v[176:177]
	v_add_f64_e32 v[184:185], v[184:185], v[188:189]
	scratch_load_b128 v[176:179], off, off offset:816
	v_fmac_f64_e32 v[190:191], v[158:159], v[128:129]
	v_fma_f64 v[156:157], v[156:157], v[128:129], -v[130:131]
	scratch_load_b128 v[128:131], off, off offset:832
	s_wait_loadcnt_dscnt 0xb01
	v_mul_f64_e32 v[188:189], v[4:5], v[146:147]
	v_mul_f64_e32 v[146:147], v[6:7], v[146:147]
	v_add_f64_e32 v[158:159], v[194:195], v[192:193]
	v_add_f64_e32 v[184:185], v[184:185], v[186:187]
	s_wait_loadcnt_dscnt 0xa00
	v_mul_f64_e32 v[186:187], v[160:161], v[138:139]
	v_mul_f64_e32 v[138:139], v[162:163], v[138:139]
	v_fmac_f64_e32 v[188:189], v[6:7], v[144:145]
	v_fma_f64 v[192:193], v[4:5], v[144:145], -v[146:147]
	ds_load_b128 v[4:7], v2 offset:1600
	ds_load_b128 v[144:147], v2 offset:1616
	v_add_f64_e32 v[194:195], v[158:159], v[156:157]
	v_add_f64_e32 v[184:185], v[184:185], v[190:191]
	scratch_load_b128 v[156:159], off, off offset:848
	s_wait_loadcnt_dscnt 0xa01
	v_mul_f64_e32 v[190:191], v[4:5], v[154:155]
	v_mul_f64_e32 v[154:155], v[6:7], v[154:155]
	v_fmac_f64_e32 v[186:187], v[162:163], v[136:137]
	v_fma_f64 v[160:161], v[160:161], v[136:137], -v[138:139]
	scratch_load_b128 v[136:139], off, off offset:864
	v_add_f64_e32 v[162:163], v[194:195], v[192:193]
	v_add_f64_e32 v[184:185], v[184:185], v[188:189]
	s_wait_loadcnt_dscnt 0xa00
	v_mul_f64_e32 v[188:189], v[144:145], v[142:143]
	v_mul_f64_e32 v[142:143], v[146:147], v[142:143]
	v_fmac_f64_e32 v[190:191], v[6:7], v[152:153]
	v_fma_f64 v[192:193], v[4:5], v[152:153], -v[154:155]
	ds_load_b128 v[4:7], v2 offset:1632
	ds_load_b128 v[152:155], v2 offset:1648
	v_add_f64_e32 v[194:195], v[162:163], v[160:161]
	v_add_f64_e32 v[184:185], v[184:185], v[186:187]
	scratch_load_b128 v[160:163], off, off offset:880
	s_wait_loadcnt_dscnt 0xa01
	v_mul_f64_e32 v[186:187], v[4:5], v[166:167]
	v_mul_f64_e32 v[166:167], v[6:7], v[166:167]
	v_fmac_f64_e32 v[188:189], v[146:147], v[140:141]
	v_fma_f64 v[144:145], v[144:145], v[140:141], -v[142:143]
	scratch_load_b128 v[140:143], off, off offset:896
	v_add_f64_e32 v[146:147], v[194:195], v[192:193]
	v_add_f64_e32 v[184:185], v[184:185], v[190:191]
	s_wait_loadcnt_dscnt 0xa00
	v_mul_f64_e32 v[190:191], v[152:153], v[150:151]
	v_mul_f64_e32 v[150:151], v[154:155], v[150:151]
	v_fmac_f64_e32 v[186:187], v[6:7], v[164:165]
	v_fma_f64 v[164:165], v[4:5], v[164:165], -v[166:167]
	v_add_f64_e32 v[166:167], v[146:147], v[144:145]
	v_add_f64_e32 v[184:185], v[184:185], v[188:189]
	ds_load_b128 v[4:7], v2 offset:1664
	ds_load_b128 v[144:147], v2 offset:1680
	v_fmac_f64_e32 v[190:191], v[154:155], v[148:149]
	v_fma_f64 v[148:149], v[152:153], v[148:149], -v[150:151]
	s_wait_loadcnt_dscnt 0x901
	v_mul_f64_e32 v[188:189], v[4:5], v[182:183]
	v_mul_f64_e32 v[182:183], v[6:7], v[182:183]
	s_wait_loadcnt_dscnt 0x800
	v_mul_f64_e32 v[154:155], v[144:145], v[10:11]
	v_mul_f64_e32 v[10:11], v[146:147], v[10:11]
	v_add_f64_e32 v[150:151], v[166:167], v[164:165]
	v_add_f64_e32 v[152:153], v[184:185], v[186:187]
	v_fmac_f64_e32 v[188:189], v[6:7], v[180:181]
	v_fma_f64 v[164:165], v[4:5], v[180:181], -v[182:183]
	v_fmac_f64_e32 v[154:155], v[146:147], v[8:9]
	v_fma_f64 v[8:9], v[144:145], v[8:9], -v[10:11]
	v_add_f64_e32 v[166:167], v[150:151], v[148:149]
	v_add_f64_e32 v[152:153], v[152:153], v[190:191]
	ds_load_b128 v[4:7], v2 offset:1696
	ds_load_b128 v[148:151], v2 offset:1712
	s_wait_loadcnt_dscnt 0x701
	v_mul_f64_e32 v[180:181], v[4:5], v[170:171]
	v_mul_f64_e32 v[170:171], v[6:7], v[170:171]
	s_wait_loadcnt_dscnt 0x600
	v_mul_f64_e32 v[146:147], v[148:149], v[134:135]
	v_mul_f64_e32 v[134:135], v[150:151], v[134:135]
	v_add_f64_e32 v[10:11], v[166:167], v[164:165]
	v_add_f64_e32 v[144:145], v[152:153], v[188:189]
	v_fmac_f64_e32 v[180:181], v[6:7], v[168:169]
	v_fma_f64 v[152:153], v[4:5], v[168:169], -v[170:171]
	v_fmac_f64_e32 v[146:147], v[150:151], v[132:133]
	v_fma_f64 v[132:133], v[148:149], v[132:133], -v[134:135]
	v_add_f64_e32 v[164:165], v[10:11], v[8:9]
	v_add_f64_e32 v[144:145], v[144:145], v[154:155]
	ds_load_b128 v[4:7], v2 offset:1728
	ds_load_b128 v[8:11], v2 offset:1744
	;; [unrolled: 16-line block ×3, first 2 shown]
	s_wait_loadcnt_dscnt 0x301
	v_mul_f64_e32 v[146:147], v[4:5], v[158:159]
	v_mul_f64_e32 v[158:159], v[6:7], v[158:159]
	v_add_f64_e32 v[10:11], v[134:135], v[152:153]
	v_add_f64_e32 v[128:129], v[144:145], v[154:155]
	s_wait_loadcnt_dscnt 0x200
	v_mul_f64_e32 v[134:135], v[130:131], v[138:139]
	v_mul_f64_e32 v[138:139], v[132:133], v[138:139]
	v_fmac_f64_e32 v[146:147], v[6:7], v[156:157]
	v_fma_f64 v[144:145], v[4:5], v[156:157], -v[158:159]
	v_add_f64_e32 v[150:151], v[10:11], v[8:9]
	v_add_f64_e32 v[128:129], v[128:129], v[148:149]
	ds_load_b128 v[4:7], v2 offset:1792
	ds_load_b128 v[8:11], v2 offset:1808
	v_fmac_f64_e32 v[134:135], v[132:133], v[136:137]
	v_fma_f64 v[130:131], v[130:131], v[136:137], -v[138:139]
	s_wait_loadcnt_dscnt 0x101
	v_mul_f64_e32 v[2:3], v[4:5], v[162:163]
	v_mul_f64_e32 v[148:149], v[6:7], v[162:163]
	s_wait_loadcnt_dscnt 0x0
	v_mul_f64_e32 v[136:137], v[8:9], v[142:143]
	v_mul_f64_e32 v[138:139], v[10:11], v[142:143]
	v_add_f64_e32 v[132:133], v[150:151], v[144:145]
	v_add_f64_e32 v[128:129], v[128:129], v[146:147]
	v_fmac_f64_e32 v[2:3], v[6:7], v[160:161]
	v_fma_f64 v[4:5], v[4:5], v[160:161], -v[148:149]
	v_fmac_f64_e32 v[136:137], v[10:11], v[140:141]
	v_fma_f64 v[8:9], v[8:9], v[140:141], -v[138:139]
	v_add_f64_e32 v[6:7], v[132:133], v[130:131]
	v_add_f64_e32 v[128:129], v[128:129], v[134:135]
	s_delay_alu instid0(VALU_DEP_2) | instskip(NEXT) | instid1(VALU_DEP_2)
	v_add_f64_e32 v[4:5], v[6:7], v[4:5]
	v_add_f64_e32 v[2:3], v[128:129], v[2:3]
	s_delay_alu instid0(VALU_DEP_2) | instskip(NEXT) | instid1(VALU_DEP_2)
	v_add_f64_e32 v[4:5], v[4:5], v[8:9]
	v_add_f64_e32 v[6:7], v[2:3], v[136:137]
	s_delay_alu instid0(VALU_DEP_2) | instskip(NEXT) | instid1(VALU_DEP_2)
	v_add_f64_e64 v[2:3], v[172:173], -v[4:5]
	v_add_f64_e64 v[4:5], v[174:175], -v[6:7]
	scratch_store_b128 off, v[2:5], off offset:352
	s_wait_xcnt 0x0
	v_cmpx_lt_u32_e32 21, v1
	s_cbranch_execz .LBB56_313
; %bb.312:
	scratch_load_b128 v[2:5], off, s35
	v_mov_b32_e32 v6, 0
	s_delay_alu instid0(VALU_DEP_1)
	v_dual_mov_b32 v7, v6 :: v_dual_mov_b32 v8, v6
	v_mov_b32_e32 v9, v6
	scratch_store_b128 off, v[6:9], off offset:336
	s_wait_loadcnt 0x0
	ds_store_b128 v12, v[2:5]
.LBB56_313:
	s_wait_xcnt 0x0
	s_or_b32 exec_lo, exec_lo, s2
	s_wait_storecnt_dscnt 0x0
	s_barrier_signal -1
	s_barrier_wait -1
	s_clause 0x9
	scratch_load_b128 v[4:7], off, off offset:352
	scratch_load_b128 v[8:11], off, off offset:368
	;; [unrolled: 1-line block ×10, first 2 shown]
	v_mov_b32_e32 v2, 0
	s_mov_b32 s2, exec_lo
	ds_load_b128 v[160:163], v2 offset:1264
	s_clause 0x2
	scratch_load_b128 v[164:167], off, off offset:512
	scratch_load_b128 v[168:171], off, off offset:336
	;; [unrolled: 1-line block ×3, first 2 shown]
	s_wait_loadcnt_dscnt 0xc00
	v_mul_f64_e32 v[180:181], v[162:163], v[6:7]
	v_mul_f64_e32 v[184:185], v[160:161], v[6:7]
	ds_load_b128 v[172:175], v2 offset:1280
	v_fma_f64 v[188:189], v[160:161], v[4:5], -v[180:181]
	v_fmac_f64_e32 v[184:185], v[162:163], v[4:5]
	ds_load_b128 v[4:7], v2 offset:1296
	s_wait_loadcnt_dscnt 0xb01
	v_mul_f64_e32 v[186:187], v[172:173], v[10:11]
	v_mul_f64_e32 v[10:11], v[174:175], v[10:11]
	scratch_load_b128 v[160:163], off, off offset:544
	ds_load_b128 v[180:183], v2 offset:1312
	s_wait_loadcnt_dscnt 0xb01
	v_mul_f64_e32 v[190:191], v[4:5], v[130:131]
	v_mul_f64_e32 v[130:131], v[6:7], v[130:131]
	v_add_f64_e32 v[184:185], 0, v[184:185]
	v_fmac_f64_e32 v[186:187], v[174:175], v[8:9]
	v_fma_f64 v[172:173], v[172:173], v[8:9], -v[10:11]
	v_add_f64_e32 v[174:175], 0, v[188:189]
	scratch_load_b128 v[8:11], off, off offset:560
	v_fmac_f64_e32 v[190:191], v[6:7], v[128:129]
	v_fma_f64 v[192:193], v[4:5], v[128:129], -v[130:131]
	ds_load_b128 v[4:7], v2 offset:1328
	s_wait_loadcnt_dscnt 0xb01
	v_mul_f64_e32 v[188:189], v[180:181], v[134:135]
	v_mul_f64_e32 v[134:135], v[182:183], v[134:135]
	scratch_load_b128 v[128:131], off, off offset:576
	v_add_f64_e32 v[184:185], v[184:185], v[186:187]
	v_add_f64_e32 v[194:195], v[174:175], v[172:173]
	ds_load_b128 v[172:175], v2 offset:1344
	s_wait_loadcnt_dscnt 0xb01
	v_mul_f64_e32 v[186:187], v[4:5], v[138:139]
	v_mul_f64_e32 v[138:139], v[6:7], v[138:139]
	v_fmac_f64_e32 v[188:189], v[182:183], v[132:133]
	v_fma_f64 v[180:181], v[180:181], v[132:133], -v[134:135]
	scratch_load_b128 v[132:135], off, off offset:592
	v_add_f64_e32 v[184:185], v[184:185], v[190:191]
	v_add_f64_e32 v[182:183], v[194:195], v[192:193]
	v_fmac_f64_e32 v[186:187], v[6:7], v[136:137]
	v_fma_f64 v[192:193], v[4:5], v[136:137], -v[138:139]
	ds_load_b128 v[4:7], v2 offset:1360
	s_wait_loadcnt_dscnt 0xb01
	v_mul_f64_e32 v[190:191], v[172:173], v[142:143]
	v_mul_f64_e32 v[142:143], v[174:175], v[142:143]
	scratch_load_b128 v[136:139], off, off offset:608
	v_add_f64_e32 v[184:185], v[184:185], v[188:189]
	s_wait_loadcnt_dscnt 0xb00
	v_mul_f64_e32 v[188:189], v[4:5], v[146:147]
	v_add_f64_e32 v[194:195], v[182:183], v[180:181]
	v_mul_f64_e32 v[146:147], v[6:7], v[146:147]
	ds_load_b128 v[180:183], v2 offset:1376
	v_fmac_f64_e32 v[190:191], v[174:175], v[140:141]
	v_fma_f64 v[172:173], v[172:173], v[140:141], -v[142:143]
	scratch_load_b128 v[140:143], off, off offset:624
	v_add_f64_e32 v[184:185], v[184:185], v[186:187]
	v_fmac_f64_e32 v[188:189], v[6:7], v[144:145]
	v_add_f64_e32 v[174:175], v[194:195], v[192:193]
	v_fma_f64 v[192:193], v[4:5], v[144:145], -v[146:147]
	ds_load_b128 v[4:7], v2 offset:1392
	s_wait_loadcnt_dscnt 0xb01
	v_mul_f64_e32 v[186:187], v[180:181], v[150:151]
	v_mul_f64_e32 v[150:151], v[182:183], v[150:151]
	scratch_load_b128 v[144:147], off, off offset:640
	v_add_f64_e32 v[184:185], v[184:185], v[190:191]
	s_wait_loadcnt_dscnt 0xb00
	v_mul_f64_e32 v[190:191], v[4:5], v[154:155]
	v_add_f64_e32 v[194:195], v[174:175], v[172:173]
	v_mul_f64_e32 v[154:155], v[6:7], v[154:155]
	ds_load_b128 v[172:175], v2 offset:1408
	v_fmac_f64_e32 v[186:187], v[182:183], v[148:149]
	v_fma_f64 v[180:181], v[180:181], v[148:149], -v[150:151]
	scratch_load_b128 v[148:151], off, off offset:656
	v_add_f64_e32 v[184:185], v[184:185], v[188:189]
	v_fmac_f64_e32 v[190:191], v[6:7], v[152:153]
	v_add_f64_e32 v[182:183], v[194:195], v[192:193]
	;; [unrolled: 18-line block ×3, first 2 shown]
	v_fma_f64 v[192:193], v[4:5], v[164:165], -v[166:167]
	ds_load_b128 v[4:7], v2 offset:1456
	s_wait_loadcnt_dscnt 0xa01
	v_mul_f64_e32 v[190:191], v[180:181], v[178:179]
	v_mul_f64_e32 v[178:179], v[182:183], v[178:179]
	scratch_load_b128 v[164:167], off, off offset:704
	v_add_f64_e32 v[184:185], v[184:185], v[188:189]
	v_add_f64_e32 v[194:195], v[174:175], v[172:173]
	s_wait_loadcnt_dscnt 0xa00
	v_mul_f64_e32 v[188:189], v[4:5], v[162:163]
	v_mul_f64_e32 v[162:163], v[6:7], v[162:163]
	v_fmac_f64_e32 v[190:191], v[182:183], v[176:177]
	v_fma_f64 v[180:181], v[180:181], v[176:177], -v[178:179]
	ds_load_b128 v[172:175], v2 offset:1472
	scratch_load_b128 v[176:179], off, off offset:720
	v_add_f64_e32 v[184:185], v[184:185], v[186:187]
	v_add_f64_e32 v[182:183], v[194:195], v[192:193]
	v_fmac_f64_e32 v[188:189], v[6:7], v[160:161]
	v_fma_f64 v[192:193], v[4:5], v[160:161], -v[162:163]
	ds_load_b128 v[4:7], v2 offset:1488
	s_wait_loadcnt_dscnt 0xa01
	v_mul_f64_e32 v[186:187], v[172:173], v[10:11]
	v_mul_f64_e32 v[10:11], v[174:175], v[10:11]
	scratch_load_b128 v[160:163], off, off offset:736
	v_add_f64_e32 v[184:185], v[184:185], v[190:191]
	s_wait_loadcnt_dscnt 0xa00
	v_mul_f64_e32 v[190:191], v[4:5], v[130:131]
	v_add_f64_e32 v[194:195], v[182:183], v[180:181]
	v_mul_f64_e32 v[130:131], v[6:7], v[130:131]
	ds_load_b128 v[180:183], v2 offset:1504
	v_fmac_f64_e32 v[186:187], v[174:175], v[8:9]
	v_fma_f64 v[172:173], v[172:173], v[8:9], -v[10:11]
	scratch_load_b128 v[8:11], off, off offset:752
	v_add_f64_e32 v[184:185], v[184:185], v[188:189]
	v_fmac_f64_e32 v[190:191], v[6:7], v[128:129]
	v_add_f64_e32 v[174:175], v[194:195], v[192:193]
	v_fma_f64 v[192:193], v[4:5], v[128:129], -v[130:131]
	ds_load_b128 v[4:7], v2 offset:1520
	s_wait_loadcnt_dscnt 0xa01
	v_mul_f64_e32 v[188:189], v[180:181], v[134:135]
	v_mul_f64_e32 v[134:135], v[182:183], v[134:135]
	scratch_load_b128 v[128:131], off, off offset:768
	v_add_f64_e32 v[184:185], v[184:185], v[186:187]
	s_wait_loadcnt_dscnt 0xa00
	v_mul_f64_e32 v[186:187], v[4:5], v[138:139]
	v_add_f64_e32 v[194:195], v[174:175], v[172:173]
	v_mul_f64_e32 v[138:139], v[6:7], v[138:139]
	ds_load_b128 v[172:175], v2 offset:1536
	v_fmac_f64_e32 v[188:189], v[182:183], v[132:133]
	v_fma_f64 v[180:181], v[180:181], v[132:133], -v[134:135]
	scratch_load_b128 v[132:135], off, off offset:784
	v_add_f64_e32 v[184:185], v[184:185], v[190:191]
	v_fmac_f64_e32 v[186:187], v[6:7], v[136:137]
	v_add_f64_e32 v[182:183], v[194:195], v[192:193]
	;; [unrolled: 18-line block ×5, first 2 shown]
	v_fma_f64 v[192:193], v[4:5], v[164:165], -v[166:167]
	ds_load_b128 v[4:7], v2 offset:1648
	s_wait_loadcnt_dscnt 0xa01
	v_mul_f64_e32 v[190:191], v[180:181], v[178:179]
	v_mul_f64_e32 v[178:179], v[182:183], v[178:179]
	scratch_load_b128 v[164:167], off, off offset:896
	v_add_f64_e32 v[184:185], v[184:185], v[188:189]
	s_wait_loadcnt_dscnt 0xa00
	v_mul_f64_e32 v[188:189], v[4:5], v[162:163]
	v_add_f64_e32 v[194:195], v[174:175], v[172:173]
	v_mul_f64_e32 v[162:163], v[6:7], v[162:163]
	ds_load_b128 v[172:175], v2 offset:1664
	v_fmac_f64_e32 v[190:191], v[182:183], v[176:177]
	v_fma_f64 v[176:177], v[180:181], v[176:177], -v[178:179]
	s_wait_loadcnt_dscnt 0x900
	v_mul_f64_e32 v[182:183], v[172:173], v[10:11]
	v_mul_f64_e32 v[10:11], v[174:175], v[10:11]
	v_add_f64_e32 v[180:181], v[184:185], v[186:187]
	v_fmac_f64_e32 v[188:189], v[6:7], v[160:161]
	v_add_f64_e32 v[178:179], v[194:195], v[192:193]
	v_fma_f64 v[184:185], v[4:5], v[160:161], -v[162:163]
	ds_load_b128 v[4:7], v2 offset:1680
	ds_load_b128 v[160:163], v2 offset:1696
	v_fmac_f64_e32 v[182:183], v[174:175], v[8:9]
	v_fma_f64 v[8:9], v[172:173], v[8:9], -v[10:11]
	v_add_f64_e32 v[176:177], v[178:179], v[176:177]
	v_add_f64_e32 v[178:179], v[180:181], v[190:191]
	s_wait_loadcnt_dscnt 0x801
	v_mul_f64_e32 v[180:181], v[4:5], v[130:131]
	v_mul_f64_e32 v[130:131], v[6:7], v[130:131]
	s_wait_loadcnt_dscnt 0x700
	v_mul_f64_e32 v[174:175], v[160:161], v[134:135]
	v_mul_f64_e32 v[134:135], v[162:163], v[134:135]
	v_add_f64_e32 v[10:11], v[176:177], v[184:185]
	v_add_f64_e32 v[172:173], v[178:179], v[188:189]
	v_fmac_f64_e32 v[180:181], v[6:7], v[128:129]
	v_fma_f64 v[128:129], v[4:5], v[128:129], -v[130:131]
	v_fmac_f64_e32 v[174:175], v[162:163], v[132:133]
	v_fma_f64 v[132:133], v[160:161], v[132:133], -v[134:135]
	v_add_f64_e32 v[130:131], v[10:11], v[8:9]
	v_add_f64_e32 v[172:173], v[172:173], v[182:183]
	ds_load_b128 v[4:7], v2 offset:1712
	ds_load_b128 v[8:11], v2 offset:1728
	s_wait_loadcnt_dscnt 0x601
	v_mul_f64_e32 v[176:177], v[4:5], v[138:139]
	v_mul_f64_e32 v[138:139], v[6:7], v[138:139]
	s_wait_loadcnt_dscnt 0x500
	v_mul_f64_e32 v[134:135], v[8:9], v[142:143]
	v_mul_f64_e32 v[142:143], v[10:11], v[142:143]
	v_add_f64_e32 v[128:129], v[130:131], v[128:129]
	v_add_f64_e32 v[130:131], v[172:173], v[180:181]
	v_fmac_f64_e32 v[176:177], v[6:7], v[136:137]
	v_fma_f64 v[136:137], v[4:5], v[136:137], -v[138:139]
	v_fmac_f64_e32 v[134:135], v[10:11], v[140:141]
	v_fma_f64 v[8:9], v[8:9], v[140:141], -v[142:143]
	v_add_f64_e32 v[132:133], v[128:129], v[132:133]
	v_add_f64_e32 v[138:139], v[130:131], v[174:175]
	ds_load_b128 v[4:7], v2 offset:1744
	ds_load_b128 v[128:131], v2 offset:1760
	s_wait_loadcnt_dscnt 0x401
	v_mul_f64_e32 v[160:161], v[4:5], v[146:147]
	v_mul_f64_e32 v[146:147], v[6:7], v[146:147]
	v_add_f64_e32 v[10:11], v[132:133], v[136:137]
	v_add_f64_e32 v[132:133], v[138:139], v[176:177]
	s_wait_loadcnt_dscnt 0x300
	v_mul_f64_e32 v[136:137], v[128:129], v[150:151]
	v_mul_f64_e32 v[138:139], v[130:131], v[150:151]
	v_fmac_f64_e32 v[160:161], v[6:7], v[144:145]
	v_fma_f64 v[140:141], v[4:5], v[144:145], -v[146:147]
	v_add_f64_e32 v[142:143], v[10:11], v[8:9]
	v_add_f64_e32 v[132:133], v[132:133], v[134:135]
	ds_load_b128 v[4:7], v2 offset:1776
	ds_load_b128 v[8:11], v2 offset:1792
	v_fmac_f64_e32 v[136:137], v[130:131], v[148:149]
	v_fma_f64 v[128:129], v[128:129], v[148:149], -v[138:139]
	s_wait_loadcnt_dscnt 0x201
	v_mul_f64_e32 v[134:135], v[4:5], v[154:155]
	v_mul_f64_e32 v[144:145], v[6:7], v[154:155]
	s_wait_loadcnt_dscnt 0x100
	v_mul_f64_e32 v[138:139], v[8:9], v[158:159]
	v_add_f64_e32 v[130:131], v[142:143], v[140:141]
	v_add_f64_e32 v[132:133], v[132:133], v[160:161]
	v_mul_f64_e32 v[140:141], v[10:11], v[158:159]
	v_fmac_f64_e32 v[134:135], v[6:7], v[152:153]
	v_fma_f64 v[142:143], v[4:5], v[152:153], -v[144:145]
	ds_load_b128 v[4:7], v2 offset:1808
	v_fmac_f64_e32 v[138:139], v[10:11], v[156:157]
	v_add_f64_e32 v[128:129], v[130:131], v[128:129]
	v_add_f64_e32 v[130:131], v[132:133], v[136:137]
	v_fma_f64 v[8:9], v[8:9], v[156:157], -v[140:141]
	s_wait_loadcnt_dscnt 0x0
	v_mul_f64_e32 v[132:133], v[4:5], v[166:167]
	v_mul_f64_e32 v[136:137], v[6:7], v[166:167]
	v_add_f64_e32 v[10:11], v[128:129], v[142:143]
	v_add_f64_e32 v[128:129], v[130:131], v[134:135]
	s_delay_alu instid0(VALU_DEP_4) | instskip(NEXT) | instid1(VALU_DEP_4)
	v_fmac_f64_e32 v[132:133], v[6:7], v[164:165]
	v_fma_f64 v[4:5], v[4:5], v[164:165], -v[136:137]
	s_delay_alu instid0(VALU_DEP_4) | instskip(NEXT) | instid1(VALU_DEP_4)
	v_add_f64_e32 v[6:7], v[10:11], v[8:9]
	v_add_f64_e32 v[8:9], v[128:129], v[138:139]
	s_delay_alu instid0(VALU_DEP_2) | instskip(NEXT) | instid1(VALU_DEP_2)
	v_add_f64_e32 v[4:5], v[6:7], v[4:5]
	v_add_f64_e32 v[6:7], v[8:9], v[132:133]
	s_delay_alu instid0(VALU_DEP_2) | instskip(NEXT) | instid1(VALU_DEP_2)
	v_add_f64_e64 v[4:5], v[168:169], -v[4:5]
	v_add_f64_e64 v[6:7], v[170:171], -v[6:7]
	scratch_store_b128 off, v[4:7], off offset:336
	s_wait_xcnt 0x0
	v_cmpx_lt_u32_e32 20, v1
	s_cbranch_execz .LBB56_315
; %bb.314:
	scratch_load_b128 v[6:9], off, s67
	v_dual_mov_b32 v3, v2 :: v_dual_mov_b32 v4, v2
	v_mov_b32_e32 v5, v2
	scratch_store_b128 off, v[2:5], off offset:320
	s_wait_loadcnt 0x0
	ds_store_b128 v12, v[6:9]
.LBB56_315:
	s_wait_xcnt 0x0
	s_or_b32 exec_lo, exec_lo, s2
	s_wait_storecnt_dscnt 0x0
	s_barrier_signal -1
	s_barrier_wait -1
	s_clause 0x9
	scratch_load_b128 v[4:7], off, off offset:336
	scratch_load_b128 v[8:11], off, off offset:352
	;; [unrolled: 1-line block ×10, first 2 shown]
	ds_load_b128 v[160:163], v2 offset:1248
	ds_load_b128 v[168:171], v2 offset:1264
	s_clause 0x2
	scratch_load_b128 v[164:167], off, off offset:496
	scratch_load_b128 v[172:175], off, off offset:320
	;; [unrolled: 1-line block ×3, first 2 shown]
	s_mov_b32 s2, exec_lo
	s_wait_loadcnt_dscnt 0xc01
	v_mul_f64_e32 v[180:181], v[162:163], v[6:7]
	v_mul_f64_e32 v[184:185], v[160:161], v[6:7]
	s_wait_loadcnt_dscnt 0xb00
	v_mul_f64_e32 v[186:187], v[168:169], v[10:11]
	v_mul_f64_e32 v[10:11], v[170:171], v[10:11]
	s_delay_alu instid0(VALU_DEP_4) | instskip(NEXT) | instid1(VALU_DEP_4)
	v_fma_f64 v[188:189], v[160:161], v[4:5], -v[180:181]
	v_fmac_f64_e32 v[184:185], v[162:163], v[4:5]
	ds_load_b128 v[4:7], v2 offset:1280
	ds_load_b128 v[160:163], v2 offset:1296
	scratch_load_b128 v[180:183], off, off offset:528
	v_fmac_f64_e32 v[186:187], v[170:171], v[8:9]
	v_fma_f64 v[168:169], v[168:169], v[8:9], -v[10:11]
	scratch_load_b128 v[8:11], off, off offset:544
	s_wait_loadcnt_dscnt 0xc01
	v_mul_f64_e32 v[190:191], v[4:5], v[130:131]
	v_mul_f64_e32 v[130:131], v[6:7], v[130:131]
	v_add_f64_e32 v[170:171], 0, v[188:189]
	v_add_f64_e32 v[184:185], 0, v[184:185]
	s_wait_loadcnt_dscnt 0xb00
	v_mul_f64_e32 v[188:189], v[160:161], v[134:135]
	v_mul_f64_e32 v[134:135], v[162:163], v[134:135]
	v_fmac_f64_e32 v[190:191], v[6:7], v[128:129]
	v_fma_f64 v[192:193], v[4:5], v[128:129], -v[130:131]
	ds_load_b128 v[4:7], v2 offset:1312
	ds_load_b128 v[128:131], v2 offset:1328
	v_add_f64_e32 v[194:195], v[170:171], v[168:169]
	v_add_f64_e32 v[184:185], v[184:185], v[186:187]
	scratch_load_b128 v[168:171], off, off offset:560
	v_fmac_f64_e32 v[188:189], v[162:163], v[132:133]
	v_fma_f64 v[160:161], v[160:161], v[132:133], -v[134:135]
	scratch_load_b128 v[132:135], off, off offset:576
	s_wait_loadcnt_dscnt 0xc01
	v_mul_f64_e32 v[186:187], v[4:5], v[138:139]
	v_mul_f64_e32 v[138:139], v[6:7], v[138:139]
	v_add_f64_e32 v[162:163], v[194:195], v[192:193]
	v_add_f64_e32 v[184:185], v[184:185], v[190:191]
	s_wait_loadcnt_dscnt 0xb00
	v_mul_f64_e32 v[190:191], v[128:129], v[142:143]
	v_mul_f64_e32 v[142:143], v[130:131], v[142:143]
	v_fmac_f64_e32 v[186:187], v[6:7], v[136:137]
	v_fma_f64 v[192:193], v[4:5], v[136:137], -v[138:139]
	ds_load_b128 v[4:7], v2 offset:1344
	ds_load_b128 v[136:139], v2 offset:1360
	v_add_f64_e32 v[194:195], v[162:163], v[160:161]
	v_add_f64_e32 v[184:185], v[184:185], v[188:189]
	scratch_load_b128 v[160:163], off, off offset:592
	s_wait_loadcnt_dscnt 0xb01
	v_mul_f64_e32 v[188:189], v[4:5], v[146:147]
	v_mul_f64_e32 v[146:147], v[6:7], v[146:147]
	v_fmac_f64_e32 v[190:191], v[130:131], v[140:141]
	v_fma_f64 v[140:141], v[128:129], v[140:141], -v[142:143]
	scratch_load_b128 v[128:131], off, off offset:608
	v_add_f64_e32 v[142:143], v[194:195], v[192:193]
	v_add_f64_e32 v[184:185], v[184:185], v[186:187]
	s_wait_loadcnt_dscnt 0xb00
	v_mul_f64_e32 v[186:187], v[136:137], v[150:151]
	v_mul_f64_e32 v[150:151], v[138:139], v[150:151]
	v_fmac_f64_e32 v[188:189], v[6:7], v[144:145]
	v_fma_f64 v[192:193], v[4:5], v[144:145], -v[146:147]
	v_add_f64_e32 v[194:195], v[142:143], v[140:141]
	v_add_f64_e32 v[184:185], v[184:185], v[190:191]
	ds_load_b128 v[4:7], v2 offset:1376
	ds_load_b128 v[140:143], v2 offset:1392
	scratch_load_b128 v[144:147], off, off offset:624
	v_fmac_f64_e32 v[186:187], v[138:139], v[148:149]
	v_fma_f64 v[148:149], v[136:137], v[148:149], -v[150:151]
	scratch_load_b128 v[136:139], off, off offset:640
	s_wait_loadcnt_dscnt 0xc01
	v_mul_f64_e32 v[190:191], v[4:5], v[154:155]
	v_mul_f64_e32 v[154:155], v[6:7], v[154:155]
	v_add_f64_e32 v[150:151], v[194:195], v[192:193]
	v_add_f64_e32 v[184:185], v[184:185], v[188:189]
	s_wait_loadcnt_dscnt 0xb00
	v_mul_f64_e32 v[188:189], v[140:141], v[158:159]
	v_mul_f64_e32 v[158:159], v[142:143], v[158:159]
	v_fmac_f64_e32 v[190:191], v[6:7], v[152:153]
	v_fma_f64 v[192:193], v[4:5], v[152:153], -v[154:155]
	v_add_f64_e32 v[194:195], v[150:151], v[148:149]
	v_add_f64_e32 v[184:185], v[184:185], v[186:187]
	ds_load_b128 v[4:7], v2 offset:1408
	ds_load_b128 v[148:151], v2 offset:1424
	scratch_load_b128 v[152:155], off, off offset:656
	v_fmac_f64_e32 v[188:189], v[142:143], v[156:157]
	v_fma_f64 v[156:157], v[140:141], v[156:157], -v[158:159]
	scratch_load_b128 v[140:143], off, off offset:672
	s_wait_loadcnt_dscnt 0xc01
	v_mul_f64_e32 v[186:187], v[4:5], v[166:167]
	v_mul_f64_e32 v[166:167], v[6:7], v[166:167]
	;; [unrolled: 18-line block ×5, first 2 shown]
	v_add_f64_e32 v[178:179], v[194:195], v[192:193]
	v_add_f64_e32 v[184:185], v[184:185], v[190:191]
	s_wait_loadcnt_dscnt 0xa00
	v_mul_f64_e32 v[190:191], v[156:157], v[130:131]
	v_mul_f64_e32 v[130:131], v[158:159], v[130:131]
	v_fmac_f64_e32 v[186:187], v[6:7], v[160:161]
	v_fma_f64 v[192:193], v[4:5], v[160:161], -v[162:163]
	ds_load_b128 v[4:7], v2 offset:1536
	ds_load_b128 v[160:163], v2 offset:1552
	v_add_f64_e32 v[194:195], v[178:179], v[176:177]
	v_add_f64_e32 v[184:185], v[184:185], v[188:189]
	scratch_load_b128 v[176:179], off, off offset:784
	v_fmac_f64_e32 v[190:191], v[158:159], v[128:129]
	v_fma_f64 v[156:157], v[156:157], v[128:129], -v[130:131]
	scratch_load_b128 v[128:131], off, off offset:800
	s_wait_loadcnt_dscnt 0xb01
	v_mul_f64_e32 v[188:189], v[4:5], v[146:147]
	v_mul_f64_e32 v[146:147], v[6:7], v[146:147]
	v_add_f64_e32 v[158:159], v[194:195], v[192:193]
	v_add_f64_e32 v[184:185], v[184:185], v[186:187]
	s_wait_loadcnt_dscnt 0xa00
	v_mul_f64_e32 v[186:187], v[160:161], v[138:139]
	v_mul_f64_e32 v[138:139], v[162:163], v[138:139]
	v_fmac_f64_e32 v[188:189], v[6:7], v[144:145]
	v_fma_f64 v[192:193], v[4:5], v[144:145], -v[146:147]
	ds_load_b128 v[4:7], v2 offset:1568
	ds_load_b128 v[144:147], v2 offset:1584
	v_add_f64_e32 v[194:195], v[158:159], v[156:157]
	v_add_f64_e32 v[184:185], v[184:185], v[190:191]
	scratch_load_b128 v[156:159], off, off offset:816
	s_wait_loadcnt_dscnt 0xa01
	v_mul_f64_e32 v[190:191], v[4:5], v[154:155]
	v_mul_f64_e32 v[154:155], v[6:7], v[154:155]
	v_fmac_f64_e32 v[186:187], v[162:163], v[136:137]
	v_fma_f64 v[160:161], v[160:161], v[136:137], -v[138:139]
	scratch_load_b128 v[136:139], off, off offset:832
	v_add_f64_e32 v[162:163], v[194:195], v[192:193]
	v_add_f64_e32 v[184:185], v[184:185], v[188:189]
	s_wait_loadcnt_dscnt 0xa00
	v_mul_f64_e32 v[188:189], v[144:145], v[142:143]
	v_mul_f64_e32 v[142:143], v[146:147], v[142:143]
	v_fmac_f64_e32 v[190:191], v[6:7], v[152:153]
	v_fma_f64 v[192:193], v[4:5], v[152:153], -v[154:155]
	ds_load_b128 v[4:7], v2 offset:1600
	ds_load_b128 v[152:155], v2 offset:1616
	v_add_f64_e32 v[194:195], v[162:163], v[160:161]
	v_add_f64_e32 v[184:185], v[184:185], v[186:187]
	scratch_load_b128 v[160:163], off, off offset:848
	s_wait_loadcnt_dscnt 0xa01
	v_mul_f64_e32 v[186:187], v[4:5], v[166:167]
	v_mul_f64_e32 v[166:167], v[6:7], v[166:167]
	v_fmac_f64_e32 v[188:189], v[146:147], v[140:141]
	v_fma_f64 v[144:145], v[144:145], v[140:141], -v[142:143]
	scratch_load_b128 v[140:143], off, off offset:864
	v_add_f64_e32 v[146:147], v[194:195], v[192:193]
	v_add_f64_e32 v[184:185], v[184:185], v[190:191]
	s_wait_loadcnt_dscnt 0xa00
	v_mul_f64_e32 v[190:191], v[152:153], v[150:151]
	v_mul_f64_e32 v[150:151], v[154:155], v[150:151]
	v_fmac_f64_e32 v[186:187], v[6:7], v[164:165]
	v_fma_f64 v[192:193], v[4:5], v[164:165], -v[166:167]
	v_add_f64_e32 v[194:195], v[146:147], v[144:145]
	v_add_f64_e32 v[184:185], v[184:185], v[188:189]
	ds_load_b128 v[4:7], v2 offset:1632
	ds_load_b128 v[144:147], v2 offset:1648
	scratch_load_b128 v[164:167], off, off offset:880
	v_fmac_f64_e32 v[190:191], v[154:155], v[148:149]
	v_fma_f64 v[152:153], v[152:153], v[148:149], -v[150:151]
	scratch_load_b128 v[148:151], off, off offset:896
	s_wait_loadcnt_dscnt 0xb01
	v_mul_f64_e32 v[188:189], v[4:5], v[182:183]
	v_mul_f64_e32 v[182:183], v[6:7], v[182:183]
	v_add_f64_e32 v[154:155], v[194:195], v[192:193]
	v_add_f64_e32 v[184:185], v[184:185], v[186:187]
	s_wait_loadcnt_dscnt 0xa00
	v_mul_f64_e32 v[186:187], v[144:145], v[10:11]
	v_mul_f64_e32 v[10:11], v[146:147], v[10:11]
	v_fmac_f64_e32 v[188:189], v[6:7], v[180:181]
	v_fma_f64 v[180:181], v[4:5], v[180:181], -v[182:183]
	v_add_f64_e32 v[182:183], v[154:155], v[152:153]
	v_add_f64_e32 v[184:185], v[184:185], v[190:191]
	ds_load_b128 v[4:7], v2 offset:1664
	ds_load_b128 v[152:155], v2 offset:1680
	v_fmac_f64_e32 v[186:187], v[146:147], v[8:9]
	v_fma_f64 v[8:9], v[144:145], v[8:9], -v[10:11]
	s_wait_loadcnt_dscnt 0x901
	v_mul_f64_e32 v[190:191], v[4:5], v[170:171]
	v_mul_f64_e32 v[170:171], v[6:7], v[170:171]
	s_wait_loadcnt_dscnt 0x800
	v_mul_f64_e32 v[146:147], v[152:153], v[134:135]
	v_mul_f64_e32 v[134:135], v[154:155], v[134:135]
	v_add_f64_e32 v[10:11], v[182:183], v[180:181]
	v_add_f64_e32 v[144:145], v[184:185], v[188:189]
	v_fmac_f64_e32 v[190:191], v[6:7], v[168:169]
	v_fma_f64 v[168:169], v[4:5], v[168:169], -v[170:171]
	v_fmac_f64_e32 v[146:147], v[154:155], v[132:133]
	v_fma_f64 v[132:133], v[152:153], v[132:133], -v[134:135]
	v_add_f64_e32 v[170:171], v[10:11], v[8:9]
	v_add_f64_e32 v[144:145], v[144:145], v[186:187]
	ds_load_b128 v[4:7], v2 offset:1696
	ds_load_b128 v[8:11], v2 offset:1712
	s_wait_loadcnt_dscnt 0x701
	v_mul_f64_e32 v[180:181], v[4:5], v[178:179]
	v_mul_f64_e32 v[178:179], v[6:7], v[178:179]
	s_wait_loadcnt_dscnt 0x600
	v_mul_f64_e32 v[152:153], v[8:9], v[130:131]
	v_mul_f64_e32 v[154:155], v[10:11], v[130:131]
	v_add_f64_e32 v[134:135], v[170:171], v[168:169]
	v_add_f64_e32 v[144:145], v[144:145], v[190:191]
	v_fmac_f64_e32 v[180:181], v[6:7], v[176:177]
	v_fma_f64 v[168:169], v[4:5], v[176:177], -v[178:179]
	v_fmac_f64_e32 v[152:153], v[10:11], v[128:129]
	v_fma_f64 v[8:9], v[8:9], v[128:129], -v[154:155]
	v_add_f64_e32 v[134:135], v[134:135], v[132:133]
	v_add_f64_e32 v[144:145], v[144:145], v[146:147]
	ds_load_b128 v[4:7], v2 offset:1728
	ds_load_b128 v[130:133], v2 offset:1744
	s_wait_loadcnt_dscnt 0x501
	v_mul_f64_e32 v[146:147], v[4:5], v[158:159]
	v_mul_f64_e32 v[158:159], v[6:7], v[158:159]
	v_add_f64_e32 v[10:11], v[134:135], v[168:169]
	v_add_f64_e32 v[128:129], v[144:145], v[180:181]
	s_wait_loadcnt_dscnt 0x400
	v_mul_f64_e32 v[134:135], v[130:131], v[138:139]
	v_mul_f64_e32 v[138:139], v[132:133], v[138:139]
	v_fmac_f64_e32 v[146:147], v[6:7], v[156:157]
	v_fma_f64 v[144:145], v[4:5], v[156:157], -v[158:159]
	v_add_f64_e32 v[154:155], v[10:11], v[8:9]
	v_add_f64_e32 v[128:129], v[128:129], v[152:153]
	ds_load_b128 v[4:7], v2 offset:1760
	ds_load_b128 v[8:11], v2 offset:1776
	v_fmac_f64_e32 v[134:135], v[132:133], v[136:137]
	v_fma_f64 v[130:131], v[130:131], v[136:137], -v[138:139]
	s_wait_loadcnt_dscnt 0x301
	v_mul_f64_e32 v[152:153], v[4:5], v[162:163]
	v_mul_f64_e32 v[156:157], v[6:7], v[162:163]
	s_wait_loadcnt_dscnt 0x200
	v_mul_f64_e32 v[136:137], v[8:9], v[142:143]
	v_mul_f64_e32 v[138:139], v[10:11], v[142:143]
	v_add_f64_e32 v[132:133], v[154:155], v[144:145]
	v_add_f64_e32 v[128:129], v[128:129], v[146:147]
	v_fmac_f64_e32 v[152:153], v[6:7], v[160:161]
	v_fma_f64 v[142:143], v[4:5], v[160:161], -v[156:157]
	v_fmac_f64_e32 v[136:137], v[10:11], v[140:141]
	v_fma_f64 v[8:9], v[8:9], v[140:141], -v[138:139]
	v_add_f64_e32 v[132:133], v[132:133], v[130:131]
	v_add_f64_e32 v[134:135], v[128:129], v[134:135]
	ds_load_b128 v[4:7], v2 offset:1792
	ds_load_b128 v[128:131], v2 offset:1808
	s_wait_loadcnt_dscnt 0x101
	v_mul_f64_e32 v[2:3], v[4:5], v[166:167]
	v_mul_f64_e32 v[144:145], v[6:7], v[166:167]
	s_wait_loadcnt_dscnt 0x0
	v_mul_f64_e32 v[138:139], v[130:131], v[150:151]
	v_add_f64_e32 v[10:11], v[132:133], v[142:143]
	v_add_f64_e32 v[132:133], v[134:135], v[152:153]
	v_mul_f64_e32 v[134:135], v[128:129], v[150:151]
	v_fmac_f64_e32 v[2:3], v[6:7], v[164:165]
	v_fma_f64 v[4:5], v[4:5], v[164:165], -v[144:145]
	v_add_f64_e32 v[6:7], v[10:11], v[8:9]
	v_add_f64_e32 v[8:9], v[132:133], v[136:137]
	v_fmac_f64_e32 v[134:135], v[130:131], v[148:149]
	v_fma_f64 v[10:11], v[128:129], v[148:149], -v[138:139]
	s_delay_alu instid0(VALU_DEP_4) | instskip(NEXT) | instid1(VALU_DEP_4)
	v_add_f64_e32 v[4:5], v[6:7], v[4:5]
	v_add_f64_e32 v[2:3], v[8:9], v[2:3]
	s_delay_alu instid0(VALU_DEP_2) | instskip(NEXT) | instid1(VALU_DEP_2)
	v_add_f64_e32 v[4:5], v[4:5], v[10:11]
	v_add_f64_e32 v[6:7], v[2:3], v[134:135]
	s_delay_alu instid0(VALU_DEP_2) | instskip(NEXT) | instid1(VALU_DEP_2)
	v_add_f64_e64 v[2:3], v[172:173], -v[4:5]
	v_add_f64_e64 v[4:5], v[174:175], -v[6:7]
	scratch_store_b128 off, v[2:5], off offset:320
	s_wait_xcnt 0x0
	v_cmpx_lt_u32_e32 19, v1
	s_cbranch_execz .LBB56_317
; %bb.316:
	scratch_load_b128 v[2:5], off, s66
	v_mov_b32_e32 v6, 0
	s_delay_alu instid0(VALU_DEP_1)
	v_dual_mov_b32 v7, v6 :: v_dual_mov_b32 v8, v6
	v_mov_b32_e32 v9, v6
	scratch_store_b128 off, v[6:9], off offset:304
	s_wait_loadcnt 0x0
	ds_store_b128 v12, v[2:5]
.LBB56_317:
	s_wait_xcnt 0x0
	s_or_b32 exec_lo, exec_lo, s2
	s_wait_storecnt_dscnt 0x0
	s_barrier_signal -1
	s_barrier_wait -1
	s_clause 0x9
	scratch_load_b128 v[4:7], off, off offset:320
	scratch_load_b128 v[8:11], off, off offset:336
	;; [unrolled: 1-line block ×10, first 2 shown]
	v_mov_b32_e32 v2, 0
	s_mov_b32 s2, exec_lo
	ds_load_b128 v[160:163], v2 offset:1232
	s_clause 0x2
	scratch_load_b128 v[164:167], off, off offset:480
	scratch_load_b128 v[168:171], off, off offset:304
	;; [unrolled: 1-line block ×3, first 2 shown]
	s_wait_loadcnt_dscnt 0xc00
	v_mul_f64_e32 v[180:181], v[162:163], v[6:7]
	v_mul_f64_e32 v[184:185], v[160:161], v[6:7]
	ds_load_b128 v[172:175], v2 offset:1248
	v_fma_f64 v[188:189], v[160:161], v[4:5], -v[180:181]
	v_fmac_f64_e32 v[184:185], v[162:163], v[4:5]
	ds_load_b128 v[4:7], v2 offset:1264
	s_wait_loadcnt_dscnt 0xb01
	v_mul_f64_e32 v[186:187], v[172:173], v[10:11]
	v_mul_f64_e32 v[10:11], v[174:175], v[10:11]
	scratch_load_b128 v[160:163], off, off offset:512
	ds_load_b128 v[180:183], v2 offset:1280
	s_wait_loadcnt_dscnt 0xb01
	v_mul_f64_e32 v[190:191], v[4:5], v[130:131]
	v_mul_f64_e32 v[130:131], v[6:7], v[130:131]
	v_add_f64_e32 v[184:185], 0, v[184:185]
	v_fmac_f64_e32 v[186:187], v[174:175], v[8:9]
	v_fma_f64 v[172:173], v[172:173], v[8:9], -v[10:11]
	v_add_f64_e32 v[174:175], 0, v[188:189]
	scratch_load_b128 v[8:11], off, off offset:528
	v_fmac_f64_e32 v[190:191], v[6:7], v[128:129]
	v_fma_f64 v[192:193], v[4:5], v[128:129], -v[130:131]
	ds_load_b128 v[4:7], v2 offset:1296
	s_wait_loadcnt_dscnt 0xb01
	v_mul_f64_e32 v[188:189], v[180:181], v[134:135]
	v_mul_f64_e32 v[134:135], v[182:183], v[134:135]
	scratch_load_b128 v[128:131], off, off offset:544
	v_add_f64_e32 v[184:185], v[184:185], v[186:187]
	v_add_f64_e32 v[194:195], v[174:175], v[172:173]
	ds_load_b128 v[172:175], v2 offset:1312
	s_wait_loadcnt_dscnt 0xb01
	v_mul_f64_e32 v[186:187], v[4:5], v[138:139]
	v_mul_f64_e32 v[138:139], v[6:7], v[138:139]
	v_fmac_f64_e32 v[188:189], v[182:183], v[132:133]
	v_fma_f64 v[180:181], v[180:181], v[132:133], -v[134:135]
	scratch_load_b128 v[132:135], off, off offset:560
	v_add_f64_e32 v[184:185], v[184:185], v[190:191]
	v_add_f64_e32 v[182:183], v[194:195], v[192:193]
	v_fmac_f64_e32 v[186:187], v[6:7], v[136:137]
	v_fma_f64 v[192:193], v[4:5], v[136:137], -v[138:139]
	ds_load_b128 v[4:7], v2 offset:1328
	s_wait_loadcnt_dscnt 0xb01
	v_mul_f64_e32 v[190:191], v[172:173], v[142:143]
	v_mul_f64_e32 v[142:143], v[174:175], v[142:143]
	scratch_load_b128 v[136:139], off, off offset:576
	v_add_f64_e32 v[184:185], v[184:185], v[188:189]
	s_wait_loadcnt_dscnt 0xb00
	v_mul_f64_e32 v[188:189], v[4:5], v[146:147]
	v_add_f64_e32 v[194:195], v[182:183], v[180:181]
	v_mul_f64_e32 v[146:147], v[6:7], v[146:147]
	ds_load_b128 v[180:183], v2 offset:1344
	v_fmac_f64_e32 v[190:191], v[174:175], v[140:141]
	v_fma_f64 v[172:173], v[172:173], v[140:141], -v[142:143]
	scratch_load_b128 v[140:143], off, off offset:592
	v_add_f64_e32 v[184:185], v[184:185], v[186:187]
	v_fmac_f64_e32 v[188:189], v[6:7], v[144:145]
	v_add_f64_e32 v[174:175], v[194:195], v[192:193]
	v_fma_f64 v[192:193], v[4:5], v[144:145], -v[146:147]
	ds_load_b128 v[4:7], v2 offset:1360
	s_wait_loadcnt_dscnt 0xb01
	v_mul_f64_e32 v[186:187], v[180:181], v[150:151]
	v_mul_f64_e32 v[150:151], v[182:183], v[150:151]
	scratch_load_b128 v[144:147], off, off offset:608
	v_add_f64_e32 v[184:185], v[184:185], v[190:191]
	s_wait_loadcnt_dscnt 0xb00
	v_mul_f64_e32 v[190:191], v[4:5], v[154:155]
	v_add_f64_e32 v[194:195], v[174:175], v[172:173]
	v_mul_f64_e32 v[154:155], v[6:7], v[154:155]
	ds_load_b128 v[172:175], v2 offset:1376
	v_fmac_f64_e32 v[186:187], v[182:183], v[148:149]
	v_fma_f64 v[180:181], v[180:181], v[148:149], -v[150:151]
	scratch_load_b128 v[148:151], off, off offset:624
	v_add_f64_e32 v[184:185], v[184:185], v[188:189]
	v_fmac_f64_e32 v[190:191], v[6:7], v[152:153]
	v_add_f64_e32 v[182:183], v[194:195], v[192:193]
	v_fma_f64 v[192:193], v[4:5], v[152:153], -v[154:155]
	ds_load_b128 v[4:7], v2 offset:1392
	s_wait_loadcnt_dscnt 0xb01
	v_mul_f64_e32 v[188:189], v[172:173], v[158:159]
	v_mul_f64_e32 v[158:159], v[174:175], v[158:159]
	scratch_load_b128 v[152:155], off, off offset:640
	v_add_f64_e32 v[184:185], v[184:185], v[186:187]
	s_wait_loadcnt_dscnt 0xb00
	v_mul_f64_e32 v[186:187], v[4:5], v[166:167]
	v_add_f64_e32 v[194:195], v[182:183], v[180:181]
	v_mul_f64_e32 v[166:167], v[6:7], v[166:167]
	ds_load_b128 v[180:183], v2 offset:1408
	v_fmac_f64_e32 v[188:189], v[174:175], v[156:157]
	v_fma_f64 v[172:173], v[172:173], v[156:157], -v[158:159]
	scratch_load_b128 v[156:159], off, off offset:656
	v_add_f64_e32 v[184:185], v[184:185], v[190:191]
	v_fmac_f64_e32 v[186:187], v[6:7], v[164:165]
	v_add_f64_e32 v[174:175], v[194:195], v[192:193]
	v_fma_f64 v[192:193], v[4:5], v[164:165], -v[166:167]
	ds_load_b128 v[4:7], v2 offset:1424
	s_wait_loadcnt_dscnt 0xa01
	v_mul_f64_e32 v[190:191], v[180:181], v[178:179]
	v_mul_f64_e32 v[178:179], v[182:183], v[178:179]
	scratch_load_b128 v[164:167], off, off offset:672
	v_add_f64_e32 v[184:185], v[184:185], v[188:189]
	v_add_f64_e32 v[194:195], v[174:175], v[172:173]
	s_wait_loadcnt_dscnt 0xa00
	v_mul_f64_e32 v[188:189], v[4:5], v[162:163]
	v_mul_f64_e32 v[162:163], v[6:7], v[162:163]
	v_fmac_f64_e32 v[190:191], v[182:183], v[176:177]
	v_fma_f64 v[180:181], v[180:181], v[176:177], -v[178:179]
	ds_load_b128 v[172:175], v2 offset:1440
	scratch_load_b128 v[176:179], off, off offset:688
	v_add_f64_e32 v[184:185], v[184:185], v[186:187]
	v_add_f64_e32 v[182:183], v[194:195], v[192:193]
	v_fmac_f64_e32 v[188:189], v[6:7], v[160:161]
	v_fma_f64 v[192:193], v[4:5], v[160:161], -v[162:163]
	ds_load_b128 v[4:7], v2 offset:1456
	s_wait_loadcnt_dscnt 0xa01
	v_mul_f64_e32 v[186:187], v[172:173], v[10:11]
	v_mul_f64_e32 v[10:11], v[174:175], v[10:11]
	scratch_load_b128 v[160:163], off, off offset:704
	v_add_f64_e32 v[184:185], v[184:185], v[190:191]
	s_wait_loadcnt_dscnt 0xa00
	v_mul_f64_e32 v[190:191], v[4:5], v[130:131]
	v_add_f64_e32 v[194:195], v[182:183], v[180:181]
	v_mul_f64_e32 v[130:131], v[6:7], v[130:131]
	ds_load_b128 v[180:183], v2 offset:1472
	v_fmac_f64_e32 v[186:187], v[174:175], v[8:9]
	v_fma_f64 v[172:173], v[172:173], v[8:9], -v[10:11]
	scratch_load_b128 v[8:11], off, off offset:720
	v_add_f64_e32 v[184:185], v[184:185], v[188:189]
	v_fmac_f64_e32 v[190:191], v[6:7], v[128:129]
	v_add_f64_e32 v[174:175], v[194:195], v[192:193]
	v_fma_f64 v[192:193], v[4:5], v[128:129], -v[130:131]
	ds_load_b128 v[4:7], v2 offset:1488
	s_wait_loadcnt_dscnt 0xa01
	v_mul_f64_e32 v[188:189], v[180:181], v[134:135]
	v_mul_f64_e32 v[134:135], v[182:183], v[134:135]
	scratch_load_b128 v[128:131], off, off offset:736
	v_add_f64_e32 v[184:185], v[184:185], v[186:187]
	s_wait_loadcnt_dscnt 0xa00
	v_mul_f64_e32 v[186:187], v[4:5], v[138:139]
	v_add_f64_e32 v[194:195], v[174:175], v[172:173]
	v_mul_f64_e32 v[138:139], v[6:7], v[138:139]
	ds_load_b128 v[172:175], v2 offset:1504
	v_fmac_f64_e32 v[188:189], v[182:183], v[132:133]
	v_fma_f64 v[180:181], v[180:181], v[132:133], -v[134:135]
	scratch_load_b128 v[132:135], off, off offset:752
	v_add_f64_e32 v[184:185], v[184:185], v[190:191]
	v_fmac_f64_e32 v[186:187], v[6:7], v[136:137]
	v_add_f64_e32 v[182:183], v[194:195], v[192:193]
	;; [unrolled: 18-line block ×6, first 2 shown]
	v_fma_f64 v[192:193], v[4:5], v[160:161], -v[162:163]
	ds_load_b128 v[4:7], v2 offset:1648
	s_wait_loadcnt_dscnt 0xa01
	v_mul_f64_e32 v[186:187], v[172:173], v[10:11]
	v_mul_f64_e32 v[10:11], v[174:175], v[10:11]
	scratch_load_b128 v[160:163], off, off offset:896
	v_add_f64_e32 v[184:185], v[184:185], v[190:191]
	s_wait_loadcnt_dscnt 0xa00
	v_mul_f64_e32 v[190:191], v[4:5], v[130:131]
	v_add_f64_e32 v[194:195], v[182:183], v[180:181]
	v_mul_f64_e32 v[130:131], v[6:7], v[130:131]
	ds_load_b128 v[180:183], v2 offset:1664
	v_fmac_f64_e32 v[186:187], v[174:175], v[8:9]
	v_fma_f64 v[8:9], v[172:173], v[8:9], -v[10:11]
	s_wait_loadcnt_dscnt 0x900
	v_mul_f64_e32 v[174:175], v[180:181], v[134:135]
	v_mul_f64_e32 v[134:135], v[182:183], v[134:135]
	v_add_f64_e32 v[172:173], v[184:185], v[188:189]
	v_fmac_f64_e32 v[190:191], v[6:7], v[128:129]
	v_add_f64_e32 v[10:11], v[194:195], v[192:193]
	v_fma_f64 v[128:129], v[4:5], v[128:129], -v[130:131]
	v_fmac_f64_e32 v[174:175], v[182:183], v[132:133]
	v_fma_f64 v[132:133], v[180:181], v[132:133], -v[134:135]
	v_add_f64_e32 v[172:173], v[172:173], v[186:187]
	v_add_f64_e32 v[130:131], v[10:11], v[8:9]
	ds_load_b128 v[4:7], v2 offset:1680
	ds_load_b128 v[8:11], v2 offset:1696
	s_wait_loadcnt_dscnt 0x801
	v_mul_f64_e32 v[184:185], v[4:5], v[138:139]
	v_mul_f64_e32 v[138:139], v[6:7], v[138:139]
	s_wait_loadcnt_dscnt 0x700
	v_mul_f64_e32 v[134:135], v[8:9], v[142:143]
	v_mul_f64_e32 v[142:143], v[10:11], v[142:143]
	v_add_f64_e32 v[128:129], v[130:131], v[128:129]
	v_add_f64_e32 v[130:131], v[172:173], v[190:191]
	v_fmac_f64_e32 v[184:185], v[6:7], v[136:137]
	v_fma_f64 v[136:137], v[4:5], v[136:137], -v[138:139]
	v_fmac_f64_e32 v[134:135], v[10:11], v[140:141]
	v_fma_f64 v[8:9], v[8:9], v[140:141], -v[142:143]
	v_add_f64_e32 v[132:133], v[128:129], v[132:133]
	v_add_f64_e32 v[138:139], v[130:131], v[174:175]
	ds_load_b128 v[4:7], v2 offset:1712
	ds_load_b128 v[128:131], v2 offset:1728
	s_wait_loadcnt_dscnt 0x601
	v_mul_f64_e32 v[172:173], v[4:5], v[146:147]
	v_mul_f64_e32 v[146:147], v[6:7], v[146:147]
	v_add_f64_e32 v[10:11], v[132:133], v[136:137]
	v_add_f64_e32 v[132:133], v[138:139], v[184:185]
	s_wait_loadcnt_dscnt 0x500
	v_mul_f64_e32 v[136:137], v[128:129], v[150:151]
	v_mul_f64_e32 v[138:139], v[130:131], v[150:151]
	v_fmac_f64_e32 v[172:173], v[6:7], v[144:145]
	v_fma_f64 v[140:141], v[4:5], v[144:145], -v[146:147]
	v_add_f64_e32 v[142:143], v[10:11], v[8:9]
	v_add_f64_e32 v[132:133], v[132:133], v[134:135]
	ds_load_b128 v[4:7], v2 offset:1744
	ds_load_b128 v[8:11], v2 offset:1760
	v_fmac_f64_e32 v[136:137], v[130:131], v[148:149]
	v_fma_f64 v[128:129], v[128:129], v[148:149], -v[138:139]
	s_wait_loadcnt_dscnt 0x401
	v_mul_f64_e32 v[134:135], v[4:5], v[154:155]
	v_mul_f64_e32 v[144:145], v[6:7], v[154:155]
	s_wait_loadcnt_dscnt 0x300
	v_mul_f64_e32 v[138:139], v[8:9], v[158:159]
	v_add_f64_e32 v[130:131], v[142:143], v[140:141]
	v_add_f64_e32 v[132:133], v[132:133], v[172:173]
	v_mul_f64_e32 v[140:141], v[10:11], v[158:159]
	v_fmac_f64_e32 v[134:135], v[6:7], v[152:153]
	v_fma_f64 v[142:143], v[4:5], v[152:153], -v[144:145]
	v_fmac_f64_e32 v[138:139], v[10:11], v[156:157]
	v_add_f64_e32 v[144:145], v[130:131], v[128:129]
	v_add_f64_e32 v[132:133], v[132:133], v[136:137]
	ds_load_b128 v[4:7], v2 offset:1776
	ds_load_b128 v[128:131], v2 offset:1792
	v_fma_f64 v[8:9], v[8:9], v[156:157], -v[140:141]
	s_wait_loadcnt_dscnt 0x201
	v_mul_f64_e32 v[136:137], v[4:5], v[166:167]
	v_mul_f64_e32 v[146:147], v[6:7], v[166:167]
	s_wait_loadcnt_dscnt 0x100
	v_mul_f64_e32 v[140:141], v[130:131], v[178:179]
	v_add_f64_e32 v[10:11], v[144:145], v[142:143]
	v_add_f64_e32 v[132:133], v[132:133], v[134:135]
	v_mul_f64_e32 v[134:135], v[128:129], v[178:179]
	v_fmac_f64_e32 v[136:137], v[6:7], v[164:165]
	v_fma_f64 v[142:143], v[4:5], v[164:165], -v[146:147]
	ds_load_b128 v[4:7], v2 offset:1808
	v_fma_f64 v[128:129], v[128:129], v[176:177], -v[140:141]
	v_add_f64_e32 v[8:9], v[10:11], v[8:9]
	v_add_f64_e32 v[10:11], v[132:133], v[138:139]
	v_fmac_f64_e32 v[134:135], v[130:131], v[176:177]
	s_wait_loadcnt_dscnt 0x0
	v_mul_f64_e32 v[132:133], v[4:5], v[162:163]
	v_mul_f64_e32 v[138:139], v[6:7], v[162:163]
	v_add_f64_e32 v[8:9], v[8:9], v[142:143]
	v_add_f64_e32 v[10:11], v[10:11], v[136:137]
	s_delay_alu instid0(VALU_DEP_4) | instskip(NEXT) | instid1(VALU_DEP_4)
	v_fmac_f64_e32 v[132:133], v[6:7], v[160:161]
	v_fma_f64 v[4:5], v[4:5], v[160:161], -v[138:139]
	s_delay_alu instid0(VALU_DEP_4) | instskip(NEXT) | instid1(VALU_DEP_4)
	v_add_f64_e32 v[6:7], v[8:9], v[128:129]
	v_add_f64_e32 v[8:9], v[10:11], v[134:135]
	s_delay_alu instid0(VALU_DEP_2) | instskip(NEXT) | instid1(VALU_DEP_2)
	v_add_f64_e32 v[4:5], v[6:7], v[4:5]
	v_add_f64_e32 v[6:7], v[8:9], v[132:133]
	s_delay_alu instid0(VALU_DEP_2) | instskip(NEXT) | instid1(VALU_DEP_2)
	v_add_f64_e64 v[4:5], v[168:169], -v[4:5]
	v_add_f64_e64 v[6:7], v[170:171], -v[6:7]
	scratch_store_b128 off, v[4:7], off offset:304
	s_wait_xcnt 0x0
	v_cmpx_lt_u32_e32 18, v1
	s_cbranch_execz .LBB56_319
; %bb.318:
	scratch_load_b128 v[6:9], off, s64
	v_dual_mov_b32 v3, v2 :: v_dual_mov_b32 v4, v2
	v_mov_b32_e32 v5, v2
	scratch_store_b128 off, v[2:5], off offset:288
	s_wait_loadcnt 0x0
	ds_store_b128 v12, v[6:9]
.LBB56_319:
	s_wait_xcnt 0x0
	s_or_b32 exec_lo, exec_lo, s2
	s_wait_storecnt_dscnt 0x0
	s_barrier_signal -1
	s_barrier_wait -1
	s_clause 0x9
	scratch_load_b128 v[4:7], off, off offset:304
	scratch_load_b128 v[8:11], off, off offset:320
	;; [unrolled: 1-line block ×10, first 2 shown]
	ds_load_b128 v[160:163], v2 offset:1216
	ds_load_b128 v[168:171], v2 offset:1232
	s_clause 0x2
	scratch_load_b128 v[164:167], off, off offset:464
	scratch_load_b128 v[172:175], off, off offset:288
	;; [unrolled: 1-line block ×3, first 2 shown]
	s_mov_b32 s2, exec_lo
	s_wait_loadcnt_dscnt 0xc01
	v_mul_f64_e32 v[180:181], v[162:163], v[6:7]
	v_mul_f64_e32 v[184:185], v[160:161], v[6:7]
	s_wait_loadcnt_dscnt 0xb00
	v_mul_f64_e32 v[186:187], v[168:169], v[10:11]
	v_mul_f64_e32 v[10:11], v[170:171], v[10:11]
	s_delay_alu instid0(VALU_DEP_4) | instskip(NEXT) | instid1(VALU_DEP_4)
	v_fma_f64 v[188:189], v[160:161], v[4:5], -v[180:181]
	v_fmac_f64_e32 v[184:185], v[162:163], v[4:5]
	ds_load_b128 v[4:7], v2 offset:1248
	ds_load_b128 v[160:163], v2 offset:1264
	scratch_load_b128 v[180:183], off, off offset:496
	v_fmac_f64_e32 v[186:187], v[170:171], v[8:9]
	v_fma_f64 v[168:169], v[168:169], v[8:9], -v[10:11]
	scratch_load_b128 v[8:11], off, off offset:512
	s_wait_loadcnt_dscnt 0xc01
	v_mul_f64_e32 v[190:191], v[4:5], v[130:131]
	v_mul_f64_e32 v[130:131], v[6:7], v[130:131]
	v_add_f64_e32 v[170:171], 0, v[188:189]
	v_add_f64_e32 v[184:185], 0, v[184:185]
	s_wait_loadcnt_dscnt 0xb00
	v_mul_f64_e32 v[188:189], v[160:161], v[134:135]
	v_mul_f64_e32 v[134:135], v[162:163], v[134:135]
	v_fmac_f64_e32 v[190:191], v[6:7], v[128:129]
	v_fma_f64 v[192:193], v[4:5], v[128:129], -v[130:131]
	ds_load_b128 v[4:7], v2 offset:1280
	ds_load_b128 v[128:131], v2 offset:1296
	v_add_f64_e32 v[194:195], v[170:171], v[168:169]
	v_add_f64_e32 v[184:185], v[184:185], v[186:187]
	scratch_load_b128 v[168:171], off, off offset:528
	v_fmac_f64_e32 v[188:189], v[162:163], v[132:133]
	v_fma_f64 v[160:161], v[160:161], v[132:133], -v[134:135]
	scratch_load_b128 v[132:135], off, off offset:544
	s_wait_loadcnt_dscnt 0xc01
	v_mul_f64_e32 v[186:187], v[4:5], v[138:139]
	v_mul_f64_e32 v[138:139], v[6:7], v[138:139]
	v_add_f64_e32 v[162:163], v[194:195], v[192:193]
	v_add_f64_e32 v[184:185], v[184:185], v[190:191]
	s_wait_loadcnt_dscnt 0xb00
	v_mul_f64_e32 v[190:191], v[128:129], v[142:143]
	v_mul_f64_e32 v[142:143], v[130:131], v[142:143]
	v_fmac_f64_e32 v[186:187], v[6:7], v[136:137]
	v_fma_f64 v[192:193], v[4:5], v[136:137], -v[138:139]
	ds_load_b128 v[4:7], v2 offset:1312
	ds_load_b128 v[136:139], v2 offset:1328
	v_add_f64_e32 v[194:195], v[162:163], v[160:161]
	v_add_f64_e32 v[184:185], v[184:185], v[188:189]
	scratch_load_b128 v[160:163], off, off offset:560
	s_wait_loadcnt_dscnt 0xb01
	v_mul_f64_e32 v[188:189], v[4:5], v[146:147]
	v_mul_f64_e32 v[146:147], v[6:7], v[146:147]
	v_fmac_f64_e32 v[190:191], v[130:131], v[140:141]
	v_fma_f64 v[140:141], v[128:129], v[140:141], -v[142:143]
	scratch_load_b128 v[128:131], off, off offset:576
	v_add_f64_e32 v[142:143], v[194:195], v[192:193]
	v_add_f64_e32 v[184:185], v[184:185], v[186:187]
	s_wait_loadcnt_dscnt 0xb00
	v_mul_f64_e32 v[186:187], v[136:137], v[150:151]
	v_mul_f64_e32 v[150:151], v[138:139], v[150:151]
	v_fmac_f64_e32 v[188:189], v[6:7], v[144:145]
	v_fma_f64 v[192:193], v[4:5], v[144:145], -v[146:147]
	v_add_f64_e32 v[194:195], v[142:143], v[140:141]
	v_add_f64_e32 v[184:185], v[184:185], v[190:191]
	ds_load_b128 v[4:7], v2 offset:1344
	ds_load_b128 v[140:143], v2 offset:1360
	scratch_load_b128 v[144:147], off, off offset:592
	v_fmac_f64_e32 v[186:187], v[138:139], v[148:149]
	v_fma_f64 v[148:149], v[136:137], v[148:149], -v[150:151]
	scratch_load_b128 v[136:139], off, off offset:608
	s_wait_loadcnt_dscnt 0xc01
	v_mul_f64_e32 v[190:191], v[4:5], v[154:155]
	v_mul_f64_e32 v[154:155], v[6:7], v[154:155]
	v_add_f64_e32 v[150:151], v[194:195], v[192:193]
	v_add_f64_e32 v[184:185], v[184:185], v[188:189]
	s_wait_loadcnt_dscnt 0xb00
	v_mul_f64_e32 v[188:189], v[140:141], v[158:159]
	v_mul_f64_e32 v[158:159], v[142:143], v[158:159]
	v_fmac_f64_e32 v[190:191], v[6:7], v[152:153]
	v_fma_f64 v[192:193], v[4:5], v[152:153], -v[154:155]
	v_add_f64_e32 v[194:195], v[150:151], v[148:149]
	v_add_f64_e32 v[184:185], v[184:185], v[186:187]
	ds_load_b128 v[4:7], v2 offset:1376
	ds_load_b128 v[148:151], v2 offset:1392
	scratch_load_b128 v[152:155], off, off offset:624
	v_fmac_f64_e32 v[188:189], v[142:143], v[156:157]
	v_fma_f64 v[156:157], v[140:141], v[156:157], -v[158:159]
	scratch_load_b128 v[140:143], off, off offset:640
	s_wait_loadcnt_dscnt 0xc01
	v_mul_f64_e32 v[186:187], v[4:5], v[166:167]
	v_mul_f64_e32 v[166:167], v[6:7], v[166:167]
	;; [unrolled: 18-line block ×5, first 2 shown]
	v_add_f64_e32 v[178:179], v[194:195], v[192:193]
	v_add_f64_e32 v[184:185], v[184:185], v[190:191]
	s_wait_loadcnt_dscnt 0xa00
	v_mul_f64_e32 v[190:191], v[156:157], v[130:131]
	v_mul_f64_e32 v[130:131], v[158:159], v[130:131]
	v_fmac_f64_e32 v[186:187], v[6:7], v[160:161]
	v_fma_f64 v[192:193], v[4:5], v[160:161], -v[162:163]
	ds_load_b128 v[4:7], v2 offset:1504
	ds_load_b128 v[160:163], v2 offset:1520
	v_add_f64_e32 v[194:195], v[178:179], v[176:177]
	v_add_f64_e32 v[184:185], v[184:185], v[188:189]
	scratch_load_b128 v[176:179], off, off offset:752
	v_fmac_f64_e32 v[190:191], v[158:159], v[128:129]
	v_fma_f64 v[156:157], v[156:157], v[128:129], -v[130:131]
	scratch_load_b128 v[128:131], off, off offset:768
	s_wait_loadcnt_dscnt 0xb01
	v_mul_f64_e32 v[188:189], v[4:5], v[146:147]
	v_mul_f64_e32 v[146:147], v[6:7], v[146:147]
	v_add_f64_e32 v[158:159], v[194:195], v[192:193]
	v_add_f64_e32 v[184:185], v[184:185], v[186:187]
	s_wait_loadcnt_dscnt 0xa00
	v_mul_f64_e32 v[186:187], v[160:161], v[138:139]
	v_mul_f64_e32 v[138:139], v[162:163], v[138:139]
	v_fmac_f64_e32 v[188:189], v[6:7], v[144:145]
	v_fma_f64 v[192:193], v[4:5], v[144:145], -v[146:147]
	ds_load_b128 v[4:7], v2 offset:1536
	ds_load_b128 v[144:147], v2 offset:1552
	v_add_f64_e32 v[194:195], v[158:159], v[156:157]
	v_add_f64_e32 v[184:185], v[184:185], v[190:191]
	scratch_load_b128 v[156:159], off, off offset:784
	s_wait_loadcnt_dscnt 0xa01
	v_mul_f64_e32 v[190:191], v[4:5], v[154:155]
	v_mul_f64_e32 v[154:155], v[6:7], v[154:155]
	v_fmac_f64_e32 v[186:187], v[162:163], v[136:137]
	v_fma_f64 v[160:161], v[160:161], v[136:137], -v[138:139]
	scratch_load_b128 v[136:139], off, off offset:800
	v_add_f64_e32 v[162:163], v[194:195], v[192:193]
	v_add_f64_e32 v[184:185], v[184:185], v[188:189]
	s_wait_loadcnt_dscnt 0xa00
	v_mul_f64_e32 v[188:189], v[144:145], v[142:143]
	v_mul_f64_e32 v[142:143], v[146:147], v[142:143]
	v_fmac_f64_e32 v[190:191], v[6:7], v[152:153]
	v_fma_f64 v[192:193], v[4:5], v[152:153], -v[154:155]
	ds_load_b128 v[4:7], v2 offset:1568
	ds_load_b128 v[152:155], v2 offset:1584
	v_add_f64_e32 v[194:195], v[162:163], v[160:161]
	v_add_f64_e32 v[184:185], v[184:185], v[186:187]
	scratch_load_b128 v[160:163], off, off offset:816
	s_wait_loadcnt_dscnt 0xa01
	v_mul_f64_e32 v[186:187], v[4:5], v[166:167]
	v_mul_f64_e32 v[166:167], v[6:7], v[166:167]
	v_fmac_f64_e32 v[188:189], v[146:147], v[140:141]
	v_fma_f64 v[144:145], v[144:145], v[140:141], -v[142:143]
	scratch_load_b128 v[140:143], off, off offset:832
	v_add_f64_e32 v[146:147], v[194:195], v[192:193]
	v_add_f64_e32 v[184:185], v[184:185], v[190:191]
	s_wait_loadcnt_dscnt 0xa00
	v_mul_f64_e32 v[190:191], v[152:153], v[150:151]
	v_mul_f64_e32 v[150:151], v[154:155], v[150:151]
	v_fmac_f64_e32 v[186:187], v[6:7], v[164:165]
	v_fma_f64 v[192:193], v[4:5], v[164:165], -v[166:167]
	v_add_f64_e32 v[194:195], v[146:147], v[144:145]
	v_add_f64_e32 v[184:185], v[184:185], v[188:189]
	ds_load_b128 v[4:7], v2 offset:1600
	ds_load_b128 v[144:147], v2 offset:1616
	scratch_load_b128 v[164:167], off, off offset:848
	v_fmac_f64_e32 v[190:191], v[154:155], v[148:149]
	v_fma_f64 v[152:153], v[152:153], v[148:149], -v[150:151]
	scratch_load_b128 v[148:151], off, off offset:864
	s_wait_loadcnt_dscnt 0xb01
	v_mul_f64_e32 v[188:189], v[4:5], v[182:183]
	v_mul_f64_e32 v[182:183], v[6:7], v[182:183]
	v_add_f64_e32 v[154:155], v[194:195], v[192:193]
	v_add_f64_e32 v[184:185], v[184:185], v[186:187]
	s_wait_loadcnt_dscnt 0xa00
	v_mul_f64_e32 v[186:187], v[144:145], v[10:11]
	v_mul_f64_e32 v[10:11], v[146:147], v[10:11]
	v_fmac_f64_e32 v[188:189], v[6:7], v[180:181]
	v_fma_f64 v[192:193], v[4:5], v[180:181], -v[182:183]
	v_add_f64_e32 v[194:195], v[154:155], v[152:153]
	v_add_f64_e32 v[184:185], v[184:185], v[190:191]
	ds_load_b128 v[4:7], v2 offset:1632
	ds_load_b128 v[152:155], v2 offset:1648
	scratch_load_b128 v[180:183], off, off offset:880
	v_fmac_f64_e32 v[186:187], v[146:147], v[8:9]
	v_fma_f64 v[144:145], v[144:145], v[8:9], -v[10:11]
	scratch_load_b128 v[8:11], off, off offset:896
	s_wait_loadcnt_dscnt 0xb01
	v_mul_f64_e32 v[190:191], v[4:5], v[170:171]
	v_mul_f64_e32 v[170:171], v[6:7], v[170:171]
	v_add_f64_e32 v[146:147], v[194:195], v[192:193]
	v_add_f64_e32 v[184:185], v[184:185], v[188:189]
	s_wait_loadcnt_dscnt 0xa00
	v_mul_f64_e32 v[188:189], v[152:153], v[134:135]
	v_mul_f64_e32 v[134:135], v[154:155], v[134:135]
	v_fmac_f64_e32 v[190:191], v[6:7], v[168:169]
	v_fma_f64 v[168:169], v[4:5], v[168:169], -v[170:171]
	v_add_f64_e32 v[170:171], v[146:147], v[144:145]
	v_add_f64_e32 v[184:185], v[184:185], v[186:187]
	ds_load_b128 v[4:7], v2 offset:1664
	ds_load_b128 v[144:147], v2 offset:1680
	v_fmac_f64_e32 v[188:189], v[154:155], v[132:133]
	v_fma_f64 v[132:133], v[152:153], v[132:133], -v[134:135]
	s_wait_loadcnt_dscnt 0x901
	v_mul_f64_e32 v[186:187], v[4:5], v[178:179]
	v_mul_f64_e32 v[178:179], v[6:7], v[178:179]
	s_wait_loadcnt_dscnt 0x800
	v_mul_f64_e32 v[154:155], v[144:145], v[130:131]
	v_add_f64_e32 v[134:135], v[170:171], v[168:169]
	v_add_f64_e32 v[152:153], v[184:185], v[190:191]
	v_mul_f64_e32 v[168:169], v[146:147], v[130:131]
	v_fmac_f64_e32 v[186:187], v[6:7], v[176:177]
	v_fma_f64 v[170:171], v[4:5], v[176:177], -v[178:179]
	v_fmac_f64_e32 v[154:155], v[146:147], v[128:129]
	v_add_f64_e32 v[134:135], v[134:135], v[132:133]
	v_add_f64_e32 v[152:153], v[152:153], v[188:189]
	ds_load_b128 v[4:7], v2 offset:1696
	ds_load_b128 v[130:133], v2 offset:1712
	v_fma_f64 v[128:129], v[144:145], v[128:129], -v[168:169]
	s_wait_loadcnt_dscnt 0x701
	v_mul_f64_e32 v[176:177], v[4:5], v[158:159]
	v_mul_f64_e32 v[158:159], v[6:7], v[158:159]
	v_add_f64_e32 v[134:135], v[134:135], v[170:171]
	v_add_f64_e32 v[144:145], v[152:153], v[186:187]
	s_wait_loadcnt_dscnt 0x600
	v_mul_f64_e32 v[152:153], v[130:131], v[138:139]
	v_mul_f64_e32 v[138:139], v[132:133], v[138:139]
	v_fmac_f64_e32 v[176:177], v[6:7], v[156:157]
	v_fma_f64 v[156:157], v[4:5], v[156:157], -v[158:159]
	v_add_f64_e32 v[128:129], v[134:135], v[128:129]
	v_add_f64_e32 v[134:135], v[144:145], v[154:155]
	ds_load_b128 v[4:7], v2 offset:1728
	ds_load_b128 v[144:147], v2 offset:1744
	v_fmac_f64_e32 v[152:153], v[132:133], v[136:137]
	v_fma_f64 v[130:131], v[130:131], v[136:137], -v[138:139]
	s_wait_loadcnt_dscnt 0x501
	v_mul_f64_e32 v[154:155], v[4:5], v[162:163]
	v_mul_f64_e32 v[158:159], v[6:7], v[162:163]
	s_wait_loadcnt_dscnt 0x400
	v_mul_f64_e32 v[136:137], v[146:147], v[142:143]
	v_add_f64_e32 v[128:129], v[128:129], v[156:157]
	v_add_f64_e32 v[132:133], v[134:135], v[176:177]
	v_mul_f64_e32 v[134:135], v[144:145], v[142:143]
	v_fmac_f64_e32 v[154:155], v[6:7], v[160:161]
	v_fma_f64 v[138:139], v[4:5], v[160:161], -v[158:159]
	v_fma_f64 v[136:137], v[144:145], v[140:141], -v[136:137]
	v_add_f64_e32 v[142:143], v[128:129], v[130:131]
	v_add_f64_e32 v[132:133], v[132:133], v[152:153]
	ds_load_b128 v[4:7], v2 offset:1760
	ds_load_b128 v[128:131], v2 offset:1776
	v_fmac_f64_e32 v[134:135], v[146:147], v[140:141]
	s_wait_loadcnt_dscnt 0x301
	v_mul_f64_e32 v[152:153], v[4:5], v[166:167]
	v_mul_f64_e32 v[156:157], v[6:7], v[166:167]
	s_wait_loadcnt_dscnt 0x200
	v_mul_f64_e32 v[140:141], v[128:129], v[150:151]
	v_add_f64_e32 v[138:139], v[142:143], v[138:139]
	v_add_f64_e32 v[132:133], v[132:133], v[154:155]
	v_mul_f64_e32 v[142:143], v[130:131], v[150:151]
	v_fmac_f64_e32 v[152:153], v[6:7], v[164:165]
	v_fma_f64 v[144:145], v[4:5], v[164:165], -v[156:157]
	v_fmac_f64_e32 v[140:141], v[130:131], v[148:149]
	v_add_f64_e32 v[136:137], v[138:139], v[136:137]
	v_add_f64_e32 v[138:139], v[132:133], v[134:135]
	ds_load_b128 v[4:7], v2 offset:1792
	ds_load_b128 v[132:135], v2 offset:1808
	v_fma_f64 v[128:129], v[128:129], v[148:149], -v[142:143]
	s_wait_loadcnt_dscnt 0x101
	v_mul_f64_e32 v[2:3], v[4:5], v[182:183]
	v_mul_f64_e32 v[146:147], v[6:7], v[182:183]
	v_add_f64_e32 v[130:131], v[136:137], v[144:145]
	v_add_f64_e32 v[136:137], v[138:139], v[152:153]
	s_wait_loadcnt_dscnt 0x0
	v_mul_f64_e32 v[138:139], v[132:133], v[10:11]
	v_mul_f64_e32 v[10:11], v[134:135], v[10:11]
	v_fmac_f64_e32 v[2:3], v[6:7], v[180:181]
	v_fma_f64 v[4:5], v[4:5], v[180:181], -v[146:147]
	v_add_f64_e32 v[6:7], v[130:131], v[128:129]
	v_add_f64_e32 v[128:129], v[136:137], v[140:141]
	v_fmac_f64_e32 v[138:139], v[134:135], v[8:9]
	v_fma_f64 v[8:9], v[132:133], v[8:9], -v[10:11]
	s_delay_alu instid0(VALU_DEP_4) | instskip(NEXT) | instid1(VALU_DEP_4)
	v_add_f64_e32 v[4:5], v[6:7], v[4:5]
	v_add_f64_e32 v[2:3], v[128:129], v[2:3]
	s_delay_alu instid0(VALU_DEP_2) | instskip(NEXT) | instid1(VALU_DEP_2)
	v_add_f64_e32 v[4:5], v[4:5], v[8:9]
	v_add_f64_e32 v[6:7], v[2:3], v[138:139]
	s_delay_alu instid0(VALU_DEP_2) | instskip(NEXT) | instid1(VALU_DEP_2)
	v_add_f64_e64 v[2:3], v[172:173], -v[4:5]
	v_add_f64_e64 v[4:5], v[174:175], -v[6:7]
	scratch_store_b128 off, v[2:5], off offset:288
	s_wait_xcnt 0x0
	v_cmpx_lt_u32_e32 17, v1
	s_cbranch_execz .LBB56_321
; %bb.320:
	scratch_load_b128 v[2:5], off, s62
	v_mov_b32_e32 v6, 0
	s_delay_alu instid0(VALU_DEP_1)
	v_dual_mov_b32 v7, v6 :: v_dual_mov_b32 v8, v6
	v_mov_b32_e32 v9, v6
	scratch_store_b128 off, v[6:9], off offset:272
	s_wait_loadcnt 0x0
	ds_store_b128 v12, v[2:5]
.LBB56_321:
	s_wait_xcnt 0x0
	s_or_b32 exec_lo, exec_lo, s2
	s_wait_storecnt_dscnt 0x0
	s_barrier_signal -1
	s_barrier_wait -1
	s_clause 0x9
	scratch_load_b128 v[4:7], off, off offset:288
	scratch_load_b128 v[8:11], off, off offset:304
	;; [unrolled: 1-line block ×10, first 2 shown]
	v_mov_b32_e32 v2, 0
	s_mov_b32 s2, exec_lo
	ds_load_b128 v[160:163], v2 offset:1200
	s_clause 0x2
	scratch_load_b128 v[164:167], off, off offset:448
	scratch_load_b128 v[168:171], off, off offset:272
	;; [unrolled: 1-line block ×3, first 2 shown]
	s_wait_loadcnt_dscnt 0xc00
	v_mul_f64_e32 v[180:181], v[162:163], v[6:7]
	v_mul_f64_e32 v[184:185], v[160:161], v[6:7]
	ds_load_b128 v[172:175], v2 offset:1216
	v_fma_f64 v[188:189], v[160:161], v[4:5], -v[180:181]
	v_fmac_f64_e32 v[184:185], v[162:163], v[4:5]
	ds_load_b128 v[4:7], v2 offset:1232
	s_wait_loadcnt_dscnt 0xb01
	v_mul_f64_e32 v[186:187], v[172:173], v[10:11]
	v_mul_f64_e32 v[10:11], v[174:175], v[10:11]
	scratch_load_b128 v[160:163], off, off offset:480
	ds_load_b128 v[180:183], v2 offset:1248
	s_wait_loadcnt_dscnt 0xb01
	v_mul_f64_e32 v[190:191], v[4:5], v[130:131]
	v_mul_f64_e32 v[130:131], v[6:7], v[130:131]
	v_add_f64_e32 v[184:185], 0, v[184:185]
	v_fmac_f64_e32 v[186:187], v[174:175], v[8:9]
	v_fma_f64 v[172:173], v[172:173], v[8:9], -v[10:11]
	v_add_f64_e32 v[174:175], 0, v[188:189]
	scratch_load_b128 v[8:11], off, off offset:496
	v_fmac_f64_e32 v[190:191], v[6:7], v[128:129]
	v_fma_f64 v[192:193], v[4:5], v[128:129], -v[130:131]
	ds_load_b128 v[4:7], v2 offset:1264
	s_wait_loadcnt_dscnt 0xb01
	v_mul_f64_e32 v[188:189], v[180:181], v[134:135]
	v_mul_f64_e32 v[134:135], v[182:183], v[134:135]
	scratch_load_b128 v[128:131], off, off offset:512
	v_add_f64_e32 v[184:185], v[184:185], v[186:187]
	v_add_f64_e32 v[194:195], v[174:175], v[172:173]
	ds_load_b128 v[172:175], v2 offset:1280
	s_wait_loadcnt_dscnt 0xb01
	v_mul_f64_e32 v[186:187], v[4:5], v[138:139]
	v_mul_f64_e32 v[138:139], v[6:7], v[138:139]
	v_fmac_f64_e32 v[188:189], v[182:183], v[132:133]
	v_fma_f64 v[180:181], v[180:181], v[132:133], -v[134:135]
	scratch_load_b128 v[132:135], off, off offset:528
	v_add_f64_e32 v[184:185], v[184:185], v[190:191]
	v_add_f64_e32 v[182:183], v[194:195], v[192:193]
	v_fmac_f64_e32 v[186:187], v[6:7], v[136:137]
	v_fma_f64 v[192:193], v[4:5], v[136:137], -v[138:139]
	ds_load_b128 v[4:7], v2 offset:1296
	s_wait_loadcnt_dscnt 0xb01
	v_mul_f64_e32 v[190:191], v[172:173], v[142:143]
	v_mul_f64_e32 v[142:143], v[174:175], v[142:143]
	scratch_load_b128 v[136:139], off, off offset:544
	v_add_f64_e32 v[184:185], v[184:185], v[188:189]
	s_wait_loadcnt_dscnt 0xb00
	v_mul_f64_e32 v[188:189], v[4:5], v[146:147]
	v_add_f64_e32 v[194:195], v[182:183], v[180:181]
	v_mul_f64_e32 v[146:147], v[6:7], v[146:147]
	ds_load_b128 v[180:183], v2 offset:1312
	v_fmac_f64_e32 v[190:191], v[174:175], v[140:141]
	v_fma_f64 v[172:173], v[172:173], v[140:141], -v[142:143]
	scratch_load_b128 v[140:143], off, off offset:560
	v_add_f64_e32 v[184:185], v[184:185], v[186:187]
	v_fmac_f64_e32 v[188:189], v[6:7], v[144:145]
	v_add_f64_e32 v[174:175], v[194:195], v[192:193]
	v_fma_f64 v[192:193], v[4:5], v[144:145], -v[146:147]
	ds_load_b128 v[4:7], v2 offset:1328
	s_wait_loadcnt_dscnt 0xb01
	v_mul_f64_e32 v[186:187], v[180:181], v[150:151]
	v_mul_f64_e32 v[150:151], v[182:183], v[150:151]
	scratch_load_b128 v[144:147], off, off offset:576
	v_add_f64_e32 v[184:185], v[184:185], v[190:191]
	s_wait_loadcnt_dscnt 0xb00
	v_mul_f64_e32 v[190:191], v[4:5], v[154:155]
	v_add_f64_e32 v[194:195], v[174:175], v[172:173]
	v_mul_f64_e32 v[154:155], v[6:7], v[154:155]
	ds_load_b128 v[172:175], v2 offset:1344
	v_fmac_f64_e32 v[186:187], v[182:183], v[148:149]
	v_fma_f64 v[180:181], v[180:181], v[148:149], -v[150:151]
	scratch_load_b128 v[148:151], off, off offset:592
	v_add_f64_e32 v[184:185], v[184:185], v[188:189]
	v_fmac_f64_e32 v[190:191], v[6:7], v[152:153]
	v_add_f64_e32 v[182:183], v[194:195], v[192:193]
	;; [unrolled: 18-line block ×3, first 2 shown]
	v_fma_f64 v[192:193], v[4:5], v[164:165], -v[166:167]
	ds_load_b128 v[4:7], v2 offset:1392
	s_wait_loadcnt_dscnt 0xa01
	v_mul_f64_e32 v[190:191], v[180:181], v[178:179]
	v_mul_f64_e32 v[178:179], v[182:183], v[178:179]
	scratch_load_b128 v[164:167], off, off offset:640
	v_add_f64_e32 v[184:185], v[184:185], v[188:189]
	v_add_f64_e32 v[194:195], v[174:175], v[172:173]
	s_wait_loadcnt_dscnt 0xa00
	v_mul_f64_e32 v[188:189], v[4:5], v[162:163]
	v_mul_f64_e32 v[162:163], v[6:7], v[162:163]
	v_fmac_f64_e32 v[190:191], v[182:183], v[176:177]
	v_fma_f64 v[180:181], v[180:181], v[176:177], -v[178:179]
	ds_load_b128 v[172:175], v2 offset:1408
	scratch_load_b128 v[176:179], off, off offset:656
	v_add_f64_e32 v[184:185], v[184:185], v[186:187]
	v_add_f64_e32 v[182:183], v[194:195], v[192:193]
	v_fmac_f64_e32 v[188:189], v[6:7], v[160:161]
	v_fma_f64 v[192:193], v[4:5], v[160:161], -v[162:163]
	ds_load_b128 v[4:7], v2 offset:1424
	s_wait_loadcnt_dscnt 0xa01
	v_mul_f64_e32 v[186:187], v[172:173], v[10:11]
	v_mul_f64_e32 v[10:11], v[174:175], v[10:11]
	scratch_load_b128 v[160:163], off, off offset:672
	v_add_f64_e32 v[184:185], v[184:185], v[190:191]
	s_wait_loadcnt_dscnt 0xa00
	v_mul_f64_e32 v[190:191], v[4:5], v[130:131]
	v_add_f64_e32 v[194:195], v[182:183], v[180:181]
	v_mul_f64_e32 v[130:131], v[6:7], v[130:131]
	ds_load_b128 v[180:183], v2 offset:1440
	v_fmac_f64_e32 v[186:187], v[174:175], v[8:9]
	v_fma_f64 v[172:173], v[172:173], v[8:9], -v[10:11]
	scratch_load_b128 v[8:11], off, off offset:688
	v_add_f64_e32 v[184:185], v[184:185], v[188:189]
	v_fmac_f64_e32 v[190:191], v[6:7], v[128:129]
	v_add_f64_e32 v[174:175], v[194:195], v[192:193]
	v_fma_f64 v[192:193], v[4:5], v[128:129], -v[130:131]
	ds_load_b128 v[4:7], v2 offset:1456
	s_wait_loadcnt_dscnt 0xa01
	v_mul_f64_e32 v[188:189], v[180:181], v[134:135]
	v_mul_f64_e32 v[134:135], v[182:183], v[134:135]
	scratch_load_b128 v[128:131], off, off offset:704
	v_add_f64_e32 v[184:185], v[184:185], v[186:187]
	s_wait_loadcnt_dscnt 0xa00
	v_mul_f64_e32 v[186:187], v[4:5], v[138:139]
	v_add_f64_e32 v[194:195], v[174:175], v[172:173]
	v_mul_f64_e32 v[138:139], v[6:7], v[138:139]
	ds_load_b128 v[172:175], v2 offset:1472
	v_fmac_f64_e32 v[188:189], v[182:183], v[132:133]
	v_fma_f64 v[180:181], v[180:181], v[132:133], -v[134:135]
	scratch_load_b128 v[132:135], off, off offset:720
	v_add_f64_e32 v[184:185], v[184:185], v[190:191]
	v_fmac_f64_e32 v[186:187], v[6:7], v[136:137]
	v_add_f64_e32 v[182:183], v[194:195], v[192:193]
	v_fma_f64 v[192:193], v[4:5], v[136:137], -v[138:139]
	ds_load_b128 v[4:7], v2 offset:1488
	s_wait_loadcnt_dscnt 0xa01
	v_mul_f64_e32 v[190:191], v[172:173], v[142:143]
	v_mul_f64_e32 v[142:143], v[174:175], v[142:143]
	scratch_load_b128 v[136:139], off, off offset:736
	v_add_f64_e32 v[184:185], v[184:185], v[188:189]
	s_wait_loadcnt_dscnt 0xa00
	v_mul_f64_e32 v[188:189], v[4:5], v[146:147]
	v_add_f64_e32 v[194:195], v[182:183], v[180:181]
	v_mul_f64_e32 v[146:147], v[6:7], v[146:147]
	ds_load_b128 v[180:183], v2 offset:1504
	v_fmac_f64_e32 v[190:191], v[174:175], v[140:141]
	v_fma_f64 v[172:173], v[172:173], v[140:141], -v[142:143]
	scratch_load_b128 v[140:143], off, off offset:752
	v_add_f64_e32 v[184:185], v[184:185], v[186:187]
	v_fmac_f64_e32 v[188:189], v[6:7], v[144:145]
	v_add_f64_e32 v[174:175], v[194:195], v[192:193]
	v_fma_f64 v[192:193], v[4:5], v[144:145], -v[146:147]
	ds_load_b128 v[4:7], v2 offset:1520
	s_wait_loadcnt_dscnt 0xa01
	v_mul_f64_e32 v[186:187], v[180:181], v[150:151]
	v_mul_f64_e32 v[150:151], v[182:183], v[150:151]
	scratch_load_b128 v[144:147], off, off offset:768
	v_add_f64_e32 v[184:185], v[184:185], v[190:191]
	s_wait_loadcnt_dscnt 0xa00
	v_mul_f64_e32 v[190:191], v[4:5], v[154:155]
	v_add_f64_e32 v[194:195], v[174:175], v[172:173]
	v_mul_f64_e32 v[154:155], v[6:7], v[154:155]
	ds_load_b128 v[172:175], v2 offset:1536
	v_fmac_f64_e32 v[186:187], v[182:183], v[148:149]
	v_fma_f64 v[180:181], v[180:181], v[148:149], -v[150:151]
	scratch_load_b128 v[148:151], off, off offset:784
	v_add_f64_e32 v[184:185], v[184:185], v[188:189]
	v_fmac_f64_e32 v[190:191], v[6:7], v[152:153]
	v_add_f64_e32 v[182:183], v[194:195], v[192:193]
	v_fma_f64 v[192:193], v[4:5], v[152:153], -v[154:155]
	ds_load_b128 v[4:7], v2 offset:1552
	s_wait_loadcnt_dscnt 0xa01
	v_mul_f64_e32 v[188:189], v[172:173], v[158:159]
	v_mul_f64_e32 v[158:159], v[174:175], v[158:159]
	scratch_load_b128 v[152:155], off, off offset:800
	v_add_f64_e32 v[184:185], v[184:185], v[186:187]
	s_wait_loadcnt_dscnt 0xa00
	v_mul_f64_e32 v[186:187], v[4:5], v[166:167]
	v_add_f64_e32 v[194:195], v[182:183], v[180:181]
	v_mul_f64_e32 v[166:167], v[6:7], v[166:167]
	ds_load_b128 v[180:183], v2 offset:1568
	v_fmac_f64_e32 v[188:189], v[174:175], v[156:157]
	v_fma_f64 v[172:173], v[172:173], v[156:157], -v[158:159]
	scratch_load_b128 v[156:159], off, off offset:816
	v_add_f64_e32 v[184:185], v[184:185], v[190:191]
	v_fmac_f64_e32 v[186:187], v[6:7], v[164:165]
	v_add_f64_e32 v[174:175], v[194:195], v[192:193]
	v_fma_f64 v[192:193], v[4:5], v[164:165], -v[166:167]
	ds_load_b128 v[4:7], v2 offset:1584
	s_wait_loadcnt_dscnt 0xa01
	v_mul_f64_e32 v[190:191], v[180:181], v[178:179]
	v_mul_f64_e32 v[178:179], v[182:183], v[178:179]
	scratch_load_b128 v[164:167], off, off offset:832
	v_add_f64_e32 v[184:185], v[184:185], v[188:189]
	s_wait_loadcnt_dscnt 0xa00
	v_mul_f64_e32 v[188:189], v[4:5], v[162:163]
	v_add_f64_e32 v[194:195], v[174:175], v[172:173]
	v_mul_f64_e32 v[162:163], v[6:7], v[162:163]
	ds_load_b128 v[172:175], v2 offset:1600
	v_fmac_f64_e32 v[190:191], v[182:183], v[176:177]
	v_fma_f64 v[180:181], v[180:181], v[176:177], -v[178:179]
	scratch_load_b128 v[176:179], off, off offset:848
	v_add_f64_e32 v[184:185], v[184:185], v[186:187]
	v_fmac_f64_e32 v[188:189], v[6:7], v[160:161]
	v_add_f64_e32 v[182:183], v[194:195], v[192:193]
	v_fma_f64 v[192:193], v[4:5], v[160:161], -v[162:163]
	ds_load_b128 v[4:7], v2 offset:1616
	s_wait_loadcnt_dscnt 0xa01
	v_mul_f64_e32 v[186:187], v[172:173], v[10:11]
	v_mul_f64_e32 v[10:11], v[174:175], v[10:11]
	scratch_load_b128 v[160:163], off, off offset:864
	v_add_f64_e32 v[184:185], v[184:185], v[190:191]
	s_wait_loadcnt_dscnt 0xa00
	v_mul_f64_e32 v[190:191], v[4:5], v[130:131]
	v_add_f64_e32 v[194:195], v[182:183], v[180:181]
	v_mul_f64_e32 v[130:131], v[6:7], v[130:131]
	ds_load_b128 v[180:183], v2 offset:1632
	v_fmac_f64_e32 v[186:187], v[174:175], v[8:9]
	v_fma_f64 v[172:173], v[172:173], v[8:9], -v[10:11]
	scratch_load_b128 v[8:11], off, off offset:880
	v_add_f64_e32 v[184:185], v[184:185], v[188:189]
	v_fmac_f64_e32 v[190:191], v[6:7], v[128:129]
	v_add_f64_e32 v[174:175], v[194:195], v[192:193]
	v_fma_f64 v[192:193], v[4:5], v[128:129], -v[130:131]
	ds_load_b128 v[4:7], v2 offset:1648
	s_wait_loadcnt_dscnt 0xa01
	v_mul_f64_e32 v[188:189], v[180:181], v[134:135]
	v_mul_f64_e32 v[134:135], v[182:183], v[134:135]
	scratch_load_b128 v[128:131], off, off offset:896
	v_add_f64_e32 v[184:185], v[184:185], v[186:187]
	s_wait_loadcnt_dscnt 0xa00
	v_mul_f64_e32 v[186:187], v[4:5], v[138:139]
	v_add_f64_e32 v[194:195], v[174:175], v[172:173]
	v_mul_f64_e32 v[138:139], v[6:7], v[138:139]
	ds_load_b128 v[172:175], v2 offset:1664
	v_fmac_f64_e32 v[188:189], v[182:183], v[132:133]
	v_fma_f64 v[132:133], v[180:181], v[132:133], -v[134:135]
	s_wait_loadcnt_dscnt 0x900
	v_mul_f64_e32 v[182:183], v[172:173], v[142:143]
	v_mul_f64_e32 v[142:143], v[174:175], v[142:143]
	v_add_f64_e32 v[180:181], v[184:185], v[190:191]
	v_fmac_f64_e32 v[186:187], v[6:7], v[136:137]
	v_add_f64_e32 v[134:135], v[194:195], v[192:193]
	v_fma_f64 v[136:137], v[4:5], v[136:137], -v[138:139]
	v_fmac_f64_e32 v[182:183], v[174:175], v[140:141]
	v_fma_f64 v[140:141], v[172:173], v[140:141], -v[142:143]
	v_add_f64_e32 v[180:181], v[180:181], v[188:189]
	v_add_f64_e32 v[138:139], v[134:135], v[132:133]
	ds_load_b128 v[4:7], v2 offset:1680
	ds_load_b128 v[132:135], v2 offset:1696
	s_wait_loadcnt_dscnt 0x801
	v_mul_f64_e32 v[184:185], v[4:5], v[146:147]
	v_mul_f64_e32 v[146:147], v[6:7], v[146:147]
	s_wait_loadcnt_dscnt 0x700
	v_mul_f64_e32 v[142:143], v[132:133], v[150:151]
	v_mul_f64_e32 v[150:151], v[134:135], v[150:151]
	v_add_f64_e32 v[136:137], v[138:139], v[136:137]
	v_add_f64_e32 v[138:139], v[180:181], v[186:187]
	v_fmac_f64_e32 v[184:185], v[6:7], v[144:145]
	v_fma_f64 v[144:145], v[4:5], v[144:145], -v[146:147]
	v_fmac_f64_e32 v[142:143], v[134:135], v[148:149]
	v_fma_f64 v[132:133], v[132:133], v[148:149], -v[150:151]
	v_add_f64_e32 v[140:141], v[136:137], v[140:141]
	v_add_f64_e32 v[146:147], v[138:139], v[182:183]
	ds_load_b128 v[4:7], v2 offset:1712
	ds_load_b128 v[136:139], v2 offset:1728
	s_wait_loadcnt_dscnt 0x601
	v_mul_f64_e32 v[172:173], v[4:5], v[154:155]
	v_mul_f64_e32 v[154:155], v[6:7], v[154:155]
	v_add_f64_e32 v[134:135], v[140:141], v[144:145]
	v_add_f64_e32 v[140:141], v[146:147], v[184:185]
	s_wait_loadcnt_dscnt 0x500
	v_mul_f64_e32 v[144:145], v[136:137], v[158:159]
	v_mul_f64_e32 v[146:147], v[138:139], v[158:159]
	v_fmac_f64_e32 v[172:173], v[6:7], v[152:153]
	v_fma_f64 v[148:149], v[4:5], v[152:153], -v[154:155]
	v_add_f64_e32 v[150:151], v[134:135], v[132:133]
	v_add_f64_e32 v[140:141], v[140:141], v[142:143]
	ds_load_b128 v[4:7], v2 offset:1744
	ds_load_b128 v[132:135], v2 offset:1760
	v_fmac_f64_e32 v[144:145], v[138:139], v[156:157]
	v_fma_f64 v[136:137], v[136:137], v[156:157], -v[146:147]
	s_wait_loadcnt_dscnt 0x401
	v_mul_f64_e32 v[142:143], v[4:5], v[166:167]
	v_mul_f64_e32 v[152:153], v[6:7], v[166:167]
	s_wait_loadcnt_dscnt 0x300
	v_mul_f64_e32 v[146:147], v[132:133], v[178:179]
	v_add_f64_e32 v[138:139], v[150:151], v[148:149]
	v_add_f64_e32 v[140:141], v[140:141], v[172:173]
	v_mul_f64_e32 v[148:149], v[134:135], v[178:179]
	v_fmac_f64_e32 v[142:143], v[6:7], v[164:165]
	v_fma_f64 v[150:151], v[4:5], v[164:165], -v[152:153]
	v_fmac_f64_e32 v[146:147], v[134:135], v[176:177]
	v_add_f64_e32 v[152:153], v[138:139], v[136:137]
	v_add_f64_e32 v[140:141], v[140:141], v[144:145]
	ds_load_b128 v[4:7], v2 offset:1776
	ds_load_b128 v[136:139], v2 offset:1792
	v_fma_f64 v[132:133], v[132:133], v[176:177], -v[148:149]
	s_wait_loadcnt_dscnt 0x201
	v_mul_f64_e32 v[144:145], v[4:5], v[162:163]
	v_mul_f64_e32 v[154:155], v[6:7], v[162:163]
	v_add_f64_e32 v[134:135], v[152:153], v[150:151]
	v_add_f64_e32 v[140:141], v[140:141], v[142:143]
	s_wait_loadcnt_dscnt 0x100
	v_mul_f64_e32 v[142:143], v[136:137], v[10:11]
	v_mul_f64_e32 v[10:11], v[138:139], v[10:11]
	v_fmac_f64_e32 v[144:145], v[6:7], v[160:161]
	v_fma_f64 v[148:149], v[4:5], v[160:161], -v[154:155]
	ds_load_b128 v[4:7], v2 offset:1808
	v_add_f64_e32 v[132:133], v[134:135], v[132:133]
	v_add_f64_e32 v[134:135], v[140:141], v[146:147]
	v_fmac_f64_e32 v[142:143], v[138:139], v[8:9]
	v_fma_f64 v[8:9], v[136:137], v[8:9], -v[10:11]
	s_wait_loadcnt_dscnt 0x0
	v_mul_f64_e32 v[140:141], v[4:5], v[130:131]
	v_mul_f64_e32 v[130:131], v[6:7], v[130:131]
	v_add_f64_e32 v[10:11], v[132:133], v[148:149]
	v_add_f64_e32 v[132:133], v[134:135], v[144:145]
	s_delay_alu instid0(VALU_DEP_4) | instskip(NEXT) | instid1(VALU_DEP_4)
	v_fmac_f64_e32 v[140:141], v[6:7], v[128:129]
	v_fma_f64 v[4:5], v[4:5], v[128:129], -v[130:131]
	s_delay_alu instid0(VALU_DEP_4) | instskip(NEXT) | instid1(VALU_DEP_4)
	v_add_f64_e32 v[6:7], v[10:11], v[8:9]
	v_add_f64_e32 v[8:9], v[132:133], v[142:143]
	s_delay_alu instid0(VALU_DEP_2) | instskip(NEXT) | instid1(VALU_DEP_2)
	v_add_f64_e32 v[4:5], v[6:7], v[4:5]
	v_add_f64_e32 v[6:7], v[8:9], v[140:141]
	s_delay_alu instid0(VALU_DEP_2) | instskip(NEXT) | instid1(VALU_DEP_2)
	v_add_f64_e64 v[4:5], v[168:169], -v[4:5]
	v_add_f64_e64 v[6:7], v[170:171], -v[6:7]
	scratch_store_b128 off, v[4:7], off offset:272
	s_wait_xcnt 0x0
	v_cmpx_lt_u32_e32 16, v1
	s_cbranch_execz .LBB56_323
; %bb.322:
	scratch_load_b128 v[6:9], off, s60
	v_dual_mov_b32 v3, v2 :: v_dual_mov_b32 v4, v2
	v_mov_b32_e32 v5, v2
	scratch_store_b128 off, v[2:5], off offset:256
	s_wait_loadcnt 0x0
	ds_store_b128 v12, v[6:9]
.LBB56_323:
	s_wait_xcnt 0x0
	s_or_b32 exec_lo, exec_lo, s2
	s_wait_storecnt_dscnt 0x0
	s_barrier_signal -1
	s_barrier_wait -1
	s_clause 0x9
	scratch_load_b128 v[4:7], off, off offset:272
	scratch_load_b128 v[8:11], off, off offset:288
	;; [unrolled: 1-line block ×10, first 2 shown]
	ds_load_b128 v[160:163], v2 offset:1184
	ds_load_b128 v[168:171], v2 offset:1200
	s_clause 0x2
	scratch_load_b128 v[164:167], off, off offset:432
	scratch_load_b128 v[172:175], off, off offset:256
	;; [unrolled: 1-line block ×3, first 2 shown]
	s_mov_b32 s2, exec_lo
	s_wait_loadcnt_dscnt 0xc01
	v_mul_f64_e32 v[180:181], v[162:163], v[6:7]
	v_mul_f64_e32 v[184:185], v[160:161], v[6:7]
	s_wait_loadcnt_dscnt 0xb00
	v_mul_f64_e32 v[186:187], v[168:169], v[10:11]
	v_mul_f64_e32 v[10:11], v[170:171], v[10:11]
	s_delay_alu instid0(VALU_DEP_4) | instskip(NEXT) | instid1(VALU_DEP_4)
	v_fma_f64 v[188:189], v[160:161], v[4:5], -v[180:181]
	v_fmac_f64_e32 v[184:185], v[162:163], v[4:5]
	ds_load_b128 v[4:7], v2 offset:1216
	ds_load_b128 v[160:163], v2 offset:1232
	scratch_load_b128 v[180:183], off, off offset:464
	v_fmac_f64_e32 v[186:187], v[170:171], v[8:9]
	v_fma_f64 v[168:169], v[168:169], v[8:9], -v[10:11]
	scratch_load_b128 v[8:11], off, off offset:480
	s_wait_loadcnt_dscnt 0xc01
	v_mul_f64_e32 v[190:191], v[4:5], v[130:131]
	v_mul_f64_e32 v[130:131], v[6:7], v[130:131]
	v_add_f64_e32 v[170:171], 0, v[188:189]
	v_add_f64_e32 v[184:185], 0, v[184:185]
	s_wait_loadcnt_dscnt 0xb00
	v_mul_f64_e32 v[188:189], v[160:161], v[134:135]
	v_mul_f64_e32 v[134:135], v[162:163], v[134:135]
	v_fmac_f64_e32 v[190:191], v[6:7], v[128:129]
	v_fma_f64 v[192:193], v[4:5], v[128:129], -v[130:131]
	ds_load_b128 v[4:7], v2 offset:1248
	ds_load_b128 v[128:131], v2 offset:1264
	v_add_f64_e32 v[194:195], v[170:171], v[168:169]
	v_add_f64_e32 v[184:185], v[184:185], v[186:187]
	scratch_load_b128 v[168:171], off, off offset:496
	v_fmac_f64_e32 v[188:189], v[162:163], v[132:133]
	v_fma_f64 v[160:161], v[160:161], v[132:133], -v[134:135]
	scratch_load_b128 v[132:135], off, off offset:512
	s_wait_loadcnt_dscnt 0xc01
	v_mul_f64_e32 v[186:187], v[4:5], v[138:139]
	v_mul_f64_e32 v[138:139], v[6:7], v[138:139]
	v_add_f64_e32 v[162:163], v[194:195], v[192:193]
	v_add_f64_e32 v[184:185], v[184:185], v[190:191]
	s_wait_loadcnt_dscnt 0xb00
	v_mul_f64_e32 v[190:191], v[128:129], v[142:143]
	v_mul_f64_e32 v[142:143], v[130:131], v[142:143]
	v_fmac_f64_e32 v[186:187], v[6:7], v[136:137]
	v_fma_f64 v[192:193], v[4:5], v[136:137], -v[138:139]
	ds_load_b128 v[4:7], v2 offset:1280
	ds_load_b128 v[136:139], v2 offset:1296
	v_add_f64_e32 v[194:195], v[162:163], v[160:161]
	v_add_f64_e32 v[184:185], v[184:185], v[188:189]
	scratch_load_b128 v[160:163], off, off offset:528
	s_wait_loadcnt_dscnt 0xb01
	v_mul_f64_e32 v[188:189], v[4:5], v[146:147]
	v_mul_f64_e32 v[146:147], v[6:7], v[146:147]
	v_fmac_f64_e32 v[190:191], v[130:131], v[140:141]
	v_fma_f64 v[140:141], v[128:129], v[140:141], -v[142:143]
	scratch_load_b128 v[128:131], off, off offset:544
	v_add_f64_e32 v[142:143], v[194:195], v[192:193]
	v_add_f64_e32 v[184:185], v[184:185], v[186:187]
	s_wait_loadcnt_dscnt 0xb00
	v_mul_f64_e32 v[186:187], v[136:137], v[150:151]
	v_mul_f64_e32 v[150:151], v[138:139], v[150:151]
	v_fmac_f64_e32 v[188:189], v[6:7], v[144:145]
	v_fma_f64 v[192:193], v[4:5], v[144:145], -v[146:147]
	v_add_f64_e32 v[194:195], v[142:143], v[140:141]
	v_add_f64_e32 v[184:185], v[184:185], v[190:191]
	ds_load_b128 v[4:7], v2 offset:1312
	ds_load_b128 v[140:143], v2 offset:1328
	scratch_load_b128 v[144:147], off, off offset:560
	v_fmac_f64_e32 v[186:187], v[138:139], v[148:149]
	v_fma_f64 v[148:149], v[136:137], v[148:149], -v[150:151]
	scratch_load_b128 v[136:139], off, off offset:576
	s_wait_loadcnt_dscnt 0xc01
	v_mul_f64_e32 v[190:191], v[4:5], v[154:155]
	v_mul_f64_e32 v[154:155], v[6:7], v[154:155]
	v_add_f64_e32 v[150:151], v[194:195], v[192:193]
	v_add_f64_e32 v[184:185], v[184:185], v[188:189]
	s_wait_loadcnt_dscnt 0xb00
	v_mul_f64_e32 v[188:189], v[140:141], v[158:159]
	v_mul_f64_e32 v[158:159], v[142:143], v[158:159]
	v_fmac_f64_e32 v[190:191], v[6:7], v[152:153]
	v_fma_f64 v[192:193], v[4:5], v[152:153], -v[154:155]
	v_add_f64_e32 v[194:195], v[150:151], v[148:149]
	v_add_f64_e32 v[184:185], v[184:185], v[186:187]
	ds_load_b128 v[4:7], v2 offset:1344
	ds_load_b128 v[148:151], v2 offset:1360
	scratch_load_b128 v[152:155], off, off offset:592
	v_fmac_f64_e32 v[188:189], v[142:143], v[156:157]
	v_fma_f64 v[156:157], v[140:141], v[156:157], -v[158:159]
	scratch_load_b128 v[140:143], off, off offset:608
	s_wait_loadcnt_dscnt 0xc01
	v_mul_f64_e32 v[186:187], v[4:5], v[166:167]
	v_mul_f64_e32 v[166:167], v[6:7], v[166:167]
	;; [unrolled: 18-line block ×5, first 2 shown]
	v_add_f64_e32 v[178:179], v[194:195], v[192:193]
	v_add_f64_e32 v[184:185], v[184:185], v[190:191]
	s_wait_loadcnt_dscnt 0xa00
	v_mul_f64_e32 v[190:191], v[156:157], v[130:131]
	v_mul_f64_e32 v[130:131], v[158:159], v[130:131]
	v_fmac_f64_e32 v[186:187], v[6:7], v[160:161]
	v_fma_f64 v[192:193], v[4:5], v[160:161], -v[162:163]
	ds_load_b128 v[4:7], v2 offset:1472
	ds_load_b128 v[160:163], v2 offset:1488
	v_add_f64_e32 v[194:195], v[178:179], v[176:177]
	v_add_f64_e32 v[184:185], v[184:185], v[188:189]
	scratch_load_b128 v[176:179], off, off offset:720
	v_fmac_f64_e32 v[190:191], v[158:159], v[128:129]
	v_fma_f64 v[156:157], v[156:157], v[128:129], -v[130:131]
	scratch_load_b128 v[128:131], off, off offset:736
	s_wait_loadcnt_dscnt 0xb01
	v_mul_f64_e32 v[188:189], v[4:5], v[146:147]
	v_mul_f64_e32 v[146:147], v[6:7], v[146:147]
	v_add_f64_e32 v[158:159], v[194:195], v[192:193]
	v_add_f64_e32 v[184:185], v[184:185], v[186:187]
	s_wait_loadcnt_dscnt 0xa00
	v_mul_f64_e32 v[186:187], v[160:161], v[138:139]
	v_mul_f64_e32 v[138:139], v[162:163], v[138:139]
	v_fmac_f64_e32 v[188:189], v[6:7], v[144:145]
	v_fma_f64 v[192:193], v[4:5], v[144:145], -v[146:147]
	ds_load_b128 v[4:7], v2 offset:1504
	ds_load_b128 v[144:147], v2 offset:1520
	v_add_f64_e32 v[194:195], v[158:159], v[156:157]
	v_add_f64_e32 v[184:185], v[184:185], v[190:191]
	scratch_load_b128 v[156:159], off, off offset:752
	s_wait_loadcnt_dscnt 0xa01
	v_mul_f64_e32 v[190:191], v[4:5], v[154:155]
	v_mul_f64_e32 v[154:155], v[6:7], v[154:155]
	v_fmac_f64_e32 v[186:187], v[162:163], v[136:137]
	v_fma_f64 v[160:161], v[160:161], v[136:137], -v[138:139]
	scratch_load_b128 v[136:139], off, off offset:768
	v_add_f64_e32 v[162:163], v[194:195], v[192:193]
	v_add_f64_e32 v[184:185], v[184:185], v[188:189]
	s_wait_loadcnt_dscnt 0xa00
	v_mul_f64_e32 v[188:189], v[144:145], v[142:143]
	v_mul_f64_e32 v[142:143], v[146:147], v[142:143]
	v_fmac_f64_e32 v[190:191], v[6:7], v[152:153]
	v_fma_f64 v[192:193], v[4:5], v[152:153], -v[154:155]
	ds_load_b128 v[4:7], v2 offset:1536
	ds_load_b128 v[152:155], v2 offset:1552
	v_add_f64_e32 v[194:195], v[162:163], v[160:161]
	v_add_f64_e32 v[184:185], v[184:185], v[186:187]
	scratch_load_b128 v[160:163], off, off offset:784
	s_wait_loadcnt_dscnt 0xa01
	v_mul_f64_e32 v[186:187], v[4:5], v[166:167]
	v_mul_f64_e32 v[166:167], v[6:7], v[166:167]
	v_fmac_f64_e32 v[188:189], v[146:147], v[140:141]
	v_fma_f64 v[144:145], v[144:145], v[140:141], -v[142:143]
	scratch_load_b128 v[140:143], off, off offset:800
	v_add_f64_e32 v[146:147], v[194:195], v[192:193]
	v_add_f64_e32 v[184:185], v[184:185], v[190:191]
	s_wait_loadcnt_dscnt 0xa00
	v_mul_f64_e32 v[190:191], v[152:153], v[150:151]
	v_mul_f64_e32 v[150:151], v[154:155], v[150:151]
	v_fmac_f64_e32 v[186:187], v[6:7], v[164:165]
	v_fma_f64 v[192:193], v[4:5], v[164:165], -v[166:167]
	v_add_f64_e32 v[194:195], v[146:147], v[144:145]
	v_add_f64_e32 v[184:185], v[184:185], v[188:189]
	ds_load_b128 v[4:7], v2 offset:1568
	ds_load_b128 v[144:147], v2 offset:1584
	scratch_load_b128 v[164:167], off, off offset:816
	v_fmac_f64_e32 v[190:191], v[154:155], v[148:149]
	v_fma_f64 v[152:153], v[152:153], v[148:149], -v[150:151]
	scratch_load_b128 v[148:151], off, off offset:832
	s_wait_loadcnt_dscnt 0xb01
	v_mul_f64_e32 v[188:189], v[4:5], v[182:183]
	v_mul_f64_e32 v[182:183], v[6:7], v[182:183]
	v_add_f64_e32 v[154:155], v[194:195], v[192:193]
	v_add_f64_e32 v[184:185], v[184:185], v[186:187]
	s_wait_loadcnt_dscnt 0xa00
	v_mul_f64_e32 v[186:187], v[144:145], v[10:11]
	v_mul_f64_e32 v[10:11], v[146:147], v[10:11]
	v_fmac_f64_e32 v[188:189], v[6:7], v[180:181]
	v_fma_f64 v[192:193], v[4:5], v[180:181], -v[182:183]
	v_add_f64_e32 v[194:195], v[154:155], v[152:153]
	v_add_f64_e32 v[184:185], v[184:185], v[190:191]
	ds_load_b128 v[4:7], v2 offset:1600
	ds_load_b128 v[152:155], v2 offset:1616
	scratch_load_b128 v[180:183], off, off offset:848
	v_fmac_f64_e32 v[186:187], v[146:147], v[8:9]
	v_fma_f64 v[144:145], v[144:145], v[8:9], -v[10:11]
	scratch_load_b128 v[8:11], off, off offset:864
	s_wait_loadcnt_dscnt 0xb01
	v_mul_f64_e32 v[190:191], v[4:5], v[170:171]
	v_mul_f64_e32 v[170:171], v[6:7], v[170:171]
	;; [unrolled: 18-line block ×3, first 2 shown]
	v_add_f64_e32 v[154:155], v[194:195], v[192:193]
	v_add_f64_e32 v[184:185], v[184:185], v[190:191]
	s_wait_loadcnt_dscnt 0xa00
	v_mul_f64_e32 v[190:191], v[144:145], v[130:131]
	v_mul_f64_e32 v[130:131], v[146:147], v[130:131]
	v_fmac_f64_e32 v[186:187], v[6:7], v[176:177]
	v_fma_f64 v[176:177], v[4:5], v[176:177], -v[178:179]
	v_add_f64_e32 v[178:179], v[154:155], v[152:153]
	v_add_f64_e32 v[184:185], v[184:185], v[188:189]
	ds_load_b128 v[4:7], v2 offset:1664
	ds_load_b128 v[152:155], v2 offset:1680
	v_fmac_f64_e32 v[190:191], v[146:147], v[128:129]
	v_fma_f64 v[128:129], v[144:145], v[128:129], -v[130:131]
	s_wait_loadcnt_dscnt 0x901
	v_mul_f64_e32 v[188:189], v[4:5], v[158:159]
	v_mul_f64_e32 v[158:159], v[6:7], v[158:159]
	s_wait_loadcnt_dscnt 0x800
	v_mul_f64_e32 v[146:147], v[152:153], v[138:139]
	v_mul_f64_e32 v[138:139], v[154:155], v[138:139]
	v_add_f64_e32 v[130:131], v[178:179], v[176:177]
	v_add_f64_e32 v[144:145], v[184:185], v[186:187]
	v_fmac_f64_e32 v[188:189], v[6:7], v[156:157]
	v_fma_f64 v[156:157], v[4:5], v[156:157], -v[158:159]
	v_fmac_f64_e32 v[146:147], v[154:155], v[136:137]
	v_fma_f64 v[136:137], v[152:153], v[136:137], -v[138:139]
	v_add_f64_e32 v[158:159], v[130:131], v[128:129]
	v_add_f64_e32 v[144:145], v[144:145], v[190:191]
	ds_load_b128 v[4:7], v2 offset:1696
	ds_load_b128 v[128:131], v2 offset:1712
	s_wait_loadcnt_dscnt 0x701
	v_mul_f64_e32 v[176:177], v[4:5], v[162:163]
	v_mul_f64_e32 v[162:163], v[6:7], v[162:163]
	s_wait_loadcnt_dscnt 0x600
	v_mul_f64_e32 v[152:153], v[128:129], v[142:143]
	v_mul_f64_e32 v[142:143], v[130:131], v[142:143]
	v_add_f64_e32 v[138:139], v[158:159], v[156:157]
	v_add_f64_e32 v[144:145], v[144:145], v[188:189]
	v_fmac_f64_e32 v[176:177], v[6:7], v[160:161]
	v_fma_f64 v[154:155], v[4:5], v[160:161], -v[162:163]
	v_fmac_f64_e32 v[152:153], v[130:131], v[140:141]
	v_fma_f64 v[128:129], v[128:129], v[140:141], -v[142:143]
	v_add_f64_e32 v[156:157], v[138:139], v[136:137]
	v_add_f64_e32 v[144:145], v[144:145], v[146:147]
	ds_load_b128 v[4:7], v2 offset:1728
	ds_load_b128 v[136:139], v2 offset:1744
	s_wait_loadcnt_dscnt 0x501
	v_mul_f64_e32 v[146:147], v[4:5], v[166:167]
	v_mul_f64_e32 v[158:159], v[6:7], v[166:167]
	s_wait_loadcnt_dscnt 0x400
	v_mul_f64_e32 v[142:143], v[136:137], v[150:151]
	v_add_f64_e32 v[130:131], v[156:157], v[154:155]
	v_add_f64_e32 v[140:141], v[144:145], v[176:177]
	v_mul_f64_e32 v[144:145], v[138:139], v[150:151]
	v_fmac_f64_e32 v[146:147], v[6:7], v[164:165]
	v_fma_f64 v[150:151], v[4:5], v[164:165], -v[158:159]
	v_fmac_f64_e32 v[142:143], v[138:139], v[148:149]
	v_add_f64_e32 v[154:155], v[130:131], v[128:129]
	v_add_f64_e32 v[140:141], v[140:141], v[152:153]
	ds_load_b128 v[4:7], v2 offset:1760
	ds_load_b128 v[128:131], v2 offset:1776
	v_fma_f64 v[136:137], v[136:137], v[148:149], -v[144:145]
	s_wait_loadcnt_dscnt 0x301
	v_mul_f64_e32 v[152:153], v[4:5], v[182:183]
	v_mul_f64_e32 v[156:157], v[6:7], v[182:183]
	s_wait_loadcnt_dscnt 0x200
	v_mul_f64_e32 v[144:145], v[128:129], v[10:11]
	v_mul_f64_e32 v[10:11], v[130:131], v[10:11]
	v_add_f64_e32 v[138:139], v[154:155], v[150:151]
	v_add_f64_e32 v[140:141], v[140:141], v[146:147]
	v_fmac_f64_e32 v[152:153], v[6:7], v[180:181]
	v_fma_f64 v[146:147], v[4:5], v[180:181], -v[156:157]
	v_fmac_f64_e32 v[144:145], v[130:131], v[8:9]
	v_fma_f64 v[8:9], v[128:129], v[8:9], -v[10:11]
	v_add_f64_e32 v[148:149], v[138:139], v[136:137]
	v_add_f64_e32 v[140:141], v[140:141], v[142:143]
	ds_load_b128 v[4:7], v2 offset:1792
	ds_load_b128 v[136:139], v2 offset:1808
	s_wait_loadcnt_dscnt 0x101
	v_mul_f64_e32 v[2:3], v[4:5], v[170:171]
	v_mul_f64_e32 v[142:143], v[6:7], v[170:171]
	s_wait_loadcnt_dscnt 0x0
	v_mul_f64_e32 v[130:131], v[136:137], v[134:135]
	v_mul_f64_e32 v[134:135], v[138:139], v[134:135]
	v_add_f64_e32 v[10:11], v[148:149], v[146:147]
	v_add_f64_e32 v[128:129], v[140:141], v[152:153]
	v_fmac_f64_e32 v[2:3], v[6:7], v[168:169]
	v_fma_f64 v[4:5], v[4:5], v[168:169], -v[142:143]
	v_fmac_f64_e32 v[130:131], v[138:139], v[132:133]
	v_add_f64_e32 v[6:7], v[10:11], v[8:9]
	v_add_f64_e32 v[8:9], v[128:129], v[144:145]
	v_fma_f64 v[10:11], v[136:137], v[132:133], -v[134:135]
	s_delay_alu instid0(VALU_DEP_3) | instskip(NEXT) | instid1(VALU_DEP_3)
	v_add_f64_e32 v[4:5], v[6:7], v[4:5]
	v_add_f64_e32 v[2:3], v[8:9], v[2:3]
	s_delay_alu instid0(VALU_DEP_2) | instskip(NEXT) | instid1(VALU_DEP_2)
	v_add_f64_e32 v[4:5], v[4:5], v[10:11]
	v_add_f64_e32 v[6:7], v[2:3], v[130:131]
	s_delay_alu instid0(VALU_DEP_2) | instskip(NEXT) | instid1(VALU_DEP_2)
	v_add_f64_e64 v[2:3], v[172:173], -v[4:5]
	v_add_f64_e64 v[4:5], v[174:175], -v[6:7]
	scratch_store_b128 off, v[2:5], off offset:256
	s_wait_xcnt 0x0
	v_cmpx_lt_u32_e32 15, v1
	s_cbranch_execz .LBB56_325
; %bb.324:
	scratch_load_b128 v[2:5], off, s57
	v_mov_b32_e32 v6, 0
	s_delay_alu instid0(VALU_DEP_1)
	v_dual_mov_b32 v7, v6 :: v_dual_mov_b32 v8, v6
	v_mov_b32_e32 v9, v6
	scratch_store_b128 off, v[6:9], off offset:240
	s_wait_loadcnt 0x0
	ds_store_b128 v12, v[2:5]
.LBB56_325:
	s_wait_xcnt 0x0
	s_or_b32 exec_lo, exec_lo, s2
	s_wait_storecnt_dscnt 0x0
	s_barrier_signal -1
	s_barrier_wait -1
	s_clause 0x9
	scratch_load_b128 v[4:7], off, off offset:256
	scratch_load_b128 v[8:11], off, off offset:272
	;; [unrolled: 1-line block ×10, first 2 shown]
	v_mov_b32_e32 v2, 0
	s_mov_b32 s2, exec_lo
	ds_load_b128 v[160:163], v2 offset:1168
	s_clause 0x2
	scratch_load_b128 v[164:167], off, off offset:416
	scratch_load_b128 v[168:171], off, off offset:240
	;; [unrolled: 1-line block ×3, first 2 shown]
	s_wait_loadcnt_dscnt 0xc00
	v_mul_f64_e32 v[180:181], v[162:163], v[6:7]
	v_mul_f64_e32 v[184:185], v[160:161], v[6:7]
	ds_load_b128 v[172:175], v2 offset:1184
	v_fma_f64 v[188:189], v[160:161], v[4:5], -v[180:181]
	v_fmac_f64_e32 v[184:185], v[162:163], v[4:5]
	ds_load_b128 v[4:7], v2 offset:1200
	s_wait_loadcnt_dscnt 0xb01
	v_mul_f64_e32 v[186:187], v[172:173], v[10:11]
	v_mul_f64_e32 v[10:11], v[174:175], v[10:11]
	scratch_load_b128 v[160:163], off, off offset:448
	ds_load_b128 v[180:183], v2 offset:1216
	s_wait_loadcnt_dscnt 0xb01
	v_mul_f64_e32 v[190:191], v[4:5], v[130:131]
	v_mul_f64_e32 v[130:131], v[6:7], v[130:131]
	v_add_f64_e32 v[184:185], 0, v[184:185]
	v_fmac_f64_e32 v[186:187], v[174:175], v[8:9]
	v_fma_f64 v[172:173], v[172:173], v[8:9], -v[10:11]
	v_add_f64_e32 v[174:175], 0, v[188:189]
	scratch_load_b128 v[8:11], off, off offset:464
	v_fmac_f64_e32 v[190:191], v[6:7], v[128:129]
	v_fma_f64 v[192:193], v[4:5], v[128:129], -v[130:131]
	ds_load_b128 v[4:7], v2 offset:1232
	s_wait_loadcnt_dscnt 0xb01
	v_mul_f64_e32 v[188:189], v[180:181], v[134:135]
	v_mul_f64_e32 v[134:135], v[182:183], v[134:135]
	scratch_load_b128 v[128:131], off, off offset:480
	v_add_f64_e32 v[184:185], v[184:185], v[186:187]
	v_add_f64_e32 v[194:195], v[174:175], v[172:173]
	ds_load_b128 v[172:175], v2 offset:1248
	s_wait_loadcnt_dscnt 0xb01
	v_mul_f64_e32 v[186:187], v[4:5], v[138:139]
	v_mul_f64_e32 v[138:139], v[6:7], v[138:139]
	v_fmac_f64_e32 v[188:189], v[182:183], v[132:133]
	v_fma_f64 v[180:181], v[180:181], v[132:133], -v[134:135]
	scratch_load_b128 v[132:135], off, off offset:496
	v_add_f64_e32 v[184:185], v[184:185], v[190:191]
	v_add_f64_e32 v[182:183], v[194:195], v[192:193]
	v_fmac_f64_e32 v[186:187], v[6:7], v[136:137]
	v_fma_f64 v[192:193], v[4:5], v[136:137], -v[138:139]
	ds_load_b128 v[4:7], v2 offset:1264
	s_wait_loadcnt_dscnt 0xb01
	v_mul_f64_e32 v[190:191], v[172:173], v[142:143]
	v_mul_f64_e32 v[142:143], v[174:175], v[142:143]
	scratch_load_b128 v[136:139], off, off offset:512
	v_add_f64_e32 v[184:185], v[184:185], v[188:189]
	s_wait_loadcnt_dscnt 0xb00
	v_mul_f64_e32 v[188:189], v[4:5], v[146:147]
	v_add_f64_e32 v[194:195], v[182:183], v[180:181]
	v_mul_f64_e32 v[146:147], v[6:7], v[146:147]
	ds_load_b128 v[180:183], v2 offset:1280
	v_fmac_f64_e32 v[190:191], v[174:175], v[140:141]
	v_fma_f64 v[172:173], v[172:173], v[140:141], -v[142:143]
	scratch_load_b128 v[140:143], off, off offset:528
	v_add_f64_e32 v[184:185], v[184:185], v[186:187]
	v_fmac_f64_e32 v[188:189], v[6:7], v[144:145]
	v_add_f64_e32 v[174:175], v[194:195], v[192:193]
	v_fma_f64 v[192:193], v[4:5], v[144:145], -v[146:147]
	ds_load_b128 v[4:7], v2 offset:1296
	s_wait_loadcnt_dscnt 0xb01
	v_mul_f64_e32 v[186:187], v[180:181], v[150:151]
	v_mul_f64_e32 v[150:151], v[182:183], v[150:151]
	scratch_load_b128 v[144:147], off, off offset:544
	v_add_f64_e32 v[184:185], v[184:185], v[190:191]
	s_wait_loadcnt_dscnt 0xb00
	v_mul_f64_e32 v[190:191], v[4:5], v[154:155]
	v_add_f64_e32 v[194:195], v[174:175], v[172:173]
	v_mul_f64_e32 v[154:155], v[6:7], v[154:155]
	ds_load_b128 v[172:175], v2 offset:1312
	v_fmac_f64_e32 v[186:187], v[182:183], v[148:149]
	v_fma_f64 v[180:181], v[180:181], v[148:149], -v[150:151]
	scratch_load_b128 v[148:151], off, off offset:560
	v_add_f64_e32 v[184:185], v[184:185], v[188:189]
	v_fmac_f64_e32 v[190:191], v[6:7], v[152:153]
	v_add_f64_e32 v[182:183], v[194:195], v[192:193]
	;; [unrolled: 18-line block ×3, first 2 shown]
	v_fma_f64 v[192:193], v[4:5], v[164:165], -v[166:167]
	ds_load_b128 v[4:7], v2 offset:1360
	s_wait_loadcnt_dscnt 0xa01
	v_mul_f64_e32 v[190:191], v[180:181], v[178:179]
	v_mul_f64_e32 v[178:179], v[182:183], v[178:179]
	scratch_load_b128 v[164:167], off, off offset:608
	v_add_f64_e32 v[184:185], v[184:185], v[188:189]
	v_add_f64_e32 v[194:195], v[174:175], v[172:173]
	s_wait_loadcnt_dscnt 0xa00
	v_mul_f64_e32 v[188:189], v[4:5], v[162:163]
	v_mul_f64_e32 v[162:163], v[6:7], v[162:163]
	v_fmac_f64_e32 v[190:191], v[182:183], v[176:177]
	v_fma_f64 v[180:181], v[180:181], v[176:177], -v[178:179]
	ds_load_b128 v[172:175], v2 offset:1376
	scratch_load_b128 v[176:179], off, off offset:624
	v_add_f64_e32 v[184:185], v[184:185], v[186:187]
	v_add_f64_e32 v[182:183], v[194:195], v[192:193]
	v_fmac_f64_e32 v[188:189], v[6:7], v[160:161]
	v_fma_f64 v[192:193], v[4:5], v[160:161], -v[162:163]
	ds_load_b128 v[4:7], v2 offset:1392
	s_wait_loadcnt_dscnt 0xa01
	v_mul_f64_e32 v[186:187], v[172:173], v[10:11]
	v_mul_f64_e32 v[10:11], v[174:175], v[10:11]
	scratch_load_b128 v[160:163], off, off offset:640
	v_add_f64_e32 v[184:185], v[184:185], v[190:191]
	s_wait_loadcnt_dscnt 0xa00
	v_mul_f64_e32 v[190:191], v[4:5], v[130:131]
	v_add_f64_e32 v[194:195], v[182:183], v[180:181]
	v_mul_f64_e32 v[130:131], v[6:7], v[130:131]
	ds_load_b128 v[180:183], v2 offset:1408
	v_fmac_f64_e32 v[186:187], v[174:175], v[8:9]
	v_fma_f64 v[172:173], v[172:173], v[8:9], -v[10:11]
	scratch_load_b128 v[8:11], off, off offset:656
	v_add_f64_e32 v[184:185], v[184:185], v[188:189]
	v_fmac_f64_e32 v[190:191], v[6:7], v[128:129]
	v_add_f64_e32 v[174:175], v[194:195], v[192:193]
	v_fma_f64 v[192:193], v[4:5], v[128:129], -v[130:131]
	ds_load_b128 v[4:7], v2 offset:1424
	s_wait_loadcnt_dscnt 0xa01
	v_mul_f64_e32 v[188:189], v[180:181], v[134:135]
	v_mul_f64_e32 v[134:135], v[182:183], v[134:135]
	scratch_load_b128 v[128:131], off, off offset:672
	v_add_f64_e32 v[184:185], v[184:185], v[186:187]
	s_wait_loadcnt_dscnt 0xa00
	v_mul_f64_e32 v[186:187], v[4:5], v[138:139]
	v_add_f64_e32 v[194:195], v[174:175], v[172:173]
	v_mul_f64_e32 v[138:139], v[6:7], v[138:139]
	ds_load_b128 v[172:175], v2 offset:1440
	v_fmac_f64_e32 v[188:189], v[182:183], v[132:133]
	v_fma_f64 v[180:181], v[180:181], v[132:133], -v[134:135]
	scratch_load_b128 v[132:135], off, off offset:688
	v_add_f64_e32 v[184:185], v[184:185], v[190:191]
	v_fmac_f64_e32 v[186:187], v[6:7], v[136:137]
	v_add_f64_e32 v[182:183], v[194:195], v[192:193]
	v_fma_f64 v[192:193], v[4:5], v[136:137], -v[138:139]
	ds_load_b128 v[4:7], v2 offset:1456
	s_wait_loadcnt_dscnt 0xa01
	v_mul_f64_e32 v[190:191], v[172:173], v[142:143]
	v_mul_f64_e32 v[142:143], v[174:175], v[142:143]
	scratch_load_b128 v[136:139], off, off offset:704
	v_add_f64_e32 v[184:185], v[184:185], v[188:189]
	s_wait_loadcnt_dscnt 0xa00
	v_mul_f64_e32 v[188:189], v[4:5], v[146:147]
	v_add_f64_e32 v[194:195], v[182:183], v[180:181]
	v_mul_f64_e32 v[146:147], v[6:7], v[146:147]
	ds_load_b128 v[180:183], v2 offset:1472
	v_fmac_f64_e32 v[190:191], v[174:175], v[140:141]
	v_fma_f64 v[172:173], v[172:173], v[140:141], -v[142:143]
	scratch_load_b128 v[140:143], off, off offset:720
	v_add_f64_e32 v[184:185], v[184:185], v[186:187]
	v_fmac_f64_e32 v[188:189], v[6:7], v[144:145]
	v_add_f64_e32 v[174:175], v[194:195], v[192:193]
	v_fma_f64 v[192:193], v[4:5], v[144:145], -v[146:147]
	ds_load_b128 v[4:7], v2 offset:1488
	s_wait_loadcnt_dscnt 0xa01
	v_mul_f64_e32 v[186:187], v[180:181], v[150:151]
	v_mul_f64_e32 v[150:151], v[182:183], v[150:151]
	scratch_load_b128 v[144:147], off, off offset:736
	v_add_f64_e32 v[184:185], v[184:185], v[190:191]
	s_wait_loadcnt_dscnt 0xa00
	v_mul_f64_e32 v[190:191], v[4:5], v[154:155]
	v_add_f64_e32 v[194:195], v[174:175], v[172:173]
	v_mul_f64_e32 v[154:155], v[6:7], v[154:155]
	ds_load_b128 v[172:175], v2 offset:1504
	v_fmac_f64_e32 v[186:187], v[182:183], v[148:149]
	v_fma_f64 v[180:181], v[180:181], v[148:149], -v[150:151]
	scratch_load_b128 v[148:151], off, off offset:752
	v_add_f64_e32 v[184:185], v[184:185], v[188:189]
	v_fmac_f64_e32 v[190:191], v[6:7], v[152:153]
	v_add_f64_e32 v[182:183], v[194:195], v[192:193]
	v_fma_f64 v[192:193], v[4:5], v[152:153], -v[154:155]
	ds_load_b128 v[4:7], v2 offset:1520
	s_wait_loadcnt_dscnt 0xa01
	v_mul_f64_e32 v[188:189], v[172:173], v[158:159]
	v_mul_f64_e32 v[158:159], v[174:175], v[158:159]
	scratch_load_b128 v[152:155], off, off offset:768
	v_add_f64_e32 v[184:185], v[184:185], v[186:187]
	s_wait_loadcnt_dscnt 0xa00
	v_mul_f64_e32 v[186:187], v[4:5], v[166:167]
	v_add_f64_e32 v[194:195], v[182:183], v[180:181]
	v_mul_f64_e32 v[166:167], v[6:7], v[166:167]
	ds_load_b128 v[180:183], v2 offset:1536
	v_fmac_f64_e32 v[188:189], v[174:175], v[156:157]
	v_fma_f64 v[172:173], v[172:173], v[156:157], -v[158:159]
	scratch_load_b128 v[156:159], off, off offset:784
	v_add_f64_e32 v[184:185], v[184:185], v[190:191]
	v_fmac_f64_e32 v[186:187], v[6:7], v[164:165]
	v_add_f64_e32 v[174:175], v[194:195], v[192:193]
	v_fma_f64 v[192:193], v[4:5], v[164:165], -v[166:167]
	ds_load_b128 v[4:7], v2 offset:1552
	s_wait_loadcnt_dscnt 0xa01
	v_mul_f64_e32 v[190:191], v[180:181], v[178:179]
	v_mul_f64_e32 v[178:179], v[182:183], v[178:179]
	scratch_load_b128 v[164:167], off, off offset:800
	v_add_f64_e32 v[184:185], v[184:185], v[188:189]
	s_wait_loadcnt_dscnt 0xa00
	v_mul_f64_e32 v[188:189], v[4:5], v[162:163]
	v_add_f64_e32 v[194:195], v[174:175], v[172:173]
	v_mul_f64_e32 v[162:163], v[6:7], v[162:163]
	ds_load_b128 v[172:175], v2 offset:1568
	v_fmac_f64_e32 v[190:191], v[182:183], v[176:177]
	v_fma_f64 v[180:181], v[180:181], v[176:177], -v[178:179]
	scratch_load_b128 v[176:179], off, off offset:816
	v_add_f64_e32 v[184:185], v[184:185], v[186:187]
	v_fmac_f64_e32 v[188:189], v[6:7], v[160:161]
	v_add_f64_e32 v[182:183], v[194:195], v[192:193]
	v_fma_f64 v[192:193], v[4:5], v[160:161], -v[162:163]
	ds_load_b128 v[4:7], v2 offset:1584
	s_wait_loadcnt_dscnt 0xa01
	v_mul_f64_e32 v[186:187], v[172:173], v[10:11]
	v_mul_f64_e32 v[10:11], v[174:175], v[10:11]
	scratch_load_b128 v[160:163], off, off offset:832
	v_add_f64_e32 v[184:185], v[184:185], v[190:191]
	s_wait_loadcnt_dscnt 0xa00
	v_mul_f64_e32 v[190:191], v[4:5], v[130:131]
	v_add_f64_e32 v[194:195], v[182:183], v[180:181]
	v_mul_f64_e32 v[130:131], v[6:7], v[130:131]
	ds_load_b128 v[180:183], v2 offset:1600
	v_fmac_f64_e32 v[186:187], v[174:175], v[8:9]
	v_fma_f64 v[172:173], v[172:173], v[8:9], -v[10:11]
	scratch_load_b128 v[8:11], off, off offset:848
	v_add_f64_e32 v[184:185], v[184:185], v[188:189]
	v_fmac_f64_e32 v[190:191], v[6:7], v[128:129]
	v_add_f64_e32 v[174:175], v[194:195], v[192:193]
	v_fma_f64 v[192:193], v[4:5], v[128:129], -v[130:131]
	ds_load_b128 v[4:7], v2 offset:1616
	s_wait_loadcnt_dscnt 0xa01
	v_mul_f64_e32 v[188:189], v[180:181], v[134:135]
	v_mul_f64_e32 v[134:135], v[182:183], v[134:135]
	scratch_load_b128 v[128:131], off, off offset:864
	v_add_f64_e32 v[184:185], v[184:185], v[186:187]
	s_wait_loadcnt_dscnt 0xa00
	v_mul_f64_e32 v[186:187], v[4:5], v[138:139]
	v_add_f64_e32 v[194:195], v[174:175], v[172:173]
	v_mul_f64_e32 v[138:139], v[6:7], v[138:139]
	ds_load_b128 v[172:175], v2 offset:1632
	v_fmac_f64_e32 v[188:189], v[182:183], v[132:133]
	v_fma_f64 v[180:181], v[180:181], v[132:133], -v[134:135]
	scratch_load_b128 v[132:135], off, off offset:880
	v_add_f64_e32 v[184:185], v[184:185], v[190:191]
	v_fmac_f64_e32 v[186:187], v[6:7], v[136:137]
	v_add_f64_e32 v[182:183], v[194:195], v[192:193]
	v_fma_f64 v[192:193], v[4:5], v[136:137], -v[138:139]
	ds_load_b128 v[4:7], v2 offset:1648
	s_wait_loadcnt_dscnt 0xa01
	v_mul_f64_e32 v[190:191], v[172:173], v[142:143]
	v_mul_f64_e32 v[142:143], v[174:175], v[142:143]
	scratch_load_b128 v[136:139], off, off offset:896
	v_add_f64_e32 v[184:185], v[184:185], v[188:189]
	s_wait_loadcnt_dscnt 0xa00
	v_mul_f64_e32 v[188:189], v[4:5], v[146:147]
	v_add_f64_e32 v[194:195], v[182:183], v[180:181]
	v_mul_f64_e32 v[146:147], v[6:7], v[146:147]
	ds_load_b128 v[180:183], v2 offset:1664
	v_fmac_f64_e32 v[190:191], v[174:175], v[140:141]
	v_fma_f64 v[140:141], v[172:173], v[140:141], -v[142:143]
	s_wait_loadcnt_dscnt 0x900
	v_mul_f64_e32 v[174:175], v[180:181], v[150:151]
	v_mul_f64_e32 v[150:151], v[182:183], v[150:151]
	v_add_f64_e32 v[172:173], v[184:185], v[186:187]
	v_fmac_f64_e32 v[188:189], v[6:7], v[144:145]
	v_add_f64_e32 v[142:143], v[194:195], v[192:193]
	v_fma_f64 v[144:145], v[4:5], v[144:145], -v[146:147]
	v_fmac_f64_e32 v[174:175], v[182:183], v[148:149]
	v_fma_f64 v[148:149], v[180:181], v[148:149], -v[150:151]
	v_add_f64_e32 v[172:173], v[172:173], v[190:191]
	v_add_f64_e32 v[146:147], v[142:143], v[140:141]
	ds_load_b128 v[4:7], v2 offset:1680
	ds_load_b128 v[140:143], v2 offset:1696
	s_wait_loadcnt_dscnt 0x801
	v_mul_f64_e32 v[184:185], v[4:5], v[154:155]
	v_mul_f64_e32 v[154:155], v[6:7], v[154:155]
	s_wait_loadcnt_dscnt 0x700
	v_mul_f64_e32 v[150:151], v[140:141], v[158:159]
	v_mul_f64_e32 v[158:159], v[142:143], v[158:159]
	v_add_f64_e32 v[144:145], v[146:147], v[144:145]
	v_add_f64_e32 v[146:147], v[172:173], v[188:189]
	v_fmac_f64_e32 v[184:185], v[6:7], v[152:153]
	v_fma_f64 v[152:153], v[4:5], v[152:153], -v[154:155]
	v_fmac_f64_e32 v[150:151], v[142:143], v[156:157]
	v_fma_f64 v[140:141], v[140:141], v[156:157], -v[158:159]
	v_add_f64_e32 v[148:149], v[144:145], v[148:149]
	v_add_f64_e32 v[154:155], v[146:147], v[174:175]
	ds_load_b128 v[4:7], v2 offset:1712
	ds_load_b128 v[144:147], v2 offset:1728
	s_wait_loadcnt_dscnt 0x601
	v_mul_f64_e32 v[172:173], v[4:5], v[166:167]
	v_mul_f64_e32 v[166:167], v[6:7], v[166:167]
	v_add_f64_e32 v[142:143], v[148:149], v[152:153]
	v_add_f64_e32 v[148:149], v[154:155], v[184:185]
	s_wait_loadcnt_dscnt 0x500
	v_mul_f64_e32 v[152:153], v[144:145], v[178:179]
	v_mul_f64_e32 v[154:155], v[146:147], v[178:179]
	v_fmac_f64_e32 v[172:173], v[6:7], v[164:165]
	v_fma_f64 v[156:157], v[4:5], v[164:165], -v[166:167]
	v_add_f64_e32 v[158:159], v[142:143], v[140:141]
	v_add_f64_e32 v[148:149], v[148:149], v[150:151]
	ds_load_b128 v[4:7], v2 offset:1744
	ds_load_b128 v[140:143], v2 offset:1760
	v_fmac_f64_e32 v[152:153], v[146:147], v[176:177]
	v_fma_f64 v[144:145], v[144:145], v[176:177], -v[154:155]
	s_wait_loadcnt_dscnt 0x401
	v_mul_f64_e32 v[150:151], v[4:5], v[162:163]
	v_mul_f64_e32 v[162:163], v[6:7], v[162:163]
	s_wait_loadcnt_dscnt 0x300
	v_mul_f64_e32 v[154:155], v[140:141], v[10:11]
	v_mul_f64_e32 v[10:11], v[142:143], v[10:11]
	v_add_f64_e32 v[146:147], v[158:159], v[156:157]
	v_add_f64_e32 v[148:149], v[148:149], v[172:173]
	v_fmac_f64_e32 v[150:151], v[6:7], v[160:161]
	v_fma_f64 v[156:157], v[4:5], v[160:161], -v[162:163]
	v_fmac_f64_e32 v[154:155], v[142:143], v[8:9]
	v_fma_f64 v[8:9], v[140:141], v[8:9], -v[10:11]
	v_add_f64_e32 v[158:159], v[146:147], v[144:145]
	v_add_f64_e32 v[148:149], v[148:149], v[152:153]
	ds_load_b128 v[4:7], v2 offset:1776
	ds_load_b128 v[144:147], v2 offset:1792
	s_wait_loadcnt_dscnt 0x201
	v_mul_f64_e32 v[152:153], v[4:5], v[130:131]
	v_mul_f64_e32 v[130:131], v[6:7], v[130:131]
	s_wait_loadcnt_dscnt 0x100
	v_mul_f64_e32 v[142:143], v[144:145], v[134:135]
	v_mul_f64_e32 v[134:135], v[146:147], v[134:135]
	v_add_f64_e32 v[10:11], v[158:159], v[156:157]
	v_add_f64_e32 v[140:141], v[148:149], v[150:151]
	v_fmac_f64_e32 v[152:153], v[6:7], v[128:129]
	v_fma_f64 v[128:129], v[4:5], v[128:129], -v[130:131]
	ds_load_b128 v[4:7], v2 offset:1808
	v_fmac_f64_e32 v[142:143], v[146:147], v[132:133]
	v_fma_f64 v[132:133], v[144:145], v[132:133], -v[134:135]
	v_add_f64_e32 v[8:9], v[10:11], v[8:9]
	v_add_f64_e32 v[10:11], v[140:141], v[154:155]
	s_wait_loadcnt_dscnt 0x0
	v_mul_f64_e32 v[130:131], v[4:5], v[138:139]
	v_mul_f64_e32 v[138:139], v[6:7], v[138:139]
	s_delay_alu instid0(VALU_DEP_4) | instskip(NEXT) | instid1(VALU_DEP_4)
	v_add_f64_e32 v[8:9], v[8:9], v[128:129]
	v_add_f64_e32 v[10:11], v[10:11], v[152:153]
	s_delay_alu instid0(VALU_DEP_4) | instskip(NEXT) | instid1(VALU_DEP_4)
	v_fmac_f64_e32 v[130:131], v[6:7], v[136:137]
	v_fma_f64 v[4:5], v[4:5], v[136:137], -v[138:139]
	s_delay_alu instid0(VALU_DEP_4) | instskip(NEXT) | instid1(VALU_DEP_4)
	v_add_f64_e32 v[6:7], v[8:9], v[132:133]
	v_add_f64_e32 v[8:9], v[10:11], v[142:143]
	s_delay_alu instid0(VALU_DEP_2) | instskip(NEXT) | instid1(VALU_DEP_2)
	v_add_f64_e32 v[4:5], v[6:7], v[4:5]
	v_add_f64_e32 v[6:7], v[8:9], v[130:131]
	s_delay_alu instid0(VALU_DEP_2) | instskip(NEXT) | instid1(VALU_DEP_2)
	v_add_f64_e64 v[4:5], v[168:169], -v[4:5]
	v_add_f64_e64 v[6:7], v[170:171], -v[6:7]
	scratch_store_b128 off, v[4:7], off offset:240
	s_wait_xcnt 0x0
	v_cmpx_lt_u32_e32 14, v1
	s_cbranch_execz .LBB56_327
; %bb.326:
	scratch_load_b128 v[6:9], off, s65
	v_dual_mov_b32 v3, v2 :: v_dual_mov_b32 v4, v2
	v_mov_b32_e32 v5, v2
	scratch_store_b128 off, v[2:5], off offset:224
	s_wait_loadcnt 0x0
	ds_store_b128 v12, v[6:9]
.LBB56_327:
	s_wait_xcnt 0x0
	s_or_b32 exec_lo, exec_lo, s2
	s_wait_storecnt_dscnt 0x0
	s_barrier_signal -1
	s_barrier_wait -1
	s_clause 0x9
	scratch_load_b128 v[4:7], off, off offset:240
	scratch_load_b128 v[8:11], off, off offset:256
	;; [unrolled: 1-line block ×10, first 2 shown]
	ds_load_b128 v[160:163], v2 offset:1152
	ds_load_b128 v[168:171], v2 offset:1168
	s_clause 0x2
	scratch_load_b128 v[164:167], off, off offset:400
	scratch_load_b128 v[172:175], off, off offset:224
	;; [unrolled: 1-line block ×3, first 2 shown]
	s_mov_b32 s2, exec_lo
	s_wait_loadcnt_dscnt 0xc01
	v_mul_f64_e32 v[180:181], v[162:163], v[6:7]
	v_mul_f64_e32 v[184:185], v[160:161], v[6:7]
	s_wait_loadcnt_dscnt 0xb00
	v_mul_f64_e32 v[186:187], v[168:169], v[10:11]
	v_mul_f64_e32 v[10:11], v[170:171], v[10:11]
	s_delay_alu instid0(VALU_DEP_4) | instskip(NEXT) | instid1(VALU_DEP_4)
	v_fma_f64 v[188:189], v[160:161], v[4:5], -v[180:181]
	v_fmac_f64_e32 v[184:185], v[162:163], v[4:5]
	ds_load_b128 v[4:7], v2 offset:1184
	ds_load_b128 v[160:163], v2 offset:1200
	scratch_load_b128 v[180:183], off, off offset:432
	v_fmac_f64_e32 v[186:187], v[170:171], v[8:9]
	v_fma_f64 v[168:169], v[168:169], v[8:9], -v[10:11]
	scratch_load_b128 v[8:11], off, off offset:448
	s_wait_loadcnt_dscnt 0xc01
	v_mul_f64_e32 v[190:191], v[4:5], v[130:131]
	v_mul_f64_e32 v[130:131], v[6:7], v[130:131]
	v_add_f64_e32 v[170:171], 0, v[188:189]
	v_add_f64_e32 v[184:185], 0, v[184:185]
	s_wait_loadcnt_dscnt 0xb00
	v_mul_f64_e32 v[188:189], v[160:161], v[134:135]
	v_mul_f64_e32 v[134:135], v[162:163], v[134:135]
	v_fmac_f64_e32 v[190:191], v[6:7], v[128:129]
	v_fma_f64 v[192:193], v[4:5], v[128:129], -v[130:131]
	ds_load_b128 v[4:7], v2 offset:1216
	ds_load_b128 v[128:131], v2 offset:1232
	v_add_f64_e32 v[194:195], v[170:171], v[168:169]
	v_add_f64_e32 v[184:185], v[184:185], v[186:187]
	scratch_load_b128 v[168:171], off, off offset:464
	v_fmac_f64_e32 v[188:189], v[162:163], v[132:133]
	v_fma_f64 v[160:161], v[160:161], v[132:133], -v[134:135]
	scratch_load_b128 v[132:135], off, off offset:480
	s_wait_loadcnt_dscnt 0xc01
	v_mul_f64_e32 v[186:187], v[4:5], v[138:139]
	v_mul_f64_e32 v[138:139], v[6:7], v[138:139]
	v_add_f64_e32 v[162:163], v[194:195], v[192:193]
	v_add_f64_e32 v[184:185], v[184:185], v[190:191]
	s_wait_loadcnt_dscnt 0xb00
	v_mul_f64_e32 v[190:191], v[128:129], v[142:143]
	v_mul_f64_e32 v[142:143], v[130:131], v[142:143]
	v_fmac_f64_e32 v[186:187], v[6:7], v[136:137]
	v_fma_f64 v[192:193], v[4:5], v[136:137], -v[138:139]
	ds_load_b128 v[4:7], v2 offset:1248
	ds_load_b128 v[136:139], v2 offset:1264
	v_add_f64_e32 v[194:195], v[162:163], v[160:161]
	v_add_f64_e32 v[184:185], v[184:185], v[188:189]
	scratch_load_b128 v[160:163], off, off offset:496
	s_wait_loadcnt_dscnt 0xb01
	v_mul_f64_e32 v[188:189], v[4:5], v[146:147]
	v_mul_f64_e32 v[146:147], v[6:7], v[146:147]
	v_fmac_f64_e32 v[190:191], v[130:131], v[140:141]
	v_fma_f64 v[140:141], v[128:129], v[140:141], -v[142:143]
	scratch_load_b128 v[128:131], off, off offset:512
	v_add_f64_e32 v[142:143], v[194:195], v[192:193]
	v_add_f64_e32 v[184:185], v[184:185], v[186:187]
	s_wait_loadcnt_dscnt 0xb00
	v_mul_f64_e32 v[186:187], v[136:137], v[150:151]
	v_mul_f64_e32 v[150:151], v[138:139], v[150:151]
	v_fmac_f64_e32 v[188:189], v[6:7], v[144:145]
	v_fma_f64 v[192:193], v[4:5], v[144:145], -v[146:147]
	v_add_f64_e32 v[194:195], v[142:143], v[140:141]
	v_add_f64_e32 v[184:185], v[184:185], v[190:191]
	ds_load_b128 v[4:7], v2 offset:1280
	ds_load_b128 v[140:143], v2 offset:1296
	scratch_load_b128 v[144:147], off, off offset:528
	v_fmac_f64_e32 v[186:187], v[138:139], v[148:149]
	v_fma_f64 v[148:149], v[136:137], v[148:149], -v[150:151]
	scratch_load_b128 v[136:139], off, off offset:544
	s_wait_loadcnt_dscnt 0xc01
	v_mul_f64_e32 v[190:191], v[4:5], v[154:155]
	v_mul_f64_e32 v[154:155], v[6:7], v[154:155]
	v_add_f64_e32 v[150:151], v[194:195], v[192:193]
	v_add_f64_e32 v[184:185], v[184:185], v[188:189]
	s_wait_loadcnt_dscnt 0xb00
	v_mul_f64_e32 v[188:189], v[140:141], v[158:159]
	v_mul_f64_e32 v[158:159], v[142:143], v[158:159]
	v_fmac_f64_e32 v[190:191], v[6:7], v[152:153]
	v_fma_f64 v[192:193], v[4:5], v[152:153], -v[154:155]
	v_add_f64_e32 v[194:195], v[150:151], v[148:149]
	v_add_f64_e32 v[184:185], v[184:185], v[186:187]
	ds_load_b128 v[4:7], v2 offset:1312
	ds_load_b128 v[148:151], v2 offset:1328
	scratch_load_b128 v[152:155], off, off offset:560
	v_fmac_f64_e32 v[188:189], v[142:143], v[156:157]
	v_fma_f64 v[156:157], v[140:141], v[156:157], -v[158:159]
	scratch_load_b128 v[140:143], off, off offset:576
	s_wait_loadcnt_dscnt 0xc01
	v_mul_f64_e32 v[186:187], v[4:5], v[166:167]
	v_mul_f64_e32 v[166:167], v[6:7], v[166:167]
	;; [unrolled: 18-line block ×5, first 2 shown]
	v_add_f64_e32 v[178:179], v[194:195], v[192:193]
	v_add_f64_e32 v[184:185], v[184:185], v[190:191]
	s_wait_loadcnt_dscnt 0xa00
	v_mul_f64_e32 v[190:191], v[156:157], v[130:131]
	v_mul_f64_e32 v[130:131], v[158:159], v[130:131]
	v_fmac_f64_e32 v[186:187], v[6:7], v[160:161]
	v_fma_f64 v[192:193], v[4:5], v[160:161], -v[162:163]
	ds_load_b128 v[4:7], v2 offset:1440
	ds_load_b128 v[160:163], v2 offset:1456
	v_add_f64_e32 v[194:195], v[178:179], v[176:177]
	v_add_f64_e32 v[184:185], v[184:185], v[188:189]
	scratch_load_b128 v[176:179], off, off offset:688
	v_fmac_f64_e32 v[190:191], v[158:159], v[128:129]
	v_fma_f64 v[156:157], v[156:157], v[128:129], -v[130:131]
	scratch_load_b128 v[128:131], off, off offset:704
	s_wait_loadcnt_dscnt 0xb01
	v_mul_f64_e32 v[188:189], v[4:5], v[146:147]
	v_mul_f64_e32 v[146:147], v[6:7], v[146:147]
	v_add_f64_e32 v[158:159], v[194:195], v[192:193]
	v_add_f64_e32 v[184:185], v[184:185], v[186:187]
	s_wait_loadcnt_dscnt 0xa00
	v_mul_f64_e32 v[186:187], v[160:161], v[138:139]
	v_mul_f64_e32 v[138:139], v[162:163], v[138:139]
	v_fmac_f64_e32 v[188:189], v[6:7], v[144:145]
	v_fma_f64 v[192:193], v[4:5], v[144:145], -v[146:147]
	ds_load_b128 v[4:7], v2 offset:1472
	ds_load_b128 v[144:147], v2 offset:1488
	v_add_f64_e32 v[194:195], v[158:159], v[156:157]
	v_add_f64_e32 v[184:185], v[184:185], v[190:191]
	scratch_load_b128 v[156:159], off, off offset:720
	s_wait_loadcnt_dscnt 0xa01
	v_mul_f64_e32 v[190:191], v[4:5], v[154:155]
	v_mul_f64_e32 v[154:155], v[6:7], v[154:155]
	v_fmac_f64_e32 v[186:187], v[162:163], v[136:137]
	v_fma_f64 v[160:161], v[160:161], v[136:137], -v[138:139]
	scratch_load_b128 v[136:139], off, off offset:736
	v_add_f64_e32 v[162:163], v[194:195], v[192:193]
	v_add_f64_e32 v[184:185], v[184:185], v[188:189]
	s_wait_loadcnt_dscnt 0xa00
	v_mul_f64_e32 v[188:189], v[144:145], v[142:143]
	v_mul_f64_e32 v[142:143], v[146:147], v[142:143]
	v_fmac_f64_e32 v[190:191], v[6:7], v[152:153]
	v_fma_f64 v[192:193], v[4:5], v[152:153], -v[154:155]
	ds_load_b128 v[4:7], v2 offset:1504
	ds_load_b128 v[152:155], v2 offset:1520
	v_add_f64_e32 v[194:195], v[162:163], v[160:161]
	v_add_f64_e32 v[184:185], v[184:185], v[186:187]
	scratch_load_b128 v[160:163], off, off offset:752
	s_wait_loadcnt_dscnt 0xa01
	v_mul_f64_e32 v[186:187], v[4:5], v[166:167]
	v_mul_f64_e32 v[166:167], v[6:7], v[166:167]
	v_fmac_f64_e32 v[188:189], v[146:147], v[140:141]
	v_fma_f64 v[144:145], v[144:145], v[140:141], -v[142:143]
	scratch_load_b128 v[140:143], off, off offset:768
	v_add_f64_e32 v[146:147], v[194:195], v[192:193]
	v_add_f64_e32 v[184:185], v[184:185], v[190:191]
	s_wait_loadcnt_dscnt 0xa00
	v_mul_f64_e32 v[190:191], v[152:153], v[150:151]
	v_mul_f64_e32 v[150:151], v[154:155], v[150:151]
	v_fmac_f64_e32 v[186:187], v[6:7], v[164:165]
	v_fma_f64 v[192:193], v[4:5], v[164:165], -v[166:167]
	v_add_f64_e32 v[194:195], v[146:147], v[144:145]
	v_add_f64_e32 v[184:185], v[184:185], v[188:189]
	ds_load_b128 v[4:7], v2 offset:1536
	ds_load_b128 v[144:147], v2 offset:1552
	scratch_load_b128 v[164:167], off, off offset:784
	v_fmac_f64_e32 v[190:191], v[154:155], v[148:149]
	v_fma_f64 v[152:153], v[152:153], v[148:149], -v[150:151]
	scratch_load_b128 v[148:151], off, off offset:800
	s_wait_loadcnt_dscnt 0xb01
	v_mul_f64_e32 v[188:189], v[4:5], v[182:183]
	v_mul_f64_e32 v[182:183], v[6:7], v[182:183]
	v_add_f64_e32 v[154:155], v[194:195], v[192:193]
	v_add_f64_e32 v[184:185], v[184:185], v[186:187]
	s_wait_loadcnt_dscnt 0xa00
	v_mul_f64_e32 v[186:187], v[144:145], v[10:11]
	v_mul_f64_e32 v[10:11], v[146:147], v[10:11]
	v_fmac_f64_e32 v[188:189], v[6:7], v[180:181]
	v_fma_f64 v[192:193], v[4:5], v[180:181], -v[182:183]
	v_add_f64_e32 v[194:195], v[154:155], v[152:153]
	v_add_f64_e32 v[184:185], v[184:185], v[190:191]
	ds_load_b128 v[4:7], v2 offset:1568
	ds_load_b128 v[152:155], v2 offset:1584
	scratch_load_b128 v[180:183], off, off offset:816
	v_fmac_f64_e32 v[186:187], v[146:147], v[8:9]
	v_fma_f64 v[144:145], v[144:145], v[8:9], -v[10:11]
	scratch_load_b128 v[8:11], off, off offset:832
	s_wait_loadcnt_dscnt 0xb01
	v_mul_f64_e32 v[190:191], v[4:5], v[170:171]
	v_mul_f64_e32 v[170:171], v[6:7], v[170:171]
	v_add_f64_e32 v[146:147], v[194:195], v[192:193]
	v_add_f64_e32 v[184:185], v[184:185], v[188:189]
	s_wait_loadcnt_dscnt 0xa00
	v_mul_f64_e32 v[188:189], v[152:153], v[134:135]
	v_mul_f64_e32 v[134:135], v[154:155], v[134:135]
	v_fmac_f64_e32 v[190:191], v[6:7], v[168:169]
	v_fma_f64 v[192:193], v[4:5], v[168:169], -v[170:171]
	v_add_f64_e32 v[194:195], v[146:147], v[144:145]
	v_add_f64_e32 v[184:185], v[184:185], v[186:187]
	ds_load_b128 v[4:7], v2 offset:1600
	ds_load_b128 v[144:147], v2 offset:1616
	scratch_load_b128 v[168:171], off, off offset:848
	v_fmac_f64_e32 v[188:189], v[154:155], v[132:133]
	v_fma_f64 v[152:153], v[152:153], v[132:133], -v[134:135]
	scratch_load_b128 v[132:135], off, off offset:864
	s_wait_loadcnt_dscnt 0xb01
	v_mul_f64_e32 v[186:187], v[4:5], v[178:179]
	v_mul_f64_e32 v[178:179], v[6:7], v[178:179]
	v_add_f64_e32 v[154:155], v[194:195], v[192:193]
	v_add_f64_e32 v[184:185], v[184:185], v[190:191]
	s_wait_loadcnt_dscnt 0xa00
	v_mul_f64_e32 v[190:191], v[144:145], v[130:131]
	v_mul_f64_e32 v[130:131], v[146:147], v[130:131]
	v_fmac_f64_e32 v[186:187], v[6:7], v[176:177]
	v_fma_f64 v[192:193], v[4:5], v[176:177], -v[178:179]
	v_add_f64_e32 v[194:195], v[154:155], v[152:153]
	v_add_f64_e32 v[184:185], v[184:185], v[188:189]
	ds_load_b128 v[4:7], v2 offset:1632
	ds_load_b128 v[152:155], v2 offset:1648
	scratch_load_b128 v[176:179], off, off offset:880
	v_fmac_f64_e32 v[190:191], v[146:147], v[128:129]
	v_fma_f64 v[144:145], v[144:145], v[128:129], -v[130:131]
	scratch_load_b128 v[128:131], off, off offset:896
	s_wait_loadcnt_dscnt 0xb01
	v_mul_f64_e32 v[188:189], v[4:5], v[158:159]
	v_mul_f64_e32 v[158:159], v[6:7], v[158:159]
	v_add_f64_e32 v[146:147], v[194:195], v[192:193]
	v_add_f64_e32 v[184:185], v[184:185], v[186:187]
	s_wait_loadcnt_dscnt 0xa00
	v_mul_f64_e32 v[186:187], v[152:153], v[138:139]
	v_mul_f64_e32 v[138:139], v[154:155], v[138:139]
	v_fmac_f64_e32 v[188:189], v[6:7], v[156:157]
	v_fma_f64 v[156:157], v[4:5], v[156:157], -v[158:159]
	v_add_f64_e32 v[158:159], v[146:147], v[144:145]
	v_add_f64_e32 v[184:185], v[184:185], v[190:191]
	ds_load_b128 v[4:7], v2 offset:1664
	ds_load_b128 v[144:147], v2 offset:1680
	v_fmac_f64_e32 v[186:187], v[154:155], v[136:137]
	v_fma_f64 v[136:137], v[152:153], v[136:137], -v[138:139]
	s_wait_loadcnt_dscnt 0x901
	v_mul_f64_e32 v[190:191], v[4:5], v[162:163]
	v_mul_f64_e32 v[162:163], v[6:7], v[162:163]
	s_wait_loadcnt_dscnt 0x800
	v_mul_f64_e32 v[154:155], v[144:145], v[142:143]
	v_mul_f64_e32 v[142:143], v[146:147], v[142:143]
	v_add_f64_e32 v[138:139], v[158:159], v[156:157]
	v_add_f64_e32 v[152:153], v[184:185], v[188:189]
	v_fmac_f64_e32 v[190:191], v[6:7], v[160:161]
	v_fma_f64 v[156:157], v[4:5], v[160:161], -v[162:163]
	v_fmac_f64_e32 v[154:155], v[146:147], v[140:141]
	v_fma_f64 v[140:141], v[144:145], v[140:141], -v[142:143]
	v_add_f64_e32 v[158:159], v[138:139], v[136:137]
	v_add_f64_e32 v[152:153], v[152:153], v[186:187]
	ds_load_b128 v[4:7], v2 offset:1696
	ds_load_b128 v[136:139], v2 offset:1712
	s_wait_loadcnt_dscnt 0x701
	v_mul_f64_e32 v[160:161], v[4:5], v[166:167]
	v_mul_f64_e32 v[162:163], v[6:7], v[166:167]
	s_wait_loadcnt_dscnt 0x600
	v_mul_f64_e32 v[146:147], v[136:137], v[150:151]
	v_mul_f64_e32 v[150:151], v[138:139], v[150:151]
	v_add_f64_e32 v[142:143], v[158:159], v[156:157]
	v_add_f64_e32 v[144:145], v[152:153], v[190:191]
	v_fmac_f64_e32 v[160:161], v[6:7], v[164:165]
	v_fma_f64 v[152:153], v[4:5], v[164:165], -v[162:163]
	v_fmac_f64_e32 v[146:147], v[138:139], v[148:149]
	v_fma_f64 v[136:137], v[136:137], v[148:149], -v[150:151]
	v_add_f64_e32 v[156:157], v[142:143], v[140:141]
	v_add_f64_e32 v[144:145], v[144:145], v[154:155]
	ds_load_b128 v[4:7], v2 offset:1728
	ds_load_b128 v[140:143], v2 offset:1744
	;; [unrolled: 16-line block ×4, first 2 shown]
	s_wait_loadcnt_dscnt 0x101
	v_mul_f64_e32 v[2:3], v[4:5], v[178:179]
	v_mul_f64_e32 v[148:149], v[6:7], v[178:179]
	s_wait_loadcnt_dscnt 0x0
	v_mul_f64_e32 v[138:139], v[8:9], v[130:131]
	v_mul_f64_e32 v[130:131], v[10:11], v[130:131]
	v_add_f64_e32 v[134:135], v[150:151], v[144:145]
	v_add_f64_e32 v[136:137], v[140:141], v[146:147]
	v_fmac_f64_e32 v[2:3], v[6:7], v[176:177]
	v_fma_f64 v[4:5], v[4:5], v[176:177], -v[148:149]
	v_fmac_f64_e32 v[138:139], v[10:11], v[128:129]
	v_fma_f64 v[8:9], v[8:9], v[128:129], -v[130:131]
	v_add_f64_e32 v[6:7], v[134:135], v[132:133]
	v_add_f64_e32 v[132:133], v[136:137], v[142:143]
	s_delay_alu instid0(VALU_DEP_2) | instskip(NEXT) | instid1(VALU_DEP_2)
	v_add_f64_e32 v[4:5], v[6:7], v[4:5]
	v_add_f64_e32 v[2:3], v[132:133], v[2:3]
	s_delay_alu instid0(VALU_DEP_2) | instskip(NEXT) | instid1(VALU_DEP_2)
	;; [unrolled: 3-line block ×3, first 2 shown]
	v_add_f64_e64 v[2:3], v[172:173], -v[4:5]
	v_add_f64_e64 v[4:5], v[174:175], -v[6:7]
	scratch_store_b128 off, v[2:5], off offset:224
	s_wait_xcnt 0x0
	v_cmpx_lt_u32_e32 13, v1
	s_cbranch_execz .LBB56_329
; %bb.328:
	scratch_load_b128 v[2:5], off, s63
	v_mov_b32_e32 v6, 0
	s_delay_alu instid0(VALU_DEP_1)
	v_dual_mov_b32 v7, v6 :: v_dual_mov_b32 v8, v6
	v_mov_b32_e32 v9, v6
	scratch_store_b128 off, v[6:9], off offset:208
	s_wait_loadcnt 0x0
	ds_store_b128 v12, v[2:5]
.LBB56_329:
	s_wait_xcnt 0x0
	s_or_b32 exec_lo, exec_lo, s2
	s_wait_storecnt_dscnt 0x0
	s_barrier_signal -1
	s_barrier_wait -1
	s_clause 0x9
	scratch_load_b128 v[4:7], off, off offset:224
	scratch_load_b128 v[8:11], off, off offset:240
	;; [unrolled: 1-line block ×10, first 2 shown]
	v_mov_b32_e32 v2, 0
	s_mov_b32 s2, exec_lo
	ds_load_b128 v[160:163], v2 offset:1136
	s_clause 0x2
	scratch_load_b128 v[164:167], off, off offset:384
	scratch_load_b128 v[168:171], off, off offset:208
	;; [unrolled: 1-line block ×3, first 2 shown]
	s_wait_loadcnt_dscnt 0xc00
	v_mul_f64_e32 v[180:181], v[162:163], v[6:7]
	v_mul_f64_e32 v[184:185], v[160:161], v[6:7]
	ds_load_b128 v[172:175], v2 offset:1152
	v_fma_f64 v[188:189], v[160:161], v[4:5], -v[180:181]
	v_fmac_f64_e32 v[184:185], v[162:163], v[4:5]
	ds_load_b128 v[4:7], v2 offset:1168
	s_wait_loadcnt_dscnt 0xb01
	v_mul_f64_e32 v[186:187], v[172:173], v[10:11]
	v_mul_f64_e32 v[10:11], v[174:175], v[10:11]
	scratch_load_b128 v[160:163], off, off offset:416
	ds_load_b128 v[180:183], v2 offset:1184
	s_wait_loadcnt_dscnt 0xb01
	v_mul_f64_e32 v[190:191], v[4:5], v[130:131]
	v_mul_f64_e32 v[130:131], v[6:7], v[130:131]
	v_add_f64_e32 v[184:185], 0, v[184:185]
	v_fmac_f64_e32 v[186:187], v[174:175], v[8:9]
	v_fma_f64 v[172:173], v[172:173], v[8:9], -v[10:11]
	v_add_f64_e32 v[174:175], 0, v[188:189]
	scratch_load_b128 v[8:11], off, off offset:432
	v_fmac_f64_e32 v[190:191], v[6:7], v[128:129]
	v_fma_f64 v[192:193], v[4:5], v[128:129], -v[130:131]
	ds_load_b128 v[4:7], v2 offset:1200
	s_wait_loadcnt_dscnt 0xb01
	v_mul_f64_e32 v[188:189], v[180:181], v[134:135]
	v_mul_f64_e32 v[134:135], v[182:183], v[134:135]
	scratch_load_b128 v[128:131], off, off offset:448
	v_add_f64_e32 v[184:185], v[184:185], v[186:187]
	v_add_f64_e32 v[194:195], v[174:175], v[172:173]
	ds_load_b128 v[172:175], v2 offset:1216
	s_wait_loadcnt_dscnt 0xb01
	v_mul_f64_e32 v[186:187], v[4:5], v[138:139]
	v_mul_f64_e32 v[138:139], v[6:7], v[138:139]
	v_fmac_f64_e32 v[188:189], v[182:183], v[132:133]
	v_fma_f64 v[180:181], v[180:181], v[132:133], -v[134:135]
	scratch_load_b128 v[132:135], off, off offset:464
	v_add_f64_e32 v[184:185], v[184:185], v[190:191]
	v_add_f64_e32 v[182:183], v[194:195], v[192:193]
	v_fmac_f64_e32 v[186:187], v[6:7], v[136:137]
	v_fma_f64 v[192:193], v[4:5], v[136:137], -v[138:139]
	ds_load_b128 v[4:7], v2 offset:1232
	s_wait_loadcnt_dscnt 0xb01
	v_mul_f64_e32 v[190:191], v[172:173], v[142:143]
	v_mul_f64_e32 v[142:143], v[174:175], v[142:143]
	scratch_load_b128 v[136:139], off, off offset:480
	v_add_f64_e32 v[184:185], v[184:185], v[188:189]
	s_wait_loadcnt_dscnt 0xb00
	v_mul_f64_e32 v[188:189], v[4:5], v[146:147]
	v_add_f64_e32 v[194:195], v[182:183], v[180:181]
	v_mul_f64_e32 v[146:147], v[6:7], v[146:147]
	ds_load_b128 v[180:183], v2 offset:1248
	v_fmac_f64_e32 v[190:191], v[174:175], v[140:141]
	v_fma_f64 v[172:173], v[172:173], v[140:141], -v[142:143]
	scratch_load_b128 v[140:143], off, off offset:496
	v_add_f64_e32 v[184:185], v[184:185], v[186:187]
	v_fmac_f64_e32 v[188:189], v[6:7], v[144:145]
	v_add_f64_e32 v[174:175], v[194:195], v[192:193]
	v_fma_f64 v[192:193], v[4:5], v[144:145], -v[146:147]
	ds_load_b128 v[4:7], v2 offset:1264
	s_wait_loadcnt_dscnt 0xb01
	v_mul_f64_e32 v[186:187], v[180:181], v[150:151]
	v_mul_f64_e32 v[150:151], v[182:183], v[150:151]
	scratch_load_b128 v[144:147], off, off offset:512
	v_add_f64_e32 v[184:185], v[184:185], v[190:191]
	s_wait_loadcnt_dscnt 0xb00
	v_mul_f64_e32 v[190:191], v[4:5], v[154:155]
	v_add_f64_e32 v[194:195], v[174:175], v[172:173]
	v_mul_f64_e32 v[154:155], v[6:7], v[154:155]
	ds_load_b128 v[172:175], v2 offset:1280
	v_fmac_f64_e32 v[186:187], v[182:183], v[148:149]
	v_fma_f64 v[180:181], v[180:181], v[148:149], -v[150:151]
	scratch_load_b128 v[148:151], off, off offset:528
	v_add_f64_e32 v[184:185], v[184:185], v[188:189]
	v_fmac_f64_e32 v[190:191], v[6:7], v[152:153]
	v_add_f64_e32 v[182:183], v[194:195], v[192:193]
	;; [unrolled: 18-line block ×3, first 2 shown]
	v_fma_f64 v[192:193], v[4:5], v[164:165], -v[166:167]
	ds_load_b128 v[4:7], v2 offset:1328
	s_wait_loadcnt_dscnt 0xa01
	v_mul_f64_e32 v[190:191], v[180:181], v[178:179]
	v_mul_f64_e32 v[178:179], v[182:183], v[178:179]
	scratch_load_b128 v[164:167], off, off offset:576
	v_add_f64_e32 v[184:185], v[184:185], v[188:189]
	v_add_f64_e32 v[194:195], v[174:175], v[172:173]
	s_wait_loadcnt_dscnt 0xa00
	v_mul_f64_e32 v[188:189], v[4:5], v[162:163]
	v_mul_f64_e32 v[162:163], v[6:7], v[162:163]
	v_fmac_f64_e32 v[190:191], v[182:183], v[176:177]
	v_fma_f64 v[180:181], v[180:181], v[176:177], -v[178:179]
	ds_load_b128 v[172:175], v2 offset:1344
	scratch_load_b128 v[176:179], off, off offset:592
	v_add_f64_e32 v[184:185], v[184:185], v[186:187]
	v_add_f64_e32 v[182:183], v[194:195], v[192:193]
	v_fmac_f64_e32 v[188:189], v[6:7], v[160:161]
	v_fma_f64 v[192:193], v[4:5], v[160:161], -v[162:163]
	ds_load_b128 v[4:7], v2 offset:1360
	s_wait_loadcnt_dscnt 0xa01
	v_mul_f64_e32 v[186:187], v[172:173], v[10:11]
	v_mul_f64_e32 v[10:11], v[174:175], v[10:11]
	scratch_load_b128 v[160:163], off, off offset:608
	v_add_f64_e32 v[184:185], v[184:185], v[190:191]
	s_wait_loadcnt_dscnt 0xa00
	v_mul_f64_e32 v[190:191], v[4:5], v[130:131]
	v_add_f64_e32 v[194:195], v[182:183], v[180:181]
	v_mul_f64_e32 v[130:131], v[6:7], v[130:131]
	ds_load_b128 v[180:183], v2 offset:1376
	v_fmac_f64_e32 v[186:187], v[174:175], v[8:9]
	v_fma_f64 v[172:173], v[172:173], v[8:9], -v[10:11]
	scratch_load_b128 v[8:11], off, off offset:624
	v_add_f64_e32 v[184:185], v[184:185], v[188:189]
	v_fmac_f64_e32 v[190:191], v[6:7], v[128:129]
	v_add_f64_e32 v[174:175], v[194:195], v[192:193]
	v_fma_f64 v[192:193], v[4:5], v[128:129], -v[130:131]
	ds_load_b128 v[4:7], v2 offset:1392
	s_wait_loadcnt_dscnt 0xa01
	v_mul_f64_e32 v[188:189], v[180:181], v[134:135]
	v_mul_f64_e32 v[134:135], v[182:183], v[134:135]
	scratch_load_b128 v[128:131], off, off offset:640
	v_add_f64_e32 v[184:185], v[184:185], v[186:187]
	s_wait_loadcnt_dscnt 0xa00
	v_mul_f64_e32 v[186:187], v[4:5], v[138:139]
	v_add_f64_e32 v[194:195], v[174:175], v[172:173]
	v_mul_f64_e32 v[138:139], v[6:7], v[138:139]
	ds_load_b128 v[172:175], v2 offset:1408
	v_fmac_f64_e32 v[188:189], v[182:183], v[132:133]
	v_fma_f64 v[180:181], v[180:181], v[132:133], -v[134:135]
	scratch_load_b128 v[132:135], off, off offset:656
	v_add_f64_e32 v[184:185], v[184:185], v[190:191]
	v_fmac_f64_e32 v[186:187], v[6:7], v[136:137]
	v_add_f64_e32 v[182:183], v[194:195], v[192:193]
	;; [unrolled: 18-line block ×9, first 2 shown]
	v_fma_f64 v[192:193], v[4:5], v[144:145], -v[146:147]
	ds_load_b128 v[4:7], v2 offset:1648
	s_wait_loadcnt_dscnt 0xa01
	v_mul_f64_e32 v[186:187], v[180:181], v[150:151]
	v_mul_f64_e32 v[150:151], v[182:183], v[150:151]
	scratch_load_b128 v[144:147], off, off offset:896
	v_add_f64_e32 v[184:185], v[184:185], v[190:191]
	s_wait_loadcnt_dscnt 0xa00
	v_mul_f64_e32 v[190:191], v[4:5], v[154:155]
	v_add_f64_e32 v[194:195], v[174:175], v[172:173]
	v_mul_f64_e32 v[154:155], v[6:7], v[154:155]
	ds_load_b128 v[172:175], v2 offset:1664
	v_fmac_f64_e32 v[186:187], v[182:183], v[148:149]
	v_fma_f64 v[148:149], v[180:181], v[148:149], -v[150:151]
	s_wait_loadcnt_dscnt 0x900
	v_mul_f64_e32 v[182:183], v[172:173], v[158:159]
	v_mul_f64_e32 v[158:159], v[174:175], v[158:159]
	v_add_f64_e32 v[180:181], v[184:185], v[188:189]
	v_fmac_f64_e32 v[190:191], v[6:7], v[152:153]
	v_add_f64_e32 v[150:151], v[194:195], v[192:193]
	v_fma_f64 v[152:153], v[4:5], v[152:153], -v[154:155]
	v_fmac_f64_e32 v[182:183], v[174:175], v[156:157]
	v_fma_f64 v[156:157], v[172:173], v[156:157], -v[158:159]
	v_add_f64_e32 v[180:181], v[180:181], v[186:187]
	v_add_f64_e32 v[154:155], v[150:151], v[148:149]
	ds_load_b128 v[4:7], v2 offset:1680
	ds_load_b128 v[148:151], v2 offset:1696
	s_wait_loadcnt_dscnt 0x801
	v_mul_f64_e32 v[184:185], v[4:5], v[166:167]
	v_mul_f64_e32 v[166:167], v[6:7], v[166:167]
	s_wait_loadcnt_dscnt 0x700
	v_mul_f64_e32 v[158:159], v[148:149], v[178:179]
	v_mul_f64_e32 v[172:173], v[150:151], v[178:179]
	v_add_f64_e32 v[152:153], v[154:155], v[152:153]
	v_add_f64_e32 v[154:155], v[180:181], v[190:191]
	v_fmac_f64_e32 v[184:185], v[6:7], v[164:165]
	v_fma_f64 v[164:165], v[4:5], v[164:165], -v[166:167]
	v_fmac_f64_e32 v[158:159], v[150:151], v[176:177]
	v_fma_f64 v[148:149], v[148:149], v[176:177], -v[172:173]
	v_add_f64_e32 v[156:157], v[152:153], v[156:157]
	v_add_f64_e32 v[166:167], v[154:155], v[182:183]
	ds_load_b128 v[4:7], v2 offset:1712
	ds_load_b128 v[152:155], v2 offset:1728
	s_wait_loadcnt_dscnt 0x601
	v_mul_f64_e32 v[174:175], v[4:5], v[162:163]
	v_mul_f64_e32 v[162:163], v[6:7], v[162:163]
	v_add_f64_e32 v[150:151], v[156:157], v[164:165]
	v_add_f64_e32 v[156:157], v[166:167], v[184:185]
	s_wait_loadcnt_dscnt 0x500
	v_mul_f64_e32 v[164:165], v[152:153], v[10:11]
	v_mul_f64_e32 v[10:11], v[154:155], v[10:11]
	v_fmac_f64_e32 v[174:175], v[6:7], v[160:161]
	v_fma_f64 v[160:161], v[4:5], v[160:161], -v[162:163]
	v_add_f64_e32 v[162:163], v[150:151], v[148:149]
	v_add_f64_e32 v[156:157], v[156:157], v[158:159]
	ds_load_b128 v[4:7], v2 offset:1744
	ds_load_b128 v[148:151], v2 offset:1760
	v_fmac_f64_e32 v[164:165], v[154:155], v[8:9]
	v_fma_f64 v[8:9], v[152:153], v[8:9], -v[10:11]
	s_wait_loadcnt_dscnt 0x401
	v_mul_f64_e32 v[158:159], v[4:5], v[130:131]
	v_mul_f64_e32 v[130:131], v[6:7], v[130:131]
	s_wait_loadcnt_dscnt 0x300
	v_mul_f64_e32 v[154:155], v[148:149], v[134:135]
	v_mul_f64_e32 v[134:135], v[150:151], v[134:135]
	v_add_f64_e32 v[10:11], v[162:163], v[160:161]
	v_add_f64_e32 v[152:153], v[156:157], v[174:175]
	v_fmac_f64_e32 v[158:159], v[6:7], v[128:129]
	v_fma_f64 v[128:129], v[4:5], v[128:129], -v[130:131]
	v_fmac_f64_e32 v[154:155], v[150:151], v[132:133]
	v_fma_f64 v[132:133], v[148:149], v[132:133], -v[134:135]
	v_add_f64_e32 v[130:131], v[10:11], v[8:9]
	v_add_f64_e32 v[152:153], v[152:153], v[164:165]
	ds_load_b128 v[4:7], v2 offset:1776
	ds_load_b128 v[8:11], v2 offset:1792
	s_wait_loadcnt_dscnt 0x201
	v_mul_f64_e32 v[156:157], v[4:5], v[138:139]
	v_mul_f64_e32 v[138:139], v[6:7], v[138:139]
	s_wait_loadcnt_dscnt 0x100
	v_mul_f64_e32 v[134:135], v[8:9], v[142:143]
	v_mul_f64_e32 v[142:143], v[10:11], v[142:143]
	v_add_f64_e32 v[128:129], v[130:131], v[128:129]
	v_add_f64_e32 v[130:131], v[152:153], v[158:159]
	v_fmac_f64_e32 v[156:157], v[6:7], v[136:137]
	v_fma_f64 v[136:137], v[4:5], v[136:137], -v[138:139]
	ds_load_b128 v[4:7], v2 offset:1808
	v_fmac_f64_e32 v[134:135], v[10:11], v[140:141]
	v_fma_f64 v[8:9], v[8:9], v[140:141], -v[142:143]
	v_add_f64_e32 v[128:129], v[128:129], v[132:133]
	v_add_f64_e32 v[130:131], v[130:131], v[154:155]
	s_wait_loadcnt_dscnt 0x0
	v_mul_f64_e32 v[132:133], v[4:5], v[146:147]
	v_mul_f64_e32 v[138:139], v[6:7], v[146:147]
	s_delay_alu instid0(VALU_DEP_4) | instskip(NEXT) | instid1(VALU_DEP_4)
	v_add_f64_e32 v[10:11], v[128:129], v[136:137]
	v_add_f64_e32 v[128:129], v[130:131], v[156:157]
	s_delay_alu instid0(VALU_DEP_4) | instskip(NEXT) | instid1(VALU_DEP_4)
	v_fmac_f64_e32 v[132:133], v[6:7], v[144:145]
	v_fma_f64 v[4:5], v[4:5], v[144:145], -v[138:139]
	s_delay_alu instid0(VALU_DEP_4) | instskip(NEXT) | instid1(VALU_DEP_4)
	v_add_f64_e32 v[6:7], v[10:11], v[8:9]
	v_add_f64_e32 v[8:9], v[128:129], v[134:135]
	s_delay_alu instid0(VALU_DEP_2) | instskip(NEXT) | instid1(VALU_DEP_2)
	v_add_f64_e32 v[4:5], v[6:7], v[4:5]
	v_add_f64_e32 v[6:7], v[8:9], v[132:133]
	s_delay_alu instid0(VALU_DEP_2) | instskip(NEXT) | instid1(VALU_DEP_2)
	v_add_f64_e64 v[4:5], v[168:169], -v[4:5]
	v_add_f64_e64 v[6:7], v[170:171], -v[6:7]
	scratch_store_b128 off, v[4:7], off offset:208
	s_wait_xcnt 0x0
	v_cmpx_lt_u32_e32 12, v1
	s_cbranch_execz .LBB56_331
; %bb.330:
	scratch_load_b128 v[6:9], off, s61
	v_dual_mov_b32 v3, v2 :: v_dual_mov_b32 v4, v2
	v_mov_b32_e32 v5, v2
	scratch_store_b128 off, v[2:5], off offset:192
	s_wait_loadcnt 0x0
	ds_store_b128 v12, v[6:9]
.LBB56_331:
	s_wait_xcnt 0x0
	s_or_b32 exec_lo, exec_lo, s2
	s_wait_storecnt_dscnt 0x0
	s_barrier_signal -1
	s_barrier_wait -1
	s_clause 0x9
	scratch_load_b128 v[4:7], off, off offset:208
	scratch_load_b128 v[8:11], off, off offset:224
	;; [unrolled: 1-line block ×10, first 2 shown]
	ds_load_b128 v[160:163], v2 offset:1120
	ds_load_b128 v[168:171], v2 offset:1136
	s_clause 0x2
	scratch_load_b128 v[164:167], off, off offset:368
	scratch_load_b128 v[172:175], off, off offset:192
	;; [unrolled: 1-line block ×3, first 2 shown]
	s_mov_b32 s2, exec_lo
	s_wait_loadcnt_dscnt 0xc01
	v_mul_f64_e32 v[180:181], v[162:163], v[6:7]
	v_mul_f64_e32 v[184:185], v[160:161], v[6:7]
	s_wait_loadcnt_dscnt 0xb00
	v_mul_f64_e32 v[186:187], v[168:169], v[10:11]
	v_mul_f64_e32 v[10:11], v[170:171], v[10:11]
	s_delay_alu instid0(VALU_DEP_4) | instskip(NEXT) | instid1(VALU_DEP_4)
	v_fma_f64 v[188:189], v[160:161], v[4:5], -v[180:181]
	v_fmac_f64_e32 v[184:185], v[162:163], v[4:5]
	ds_load_b128 v[4:7], v2 offset:1152
	ds_load_b128 v[160:163], v2 offset:1168
	scratch_load_b128 v[180:183], off, off offset:400
	v_fmac_f64_e32 v[186:187], v[170:171], v[8:9]
	v_fma_f64 v[168:169], v[168:169], v[8:9], -v[10:11]
	scratch_load_b128 v[8:11], off, off offset:416
	s_wait_loadcnt_dscnt 0xc01
	v_mul_f64_e32 v[190:191], v[4:5], v[130:131]
	v_mul_f64_e32 v[130:131], v[6:7], v[130:131]
	v_add_f64_e32 v[170:171], 0, v[188:189]
	v_add_f64_e32 v[184:185], 0, v[184:185]
	s_wait_loadcnt_dscnt 0xb00
	v_mul_f64_e32 v[188:189], v[160:161], v[134:135]
	v_mul_f64_e32 v[134:135], v[162:163], v[134:135]
	v_fmac_f64_e32 v[190:191], v[6:7], v[128:129]
	v_fma_f64 v[192:193], v[4:5], v[128:129], -v[130:131]
	ds_load_b128 v[4:7], v2 offset:1184
	ds_load_b128 v[128:131], v2 offset:1200
	v_add_f64_e32 v[194:195], v[170:171], v[168:169]
	v_add_f64_e32 v[184:185], v[184:185], v[186:187]
	scratch_load_b128 v[168:171], off, off offset:432
	v_fmac_f64_e32 v[188:189], v[162:163], v[132:133]
	v_fma_f64 v[160:161], v[160:161], v[132:133], -v[134:135]
	scratch_load_b128 v[132:135], off, off offset:448
	s_wait_loadcnt_dscnt 0xc01
	v_mul_f64_e32 v[186:187], v[4:5], v[138:139]
	v_mul_f64_e32 v[138:139], v[6:7], v[138:139]
	v_add_f64_e32 v[162:163], v[194:195], v[192:193]
	v_add_f64_e32 v[184:185], v[184:185], v[190:191]
	s_wait_loadcnt_dscnt 0xb00
	v_mul_f64_e32 v[190:191], v[128:129], v[142:143]
	v_mul_f64_e32 v[142:143], v[130:131], v[142:143]
	v_fmac_f64_e32 v[186:187], v[6:7], v[136:137]
	v_fma_f64 v[192:193], v[4:5], v[136:137], -v[138:139]
	ds_load_b128 v[4:7], v2 offset:1216
	ds_load_b128 v[136:139], v2 offset:1232
	v_add_f64_e32 v[194:195], v[162:163], v[160:161]
	v_add_f64_e32 v[184:185], v[184:185], v[188:189]
	scratch_load_b128 v[160:163], off, off offset:464
	s_wait_loadcnt_dscnt 0xb01
	v_mul_f64_e32 v[188:189], v[4:5], v[146:147]
	v_mul_f64_e32 v[146:147], v[6:7], v[146:147]
	v_fmac_f64_e32 v[190:191], v[130:131], v[140:141]
	v_fma_f64 v[140:141], v[128:129], v[140:141], -v[142:143]
	scratch_load_b128 v[128:131], off, off offset:480
	v_add_f64_e32 v[142:143], v[194:195], v[192:193]
	v_add_f64_e32 v[184:185], v[184:185], v[186:187]
	s_wait_loadcnt_dscnt 0xb00
	v_mul_f64_e32 v[186:187], v[136:137], v[150:151]
	v_mul_f64_e32 v[150:151], v[138:139], v[150:151]
	v_fmac_f64_e32 v[188:189], v[6:7], v[144:145]
	v_fma_f64 v[192:193], v[4:5], v[144:145], -v[146:147]
	v_add_f64_e32 v[194:195], v[142:143], v[140:141]
	v_add_f64_e32 v[184:185], v[184:185], v[190:191]
	ds_load_b128 v[4:7], v2 offset:1248
	ds_load_b128 v[140:143], v2 offset:1264
	scratch_load_b128 v[144:147], off, off offset:496
	v_fmac_f64_e32 v[186:187], v[138:139], v[148:149]
	v_fma_f64 v[148:149], v[136:137], v[148:149], -v[150:151]
	scratch_load_b128 v[136:139], off, off offset:512
	s_wait_loadcnt_dscnt 0xc01
	v_mul_f64_e32 v[190:191], v[4:5], v[154:155]
	v_mul_f64_e32 v[154:155], v[6:7], v[154:155]
	v_add_f64_e32 v[150:151], v[194:195], v[192:193]
	v_add_f64_e32 v[184:185], v[184:185], v[188:189]
	s_wait_loadcnt_dscnt 0xb00
	v_mul_f64_e32 v[188:189], v[140:141], v[158:159]
	v_mul_f64_e32 v[158:159], v[142:143], v[158:159]
	v_fmac_f64_e32 v[190:191], v[6:7], v[152:153]
	v_fma_f64 v[192:193], v[4:5], v[152:153], -v[154:155]
	v_add_f64_e32 v[194:195], v[150:151], v[148:149]
	v_add_f64_e32 v[184:185], v[184:185], v[186:187]
	ds_load_b128 v[4:7], v2 offset:1280
	ds_load_b128 v[148:151], v2 offset:1296
	scratch_load_b128 v[152:155], off, off offset:528
	v_fmac_f64_e32 v[188:189], v[142:143], v[156:157]
	v_fma_f64 v[156:157], v[140:141], v[156:157], -v[158:159]
	scratch_load_b128 v[140:143], off, off offset:544
	s_wait_loadcnt_dscnt 0xc01
	v_mul_f64_e32 v[186:187], v[4:5], v[166:167]
	v_mul_f64_e32 v[166:167], v[6:7], v[166:167]
	;; [unrolled: 18-line block ×5, first 2 shown]
	v_add_f64_e32 v[178:179], v[194:195], v[192:193]
	v_add_f64_e32 v[184:185], v[184:185], v[190:191]
	s_wait_loadcnt_dscnt 0xa00
	v_mul_f64_e32 v[190:191], v[156:157], v[130:131]
	v_mul_f64_e32 v[130:131], v[158:159], v[130:131]
	v_fmac_f64_e32 v[186:187], v[6:7], v[160:161]
	v_fma_f64 v[192:193], v[4:5], v[160:161], -v[162:163]
	ds_load_b128 v[4:7], v2 offset:1408
	ds_load_b128 v[160:163], v2 offset:1424
	v_add_f64_e32 v[194:195], v[178:179], v[176:177]
	v_add_f64_e32 v[184:185], v[184:185], v[188:189]
	scratch_load_b128 v[176:179], off, off offset:656
	v_fmac_f64_e32 v[190:191], v[158:159], v[128:129]
	v_fma_f64 v[156:157], v[156:157], v[128:129], -v[130:131]
	scratch_load_b128 v[128:131], off, off offset:672
	s_wait_loadcnt_dscnt 0xb01
	v_mul_f64_e32 v[188:189], v[4:5], v[146:147]
	v_mul_f64_e32 v[146:147], v[6:7], v[146:147]
	v_add_f64_e32 v[158:159], v[194:195], v[192:193]
	v_add_f64_e32 v[184:185], v[184:185], v[186:187]
	s_wait_loadcnt_dscnt 0xa00
	v_mul_f64_e32 v[186:187], v[160:161], v[138:139]
	v_mul_f64_e32 v[138:139], v[162:163], v[138:139]
	v_fmac_f64_e32 v[188:189], v[6:7], v[144:145]
	v_fma_f64 v[192:193], v[4:5], v[144:145], -v[146:147]
	ds_load_b128 v[4:7], v2 offset:1440
	ds_load_b128 v[144:147], v2 offset:1456
	v_add_f64_e32 v[194:195], v[158:159], v[156:157]
	v_add_f64_e32 v[184:185], v[184:185], v[190:191]
	scratch_load_b128 v[156:159], off, off offset:688
	s_wait_loadcnt_dscnt 0xa01
	v_mul_f64_e32 v[190:191], v[4:5], v[154:155]
	v_mul_f64_e32 v[154:155], v[6:7], v[154:155]
	v_fmac_f64_e32 v[186:187], v[162:163], v[136:137]
	v_fma_f64 v[160:161], v[160:161], v[136:137], -v[138:139]
	scratch_load_b128 v[136:139], off, off offset:704
	v_add_f64_e32 v[162:163], v[194:195], v[192:193]
	v_add_f64_e32 v[184:185], v[184:185], v[188:189]
	s_wait_loadcnt_dscnt 0xa00
	v_mul_f64_e32 v[188:189], v[144:145], v[142:143]
	v_mul_f64_e32 v[142:143], v[146:147], v[142:143]
	v_fmac_f64_e32 v[190:191], v[6:7], v[152:153]
	v_fma_f64 v[192:193], v[4:5], v[152:153], -v[154:155]
	ds_load_b128 v[4:7], v2 offset:1472
	ds_load_b128 v[152:155], v2 offset:1488
	v_add_f64_e32 v[194:195], v[162:163], v[160:161]
	v_add_f64_e32 v[184:185], v[184:185], v[186:187]
	scratch_load_b128 v[160:163], off, off offset:720
	s_wait_loadcnt_dscnt 0xa01
	v_mul_f64_e32 v[186:187], v[4:5], v[166:167]
	v_mul_f64_e32 v[166:167], v[6:7], v[166:167]
	v_fmac_f64_e32 v[188:189], v[146:147], v[140:141]
	v_fma_f64 v[144:145], v[144:145], v[140:141], -v[142:143]
	scratch_load_b128 v[140:143], off, off offset:736
	v_add_f64_e32 v[146:147], v[194:195], v[192:193]
	v_add_f64_e32 v[184:185], v[184:185], v[190:191]
	s_wait_loadcnt_dscnt 0xa00
	v_mul_f64_e32 v[190:191], v[152:153], v[150:151]
	v_mul_f64_e32 v[150:151], v[154:155], v[150:151]
	v_fmac_f64_e32 v[186:187], v[6:7], v[164:165]
	v_fma_f64 v[192:193], v[4:5], v[164:165], -v[166:167]
	v_add_f64_e32 v[194:195], v[146:147], v[144:145]
	v_add_f64_e32 v[184:185], v[184:185], v[188:189]
	ds_load_b128 v[4:7], v2 offset:1504
	ds_load_b128 v[144:147], v2 offset:1520
	scratch_load_b128 v[164:167], off, off offset:752
	v_fmac_f64_e32 v[190:191], v[154:155], v[148:149]
	v_fma_f64 v[152:153], v[152:153], v[148:149], -v[150:151]
	scratch_load_b128 v[148:151], off, off offset:768
	s_wait_loadcnt_dscnt 0xb01
	v_mul_f64_e32 v[188:189], v[4:5], v[182:183]
	v_mul_f64_e32 v[182:183], v[6:7], v[182:183]
	v_add_f64_e32 v[154:155], v[194:195], v[192:193]
	v_add_f64_e32 v[184:185], v[184:185], v[186:187]
	s_wait_loadcnt_dscnt 0xa00
	v_mul_f64_e32 v[186:187], v[144:145], v[10:11]
	v_mul_f64_e32 v[10:11], v[146:147], v[10:11]
	v_fmac_f64_e32 v[188:189], v[6:7], v[180:181]
	v_fma_f64 v[192:193], v[4:5], v[180:181], -v[182:183]
	v_add_f64_e32 v[194:195], v[154:155], v[152:153]
	v_add_f64_e32 v[184:185], v[184:185], v[190:191]
	ds_load_b128 v[4:7], v2 offset:1536
	ds_load_b128 v[152:155], v2 offset:1552
	scratch_load_b128 v[180:183], off, off offset:784
	v_fmac_f64_e32 v[186:187], v[146:147], v[8:9]
	v_fma_f64 v[144:145], v[144:145], v[8:9], -v[10:11]
	scratch_load_b128 v[8:11], off, off offset:800
	s_wait_loadcnt_dscnt 0xb01
	v_mul_f64_e32 v[190:191], v[4:5], v[170:171]
	v_mul_f64_e32 v[170:171], v[6:7], v[170:171]
	;; [unrolled: 18-line block ×5, first 2 shown]
	v_add_f64_e32 v[154:155], v[194:195], v[192:193]
	v_add_f64_e32 v[184:185], v[184:185], v[188:189]
	s_wait_loadcnt_dscnt 0xa00
	v_mul_f64_e32 v[188:189], v[144:145], v[142:143]
	v_mul_f64_e32 v[142:143], v[146:147], v[142:143]
	v_fmac_f64_e32 v[190:191], v[6:7], v[160:161]
	v_fma_f64 v[160:161], v[4:5], v[160:161], -v[162:163]
	v_add_f64_e32 v[162:163], v[154:155], v[152:153]
	v_add_f64_e32 v[184:185], v[184:185], v[186:187]
	ds_load_b128 v[4:7], v2 offset:1664
	ds_load_b128 v[152:155], v2 offset:1680
	v_fmac_f64_e32 v[188:189], v[146:147], v[140:141]
	v_fma_f64 v[140:141], v[144:145], v[140:141], -v[142:143]
	s_wait_loadcnt_dscnt 0x901
	v_mul_f64_e32 v[186:187], v[4:5], v[166:167]
	v_mul_f64_e32 v[166:167], v[6:7], v[166:167]
	s_wait_loadcnt_dscnt 0x800
	v_mul_f64_e32 v[146:147], v[152:153], v[150:151]
	v_mul_f64_e32 v[150:151], v[154:155], v[150:151]
	v_add_f64_e32 v[142:143], v[162:163], v[160:161]
	v_add_f64_e32 v[144:145], v[184:185], v[190:191]
	v_fmac_f64_e32 v[186:187], v[6:7], v[164:165]
	v_fma_f64 v[160:161], v[4:5], v[164:165], -v[166:167]
	v_fmac_f64_e32 v[146:147], v[154:155], v[148:149]
	v_fma_f64 v[148:149], v[152:153], v[148:149], -v[150:151]
	v_add_f64_e32 v[162:163], v[142:143], v[140:141]
	v_add_f64_e32 v[144:145], v[144:145], v[188:189]
	ds_load_b128 v[4:7], v2 offset:1696
	ds_load_b128 v[140:143], v2 offset:1712
	s_wait_loadcnt_dscnt 0x701
	v_mul_f64_e32 v[164:165], v[4:5], v[182:183]
	v_mul_f64_e32 v[166:167], v[6:7], v[182:183]
	s_wait_loadcnt_dscnt 0x600
	v_mul_f64_e32 v[152:153], v[140:141], v[10:11]
	v_mul_f64_e32 v[10:11], v[142:143], v[10:11]
	v_add_f64_e32 v[150:151], v[162:163], v[160:161]
	v_add_f64_e32 v[144:145], v[144:145], v[186:187]
	v_fmac_f64_e32 v[164:165], v[6:7], v[180:181]
	v_fma_f64 v[154:155], v[4:5], v[180:181], -v[166:167]
	v_fmac_f64_e32 v[152:153], v[142:143], v[8:9]
	v_fma_f64 v[8:9], v[140:141], v[8:9], -v[10:11]
	v_add_f64_e32 v[148:149], v[150:151], v[148:149]
	v_add_f64_e32 v[150:151], v[144:145], v[146:147]
	ds_load_b128 v[4:7], v2 offset:1728
	ds_load_b128 v[144:147], v2 offset:1744
	;; [unrolled: 16-line block ×4, first 2 shown]
	s_wait_loadcnt_dscnt 0x101
	v_mul_f64_e32 v[2:3], v[4:5], v[158:159]
	v_mul_f64_e32 v[142:143], v[6:7], v[158:159]
	v_add_f64_e32 v[10:11], v[134:135], v[148:149]
	v_add_f64_e32 v[128:129], v[140:141], v[152:153]
	s_wait_loadcnt_dscnt 0x0
	v_mul_f64_e32 v[134:135], v[130:131], v[138:139]
	v_mul_f64_e32 v[138:139], v[132:133], v[138:139]
	v_fmac_f64_e32 v[2:3], v[6:7], v[156:157]
	v_fma_f64 v[4:5], v[4:5], v[156:157], -v[142:143]
	v_add_f64_e32 v[6:7], v[10:11], v[8:9]
	v_add_f64_e32 v[8:9], v[128:129], v[144:145]
	v_fmac_f64_e32 v[134:135], v[132:133], v[136:137]
	v_fma_f64 v[10:11], v[130:131], v[136:137], -v[138:139]
	s_delay_alu instid0(VALU_DEP_4) | instskip(NEXT) | instid1(VALU_DEP_4)
	v_add_f64_e32 v[4:5], v[6:7], v[4:5]
	v_add_f64_e32 v[2:3], v[8:9], v[2:3]
	s_delay_alu instid0(VALU_DEP_2) | instskip(NEXT) | instid1(VALU_DEP_2)
	v_add_f64_e32 v[4:5], v[4:5], v[10:11]
	v_add_f64_e32 v[6:7], v[2:3], v[134:135]
	s_delay_alu instid0(VALU_DEP_2) | instskip(NEXT) | instid1(VALU_DEP_2)
	v_add_f64_e64 v[2:3], v[172:173], -v[4:5]
	v_add_f64_e64 v[4:5], v[174:175], -v[6:7]
	scratch_store_b128 off, v[2:5], off offset:192
	s_wait_xcnt 0x0
	v_cmpx_lt_u32_e32 11, v1
	s_cbranch_execz .LBB56_333
; %bb.332:
	scratch_load_b128 v[2:5], off, s58
	v_mov_b32_e32 v6, 0
	s_delay_alu instid0(VALU_DEP_1)
	v_dual_mov_b32 v7, v6 :: v_dual_mov_b32 v8, v6
	v_mov_b32_e32 v9, v6
	scratch_store_b128 off, v[6:9], off offset:176
	s_wait_loadcnt 0x0
	ds_store_b128 v12, v[2:5]
.LBB56_333:
	s_wait_xcnt 0x0
	s_or_b32 exec_lo, exec_lo, s2
	s_wait_storecnt_dscnt 0x0
	s_barrier_signal -1
	s_barrier_wait -1
	s_clause 0x9
	scratch_load_b128 v[4:7], off, off offset:192
	scratch_load_b128 v[8:11], off, off offset:208
	;; [unrolled: 1-line block ×10, first 2 shown]
	v_mov_b32_e32 v2, 0
	s_mov_b32 s2, exec_lo
	ds_load_b128 v[160:163], v2 offset:1104
	s_clause 0x2
	scratch_load_b128 v[164:167], off, off offset:352
	scratch_load_b128 v[168:171], off, off offset:176
	;; [unrolled: 1-line block ×3, first 2 shown]
	s_wait_loadcnt_dscnt 0xc00
	v_mul_f64_e32 v[180:181], v[162:163], v[6:7]
	v_mul_f64_e32 v[184:185], v[160:161], v[6:7]
	ds_load_b128 v[172:175], v2 offset:1120
	v_fma_f64 v[188:189], v[160:161], v[4:5], -v[180:181]
	v_fmac_f64_e32 v[184:185], v[162:163], v[4:5]
	ds_load_b128 v[4:7], v2 offset:1136
	s_wait_loadcnt_dscnt 0xb01
	v_mul_f64_e32 v[186:187], v[172:173], v[10:11]
	v_mul_f64_e32 v[10:11], v[174:175], v[10:11]
	scratch_load_b128 v[160:163], off, off offset:384
	ds_load_b128 v[180:183], v2 offset:1152
	s_wait_loadcnt_dscnt 0xb01
	v_mul_f64_e32 v[190:191], v[4:5], v[130:131]
	v_mul_f64_e32 v[130:131], v[6:7], v[130:131]
	v_add_f64_e32 v[184:185], 0, v[184:185]
	v_fmac_f64_e32 v[186:187], v[174:175], v[8:9]
	v_fma_f64 v[172:173], v[172:173], v[8:9], -v[10:11]
	v_add_f64_e32 v[174:175], 0, v[188:189]
	scratch_load_b128 v[8:11], off, off offset:400
	v_fmac_f64_e32 v[190:191], v[6:7], v[128:129]
	v_fma_f64 v[192:193], v[4:5], v[128:129], -v[130:131]
	ds_load_b128 v[4:7], v2 offset:1168
	s_wait_loadcnt_dscnt 0xb01
	v_mul_f64_e32 v[188:189], v[180:181], v[134:135]
	v_mul_f64_e32 v[134:135], v[182:183], v[134:135]
	scratch_load_b128 v[128:131], off, off offset:416
	v_add_f64_e32 v[184:185], v[184:185], v[186:187]
	v_add_f64_e32 v[194:195], v[174:175], v[172:173]
	ds_load_b128 v[172:175], v2 offset:1184
	s_wait_loadcnt_dscnt 0xb01
	v_mul_f64_e32 v[186:187], v[4:5], v[138:139]
	v_mul_f64_e32 v[138:139], v[6:7], v[138:139]
	v_fmac_f64_e32 v[188:189], v[182:183], v[132:133]
	v_fma_f64 v[180:181], v[180:181], v[132:133], -v[134:135]
	scratch_load_b128 v[132:135], off, off offset:432
	v_add_f64_e32 v[184:185], v[184:185], v[190:191]
	v_add_f64_e32 v[182:183], v[194:195], v[192:193]
	v_fmac_f64_e32 v[186:187], v[6:7], v[136:137]
	v_fma_f64 v[192:193], v[4:5], v[136:137], -v[138:139]
	ds_load_b128 v[4:7], v2 offset:1200
	s_wait_loadcnt_dscnt 0xb01
	v_mul_f64_e32 v[190:191], v[172:173], v[142:143]
	v_mul_f64_e32 v[142:143], v[174:175], v[142:143]
	scratch_load_b128 v[136:139], off, off offset:448
	v_add_f64_e32 v[184:185], v[184:185], v[188:189]
	s_wait_loadcnt_dscnt 0xb00
	v_mul_f64_e32 v[188:189], v[4:5], v[146:147]
	v_add_f64_e32 v[194:195], v[182:183], v[180:181]
	v_mul_f64_e32 v[146:147], v[6:7], v[146:147]
	ds_load_b128 v[180:183], v2 offset:1216
	v_fmac_f64_e32 v[190:191], v[174:175], v[140:141]
	v_fma_f64 v[172:173], v[172:173], v[140:141], -v[142:143]
	scratch_load_b128 v[140:143], off, off offset:464
	v_add_f64_e32 v[184:185], v[184:185], v[186:187]
	v_fmac_f64_e32 v[188:189], v[6:7], v[144:145]
	v_add_f64_e32 v[174:175], v[194:195], v[192:193]
	v_fma_f64 v[192:193], v[4:5], v[144:145], -v[146:147]
	ds_load_b128 v[4:7], v2 offset:1232
	s_wait_loadcnt_dscnt 0xb01
	v_mul_f64_e32 v[186:187], v[180:181], v[150:151]
	v_mul_f64_e32 v[150:151], v[182:183], v[150:151]
	scratch_load_b128 v[144:147], off, off offset:480
	v_add_f64_e32 v[184:185], v[184:185], v[190:191]
	s_wait_loadcnt_dscnt 0xb00
	v_mul_f64_e32 v[190:191], v[4:5], v[154:155]
	v_add_f64_e32 v[194:195], v[174:175], v[172:173]
	v_mul_f64_e32 v[154:155], v[6:7], v[154:155]
	ds_load_b128 v[172:175], v2 offset:1248
	v_fmac_f64_e32 v[186:187], v[182:183], v[148:149]
	v_fma_f64 v[180:181], v[180:181], v[148:149], -v[150:151]
	scratch_load_b128 v[148:151], off, off offset:496
	v_add_f64_e32 v[184:185], v[184:185], v[188:189]
	v_fmac_f64_e32 v[190:191], v[6:7], v[152:153]
	v_add_f64_e32 v[182:183], v[194:195], v[192:193]
	;; [unrolled: 18-line block ×3, first 2 shown]
	v_fma_f64 v[192:193], v[4:5], v[164:165], -v[166:167]
	ds_load_b128 v[4:7], v2 offset:1296
	s_wait_loadcnt_dscnt 0xa01
	v_mul_f64_e32 v[190:191], v[180:181], v[178:179]
	v_mul_f64_e32 v[178:179], v[182:183], v[178:179]
	scratch_load_b128 v[164:167], off, off offset:544
	v_add_f64_e32 v[184:185], v[184:185], v[188:189]
	v_add_f64_e32 v[194:195], v[174:175], v[172:173]
	s_wait_loadcnt_dscnt 0xa00
	v_mul_f64_e32 v[188:189], v[4:5], v[162:163]
	v_mul_f64_e32 v[162:163], v[6:7], v[162:163]
	v_fmac_f64_e32 v[190:191], v[182:183], v[176:177]
	v_fma_f64 v[180:181], v[180:181], v[176:177], -v[178:179]
	ds_load_b128 v[172:175], v2 offset:1312
	scratch_load_b128 v[176:179], off, off offset:560
	v_add_f64_e32 v[184:185], v[184:185], v[186:187]
	v_add_f64_e32 v[182:183], v[194:195], v[192:193]
	v_fmac_f64_e32 v[188:189], v[6:7], v[160:161]
	v_fma_f64 v[192:193], v[4:5], v[160:161], -v[162:163]
	ds_load_b128 v[4:7], v2 offset:1328
	s_wait_loadcnt_dscnt 0xa01
	v_mul_f64_e32 v[186:187], v[172:173], v[10:11]
	v_mul_f64_e32 v[10:11], v[174:175], v[10:11]
	scratch_load_b128 v[160:163], off, off offset:576
	v_add_f64_e32 v[184:185], v[184:185], v[190:191]
	s_wait_loadcnt_dscnt 0xa00
	v_mul_f64_e32 v[190:191], v[4:5], v[130:131]
	v_add_f64_e32 v[194:195], v[182:183], v[180:181]
	v_mul_f64_e32 v[130:131], v[6:7], v[130:131]
	ds_load_b128 v[180:183], v2 offset:1344
	v_fmac_f64_e32 v[186:187], v[174:175], v[8:9]
	v_fma_f64 v[172:173], v[172:173], v[8:9], -v[10:11]
	scratch_load_b128 v[8:11], off, off offset:592
	v_add_f64_e32 v[184:185], v[184:185], v[188:189]
	v_fmac_f64_e32 v[190:191], v[6:7], v[128:129]
	v_add_f64_e32 v[174:175], v[194:195], v[192:193]
	v_fma_f64 v[192:193], v[4:5], v[128:129], -v[130:131]
	ds_load_b128 v[4:7], v2 offset:1360
	s_wait_loadcnt_dscnt 0xa01
	v_mul_f64_e32 v[188:189], v[180:181], v[134:135]
	v_mul_f64_e32 v[134:135], v[182:183], v[134:135]
	scratch_load_b128 v[128:131], off, off offset:608
	v_add_f64_e32 v[184:185], v[184:185], v[186:187]
	s_wait_loadcnt_dscnt 0xa00
	v_mul_f64_e32 v[186:187], v[4:5], v[138:139]
	v_add_f64_e32 v[194:195], v[174:175], v[172:173]
	v_mul_f64_e32 v[138:139], v[6:7], v[138:139]
	ds_load_b128 v[172:175], v2 offset:1376
	v_fmac_f64_e32 v[188:189], v[182:183], v[132:133]
	v_fma_f64 v[180:181], v[180:181], v[132:133], -v[134:135]
	scratch_load_b128 v[132:135], off, off offset:624
	v_add_f64_e32 v[184:185], v[184:185], v[190:191]
	v_fmac_f64_e32 v[186:187], v[6:7], v[136:137]
	v_add_f64_e32 v[182:183], v[194:195], v[192:193]
	;; [unrolled: 18-line block ×10, first 2 shown]
	v_fma_f64 v[192:193], v[4:5], v[152:153], -v[154:155]
	ds_load_b128 v[4:7], v2 offset:1648
	s_wait_loadcnt_dscnt 0xa01
	v_mul_f64_e32 v[188:189], v[172:173], v[158:159]
	v_mul_f64_e32 v[158:159], v[174:175], v[158:159]
	scratch_load_b128 v[152:155], off, off offset:896
	v_add_f64_e32 v[184:185], v[184:185], v[186:187]
	s_wait_loadcnt_dscnt 0xa00
	v_mul_f64_e32 v[186:187], v[4:5], v[166:167]
	v_add_f64_e32 v[194:195], v[182:183], v[180:181]
	v_mul_f64_e32 v[166:167], v[6:7], v[166:167]
	ds_load_b128 v[180:183], v2 offset:1664
	v_fmac_f64_e32 v[188:189], v[174:175], v[156:157]
	v_fma_f64 v[156:157], v[172:173], v[156:157], -v[158:159]
	s_wait_loadcnt_dscnt 0x900
	v_mul_f64_e32 v[174:175], v[180:181], v[178:179]
	v_mul_f64_e32 v[178:179], v[182:183], v[178:179]
	v_add_f64_e32 v[172:173], v[184:185], v[190:191]
	v_fmac_f64_e32 v[186:187], v[6:7], v[164:165]
	v_add_f64_e32 v[158:159], v[194:195], v[192:193]
	v_fma_f64 v[164:165], v[4:5], v[164:165], -v[166:167]
	v_fmac_f64_e32 v[174:175], v[182:183], v[176:177]
	v_fma_f64 v[176:177], v[180:181], v[176:177], -v[178:179]
	v_add_f64_e32 v[172:173], v[172:173], v[188:189]
	v_add_f64_e32 v[166:167], v[158:159], v[156:157]
	ds_load_b128 v[4:7], v2 offset:1680
	ds_load_b128 v[156:159], v2 offset:1696
	s_wait_loadcnt_dscnt 0x801
	v_mul_f64_e32 v[184:185], v[4:5], v[162:163]
	v_mul_f64_e32 v[162:163], v[6:7], v[162:163]
	v_add_f64_e32 v[164:165], v[166:167], v[164:165]
	v_add_f64_e32 v[166:167], v[172:173], v[186:187]
	s_wait_loadcnt_dscnt 0x700
	v_mul_f64_e32 v[172:173], v[156:157], v[10:11]
	v_mul_f64_e32 v[10:11], v[158:159], v[10:11]
	v_fmac_f64_e32 v[184:185], v[6:7], v[160:161]
	v_fma_f64 v[178:179], v[4:5], v[160:161], -v[162:163]
	ds_load_b128 v[4:7], v2 offset:1712
	ds_load_b128 v[160:163], v2 offset:1728
	v_add_f64_e32 v[164:165], v[164:165], v[176:177]
	v_add_f64_e32 v[166:167], v[166:167], v[174:175]
	v_fmac_f64_e32 v[172:173], v[158:159], v[8:9]
	v_fma_f64 v[8:9], v[156:157], v[8:9], -v[10:11]
	s_wait_loadcnt_dscnt 0x601
	v_mul_f64_e32 v[174:175], v[4:5], v[130:131]
	v_mul_f64_e32 v[130:131], v[6:7], v[130:131]
	s_wait_loadcnt_dscnt 0x500
	v_mul_f64_e32 v[158:159], v[160:161], v[134:135]
	v_mul_f64_e32 v[134:135], v[162:163], v[134:135]
	v_add_f64_e32 v[10:11], v[164:165], v[178:179]
	v_add_f64_e32 v[156:157], v[166:167], v[184:185]
	v_fmac_f64_e32 v[174:175], v[6:7], v[128:129]
	v_fma_f64 v[128:129], v[4:5], v[128:129], -v[130:131]
	v_fmac_f64_e32 v[158:159], v[162:163], v[132:133]
	v_fma_f64 v[132:133], v[160:161], v[132:133], -v[134:135]
	v_add_f64_e32 v[130:131], v[10:11], v[8:9]
	v_add_f64_e32 v[156:157], v[156:157], v[172:173]
	ds_load_b128 v[4:7], v2 offset:1744
	ds_load_b128 v[8:11], v2 offset:1760
	s_wait_loadcnt_dscnt 0x401
	v_mul_f64_e32 v[164:165], v[4:5], v[138:139]
	v_mul_f64_e32 v[138:139], v[6:7], v[138:139]
	s_wait_loadcnt_dscnt 0x300
	v_mul_f64_e32 v[134:135], v[8:9], v[142:143]
	v_mul_f64_e32 v[142:143], v[10:11], v[142:143]
	v_add_f64_e32 v[128:129], v[130:131], v[128:129]
	v_add_f64_e32 v[130:131], v[156:157], v[174:175]
	v_fmac_f64_e32 v[164:165], v[6:7], v[136:137]
	v_fma_f64 v[136:137], v[4:5], v[136:137], -v[138:139]
	v_fmac_f64_e32 v[134:135], v[10:11], v[140:141]
	v_fma_f64 v[8:9], v[8:9], v[140:141], -v[142:143]
	v_add_f64_e32 v[132:133], v[128:129], v[132:133]
	v_add_f64_e32 v[138:139], v[130:131], v[158:159]
	ds_load_b128 v[4:7], v2 offset:1776
	ds_load_b128 v[128:131], v2 offset:1792
	s_wait_loadcnt_dscnt 0x201
	v_mul_f64_e32 v[156:157], v[4:5], v[146:147]
	v_mul_f64_e32 v[146:147], v[6:7], v[146:147]
	v_add_f64_e32 v[10:11], v[132:133], v[136:137]
	v_add_f64_e32 v[132:133], v[138:139], v[164:165]
	s_wait_loadcnt_dscnt 0x100
	v_mul_f64_e32 v[136:137], v[128:129], v[150:151]
	v_mul_f64_e32 v[138:139], v[130:131], v[150:151]
	v_fmac_f64_e32 v[156:157], v[6:7], v[144:145]
	v_fma_f64 v[140:141], v[4:5], v[144:145], -v[146:147]
	ds_load_b128 v[4:7], v2 offset:1808
	v_add_f64_e32 v[8:9], v[10:11], v[8:9]
	v_add_f64_e32 v[10:11], v[132:133], v[134:135]
	v_fmac_f64_e32 v[136:137], v[130:131], v[148:149]
	v_fma_f64 v[128:129], v[128:129], v[148:149], -v[138:139]
	s_wait_loadcnt_dscnt 0x0
	v_mul_f64_e32 v[132:133], v[4:5], v[154:155]
	v_mul_f64_e32 v[134:135], v[6:7], v[154:155]
	v_add_f64_e32 v[8:9], v[8:9], v[140:141]
	v_add_f64_e32 v[10:11], v[10:11], v[156:157]
	s_delay_alu instid0(VALU_DEP_4) | instskip(NEXT) | instid1(VALU_DEP_4)
	v_fmac_f64_e32 v[132:133], v[6:7], v[152:153]
	v_fma_f64 v[4:5], v[4:5], v[152:153], -v[134:135]
	s_delay_alu instid0(VALU_DEP_4) | instskip(NEXT) | instid1(VALU_DEP_4)
	v_add_f64_e32 v[6:7], v[8:9], v[128:129]
	v_add_f64_e32 v[8:9], v[10:11], v[136:137]
	s_delay_alu instid0(VALU_DEP_2) | instskip(NEXT) | instid1(VALU_DEP_2)
	v_add_f64_e32 v[4:5], v[6:7], v[4:5]
	v_add_f64_e32 v[6:7], v[8:9], v[132:133]
	s_delay_alu instid0(VALU_DEP_2) | instskip(NEXT) | instid1(VALU_DEP_2)
	v_add_f64_e64 v[4:5], v[168:169], -v[4:5]
	v_add_f64_e64 v[6:7], v[170:171], -v[6:7]
	scratch_store_b128 off, v[4:7], off offset:176
	s_wait_xcnt 0x0
	v_cmpx_lt_u32_e32 10, v1
	s_cbranch_execz .LBB56_335
; %bb.334:
	scratch_load_b128 v[6:9], off, s55
	v_dual_mov_b32 v3, v2 :: v_dual_mov_b32 v4, v2
	v_mov_b32_e32 v5, v2
	scratch_store_b128 off, v[2:5], off offset:160
	s_wait_loadcnt 0x0
	ds_store_b128 v12, v[6:9]
.LBB56_335:
	s_wait_xcnt 0x0
	s_or_b32 exec_lo, exec_lo, s2
	s_wait_storecnt_dscnt 0x0
	s_barrier_signal -1
	s_barrier_wait -1
	s_clause 0x9
	scratch_load_b128 v[4:7], off, off offset:176
	scratch_load_b128 v[8:11], off, off offset:192
	scratch_load_b128 v[128:131], off, off offset:208
	scratch_load_b128 v[132:135], off, off offset:224
	scratch_load_b128 v[136:139], off, off offset:240
	scratch_load_b128 v[140:143], off, off offset:256
	scratch_load_b128 v[144:147], off, off offset:272
	scratch_load_b128 v[148:151], off, off offset:288
	scratch_load_b128 v[152:155], off, off offset:304
	scratch_load_b128 v[156:159], off, off offset:320
	ds_load_b128 v[160:163], v2 offset:1088
	ds_load_b128 v[168:171], v2 offset:1104
	s_clause 0x2
	scratch_load_b128 v[164:167], off, off offset:336
	scratch_load_b128 v[172:175], off, off offset:160
	;; [unrolled: 1-line block ×3, first 2 shown]
	s_mov_b32 s2, exec_lo
	s_wait_loadcnt_dscnt 0xc01
	v_mul_f64_e32 v[180:181], v[162:163], v[6:7]
	v_mul_f64_e32 v[184:185], v[160:161], v[6:7]
	s_wait_loadcnt_dscnt 0xb00
	v_mul_f64_e32 v[186:187], v[168:169], v[10:11]
	v_mul_f64_e32 v[10:11], v[170:171], v[10:11]
	s_delay_alu instid0(VALU_DEP_4) | instskip(NEXT) | instid1(VALU_DEP_4)
	v_fma_f64 v[188:189], v[160:161], v[4:5], -v[180:181]
	v_fmac_f64_e32 v[184:185], v[162:163], v[4:5]
	ds_load_b128 v[4:7], v2 offset:1120
	ds_load_b128 v[160:163], v2 offset:1136
	scratch_load_b128 v[180:183], off, off offset:368
	v_fmac_f64_e32 v[186:187], v[170:171], v[8:9]
	v_fma_f64 v[168:169], v[168:169], v[8:9], -v[10:11]
	scratch_load_b128 v[8:11], off, off offset:384
	s_wait_loadcnt_dscnt 0xc01
	v_mul_f64_e32 v[190:191], v[4:5], v[130:131]
	v_mul_f64_e32 v[130:131], v[6:7], v[130:131]
	v_add_f64_e32 v[170:171], 0, v[188:189]
	v_add_f64_e32 v[184:185], 0, v[184:185]
	s_wait_loadcnt_dscnt 0xb00
	v_mul_f64_e32 v[188:189], v[160:161], v[134:135]
	v_mul_f64_e32 v[134:135], v[162:163], v[134:135]
	v_fmac_f64_e32 v[190:191], v[6:7], v[128:129]
	v_fma_f64 v[192:193], v[4:5], v[128:129], -v[130:131]
	ds_load_b128 v[4:7], v2 offset:1152
	ds_load_b128 v[128:131], v2 offset:1168
	v_add_f64_e32 v[194:195], v[170:171], v[168:169]
	v_add_f64_e32 v[184:185], v[184:185], v[186:187]
	scratch_load_b128 v[168:171], off, off offset:400
	v_fmac_f64_e32 v[188:189], v[162:163], v[132:133]
	v_fma_f64 v[160:161], v[160:161], v[132:133], -v[134:135]
	scratch_load_b128 v[132:135], off, off offset:416
	s_wait_loadcnt_dscnt 0xc01
	v_mul_f64_e32 v[186:187], v[4:5], v[138:139]
	v_mul_f64_e32 v[138:139], v[6:7], v[138:139]
	v_add_f64_e32 v[162:163], v[194:195], v[192:193]
	v_add_f64_e32 v[184:185], v[184:185], v[190:191]
	s_wait_loadcnt_dscnt 0xb00
	v_mul_f64_e32 v[190:191], v[128:129], v[142:143]
	v_mul_f64_e32 v[142:143], v[130:131], v[142:143]
	v_fmac_f64_e32 v[186:187], v[6:7], v[136:137]
	v_fma_f64 v[192:193], v[4:5], v[136:137], -v[138:139]
	ds_load_b128 v[4:7], v2 offset:1184
	ds_load_b128 v[136:139], v2 offset:1200
	v_add_f64_e32 v[194:195], v[162:163], v[160:161]
	v_add_f64_e32 v[184:185], v[184:185], v[188:189]
	scratch_load_b128 v[160:163], off, off offset:432
	s_wait_loadcnt_dscnt 0xb01
	v_mul_f64_e32 v[188:189], v[4:5], v[146:147]
	v_mul_f64_e32 v[146:147], v[6:7], v[146:147]
	v_fmac_f64_e32 v[190:191], v[130:131], v[140:141]
	v_fma_f64 v[140:141], v[128:129], v[140:141], -v[142:143]
	scratch_load_b128 v[128:131], off, off offset:448
	v_add_f64_e32 v[142:143], v[194:195], v[192:193]
	v_add_f64_e32 v[184:185], v[184:185], v[186:187]
	s_wait_loadcnt_dscnt 0xb00
	v_mul_f64_e32 v[186:187], v[136:137], v[150:151]
	v_mul_f64_e32 v[150:151], v[138:139], v[150:151]
	v_fmac_f64_e32 v[188:189], v[6:7], v[144:145]
	v_fma_f64 v[192:193], v[4:5], v[144:145], -v[146:147]
	v_add_f64_e32 v[194:195], v[142:143], v[140:141]
	v_add_f64_e32 v[184:185], v[184:185], v[190:191]
	ds_load_b128 v[4:7], v2 offset:1216
	ds_load_b128 v[140:143], v2 offset:1232
	scratch_load_b128 v[144:147], off, off offset:464
	v_fmac_f64_e32 v[186:187], v[138:139], v[148:149]
	v_fma_f64 v[148:149], v[136:137], v[148:149], -v[150:151]
	scratch_load_b128 v[136:139], off, off offset:480
	s_wait_loadcnt_dscnt 0xc01
	v_mul_f64_e32 v[190:191], v[4:5], v[154:155]
	v_mul_f64_e32 v[154:155], v[6:7], v[154:155]
	v_add_f64_e32 v[150:151], v[194:195], v[192:193]
	v_add_f64_e32 v[184:185], v[184:185], v[188:189]
	s_wait_loadcnt_dscnt 0xb00
	v_mul_f64_e32 v[188:189], v[140:141], v[158:159]
	v_mul_f64_e32 v[158:159], v[142:143], v[158:159]
	v_fmac_f64_e32 v[190:191], v[6:7], v[152:153]
	v_fma_f64 v[192:193], v[4:5], v[152:153], -v[154:155]
	v_add_f64_e32 v[194:195], v[150:151], v[148:149]
	v_add_f64_e32 v[184:185], v[184:185], v[186:187]
	ds_load_b128 v[4:7], v2 offset:1248
	ds_load_b128 v[148:151], v2 offset:1264
	scratch_load_b128 v[152:155], off, off offset:496
	v_fmac_f64_e32 v[188:189], v[142:143], v[156:157]
	v_fma_f64 v[156:157], v[140:141], v[156:157], -v[158:159]
	scratch_load_b128 v[140:143], off, off offset:512
	s_wait_loadcnt_dscnt 0xc01
	v_mul_f64_e32 v[186:187], v[4:5], v[166:167]
	v_mul_f64_e32 v[166:167], v[6:7], v[166:167]
	;; [unrolled: 18-line block ×5, first 2 shown]
	v_add_f64_e32 v[178:179], v[194:195], v[192:193]
	v_add_f64_e32 v[184:185], v[184:185], v[190:191]
	s_wait_loadcnt_dscnt 0xa00
	v_mul_f64_e32 v[190:191], v[156:157], v[130:131]
	v_mul_f64_e32 v[130:131], v[158:159], v[130:131]
	v_fmac_f64_e32 v[186:187], v[6:7], v[160:161]
	v_fma_f64 v[192:193], v[4:5], v[160:161], -v[162:163]
	ds_load_b128 v[4:7], v2 offset:1376
	ds_load_b128 v[160:163], v2 offset:1392
	v_add_f64_e32 v[194:195], v[178:179], v[176:177]
	v_add_f64_e32 v[184:185], v[184:185], v[188:189]
	scratch_load_b128 v[176:179], off, off offset:624
	v_fmac_f64_e32 v[190:191], v[158:159], v[128:129]
	v_fma_f64 v[156:157], v[156:157], v[128:129], -v[130:131]
	scratch_load_b128 v[128:131], off, off offset:640
	s_wait_loadcnt_dscnt 0xb01
	v_mul_f64_e32 v[188:189], v[4:5], v[146:147]
	v_mul_f64_e32 v[146:147], v[6:7], v[146:147]
	v_add_f64_e32 v[158:159], v[194:195], v[192:193]
	v_add_f64_e32 v[184:185], v[184:185], v[186:187]
	s_wait_loadcnt_dscnt 0xa00
	v_mul_f64_e32 v[186:187], v[160:161], v[138:139]
	v_mul_f64_e32 v[138:139], v[162:163], v[138:139]
	v_fmac_f64_e32 v[188:189], v[6:7], v[144:145]
	v_fma_f64 v[192:193], v[4:5], v[144:145], -v[146:147]
	ds_load_b128 v[4:7], v2 offset:1408
	ds_load_b128 v[144:147], v2 offset:1424
	v_add_f64_e32 v[194:195], v[158:159], v[156:157]
	v_add_f64_e32 v[184:185], v[184:185], v[190:191]
	scratch_load_b128 v[156:159], off, off offset:656
	s_wait_loadcnt_dscnt 0xa01
	v_mul_f64_e32 v[190:191], v[4:5], v[154:155]
	v_mul_f64_e32 v[154:155], v[6:7], v[154:155]
	v_fmac_f64_e32 v[186:187], v[162:163], v[136:137]
	v_fma_f64 v[160:161], v[160:161], v[136:137], -v[138:139]
	scratch_load_b128 v[136:139], off, off offset:672
	v_add_f64_e32 v[162:163], v[194:195], v[192:193]
	v_add_f64_e32 v[184:185], v[184:185], v[188:189]
	s_wait_loadcnt_dscnt 0xa00
	v_mul_f64_e32 v[188:189], v[144:145], v[142:143]
	v_mul_f64_e32 v[142:143], v[146:147], v[142:143]
	v_fmac_f64_e32 v[190:191], v[6:7], v[152:153]
	v_fma_f64 v[192:193], v[4:5], v[152:153], -v[154:155]
	ds_load_b128 v[4:7], v2 offset:1440
	ds_load_b128 v[152:155], v2 offset:1456
	v_add_f64_e32 v[194:195], v[162:163], v[160:161]
	v_add_f64_e32 v[184:185], v[184:185], v[186:187]
	scratch_load_b128 v[160:163], off, off offset:688
	s_wait_loadcnt_dscnt 0xa01
	v_mul_f64_e32 v[186:187], v[4:5], v[166:167]
	v_mul_f64_e32 v[166:167], v[6:7], v[166:167]
	v_fmac_f64_e32 v[188:189], v[146:147], v[140:141]
	v_fma_f64 v[144:145], v[144:145], v[140:141], -v[142:143]
	scratch_load_b128 v[140:143], off, off offset:704
	v_add_f64_e32 v[146:147], v[194:195], v[192:193]
	v_add_f64_e32 v[184:185], v[184:185], v[190:191]
	s_wait_loadcnt_dscnt 0xa00
	v_mul_f64_e32 v[190:191], v[152:153], v[150:151]
	v_mul_f64_e32 v[150:151], v[154:155], v[150:151]
	v_fmac_f64_e32 v[186:187], v[6:7], v[164:165]
	v_fma_f64 v[192:193], v[4:5], v[164:165], -v[166:167]
	v_add_f64_e32 v[194:195], v[146:147], v[144:145]
	v_add_f64_e32 v[184:185], v[184:185], v[188:189]
	ds_load_b128 v[4:7], v2 offset:1472
	ds_load_b128 v[144:147], v2 offset:1488
	scratch_load_b128 v[164:167], off, off offset:720
	v_fmac_f64_e32 v[190:191], v[154:155], v[148:149]
	v_fma_f64 v[152:153], v[152:153], v[148:149], -v[150:151]
	scratch_load_b128 v[148:151], off, off offset:736
	s_wait_loadcnt_dscnt 0xb01
	v_mul_f64_e32 v[188:189], v[4:5], v[182:183]
	v_mul_f64_e32 v[182:183], v[6:7], v[182:183]
	v_add_f64_e32 v[154:155], v[194:195], v[192:193]
	v_add_f64_e32 v[184:185], v[184:185], v[186:187]
	s_wait_loadcnt_dscnt 0xa00
	v_mul_f64_e32 v[186:187], v[144:145], v[10:11]
	v_mul_f64_e32 v[10:11], v[146:147], v[10:11]
	v_fmac_f64_e32 v[188:189], v[6:7], v[180:181]
	v_fma_f64 v[192:193], v[4:5], v[180:181], -v[182:183]
	v_add_f64_e32 v[194:195], v[154:155], v[152:153]
	v_add_f64_e32 v[184:185], v[184:185], v[190:191]
	ds_load_b128 v[4:7], v2 offset:1504
	ds_load_b128 v[152:155], v2 offset:1520
	scratch_load_b128 v[180:183], off, off offset:752
	v_fmac_f64_e32 v[186:187], v[146:147], v[8:9]
	v_fma_f64 v[144:145], v[144:145], v[8:9], -v[10:11]
	scratch_load_b128 v[8:11], off, off offset:768
	s_wait_loadcnt_dscnt 0xb01
	v_mul_f64_e32 v[190:191], v[4:5], v[170:171]
	v_mul_f64_e32 v[170:171], v[6:7], v[170:171]
	;; [unrolled: 18-line block ×6, first 2 shown]
	v_add_f64_e32 v[146:147], v[194:195], v[192:193]
	v_add_f64_e32 v[184:185], v[184:185], v[190:191]
	s_wait_loadcnt_dscnt 0xa00
	v_mul_f64_e32 v[190:191], v[152:153], v[150:151]
	v_mul_f64_e32 v[150:151], v[154:155], v[150:151]
	v_fmac_f64_e32 v[186:187], v[6:7], v[164:165]
	v_fma_f64 v[164:165], v[4:5], v[164:165], -v[166:167]
	v_add_f64_e32 v[166:167], v[146:147], v[144:145]
	v_add_f64_e32 v[184:185], v[184:185], v[188:189]
	ds_load_b128 v[4:7], v2 offset:1664
	ds_load_b128 v[144:147], v2 offset:1680
	v_fmac_f64_e32 v[190:191], v[154:155], v[148:149]
	v_fma_f64 v[148:149], v[152:153], v[148:149], -v[150:151]
	s_wait_loadcnt_dscnt 0x901
	v_mul_f64_e32 v[188:189], v[4:5], v[182:183]
	v_mul_f64_e32 v[182:183], v[6:7], v[182:183]
	s_wait_loadcnt_dscnt 0x800
	v_mul_f64_e32 v[154:155], v[144:145], v[10:11]
	v_mul_f64_e32 v[10:11], v[146:147], v[10:11]
	v_add_f64_e32 v[150:151], v[166:167], v[164:165]
	v_add_f64_e32 v[152:153], v[184:185], v[186:187]
	v_fmac_f64_e32 v[188:189], v[6:7], v[180:181]
	v_fma_f64 v[164:165], v[4:5], v[180:181], -v[182:183]
	v_fmac_f64_e32 v[154:155], v[146:147], v[8:9]
	v_fma_f64 v[8:9], v[144:145], v[8:9], -v[10:11]
	v_add_f64_e32 v[166:167], v[150:151], v[148:149]
	v_add_f64_e32 v[152:153], v[152:153], v[190:191]
	ds_load_b128 v[4:7], v2 offset:1696
	ds_load_b128 v[148:151], v2 offset:1712
	s_wait_loadcnt_dscnt 0x701
	v_mul_f64_e32 v[180:181], v[4:5], v[170:171]
	v_mul_f64_e32 v[170:171], v[6:7], v[170:171]
	s_wait_loadcnt_dscnt 0x600
	v_mul_f64_e32 v[146:147], v[148:149], v[134:135]
	v_mul_f64_e32 v[134:135], v[150:151], v[134:135]
	v_add_f64_e32 v[10:11], v[166:167], v[164:165]
	v_add_f64_e32 v[144:145], v[152:153], v[188:189]
	v_fmac_f64_e32 v[180:181], v[6:7], v[168:169]
	v_fma_f64 v[152:153], v[4:5], v[168:169], -v[170:171]
	v_fmac_f64_e32 v[146:147], v[150:151], v[132:133]
	v_fma_f64 v[132:133], v[148:149], v[132:133], -v[134:135]
	v_add_f64_e32 v[164:165], v[10:11], v[8:9]
	v_add_f64_e32 v[144:145], v[144:145], v[154:155]
	ds_load_b128 v[4:7], v2 offset:1728
	ds_load_b128 v[8:11], v2 offset:1744
	;; [unrolled: 16-line block ×3, first 2 shown]
	s_wait_loadcnt_dscnt 0x301
	v_mul_f64_e32 v[146:147], v[4:5], v[158:159]
	v_mul_f64_e32 v[158:159], v[6:7], v[158:159]
	v_add_f64_e32 v[10:11], v[134:135], v[152:153]
	v_add_f64_e32 v[128:129], v[144:145], v[154:155]
	s_wait_loadcnt_dscnt 0x200
	v_mul_f64_e32 v[134:135], v[130:131], v[138:139]
	v_mul_f64_e32 v[138:139], v[132:133], v[138:139]
	v_fmac_f64_e32 v[146:147], v[6:7], v[156:157]
	v_fma_f64 v[144:145], v[4:5], v[156:157], -v[158:159]
	v_add_f64_e32 v[150:151], v[10:11], v[8:9]
	v_add_f64_e32 v[128:129], v[128:129], v[148:149]
	ds_load_b128 v[4:7], v2 offset:1792
	ds_load_b128 v[8:11], v2 offset:1808
	v_fmac_f64_e32 v[134:135], v[132:133], v[136:137]
	v_fma_f64 v[130:131], v[130:131], v[136:137], -v[138:139]
	s_wait_loadcnt_dscnt 0x101
	v_mul_f64_e32 v[2:3], v[4:5], v[162:163]
	v_mul_f64_e32 v[148:149], v[6:7], v[162:163]
	s_wait_loadcnt_dscnt 0x0
	v_mul_f64_e32 v[136:137], v[8:9], v[142:143]
	v_mul_f64_e32 v[138:139], v[10:11], v[142:143]
	v_add_f64_e32 v[132:133], v[150:151], v[144:145]
	v_add_f64_e32 v[128:129], v[128:129], v[146:147]
	v_fmac_f64_e32 v[2:3], v[6:7], v[160:161]
	v_fma_f64 v[4:5], v[4:5], v[160:161], -v[148:149]
	v_fmac_f64_e32 v[136:137], v[10:11], v[140:141]
	v_fma_f64 v[8:9], v[8:9], v[140:141], -v[138:139]
	v_add_f64_e32 v[6:7], v[132:133], v[130:131]
	v_add_f64_e32 v[128:129], v[128:129], v[134:135]
	s_delay_alu instid0(VALU_DEP_2) | instskip(NEXT) | instid1(VALU_DEP_2)
	v_add_f64_e32 v[4:5], v[6:7], v[4:5]
	v_add_f64_e32 v[2:3], v[128:129], v[2:3]
	s_delay_alu instid0(VALU_DEP_2) | instskip(NEXT) | instid1(VALU_DEP_2)
	;; [unrolled: 3-line block ×3, first 2 shown]
	v_add_f64_e64 v[2:3], v[172:173], -v[4:5]
	v_add_f64_e64 v[4:5], v[174:175], -v[6:7]
	scratch_store_b128 off, v[2:5], off offset:160
	s_wait_xcnt 0x0
	v_cmpx_lt_u32_e32 9, v1
	s_cbranch_execz .LBB56_337
; %bb.336:
	scratch_load_b128 v[2:5], off, s54
	v_mov_b32_e32 v6, 0
	s_delay_alu instid0(VALU_DEP_1)
	v_dual_mov_b32 v7, v6 :: v_dual_mov_b32 v8, v6
	v_mov_b32_e32 v9, v6
	scratch_store_b128 off, v[6:9], off offset:144
	s_wait_loadcnt 0x0
	ds_store_b128 v12, v[2:5]
.LBB56_337:
	s_wait_xcnt 0x0
	s_or_b32 exec_lo, exec_lo, s2
	s_wait_storecnt_dscnt 0x0
	s_barrier_signal -1
	s_barrier_wait -1
	s_clause 0x9
	scratch_load_b128 v[4:7], off, off offset:160
	scratch_load_b128 v[8:11], off, off offset:176
	;; [unrolled: 1-line block ×10, first 2 shown]
	v_mov_b32_e32 v2, 0
	s_mov_b32 s2, exec_lo
	ds_load_b128 v[160:163], v2 offset:1072
	s_clause 0x2
	scratch_load_b128 v[164:167], off, off offset:320
	scratch_load_b128 v[168:171], off, off offset:144
	;; [unrolled: 1-line block ×3, first 2 shown]
	s_wait_loadcnt_dscnt 0xc00
	v_mul_f64_e32 v[180:181], v[162:163], v[6:7]
	v_mul_f64_e32 v[184:185], v[160:161], v[6:7]
	ds_load_b128 v[172:175], v2 offset:1088
	v_fma_f64 v[188:189], v[160:161], v[4:5], -v[180:181]
	v_fmac_f64_e32 v[184:185], v[162:163], v[4:5]
	ds_load_b128 v[4:7], v2 offset:1104
	s_wait_loadcnt_dscnt 0xb01
	v_mul_f64_e32 v[186:187], v[172:173], v[10:11]
	v_mul_f64_e32 v[10:11], v[174:175], v[10:11]
	scratch_load_b128 v[160:163], off, off offset:352
	ds_load_b128 v[180:183], v2 offset:1120
	s_wait_loadcnt_dscnt 0xb01
	v_mul_f64_e32 v[190:191], v[4:5], v[130:131]
	v_mul_f64_e32 v[130:131], v[6:7], v[130:131]
	v_add_f64_e32 v[184:185], 0, v[184:185]
	v_fmac_f64_e32 v[186:187], v[174:175], v[8:9]
	v_fma_f64 v[172:173], v[172:173], v[8:9], -v[10:11]
	v_add_f64_e32 v[174:175], 0, v[188:189]
	scratch_load_b128 v[8:11], off, off offset:368
	v_fmac_f64_e32 v[190:191], v[6:7], v[128:129]
	v_fma_f64 v[192:193], v[4:5], v[128:129], -v[130:131]
	ds_load_b128 v[4:7], v2 offset:1136
	s_wait_loadcnt_dscnt 0xb01
	v_mul_f64_e32 v[188:189], v[180:181], v[134:135]
	v_mul_f64_e32 v[134:135], v[182:183], v[134:135]
	scratch_load_b128 v[128:131], off, off offset:384
	v_add_f64_e32 v[184:185], v[184:185], v[186:187]
	v_add_f64_e32 v[194:195], v[174:175], v[172:173]
	ds_load_b128 v[172:175], v2 offset:1152
	s_wait_loadcnt_dscnt 0xb01
	v_mul_f64_e32 v[186:187], v[4:5], v[138:139]
	v_mul_f64_e32 v[138:139], v[6:7], v[138:139]
	v_fmac_f64_e32 v[188:189], v[182:183], v[132:133]
	v_fma_f64 v[180:181], v[180:181], v[132:133], -v[134:135]
	scratch_load_b128 v[132:135], off, off offset:400
	v_add_f64_e32 v[184:185], v[184:185], v[190:191]
	v_add_f64_e32 v[182:183], v[194:195], v[192:193]
	v_fmac_f64_e32 v[186:187], v[6:7], v[136:137]
	v_fma_f64 v[192:193], v[4:5], v[136:137], -v[138:139]
	ds_load_b128 v[4:7], v2 offset:1168
	s_wait_loadcnt_dscnt 0xb01
	v_mul_f64_e32 v[190:191], v[172:173], v[142:143]
	v_mul_f64_e32 v[142:143], v[174:175], v[142:143]
	scratch_load_b128 v[136:139], off, off offset:416
	v_add_f64_e32 v[184:185], v[184:185], v[188:189]
	s_wait_loadcnt_dscnt 0xb00
	v_mul_f64_e32 v[188:189], v[4:5], v[146:147]
	v_add_f64_e32 v[194:195], v[182:183], v[180:181]
	v_mul_f64_e32 v[146:147], v[6:7], v[146:147]
	ds_load_b128 v[180:183], v2 offset:1184
	v_fmac_f64_e32 v[190:191], v[174:175], v[140:141]
	v_fma_f64 v[172:173], v[172:173], v[140:141], -v[142:143]
	scratch_load_b128 v[140:143], off, off offset:432
	v_add_f64_e32 v[184:185], v[184:185], v[186:187]
	v_fmac_f64_e32 v[188:189], v[6:7], v[144:145]
	v_add_f64_e32 v[174:175], v[194:195], v[192:193]
	v_fma_f64 v[192:193], v[4:5], v[144:145], -v[146:147]
	ds_load_b128 v[4:7], v2 offset:1200
	s_wait_loadcnt_dscnt 0xb01
	v_mul_f64_e32 v[186:187], v[180:181], v[150:151]
	v_mul_f64_e32 v[150:151], v[182:183], v[150:151]
	scratch_load_b128 v[144:147], off, off offset:448
	v_add_f64_e32 v[184:185], v[184:185], v[190:191]
	s_wait_loadcnt_dscnt 0xb00
	v_mul_f64_e32 v[190:191], v[4:5], v[154:155]
	v_add_f64_e32 v[194:195], v[174:175], v[172:173]
	v_mul_f64_e32 v[154:155], v[6:7], v[154:155]
	ds_load_b128 v[172:175], v2 offset:1216
	v_fmac_f64_e32 v[186:187], v[182:183], v[148:149]
	v_fma_f64 v[180:181], v[180:181], v[148:149], -v[150:151]
	scratch_load_b128 v[148:151], off, off offset:464
	v_add_f64_e32 v[184:185], v[184:185], v[188:189]
	v_fmac_f64_e32 v[190:191], v[6:7], v[152:153]
	v_add_f64_e32 v[182:183], v[194:195], v[192:193]
	;; [unrolled: 18-line block ×3, first 2 shown]
	v_fma_f64 v[192:193], v[4:5], v[164:165], -v[166:167]
	ds_load_b128 v[4:7], v2 offset:1264
	s_wait_loadcnt_dscnt 0xa01
	v_mul_f64_e32 v[190:191], v[180:181], v[178:179]
	v_mul_f64_e32 v[178:179], v[182:183], v[178:179]
	scratch_load_b128 v[164:167], off, off offset:512
	v_add_f64_e32 v[184:185], v[184:185], v[188:189]
	v_add_f64_e32 v[194:195], v[174:175], v[172:173]
	s_wait_loadcnt_dscnt 0xa00
	v_mul_f64_e32 v[188:189], v[4:5], v[162:163]
	v_mul_f64_e32 v[162:163], v[6:7], v[162:163]
	v_fmac_f64_e32 v[190:191], v[182:183], v[176:177]
	v_fma_f64 v[180:181], v[180:181], v[176:177], -v[178:179]
	ds_load_b128 v[172:175], v2 offset:1280
	scratch_load_b128 v[176:179], off, off offset:528
	v_add_f64_e32 v[184:185], v[184:185], v[186:187]
	v_add_f64_e32 v[182:183], v[194:195], v[192:193]
	v_fmac_f64_e32 v[188:189], v[6:7], v[160:161]
	v_fma_f64 v[192:193], v[4:5], v[160:161], -v[162:163]
	ds_load_b128 v[4:7], v2 offset:1296
	s_wait_loadcnt_dscnt 0xa01
	v_mul_f64_e32 v[186:187], v[172:173], v[10:11]
	v_mul_f64_e32 v[10:11], v[174:175], v[10:11]
	scratch_load_b128 v[160:163], off, off offset:544
	v_add_f64_e32 v[184:185], v[184:185], v[190:191]
	s_wait_loadcnt_dscnt 0xa00
	v_mul_f64_e32 v[190:191], v[4:5], v[130:131]
	v_add_f64_e32 v[194:195], v[182:183], v[180:181]
	v_mul_f64_e32 v[130:131], v[6:7], v[130:131]
	ds_load_b128 v[180:183], v2 offset:1312
	v_fmac_f64_e32 v[186:187], v[174:175], v[8:9]
	v_fma_f64 v[172:173], v[172:173], v[8:9], -v[10:11]
	scratch_load_b128 v[8:11], off, off offset:560
	v_add_f64_e32 v[184:185], v[184:185], v[188:189]
	v_fmac_f64_e32 v[190:191], v[6:7], v[128:129]
	v_add_f64_e32 v[174:175], v[194:195], v[192:193]
	v_fma_f64 v[192:193], v[4:5], v[128:129], -v[130:131]
	ds_load_b128 v[4:7], v2 offset:1328
	s_wait_loadcnt_dscnt 0xa01
	v_mul_f64_e32 v[188:189], v[180:181], v[134:135]
	v_mul_f64_e32 v[134:135], v[182:183], v[134:135]
	scratch_load_b128 v[128:131], off, off offset:576
	v_add_f64_e32 v[184:185], v[184:185], v[186:187]
	s_wait_loadcnt_dscnt 0xa00
	v_mul_f64_e32 v[186:187], v[4:5], v[138:139]
	v_add_f64_e32 v[194:195], v[174:175], v[172:173]
	v_mul_f64_e32 v[138:139], v[6:7], v[138:139]
	ds_load_b128 v[172:175], v2 offset:1344
	v_fmac_f64_e32 v[188:189], v[182:183], v[132:133]
	v_fma_f64 v[180:181], v[180:181], v[132:133], -v[134:135]
	scratch_load_b128 v[132:135], off, off offset:592
	v_add_f64_e32 v[184:185], v[184:185], v[190:191]
	v_fmac_f64_e32 v[186:187], v[6:7], v[136:137]
	v_add_f64_e32 v[182:183], v[194:195], v[192:193]
	;; [unrolled: 18-line block ×11, first 2 shown]
	v_fma_f64 v[192:193], v[4:5], v[164:165], -v[166:167]
	ds_load_b128 v[4:7], v2 offset:1648
	s_wait_loadcnt_dscnt 0xa01
	v_mul_f64_e32 v[190:191], v[180:181], v[178:179]
	v_mul_f64_e32 v[178:179], v[182:183], v[178:179]
	scratch_load_b128 v[164:167], off, off offset:896
	v_add_f64_e32 v[184:185], v[184:185], v[188:189]
	s_wait_loadcnt_dscnt 0xa00
	v_mul_f64_e32 v[188:189], v[4:5], v[162:163]
	v_add_f64_e32 v[194:195], v[174:175], v[172:173]
	v_mul_f64_e32 v[162:163], v[6:7], v[162:163]
	ds_load_b128 v[172:175], v2 offset:1664
	v_fmac_f64_e32 v[190:191], v[182:183], v[176:177]
	v_fma_f64 v[176:177], v[180:181], v[176:177], -v[178:179]
	s_wait_loadcnt_dscnt 0x900
	v_mul_f64_e32 v[182:183], v[172:173], v[10:11]
	v_mul_f64_e32 v[10:11], v[174:175], v[10:11]
	v_add_f64_e32 v[180:181], v[184:185], v[186:187]
	v_fmac_f64_e32 v[188:189], v[6:7], v[160:161]
	v_add_f64_e32 v[178:179], v[194:195], v[192:193]
	v_fma_f64 v[184:185], v[4:5], v[160:161], -v[162:163]
	ds_load_b128 v[4:7], v2 offset:1680
	ds_load_b128 v[160:163], v2 offset:1696
	v_fmac_f64_e32 v[182:183], v[174:175], v[8:9]
	v_fma_f64 v[8:9], v[172:173], v[8:9], -v[10:11]
	v_add_f64_e32 v[176:177], v[178:179], v[176:177]
	v_add_f64_e32 v[178:179], v[180:181], v[190:191]
	s_wait_loadcnt_dscnt 0x801
	v_mul_f64_e32 v[180:181], v[4:5], v[130:131]
	v_mul_f64_e32 v[130:131], v[6:7], v[130:131]
	s_wait_loadcnt_dscnt 0x700
	v_mul_f64_e32 v[174:175], v[160:161], v[134:135]
	v_mul_f64_e32 v[134:135], v[162:163], v[134:135]
	v_add_f64_e32 v[10:11], v[176:177], v[184:185]
	v_add_f64_e32 v[172:173], v[178:179], v[188:189]
	v_fmac_f64_e32 v[180:181], v[6:7], v[128:129]
	v_fma_f64 v[128:129], v[4:5], v[128:129], -v[130:131]
	v_fmac_f64_e32 v[174:175], v[162:163], v[132:133]
	v_fma_f64 v[132:133], v[160:161], v[132:133], -v[134:135]
	v_add_f64_e32 v[130:131], v[10:11], v[8:9]
	v_add_f64_e32 v[172:173], v[172:173], v[182:183]
	ds_load_b128 v[4:7], v2 offset:1712
	ds_load_b128 v[8:11], v2 offset:1728
	s_wait_loadcnt_dscnt 0x601
	v_mul_f64_e32 v[176:177], v[4:5], v[138:139]
	v_mul_f64_e32 v[138:139], v[6:7], v[138:139]
	s_wait_loadcnt_dscnt 0x500
	v_mul_f64_e32 v[134:135], v[8:9], v[142:143]
	v_mul_f64_e32 v[142:143], v[10:11], v[142:143]
	v_add_f64_e32 v[128:129], v[130:131], v[128:129]
	v_add_f64_e32 v[130:131], v[172:173], v[180:181]
	v_fmac_f64_e32 v[176:177], v[6:7], v[136:137]
	v_fma_f64 v[136:137], v[4:5], v[136:137], -v[138:139]
	v_fmac_f64_e32 v[134:135], v[10:11], v[140:141]
	v_fma_f64 v[8:9], v[8:9], v[140:141], -v[142:143]
	v_add_f64_e32 v[132:133], v[128:129], v[132:133]
	v_add_f64_e32 v[138:139], v[130:131], v[174:175]
	ds_load_b128 v[4:7], v2 offset:1744
	ds_load_b128 v[128:131], v2 offset:1760
	s_wait_loadcnt_dscnt 0x401
	v_mul_f64_e32 v[160:161], v[4:5], v[146:147]
	v_mul_f64_e32 v[146:147], v[6:7], v[146:147]
	v_add_f64_e32 v[10:11], v[132:133], v[136:137]
	v_add_f64_e32 v[132:133], v[138:139], v[176:177]
	s_wait_loadcnt_dscnt 0x300
	v_mul_f64_e32 v[136:137], v[128:129], v[150:151]
	v_mul_f64_e32 v[138:139], v[130:131], v[150:151]
	v_fmac_f64_e32 v[160:161], v[6:7], v[144:145]
	v_fma_f64 v[140:141], v[4:5], v[144:145], -v[146:147]
	v_add_f64_e32 v[142:143], v[10:11], v[8:9]
	v_add_f64_e32 v[132:133], v[132:133], v[134:135]
	ds_load_b128 v[4:7], v2 offset:1776
	ds_load_b128 v[8:11], v2 offset:1792
	v_fmac_f64_e32 v[136:137], v[130:131], v[148:149]
	v_fma_f64 v[128:129], v[128:129], v[148:149], -v[138:139]
	s_wait_loadcnt_dscnt 0x201
	v_mul_f64_e32 v[134:135], v[4:5], v[154:155]
	v_mul_f64_e32 v[144:145], v[6:7], v[154:155]
	s_wait_loadcnt_dscnt 0x100
	v_mul_f64_e32 v[138:139], v[8:9], v[158:159]
	v_add_f64_e32 v[130:131], v[142:143], v[140:141]
	v_add_f64_e32 v[132:133], v[132:133], v[160:161]
	v_mul_f64_e32 v[140:141], v[10:11], v[158:159]
	v_fmac_f64_e32 v[134:135], v[6:7], v[152:153]
	v_fma_f64 v[142:143], v[4:5], v[152:153], -v[144:145]
	ds_load_b128 v[4:7], v2 offset:1808
	v_fmac_f64_e32 v[138:139], v[10:11], v[156:157]
	v_add_f64_e32 v[128:129], v[130:131], v[128:129]
	v_add_f64_e32 v[130:131], v[132:133], v[136:137]
	v_fma_f64 v[8:9], v[8:9], v[156:157], -v[140:141]
	s_wait_loadcnt_dscnt 0x0
	v_mul_f64_e32 v[132:133], v[4:5], v[166:167]
	v_mul_f64_e32 v[136:137], v[6:7], v[166:167]
	v_add_f64_e32 v[10:11], v[128:129], v[142:143]
	v_add_f64_e32 v[128:129], v[130:131], v[134:135]
	s_delay_alu instid0(VALU_DEP_4) | instskip(NEXT) | instid1(VALU_DEP_4)
	v_fmac_f64_e32 v[132:133], v[6:7], v[164:165]
	v_fma_f64 v[4:5], v[4:5], v[164:165], -v[136:137]
	s_delay_alu instid0(VALU_DEP_4) | instskip(NEXT) | instid1(VALU_DEP_4)
	v_add_f64_e32 v[6:7], v[10:11], v[8:9]
	v_add_f64_e32 v[8:9], v[128:129], v[138:139]
	s_delay_alu instid0(VALU_DEP_2) | instskip(NEXT) | instid1(VALU_DEP_2)
	v_add_f64_e32 v[4:5], v[6:7], v[4:5]
	v_add_f64_e32 v[6:7], v[8:9], v[132:133]
	s_delay_alu instid0(VALU_DEP_2) | instskip(NEXT) | instid1(VALU_DEP_2)
	v_add_f64_e64 v[4:5], v[168:169], -v[4:5]
	v_add_f64_e64 v[6:7], v[170:171], -v[6:7]
	scratch_store_b128 off, v[4:7], off offset:144
	s_wait_xcnt 0x0
	v_cmpx_lt_u32_e32 8, v1
	s_cbranch_execz .LBB56_339
; %bb.338:
	scratch_load_b128 v[6:9], off, s53
	v_dual_mov_b32 v3, v2 :: v_dual_mov_b32 v4, v2
	v_mov_b32_e32 v5, v2
	scratch_store_b128 off, v[2:5], off offset:128
	s_wait_loadcnt 0x0
	ds_store_b128 v12, v[6:9]
.LBB56_339:
	s_wait_xcnt 0x0
	s_or_b32 exec_lo, exec_lo, s2
	s_wait_storecnt_dscnt 0x0
	s_barrier_signal -1
	s_barrier_wait -1
	s_clause 0x9
	scratch_load_b128 v[4:7], off, off offset:144
	scratch_load_b128 v[8:11], off, off offset:160
	;; [unrolled: 1-line block ×10, first 2 shown]
	ds_load_b128 v[160:163], v2 offset:1056
	ds_load_b128 v[168:171], v2 offset:1072
	s_clause 0x2
	scratch_load_b128 v[164:167], off, off offset:304
	scratch_load_b128 v[172:175], off, off offset:128
	;; [unrolled: 1-line block ×3, first 2 shown]
	s_mov_b32 s2, exec_lo
	s_wait_loadcnt_dscnt 0xc01
	v_mul_f64_e32 v[180:181], v[162:163], v[6:7]
	v_mul_f64_e32 v[184:185], v[160:161], v[6:7]
	s_wait_loadcnt_dscnt 0xb00
	v_mul_f64_e32 v[186:187], v[168:169], v[10:11]
	v_mul_f64_e32 v[10:11], v[170:171], v[10:11]
	s_delay_alu instid0(VALU_DEP_4) | instskip(NEXT) | instid1(VALU_DEP_4)
	v_fma_f64 v[188:189], v[160:161], v[4:5], -v[180:181]
	v_fmac_f64_e32 v[184:185], v[162:163], v[4:5]
	ds_load_b128 v[4:7], v2 offset:1088
	ds_load_b128 v[160:163], v2 offset:1104
	scratch_load_b128 v[180:183], off, off offset:336
	v_fmac_f64_e32 v[186:187], v[170:171], v[8:9]
	v_fma_f64 v[168:169], v[168:169], v[8:9], -v[10:11]
	scratch_load_b128 v[8:11], off, off offset:352
	s_wait_loadcnt_dscnt 0xc01
	v_mul_f64_e32 v[190:191], v[4:5], v[130:131]
	v_mul_f64_e32 v[130:131], v[6:7], v[130:131]
	v_add_f64_e32 v[170:171], 0, v[188:189]
	v_add_f64_e32 v[184:185], 0, v[184:185]
	s_wait_loadcnt_dscnt 0xb00
	v_mul_f64_e32 v[188:189], v[160:161], v[134:135]
	v_mul_f64_e32 v[134:135], v[162:163], v[134:135]
	v_fmac_f64_e32 v[190:191], v[6:7], v[128:129]
	v_fma_f64 v[192:193], v[4:5], v[128:129], -v[130:131]
	ds_load_b128 v[4:7], v2 offset:1120
	ds_load_b128 v[128:131], v2 offset:1136
	v_add_f64_e32 v[194:195], v[170:171], v[168:169]
	v_add_f64_e32 v[184:185], v[184:185], v[186:187]
	scratch_load_b128 v[168:171], off, off offset:368
	v_fmac_f64_e32 v[188:189], v[162:163], v[132:133]
	v_fma_f64 v[160:161], v[160:161], v[132:133], -v[134:135]
	scratch_load_b128 v[132:135], off, off offset:384
	s_wait_loadcnt_dscnt 0xc01
	v_mul_f64_e32 v[186:187], v[4:5], v[138:139]
	v_mul_f64_e32 v[138:139], v[6:7], v[138:139]
	v_add_f64_e32 v[162:163], v[194:195], v[192:193]
	v_add_f64_e32 v[184:185], v[184:185], v[190:191]
	s_wait_loadcnt_dscnt 0xb00
	v_mul_f64_e32 v[190:191], v[128:129], v[142:143]
	v_mul_f64_e32 v[142:143], v[130:131], v[142:143]
	v_fmac_f64_e32 v[186:187], v[6:7], v[136:137]
	v_fma_f64 v[192:193], v[4:5], v[136:137], -v[138:139]
	ds_load_b128 v[4:7], v2 offset:1152
	ds_load_b128 v[136:139], v2 offset:1168
	v_add_f64_e32 v[194:195], v[162:163], v[160:161]
	v_add_f64_e32 v[184:185], v[184:185], v[188:189]
	scratch_load_b128 v[160:163], off, off offset:400
	s_wait_loadcnt_dscnt 0xb01
	v_mul_f64_e32 v[188:189], v[4:5], v[146:147]
	v_mul_f64_e32 v[146:147], v[6:7], v[146:147]
	v_fmac_f64_e32 v[190:191], v[130:131], v[140:141]
	v_fma_f64 v[140:141], v[128:129], v[140:141], -v[142:143]
	scratch_load_b128 v[128:131], off, off offset:416
	v_add_f64_e32 v[142:143], v[194:195], v[192:193]
	v_add_f64_e32 v[184:185], v[184:185], v[186:187]
	s_wait_loadcnt_dscnt 0xb00
	v_mul_f64_e32 v[186:187], v[136:137], v[150:151]
	v_mul_f64_e32 v[150:151], v[138:139], v[150:151]
	v_fmac_f64_e32 v[188:189], v[6:7], v[144:145]
	v_fma_f64 v[192:193], v[4:5], v[144:145], -v[146:147]
	v_add_f64_e32 v[194:195], v[142:143], v[140:141]
	v_add_f64_e32 v[184:185], v[184:185], v[190:191]
	ds_load_b128 v[4:7], v2 offset:1184
	ds_load_b128 v[140:143], v2 offset:1200
	scratch_load_b128 v[144:147], off, off offset:432
	v_fmac_f64_e32 v[186:187], v[138:139], v[148:149]
	v_fma_f64 v[148:149], v[136:137], v[148:149], -v[150:151]
	scratch_load_b128 v[136:139], off, off offset:448
	s_wait_loadcnt_dscnt 0xc01
	v_mul_f64_e32 v[190:191], v[4:5], v[154:155]
	v_mul_f64_e32 v[154:155], v[6:7], v[154:155]
	v_add_f64_e32 v[150:151], v[194:195], v[192:193]
	v_add_f64_e32 v[184:185], v[184:185], v[188:189]
	s_wait_loadcnt_dscnt 0xb00
	v_mul_f64_e32 v[188:189], v[140:141], v[158:159]
	v_mul_f64_e32 v[158:159], v[142:143], v[158:159]
	v_fmac_f64_e32 v[190:191], v[6:7], v[152:153]
	v_fma_f64 v[192:193], v[4:5], v[152:153], -v[154:155]
	v_add_f64_e32 v[194:195], v[150:151], v[148:149]
	v_add_f64_e32 v[184:185], v[184:185], v[186:187]
	ds_load_b128 v[4:7], v2 offset:1216
	ds_load_b128 v[148:151], v2 offset:1232
	scratch_load_b128 v[152:155], off, off offset:464
	v_fmac_f64_e32 v[188:189], v[142:143], v[156:157]
	v_fma_f64 v[156:157], v[140:141], v[156:157], -v[158:159]
	scratch_load_b128 v[140:143], off, off offset:480
	s_wait_loadcnt_dscnt 0xc01
	v_mul_f64_e32 v[186:187], v[4:5], v[166:167]
	v_mul_f64_e32 v[166:167], v[6:7], v[166:167]
	;; [unrolled: 18-line block ×5, first 2 shown]
	v_add_f64_e32 v[178:179], v[194:195], v[192:193]
	v_add_f64_e32 v[184:185], v[184:185], v[190:191]
	s_wait_loadcnt_dscnt 0xa00
	v_mul_f64_e32 v[190:191], v[156:157], v[130:131]
	v_mul_f64_e32 v[130:131], v[158:159], v[130:131]
	v_fmac_f64_e32 v[186:187], v[6:7], v[160:161]
	v_fma_f64 v[192:193], v[4:5], v[160:161], -v[162:163]
	ds_load_b128 v[4:7], v2 offset:1344
	ds_load_b128 v[160:163], v2 offset:1360
	v_add_f64_e32 v[194:195], v[178:179], v[176:177]
	v_add_f64_e32 v[184:185], v[184:185], v[188:189]
	scratch_load_b128 v[176:179], off, off offset:592
	v_fmac_f64_e32 v[190:191], v[158:159], v[128:129]
	v_fma_f64 v[156:157], v[156:157], v[128:129], -v[130:131]
	scratch_load_b128 v[128:131], off, off offset:608
	s_wait_loadcnt_dscnt 0xb01
	v_mul_f64_e32 v[188:189], v[4:5], v[146:147]
	v_mul_f64_e32 v[146:147], v[6:7], v[146:147]
	v_add_f64_e32 v[158:159], v[194:195], v[192:193]
	v_add_f64_e32 v[184:185], v[184:185], v[186:187]
	s_wait_loadcnt_dscnt 0xa00
	v_mul_f64_e32 v[186:187], v[160:161], v[138:139]
	v_mul_f64_e32 v[138:139], v[162:163], v[138:139]
	v_fmac_f64_e32 v[188:189], v[6:7], v[144:145]
	v_fma_f64 v[192:193], v[4:5], v[144:145], -v[146:147]
	ds_load_b128 v[4:7], v2 offset:1376
	ds_load_b128 v[144:147], v2 offset:1392
	v_add_f64_e32 v[194:195], v[158:159], v[156:157]
	v_add_f64_e32 v[184:185], v[184:185], v[190:191]
	scratch_load_b128 v[156:159], off, off offset:624
	s_wait_loadcnt_dscnt 0xa01
	v_mul_f64_e32 v[190:191], v[4:5], v[154:155]
	v_mul_f64_e32 v[154:155], v[6:7], v[154:155]
	v_fmac_f64_e32 v[186:187], v[162:163], v[136:137]
	v_fma_f64 v[160:161], v[160:161], v[136:137], -v[138:139]
	scratch_load_b128 v[136:139], off, off offset:640
	v_add_f64_e32 v[162:163], v[194:195], v[192:193]
	v_add_f64_e32 v[184:185], v[184:185], v[188:189]
	s_wait_loadcnt_dscnt 0xa00
	v_mul_f64_e32 v[188:189], v[144:145], v[142:143]
	v_mul_f64_e32 v[142:143], v[146:147], v[142:143]
	v_fmac_f64_e32 v[190:191], v[6:7], v[152:153]
	v_fma_f64 v[192:193], v[4:5], v[152:153], -v[154:155]
	ds_load_b128 v[4:7], v2 offset:1408
	ds_load_b128 v[152:155], v2 offset:1424
	v_add_f64_e32 v[194:195], v[162:163], v[160:161]
	v_add_f64_e32 v[184:185], v[184:185], v[186:187]
	scratch_load_b128 v[160:163], off, off offset:656
	s_wait_loadcnt_dscnt 0xa01
	v_mul_f64_e32 v[186:187], v[4:5], v[166:167]
	v_mul_f64_e32 v[166:167], v[6:7], v[166:167]
	v_fmac_f64_e32 v[188:189], v[146:147], v[140:141]
	v_fma_f64 v[144:145], v[144:145], v[140:141], -v[142:143]
	scratch_load_b128 v[140:143], off, off offset:672
	v_add_f64_e32 v[146:147], v[194:195], v[192:193]
	v_add_f64_e32 v[184:185], v[184:185], v[190:191]
	s_wait_loadcnt_dscnt 0xa00
	v_mul_f64_e32 v[190:191], v[152:153], v[150:151]
	v_mul_f64_e32 v[150:151], v[154:155], v[150:151]
	v_fmac_f64_e32 v[186:187], v[6:7], v[164:165]
	v_fma_f64 v[192:193], v[4:5], v[164:165], -v[166:167]
	v_add_f64_e32 v[194:195], v[146:147], v[144:145]
	v_add_f64_e32 v[184:185], v[184:185], v[188:189]
	ds_load_b128 v[4:7], v2 offset:1440
	ds_load_b128 v[144:147], v2 offset:1456
	scratch_load_b128 v[164:167], off, off offset:688
	v_fmac_f64_e32 v[190:191], v[154:155], v[148:149]
	v_fma_f64 v[152:153], v[152:153], v[148:149], -v[150:151]
	scratch_load_b128 v[148:151], off, off offset:704
	s_wait_loadcnt_dscnt 0xb01
	v_mul_f64_e32 v[188:189], v[4:5], v[182:183]
	v_mul_f64_e32 v[182:183], v[6:7], v[182:183]
	v_add_f64_e32 v[154:155], v[194:195], v[192:193]
	v_add_f64_e32 v[184:185], v[184:185], v[186:187]
	s_wait_loadcnt_dscnt 0xa00
	v_mul_f64_e32 v[186:187], v[144:145], v[10:11]
	v_mul_f64_e32 v[10:11], v[146:147], v[10:11]
	v_fmac_f64_e32 v[188:189], v[6:7], v[180:181]
	v_fma_f64 v[192:193], v[4:5], v[180:181], -v[182:183]
	v_add_f64_e32 v[194:195], v[154:155], v[152:153]
	v_add_f64_e32 v[184:185], v[184:185], v[190:191]
	ds_load_b128 v[4:7], v2 offset:1472
	ds_load_b128 v[152:155], v2 offset:1488
	scratch_load_b128 v[180:183], off, off offset:720
	v_fmac_f64_e32 v[186:187], v[146:147], v[8:9]
	v_fma_f64 v[144:145], v[144:145], v[8:9], -v[10:11]
	scratch_load_b128 v[8:11], off, off offset:736
	s_wait_loadcnt_dscnt 0xb01
	v_mul_f64_e32 v[190:191], v[4:5], v[170:171]
	v_mul_f64_e32 v[170:171], v[6:7], v[170:171]
	;; [unrolled: 18-line block ×7, first 2 shown]
	v_add_f64_e32 v[154:155], v[194:195], v[192:193]
	v_add_f64_e32 v[184:185], v[184:185], v[186:187]
	s_wait_loadcnt_dscnt 0xa00
	v_mul_f64_e32 v[186:187], v[144:145], v[10:11]
	v_mul_f64_e32 v[10:11], v[146:147], v[10:11]
	v_fmac_f64_e32 v[188:189], v[6:7], v[180:181]
	v_fma_f64 v[180:181], v[4:5], v[180:181], -v[182:183]
	v_add_f64_e32 v[182:183], v[154:155], v[152:153]
	v_add_f64_e32 v[184:185], v[184:185], v[190:191]
	ds_load_b128 v[4:7], v2 offset:1664
	ds_load_b128 v[152:155], v2 offset:1680
	v_fmac_f64_e32 v[186:187], v[146:147], v[8:9]
	v_fma_f64 v[8:9], v[144:145], v[8:9], -v[10:11]
	s_wait_loadcnt_dscnt 0x901
	v_mul_f64_e32 v[190:191], v[4:5], v[170:171]
	v_mul_f64_e32 v[170:171], v[6:7], v[170:171]
	s_wait_loadcnt_dscnt 0x800
	v_mul_f64_e32 v[146:147], v[152:153], v[134:135]
	v_mul_f64_e32 v[134:135], v[154:155], v[134:135]
	v_add_f64_e32 v[10:11], v[182:183], v[180:181]
	v_add_f64_e32 v[144:145], v[184:185], v[188:189]
	v_fmac_f64_e32 v[190:191], v[6:7], v[168:169]
	v_fma_f64 v[168:169], v[4:5], v[168:169], -v[170:171]
	v_fmac_f64_e32 v[146:147], v[154:155], v[132:133]
	v_fma_f64 v[132:133], v[152:153], v[132:133], -v[134:135]
	v_add_f64_e32 v[170:171], v[10:11], v[8:9]
	v_add_f64_e32 v[144:145], v[144:145], v[186:187]
	ds_load_b128 v[4:7], v2 offset:1696
	ds_load_b128 v[8:11], v2 offset:1712
	s_wait_loadcnt_dscnt 0x701
	v_mul_f64_e32 v[180:181], v[4:5], v[178:179]
	v_mul_f64_e32 v[178:179], v[6:7], v[178:179]
	s_wait_loadcnt_dscnt 0x600
	v_mul_f64_e32 v[152:153], v[8:9], v[130:131]
	v_mul_f64_e32 v[154:155], v[10:11], v[130:131]
	v_add_f64_e32 v[134:135], v[170:171], v[168:169]
	v_add_f64_e32 v[144:145], v[144:145], v[190:191]
	v_fmac_f64_e32 v[180:181], v[6:7], v[176:177]
	v_fma_f64 v[168:169], v[4:5], v[176:177], -v[178:179]
	v_fmac_f64_e32 v[152:153], v[10:11], v[128:129]
	v_fma_f64 v[8:9], v[8:9], v[128:129], -v[154:155]
	v_add_f64_e32 v[134:135], v[134:135], v[132:133]
	v_add_f64_e32 v[144:145], v[144:145], v[146:147]
	ds_load_b128 v[4:7], v2 offset:1728
	ds_load_b128 v[130:133], v2 offset:1744
	s_wait_loadcnt_dscnt 0x501
	v_mul_f64_e32 v[146:147], v[4:5], v[158:159]
	v_mul_f64_e32 v[158:159], v[6:7], v[158:159]
	v_add_f64_e32 v[10:11], v[134:135], v[168:169]
	v_add_f64_e32 v[128:129], v[144:145], v[180:181]
	s_wait_loadcnt_dscnt 0x400
	v_mul_f64_e32 v[134:135], v[130:131], v[138:139]
	v_mul_f64_e32 v[138:139], v[132:133], v[138:139]
	v_fmac_f64_e32 v[146:147], v[6:7], v[156:157]
	v_fma_f64 v[144:145], v[4:5], v[156:157], -v[158:159]
	v_add_f64_e32 v[154:155], v[10:11], v[8:9]
	v_add_f64_e32 v[128:129], v[128:129], v[152:153]
	ds_load_b128 v[4:7], v2 offset:1760
	ds_load_b128 v[8:11], v2 offset:1776
	v_fmac_f64_e32 v[134:135], v[132:133], v[136:137]
	v_fma_f64 v[130:131], v[130:131], v[136:137], -v[138:139]
	s_wait_loadcnt_dscnt 0x301
	v_mul_f64_e32 v[152:153], v[4:5], v[162:163]
	v_mul_f64_e32 v[156:157], v[6:7], v[162:163]
	s_wait_loadcnt_dscnt 0x200
	v_mul_f64_e32 v[136:137], v[8:9], v[142:143]
	v_mul_f64_e32 v[138:139], v[10:11], v[142:143]
	v_add_f64_e32 v[132:133], v[154:155], v[144:145]
	v_add_f64_e32 v[128:129], v[128:129], v[146:147]
	v_fmac_f64_e32 v[152:153], v[6:7], v[160:161]
	v_fma_f64 v[142:143], v[4:5], v[160:161], -v[156:157]
	v_fmac_f64_e32 v[136:137], v[10:11], v[140:141]
	v_fma_f64 v[8:9], v[8:9], v[140:141], -v[138:139]
	v_add_f64_e32 v[132:133], v[132:133], v[130:131]
	v_add_f64_e32 v[134:135], v[128:129], v[134:135]
	ds_load_b128 v[4:7], v2 offset:1792
	ds_load_b128 v[128:131], v2 offset:1808
	s_wait_loadcnt_dscnt 0x101
	v_mul_f64_e32 v[2:3], v[4:5], v[166:167]
	v_mul_f64_e32 v[144:145], v[6:7], v[166:167]
	s_wait_loadcnt_dscnt 0x0
	v_mul_f64_e32 v[138:139], v[130:131], v[150:151]
	v_add_f64_e32 v[10:11], v[132:133], v[142:143]
	v_add_f64_e32 v[132:133], v[134:135], v[152:153]
	v_mul_f64_e32 v[134:135], v[128:129], v[150:151]
	v_fmac_f64_e32 v[2:3], v[6:7], v[164:165]
	v_fma_f64 v[4:5], v[4:5], v[164:165], -v[144:145]
	v_add_f64_e32 v[6:7], v[10:11], v[8:9]
	v_add_f64_e32 v[8:9], v[132:133], v[136:137]
	v_fmac_f64_e32 v[134:135], v[130:131], v[148:149]
	v_fma_f64 v[10:11], v[128:129], v[148:149], -v[138:139]
	s_delay_alu instid0(VALU_DEP_4) | instskip(NEXT) | instid1(VALU_DEP_4)
	v_add_f64_e32 v[4:5], v[6:7], v[4:5]
	v_add_f64_e32 v[2:3], v[8:9], v[2:3]
	s_delay_alu instid0(VALU_DEP_2) | instskip(NEXT) | instid1(VALU_DEP_2)
	v_add_f64_e32 v[4:5], v[4:5], v[10:11]
	v_add_f64_e32 v[6:7], v[2:3], v[134:135]
	s_delay_alu instid0(VALU_DEP_2) | instskip(NEXT) | instid1(VALU_DEP_2)
	v_add_f64_e64 v[2:3], v[172:173], -v[4:5]
	v_add_f64_e64 v[4:5], v[174:175], -v[6:7]
	scratch_store_b128 off, v[2:5], off offset:128
	s_wait_xcnt 0x0
	v_cmpx_lt_u32_e32 7, v1
	s_cbranch_execz .LBB56_341
; %bb.340:
	scratch_load_b128 v[2:5], off, s59
	v_mov_b32_e32 v6, 0
	s_delay_alu instid0(VALU_DEP_1)
	v_dual_mov_b32 v7, v6 :: v_dual_mov_b32 v8, v6
	v_mov_b32_e32 v9, v6
	scratch_store_b128 off, v[6:9], off offset:112
	s_wait_loadcnt 0x0
	ds_store_b128 v12, v[2:5]
.LBB56_341:
	s_wait_xcnt 0x0
	s_or_b32 exec_lo, exec_lo, s2
	s_wait_storecnt_dscnt 0x0
	s_barrier_signal -1
	s_barrier_wait -1
	s_clause 0x9
	scratch_load_b128 v[4:7], off, off offset:128
	scratch_load_b128 v[8:11], off, off offset:144
	;; [unrolled: 1-line block ×10, first 2 shown]
	v_mov_b32_e32 v2, 0
	s_mov_b32 s2, exec_lo
	ds_load_b128 v[160:163], v2 offset:1040
	s_clause 0x2
	scratch_load_b128 v[164:167], off, off offset:288
	scratch_load_b128 v[168:171], off, off offset:112
	;; [unrolled: 1-line block ×3, first 2 shown]
	s_wait_loadcnt_dscnt 0xc00
	v_mul_f64_e32 v[180:181], v[162:163], v[6:7]
	v_mul_f64_e32 v[184:185], v[160:161], v[6:7]
	ds_load_b128 v[172:175], v2 offset:1056
	v_fma_f64 v[188:189], v[160:161], v[4:5], -v[180:181]
	v_fmac_f64_e32 v[184:185], v[162:163], v[4:5]
	ds_load_b128 v[4:7], v2 offset:1072
	s_wait_loadcnt_dscnt 0xb01
	v_mul_f64_e32 v[186:187], v[172:173], v[10:11]
	v_mul_f64_e32 v[10:11], v[174:175], v[10:11]
	scratch_load_b128 v[160:163], off, off offset:320
	ds_load_b128 v[180:183], v2 offset:1088
	s_wait_loadcnt_dscnt 0xb01
	v_mul_f64_e32 v[190:191], v[4:5], v[130:131]
	v_mul_f64_e32 v[130:131], v[6:7], v[130:131]
	v_add_f64_e32 v[184:185], 0, v[184:185]
	v_fmac_f64_e32 v[186:187], v[174:175], v[8:9]
	v_fma_f64 v[172:173], v[172:173], v[8:9], -v[10:11]
	v_add_f64_e32 v[174:175], 0, v[188:189]
	scratch_load_b128 v[8:11], off, off offset:336
	v_fmac_f64_e32 v[190:191], v[6:7], v[128:129]
	v_fma_f64 v[192:193], v[4:5], v[128:129], -v[130:131]
	ds_load_b128 v[4:7], v2 offset:1104
	s_wait_loadcnt_dscnt 0xb01
	v_mul_f64_e32 v[188:189], v[180:181], v[134:135]
	v_mul_f64_e32 v[134:135], v[182:183], v[134:135]
	scratch_load_b128 v[128:131], off, off offset:352
	v_add_f64_e32 v[184:185], v[184:185], v[186:187]
	v_add_f64_e32 v[194:195], v[174:175], v[172:173]
	ds_load_b128 v[172:175], v2 offset:1120
	s_wait_loadcnt_dscnt 0xb01
	v_mul_f64_e32 v[186:187], v[4:5], v[138:139]
	v_mul_f64_e32 v[138:139], v[6:7], v[138:139]
	v_fmac_f64_e32 v[188:189], v[182:183], v[132:133]
	v_fma_f64 v[180:181], v[180:181], v[132:133], -v[134:135]
	scratch_load_b128 v[132:135], off, off offset:368
	v_add_f64_e32 v[184:185], v[184:185], v[190:191]
	v_add_f64_e32 v[182:183], v[194:195], v[192:193]
	v_fmac_f64_e32 v[186:187], v[6:7], v[136:137]
	v_fma_f64 v[192:193], v[4:5], v[136:137], -v[138:139]
	ds_load_b128 v[4:7], v2 offset:1136
	s_wait_loadcnt_dscnt 0xb01
	v_mul_f64_e32 v[190:191], v[172:173], v[142:143]
	v_mul_f64_e32 v[142:143], v[174:175], v[142:143]
	scratch_load_b128 v[136:139], off, off offset:384
	v_add_f64_e32 v[184:185], v[184:185], v[188:189]
	s_wait_loadcnt_dscnt 0xb00
	v_mul_f64_e32 v[188:189], v[4:5], v[146:147]
	v_add_f64_e32 v[194:195], v[182:183], v[180:181]
	v_mul_f64_e32 v[146:147], v[6:7], v[146:147]
	ds_load_b128 v[180:183], v2 offset:1152
	v_fmac_f64_e32 v[190:191], v[174:175], v[140:141]
	v_fma_f64 v[172:173], v[172:173], v[140:141], -v[142:143]
	scratch_load_b128 v[140:143], off, off offset:400
	v_add_f64_e32 v[184:185], v[184:185], v[186:187]
	v_fmac_f64_e32 v[188:189], v[6:7], v[144:145]
	v_add_f64_e32 v[174:175], v[194:195], v[192:193]
	v_fma_f64 v[192:193], v[4:5], v[144:145], -v[146:147]
	ds_load_b128 v[4:7], v2 offset:1168
	s_wait_loadcnt_dscnt 0xb01
	v_mul_f64_e32 v[186:187], v[180:181], v[150:151]
	v_mul_f64_e32 v[150:151], v[182:183], v[150:151]
	scratch_load_b128 v[144:147], off, off offset:416
	v_add_f64_e32 v[184:185], v[184:185], v[190:191]
	s_wait_loadcnt_dscnt 0xb00
	v_mul_f64_e32 v[190:191], v[4:5], v[154:155]
	v_add_f64_e32 v[194:195], v[174:175], v[172:173]
	v_mul_f64_e32 v[154:155], v[6:7], v[154:155]
	ds_load_b128 v[172:175], v2 offset:1184
	v_fmac_f64_e32 v[186:187], v[182:183], v[148:149]
	v_fma_f64 v[180:181], v[180:181], v[148:149], -v[150:151]
	scratch_load_b128 v[148:151], off, off offset:432
	v_add_f64_e32 v[184:185], v[184:185], v[188:189]
	v_fmac_f64_e32 v[190:191], v[6:7], v[152:153]
	v_add_f64_e32 v[182:183], v[194:195], v[192:193]
	;; [unrolled: 18-line block ×3, first 2 shown]
	v_fma_f64 v[192:193], v[4:5], v[164:165], -v[166:167]
	ds_load_b128 v[4:7], v2 offset:1232
	s_wait_loadcnt_dscnt 0xa01
	v_mul_f64_e32 v[190:191], v[180:181], v[178:179]
	v_mul_f64_e32 v[178:179], v[182:183], v[178:179]
	scratch_load_b128 v[164:167], off, off offset:480
	v_add_f64_e32 v[184:185], v[184:185], v[188:189]
	v_add_f64_e32 v[194:195], v[174:175], v[172:173]
	s_wait_loadcnt_dscnt 0xa00
	v_mul_f64_e32 v[188:189], v[4:5], v[162:163]
	v_mul_f64_e32 v[162:163], v[6:7], v[162:163]
	v_fmac_f64_e32 v[190:191], v[182:183], v[176:177]
	v_fma_f64 v[180:181], v[180:181], v[176:177], -v[178:179]
	ds_load_b128 v[172:175], v2 offset:1248
	scratch_load_b128 v[176:179], off, off offset:496
	v_add_f64_e32 v[184:185], v[184:185], v[186:187]
	v_add_f64_e32 v[182:183], v[194:195], v[192:193]
	v_fmac_f64_e32 v[188:189], v[6:7], v[160:161]
	v_fma_f64 v[192:193], v[4:5], v[160:161], -v[162:163]
	ds_load_b128 v[4:7], v2 offset:1264
	s_wait_loadcnt_dscnt 0xa01
	v_mul_f64_e32 v[186:187], v[172:173], v[10:11]
	v_mul_f64_e32 v[10:11], v[174:175], v[10:11]
	scratch_load_b128 v[160:163], off, off offset:512
	v_add_f64_e32 v[184:185], v[184:185], v[190:191]
	s_wait_loadcnt_dscnt 0xa00
	v_mul_f64_e32 v[190:191], v[4:5], v[130:131]
	v_add_f64_e32 v[194:195], v[182:183], v[180:181]
	v_mul_f64_e32 v[130:131], v[6:7], v[130:131]
	ds_load_b128 v[180:183], v2 offset:1280
	v_fmac_f64_e32 v[186:187], v[174:175], v[8:9]
	v_fma_f64 v[172:173], v[172:173], v[8:9], -v[10:11]
	scratch_load_b128 v[8:11], off, off offset:528
	v_add_f64_e32 v[184:185], v[184:185], v[188:189]
	v_fmac_f64_e32 v[190:191], v[6:7], v[128:129]
	v_add_f64_e32 v[174:175], v[194:195], v[192:193]
	v_fma_f64 v[192:193], v[4:5], v[128:129], -v[130:131]
	ds_load_b128 v[4:7], v2 offset:1296
	s_wait_loadcnt_dscnt 0xa01
	v_mul_f64_e32 v[188:189], v[180:181], v[134:135]
	v_mul_f64_e32 v[134:135], v[182:183], v[134:135]
	scratch_load_b128 v[128:131], off, off offset:544
	v_add_f64_e32 v[184:185], v[184:185], v[186:187]
	s_wait_loadcnt_dscnt 0xa00
	v_mul_f64_e32 v[186:187], v[4:5], v[138:139]
	v_add_f64_e32 v[194:195], v[174:175], v[172:173]
	v_mul_f64_e32 v[138:139], v[6:7], v[138:139]
	ds_load_b128 v[172:175], v2 offset:1312
	v_fmac_f64_e32 v[188:189], v[182:183], v[132:133]
	v_fma_f64 v[180:181], v[180:181], v[132:133], -v[134:135]
	scratch_load_b128 v[132:135], off, off offset:560
	v_add_f64_e32 v[184:185], v[184:185], v[190:191]
	v_fmac_f64_e32 v[186:187], v[6:7], v[136:137]
	v_add_f64_e32 v[182:183], v[194:195], v[192:193]
	;; [unrolled: 18-line block ×12, first 2 shown]
	v_fma_f64 v[192:193], v[4:5], v[160:161], -v[162:163]
	ds_load_b128 v[4:7], v2 offset:1648
	s_wait_loadcnt_dscnt 0xa01
	v_mul_f64_e32 v[186:187], v[172:173], v[10:11]
	v_mul_f64_e32 v[10:11], v[174:175], v[10:11]
	scratch_load_b128 v[160:163], off, off offset:896
	v_add_f64_e32 v[184:185], v[184:185], v[190:191]
	s_wait_loadcnt_dscnt 0xa00
	v_mul_f64_e32 v[190:191], v[4:5], v[130:131]
	v_add_f64_e32 v[194:195], v[182:183], v[180:181]
	v_mul_f64_e32 v[130:131], v[6:7], v[130:131]
	ds_load_b128 v[180:183], v2 offset:1664
	v_fmac_f64_e32 v[186:187], v[174:175], v[8:9]
	v_fma_f64 v[8:9], v[172:173], v[8:9], -v[10:11]
	s_wait_loadcnt_dscnt 0x900
	v_mul_f64_e32 v[174:175], v[180:181], v[134:135]
	v_mul_f64_e32 v[134:135], v[182:183], v[134:135]
	v_add_f64_e32 v[172:173], v[184:185], v[188:189]
	v_fmac_f64_e32 v[190:191], v[6:7], v[128:129]
	v_add_f64_e32 v[10:11], v[194:195], v[192:193]
	v_fma_f64 v[128:129], v[4:5], v[128:129], -v[130:131]
	v_fmac_f64_e32 v[174:175], v[182:183], v[132:133]
	v_fma_f64 v[132:133], v[180:181], v[132:133], -v[134:135]
	v_add_f64_e32 v[172:173], v[172:173], v[186:187]
	v_add_f64_e32 v[130:131], v[10:11], v[8:9]
	ds_load_b128 v[4:7], v2 offset:1680
	ds_load_b128 v[8:11], v2 offset:1696
	s_wait_loadcnt_dscnt 0x801
	v_mul_f64_e32 v[184:185], v[4:5], v[138:139]
	v_mul_f64_e32 v[138:139], v[6:7], v[138:139]
	s_wait_loadcnt_dscnt 0x700
	v_mul_f64_e32 v[134:135], v[8:9], v[142:143]
	v_mul_f64_e32 v[142:143], v[10:11], v[142:143]
	v_add_f64_e32 v[128:129], v[130:131], v[128:129]
	v_add_f64_e32 v[130:131], v[172:173], v[190:191]
	v_fmac_f64_e32 v[184:185], v[6:7], v[136:137]
	v_fma_f64 v[136:137], v[4:5], v[136:137], -v[138:139]
	v_fmac_f64_e32 v[134:135], v[10:11], v[140:141]
	v_fma_f64 v[8:9], v[8:9], v[140:141], -v[142:143]
	v_add_f64_e32 v[132:133], v[128:129], v[132:133]
	v_add_f64_e32 v[138:139], v[130:131], v[174:175]
	ds_load_b128 v[4:7], v2 offset:1712
	ds_load_b128 v[128:131], v2 offset:1728
	s_wait_loadcnt_dscnt 0x601
	v_mul_f64_e32 v[172:173], v[4:5], v[146:147]
	v_mul_f64_e32 v[146:147], v[6:7], v[146:147]
	v_add_f64_e32 v[10:11], v[132:133], v[136:137]
	v_add_f64_e32 v[132:133], v[138:139], v[184:185]
	s_wait_loadcnt_dscnt 0x500
	v_mul_f64_e32 v[136:137], v[128:129], v[150:151]
	v_mul_f64_e32 v[138:139], v[130:131], v[150:151]
	v_fmac_f64_e32 v[172:173], v[6:7], v[144:145]
	v_fma_f64 v[140:141], v[4:5], v[144:145], -v[146:147]
	v_add_f64_e32 v[142:143], v[10:11], v[8:9]
	v_add_f64_e32 v[132:133], v[132:133], v[134:135]
	ds_load_b128 v[4:7], v2 offset:1744
	ds_load_b128 v[8:11], v2 offset:1760
	v_fmac_f64_e32 v[136:137], v[130:131], v[148:149]
	v_fma_f64 v[128:129], v[128:129], v[148:149], -v[138:139]
	s_wait_loadcnt_dscnt 0x401
	v_mul_f64_e32 v[134:135], v[4:5], v[154:155]
	v_mul_f64_e32 v[144:145], v[6:7], v[154:155]
	s_wait_loadcnt_dscnt 0x300
	v_mul_f64_e32 v[138:139], v[8:9], v[158:159]
	v_add_f64_e32 v[130:131], v[142:143], v[140:141]
	v_add_f64_e32 v[132:133], v[132:133], v[172:173]
	v_mul_f64_e32 v[140:141], v[10:11], v[158:159]
	v_fmac_f64_e32 v[134:135], v[6:7], v[152:153]
	v_fma_f64 v[142:143], v[4:5], v[152:153], -v[144:145]
	v_fmac_f64_e32 v[138:139], v[10:11], v[156:157]
	v_add_f64_e32 v[144:145], v[130:131], v[128:129]
	v_add_f64_e32 v[132:133], v[132:133], v[136:137]
	ds_load_b128 v[4:7], v2 offset:1776
	ds_load_b128 v[128:131], v2 offset:1792
	v_fma_f64 v[8:9], v[8:9], v[156:157], -v[140:141]
	s_wait_loadcnt_dscnt 0x201
	v_mul_f64_e32 v[136:137], v[4:5], v[166:167]
	v_mul_f64_e32 v[146:147], v[6:7], v[166:167]
	s_wait_loadcnt_dscnt 0x100
	v_mul_f64_e32 v[140:141], v[130:131], v[178:179]
	v_add_f64_e32 v[10:11], v[144:145], v[142:143]
	v_add_f64_e32 v[132:133], v[132:133], v[134:135]
	v_mul_f64_e32 v[134:135], v[128:129], v[178:179]
	v_fmac_f64_e32 v[136:137], v[6:7], v[164:165]
	v_fma_f64 v[142:143], v[4:5], v[164:165], -v[146:147]
	ds_load_b128 v[4:7], v2 offset:1808
	v_fma_f64 v[128:129], v[128:129], v[176:177], -v[140:141]
	v_add_f64_e32 v[8:9], v[10:11], v[8:9]
	v_add_f64_e32 v[10:11], v[132:133], v[138:139]
	v_fmac_f64_e32 v[134:135], v[130:131], v[176:177]
	s_wait_loadcnt_dscnt 0x0
	v_mul_f64_e32 v[132:133], v[4:5], v[162:163]
	v_mul_f64_e32 v[138:139], v[6:7], v[162:163]
	v_add_f64_e32 v[8:9], v[8:9], v[142:143]
	v_add_f64_e32 v[10:11], v[10:11], v[136:137]
	s_delay_alu instid0(VALU_DEP_4) | instskip(NEXT) | instid1(VALU_DEP_4)
	v_fmac_f64_e32 v[132:133], v[6:7], v[160:161]
	v_fma_f64 v[4:5], v[4:5], v[160:161], -v[138:139]
	s_delay_alu instid0(VALU_DEP_4) | instskip(NEXT) | instid1(VALU_DEP_4)
	v_add_f64_e32 v[6:7], v[8:9], v[128:129]
	v_add_f64_e32 v[8:9], v[10:11], v[134:135]
	s_delay_alu instid0(VALU_DEP_2) | instskip(NEXT) | instid1(VALU_DEP_2)
	v_add_f64_e32 v[4:5], v[6:7], v[4:5]
	v_add_f64_e32 v[6:7], v[8:9], v[132:133]
	s_delay_alu instid0(VALU_DEP_2) | instskip(NEXT) | instid1(VALU_DEP_2)
	v_add_f64_e64 v[4:5], v[168:169], -v[4:5]
	v_add_f64_e64 v[6:7], v[170:171], -v[6:7]
	scratch_store_b128 off, v[4:7], off offset:112
	s_wait_xcnt 0x0
	v_cmpx_lt_u32_e32 6, v1
	s_cbranch_execz .LBB56_343
; %bb.342:
	scratch_load_b128 v[6:9], off, s56
	v_dual_mov_b32 v3, v2 :: v_dual_mov_b32 v4, v2
	v_mov_b32_e32 v5, v2
	scratch_store_b128 off, v[2:5], off offset:96
	s_wait_loadcnt 0x0
	ds_store_b128 v12, v[6:9]
.LBB56_343:
	s_wait_xcnt 0x0
	s_or_b32 exec_lo, exec_lo, s2
	s_wait_storecnt_dscnt 0x0
	s_barrier_signal -1
	s_barrier_wait -1
	s_clause 0x9
	scratch_load_b128 v[4:7], off, off offset:112
	scratch_load_b128 v[8:11], off, off offset:128
	;; [unrolled: 1-line block ×10, first 2 shown]
	ds_load_b128 v[160:163], v2 offset:1024
	ds_load_b128 v[168:171], v2 offset:1040
	s_clause 0x2
	scratch_load_b128 v[164:167], off, off offset:272
	scratch_load_b128 v[172:175], off, off offset:96
	;; [unrolled: 1-line block ×3, first 2 shown]
	s_mov_b32 s2, exec_lo
	s_wait_loadcnt_dscnt 0xc01
	v_mul_f64_e32 v[180:181], v[162:163], v[6:7]
	v_mul_f64_e32 v[184:185], v[160:161], v[6:7]
	s_wait_loadcnt_dscnt 0xb00
	v_mul_f64_e32 v[186:187], v[168:169], v[10:11]
	v_mul_f64_e32 v[10:11], v[170:171], v[10:11]
	s_delay_alu instid0(VALU_DEP_4) | instskip(NEXT) | instid1(VALU_DEP_4)
	v_fma_f64 v[188:189], v[160:161], v[4:5], -v[180:181]
	v_fmac_f64_e32 v[184:185], v[162:163], v[4:5]
	ds_load_b128 v[4:7], v2 offset:1056
	ds_load_b128 v[160:163], v2 offset:1072
	scratch_load_b128 v[180:183], off, off offset:304
	v_fmac_f64_e32 v[186:187], v[170:171], v[8:9]
	v_fma_f64 v[168:169], v[168:169], v[8:9], -v[10:11]
	scratch_load_b128 v[8:11], off, off offset:320
	s_wait_loadcnt_dscnt 0xc01
	v_mul_f64_e32 v[190:191], v[4:5], v[130:131]
	v_mul_f64_e32 v[130:131], v[6:7], v[130:131]
	v_add_f64_e32 v[170:171], 0, v[188:189]
	v_add_f64_e32 v[184:185], 0, v[184:185]
	s_wait_loadcnt_dscnt 0xb00
	v_mul_f64_e32 v[188:189], v[160:161], v[134:135]
	v_mul_f64_e32 v[134:135], v[162:163], v[134:135]
	v_fmac_f64_e32 v[190:191], v[6:7], v[128:129]
	v_fma_f64 v[192:193], v[4:5], v[128:129], -v[130:131]
	ds_load_b128 v[4:7], v2 offset:1088
	ds_load_b128 v[128:131], v2 offset:1104
	v_add_f64_e32 v[194:195], v[170:171], v[168:169]
	v_add_f64_e32 v[184:185], v[184:185], v[186:187]
	scratch_load_b128 v[168:171], off, off offset:336
	v_fmac_f64_e32 v[188:189], v[162:163], v[132:133]
	v_fma_f64 v[160:161], v[160:161], v[132:133], -v[134:135]
	scratch_load_b128 v[132:135], off, off offset:352
	s_wait_loadcnt_dscnt 0xc01
	v_mul_f64_e32 v[186:187], v[4:5], v[138:139]
	v_mul_f64_e32 v[138:139], v[6:7], v[138:139]
	v_add_f64_e32 v[162:163], v[194:195], v[192:193]
	v_add_f64_e32 v[184:185], v[184:185], v[190:191]
	s_wait_loadcnt_dscnt 0xb00
	v_mul_f64_e32 v[190:191], v[128:129], v[142:143]
	v_mul_f64_e32 v[142:143], v[130:131], v[142:143]
	v_fmac_f64_e32 v[186:187], v[6:7], v[136:137]
	v_fma_f64 v[192:193], v[4:5], v[136:137], -v[138:139]
	ds_load_b128 v[4:7], v2 offset:1120
	ds_load_b128 v[136:139], v2 offset:1136
	v_add_f64_e32 v[194:195], v[162:163], v[160:161]
	v_add_f64_e32 v[184:185], v[184:185], v[188:189]
	scratch_load_b128 v[160:163], off, off offset:368
	s_wait_loadcnt_dscnt 0xb01
	v_mul_f64_e32 v[188:189], v[4:5], v[146:147]
	v_mul_f64_e32 v[146:147], v[6:7], v[146:147]
	v_fmac_f64_e32 v[190:191], v[130:131], v[140:141]
	v_fma_f64 v[140:141], v[128:129], v[140:141], -v[142:143]
	scratch_load_b128 v[128:131], off, off offset:384
	v_add_f64_e32 v[142:143], v[194:195], v[192:193]
	v_add_f64_e32 v[184:185], v[184:185], v[186:187]
	s_wait_loadcnt_dscnt 0xb00
	v_mul_f64_e32 v[186:187], v[136:137], v[150:151]
	v_mul_f64_e32 v[150:151], v[138:139], v[150:151]
	v_fmac_f64_e32 v[188:189], v[6:7], v[144:145]
	v_fma_f64 v[192:193], v[4:5], v[144:145], -v[146:147]
	v_add_f64_e32 v[194:195], v[142:143], v[140:141]
	v_add_f64_e32 v[184:185], v[184:185], v[190:191]
	ds_load_b128 v[4:7], v2 offset:1152
	ds_load_b128 v[140:143], v2 offset:1168
	scratch_load_b128 v[144:147], off, off offset:400
	v_fmac_f64_e32 v[186:187], v[138:139], v[148:149]
	v_fma_f64 v[148:149], v[136:137], v[148:149], -v[150:151]
	scratch_load_b128 v[136:139], off, off offset:416
	s_wait_loadcnt_dscnt 0xc01
	v_mul_f64_e32 v[190:191], v[4:5], v[154:155]
	v_mul_f64_e32 v[154:155], v[6:7], v[154:155]
	v_add_f64_e32 v[150:151], v[194:195], v[192:193]
	v_add_f64_e32 v[184:185], v[184:185], v[188:189]
	s_wait_loadcnt_dscnt 0xb00
	v_mul_f64_e32 v[188:189], v[140:141], v[158:159]
	v_mul_f64_e32 v[158:159], v[142:143], v[158:159]
	v_fmac_f64_e32 v[190:191], v[6:7], v[152:153]
	v_fma_f64 v[192:193], v[4:5], v[152:153], -v[154:155]
	v_add_f64_e32 v[194:195], v[150:151], v[148:149]
	v_add_f64_e32 v[184:185], v[184:185], v[186:187]
	ds_load_b128 v[4:7], v2 offset:1184
	ds_load_b128 v[148:151], v2 offset:1200
	scratch_load_b128 v[152:155], off, off offset:432
	v_fmac_f64_e32 v[188:189], v[142:143], v[156:157]
	v_fma_f64 v[156:157], v[140:141], v[156:157], -v[158:159]
	scratch_load_b128 v[140:143], off, off offset:448
	s_wait_loadcnt_dscnt 0xc01
	v_mul_f64_e32 v[186:187], v[4:5], v[166:167]
	v_mul_f64_e32 v[166:167], v[6:7], v[166:167]
	;; [unrolled: 18-line block ×5, first 2 shown]
	v_add_f64_e32 v[178:179], v[194:195], v[192:193]
	v_add_f64_e32 v[184:185], v[184:185], v[190:191]
	s_wait_loadcnt_dscnt 0xa00
	v_mul_f64_e32 v[190:191], v[156:157], v[130:131]
	v_mul_f64_e32 v[130:131], v[158:159], v[130:131]
	v_fmac_f64_e32 v[186:187], v[6:7], v[160:161]
	v_fma_f64 v[192:193], v[4:5], v[160:161], -v[162:163]
	ds_load_b128 v[4:7], v2 offset:1312
	ds_load_b128 v[160:163], v2 offset:1328
	v_add_f64_e32 v[194:195], v[178:179], v[176:177]
	v_add_f64_e32 v[184:185], v[184:185], v[188:189]
	scratch_load_b128 v[176:179], off, off offset:560
	v_fmac_f64_e32 v[190:191], v[158:159], v[128:129]
	v_fma_f64 v[156:157], v[156:157], v[128:129], -v[130:131]
	scratch_load_b128 v[128:131], off, off offset:576
	s_wait_loadcnt_dscnt 0xb01
	v_mul_f64_e32 v[188:189], v[4:5], v[146:147]
	v_mul_f64_e32 v[146:147], v[6:7], v[146:147]
	v_add_f64_e32 v[158:159], v[194:195], v[192:193]
	v_add_f64_e32 v[184:185], v[184:185], v[186:187]
	s_wait_loadcnt_dscnt 0xa00
	v_mul_f64_e32 v[186:187], v[160:161], v[138:139]
	v_mul_f64_e32 v[138:139], v[162:163], v[138:139]
	v_fmac_f64_e32 v[188:189], v[6:7], v[144:145]
	v_fma_f64 v[192:193], v[4:5], v[144:145], -v[146:147]
	ds_load_b128 v[4:7], v2 offset:1344
	ds_load_b128 v[144:147], v2 offset:1360
	v_add_f64_e32 v[194:195], v[158:159], v[156:157]
	v_add_f64_e32 v[184:185], v[184:185], v[190:191]
	scratch_load_b128 v[156:159], off, off offset:592
	s_wait_loadcnt_dscnt 0xa01
	v_mul_f64_e32 v[190:191], v[4:5], v[154:155]
	v_mul_f64_e32 v[154:155], v[6:7], v[154:155]
	v_fmac_f64_e32 v[186:187], v[162:163], v[136:137]
	v_fma_f64 v[160:161], v[160:161], v[136:137], -v[138:139]
	scratch_load_b128 v[136:139], off, off offset:608
	v_add_f64_e32 v[162:163], v[194:195], v[192:193]
	v_add_f64_e32 v[184:185], v[184:185], v[188:189]
	s_wait_loadcnt_dscnt 0xa00
	v_mul_f64_e32 v[188:189], v[144:145], v[142:143]
	v_mul_f64_e32 v[142:143], v[146:147], v[142:143]
	v_fmac_f64_e32 v[190:191], v[6:7], v[152:153]
	v_fma_f64 v[192:193], v[4:5], v[152:153], -v[154:155]
	ds_load_b128 v[4:7], v2 offset:1376
	ds_load_b128 v[152:155], v2 offset:1392
	v_add_f64_e32 v[194:195], v[162:163], v[160:161]
	v_add_f64_e32 v[184:185], v[184:185], v[186:187]
	scratch_load_b128 v[160:163], off, off offset:624
	s_wait_loadcnt_dscnt 0xa01
	v_mul_f64_e32 v[186:187], v[4:5], v[166:167]
	v_mul_f64_e32 v[166:167], v[6:7], v[166:167]
	v_fmac_f64_e32 v[188:189], v[146:147], v[140:141]
	v_fma_f64 v[144:145], v[144:145], v[140:141], -v[142:143]
	scratch_load_b128 v[140:143], off, off offset:640
	v_add_f64_e32 v[146:147], v[194:195], v[192:193]
	v_add_f64_e32 v[184:185], v[184:185], v[190:191]
	s_wait_loadcnt_dscnt 0xa00
	v_mul_f64_e32 v[190:191], v[152:153], v[150:151]
	v_mul_f64_e32 v[150:151], v[154:155], v[150:151]
	v_fmac_f64_e32 v[186:187], v[6:7], v[164:165]
	v_fma_f64 v[192:193], v[4:5], v[164:165], -v[166:167]
	v_add_f64_e32 v[194:195], v[146:147], v[144:145]
	v_add_f64_e32 v[184:185], v[184:185], v[188:189]
	ds_load_b128 v[4:7], v2 offset:1408
	ds_load_b128 v[144:147], v2 offset:1424
	scratch_load_b128 v[164:167], off, off offset:656
	v_fmac_f64_e32 v[190:191], v[154:155], v[148:149]
	v_fma_f64 v[152:153], v[152:153], v[148:149], -v[150:151]
	scratch_load_b128 v[148:151], off, off offset:672
	s_wait_loadcnt_dscnt 0xb01
	v_mul_f64_e32 v[188:189], v[4:5], v[182:183]
	v_mul_f64_e32 v[182:183], v[6:7], v[182:183]
	v_add_f64_e32 v[154:155], v[194:195], v[192:193]
	v_add_f64_e32 v[184:185], v[184:185], v[186:187]
	s_wait_loadcnt_dscnt 0xa00
	v_mul_f64_e32 v[186:187], v[144:145], v[10:11]
	v_mul_f64_e32 v[10:11], v[146:147], v[10:11]
	v_fmac_f64_e32 v[188:189], v[6:7], v[180:181]
	v_fma_f64 v[192:193], v[4:5], v[180:181], -v[182:183]
	v_add_f64_e32 v[194:195], v[154:155], v[152:153]
	v_add_f64_e32 v[184:185], v[184:185], v[190:191]
	ds_load_b128 v[4:7], v2 offset:1440
	ds_load_b128 v[152:155], v2 offset:1456
	scratch_load_b128 v[180:183], off, off offset:688
	v_fmac_f64_e32 v[186:187], v[146:147], v[8:9]
	v_fma_f64 v[144:145], v[144:145], v[8:9], -v[10:11]
	scratch_load_b128 v[8:11], off, off offset:704
	s_wait_loadcnt_dscnt 0xb01
	v_mul_f64_e32 v[190:191], v[4:5], v[170:171]
	v_mul_f64_e32 v[170:171], v[6:7], v[170:171]
	;; [unrolled: 18-line block ×8, first 2 shown]
	v_add_f64_e32 v[146:147], v[194:195], v[192:193]
	v_add_f64_e32 v[184:185], v[184:185], v[188:189]
	s_wait_loadcnt_dscnt 0xa00
	v_mul_f64_e32 v[188:189], v[152:153], v[134:135]
	v_mul_f64_e32 v[134:135], v[154:155], v[134:135]
	v_fmac_f64_e32 v[190:191], v[6:7], v[168:169]
	v_fma_f64 v[168:169], v[4:5], v[168:169], -v[170:171]
	v_add_f64_e32 v[170:171], v[146:147], v[144:145]
	v_add_f64_e32 v[184:185], v[184:185], v[186:187]
	ds_load_b128 v[4:7], v2 offset:1664
	ds_load_b128 v[144:147], v2 offset:1680
	v_fmac_f64_e32 v[188:189], v[154:155], v[132:133]
	v_fma_f64 v[132:133], v[152:153], v[132:133], -v[134:135]
	s_wait_loadcnt_dscnt 0x901
	v_mul_f64_e32 v[186:187], v[4:5], v[178:179]
	v_mul_f64_e32 v[178:179], v[6:7], v[178:179]
	s_wait_loadcnt_dscnt 0x800
	v_mul_f64_e32 v[154:155], v[144:145], v[130:131]
	v_add_f64_e32 v[134:135], v[170:171], v[168:169]
	v_add_f64_e32 v[152:153], v[184:185], v[190:191]
	v_mul_f64_e32 v[168:169], v[146:147], v[130:131]
	v_fmac_f64_e32 v[186:187], v[6:7], v[176:177]
	v_fma_f64 v[170:171], v[4:5], v[176:177], -v[178:179]
	v_fmac_f64_e32 v[154:155], v[146:147], v[128:129]
	v_add_f64_e32 v[134:135], v[134:135], v[132:133]
	v_add_f64_e32 v[152:153], v[152:153], v[188:189]
	ds_load_b128 v[4:7], v2 offset:1696
	ds_load_b128 v[130:133], v2 offset:1712
	v_fma_f64 v[128:129], v[144:145], v[128:129], -v[168:169]
	s_wait_loadcnt_dscnt 0x701
	v_mul_f64_e32 v[176:177], v[4:5], v[158:159]
	v_mul_f64_e32 v[158:159], v[6:7], v[158:159]
	v_add_f64_e32 v[134:135], v[134:135], v[170:171]
	v_add_f64_e32 v[144:145], v[152:153], v[186:187]
	s_wait_loadcnt_dscnt 0x600
	v_mul_f64_e32 v[152:153], v[130:131], v[138:139]
	v_mul_f64_e32 v[138:139], v[132:133], v[138:139]
	v_fmac_f64_e32 v[176:177], v[6:7], v[156:157]
	v_fma_f64 v[156:157], v[4:5], v[156:157], -v[158:159]
	v_add_f64_e32 v[128:129], v[134:135], v[128:129]
	v_add_f64_e32 v[134:135], v[144:145], v[154:155]
	ds_load_b128 v[4:7], v2 offset:1728
	ds_load_b128 v[144:147], v2 offset:1744
	v_fmac_f64_e32 v[152:153], v[132:133], v[136:137]
	v_fma_f64 v[130:131], v[130:131], v[136:137], -v[138:139]
	s_wait_loadcnt_dscnt 0x501
	v_mul_f64_e32 v[154:155], v[4:5], v[162:163]
	v_mul_f64_e32 v[158:159], v[6:7], v[162:163]
	s_wait_loadcnt_dscnt 0x400
	v_mul_f64_e32 v[136:137], v[146:147], v[142:143]
	v_add_f64_e32 v[128:129], v[128:129], v[156:157]
	v_add_f64_e32 v[132:133], v[134:135], v[176:177]
	v_mul_f64_e32 v[134:135], v[144:145], v[142:143]
	v_fmac_f64_e32 v[154:155], v[6:7], v[160:161]
	v_fma_f64 v[138:139], v[4:5], v[160:161], -v[158:159]
	v_fma_f64 v[136:137], v[144:145], v[140:141], -v[136:137]
	v_add_f64_e32 v[142:143], v[128:129], v[130:131]
	v_add_f64_e32 v[132:133], v[132:133], v[152:153]
	ds_load_b128 v[4:7], v2 offset:1760
	ds_load_b128 v[128:131], v2 offset:1776
	v_fmac_f64_e32 v[134:135], v[146:147], v[140:141]
	s_wait_loadcnt_dscnt 0x301
	v_mul_f64_e32 v[152:153], v[4:5], v[166:167]
	v_mul_f64_e32 v[156:157], v[6:7], v[166:167]
	s_wait_loadcnt_dscnt 0x200
	v_mul_f64_e32 v[140:141], v[128:129], v[150:151]
	v_add_f64_e32 v[138:139], v[142:143], v[138:139]
	v_add_f64_e32 v[132:133], v[132:133], v[154:155]
	v_mul_f64_e32 v[142:143], v[130:131], v[150:151]
	v_fmac_f64_e32 v[152:153], v[6:7], v[164:165]
	v_fma_f64 v[144:145], v[4:5], v[164:165], -v[156:157]
	v_fmac_f64_e32 v[140:141], v[130:131], v[148:149]
	v_add_f64_e32 v[136:137], v[138:139], v[136:137]
	v_add_f64_e32 v[138:139], v[132:133], v[134:135]
	ds_load_b128 v[4:7], v2 offset:1792
	ds_load_b128 v[132:135], v2 offset:1808
	v_fma_f64 v[128:129], v[128:129], v[148:149], -v[142:143]
	s_wait_loadcnt_dscnt 0x101
	v_mul_f64_e32 v[2:3], v[4:5], v[182:183]
	v_mul_f64_e32 v[146:147], v[6:7], v[182:183]
	v_add_f64_e32 v[130:131], v[136:137], v[144:145]
	v_add_f64_e32 v[136:137], v[138:139], v[152:153]
	s_wait_loadcnt_dscnt 0x0
	v_mul_f64_e32 v[138:139], v[132:133], v[10:11]
	v_mul_f64_e32 v[10:11], v[134:135], v[10:11]
	v_fmac_f64_e32 v[2:3], v[6:7], v[180:181]
	v_fma_f64 v[4:5], v[4:5], v[180:181], -v[146:147]
	v_add_f64_e32 v[6:7], v[130:131], v[128:129]
	v_add_f64_e32 v[128:129], v[136:137], v[140:141]
	v_fmac_f64_e32 v[138:139], v[134:135], v[8:9]
	v_fma_f64 v[8:9], v[132:133], v[8:9], -v[10:11]
	s_delay_alu instid0(VALU_DEP_4) | instskip(NEXT) | instid1(VALU_DEP_4)
	v_add_f64_e32 v[4:5], v[6:7], v[4:5]
	v_add_f64_e32 v[2:3], v[128:129], v[2:3]
	s_delay_alu instid0(VALU_DEP_2) | instskip(NEXT) | instid1(VALU_DEP_2)
	v_add_f64_e32 v[4:5], v[4:5], v[8:9]
	v_add_f64_e32 v[6:7], v[2:3], v[138:139]
	s_delay_alu instid0(VALU_DEP_2) | instskip(NEXT) | instid1(VALU_DEP_2)
	v_add_f64_e64 v[2:3], v[172:173], -v[4:5]
	v_add_f64_e64 v[4:5], v[174:175], -v[6:7]
	scratch_store_b128 off, v[2:5], off offset:96
	s_wait_xcnt 0x0
	v_cmpx_lt_u32_e32 5, v1
	s_cbranch_execz .LBB56_345
; %bb.344:
	scratch_load_b128 v[2:5], off, s68
	v_mov_b32_e32 v6, 0
	s_delay_alu instid0(VALU_DEP_1)
	v_dual_mov_b32 v7, v6 :: v_dual_mov_b32 v8, v6
	v_mov_b32_e32 v9, v6
	scratch_store_b128 off, v[6:9], off offset:80
	s_wait_loadcnt 0x0
	ds_store_b128 v12, v[2:5]
.LBB56_345:
	s_wait_xcnt 0x0
	s_or_b32 exec_lo, exec_lo, s2
	s_wait_storecnt_dscnt 0x0
	s_barrier_signal -1
	s_barrier_wait -1
	s_clause 0x9
	scratch_load_b128 v[4:7], off, off offset:96
	scratch_load_b128 v[8:11], off, off offset:112
	;; [unrolled: 1-line block ×10, first 2 shown]
	v_mov_b32_e32 v2, 0
	s_mov_b32 s2, exec_lo
	ds_load_b128 v[160:163], v2 offset:1008
	s_clause 0x2
	scratch_load_b128 v[164:167], off, off offset:256
	scratch_load_b128 v[168:171], off, off offset:80
	;; [unrolled: 1-line block ×3, first 2 shown]
	s_wait_loadcnt_dscnt 0xc00
	v_mul_f64_e32 v[180:181], v[162:163], v[6:7]
	v_mul_f64_e32 v[184:185], v[160:161], v[6:7]
	ds_load_b128 v[172:175], v2 offset:1024
	v_fma_f64 v[188:189], v[160:161], v[4:5], -v[180:181]
	v_fmac_f64_e32 v[184:185], v[162:163], v[4:5]
	ds_load_b128 v[4:7], v2 offset:1040
	s_wait_loadcnt_dscnt 0xb01
	v_mul_f64_e32 v[186:187], v[172:173], v[10:11]
	v_mul_f64_e32 v[10:11], v[174:175], v[10:11]
	scratch_load_b128 v[160:163], off, off offset:288
	ds_load_b128 v[180:183], v2 offset:1056
	s_wait_loadcnt_dscnt 0xb01
	v_mul_f64_e32 v[190:191], v[4:5], v[130:131]
	v_mul_f64_e32 v[130:131], v[6:7], v[130:131]
	v_add_f64_e32 v[184:185], 0, v[184:185]
	v_fmac_f64_e32 v[186:187], v[174:175], v[8:9]
	v_fma_f64 v[172:173], v[172:173], v[8:9], -v[10:11]
	v_add_f64_e32 v[174:175], 0, v[188:189]
	scratch_load_b128 v[8:11], off, off offset:304
	v_fmac_f64_e32 v[190:191], v[6:7], v[128:129]
	v_fma_f64 v[192:193], v[4:5], v[128:129], -v[130:131]
	ds_load_b128 v[4:7], v2 offset:1072
	s_wait_loadcnt_dscnt 0xb01
	v_mul_f64_e32 v[188:189], v[180:181], v[134:135]
	v_mul_f64_e32 v[134:135], v[182:183], v[134:135]
	scratch_load_b128 v[128:131], off, off offset:320
	v_add_f64_e32 v[184:185], v[184:185], v[186:187]
	v_add_f64_e32 v[194:195], v[174:175], v[172:173]
	ds_load_b128 v[172:175], v2 offset:1088
	s_wait_loadcnt_dscnt 0xb01
	v_mul_f64_e32 v[186:187], v[4:5], v[138:139]
	v_mul_f64_e32 v[138:139], v[6:7], v[138:139]
	v_fmac_f64_e32 v[188:189], v[182:183], v[132:133]
	v_fma_f64 v[180:181], v[180:181], v[132:133], -v[134:135]
	scratch_load_b128 v[132:135], off, off offset:336
	v_add_f64_e32 v[184:185], v[184:185], v[190:191]
	v_add_f64_e32 v[182:183], v[194:195], v[192:193]
	v_fmac_f64_e32 v[186:187], v[6:7], v[136:137]
	v_fma_f64 v[192:193], v[4:5], v[136:137], -v[138:139]
	ds_load_b128 v[4:7], v2 offset:1104
	s_wait_loadcnt_dscnt 0xb01
	v_mul_f64_e32 v[190:191], v[172:173], v[142:143]
	v_mul_f64_e32 v[142:143], v[174:175], v[142:143]
	scratch_load_b128 v[136:139], off, off offset:352
	v_add_f64_e32 v[184:185], v[184:185], v[188:189]
	s_wait_loadcnt_dscnt 0xb00
	v_mul_f64_e32 v[188:189], v[4:5], v[146:147]
	v_add_f64_e32 v[194:195], v[182:183], v[180:181]
	v_mul_f64_e32 v[146:147], v[6:7], v[146:147]
	ds_load_b128 v[180:183], v2 offset:1120
	v_fmac_f64_e32 v[190:191], v[174:175], v[140:141]
	v_fma_f64 v[172:173], v[172:173], v[140:141], -v[142:143]
	scratch_load_b128 v[140:143], off, off offset:368
	v_add_f64_e32 v[184:185], v[184:185], v[186:187]
	v_fmac_f64_e32 v[188:189], v[6:7], v[144:145]
	v_add_f64_e32 v[174:175], v[194:195], v[192:193]
	v_fma_f64 v[192:193], v[4:5], v[144:145], -v[146:147]
	ds_load_b128 v[4:7], v2 offset:1136
	s_wait_loadcnt_dscnt 0xb01
	v_mul_f64_e32 v[186:187], v[180:181], v[150:151]
	v_mul_f64_e32 v[150:151], v[182:183], v[150:151]
	scratch_load_b128 v[144:147], off, off offset:384
	v_add_f64_e32 v[184:185], v[184:185], v[190:191]
	s_wait_loadcnt_dscnt 0xb00
	v_mul_f64_e32 v[190:191], v[4:5], v[154:155]
	v_add_f64_e32 v[194:195], v[174:175], v[172:173]
	v_mul_f64_e32 v[154:155], v[6:7], v[154:155]
	ds_load_b128 v[172:175], v2 offset:1152
	v_fmac_f64_e32 v[186:187], v[182:183], v[148:149]
	v_fma_f64 v[180:181], v[180:181], v[148:149], -v[150:151]
	scratch_load_b128 v[148:151], off, off offset:400
	v_add_f64_e32 v[184:185], v[184:185], v[188:189]
	v_fmac_f64_e32 v[190:191], v[6:7], v[152:153]
	v_add_f64_e32 v[182:183], v[194:195], v[192:193]
	;; [unrolled: 18-line block ×3, first 2 shown]
	v_fma_f64 v[192:193], v[4:5], v[164:165], -v[166:167]
	ds_load_b128 v[4:7], v2 offset:1200
	s_wait_loadcnt_dscnt 0xa01
	v_mul_f64_e32 v[190:191], v[180:181], v[178:179]
	v_mul_f64_e32 v[178:179], v[182:183], v[178:179]
	scratch_load_b128 v[164:167], off, off offset:448
	v_add_f64_e32 v[184:185], v[184:185], v[188:189]
	v_add_f64_e32 v[194:195], v[174:175], v[172:173]
	s_wait_loadcnt_dscnt 0xa00
	v_mul_f64_e32 v[188:189], v[4:5], v[162:163]
	v_mul_f64_e32 v[162:163], v[6:7], v[162:163]
	v_fmac_f64_e32 v[190:191], v[182:183], v[176:177]
	v_fma_f64 v[180:181], v[180:181], v[176:177], -v[178:179]
	ds_load_b128 v[172:175], v2 offset:1216
	scratch_load_b128 v[176:179], off, off offset:464
	v_add_f64_e32 v[184:185], v[184:185], v[186:187]
	v_add_f64_e32 v[182:183], v[194:195], v[192:193]
	v_fmac_f64_e32 v[188:189], v[6:7], v[160:161]
	v_fma_f64 v[192:193], v[4:5], v[160:161], -v[162:163]
	ds_load_b128 v[4:7], v2 offset:1232
	s_wait_loadcnt_dscnt 0xa01
	v_mul_f64_e32 v[186:187], v[172:173], v[10:11]
	v_mul_f64_e32 v[10:11], v[174:175], v[10:11]
	scratch_load_b128 v[160:163], off, off offset:480
	v_add_f64_e32 v[184:185], v[184:185], v[190:191]
	s_wait_loadcnt_dscnt 0xa00
	v_mul_f64_e32 v[190:191], v[4:5], v[130:131]
	v_add_f64_e32 v[194:195], v[182:183], v[180:181]
	v_mul_f64_e32 v[130:131], v[6:7], v[130:131]
	ds_load_b128 v[180:183], v2 offset:1248
	v_fmac_f64_e32 v[186:187], v[174:175], v[8:9]
	v_fma_f64 v[172:173], v[172:173], v[8:9], -v[10:11]
	scratch_load_b128 v[8:11], off, off offset:496
	v_add_f64_e32 v[184:185], v[184:185], v[188:189]
	v_fmac_f64_e32 v[190:191], v[6:7], v[128:129]
	v_add_f64_e32 v[174:175], v[194:195], v[192:193]
	v_fma_f64 v[192:193], v[4:5], v[128:129], -v[130:131]
	ds_load_b128 v[4:7], v2 offset:1264
	s_wait_loadcnt_dscnt 0xa01
	v_mul_f64_e32 v[188:189], v[180:181], v[134:135]
	v_mul_f64_e32 v[134:135], v[182:183], v[134:135]
	scratch_load_b128 v[128:131], off, off offset:512
	v_add_f64_e32 v[184:185], v[184:185], v[186:187]
	s_wait_loadcnt_dscnt 0xa00
	v_mul_f64_e32 v[186:187], v[4:5], v[138:139]
	v_add_f64_e32 v[194:195], v[174:175], v[172:173]
	v_mul_f64_e32 v[138:139], v[6:7], v[138:139]
	ds_load_b128 v[172:175], v2 offset:1280
	v_fmac_f64_e32 v[188:189], v[182:183], v[132:133]
	v_fma_f64 v[180:181], v[180:181], v[132:133], -v[134:135]
	scratch_load_b128 v[132:135], off, off offset:528
	v_add_f64_e32 v[184:185], v[184:185], v[190:191]
	v_fmac_f64_e32 v[186:187], v[6:7], v[136:137]
	v_add_f64_e32 v[182:183], v[194:195], v[192:193]
	;; [unrolled: 18-line block ×13, first 2 shown]
	v_fma_f64 v[192:193], v[4:5], v[128:129], -v[130:131]
	ds_load_b128 v[4:7], v2 offset:1648
	s_wait_loadcnt_dscnt 0xa01
	v_mul_f64_e32 v[188:189], v[180:181], v[134:135]
	v_mul_f64_e32 v[134:135], v[182:183], v[134:135]
	scratch_load_b128 v[128:131], off, off offset:896
	v_add_f64_e32 v[184:185], v[184:185], v[186:187]
	s_wait_loadcnt_dscnt 0xa00
	v_mul_f64_e32 v[186:187], v[4:5], v[138:139]
	v_add_f64_e32 v[194:195], v[174:175], v[172:173]
	v_mul_f64_e32 v[138:139], v[6:7], v[138:139]
	ds_load_b128 v[172:175], v2 offset:1664
	v_fmac_f64_e32 v[188:189], v[182:183], v[132:133]
	v_fma_f64 v[132:133], v[180:181], v[132:133], -v[134:135]
	s_wait_loadcnt_dscnt 0x900
	v_mul_f64_e32 v[182:183], v[172:173], v[142:143]
	v_mul_f64_e32 v[142:143], v[174:175], v[142:143]
	v_add_f64_e32 v[180:181], v[184:185], v[190:191]
	v_fmac_f64_e32 v[186:187], v[6:7], v[136:137]
	v_add_f64_e32 v[134:135], v[194:195], v[192:193]
	v_fma_f64 v[136:137], v[4:5], v[136:137], -v[138:139]
	v_fmac_f64_e32 v[182:183], v[174:175], v[140:141]
	v_fma_f64 v[140:141], v[172:173], v[140:141], -v[142:143]
	v_add_f64_e32 v[180:181], v[180:181], v[188:189]
	v_add_f64_e32 v[138:139], v[134:135], v[132:133]
	ds_load_b128 v[4:7], v2 offset:1680
	ds_load_b128 v[132:135], v2 offset:1696
	s_wait_loadcnt_dscnt 0x801
	v_mul_f64_e32 v[184:185], v[4:5], v[146:147]
	v_mul_f64_e32 v[146:147], v[6:7], v[146:147]
	s_wait_loadcnt_dscnt 0x700
	v_mul_f64_e32 v[142:143], v[132:133], v[150:151]
	v_mul_f64_e32 v[150:151], v[134:135], v[150:151]
	v_add_f64_e32 v[136:137], v[138:139], v[136:137]
	v_add_f64_e32 v[138:139], v[180:181], v[186:187]
	v_fmac_f64_e32 v[184:185], v[6:7], v[144:145]
	v_fma_f64 v[144:145], v[4:5], v[144:145], -v[146:147]
	v_fmac_f64_e32 v[142:143], v[134:135], v[148:149]
	v_fma_f64 v[132:133], v[132:133], v[148:149], -v[150:151]
	v_add_f64_e32 v[140:141], v[136:137], v[140:141]
	v_add_f64_e32 v[146:147], v[138:139], v[182:183]
	ds_load_b128 v[4:7], v2 offset:1712
	ds_load_b128 v[136:139], v2 offset:1728
	s_wait_loadcnt_dscnt 0x601
	v_mul_f64_e32 v[172:173], v[4:5], v[154:155]
	v_mul_f64_e32 v[154:155], v[6:7], v[154:155]
	v_add_f64_e32 v[134:135], v[140:141], v[144:145]
	v_add_f64_e32 v[140:141], v[146:147], v[184:185]
	s_wait_loadcnt_dscnt 0x500
	v_mul_f64_e32 v[144:145], v[136:137], v[158:159]
	v_mul_f64_e32 v[146:147], v[138:139], v[158:159]
	v_fmac_f64_e32 v[172:173], v[6:7], v[152:153]
	v_fma_f64 v[148:149], v[4:5], v[152:153], -v[154:155]
	v_add_f64_e32 v[150:151], v[134:135], v[132:133]
	v_add_f64_e32 v[140:141], v[140:141], v[142:143]
	ds_load_b128 v[4:7], v2 offset:1744
	ds_load_b128 v[132:135], v2 offset:1760
	v_fmac_f64_e32 v[144:145], v[138:139], v[156:157]
	v_fma_f64 v[136:137], v[136:137], v[156:157], -v[146:147]
	s_wait_loadcnt_dscnt 0x401
	v_mul_f64_e32 v[142:143], v[4:5], v[166:167]
	v_mul_f64_e32 v[152:153], v[6:7], v[166:167]
	s_wait_loadcnt_dscnt 0x300
	v_mul_f64_e32 v[146:147], v[132:133], v[178:179]
	v_add_f64_e32 v[138:139], v[150:151], v[148:149]
	v_add_f64_e32 v[140:141], v[140:141], v[172:173]
	v_mul_f64_e32 v[148:149], v[134:135], v[178:179]
	v_fmac_f64_e32 v[142:143], v[6:7], v[164:165]
	v_fma_f64 v[150:151], v[4:5], v[164:165], -v[152:153]
	v_fmac_f64_e32 v[146:147], v[134:135], v[176:177]
	v_add_f64_e32 v[152:153], v[138:139], v[136:137]
	v_add_f64_e32 v[140:141], v[140:141], v[144:145]
	ds_load_b128 v[4:7], v2 offset:1776
	ds_load_b128 v[136:139], v2 offset:1792
	v_fma_f64 v[132:133], v[132:133], v[176:177], -v[148:149]
	s_wait_loadcnt_dscnt 0x201
	v_mul_f64_e32 v[144:145], v[4:5], v[162:163]
	v_mul_f64_e32 v[154:155], v[6:7], v[162:163]
	v_add_f64_e32 v[134:135], v[152:153], v[150:151]
	v_add_f64_e32 v[140:141], v[140:141], v[142:143]
	s_wait_loadcnt_dscnt 0x100
	v_mul_f64_e32 v[142:143], v[136:137], v[10:11]
	v_mul_f64_e32 v[10:11], v[138:139], v[10:11]
	v_fmac_f64_e32 v[144:145], v[6:7], v[160:161]
	v_fma_f64 v[148:149], v[4:5], v[160:161], -v[154:155]
	ds_load_b128 v[4:7], v2 offset:1808
	v_add_f64_e32 v[132:133], v[134:135], v[132:133]
	v_add_f64_e32 v[134:135], v[140:141], v[146:147]
	v_fmac_f64_e32 v[142:143], v[138:139], v[8:9]
	v_fma_f64 v[8:9], v[136:137], v[8:9], -v[10:11]
	s_wait_loadcnt_dscnt 0x0
	v_mul_f64_e32 v[140:141], v[4:5], v[130:131]
	v_mul_f64_e32 v[130:131], v[6:7], v[130:131]
	v_add_f64_e32 v[10:11], v[132:133], v[148:149]
	v_add_f64_e32 v[132:133], v[134:135], v[144:145]
	s_delay_alu instid0(VALU_DEP_4) | instskip(NEXT) | instid1(VALU_DEP_4)
	v_fmac_f64_e32 v[140:141], v[6:7], v[128:129]
	v_fma_f64 v[4:5], v[4:5], v[128:129], -v[130:131]
	s_delay_alu instid0(VALU_DEP_4) | instskip(NEXT) | instid1(VALU_DEP_4)
	v_add_f64_e32 v[6:7], v[10:11], v[8:9]
	v_add_f64_e32 v[8:9], v[132:133], v[142:143]
	s_delay_alu instid0(VALU_DEP_2) | instskip(NEXT) | instid1(VALU_DEP_2)
	v_add_f64_e32 v[4:5], v[6:7], v[4:5]
	v_add_f64_e32 v[6:7], v[8:9], v[140:141]
	s_delay_alu instid0(VALU_DEP_2) | instskip(NEXT) | instid1(VALU_DEP_2)
	v_add_f64_e64 v[4:5], v[168:169], -v[4:5]
	v_add_f64_e64 v[6:7], v[170:171], -v[6:7]
	scratch_store_b128 off, v[4:7], off offset:80
	s_wait_xcnt 0x0
	v_cmpx_lt_u32_e32 4, v1
	s_cbranch_execz .LBB56_347
; %bb.346:
	scratch_load_b128 v[6:9], off, s49
	v_dual_mov_b32 v3, v2 :: v_dual_mov_b32 v4, v2
	v_mov_b32_e32 v5, v2
	scratch_store_b128 off, v[2:5], off offset:64
	s_wait_loadcnt 0x0
	ds_store_b128 v12, v[6:9]
.LBB56_347:
	s_wait_xcnt 0x0
	s_or_b32 exec_lo, exec_lo, s2
	s_wait_storecnt_dscnt 0x0
	s_barrier_signal -1
	s_barrier_wait -1
	s_clause 0x9
	scratch_load_b128 v[4:7], off, off offset:80
	scratch_load_b128 v[8:11], off, off offset:96
	;; [unrolled: 1-line block ×10, first 2 shown]
	ds_load_b128 v[160:163], v2 offset:992
	ds_load_b128 v[168:171], v2 offset:1008
	s_clause 0x2
	scratch_load_b128 v[164:167], off, off offset:240
	scratch_load_b128 v[172:175], off, off offset:64
	;; [unrolled: 1-line block ×3, first 2 shown]
	s_mov_b32 s2, exec_lo
	s_wait_loadcnt_dscnt 0xc01
	v_mul_f64_e32 v[180:181], v[162:163], v[6:7]
	v_mul_f64_e32 v[184:185], v[160:161], v[6:7]
	s_wait_loadcnt_dscnt 0xb00
	v_mul_f64_e32 v[186:187], v[168:169], v[10:11]
	v_mul_f64_e32 v[10:11], v[170:171], v[10:11]
	s_delay_alu instid0(VALU_DEP_4) | instskip(NEXT) | instid1(VALU_DEP_4)
	v_fma_f64 v[188:189], v[160:161], v[4:5], -v[180:181]
	v_fmac_f64_e32 v[184:185], v[162:163], v[4:5]
	ds_load_b128 v[4:7], v2 offset:1024
	ds_load_b128 v[160:163], v2 offset:1040
	scratch_load_b128 v[180:183], off, off offset:272
	v_fmac_f64_e32 v[186:187], v[170:171], v[8:9]
	v_fma_f64 v[168:169], v[168:169], v[8:9], -v[10:11]
	scratch_load_b128 v[8:11], off, off offset:288
	s_wait_loadcnt_dscnt 0xc01
	v_mul_f64_e32 v[190:191], v[4:5], v[130:131]
	v_mul_f64_e32 v[130:131], v[6:7], v[130:131]
	v_add_f64_e32 v[170:171], 0, v[188:189]
	v_add_f64_e32 v[184:185], 0, v[184:185]
	s_wait_loadcnt_dscnt 0xb00
	v_mul_f64_e32 v[188:189], v[160:161], v[134:135]
	v_mul_f64_e32 v[134:135], v[162:163], v[134:135]
	v_fmac_f64_e32 v[190:191], v[6:7], v[128:129]
	v_fma_f64 v[192:193], v[4:5], v[128:129], -v[130:131]
	ds_load_b128 v[4:7], v2 offset:1056
	ds_load_b128 v[128:131], v2 offset:1072
	v_add_f64_e32 v[194:195], v[170:171], v[168:169]
	v_add_f64_e32 v[184:185], v[184:185], v[186:187]
	scratch_load_b128 v[168:171], off, off offset:304
	v_fmac_f64_e32 v[188:189], v[162:163], v[132:133]
	v_fma_f64 v[160:161], v[160:161], v[132:133], -v[134:135]
	scratch_load_b128 v[132:135], off, off offset:320
	s_wait_loadcnt_dscnt 0xc01
	v_mul_f64_e32 v[186:187], v[4:5], v[138:139]
	v_mul_f64_e32 v[138:139], v[6:7], v[138:139]
	v_add_f64_e32 v[162:163], v[194:195], v[192:193]
	v_add_f64_e32 v[184:185], v[184:185], v[190:191]
	s_wait_loadcnt_dscnt 0xb00
	v_mul_f64_e32 v[190:191], v[128:129], v[142:143]
	v_mul_f64_e32 v[142:143], v[130:131], v[142:143]
	v_fmac_f64_e32 v[186:187], v[6:7], v[136:137]
	v_fma_f64 v[192:193], v[4:5], v[136:137], -v[138:139]
	ds_load_b128 v[4:7], v2 offset:1088
	ds_load_b128 v[136:139], v2 offset:1104
	v_add_f64_e32 v[194:195], v[162:163], v[160:161]
	v_add_f64_e32 v[184:185], v[184:185], v[188:189]
	scratch_load_b128 v[160:163], off, off offset:336
	s_wait_loadcnt_dscnt 0xb01
	v_mul_f64_e32 v[188:189], v[4:5], v[146:147]
	v_mul_f64_e32 v[146:147], v[6:7], v[146:147]
	v_fmac_f64_e32 v[190:191], v[130:131], v[140:141]
	v_fma_f64 v[140:141], v[128:129], v[140:141], -v[142:143]
	scratch_load_b128 v[128:131], off, off offset:352
	v_add_f64_e32 v[142:143], v[194:195], v[192:193]
	v_add_f64_e32 v[184:185], v[184:185], v[186:187]
	s_wait_loadcnt_dscnt 0xb00
	v_mul_f64_e32 v[186:187], v[136:137], v[150:151]
	v_mul_f64_e32 v[150:151], v[138:139], v[150:151]
	v_fmac_f64_e32 v[188:189], v[6:7], v[144:145]
	v_fma_f64 v[192:193], v[4:5], v[144:145], -v[146:147]
	v_add_f64_e32 v[194:195], v[142:143], v[140:141]
	v_add_f64_e32 v[184:185], v[184:185], v[190:191]
	ds_load_b128 v[4:7], v2 offset:1120
	ds_load_b128 v[140:143], v2 offset:1136
	scratch_load_b128 v[144:147], off, off offset:368
	v_fmac_f64_e32 v[186:187], v[138:139], v[148:149]
	v_fma_f64 v[148:149], v[136:137], v[148:149], -v[150:151]
	scratch_load_b128 v[136:139], off, off offset:384
	s_wait_loadcnt_dscnt 0xc01
	v_mul_f64_e32 v[190:191], v[4:5], v[154:155]
	v_mul_f64_e32 v[154:155], v[6:7], v[154:155]
	v_add_f64_e32 v[150:151], v[194:195], v[192:193]
	v_add_f64_e32 v[184:185], v[184:185], v[188:189]
	s_wait_loadcnt_dscnt 0xb00
	v_mul_f64_e32 v[188:189], v[140:141], v[158:159]
	v_mul_f64_e32 v[158:159], v[142:143], v[158:159]
	v_fmac_f64_e32 v[190:191], v[6:7], v[152:153]
	v_fma_f64 v[192:193], v[4:5], v[152:153], -v[154:155]
	v_add_f64_e32 v[194:195], v[150:151], v[148:149]
	v_add_f64_e32 v[184:185], v[184:185], v[186:187]
	ds_load_b128 v[4:7], v2 offset:1152
	ds_load_b128 v[148:151], v2 offset:1168
	scratch_load_b128 v[152:155], off, off offset:400
	v_fmac_f64_e32 v[188:189], v[142:143], v[156:157]
	v_fma_f64 v[156:157], v[140:141], v[156:157], -v[158:159]
	scratch_load_b128 v[140:143], off, off offset:416
	s_wait_loadcnt_dscnt 0xc01
	v_mul_f64_e32 v[186:187], v[4:5], v[166:167]
	v_mul_f64_e32 v[166:167], v[6:7], v[166:167]
	;; [unrolled: 18-line block ×5, first 2 shown]
	v_add_f64_e32 v[178:179], v[194:195], v[192:193]
	v_add_f64_e32 v[184:185], v[184:185], v[190:191]
	s_wait_loadcnt_dscnt 0xa00
	v_mul_f64_e32 v[190:191], v[156:157], v[130:131]
	v_mul_f64_e32 v[130:131], v[158:159], v[130:131]
	v_fmac_f64_e32 v[186:187], v[6:7], v[160:161]
	v_fma_f64 v[192:193], v[4:5], v[160:161], -v[162:163]
	ds_load_b128 v[4:7], v2 offset:1280
	ds_load_b128 v[160:163], v2 offset:1296
	v_add_f64_e32 v[194:195], v[178:179], v[176:177]
	v_add_f64_e32 v[184:185], v[184:185], v[188:189]
	scratch_load_b128 v[176:179], off, off offset:528
	v_fmac_f64_e32 v[190:191], v[158:159], v[128:129]
	v_fma_f64 v[156:157], v[156:157], v[128:129], -v[130:131]
	scratch_load_b128 v[128:131], off, off offset:544
	s_wait_loadcnt_dscnt 0xb01
	v_mul_f64_e32 v[188:189], v[4:5], v[146:147]
	v_mul_f64_e32 v[146:147], v[6:7], v[146:147]
	v_add_f64_e32 v[158:159], v[194:195], v[192:193]
	v_add_f64_e32 v[184:185], v[184:185], v[186:187]
	s_wait_loadcnt_dscnt 0xa00
	v_mul_f64_e32 v[186:187], v[160:161], v[138:139]
	v_mul_f64_e32 v[138:139], v[162:163], v[138:139]
	v_fmac_f64_e32 v[188:189], v[6:7], v[144:145]
	v_fma_f64 v[192:193], v[4:5], v[144:145], -v[146:147]
	ds_load_b128 v[4:7], v2 offset:1312
	ds_load_b128 v[144:147], v2 offset:1328
	v_add_f64_e32 v[194:195], v[158:159], v[156:157]
	v_add_f64_e32 v[184:185], v[184:185], v[190:191]
	scratch_load_b128 v[156:159], off, off offset:560
	s_wait_loadcnt_dscnt 0xa01
	v_mul_f64_e32 v[190:191], v[4:5], v[154:155]
	v_mul_f64_e32 v[154:155], v[6:7], v[154:155]
	v_fmac_f64_e32 v[186:187], v[162:163], v[136:137]
	v_fma_f64 v[160:161], v[160:161], v[136:137], -v[138:139]
	scratch_load_b128 v[136:139], off, off offset:576
	v_add_f64_e32 v[162:163], v[194:195], v[192:193]
	v_add_f64_e32 v[184:185], v[184:185], v[188:189]
	s_wait_loadcnt_dscnt 0xa00
	v_mul_f64_e32 v[188:189], v[144:145], v[142:143]
	v_mul_f64_e32 v[142:143], v[146:147], v[142:143]
	v_fmac_f64_e32 v[190:191], v[6:7], v[152:153]
	v_fma_f64 v[192:193], v[4:5], v[152:153], -v[154:155]
	ds_load_b128 v[4:7], v2 offset:1344
	ds_load_b128 v[152:155], v2 offset:1360
	v_add_f64_e32 v[194:195], v[162:163], v[160:161]
	v_add_f64_e32 v[184:185], v[184:185], v[186:187]
	scratch_load_b128 v[160:163], off, off offset:592
	s_wait_loadcnt_dscnt 0xa01
	v_mul_f64_e32 v[186:187], v[4:5], v[166:167]
	v_mul_f64_e32 v[166:167], v[6:7], v[166:167]
	v_fmac_f64_e32 v[188:189], v[146:147], v[140:141]
	v_fma_f64 v[144:145], v[144:145], v[140:141], -v[142:143]
	scratch_load_b128 v[140:143], off, off offset:608
	v_add_f64_e32 v[146:147], v[194:195], v[192:193]
	v_add_f64_e32 v[184:185], v[184:185], v[190:191]
	s_wait_loadcnt_dscnt 0xa00
	v_mul_f64_e32 v[190:191], v[152:153], v[150:151]
	v_mul_f64_e32 v[150:151], v[154:155], v[150:151]
	v_fmac_f64_e32 v[186:187], v[6:7], v[164:165]
	v_fma_f64 v[192:193], v[4:5], v[164:165], -v[166:167]
	v_add_f64_e32 v[194:195], v[146:147], v[144:145]
	v_add_f64_e32 v[184:185], v[184:185], v[188:189]
	ds_load_b128 v[4:7], v2 offset:1376
	ds_load_b128 v[144:147], v2 offset:1392
	scratch_load_b128 v[164:167], off, off offset:624
	v_fmac_f64_e32 v[190:191], v[154:155], v[148:149]
	v_fma_f64 v[152:153], v[152:153], v[148:149], -v[150:151]
	scratch_load_b128 v[148:151], off, off offset:640
	s_wait_loadcnt_dscnt 0xb01
	v_mul_f64_e32 v[188:189], v[4:5], v[182:183]
	v_mul_f64_e32 v[182:183], v[6:7], v[182:183]
	v_add_f64_e32 v[154:155], v[194:195], v[192:193]
	v_add_f64_e32 v[184:185], v[184:185], v[186:187]
	s_wait_loadcnt_dscnt 0xa00
	v_mul_f64_e32 v[186:187], v[144:145], v[10:11]
	v_mul_f64_e32 v[10:11], v[146:147], v[10:11]
	v_fmac_f64_e32 v[188:189], v[6:7], v[180:181]
	v_fma_f64 v[192:193], v[4:5], v[180:181], -v[182:183]
	v_add_f64_e32 v[194:195], v[154:155], v[152:153]
	v_add_f64_e32 v[184:185], v[184:185], v[190:191]
	ds_load_b128 v[4:7], v2 offset:1408
	ds_load_b128 v[152:155], v2 offset:1424
	scratch_load_b128 v[180:183], off, off offset:656
	v_fmac_f64_e32 v[186:187], v[146:147], v[8:9]
	v_fma_f64 v[144:145], v[144:145], v[8:9], -v[10:11]
	scratch_load_b128 v[8:11], off, off offset:672
	s_wait_loadcnt_dscnt 0xb01
	v_mul_f64_e32 v[190:191], v[4:5], v[170:171]
	v_mul_f64_e32 v[170:171], v[6:7], v[170:171]
	;; [unrolled: 18-line block ×9, first 2 shown]
	v_add_f64_e32 v[154:155], v[194:195], v[192:193]
	v_add_f64_e32 v[184:185], v[184:185], v[190:191]
	s_wait_loadcnt_dscnt 0xa00
	v_mul_f64_e32 v[190:191], v[144:145], v[130:131]
	v_mul_f64_e32 v[130:131], v[146:147], v[130:131]
	v_fmac_f64_e32 v[186:187], v[6:7], v[176:177]
	v_fma_f64 v[176:177], v[4:5], v[176:177], -v[178:179]
	v_add_f64_e32 v[178:179], v[154:155], v[152:153]
	v_add_f64_e32 v[184:185], v[184:185], v[188:189]
	ds_load_b128 v[4:7], v2 offset:1664
	ds_load_b128 v[152:155], v2 offset:1680
	v_fmac_f64_e32 v[190:191], v[146:147], v[128:129]
	v_fma_f64 v[128:129], v[144:145], v[128:129], -v[130:131]
	s_wait_loadcnt_dscnt 0x901
	v_mul_f64_e32 v[188:189], v[4:5], v[158:159]
	v_mul_f64_e32 v[158:159], v[6:7], v[158:159]
	s_wait_loadcnt_dscnt 0x800
	v_mul_f64_e32 v[146:147], v[152:153], v[138:139]
	v_mul_f64_e32 v[138:139], v[154:155], v[138:139]
	v_add_f64_e32 v[130:131], v[178:179], v[176:177]
	v_add_f64_e32 v[144:145], v[184:185], v[186:187]
	v_fmac_f64_e32 v[188:189], v[6:7], v[156:157]
	v_fma_f64 v[156:157], v[4:5], v[156:157], -v[158:159]
	v_fmac_f64_e32 v[146:147], v[154:155], v[136:137]
	v_fma_f64 v[136:137], v[152:153], v[136:137], -v[138:139]
	v_add_f64_e32 v[158:159], v[130:131], v[128:129]
	v_add_f64_e32 v[144:145], v[144:145], v[190:191]
	ds_load_b128 v[4:7], v2 offset:1696
	ds_load_b128 v[128:131], v2 offset:1712
	s_wait_loadcnt_dscnt 0x701
	v_mul_f64_e32 v[176:177], v[4:5], v[162:163]
	v_mul_f64_e32 v[162:163], v[6:7], v[162:163]
	s_wait_loadcnt_dscnt 0x600
	v_mul_f64_e32 v[152:153], v[128:129], v[142:143]
	v_mul_f64_e32 v[142:143], v[130:131], v[142:143]
	v_add_f64_e32 v[138:139], v[158:159], v[156:157]
	v_add_f64_e32 v[144:145], v[144:145], v[188:189]
	v_fmac_f64_e32 v[176:177], v[6:7], v[160:161]
	v_fma_f64 v[154:155], v[4:5], v[160:161], -v[162:163]
	v_fmac_f64_e32 v[152:153], v[130:131], v[140:141]
	v_fma_f64 v[128:129], v[128:129], v[140:141], -v[142:143]
	v_add_f64_e32 v[156:157], v[138:139], v[136:137]
	v_add_f64_e32 v[144:145], v[144:145], v[146:147]
	ds_load_b128 v[4:7], v2 offset:1728
	ds_load_b128 v[136:139], v2 offset:1744
	s_wait_loadcnt_dscnt 0x501
	v_mul_f64_e32 v[146:147], v[4:5], v[166:167]
	v_mul_f64_e32 v[158:159], v[6:7], v[166:167]
	s_wait_loadcnt_dscnt 0x400
	v_mul_f64_e32 v[142:143], v[136:137], v[150:151]
	v_add_f64_e32 v[130:131], v[156:157], v[154:155]
	v_add_f64_e32 v[140:141], v[144:145], v[176:177]
	v_mul_f64_e32 v[144:145], v[138:139], v[150:151]
	v_fmac_f64_e32 v[146:147], v[6:7], v[164:165]
	v_fma_f64 v[150:151], v[4:5], v[164:165], -v[158:159]
	v_fmac_f64_e32 v[142:143], v[138:139], v[148:149]
	v_add_f64_e32 v[154:155], v[130:131], v[128:129]
	v_add_f64_e32 v[140:141], v[140:141], v[152:153]
	ds_load_b128 v[4:7], v2 offset:1760
	ds_load_b128 v[128:131], v2 offset:1776
	v_fma_f64 v[136:137], v[136:137], v[148:149], -v[144:145]
	s_wait_loadcnt_dscnt 0x301
	v_mul_f64_e32 v[152:153], v[4:5], v[182:183]
	v_mul_f64_e32 v[156:157], v[6:7], v[182:183]
	s_wait_loadcnt_dscnt 0x200
	v_mul_f64_e32 v[144:145], v[128:129], v[10:11]
	v_mul_f64_e32 v[10:11], v[130:131], v[10:11]
	v_add_f64_e32 v[138:139], v[154:155], v[150:151]
	v_add_f64_e32 v[140:141], v[140:141], v[146:147]
	v_fmac_f64_e32 v[152:153], v[6:7], v[180:181]
	v_fma_f64 v[146:147], v[4:5], v[180:181], -v[156:157]
	v_fmac_f64_e32 v[144:145], v[130:131], v[8:9]
	v_fma_f64 v[8:9], v[128:129], v[8:9], -v[10:11]
	v_add_f64_e32 v[148:149], v[138:139], v[136:137]
	v_add_f64_e32 v[140:141], v[140:141], v[142:143]
	ds_load_b128 v[4:7], v2 offset:1792
	ds_load_b128 v[136:139], v2 offset:1808
	s_wait_loadcnt_dscnt 0x101
	v_mul_f64_e32 v[2:3], v[4:5], v[170:171]
	v_mul_f64_e32 v[142:143], v[6:7], v[170:171]
	s_wait_loadcnt_dscnt 0x0
	v_mul_f64_e32 v[130:131], v[136:137], v[134:135]
	v_mul_f64_e32 v[134:135], v[138:139], v[134:135]
	v_add_f64_e32 v[10:11], v[148:149], v[146:147]
	v_add_f64_e32 v[128:129], v[140:141], v[152:153]
	v_fmac_f64_e32 v[2:3], v[6:7], v[168:169]
	v_fma_f64 v[4:5], v[4:5], v[168:169], -v[142:143]
	v_fmac_f64_e32 v[130:131], v[138:139], v[132:133]
	v_add_f64_e32 v[6:7], v[10:11], v[8:9]
	v_add_f64_e32 v[8:9], v[128:129], v[144:145]
	v_fma_f64 v[10:11], v[136:137], v[132:133], -v[134:135]
	s_delay_alu instid0(VALU_DEP_3) | instskip(NEXT) | instid1(VALU_DEP_3)
	v_add_f64_e32 v[4:5], v[6:7], v[4:5]
	v_add_f64_e32 v[2:3], v[8:9], v[2:3]
	s_delay_alu instid0(VALU_DEP_2) | instskip(NEXT) | instid1(VALU_DEP_2)
	v_add_f64_e32 v[4:5], v[4:5], v[10:11]
	v_add_f64_e32 v[6:7], v[2:3], v[130:131]
	s_delay_alu instid0(VALU_DEP_2) | instskip(NEXT) | instid1(VALU_DEP_2)
	v_add_f64_e64 v[2:3], v[172:173], -v[4:5]
	v_add_f64_e64 v[4:5], v[174:175], -v[6:7]
	scratch_store_b128 off, v[2:5], off offset:64
	s_wait_xcnt 0x0
	v_cmpx_lt_u32_e32 3, v1
	s_cbranch_execz .LBB56_349
; %bb.348:
	scratch_load_b128 v[2:5], off, s50
	v_mov_b32_e32 v6, 0
	s_delay_alu instid0(VALU_DEP_1)
	v_dual_mov_b32 v7, v6 :: v_dual_mov_b32 v8, v6
	v_mov_b32_e32 v9, v6
	scratch_store_b128 off, v[6:9], off offset:48
	s_wait_loadcnt 0x0
	ds_store_b128 v12, v[2:5]
.LBB56_349:
	s_wait_xcnt 0x0
	s_or_b32 exec_lo, exec_lo, s2
	s_wait_storecnt_dscnt 0x0
	s_barrier_signal -1
	s_barrier_wait -1
	s_clause 0x9
	scratch_load_b128 v[4:7], off, off offset:64
	scratch_load_b128 v[8:11], off, off offset:80
	;; [unrolled: 1-line block ×10, first 2 shown]
	v_mov_b32_e32 v2, 0
	s_mov_b32 s2, exec_lo
	ds_load_b128 v[160:163], v2 offset:976
	s_clause 0x2
	scratch_load_b128 v[164:167], off, off offset:224
	scratch_load_b128 v[168:171], off, off offset:48
	;; [unrolled: 1-line block ×3, first 2 shown]
	s_wait_loadcnt_dscnt 0xc00
	v_mul_f64_e32 v[180:181], v[162:163], v[6:7]
	v_mul_f64_e32 v[184:185], v[160:161], v[6:7]
	ds_load_b128 v[172:175], v2 offset:992
	v_fma_f64 v[188:189], v[160:161], v[4:5], -v[180:181]
	v_fmac_f64_e32 v[184:185], v[162:163], v[4:5]
	ds_load_b128 v[4:7], v2 offset:1008
	s_wait_loadcnt_dscnt 0xb01
	v_mul_f64_e32 v[186:187], v[172:173], v[10:11]
	v_mul_f64_e32 v[10:11], v[174:175], v[10:11]
	scratch_load_b128 v[160:163], off, off offset:256
	ds_load_b128 v[180:183], v2 offset:1024
	s_wait_loadcnt_dscnt 0xb01
	v_mul_f64_e32 v[190:191], v[4:5], v[130:131]
	v_mul_f64_e32 v[130:131], v[6:7], v[130:131]
	v_add_f64_e32 v[184:185], 0, v[184:185]
	v_fmac_f64_e32 v[186:187], v[174:175], v[8:9]
	v_fma_f64 v[172:173], v[172:173], v[8:9], -v[10:11]
	v_add_f64_e32 v[174:175], 0, v[188:189]
	scratch_load_b128 v[8:11], off, off offset:272
	v_fmac_f64_e32 v[190:191], v[6:7], v[128:129]
	v_fma_f64 v[192:193], v[4:5], v[128:129], -v[130:131]
	ds_load_b128 v[4:7], v2 offset:1040
	s_wait_loadcnt_dscnt 0xb01
	v_mul_f64_e32 v[188:189], v[180:181], v[134:135]
	v_mul_f64_e32 v[134:135], v[182:183], v[134:135]
	scratch_load_b128 v[128:131], off, off offset:288
	v_add_f64_e32 v[184:185], v[184:185], v[186:187]
	v_add_f64_e32 v[194:195], v[174:175], v[172:173]
	ds_load_b128 v[172:175], v2 offset:1056
	s_wait_loadcnt_dscnt 0xb01
	v_mul_f64_e32 v[186:187], v[4:5], v[138:139]
	v_mul_f64_e32 v[138:139], v[6:7], v[138:139]
	v_fmac_f64_e32 v[188:189], v[182:183], v[132:133]
	v_fma_f64 v[180:181], v[180:181], v[132:133], -v[134:135]
	scratch_load_b128 v[132:135], off, off offset:304
	v_add_f64_e32 v[184:185], v[184:185], v[190:191]
	v_add_f64_e32 v[182:183], v[194:195], v[192:193]
	v_fmac_f64_e32 v[186:187], v[6:7], v[136:137]
	v_fma_f64 v[192:193], v[4:5], v[136:137], -v[138:139]
	ds_load_b128 v[4:7], v2 offset:1072
	s_wait_loadcnt_dscnt 0xb01
	v_mul_f64_e32 v[190:191], v[172:173], v[142:143]
	v_mul_f64_e32 v[142:143], v[174:175], v[142:143]
	scratch_load_b128 v[136:139], off, off offset:320
	v_add_f64_e32 v[184:185], v[184:185], v[188:189]
	s_wait_loadcnt_dscnt 0xb00
	v_mul_f64_e32 v[188:189], v[4:5], v[146:147]
	v_add_f64_e32 v[194:195], v[182:183], v[180:181]
	v_mul_f64_e32 v[146:147], v[6:7], v[146:147]
	ds_load_b128 v[180:183], v2 offset:1088
	v_fmac_f64_e32 v[190:191], v[174:175], v[140:141]
	v_fma_f64 v[172:173], v[172:173], v[140:141], -v[142:143]
	scratch_load_b128 v[140:143], off, off offset:336
	v_add_f64_e32 v[184:185], v[184:185], v[186:187]
	v_fmac_f64_e32 v[188:189], v[6:7], v[144:145]
	v_add_f64_e32 v[174:175], v[194:195], v[192:193]
	v_fma_f64 v[192:193], v[4:5], v[144:145], -v[146:147]
	ds_load_b128 v[4:7], v2 offset:1104
	s_wait_loadcnt_dscnt 0xb01
	v_mul_f64_e32 v[186:187], v[180:181], v[150:151]
	v_mul_f64_e32 v[150:151], v[182:183], v[150:151]
	scratch_load_b128 v[144:147], off, off offset:352
	v_add_f64_e32 v[184:185], v[184:185], v[190:191]
	s_wait_loadcnt_dscnt 0xb00
	v_mul_f64_e32 v[190:191], v[4:5], v[154:155]
	v_add_f64_e32 v[194:195], v[174:175], v[172:173]
	v_mul_f64_e32 v[154:155], v[6:7], v[154:155]
	ds_load_b128 v[172:175], v2 offset:1120
	v_fmac_f64_e32 v[186:187], v[182:183], v[148:149]
	v_fma_f64 v[180:181], v[180:181], v[148:149], -v[150:151]
	scratch_load_b128 v[148:151], off, off offset:368
	v_add_f64_e32 v[184:185], v[184:185], v[188:189]
	v_fmac_f64_e32 v[190:191], v[6:7], v[152:153]
	v_add_f64_e32 v[182:183], v[194:195], v[192:193]
	;; [unrolled: 18-line block ×3, first 2 shown]
	v_fma_f64 v[192:193], v[4:5], v[164:165], -v[166:167]
	ds_load_b128 v[4:7], v2 offset:1168
	s_wait_loadcnt_dscnt 0xa01
	v_mul_f64_e32 v[190:191], v[180:181], v[178:179]
	v_mul_f64_e32 v[178:179], v[182:183], v[178:179]
	scratch_load_b128 v[164:167], off, off offset:416
	v_add_f64_e32 v[184:185], v[184:185], v[188:189]
	v_add_f64_e32 v[194:195], v[174:175], v[172:173]
	s_wait_loadcnt_dscnt 0xa00
	v_mul_f64_e32 v[188:189], v[4:5], v[162:163]
	v_mul_f64_e32 v[162:163], v[6:7], v[162:163]
	v_fmac_f64_e32 v[190:191], v[182:183], v[176:177]
	v_fma_f64 v[180:181], v[180:181], v[176:177], -v[178:179]
	ds_load_b128 v[172:175], v2 offset:1184
	scratch_load_b128 v[176:179], off, off offset:432
	v_add_f64_e32 v[184:185], v[184:185], v[186:187]
	v_add_f64_e32 v[182:183], v[194:195], v[192:193]
	v_fmac_f64_e32 v[188:189], v[6:7], v[160:161]
	v_fma_f64 v[192:193], v[4:5], v[160:161], -v[162:163]
	ds_load_b128 v[4:7], v2 offset:1200
	s_wait_loadcnt_dscnt 0xa01
	v_mul_f64_e32 v[186:187], v[172:173], v[10:11]
	v_mul_f64_e32 v[10:11], v[174:175], v[10:11]
	scratch_load_b128 v[160:163], off, off offset:448
	v_add_f64_e32 v[184:185], v[184:185], v[190:191]
	s_wait_loadcnt_dscnt 0xa00
	v_mul_f64_e32 v[190:191], v[4:5], v[130:131]
	v_add_f64_e32 v[194:195], v[182:183], v[180:181]
	v_mul_f64_e32 v[130:131], v[6:7], v[130:131]
	ds_load_b128 v[180:183], v2 offset:1216
	v_fmac_f64_e32 v[186:187], v[174:175], v[8:9]
	v_fma_f64 v[172:173], v[172:173], v[8:9], -v[10:11]
	scratch_load_b128 v[8:11], off, off offset:464
	v_add_f64_e32 v[184:185], v[184:185], v[188:189]
	v_fmac_f64_e32 v[190:191], v[6:7], v[128:129]
	v_add_f64_e32 v[174:175], v[194:195], v[192:193]
	v_fma_f64 v[192:193], v[4:5], v[128:129], -v[130:131]
	ds_load_b128 v[4:7], v2 offset:1232
	s_wait_loadcnt_dscnt 0xa01
	v_mul_f64_e32 v[188:189], v[180:181], v[134:135]
	v_mul_f64_e32 v[134:135], v[182:183], v[134:135]
	scratch_load_b128 v[128:131], off, off offset:480
	v_add_f64_e32 v[184:185], v[184:185], v[186:187]
	s_wait_loadcnt_dscnt 0xa00
	v_mul_f64_e32 v[186:187], v[4:5], v[138:139]
	v_add_f64_e32 v[194:195], v[174:175], v[172:173]
	v_mul_f64_e32 v[138:139], v[6:7], v[138:139]
	ds_load_b128 v[172:175], v2 offset:1248
	v_fmac_f64_e32 v[188:189], v[182:183], v[132:133]
	v_fma_f64 v[180:181], v[180:181], v[132:133], -v[134:135]
	scratch_load_b128 v[132:135], off, off offset:496
	v_add_f64_e32 v[184:185], v[184:185], v[190:191]
	v_fmac_f64_e32 v[186:187], v[6:7], v[136:137]
	v_add_f64_e32 v[182:183], v[194:195], v[192:193]
	;; [unrolled: 18-line block ×14, first 2 shown]
	v_fma_f64 v[192:193], v[4:5], v[136:137], -v[138:139]
	ds_load_b128 v[4:7], v2 offset:1648
	s_wait_loadcnt_dscnt 0xa01
	v_mul_f64_e32 v[190:191], v[172:173], v[142:143]
	v_mul_f64_e32 v[142:143], v[174:175], v[142:143]
	scratch_load_b128 v[136:139], off, off offset:896
	v_add_f64_e32 v[184:185], v[184:185], v[188:189]
	s_wait_loadcnt_dscnt 0xa00
	v_mul_f64_e32 v[188:189], v[4:5], v[146:147]
	v_add_f64_e32 v[194:195], v[182:183], v[180:181]
	v_mul_f64_e32 v[146:147], v[6:7], v[146:147]
	ds_load_b128 v[180:183], v2 offset:1664
	v_fmac_f64_e32 v[190:191], v[174:175], v[140:141]
	v_fma_f64 v[140:141], v[172:173], v[140:141], -v[142:143]
	s_wait_loadcnt_dscnt 0x900
	v_mul_f64_e32 v[174:175], v[180:181], v[150:151]
	v_mul_f64_e32 v[150:151], v[182:183], v[150:151]
	v_add_f64_e32 v[172:173], v[184:185], v[186:187]
	v_fmac_f64_e32 v[188:189], v[6:7], v[144:145]
	v_add_f64_e32 v[142:143], v[194:195], v[192:193]
	v_fma_f64 v[144:145], v[4:5], v[144:145], -v[146:147]
	v_fmac_f64_e32 v[174:175], v[182:183], v[148:149]
	v_fma_f64 v[148:149], v[180:181], v[148:149], -v[150:151]
	v_add_f64_e32 v[172:173], v[172:173], v[190:191]
	v_add_f64_e32 v[146:147], v[142:143], v[140:141]
	ds_load_b128 v[4:7], v2 offset:1680
	ds_load_b128 v[140:143], v2 offset:1696
	s_wait_loadcnt_dscnt 0x801
	v_mul_f64_e32 v[184:185], v[4:5], v[154:155]
	v_mul_f64_e32 v[154:155], v[6:7], v[154:155]
	s_wait_loadcnt_dscnt 0x700
	v_mul_f64_e32 v[150:151], v[140:141], v[158:159]
	v_mul_f64_e32 v[158:159], v[142:143], v[158:159]
	v_add_f64_e32 v[144:145], v[146:147], v[144:145]
	v_add_f64_e32 v[146:147], v[172:173], v[188:189]
	v_fmac_f64_e32 v[184:185], v[6:7], v[152:153]
	v_fma_f64 v[152:153], v[4:5], v[152:153], -v[154:155]
	v_fmac_f64_e32 v[150:151], v[142:143], v[156:157]
	v_fma_f64 v[140:141], v[140:141], v[156:157], -v[158:159]
	v_add_f64_e32 v[148:149], v[144:145], v[148:149]
	v_add_f64_e32 v[154:155], v[146:147], v[174:175]
	ds_load_b128 v[4:7], v2 offset:1712
	ds_load_b128 v[144:147], v2 offset:1728
	s_wait_loadcnt_dscnt 0x601
	v_mul_f64_e32 v[172:173], v[4:5], v[166:167]
	v_mul_f64_e32 v[166:167], v[6:7], v[166:167]
	v_add_f64_e32 v[142:143], v[148:149], v[152:153]
	v_add_f64_e32 v[148:149], v[154:155], v[184:185]
	s_wait_loadcnt_dscnt 0x500
	v_mul_f64_e32 v[152:153], v[144:145], v[178:179]
	v_mul_f64_e32 v[154:155], v[146:147], v[178:179]
	v_fmac_f64_e32 v[172:173], v[6:7], v[164:165]
	v_fma_f64 v[156:157], v[4:5], v[164:165], -v[166:167]
	v_add_f64_e32 v[158:159], v[142:143], v[140:141]
	v_add_f64_e32 v[148:149], v[148:149], v[150:151]
	ds_load_b128 v[4:7], v2 offset:1744
	ds_load_b128 v[140:143], v2 offset:1760
	v_fmac_f64_e32 v[152:153], v[146:147], v[176:177]
	v_fma_f64 v[144:145], v[144:145], v[176:177], -v[154:155]
	s_wait_loadcnt_dscnt 0x401
	v_mul_f64_e32 v[150:151], v[4:5], v[162:163]
	v_mul_f64_e32 v[162:163], v[6:7], v[162:163]
	s_wait_loadcnt_dscnt 0x300
	v_mul_f64_e32 v[154:155], v[140:141], v[10:11]
	v_mul_f64_e32 v[10:11], v[142:143], v[10:11]
	v_add_f64_e32 v[146:147], v[158:159], v[156:157]
	v_add_f64_e32 v[148:149], v[148:149], v[172:173]
	v_fmac_f64_e32 v[150:151], v[6:7], v[160:161]
	v_fma_f64 v[156:157], v[4:5], v[160:161], -v[162:163]
	v_fmac_f64_e32 v[154:155], v[142:143], v[8:9]
	v_fma_f64 v[8:9], v[140:141], v[8:9], -v[10:11]
	v_add_f64_e32 v[158:159], v[146:147], v[144:145]
	v_add_f64_e32 v[148:149], v[148:149], v[152:153]
	ds_load_b128 v[4:7], v2 offset:1776
	ds_load_b128 v[144:147], v2 offset:1792
	s_wait_loadcnt_dscnt 0x201
	v_mul_f64_e32 v[152:153], v[4:5], v[130:131]
	v_mul_f64_e32 v[130:131], v[6:7], v[130:131]
	s_wait_loadcnt_dscnt 0x100
	v_mul_f64_e32 v[142:143], v[144:145], v[134:135]
	v_mul_f64_e32 v[134:135], v[146:147], v[134:135]
	v_add_f64_e32 v[10:11], v[158:159], v[156:157]
	v_add_f64_e32 v[140:141], v[148:149], v[150:151]
	v_fmac_f64_e32 v[152:153], v[6:7], v[128:129]
	v_fma_f64 v[128:129], v[4:5], v[128:129], -v[130:131]
	ds_load_b128 v[4:7], v2 offset:1808
	v_fmac_f64_e32 v[142:143], v[146:147], v[132:133]
	v_fma_f64 v[132:133], v[144:145], v[132:133], -v[134:135]
	v_add_f64_e32 v[8:9], v[10:11], v[8:9]
	v_add_f64_e32 v[10:11], v[140:141], v[154:155]
	s_wait_loadcnt_dscnt 0x0
	v_mul_f64_e32 v[130:131], v[4:5], v[138:139]
	v_mul_f64_e32 v[138:139], v[6:7], v[138:139]
	s_delay_alu instid0(VALU_DEP_4) | instskip(NEXT) | instid1(VALU_DEP_4)
	v_add_f64_e32 v[8:9], v[8:9], v[128:129]
	v_add_f64_e32 v[10:11], v[10:11], v[152:153]
	s_delay_alu instid0(VALU_DEP_4) | instskip(NEXT) | instid1(VALU_DEP_4)
	v_fmac_f64_e32 v[130:131], v[6:7], v[136:137]
	v_fma_f64 v[4:5], v[4:5], v[136:137], -v[138:139]
	s_delay_alu instid0(VALU_DEP_4) | instskip(NEXT) | instid1(VALU_DEP_4)
	v_add_f64_e32 v[6:7], v[8:9], v[132:133]
	v_add_f64_e32 v[8:9], v[10:11], v[142:143]
	s_delay_alu instid0(VALU_DEP_2) | instskip(NEXT) | instid1(VALU_DEP_2)
	v_add_f64_e32 v[4:5], v[6:7], v[4:5]
	v_add_f64_e32 v[6:7], v[8:9], v[130:131]
	s_delay_alu instid0(VALU_DEP_2) | instskip(NEXT) | instid1(VALU_DEP_2)
	v_add_f64_e64 v[4:5], v[168:169], -v[4:5]
	v_add_f64_e64 v[6:7], v[170:171], -v[6:7]
	scratch_store_b128 off, v[4:7], off offset:48
	s_wait_xcnt 0x0
	v_cmpx_lt_u32_e32 2, v1
	s_cbranch_execz .LBB56_351
; %bb.350:
	scratch_load_b128 v[6:9], off, s51
	v_dual_mov_b32 v3, v2 :: v_dual_mov_b32 v4, v2
	v_mov_b32_e32 v5, v2
	scratch_store_b128 off, v[2:5], off offset:32
	s_wait_loadcnt 0x0
	ds_store_b128 v12, v[6:9]
.LBB56_351:
	s_wait_xcnt 0x0
	s_or_b32 exec_lo, exec_lo, s2
	s_wait_storecnt_dscnt 0x0
	s_barrier_signal -1
	s_barrier_wait -1
	s_clause 0x9
	scratch_load_b128 v[4:7], off, off offset:48
	scratch_load_b128 v[8:11], off, off offset:64
	;; [unrolled: 1-line block ×10, first 2 shown]
	ds_load_b128 v[160:163], v2 offset:960
	ds_load_b128 v[168:171], v2 offset:976
	s_clause 0x2
	scratch_load_b128 v[164:167], off, off offset:208
	scratch_load_b128 v[172:175], off, off offset:32
	;; [unrolled: 1-line block ×3, first 2 shown]
	s_mov_b32 s2, exec_lo
	v_ashrrev_i32_e32 v21, 31, v20
	v_ashrrev_i32_e32 v25, 31, v24
	;; [unrolled: 1-line block ×3, first 2 shown]
	v_dual_ashrrev_i32 v33, 31, v32 :: v_dual_ashrrev_i32 v19, 31, v18
	v_dual_ashrrev_i32 v23, 31, v22 :: v_dual_ashrrev_i32 v37, 31, v36
	;; [unrolled: 1-line block ×8, first 2 shown]
	v_ashrrev_i32_e32 v65, 31, v64
	v_ashrrev_i32_e32 v69, 31, v68
	v_dual_ashrrev_i32 v73, 31, v72 :: v_dual_ashrrev_i32 v51, 31, v50
	v_ashrrev_i32_e32 v55, 31, v54
	v_ashrrev_i32_e32 v59, 31, v58
	v_dual_ashrrev_i32 v63, 31, v62 :: v_dual_ashrrev_i32 v77, 31, v76
	v_dual_ashrrev_i32 v81, 31, v80 :: v_dual_ashrrev_i32 v67, 31, v66
	;; [unrolled: 1-line block ×3, first 2 shown]
	v_ashrrev_i32_e32 v89, 31, v88
	v_dual_ashrrev_i32 v93, 31, v92 :: v_dual_ashrrev_i32 v75, 31, v74
	v_dual_ashrrev_i32 v97, 31, v96 :: v_dual_ashrrev_i32 v79, 31, v78
	v_ashrrev_i32_e32 v101, 31, v100
	v_dual_ashrrev_i32 v105, 31, v104 :: v_dual_ashrrev_i32 v83, 31, v82
	v_ashrrev_i32_e32 v87, 31, v86
	v_dual_ashrrev_i32 v91, 31, v90 :: v_dual_ashrrev_i32 v109, 31, v108
	v_dual_ashrrev_i32 v113, 31, v112 :: v_dual_ashrrev_i32 v95, 31, v94
	;; [unrolled: 1-line block ×3, first 2 shown]
	v_ashrrev_i32_e32 v121, 31, v120
	v_dual_ashrrev_i32 v125, 31, v124 :: v_dual_ashrrev_i32 v103, 31, v102
	v_ashrrev_i32_e32 v107, 31, v106
	v_ashrrev_i32_e32 v111, 31, v110
	;; [unrolled: 1-line block ×6, first 2 shown]
	s_wait_loadcnt_dscnt 0xc01
	v_mul_f64_e32 v[180:181], v[162:163], v[6:7]
	v_mul_f64_e32 v[184:185], v[160:161], v[6:7]
	s_wait_loadcnt_dscnt 0xb00
	v_mul_f64_e32 v[186:187], v[168:169], v[10:11]
	v_mul_f64_e32 v[10:11], v[170:171], v[10:11]
	s_delay_alu instid0(VALU_DEP_4) | instskip(NEXT) | instid1(VALU_DEP_4)
	v_fma_f64 v[188:189], v[160:161], v[4:5], -v[180:181]
	v_fmac_f64_e32 v[184:185], v[162:163], v[4:5]
	ds_load_b128 v[4:7], v2 offset:992
	ds_load_b128 v[180:183], v2 offset:1008
	scratch_load_b128 v[160:163], off, off offset:240
	v_fmac_f64_e32 v[186:187], v[170:171], v[8:9]
	v_fma_f64 v[168:169], v[168:169], v[8:9], -v[10:11]
	scratch_load_b128 v[8:11], off, off offset:256
	s_wait_loadcnt_dscnt 0xc01
	v_mul_f64_e32 v[190:191], v[4:5], v[130:131]
	v_mul_f64_e32 v[130:131], v[6:7], v[130:131]
	v_add_f64_e32 v[170:171], 0, v[188:189]
	v_add_f64_e32 v[184:185], 0, v[184:185]
	s_wait_loadcnt_dscnt 0xb00
	v_mul_f64_e32 v[188:189], v[180:181], v[134:135]
	v_mul_f64_e32 v[134:135], v[182:183], v[134:135]
	v_fmac_f64_e32 v[190:191], v[6:7], v[128:129]
	v_fma_f64 v[192:193], v[4:5], v[128:129], -v[130:131]
	ds_load_b128 v[4:7], v2 offset:1024
	scratch_load_b128 v[128:131], off, off offset:272
	v_add_f64_e32 v[194:195], v[170:171], v[168:169]
	v_add_f64_e32 v[184:185], v[184:185], v[186:187]
	ds_load_b128 v[168:171], v2 offset:1040
	v_fmac_f64_e32 v[188:189], v[182:183], v[132:133]
	v_fma_f64 v[180:181], v[180:181], v[132:133], -v[134:135]
	scratch_load_b128 v[132:135], off, off offset:288
	s_wait_loadcnt_dscnt 0xc01
	v_mul_f64_e32 v[186:187], v[4:5], v[138:139]
	v_mul_f64_e32 v[138:139], v[6:7], v[138:139]
	v_add_f64_e32 v[182:183], v[194:195], v[192:193]
	v_add_f64_e32 v[184:185], v[184:185], v[190:191]
	s_wait_loadcnt_dscnt 0xb00
	v_mul_f64_e32 v[190:191], v[168:169], v[142:143]
	v_mul_f64_e32 v[142:143], v[170:171], v[142:143]
	v_fmac_f64_e32 v[186:187], v[6:7], v[136:137]
	v_fma_f64 v[192:193], v[4:5], v[136:137], -v[138:139]
	ds_load_b128 v[4:7], v2 offset:1056
	scratch_load_b128 v[136:139], off, off offset:304
	v_add_f64_e32 v[194:195], v[182:183], v[180:181]
	v_add_f64_e32 v[184:185], v[184:185], v[188:189]
	ds_load_b128 v[180:183], v2 offset:1072
	s_wait_loadcnt_dscnt 0xb01
	v_mul_f64_e32 v[188:189], v[4:5], v[146:147]
	v_mul_f64_e32 v[146:147], v[6:7], v[146:147]
	v_fmac_f64_e32 v[190:191], v[170:171], v[140:141]
	v_fma_f64 v[168:169], v[168:169], v[140:141], -v[142:143]
	scratch_load_b128 v[140:143], off, off offset:320
	v_add_f64_e32 v[170:171], v[194:195], v[192:193]
	v_add_f64_e32 v[184:185], v[184:185], v[186:187]
	s_wait_loadcnt_dscnt 0xb00
	v_mul_f64_e32 v[186:187], v[180:181], v[150:151]
	v_mul_f64_e32 v[150:151], v[182:183], v[150:151]
	v_fmac_f64_e32 v[188:189], v[6:7], v[144:145]
	v_fma_f64 v[192:193], v[4:5], v[144:145], -v[146:147]
	ds_load_b128 v[4:7], v2 offset:1088
	scratch_load_b128 v[144:147], off, off offset:336
	v_add_f64_e32 v[194:195], v[170:171], v[168:169]
	v_add_f64_e32 v[184:185], v[184:185], v[190:191]
	ds_load_b128 v[168:171], v2 offset:1104
	s_wait_loadcnt_dscnt 0xb01
	v_mul_f64_e32 v[190:191], v[4:5], v[154:155]
	v_mul_f64_e32 v[154:155], v[6:7], v[154:155]
	v_fmac_f64_e32 v[186:187], v[182:183], v[148:149]
	v_fma_f64 v[180:181], v[180:181], v[148:149], -v[150:151]
	scratch_load_b128 v[148:151], off, off offset:352
	;; [unrolled: 18-line block ×3, first 2 shown]
	v_add_f64_e32 v[170:171], v[194:195], v[192:193]
	v_add_f64_e32 v[184:185], v[184:185], v[190:191]
	s_wait_loadcnt_dscnt 0xa00
	v_mul_f64_e32 v[190:191], v[180:181], v[178:179]
	v_mul_f64_e32 v[178:179], v[182:183], v[178:179]
	v_fmac_f64_e32 v[186:187], v[6:7], v[164:165]
	v_fma_f64 v[192:193], v[4:5], v[164:165], -v[166:167]
	ds_load_b128 v[4:7], v2 offset:1152
	scratch_load_b128 v[164:167], off, off offset:400
	v_add_f64_e32 v[194:195], v[170:171], v[168:169]
	v_add_f64_e32 v[184:185], v[184:185], v[188:189]
	ds_load_b128 v[168:171], v2 offset:1168
	v_fmac_f64_e32 v[190:191], v[182:183], v[176:177]
	s_wait_loadcnt_dscnt 0xa01
	v_mul_f64_e32 v[188:189], v[4:5], v[162:163]
	v_mul_f64_e32 v[162:163], v[6:7], v[162:163]
	v_fma_f64 v[180:181], v[180:181], v[176:177], -v[178:179]
	scratch_load_b128 v[176:179], off, off offset:416
	v_add_f64_e32 v[182:183], v[194:195], v[192:193]
	v_add_f64_e32 v[184:185], v[184:185], v[186:187]
	s_wait_loadcnt_dscnt 0xa00
	v_mul_f64_e32 v[186:187], v[168:169], v[10:11]
	v_mul_f64_e32 v[10:11], v[170:171], v[10:11]
	v_fmac_f64_e32 v[188:189], v[6:7], v[160:161]
	v_fma_f64 v[192:193], v[4:5], v[160:161], -v[162:163]
	ds_load_b128 v[4:7], v2 offset:1184
	scratch_load_b128 v[160:163], off, off offset:432
	v_add_f64_e32 v[194:195], v[182:183], v[180:181]
	v_add_f64_e32 v[184:185], v[184:185], v[190:191]
	ds_load_b128 v[180:183], v2 offset:1200
	s_wait_loadcnt_dscnt 0xa01
	v_mul_f64_e32 v[190:191], v[4:5], v[130:131]
	v_mul_f64_e32 v[130:131], v[6:7], v[130:131]
	v_fmac_f64_e32 v[186:187], v[170:171], v[8:9]
	v_fma_f64 v[168:169], v[168:169], v[8:9], -v[10:11]
	scratch_load_b128 v[8:11], off, off offset:448
	v_add_f64_e32 v[170:171], v[194:195], v[192:193]
	v_add_f64_e32 v[184:185], v[184:185], v[188:189]
	s_wait_loadcnt_dscnt 0xa00
	v_mul_f64_e32 v[188:189], v[180:181], v[134:135]
	v_mul_f64_e32 v[134:135], v[182:183], v[134:135]
	v_fmac_f64_e32 v[190:191], v[6:7], v[128:129]
	v_fma_f64 v[192:193], v[4:5], v[128:129], -v[130:131]
	ds_load_b128 v[4:7], v2 offset:1216
	scratch_load_b128 v[128:131], off, off offset:464
	v_add_f64_e32 v[194:195], v[170:171], v[168:169]
	v_add_f64_e32 v[184:185], v[184:185], v[186:187]
	ds_load_b128 v[168:171], v2 offset:1232
	s_wait_loadcnt_dscnt 0xa01
	v_mul_f64_e32 v[186:187], v[4:5], v[138:139]
	v_mul_f64_e32 v[138:139], v[6:7], v[138:139]
	v_fmac_f64_e32 v[188:189], v[182:183], v[132:133]
	;; [unrolled: 18-line block ×15, first 2 shown]
	v_fma_f64 v[168:169], v[168:169], v[140:141], -v[142:143]
	scratch_load_b128 v[140:143], off, off offset:896
	v_add_f64_e32 v[170:171], v[194:195], v[192:193]
	v_add_f64_e32 v[184:185], v[184:185], v[186:187]
	s_wait_loadcnt_dscnt 0xa00
	v_mul_f64_e32 v[186:187], v[180:181], v[150:151]
	v_mul_f64_e32 v[150:151], v[182:183], v[150:151]
	v_fmac_f64_e32 v[188:189], v[6:7], v[144:145]
	v_fma_f64 v[192:193], v[4:5], v[144:145], -v[146:147]
	ds_load_b128 v[4:7], v2 offset:1664
	ds_load_b128 v[144:147], v2 offset:1680
	v_add_f64_e32 v[168:169], v[170:171], v[168:169]
	v_add_f64_e32 v[170:171], v[184:185], v[190:191]
	s_wait_loadcnt_dscnt 0x901
	v_mul_f64_e32 v[184:185], v[4:5], v[154:155]
	v_mul_f64_e32 v[154:155], v[6:7], v[154:155]
	v_fmac_f64_e32 v[186:187], v[182:183], v[148:149]
	v_fma_f64 v[148:149], v[180:181], v[148:149], -v[150:151]
	v_add_f64_e32 v[150:151], v[168:169], v[192:193]
	v_add_f64_e32 v[168:169], v[170:171], v[188:189]
	s_wait_loadcnt_dscnt 0x800
	v_mul_f64_e32 v[170:171], v[144:145], v[158:159]
	v_mul_f64_e32 v[158:159], v[146:147], v[158:159]
	v_fmac_f64_e32 v[184:185], v[6:7], v[152:153]
	v_fma_f64 v[152:153], v[4:5], v[152:153], -v[154:155]
	v_add_f64_e32 v[154:155], v[150:151], v[148:149]
	v_add_f64_e32 v[168:169], v[168:169], v[186:187]
	ds_load_b128 v[4:7], v2 offset:1696
	ds_load_b128 v[148:151], v2 offset:1712
	v_fmac_f64_e32 v[170:171], v[146:147], v[156:157]
	v_fma_f64 v[144:145], v[144:145], v[156:157], -v[158:159]
	s_wait_loadcnt_dscnt 0x701
	v_mul_f64_e32 v[180:181], v[4:5], v[166:167]
	v_mul_f64_e32 v[166:167], v[6:7], v[166:167]
	s_wait_loadcnt_dscnt 0x600
	v_mul_f64_e32 v[156:157], v[150:151], v[178:179]
	v_add_f64_e32 v[146:147], v[154:155], v[152:153]
	v_add_f64_e32 v[152:153], v[168:169], v[184:185]
	v_mul_f64_e32 v[154:155], v[148:149], v[178:179]
	v_fmac_f64_e32 v[180:181], v[6:7], v[164:165]
	v_fma_f64 v[158:159], v[4:5], v[164:165], -v[166:167]
	v_fma_f64 v[148:149], v[148:149], v[176:177], -v[156:157]
	v_add_f64_e32 v[164:165], v[146:147], v[144:145]
	v_add_f64_e32 v[152:153], v[152:153], v[170:171]
	ds_load_b128 v[4:7], v2 offset:1728
	ds_load_b128 v[144:147], v2 offset:1744
	v_fmac_f64_e32 v[154:155], v[150:151], v[176:177]
	s_wait_loadcnt_dscnt 0x501
	v_mul_f64_e32 v[166:167], v[4:5], v[162:163]
	v_mul_f64_e32 v[162:163], v[6:7], v[162:163]
	s_wait_loadcnt_dscnt 0x400
	v_mul_f64_e32 v[156:157], v[144:145], v[10:11]
	v_mul_f64_e32 v[10:11], v[146:147], v[10:11]
	v_add_f64_e32 v[150:151], v[164:165], v[158:159]
	v_add_f64_e32 v[152:153], v[152:153], v[180:181]
	v_fmac_f64_e32 v[166:167], v[6:7], v[160:161]
	v_fma_f64 v[158:159], v[4:5], v[160:161], -v[162:163]
	v_fmac_f64_e32 v[156:157], v[146:147], v[8:9]
	v_fma_f64 v[8:9], v[144:145], v[8:9], -v[10:11]
	v_add_f64_e32 v[160:161], v[150:151], v[148:149]
	v_add_f64_e32 v[152:153], v[152:153], v[154:155]
	ds_load_b128 v[4:7], v2 offset:1760
	ds_load_b128 v[148:151], v2 offset:1776
	s_wait_loadcnt_dscnt 0x301
	v_mul_f64_e32 v[154:155], v[4:5], v[130:131]
	v_mul_f64_e32 v[130:131], v[6:7], v[130:131]
	s_wait_loadcnt_dscnt 0x200
	v_mul_f64_e32 v[146:147], v[148:149], v[134:135]
	v_mul_f64_e32 v[134:135], v[150:151], v[134:135]
	v_add_f64_e32 v[10:11], v[160:161], v[158:159]
	v_add_f64_e32 v[144:145], v[152:153], v[166:167]
	v_fmac_f64_e32 v[154:155], v[6:7], v[128:129]
	v_fma_f64 v[128:129], v[4:5], v[128:129], -v[130:131]
	v_fmac_f64_e32 v[146:147], v[150:151], v[132:133]
	v_fma_f64 v[132:133], v[148:149], v[132:133], -v[134:135]
	v_add_f64_e32 v[130:131], v[10:11], v[8:9]
	v_add_f64_e32 v[144:145], v[144:145], v[156:157]
	ds_load_b128 v[4:7], v2 offset:1792
	ds_load_b128 v[8:11], v2 offset:1808
	s_wait_loadcnt_dscnt 0x101
	v_mul_f64_e32 v[2:3], v[4:5], v[138:139]
	v_mul_f64_e32 v[138:139], v[6:7], v[138:139]
	s_wait_loadcnt_dscnt 0x0
	v_mul_f64_e32 v[134:135], v[8:9], v[142:143]
	v_mul_f64_e32 v[142:143], v[10:11], v[142:143]
	v_add_f64_e32 v[128:129], v[130:131], v[128:129]
	v_add_f64_e32 v[130:131], v[144:145], v[154:155]
	v_fmac_f64_e32 v[2:3], v[6:7], v[136:137]
	v_fma_f64 v[4:5], v[4:5], v[136:137], -v[138:139]
	v_fmac_f64_e32 v[134:135], v[10:11], v[140:141]
	v_fma_f64 v[8:9], v[8:9], v[140:141], -v[142:143]
	v_add_f64_e32 v[6:7], v[128:129], v[132:133]
	v_add_f64_e32 v[128:129], v[130:131], v[146:147]
	s_delay_alu instid0(VALU_DEP_2) | instskip(NEXT) | instid1(VALU_DEP_2)
	v_add_f64_e32 v[4:5], v[6:7], v[4:5]
	v_add_f64_e32 v[2:3], v[128:129], v[2:3]
	s_delay_alu instid0(VALU_DEP_2) | instskip(NEXT) | instid1(VALU_DEP_2)
	;; [unrolled: 3-line block ×3, first 2 shown]
	v_add_f64_e64 v[2:3], v[172:173], -v[4:5]
	v_add_f64_e64 v[4:5], v[174:175], -v[6:7]
	scratch_store_b128 off, v[2:5], off offset:32
	s_wait_xcnt 0x0
	v_cmpx_lt_u32_e32 1, v1
	s_cbranch_execz .LBB56_353
; %bb.352:
	scratch_load_b128 v[2:5], off, s52
	v_mov_b32_e32 v6, 0
	s_delay_alu instid0(VALU_DEP_1)
	v_dual_mov_b32 v7, v6 :: v_dual_mov_b32 v8, v6
	v_mov_b32_e32 v9, v6
	scratch_store_b128 off, v[6:9], off offset:16
	s_wait_loadcnt 0x0
	ds_store_b128 v12, v[2:5]
.LBB56_353:
	s_wait_xcnt 0x0
	s_or_b32 exec_lo, exec_lo, s2
	s_wait_storecnt_dscnt 0x0
	s_barrier_signal -1
	s_barrier_wait -1
	s_clause 0x9
	scratch_load_b128 v[4:7], off, off offset:32
	scratch_load_b128 v[8:11], off, off offset:48
	;; [unrolled: 1-line block ×10, first 2 shown]
	v_mov_b32_e32 v2, 0
	s_mov_b32 s2, exec_lo
	ds_load_b128 v[160:163], v2 offset:944
	s_clause 0x2
	scratch_load_b128 v[164:167], off, off offset:192
	scratch_load_b128 v[168:171], off, off offset:16
	;; [unrolled: 1-line block ×3, first 2 shown]
	s_wait_loadcnt_dscnt 0xc00
	v_mul_f64_e32 v[180:181], v[162:163], v[6:7]
	v_mul_f64_e32 v[184:185], v[160:161], v[6:7]
	ds_load_b128 v[172:175], v2 offset:960
	v_fma_f64 v[188:189], v[160:161], v[4:5], -v[180:181]
	v_fmac_f64_e32 v[184:185], v[162:163], v[4:5]
	ds_load_b128 v[4:7], v2 offset:976
	s_wait_loadcnt_dscnt 0xb01
	v_mul_f64_e32 v[186:187], v[172:173], v[10:11]
	v_mul_f64_e32 v[10:11], v[174:175], v[10:11]
	scratch_load_b128 v[160:163], off, off offset:224
	ds_load_b128 v[180:183], v2 offset:992
	s_wait_loadcnt_dscnt 0xb01
	v_mul_f64_e32 v[190:191], v[4:5], v[130:131]
	v_mul_f64_e32 v[130:131], v[6:7], v[130:131]
	v_add_f64_e32 v[184:185], 0, v[184:185]
	v_fmac_f64_e32 v[186:187], v[174:175], v[8:9]
	v_fma_f64 v[172:173], v[172:173], v[8:9], -v[10:11]
	v_add_f64_e32 v[174:175], 0, v[188:189]
	scratch_load_b128 v[8:11], off, off offset:240
	v_fmac_f64_e32 v[190:191], v[6:7], v[128:129]
	v_fma_f64 v[192:193], v[4:5], v[128:129], -v[130:131]
	ds_load_b128 v[4:7], v2 offset:1008
	s_wait_loadcnt_dscnt 0xb01
	v_mul_f64_e32 v[188:189], v[180:181], v[134:135]
	v_mul_f64_e32 v[134:135], v[182:183], v[134:135]
	scratch_load_b128 v[128:131], off, off offset:256
	v_add_f64_e32 v[184:185], v[184:185], v[186:187]
	v_add_f64_e32 v[194:195], v[174:175], v[172:173]
	ds_load_b128 v[172:175], v2 offset:1024
	s_wait_loadcnt_dscnt 0xb01
	v_mul_f64_e32 v[186:187], v[4:5], v[138:139]
	v_mul_f64_e32 v[138:139], v[6:7], v[138:139]
	v_fmac_f64_e32 v[188:189], v[182:183], v[132:133]
	v_fma_f64 v[180:181], v[180:181], v[132:133], -v[134:135]
	scratch_load_b128 v[132:135], off, off offset:272
	v_add_f64_e32 v[184:185], v[184:185], v[190:191]
	v_add_f64_e32 v[182:183], v[194:195], v[192:193]
	v_fmac_f64_e32 v[186:187], v[6:7], v[136:137]
	v_fma_f64 v[192:193], v[4:5], v[136:137], -v[138:139]
	ds_load_b128 v[4:7], v2 offset:1040
	s_wait_loadcnt_dscnt 0xb01
	v_mul_f64_e32 v[190:191], v[172:173], v[142:143]
	v_mul_f64_e32 v[142:143], v[174:175], v[142:143]
	scratch_load_b128 v[136:139], off, off offset:288
	v_add_f64_e32 v[184:185], v[184:185], v[188:189]
	s_wait_loadcnt_dscnt 0xb00
	v_mul_f64_e32 v[188:189], v[4:5], v[146:147]
	v_add_f64_e32 v[194:195], v[182:183], v[180:181]
	v_mul_f64_e32 v[146:147], v[6:7], v[146:147]
	ds_load_b128 v[180:183], v2 offset:1056
	v_fmac_f64_e32 v[190:191], v[174:175], v[140:141]
	v_fma_f64 v[172:173], v[172:173], v[140:141], -v[142:143]
	scratch_load_b128 v[140:143], off, off offset:304
	v_add_f64_e32 v[184:185], v[184:185], v[186:187]
	v_fmac_f64_e32 v[188:189], v[6:7], v[144:145]
	v_add_f64_e32 v[174:175], v[194:195], v[192:193]
	v_fma_f64 v[192:193], v[4:5], v[144:145], -v[146:147]
	ds_load_b128 v[4:7], v2 offset:1072
	s_wait_loadcnt_dscnt 0xb01
	v_mul_f64_e32 v[186:187], v[180:181], v[150:151]
	v_mul_f64_e32 v[150:151], v[182:183], v[150:151]
	scratch_load_b128 v[144:147], off, off offset:320
	v_add_f64_e32 v[184:185], v[184:185], v[190:191]
	s_wait_loadcnt_dscnt 0xb00
	v_mul_f64_e32 v[190:191], v[4:5], v[154:155]
	v_add_f64_e32 v[194:195], v[174:175], v[172:173]
	v_mul_f64_e32 v[154:155], v[6:7], v[154:155]
	ds_load_b128 v[172:175], v2 offset:1088
	v_fmac_f64_e32 v[186:187], v[182:183], v[148:149]
	v_fma_f64 v[180:181], v[180:181], v[148:149], -v[150:151]
	scratch_load_b128 v[148:151], off, off offset:336
	v_add_f64_e32 v[184:185], v[184:185], v[188:189]
	v_fmac_f64_e32 v[190:191], v[6:7], v[152:153]
	v_add_f64_e32 v[182:183], v[194:195], v[192:193]
	;; [unrolled: 18-line block ×3, first 2 shown]
	v_fma_f64 v[192:193], v[4:5], v[164:165], -v[166:167]
	ds_load_b128 v[4:7], v2 offset:1136
	s_wait_loadcnt_dscnt 0xa01
	v_mul_f64_e32 v[190:191], v[180:181], v[178:179]
	v_mul_f64_e32 v[178:179], v[182:183], v[178:179]
	scratch_load_b128 v[164:167], off, off offset:384
	v_add_f64_e32 v[184:185], v[184:185], v[188:189]
	v_add_f64_e32 v[194:195], v[174:175], v[172:173]
	s_wait_loadcnt_dscnt 0xa00
	v_mul_f64_e32 v[188:189], v[4:5], v[162:163]
	v_mul_f64_e32 v[162:163], v[6:7], v[162:163]
	v_fmac_f64_e32 v[190:191], v[182:183], v[176:177]
	v_fma_f64 v[180:181], v[180:181], v[176:177], -v[178:179]
	ds_load_b128 v[172:175], v2 offset:1152
	scratch_load_b128 v[176:179], off, off offset:400
	v_add_f64_e32 v[184:185], v[184:185], v[186:187]
	v_add_f64_e32 v[182:183], v[194:195], v[192:193]
	v_fmac_f64_e32 v[188:189], v[6:7], v[160:161]
	v_fma_f64 v[192:193], v[4:5], v[160:161], -v[162:163]
	ds_load_b128 v[4:7], v2 offset:1168
	s_wait_loadcnt_dscnt 0xa01
	v_mul_f64_e32 v[186:187], v[172:173], v[10:11]
	v_mul_f64_e32 v[10:11], v[174:175], v[10:11]
	scratch_load_b128 v[160:163], off, off offset:416
	v_add_f64_e32 v[184:185], v[184:185], v[190:191]
	s_wait_loadcnt_dscnt 0xa00
	v_mul_f64_e32 v[190:191], v[4:5], v[130:131]
	v_add_f64_e32 v[194:195], v[182:183], v[180:181]
	v_mul_f64_e32 v[130:131], v[6:7], v[130:131]
	ds_load_b128 v[180:183], v2 offset:1184
	v_fmac_f64_e32 v[186:187], v[174:175], v[8:9]
	v_fma_f64 v[172:173], v[172:173], v[8:9], -v[10:11]
	scratch_load_b128 v[8:11], off, off offset:432
	v_add_f64_e32 v[184:185], v[184:185], v[188:189]
	v_fmac_f64_e32 v[190:191], v[6:7], v[128:129]
	v_add_f64_e32 v[174:175], v[194:195], v[192:193]
	v_fma_f64 v[192:193], v[4:5], v[128:129], -v[130:131]
	ds_load_b128 v[4:7], v2 offset:1200
	s_wait_loadcnt_dscnt 0xa01
	v_mul_f64_e32 v[188:189], v[180:181], v[134:135]
	v_mul_f64_e32 v[134:135], v[182:183], v[134:135]
	scratch_load_b128 v[128:131], off, off offset:448
	v_add_f64_e32 v[184:185], v[184:185], v[186:187]
	s_wait_loadcnt_dscnt 0xa00
	v_mul_f64_e32 v[186:187], v[4:5], v[138:139]
	v_add_f64_e32 v[194:195], v[174:175], v[172:173]
	v_mul_f64_e32 v[138:139], v[6:7], v[138:139]
	ds_load_b128 v[172:175], v2 offset:1216
	v_fmac_f64_e32 v[188:189], v[182:183], v[132:133]
	v_fma_f64 v[180:181], v[180:181], v[132:133], -v[134:135]
	scratch_load_b128 v[132:135], off, off offset:464
	v_add_f64_e32 v[184:185], v[184:185], v[190:191]
	v_fmac_f64_e32 v[186:187], v[6:7], v[136:137]
	v_add_f64_e32 v[182:183], v[194:195], v[192:193]
	;; [unrolled: 18-line block ×15, first 2 shown]
	v_fma_f64 v[192:193], v[4:5], v[144:145], -v[146:147]
	ds_load_b128 v[4:7], v2 offset:1648
	s_wait_loadcnt_dscnt 0xa01
	v_mul_f64_e32 v[186:187], v[180:181], v[150:151]
	v_mul_f64_e32 v[150:151], v[182:183], v[150:151]
	scratch_load_b128 v[144:147], off, off offset:896
	v_add_f64_e32 v[184:185], v[184:185], v[190:191]
	s_wait_loadcnt_dscnt 0xa00
	v_mul_f64_e32 v[190:191], v[4:5], v[154:155]
	v_add_f64_e32 v[194:195], v[174:175], v[172:173]
	v_mul_f64_e32 v[154:155], v[6:7], v[154:155]
	ds_load_b128 v[172:175], v2 offset:1664
	v_fmac_f64_e32 v[186:187], v[182:183], v[148:149]
	v_fma_f64 v[148:149], v[180:181], v[148:149], -v[150:151]
	s_wait_loadcnt_dscnt 0x900
	v_mul_f64_e32 v[182:183], v[172:173], v[158:159]
	v_mul_f64_e32 v[158:159], v[174:175], v[158:159]
	v_add_f64_e32 v[180:181], v[184:185], v[188:189]
	v_fmac_f64_e32 v[190:191], v[6:7], v[152:153]
	v_add_f64_e32 v[150:151], v[194:195], v[192:193]
	v_fma_f64 v[152:153], v[4:5], v[152:153], -v[154:155]
	v_fmac_f64_e32 v[182:183], v[174:175], v[156:157]
	v_fma_f64 v[156:157], v[172:173], v[156:157], -v[158:159]
	v_add_f64_e32 v[180:181], v[180:181], v[186:187]
	v_add_f64_e32 v[154:155], v[150:151], v[148:149]
	ds_load_b128 v[4:7], v2 offset:1680
	ds_load_b128 v[148:151], v2 offset:1696
	s_wait_loadcnt_dscnt 0x801
	v_mul_f64_e32 v[184:185], v[4:5], v[166:167]
	v_mul_f64_e32 v[166:167], v[6:7], v[166:167]
	s_wait_loadcnt_dscnt 0x700
	v_mul_f64_e32 v[158:159], v[148:149], v[178:179]
	v_mul_f64_e32 v[172:173], v[150:151], v[178:179]
	v_add_f64_e32 v[152:153], v[154:155], v[152:153]
	v_add_f64_e32 v[154:155], v[180:181], v[190:191]
	v_fmac_f64_e32 v[184:185], v[6:7], v[164:165]
	v_fma_f64 v[164:165], v[4:5], v[164:165], -v[166:167]
	v_fmac_f64_e32 v[158:159], v[150:151], v[176:177]
	v_fma_f64 v[148:149], v[148:149], v[176:177], -v[172:173]
	v_add_f64_e32 v[156:157], v[152:153], v[156:157]
	v_add_f64_e32 v[166:167], v[154:155], v[182:183]
	ds_load_b128 v[4:7], v2 offset:1712
	ds_load_b128 v[152:155], v2 offset:1728
	s_wait_loadcnt_dscnt 0x601
	v_mul_f64_e32 v[174:175], v[4:5], v[162:163]
	v_mul_f64_e32 v[162:163], v[6:7], v[162:163]
	v_add_f64_e32 v[150:151], v[156:157], v[164:165]
	v_add_f64_e32 v[156:157], v[166:167], v[184:185]
	s_wait_loadcnt_dscnt 0x500
	v_mul_f64_e32 v[164:165], v[152:153], v[10:11]
	v_mul_f64_e32 v[10:11], v[154:155], v[10:11]
	v_fmac_f64_e32 v[174:175], v[6:7], v[160:161]
	v_fma_f64 v[160:161], v[4:5], v[160:161], -v[162:163]
	v_add_f64_e32 v[162:163], v[150:151], v[148:149]
	v_add_f64_e32 v[156:157], v[156:157], v[158:159]
	ds_load_b128 v[4:7], v2 offset:1744
	ds_load_b128 v[148:151], v2 offset:1760
	v_fmac_f64_e32 v[164:165], v[154:155], v[8:9]
	v_fma_f64 v[8:9], v[152:153], v[8:9], -v[10:11]
	s_wait_loadcnt_dscnt 0x401
	v_mul_f64_e32 v[158:159], v[4:5], v[130:131]
	v_mul_f64_e32 v[130:131], v[6:7], v[130:131]
	s_wait_loadcnt_dscnt 0x300
	v_mul_f64_e32 v[154:155], v[148:149], v[134:135]
	v_mul_f64_e32 v[134:135], v[150:151], v[134:135]
	v_add_f64_e32 v[10:11], v[162:163], v[160:161]
	v_add_f64_e32 v[152:153], v[156:157], v[174:175]
	v_fmac_f64_e32 v[158:159], v[6:7], v[128:129]
	v_fma_f64 v[128:129], v[4:5], v[128:129], -v[130:131]
	v_fmac_f64_e32 v[154:155], v[150:151], v[132:133]
	v_fma_f64 v[132:133], v[148:149], v[132:133], -v[134:135]
	v_add_f64_e32 v[130:131], v[10:11], v[8:9]
	v_add_f64_e32 v[152:153], v[152:153], v[164:165]
	ds_load_b128 v[4:7], v2 offset:1776
	ds_load_b128 v[8:11], v2 offset:1792
	s_wait_loadcnt_dscnt 0x201
	v_mul_f64_e32 v[156:157], v[4:5], v[138:139]
	v_mul_f64_e32 v[138:139], v[6:7], v[138:139]
	s_wait_loadcnt_dscnt 0x100
	v_mul_f64_e32 v[134:135], v[8:9], v[142:143]
	v_mul_f64_e32 v[142:143], v[10:11], v[142:143]
	v_add_f64_e32 v[128:129], v[130:131], v[128:129]
	v_add_f64_e32 v[130:131], v[152:153], v[158:159]
	v_fmac_f64_e32 v[156:157], v[6:7], v[136:137]
	v_fma_f64 v[136:137], v[4:5], v[136:137], -v[138:139]
	ds_load_b128 v[4:7], v2 offset:1808
	v_fmac_f64_e32 v[134:135], v[10:11], v[140:141]
	v_fma_f64 v[8:9], v[8:9], v[140:141], -v[142:143]
	v_add_f64_e32 v[128:129], v[128:129], v[132:133]
	v_add_f64_e32 v[130:131], v[130:131], v[154:155]
	s_wait_loadcnt_dscnt 0x0
	v_mul_f64_e32 v[132:133], v[4:5], v[146:147]
	v_mul_f64_e32 v[138:139], v[6:7], v[146:147]
	s_delay_alu instid0(VALU_DEP_4) | instskip(NEXT) | instid1(VALU_DEP_4)
	v_add_f64_e32 v[10:11], v[128:129], v[136:137]
	v_add_f64_e32 v[128:129], v[130:131], v[156:157]
	s_delay_alu instid0(VALU_DEP_4) | instskip(NEXT) | instid1(VALU_DEP_4)
	v_fmac_f64_e32 v[132:133], v[6:7], v[144:145]
	v_fma_f64 v[4:5], v[4:5], v[144:145], -v[138:139]
	s_delay_alu instid0(VALU_DEP_4) | instskip(NEXT) | instid1(VALU_DEP_4)
	v_add_f64_e32 v[6:7], v[10:11], v[8:9]
	v_add_f64_e32 v[8:9], v[128:129], v[134:135]
	s_delay_alu instid0(VALU_DEP_2) | instskip(NEXT) | instid1(VALU_DEP_2)
	v_add_f64_e32 v[4:5], v[6:7], v[4:5]
	v_add_f64_e32 v[6:7], v[8:9], v[132:133]
	s_delay_alu instid0(VALU_DEP_2) | instskip(NEXT) | instid1(VALU_DEP_2)
	v_add_f64_e64 v[4:5], v[168:169], -v[4:5]
	v_add_f64_e64 v[6:7], v[170:171], -v[6:7]
	scratch_store_b128 off, v[4:7], off offset:16
	s_wait_xcnt 0x0
	v_cmpx_ne_u32_e32 0, v1
	s_cbranch_execz .LBB56_355
; %bb.354:
	scratch_load_b128 v[6:9], off, off
	v_dual_mov_b32 v3, v2 :: v_dual_mov_b32 v4, v2
	v_mov_b32_e32 v5, v2
	scratch_store_b128 off, v[2:5], off
	s_wait_loadcnt 0x0
	ds_store_b128 v12, v[6:9]
.LBB56_355:
	s_wait_xcnt 0x0
	s_or_b32 exec_lo, exec_lo, s2
	s_wait_storecnt_dscnt 0x0
	s_barrier_signal -1
	s_barrier_wait -1
	s_clause 0x9
	scratch_load_b128 v[4:7], off, off offset:16
	scratch_load_b128 v[8:11], off, off offset:32
	;; [unrolled: 1-line block ×10, first 2 shown]
	ds_load_b128 v[160:163], v2 offset:928
	ds_load_b128 v[168:171], v2 offset:944
	s_clause 0x2
	scratch_load_b128 v[164:167], off, off offset:176
	scratch_load_b128 v[172:175], off, off
	scratch_load_b128 v[176:179], off, off offset:192
	s_and_b32 vcc_lo, exec_lo, s69
	s_wait_loadcnt_dscnt 0xc01
	v_mul_f64_e32 v[12:13], v[162:163], v[6:7]
	v_mul_f64_e32 v[180:181], v[160:161], v[6:7]
	s_wait_loadcnt_dscnt 0xb00
	v_mul_f64_e32 v[182:183], v[168:169], v[10:11]
	v_mul_f64_e32 v[184:185], v[170:171], v[10:11]
	s_delay_alu instid0(VALU_DEP_4) | instskip(NEXT) | instid1(VALU_DEP_4)
	v_fma_f64 v[186:187], v[160:161], v[4:5], -v[12:13]
	v_fmac_f64_e32 v[180:181], v[162:163], v[4:5]
	ds_load_b128 v[4:7], v2 offset:960
	ds_load_b128 v[10:13], v2 offset:976
	scratch_load_b128 v[160:163], off, off offset:208
	v_fmac_f64_e32 v[182:183], v[170:171], v[8:9]
	v_fma_f64 v[8:9], v[168:169], v[8:9], -v[184:185]
	scratch_load_b128 v[168:171], off, off offset:224
	s_wait_loadcnt_dscnt 0xc01
	v_mul_f64_e32 v[188:189], v[4:5], v[130:131]
	v_mul_f64_e32 v[130:131], v[6:7], v[130:131]
	v_add_f64_e32 v[184:185], 0, v[186:187]
	v_add_f64_e32 v[180:181], 0, v[180:181]
	s_wait_loadcnt_dscnt 0xb00
	v_mul_f64_e32 v[186:187], v[10:11], v[134:135]
	v_mul_f64_e32 v[134:135], v[12:13], v[134:135]
	v_fmac_f64_e32 v[188:189], v[6:7], v[128:129]
	v_fma_f64 v[190:191], v[4:5], v[128:129], -v[130:131]
	ds_load_b128 v[4:7], v2 offset:992
	ds_load_b128 v[128:131], v2 offset:1008
	v_add_f64_e32 v[8:9], v[184:185], v[8:9]
	v_add_f64_e32 v[184:185], v[180:181], v[182:183]
	scratch_load_b128 v[180:183], off, off offset:240
	v_fmac_f64_e32 v[186:187], v[12:13], v[132:133]
	v_fma_f64 v[12:13], v[10:11], v[132:133], -v[134:135]
	s_wait_loadcnt_dscnt 0xb01
	v_mul_f64_e32 v[192:193], v[4:5], v[138:139]
	v_mul_f64_e32 v[138:139], v[6:7], v[138:139]
	v_add_f64_e32 v[132:133], v[8:9], v[190:191]
	v_add_f64_e32 v[134:135], v[184:185], v[188:189]
	scratch_load_b128 v[8:11], off, off offset:256
	s_wait_loadcnt_dscnt 0xb00
	v_mul_f64_e32 v[184:185], v[128:129], v[142:143]
	v_mul_f64_e32 v[142:143], v[130:131], v[142:143]
	v_fmac_f64_e32 v[192:193], v[6:7], v[136:137]
	v_fma_f64 v[188:189], v[4:5], v[136:137], -v[138:139]
	v_add_f64_e32 v[12:13], v[132:133], v[12:13]
	v_add_f64_e32 v[186:187], v[134:135], v[186:187]
	ds_load_b128 v[4:7], v2 offset:1024
	ds_load_b128 v[132:135], v2 offset:1040
	scratch_load_b128 v[136:139], off, off offset:272
	v_fmac_f64_e32 v[184:185], v[130:131], v[140:141]
	v_fma_f64 v[140:141], v[128:129], v[140:141], -v[142:143]
	scratch_load_b128 v[128:131], off, off offset:288
	s_wait_loadcnt_dscnt 0xc01
	v_mul_f64_e32 v[190:191], v[4:5], v[146:147]
	v_mul_f64_e32 v[146:147], v[6:7], v[146:147]
	v_add_f64_e32 v[12:13], v[12:13], v[188:189]
	v_add_f64_e32 v[142:143], v[186:187], v[192:193]
	s_wait_loadcnt_dscnt 0xb00
	v_mul_f64_e32 v[186:187], v[132:133], v[150:151]
	v_mul_f64_e32 v[150:151], v[134:135], v[150:151]
	v_fmac_f64_e32 v[190:191], v[6:7], v[144:145]
	v_fma_f64 v[188:189], v[4:5], v[144:145], -v[146:147]
	v_add_f64_e32 v[12:13], v[12:13], v[140:141]
	v_add_f64_e32 v[184:185], v[142:143], v[184:185]
	ds_load_b128 v[4:7], v2 offset:1056
	ds_load_b128 v[140:143], v2 offset:1072
	scratch_load_b128 v[144:147], off, off offset:304
	v_fmac_f64_e32 v[186:187], v[134:135], v[148:149]
	v_fma_f64 v[148:149], v[132:133], v[148:149], -v[150:151]
	scratch_load_b128 v[132:135], off, off offset:320
	s_wait_loadcnt_dscnt 0xc01
	v_mul_f64_e32 v[192:193], v[4:5], v[154:155]
	v_mul_f64_e32 v[154:155], v[6:7], v[154:155]
	v_add_f64_e32 v[12:13], v[12:13], v[188:189]
	v_add_f64_e32 v[150:151], v[184:185], v[190:191]
	;; [unrolled: 18-line block ×4, first 2 shown]
	s_wait_loadcnt_dscnt 0xa00
	v_mul_f64_e32 v[184:185], v[156:157], v[170:171]
	v_mul_f64_e32 v[170:171], v[158:159], v[170:171]
	v_fmac_f64_e32 v[192:193], v[6:7], v[160:161]
	v_fma_f64 v[188:189], v[4:5], v[160:161], -v[162:163]
	ds_load_b128 v[4:7], v2 offset:1152
	ds_load_b128 v[160:163], v2 offset:1168
	v_add_f64_e32 v[12:13], v[12:13], v[176:177]
	v_add_f64_e32 v[186:187], v[178:179], v[186:187]
	scratch_load_b128 v[176:179], off, off offset:400
	v_fmac_f64_e32 v[184:185], v[158:159], v[168:169]
	v_fma_f64 v[168:169], v[156:157], v[168:169], -v[170:171]
	scratch_load_b128 v[156:159], off, off offset:416
	s_wait_loadcnt_dscnt 0xb01
	v_mul_f64_e32 v[190:191], v[4:5], v[182:183]
	v_mul_f64_e32 v[182:183], v[6:7], v[182:183]
	v_add_f64_e32 v[12:13], v[12:13], v[188:189]
	v_add_f64_e32 v[170:171], v[186:187], v[192:193]
	s_wait_loadcnt_dscnt 0xa00
	v_mul_f64_e32 v[186:187], v[160:161], v[10:11]
	v_mul_f64_e32 v[188:189], v[162:163], v[10:11]
	v_fmac_f64_e32 v[190:191], v[6:7], v[180:181]
	v_fma_f64 v[180:181], v[4:5], v[180:181], -v[182:183]
	v_add_f64_e32 v[182:183], v[12:13], v[168:169]
	v_add_f64_e32 v[184:185], v[170:171], v[184:185]
	ds_load_b128 v[4:7], v2 offset:1184
	ds_load_b128 v[10:13], v2 offset:1200
	scratch_load_b128 v[168:171], off, off offset:432
	v_fmac_f64_e32 v[186:187], v[162:163], v[8:9]
	v_fma_f64 v[8:9], v[160:161], v[8:9], -v[188:189]
	scratch_load_b128 v[160:163], off, off offset:448
	s_wait_loadcnt_dscnt 0xb01
	v_mul_f64_e32 v[192:193], v[4:5], v[138:139]
	v_mul_f64_e32 v[138:139], v[6:7], v[138:139]
	v_add_f64_e32 v[180:181], v[182:183], v[180:181]
	v_add_f64_e32 v[182:183], v[184:185], v[190:191]
	s_wait_loadcnt_dscnt 0xa00
	v_mul_f64_e32 v[184:185], v[10:11], v[130:131]
	v_mul_f64_e32 v[130:131], v[12:13], v[130:131]
	v_fmac_f64_e32 v[192:193], v[6:7], v[136:137]
	v_fma_f64 v[188:189], v[4:5], v[136:137], -v[138:139]
	ds_load_b128 v[4:7], v2 offset:1216
	ds_load_b128 v[136:139], v2 offset:1232
	v_add_f64_e32 v[8:9], v[180:181], v[8:9]
	v_add_f64_e32 v[186:187], v[182:183], v[186:187]
	scratch_load_b128 v[180:183], off, off offset:464
	v_fmac_f64_e32 v[184:185], v[12:13], v[128:129]
	v_fma_f64 v[12:13], v[10:11], v[128:129], -v[130:131]
	s_wait_loadcnt_dscnt 0xa01
	v_mul_f64_e32 v[190:191], v[4:5], v[146:147]
	v_mul_f64_e32 v[146:147], v[6:7], v[146:147]
	v_add_f64_e32 v[128:129], v[8:9], v[188:189]
	v_add_f64_e32 v[130:131], v[186:187], v[192:193]
	scratch_load_b128 v[8:11], off, off offset:480
	s_wait_loadcnt_dscnt 0xa00
	v_mul_f64_e32 v[186:187], v[136:137], v[134:135]
	v_mul_f64_e32 v[134:135], v[138:139], v[134:135]
	v_fmac_f64_e32 v[190:191], v[6:7], v[144:145]
	v_fma_f64 v[188:189], v[4:5], v[144:145], -v[146:147]
	v_add_f64_e32 v[12:13], v[128:129], v[12:13]
	v_add_f64_e32 v[184:185], v[130:131], v[184:185]
	ds_load_b128 v[4:7], v2 offset:1248
	ds_load_b128 v[128:131], v2 offset:1264
	scratch_load_b128 v[144:147], off, off offset:496
	v_fmac_f64_e32 v[186:187], v[138:139], v[132:133]
	v_fma_f64 v[136:137], v[136:137], v[132:133], -v[134:135]
	scratch_load_b128 v[132:135], off, off offset:512
	s_wait_loadcnt_dscnt 0xb01
	v_mul_f64_e32 v[192:193], v[4:5], v[154:155]
	v_mul_f64_e32 v[154:155], v[6:7], v[154:155]
	v_add_f64_e32 v[12:13], v[12:13], v[188:189]
	v_add_f64_e32 v[138:139], v[184:185], v[190:191]
	s_wait_loadcnt_dscnt 0xa00
	v_mul_f64_e32 v[184:185], v[128:129], v[142:143]
	v_mul_f64_e32 v[142:143], v[130:131], v[142:143]
	v_fmac_f64_e32 v[192:193], v[6:7], v[152:153]
	v_fma_f64 v[188:189], v[4:5], v[152:153], -v[154:155]
	v_add_f64_e32 v[12:13], v[12:13], v[136:137]
	v_add_f64_e32 v[186:187], v[138:139], v[186:187]
	ds_load_b128 v[4:7], v2 offset:1280
	ds_load_b128 v[136:139], v2 offset:1296
	scratch_load_b128 v[152:155], off, off offset:528
	v_fmac_f64_e32 v[184:185], v[130:131], v[140:141]
	v_fma_f64 v[140:141], v[128:129], v[140:141], -v[142:143]
	scratch_load_b128 v[128:131], off, off offset:544
	s_wait_loadcnt_dscnt 0xb01
	v_mul_f64_e32 v[190:191], v[4:5], v[166:167]
	v_mul_f64_e32 v[166:167], v[6:7], v[166:167]
	v_add_f64_e32 v[12:13], v[12:13], v[188:189]
	v_add_f64_e32 v[142:143], v[186:187], v[192:193]
	;; [unrolled: 18-line block ×6, first 2 shown]
	s_wait_loadcnt_dscnt 0xa00
	v_mul_f64_e32 v[186:187], v[10:11], v[134:135]
	v_mul_f64_e32 v[134:135], v[12:13], v[134:135]
	v_fmac_f64_e32 v[190:191], v[6:7], v[144:145]
	v_fma_f64 v[188:189], v[4:5], v[144:145], -v[146:147]
	ds_load_b128 v[4:7], v2 offset:1440
	ds_load_b128 v[144:147], v2 offset:1456
	v_add_f64_e32 v[8:9], v[180:181], v[8:9]
	v_add_f64_e32 v[184:185], v[182:183], v[184:185]
	scratch_load_b128 v[180:183], off, off offset:688
	v_fmac_f64_e32 v[186:187], v[12:13], v[132:133]
	v_fma_f64 v[12:13], v[10:11], v[132:133], -v[134:135]
	s_wait_loadcnt_dscnt 0xa01
	v_mul_f64_e32 v[192:193], v[4:5], v[154:155]
	v_mul_f64_e32 v[154:155], v[6:7], v[154:155]
	v_add_f64_e32 v[132:133], v[8:9], v[188:189]
	v_add_f64_e32 v[134:135], v[184:185], v[190:191]
	scratch_load_b128 v[8:11], off, off offset:704
	s_wait_loadcnt_dscnt 0xa00
	v_mul_f64_e32 v[184:185], v[144:145], v[130:131]
	v_mul_f64_e32 v[188:189], v[146:147], v[130:131]
	v_fmac_f64_e32 v[192:193], v[6:7], v[152:153]
	v_fma_f64 v[190:191], v[4:5], v[152:153], -v[154:155]
	v_add_f64_e32 v[12:13], v[132:133], v[12:13]
	v_add_f64_e32 v[134:135], v[134:135], v[186:187]
	ds_load_b128 v[4:7], v2 offset:1472
	ds_load_b128 v[130:133], v2 offset:1488
	scratch_load_b128 v[152:155], off, off offset:720
	v_fmac_f64_e32 v[184:185], v[146:147], v[128:129]
	v_fma_f64 v[128:129], v[144:145], v[128:129], -v[188:189]
	scratch_load_b128 v[144:147], off, off offset:736
	s_wait_loadcnt_dscnt 0xb01
	v_mul_f64_e32 v[194:195], v[4:5], v[166:167]
	v_mul_f64_e32 v[166:167], v[6:7], v[166:167]
	s_wait_loadcnt_dscnt 0xa00
	v_mul_f64_e32 v[188:189], v[130:131], v[138:139]
	v_mul_f64_e32 v[138:139], v[132:133], v[138:139]
	v_add_f64_e32 v[12:13], v[12:13], v[190:191]
	v_add_f64_e32 v[134:135], v[134:135], v[192:193]
	v_fmac_f64_e32 v[194:195], v[6:7], v[164:165]
	v_fma_f64 v[190:191], v[4:5], v[164:165], -v[166:167]
	ds_load_b128 v[4:7], v2 offset:1504
	ds_load_b128 v[164:167], v2 offset:1520
	v_fmac_f64_e32 v[188:189], v[132:133], v[136:137]
	v_fma_f64 v[132:133], v[130:131], v[136:137], -v[138:139]
	v_add_f64_e32 v[12:13], v[12:13], v[128:129]
	v_add_f64_e32 v[128:129], v[134:135], v[184:185]
	scratch_load_b128 v[184:187], off, off offset:752
	s_wait_loadcnt_dscnt 0xa01
	v_mul_f64_e32 v[192:193], v[4:5], v[178:179]
	v_mul_f64_e32 v[134:135], v[6:7], v[178:179]
	s_wait_loadcnt_dscnt 0x900
	v_mul_f64_e32 v[178:179], v[164:165], v[142:143]
	v_mul_f64_e32 v[142:143], v[166:167], v[142:143]
	v_add_f64_e32 v[12:13], v[12:13], v[190:191]
	v_add_f64_e32 v[136:137], v[128:129], v[194:195]
	scratch_load_b128 v[128:131], off, off offset:768
	v_fmac_f64_e32 v[192:193], v[6:7], v[176:177]
	v_fma_f64 v[176:177], v[4:5], v[176:177], -v[134:135]
	v_fmac_f64_e32 v[178:179], v[166:167], v[140:141]
	v_fma_f64 v[164:165], v[164:165], v[140:141], -v[142:143]
	v_add_f64_e32 v[12:13], v[12:13], v[132:133]
	v_add_f64_e32 v[188:189], v[136:137], v[188:189]
	ds_load_b128 v[4:7], v2 offset:1536
	ds_load_b128 v[132:135], v2 offset:1552
	s_clause 0x1
	scratch_load_b128 v[136:139], off, off offset:784
	scratch_load_b128 v[140:143], off, off offset:800
	s_wait_loadcnt_dscnt 0xb01
	v_mul_f64_e32 v[190:191], v[4:5], v[170:171]
	v_mul_f64_e32 v[170:171], v[6:7], v[170:171]
	v_add_f64_e32 v[12:13], v[12:13], v[176:177]
	v_add_f64_e32 v[166:167], v[188:189], v[192:193]
	s_wait_loadcnt_dscnt 0xa00
	v_mul_f64_e32 v[176:177], v[132:133], v[150:151]
	v_mul_f64_e32 v[150:151], v[134:135], v[150:151]
	v_fmac_f64_e32 v[190:191], v[6:7], v[168:169]
	v_fma_f64 v[188:189], v[4:5], v[168:169], -v[170:171]
	v_add_f64_e32 v[12:13], v[12:13], v[164:165]
	v_add_f64_e32 v[178:179], v[166:167], v[178:179]
	ds_load_b128 v[4:7], v2 offset:1568
	ds_load_b128 v[164:167], v2 offset:1584
	scratch_load_b128 v[168:171], off, off offset:816
	v_fmac_f64_e32 v[176:177], v[134:135], v[148:149]
	v_fma_f64 v[148:149], v[132:133], v[148:149], -v[150:151]
	scratch_load_b128 v[132:135], off, off offset:832
	s_wait_loadcnt_dscnt 0xb01
	v_mul_f64_e32 v[192:193], v[4:5], v[162:163]
	v_mul_f64_e32 v[162:163], v[6:7], v[162:163]
	v_add_f64_e32 v[12:13], v[12:13], v[188:189]
	v_add_f64_e32 v[150:151], v[178:179], v[190:191]
	s_wait_loadcnt_dscnt 0xa00
	v_mul_f64_e32 v[178:179], v[164:165], v[158:159]
	v_mul_f64_e32 v[188:189], v[166:167], v[158:159]
	v_fmac_f64_e32 v[192:193], v[6:7], v[160:161]
	v_fma_f64 v[162:163], v[4:5], v[160:161], -v[162:163]
	v_add_f64_e32 v[12:13], v[12:13], v[148:149]
	v_add_f64_e32 v[176:177], v[150:151], v[176:177]
	ds_load_b128 v[4:7], v2 offset:1600
	ds_load_b128 v[148:151], v2 offset:1616
	scratch_load_b128 v[158:161], off, off offset:848
	v_fmac_f64_e32 v[178:179], v[166:167], v[156:157]
	v_fma_f64 v[156:157], v[164:165], v[156:157], -v[188:189]
	s_wait_loadcnt_dscnt 0xa01
	v_mul_f64_e32 v[190:191], v[4:5], v[182:183]
	v_mul_f64_e32 v[182:183], v[6:7], v[182:183]
	v_add_f64_e32 v[12:13], v[12:13], v[162:163]
	v_add_f64_e32 v[166:167], v[176:177], v[192:193]
	scratch_load_b128 v[162:165], off, off offset:864
	s_wait_loadcnt_dscnt 0xa00
	v_mul_f64_e32 v[188:189], v[148:149], v[10:11]
	v_mul_f64_e32 v[192:193], v[150:151], v[10:11]
	v_fmac_f64_e32 v[190:191], v[6:7], v[180:181]
	v_fma_f64 v[180:181], v[4:5], v[180:181], -v[182:183]
	v_add_f64_e32 v[156:157], v[12:13], v[156:157]
	v_add_f64_e32 v[166:167], v[166:167], v[178:179]
	ds_load_b128 v[4:7], v2 offset:1632
	ds_load_b128 v[10:13], v2 offset:1648
	scratch_load_b128 v[176:179], off, off offset:880
	v_fmac_f64_e32 v[188:189], v[150:151], v[8:9]
	v_fma_f64 v[8:9], v[148:149], v[8:9], -v[192:193]
	scratch_load_b128 v[148:151], off, off offset:896
	s_wait_loadcnt_dscnt 0xb01
	v_mul_f64_e32 v[182:183], v[4:5], v[154:155]
	v_mul_f64_e32 v[154:155], v[6:7], v[154:155]
	v_add_f64_e32 v[156:157], v[156:157], v[180:181]
	v_add_f64_e32 v[166:167], v[166:167], v[190:191]
	s_wait_loadcnt_dscnt 0xa00
	v_mul_f64_e32 v[180:181], v[10:11], v[146:147]
	v_mul_f64_e32 v[146:147], v[12:13], v[146:147]
	v_fmac_f64_e32 v[182:183], v[6:7], v[152:153]
	v_fma_f64 v[190:191], v[4:5], v[152:153], -v[154:155]
	ds_load_b128 v[4:7], v2 offset:1664
	ds_load_b128 v[152:155], v2 offset:1680
	v_add_f64_e32 v[8:9], v[156:157], v[8:9]
	v_add_f64_e32 v[156:157], v[166:167], v[188:189]
	v_fmac_f64_e32 v[180:181], v[12:13], v[144:145]
	v_fma_f64 v[10:11], v[10:11], v[144:145], -v[146:147]
	s_wait_loadcnt_dscnt 0x901
	v_mul_f64_e32 v[166:167], v[4:5], v[186:187]
	v_mul_f64_e32 v[186:187], v[6:7], v[186:187]
	v_add_f64_e32 v[8:9], v[8:9], v[190:191]
	v_add_f64_e32 v[12:13], v[156:157], v[182:183]
	s_wait_loadcnt_dscnt 0x800
	v_mul_f64_e32 v[144:145], v[152:153], v[130:131]
	v_mul_f64_e32 v[130:131], v[154:155], v[130:131]
	v_fmac_f64_e32 v[166:167], v[6:7], v[184:185]
	v_fma_f64 v[146:147], v[4:5], v[184:185], -v[186:187]
	v_add_f64_e32 v[156:157], v[8:9], v[10:11]
	v_add_f64_e32 v[12:13], v[12:13], v[180:181]
	ds_load_b128 v[4:7], v2 offset:1696
	ds_load_b128 v[8:11], v2 offset:1712
	v_fmac_f64_e32 v[144:145], v[154:155], v[128:129]
	v_fma_f64 v[128:129], v[152:153], v[128:129], -v[130:131]
	s_wait_loadcnt_dscnt 0x701
	v_mul_f64_e32 v[180:181], v[4:5], v[138:139]
	v_mul_f64_e32 v[138:139], v[6:7], v[138:139]
	v_add_f64_e32 v[130:131], v[156:157], v[146:147]
	v_add_f64_e32 v[12:13], v[12:13], v[166:167]
	s_wait_loadcnt_dscnt 0x600
	v_mul_f64_e32 v[146:147], v[8:9], v[142:143]
	v_mul_f64_e32 v[142:143], v[10:11], v[142:143]
	v_fmac_f64_e32 v[180:181], v[6:7], v[136:137]
	v_fma_f64 v[136:137], v[4:5], v[136:137], -v[138:139]
	v_add_f64_e32 v[138:139], v[130:131], v[128:129]
	v_add_f64_e32 v[12:13], v[12:13], v[144:145]
	ds_load_b128 v[4:7], v2 offset:1728
	ds_load_b128 v[128:131], v2 offset:1744
	;; [unrolled: 16-line block ×3, first 2 shown]
	v_fmac_f64_e32 v[136:137], v[130:131], v[132:133]
	v_fma_f64 v[128:129], v[128:129], v[132:133], -v[134:135]
	s_wait_loadcnt_dscnt 0x301
	v_mul_f64_e32 v[142:143], v[4:5], v[160:161]
	v_mul_f64_e32 v[146:147], v[6:7], v[160:161]
	v_add_f64_e32 v[130:131], v[140:141], v[138:139]
	v_add_f64_e32 v[12:13], v[12:13], v[144:145]
	s_wait_loadcnt_dscnt 0x200
	v_mul_f64_e32 v[132:133], v[8:9], v[164:165]
	v_mul_f64_e32 v[134:135], v[10:11], v[164:165]
	v_lshl_add_u64 v[144:145], v[24:25], 4, s[4:5]
	v_lshl_add_u64 v[24:25], v[62:63], 4, s[4:5]
	;; [unrolled: 1-line block ×3, first 2 shown]
	v_fmac_f64_e32 v[142:143], v[6:7], v[158:159]
	v_fma_f64 v[138:139], v[4:5], v[158:159], -v[146:147]
	v_lshl_add_u64 v[146:147], v[20:21], 4, s[4:5]
	v_lshl_add_u64 v[20:21], v[58:59], 4, s[4:5]
	;; [unrolled: 1-line block ×3, first 2 shown]
	v_add_f64_e32 v[140:141], v[130:131], v[128:129]
	v_add_f64_e32 v[12:13], v[12:13], v[136:137]
	ds_load_b128 v[4:7], v2 offset:1792
	ds_load_b128 v[128:131], v2 offset:1808
	v_fmac_f64_e32 v[132:133], v[10:11], v[162:163]
	v_fma_f64 v[8:9], v[8:9], v[162:163], -v[134:135]
	s_wait_loadcnt_dscnt 0x101
	v_mul_f64_e32 v[2:3], v[4:5], v[178:179]
	v_mul_f64_e32 v[136:137], v[6:7], v[178:179]
	s_wait_loadcnt_dscnt 0x0
	v_mul_f64_e32 v[134:135], v[128:129], v[150:151]
	v_add_f64_e32 v[10:11], v[140:141], v[138:139]
	v_add_f64_e32 v[12:13], v[12:13], v[142:143]
	v_mul_f64_e32 v[138:139], v[130:131], v[150:151]
	v_lshl_add_u64 v[150:151], v[18:19], 4, s[4:5]
	v_lshl_add_u64 v[142:143], v[26:27], 4, s[4:5]
	;; [unrolled: 1-line block ×10, first 2 shown]
	v_fmac_f64_e32 v[2:3], v[6:7], v[176:177]
	v_fma_f64 v[4:5], v[4:5], v[176:177], -v[136:137]
	v_fmac_f64_e32 v[134:135], v[130:131], v[148:149]
	v_lshl_add_u64 v[136:137], v[32:33], 4, s[4:5]
	v_lshl_add_u64 v[130:131], v[36:37], 4, s[4:5]
	;; [unrolled: 1-line block ×6, first 2 shown]
	v_add_f64_e32 v[6:7], v[10:11], v[8:9]
	v_add_f64_e32 v[8:9], v[12:13], v[132:133]
	v_fma_f64 v[10:11], v[128:129], v[148:149], -v[138:139]
	v_lshl_add_u64 v[148:149], v[22:23], 4, s[4:5]
	v_lshl_add_u64 v[138:139], v[28:29], 4, s[4:5]
	;; [unrolled: 1-line block ×15, first 2 shown]
	v_add_f64_e32 v[4:5], v[6:7], v[4:5]
	v_add_f64_e32 v[2:3], v[8:9], v[2:3]
	v_lshl_add_u64 v[6:7], v[48:49], 4, s[4:5]
	v_lshl_add_u64 v[8:9], v[50:51], 4, s[4:5]
	;; [unrolled: 1-line block ×6, first 2 shown]
	v_add_f64_e32 v[152:153], v[4:5], v[10:11]
	v_add_f64_e32 v[154:155], v[2:3], v[134:135]
	v_lshl_add_u64 v[134:135], v[34:35], 4, s[4:5]
	v_lshl_add_u64 v[2:3], v[44:45], 4, s[4:5]
	;; [unrolled: 1-line block ×12, first 2 shown]
	v_add_f64_e64 v[152:153], v[172:173], -v[152:153]
	v_add_f64_e64 v[154:155], v[174:175], -v[154:155]
	scratch_store_b128 off, v[152:155], off
	s_cbranch_vccz .LBB56_468
; %bb.356:
	v_mov_b32_e32 v92, 0
	s_load_b64 s[2:3], s[0:1], 0x4
	v_bfe_u32 v94, v0, 10, 10
	v_bfe_u32 v0, v0, 20, 10
	global_load_b32 v93, v92, s[16:17] offset:220
	s_wait_kmcnt 0x0
	s_lshr_b32 s0, s2, 16
	v_mul_u32_u24_e32 v94, s3, v94
	s_mul_i32 s0, s0, s3
	s_delay_alu instid0(SALU_CYCLE_1) | instskip(NEXT) | instid1(VALU_DEP_1)
	v_mul_u32_u24_e32 v1, s0, v1
	v_add3_u32 v0, v1, v94, v0
	s_delay_alu instid0(VALU_DEP_1)
	v_lshl_add_u32 v0, v0, 4, 0x728
	s_wait_loadcnt 0x0
	v_cmp_ne_u32_e32 vcc_lo, 56, v93
	s_cbranch_vccz .LBB56_358
; %bb.357:
	v_lshlrev_b32_e32 v1, 4, v93
	s_clause 0x1
	scratch_load_b128 v[94:97], off, s23
	scratch_load_b128 v[98:101], v1, off offset:-16
	s_wait_loadcnt 0x1
	ds_store_2addr_b64 v0, v[94:95], v[96:97] offset1:1
	s_wait_loadcnt 0x0
	s_clause 0x1
	scratch_store_b128 off, v[98:101], s23
	scratch_store_b128 v1, v[94:97], off offset:-16
.LBB56_358:
	global_load_b32 v1, v92, s[16:17] offset:216
	s_wait_loadcnt 0x0
	v_cmp_eq_u32_e32 vcc_lo, 55, v1
	s_cbranch_vccnz .LBB56_360
; %bb.359:
	v_lshlrev_b32_e32 v1, 4, v1
	s_clause 0x1
	scratch_load_b128 v[92:95], off, s29
	scratch_load_b128 v[96:99], v1, off offset:-16
	s_wait_loadcnt 0x1
	ds_store_2addr_b64 v0, v[92:93], v[94:95] offset1:1
	s_wait_loadcnt 0x0
	s_clause 0x1
	scratch_store_b128 off, v[96:99], s29
	scratch_store_b128 v1, v[92:95], off offset:-16
.LBB56_360:
	s_wait_xcnt 0x0
	v_mov_b32_e32 v1, 0
	global_load_b32 v92, v1, s[16:17] offset:212
	s_wait_loadcnt 0x0
	v_cmp_eq_u32_e32 vcc_lo, 54, v92
	s_cbranch_vccnz .LBB56_362
; %bb.361:
	v_lshlrev_b32_e32 v92, 4, v92
	s_delay_alu instid0(VALU_DEP_1)
	v_mov_b32_e32 v100, v92
	s_clause 0x1
	scratch_load_b128 v[92:95], off, s8
	scratch_load_b128 v[96:99], v100, off offset:-16
	s_wait_loadcnt 0x1
	ds_store_2addr_b64 v0, v[92:93], v[94:95] offset1:1
	s_wait_loadcnt 0x0
	s_clause 0x1
	scratch_store_b128 off, v[96:99], s8
	scratch_store_b128 v100, v[92:95], off offset:-16
.LBB56_362:
	global_load_b32 v1, v1, s[16:17] offset:208
	s_wait_loadcnt 0x0
	v_cmp_eq_u32_e32 vcc_lo, 53, v1
	s_cbranch_vccnz .LBB56_364
; %bb.363:
	s_wait_xcnt 0x0
	v_lshlrev_b32_e32 v1, 4, v1
	s_clause 0x1
	scratch_load_b128 v[92:95], off, s10
	scratch_load_b128 v[96:99], v1, off offset:-16
	s_wait_loadcnt 0x1
	ds_store_2addr_b64 v0, v[92:93], v[94:95] offset1:1
	s_wait_loadcnt 0x0
	s_clause 0x1
	scratch_store_b128 off, v[96:99], s10
	scratch_store_b128 v1, v[92:95], off offset:-16
.LBB56_364:
	s_wait_xcnt 0x0
	v_mov_b32_e32 v1, 0
	global_load_b32 v92, v1, s[16:17] offset:204
	s_wait_loadcnt 0x0
	v_cmp_eq_u32_e32 vcc_lo, 52, v92
	s_cbranch_vccnz .LBB56_366
; %bb.365:
	v_lshlrev_b32_e32 v92, 4, v92
	s_delay_alu instid0(VALU_DEP_1)
	v_mov_b32_e32 v100, v92
	s_clause 0x1
	scratch_load_b128 v[92:95], off, s9
	scratch_load_b128 v[96:99], v100, off offset:-16
	s_wait_loadcnt 0x1
	ds_store_2addr_b64 v0, v[92:93], v[94:95] offset1:1
	s_wait_loadcnt 0x0
	s_clause 0x1
	scratch_store_b128 off, v[96:99], s9
	scratch_store_b128 v100, v[92:95], off offset:-16
.LBB56_366:
	global_load_b32 v1, v1, s[16:17] offset:200
	s_wait_loadcnt 0x0
	v_cmp_eq_u32_e32 vcc_lo, 51, v1
	s_cbranch_vccnz .LBB56_368
; %bb.367:
	s_wait_xcnt 0x0
	v_lshlrev_b32_e32 v1, 4, v1
	s_clause 0x1
	scratch_load_b128 v[92:95], off, s12
	scratch_load_b128 v[96:99], v1, off offset:-16
	s_wait_loadcnt 0x1
	ds_store_2addr_b64 v0, v[92:93], v[94:95] offset1:1
	s_wait_loadcnt 0x0
	s_clause 0x1
	scratch_store_b128 off, v[96:99], s12
	scratch_store_b128 v1, v[92:95], off offset:-16
.LBB56_368:
	;; [unrolled: 37-line block ×26, first 2 shown]
	s_wait_xcnt 0x0
	v_mov_b32_e32 v1, 0
	global_load_b32 v92, v1, s[16:17] offset:4
	s_wait_loadcnt 0x0
	v_cmp_eq_u32_e32 vcc_lo, 2, v92
	s_cbranch_vccnz .LBB56_466
; %bb.465:
	v_lshlrev_b32_e32 v92, 4, v92
	s_delay_alu instid0(VALU_DEP_1)
	v_mov_b32_e32 v100, v92
	s_clause 0x1
	scratch_load_b128 v[92:95], off, s52
	scratch_load_b128 v[96:99], v100, off offset:-16
	s_wait_loadcnt 0x1
	ds_store_2addr_b64 v0, v[92:93], v[94:95] offset1:1
	s_wait_loadcnt 0x0
	s_clause 0x1
	scratch_store_b128 off, v[96:99], s52
	scratch_store_b128 v100, v[92:95], off offset:-16
.LBB56_466:
	global_load_b32 v1, v1, s[16:17]
	s_wait_loadcnt 0x0
	v_cmp_eq_u32_e32 vcc_lo, 1, v1
	s_cbranch_vccnz .LBB56_468
; %bb.467:
	s_wait_xcnt 0x0
	v_lshlrev_b32_e32 v1, 4, v1
	scratch_load_b128 v[92:95], off, off
	scratch_load_b128 v[96:99], v1, off offset:-16
	s_wait_loadcnt 0x1
	ds_store_2addr_b64 v0, v[92:93], v[94:95] offset1:1
	s_wait_loadcnt 0x0
	scratch_store_b128 off, v[96:99], off
	scratch_store_b128 v1, v[92:95], off offset:-16
.LBB56_468:
	scratch_load_b128 v[92:95], off, off
	s_clause 0x1f
	scratch_load_b128 v[96:99], off, s52
	scratch_load_b128 v[100:103], off, s51
	;; [unrolled: 1-line block ×20, first 2 shown]
	; meta instruction
	; meta instruction
	;; [unrolled: 1-line block ×15, first 2 shown]
	scratch_load_b128 v[200:203], off, s35
	scratch_load_b128 v[204:207], off, s38
	;; [unrolled: 1-line block ×12, first 2 shown]
	s_wait_loadcnt 0x20
	global_store_b128 v[14:15], v[92:95], off
	s_clause 0x1
	scratch_load_b128 v[92:95], off, s36
	scratch_load_b128 v[248:251], off, s37
	s_wait_loadcnt 0x21
	global_store_b128 v[16:17], v[96:99], off
	s_clause 0x1
	scratch_load_b128 v[14:17], off, s33
	scratch_load_b128 v[96:99], off, s34
	s_wait_loadcnt 0x22
	global_store_b128 v[150:151], v[100:103], off
	s_clause 0x1
	scratch_load_b128 v[100:103], off, s30
	scratch_load_b128 v[252:255], off, s31
	s_wait_loadcnt 0x23
	global_store_b128 v[146:147], v[104:107], off
	s_wait_loadcnt 0x22
	global_store_b128 v[148:149], v[108:111], off
	s_clause 0x1
	scratch_load_b128 v[104:107], off, s27
	scratch_load_b128 v[108:111], off, s28
	s_wait_loadcnt 0x23
	global_store_b128 v[144:145], v[112:115], off
	s_clause 0x1
	scratch_load_b128 v[112:115], off, s24
	scratch_load_b128 v[144:147], off, s26
	s_wait_loadcnt 0x24
	global_store_b128 v[142:143], v[116:119], off
	s_clause 0x1
	scratch_load_b128 v[116:119], off, s21
	scratch_load_b128 v[148:151], off, s22
	s_wait_loadcnt 0x25
	global_store_b128 v[138:139], v[120:123], off
	;; [unrolled: 17-line block ×3, first 2 shown]
	s_wait_loadcnt 0x26
	global_store_b128 v[132:133], v[164:167], off
	s_clause 0x1
	scratch_load_b128 v[130:133], off, s9
	scratch_load_b128 v[160:163], off, s10
	s_wait_loadcnt 0x27
	global_store_b128 v[128:129], v[168:171], off
	s_clause 0x1
	scratch_load_b128 v[164:167], off, s8
	scratch_load_b128 v[168:171], off, s29
	s_wait_loadcnt 0x28
	global_store_b128 v[30:31], v[172:175], off
	s_clause 0x2
	scratch_load_b128 v[172:175], off, s23
	s_set_vgpr_msb 64                       ;  msbs: dst=1 src0=0 src1=0 src2=0
	scratch_load_b128 v[0:3] /*v[256:259]*/, off, s25
	s_wait_loadcnt 0x29
	global_store_b128 v[2:3], v[176:179], off
	s_wait_loadcnt 0x28
	global_store_b128 v[4:5], v[180:183], off
	;; [unrolled: 2-line block ×41, first 2 shown]
	s_wait_loadcnt 0x0
	s_set_vgpr_msb 4                        ;  msbs: dst=0 src0=0 src1=1 src2=0
	global_store_b128 v[90:91], v[0:3] /*v[256:259]*/, off
	s_sendmsg sendmsg(MSG_DEALLOC_VGPRS)
	s_endpgm
	.section	.rodata,"a",@progbits
	.p2align	6, 0x0
	.amdhsa_kernel _ZN9rocsolver6v33100L18getri_kernel_smallILi57E19rocblas_complex_numIdEPS3_EEvT1_iilPiilS6_bb
		.amdhsa_group_segment_fixed_size 2856
		.amdhsa_private_segment_fixed_size 928
		.amdhsa_kernarg_size 60
		.amdhsa_user_sgpr_count 4
		.amdhsa_user_sgpr_dispatch_ptr 1
		.amdhsa_user_sgpr_queue_ptr 0
		.amdhsa_user_sgpr_kernarg_segment_ptr 1
		.amdhsa_user_sgpr_dispatch_id 0
		.amdhsa_user_sgpr_kernarg_preload_length 0
		.amdhsa_user_sgpr_kernarg_preload_offset 0
		.amdhsa_user_sgpr_private_segment_size 0
		.amdhsa_wavefront_size32 1
		.amdhsa_uses_dynamic_stack 0
		.amdhsa_enable_private_segment 1
		.amdhsa_system_sgpr_workgroup_id_x 1
		.amdhsa_system_sgpr_workgroup_id_y 0
		.amdhsa_system_sgpr_workgroup_id_z 0
		.amdhsa_system_sgpr_workgroup_info 0
		.amdhsa_system_vgpr_workitem_id 2
		.amdhsa_next_free_vgpr 262
		.amdhsa_next_free_sgpr 95
		.amdhsa_named_barrier_count 0
		.amdhsa_reserve_vcc 1
		.amdhsa_float_round_mode_32 0
		.amdhsa_float_round_mode_16_64 0
		.amdhsa_float_denorm_mode_32 3
		.amdhsa_float_denorm_mode_16_64 3
		.amdhsa_fp16_overflow 0
		.amdhsa_memory_ordered 1
		.amdhsa_forward_progress 1
		.amdhsa_inst_pref_size 255
		.amdhsa_round_robin_scheduling 0
		.amdhsa_exception_fp_ieee_invalid_op 0
		.amdhsa_exception_fp_denorm_src 0
		.amdhsa_exception_fp_ieee_div_zero 0
		.amdhsa_exception_fp_ieee_overflow 0
		.amdhsa_exception_fp_ieee_underflow 0
		.amdhsa_exception_fp_ieee_inexact 0
		.amdhsa_exception_int_div_zero 0
	.end_amdhsa_kernel
	.section	.text._ZN9rocsolver6v33100L18getri_kernel_smallILi57E19rocblas_complex_numIdEPS3_EEvT1_iilPiilS6_bb,"axG",@progbits,_ZN9rocsolver6v33100L18getri_kernel_smallILi57E19rocblas_complex_numIdEPS3_EEvT1_iilPiilS6_bb,comdat
.Lfunc_end56:
	.size	_ZN9rocsolver6v33100L18getri_kernel_smallILi57E19rocblas_complex_numIdEPS3_EEvT1_iilPiilS6_bb, .Lfunc_end56-_ZN9rocsolver6v33100L18getri_kernel_smallILi57E19rocblas_complex_numIdEPS3_EEvT1_iilPiilS6_bb
                                        ; -- End function
	.set _ZN9rocsolver6v33100L18getri_kernel_smallILi57E19rocblas_complex_numIdEPS3_EEvT1_iilPiilS6_bb.num_vgpr, 262
	.set _ZN9rocsolver6v33100L18getri_kernel_smallILi57E19rocblas_complex_numIdEPS3_EEvT1_iilPiilS6_bb.num_agpr, 0
	.set _ZN9rocsolver6v33100L18getri_kernel_smallILi57E19rocblas_complex_numIdEPS3_EEvT1_iilPiilS6_bb.numbered_sgpr, 95
	.set _ZN9rocsolver6v33100L18getri_kernel_smallILi57E19rocblas_complex_numIdEPS3_EEvT1_iilPiilS6_bb.num_named_barrier, 0
	.set _ZN9rocsolver6v33100L18getri_kernel_smallILi57E19rocblas_complex_numIdEPS3_EEvT1_iilPiilS6_bb.private_seg_size, 928
	.set _ZN9rocsolver6v33100L18getri_kernel_smallILi57E19rocblas_complex_numIdEPS3_EEvT1_iilPiilS6_bb.uses_vcc, 1
	.set _ZN9rocsolver6v33100L18getri_kernel_smallILi57E19rocblas_complex_numIdEPS3_EEvT1_iilPiilS6_bb.uses_flat_scratch, 1
	.set _ZN9rocsolver6v33100L18getri_kernel_smallILi57E19rocblas_complex_numIdEPS3_EEvT1_iilPiilS6_bb.has_dyn_sized_stack, 0
	.set _ZN9rocsolver6v33100L18getri_kernel_smallILi57E19rocblas_complex_numIdEPS3_EEvT1_iilPiilS6_bb.has_recursion, 0
	.set _ZN9rocsolver6v33100L18getri_kernel_smallILi57E19rocblas_complex_numIdEPS3_EEvT1_iilPiilS6_bb.has_indirect_call, 0
	.section	.AMDGPU.csdata,"",@progbits
; Kernel info:
; codeLenInByte = 118460
; TotalNumSgprs: 97
; NumVgprs: 262
; ScratchSize: 928
; MemoryBound: 0
; FloatMode: 240
; IeeeMode: 1
; LDSByteSize: 2856 bytes/workgroup (compile time only)
; SGPRBlocks: 0
; VGPRBlocks: 16
; NumSGPRsForWavesPerEU: 97
; NumVGPRsForWavesPerEU: 262
; NamedBarCnt: 0
; Occupancy: 3
; WaveLimiterHint : 1
; COMPUTE_PGM_RSRC2:SCRATCH_EN: 1
; COMPUTE_PGM_RSRC2:USER_SGPR: 4
; COMPUTE_PGM_RSRC2:TRAP_HANDLER: 0
; COMPUTE_PGM_RSRC2:TGID_X_EN: 1
; COMPUTE_PGM_RSRC2:TGID_Y_EN: 0
; COMPUTE_PGM_RSRC2:TGID_Z_EN: 0
; COMPUTE_PGM_RSRC2:TIDIG_COMP_CNT: 2
	.section	.text._ZN9rocsolver6v33100L18getri_kernel_smallILi58E19rocblas_complex_numIdEPS3_EEvT1_iilPiilS6_bb,"axG",@progbits,_ZN9rocsolver6v33100L18getri_kernel_smallILi58E19rocblas_complex_numIdEPS3_EEvT1_iilPiilS6_bb,comdat
	.globl	_ZN9rocsolver6v33100L18getri_kernel_smallILi58E19rocblas_complex_numIdEPS3_EEvT1_iilPiilS6_bb ; -- Begin function _ZN9rocsolver6v33100L18getri_kernel_smallILi58E19rocblas_complex_numIdEPS3_EEvT1_iilPiilS6_bb
	.p2align	8
	.type	_ZN9rocsolver6v33100L18getri_kernel_smallILi58E19rocblas_complex_numIdEPS3_EEvT1_iilPiilS6_bb,@function
_ZN9rocsolver6v33100L18getri_kernel_smallILi58E19rocblas_complex_numIdEPS3_EEvT1_iilPiilS6_bb: ; @_ZN9rocsolver6v33100L18getri_kernel_smallILi58E19rocblas_complex_numIdEPS3_EEvT1_iilPiilS6_bb
; %bb.0:
	v_and_b32_e32 v1, 0x3ff, v0
	s_mov_b32 s4, exec_lo
	s_delay_alu instid0(VALU_DEP_1)
	v_cmpx_gt_u32_e32 58, v1
	s_cbranch_execz .LBB57_246
; %bb.1:
	s_clause 0x2
	s_load_b32 s8, s[2:3], 0x38
	s_load_b128 s[12:15], s[2:3], 0x10
	s_load_b128 s[4:7], s[2:3], 0x28
	s_getreg_b32 s11, hwreg(HW_REG_IB_STS2, 6, 4)
                                        ; implicit-def: $sgpr16_sgpr17
	s_wait_kmcnt 0x0
	s_bitcmp1_b32 s8, 8
	s_cselect_b32 s70, -1, 0
	s_bfe_u32 s9, ttmp6, 0x4000c
	s_and_b32 s10, ttmp6, 15
	s_add_co_i32 s9, s9, 1
	s_delay_alu instid0(SALU_CYCLE_1) | instskip(NEXT) | instid1(SALU_CYCLE_1)
	s_mul_i32 s9, ttmp9, s9
	s_add_co_i32 s10, s10, s9
	s_cmp_eq_u32 s11, 0
	s_cselect_b32 s18, ttmp9, s10
	s_bfe_u32 s8, s8, 0x10008
	s_ashr_i32 s19, s18, 31
	s_cmp_eq_u32 s8, 0
	s_cbranch_scc1 .LBB57_3
; %bb.2:
	s_load_b32 s8, s[2:3], 0x20
	s_mul_u64 s[4:5], s[4:5], s[18:19]
	s_delay_alu instid0(SALU_CYCLE_1) | instskip(NEXT) | instid1(SALU_CYCLE_1)
	s_lshl_b64 s[4:5], s[4:5], 2
	s_add_nc_u64 s[4:5], s[14:15], s[4:5]
	s_wait_kmcnt 0x0
	s_ashr_i32 s9, s8, 31
	s_delay_alu instid0(SALU_CYCLE_1) | instskip(NEXT) | instid1(SALU_CYCLE_1)
	s_lshl_b64 s[8:9], s[8:9], 2
	s_add_nc_u64 s[16:17], s[4:5], s[8:9]
.LBB57_3:
	s_clause 0x1
	s_load_b128 s[8:11], s[2:3], 0x0
	s_load_b32 s71, s[2:3], 0x38
	s_wait_xcnt 0x0
	s_mul_u64 s[2:3], s[12:13], s[18:19]
	s_movk_i32 s48, 0x210
	s_lshl_b64 s[2:3], s[2:3], 4
	s_movk_i32 s72, 0x220
	s_movk_i32 s73, 0x230
	;; [unrolled: 1-line block ×15, first 2 shown]
	s_wait_kmcnt 0x0
	v_add3_u32 v18, s11, s11, v1
	s_ashr_i32 s5, s10, 31
	s_mov_b32 s4, s10
	s_add_nc_u64 s[2:3], s[8:9], s[2:3]
	s_lshl_b64 s[4:5], s[4:5], 4
	v_add_nc_u32_e32 v20, s11, v18
	s_add_nc_u64 s[4:5], s[2:3], s[4:5]
	s_ashr_i32 s3, s11, 31
	s_mov_b32 s2, s11
	s_movk_i32 s87, 0x310
	v_add_nc_u32_e32 v22, s11, v20
	s_movk_i32 s88, 0x320
	s_movk_i32 s89, 0x330
	;; [unrolled: 1-line block ×4, first 2 shown]
	v_add_nc_u32_e32 v24, s11, v22
	s_movk_i32 s92, 0x360
	s_movk_i32 s93, 0x370
	;; [unrolled: 1-line block ×4, first 2 shown]
	v_add_nc_u32_e32 v26, s11, v24
	s_clause 0x1
	global_load_b128 v[2:5], v18, s[4:5] scale_offset
	global_load_b128 v[6:9], v20, s[4:5] scale_offset
	s_mov_b32 s52, 16
	s_mov_b32 s51, 32
	;; [unrolled: 1-line block ×3, first 2 shown]
	v_add_nc_u32_e32 v28, s11, v26
	global_load_b128 v[10:13], v22, s[4:5] scale_offset
	s_mov_b32 s49, 64
	s_movk_i32 s69, 0x50
	s_movk_i32 s68, 0x60
	v_add_nc_u32_e32 v30, s11, v28
	s_movk_i32 s58, 0x70
	s_movk_i32 s53, 0x80
	s_movk_i32 s54, 0x90
	s_movk_i32 s55, 0xa0
	v_dual_add_nc_u32 v32, s11, v30 :: v_dual_lshlrev_b32 v130, 4, v1
	s_movk_i32 s57, 0xb0
	s_movk_i32 s60, 0xc0
	;; [unrolled: 1-line block ×3, first 2 shown]
	s_delay_alu instid0(VALU_DEP_1) | instskip(SKIP_3) | instid1(VALU_DEP_1)
	v_dual_mov_b32 v131, 0 :: v_dual_add_nc_u32 v34, s11, v32
	s_movk_i32 s65, 0xe0
	s_movk_i32 s56, 0xf0
	;; [unrolled: 1-line block ×3, first 2 shown]
	v_add_nc_u32_e32 v36, s11, v34
	v_add_nc_u64_e32 v[14:15], s[4:5], v[130:131]
	s_movk_i32 s62, 0x110
	s_movk_i32 s64, 0x120
	;; [unrolled: 1-line block ×3, first 2 shown]
	v_add_nc_u32_e32 v38, s11, v36
	s_movk_i32 s67, 0x140
	s_movk_i32 s61, 0x150
	v_lshl_add_u64 v[16:17], s[2:3], 4, v[14:15]
	s_movk_i32 s27, 0x160
	v_add_nc_u32_e32 v40, s11, v38
	s_clause 0x6
	global_load_b128 v[114:117], v1, s[4:5] scale_offset
	global_load_b128 v[118:121], v[16:17], off
	global_load_b128 v[122:125], v24, s[4:5] scale_offset
	global_load_b128 v[126:129], v26, s[4:5] scale_offset
	;; [unrolled: 1-line block ×5, first 2 shown]
	v_add_nc_u32_e32 v42, s11, v40
	s_movk_i32 s33, 0x170
	s_movk_i32 s40, 0x180
	;; [unrolled: 1-line block ×4, first 2 shown]
	v_add_nc_u32_e32 v44, s11, v42
	s_clause 0x2
	global_load_b128 v[144:147], v34, s[4:5] scale_offset
	global_load_b128 v[148:151], v36, s[4:5] scale_offset
	;; [unrolled: 1-line block ×3, first 2 shown]
	s_movk_i32 s34, 0x1b0
	s_movk_i32 s39, 0x1c0
	;; [unrolled: 1-line block ×3, first 2 shown]
	v_add_nc_u32_e32 v46, s11, v44
	s_clause 0x1
	global_load_b128 v[156:159], v40, s[4:5] scale_offset
	global_load_b128 v[160:163], v42, s[4:5] scale_offset
	s_movk_i32 s44, 0x1e0
	s_movk_i32 s46, 0x1f0
	;; [unrolled: 1-line block ×3, first 2 shown]
	v_add_nc_u32_e32 v48, s11, v46
	s_mov_b32 s36, s48
	s_mov_b32 s37, s72
	s_mov_b32 s28, s73
	s_mov_b32 s31, s74
	v_add_nc_u32_e32 v50, s11, v48
	s_mov_b32 s24, s75
	s_mov_b32 s26, s76
	s_mov_b32 s22, s77
	s_mov_b32 s23, s78
	v_add_nc_u32_e32 v52, s11, v50
	s_mov_b32 s20, s79
	s_mov_b32 s21, s80
	s_mov_b32 s14, s81
	s_mov_b32 s15, s82
	v_add_nc_u32_e32 v54, s11, v52
	s_clause 0x2
	global_load_b128 v[164:167], v44, s[4:5] scale_offset
	global_load_b128 v[168:171], v46, s[4:5] scale_offset
	;; [unrolled: 1-line block ×3, first 2 shown]
	s_mov_b32 s12, s83
	s_mov_b32 s13, s84
	;; [unrolled: 1-line block ×3, first 2 shown]
	v_add_nc_u32_e32 v56, s11, v54
	s_mov_b32 s8, s87
	s_mov_b32 s9, s88
	;; [unrolled: 1-line block ×4, first 2 shown]
	v_add_nc_u32_e32 v58, s11, v56
	s_clause 0x3
	global_load_b128 v[176:179], v50, s[4:5] scale_offset
	global_load_b128 v[180:183], v52, s[4:5] scale_offset
	;; [unrolled: 1-line block ×4, first 2 shown]
	s_mov_b32 s30, s91
	s_mov_b32 s35, s92
	v_add_nc_u32_e32 v60, s11, v58
	global_load_b128 v[192:195], v58, s[4:5] scale_offset
	s_mov_b32 s25, s93
	s_mov_b32 s29, s94
	;; [unrolled: 1-line block ×3, first 2 shown]
	v_add_nc_u32_e32 v62, s11, v60
	s_bitcmp0_b32 s71, 0
	s_mov_b32 s3, -1
	s_delay_alu instid0(VALU_DEP_1) | instskip(NEXT) | instid1(VALU_DEP_1)
	v_add_nc_u32_e32 v64, s11, v62
	v_add_nc_u32_e32 v66, s11, v64
	s_delay_alu instid0(VALU_DEP_1)
	v_add_nc_u32_e32 v68, s11, v66
	s_clause 0x1
	global_load_b128 v[196:199], v60, s[4:5] scale_offset
	global_load_b128 v[200:203], v62, s[4:5] scale_offset
	v_add_nc_u32_e32 v70, s11, v68
	global_load_b128 v[204:207], v64, s[4:5] scale_offset
	v_add_nc_u32_e32 v72, s11, v70
	s_delay_alu instid0(VALU_DEP_1) | instskip(NEXT) | instid1(VALU_DEP_1)
	v_add_nc_u32_e32 v74, s11, v72
	v_add_nc_u32_e32 v76, s11, v74
	s_delay_alu instid0(VALU_DEP_1)
	v_add_nc_u32_e32 v78, s11, v76
	s_clause 0x3
	global_load_b128 v[208:211], v66, s[4:5] scale_offset
	global_load_b128 v[212:215], v68, s[4:5] scale_offset
	;; [unrolled: 1-line block ×4, first 2 shown]
	v_add_nc_u32_e32 v80, s11, v78
	s_delay_alu instid0(VALU_DEP_1)
	v_add_nc_u32_e32 v82, s11, v80
	s_clause 0x3
	global_load_b128 v[224:227], v74, s[4:5] scale_offset
	global_load_b128 v[228:231], v76, s[4:5] scale_offset
	;; [unrolled: 1-line block ×4, first 2 shown]
	v_add_nc_u32_e32 v84, s11, v82
	s_delay_alu instid0(VALU_DEP_1) | instskip(NEXT) | instid1(VALU_DEP_1)
	v_add_nc_u32_e32 v86, s11, v84
	v_add_nc_u32_e32 v88, s11, v86
	s_delay_alu instid0(VALU_DEP_1) | instskip(NEXT) | instid1(VALU_DEP_1)
	v_add_nc_u32_e32 v90, s11, v88
	v_add_nc_u32_e32 v92, s11, v90
	s_delay_alu instid0(VALU_DEP_1)
	v_add_nc_u32_e32 v94, s11, v92
	s_clause 0x3
	global_load_b128 v[240:243], v82, s[4:5] scale_offset
	global_load_b128 v[244:247], v84, s[4:5] scale_offset
	;; [unrolled: 1-line block ×4, first 2 shown]
	v_add_nc_u32_e32 v96, s11, v94
	s_delay_alu instid0(VALU_DEP_1) | instskip(NEXT) | instid1(VALU_DEP_1)
	v_add_nc_u32_e32 v98, s11, v96
	v_add_nc_u32_e32 v100, s11, v98
	s_delay_alu instid0(VALU_DEP_1) | instskip(NEXT) | instid1(VALU_DEP_1)
	v_add_nc_u32_e32 v102, s11, v100
	;; [unrolled: 3-line block ×4, first 2 shown]
	v_add_nc_u32_e32 v112, s11, v110
	s_wait_loadcnt 0x25
	scratch_store_b128 off, v[2:5], off offset:32
	s_wait_loadcnt 0x24
	scratch_store_b128 off, v[6:9], off offset:48
	s_wait_loadcnt 0x23
	scratch_store_b128 off, v[10:13], off offset:64
	s_clause 0x1
	global_load_b128 v[2:5], v90, s[4:5] scale_offset
	global_load_b128 v[6:9], v92, s[4:5] scale_offset
	s_wait_loadcnt 0x24
	scratch_store_b128 off, v[114:117], off
	s_wait_loadcnt 0x23
	scratch_store_b128 off, v[118:121], off offset:16
	s_wait_xcnt 0x1
	v_add_nc_u32_e32 v114, s11, v112
	s_clause 0x2
	global_load_b128 v[10:13], v94, s[4:5] scale_offset
	s_set_vgpr_msb 64                       ;  msbs: dst=1 src0=0 src1=0 src2=0
	global_load_b128 v[0:3] /*v[256:259]*/, v96, s[4:5] scale_offset
	s_wait_loadcnt 0x24
	scratch_store_b128 off, v[122:125], off offset:80
	s_wait_loadcnt 0x23
	scratch_store_b128 off, v[126:129], off offset:96
	;; [unrolled: 2-line block ×3, first 2 shown]
	s_set_vgpr_msb 0                        ;  msbs: dst=0 src0=0 src1=0 src2=0
	s_clause 0x2
	global_load_b128 v[132:135], v98, s[4:5] scale_offset
	s_set_vgpr_msb 64                       ;  msbs: dst=1 src0=0 src1=0 src2=0
	global_load_b128 v[4:7] /*v[260:263]*/, v100, s[4:5] scale_offset
	s_set_vgpr_msb 0                        ;  msbs: dst=0 src0=0 src1=0 src2=0
	v_add_nc_u32_e32 v116, s11, v114
	s_wait_loadcnt 0x23
	scratch_store_b128 off, v[136:139], off offset:128
	s_wait_loadcnt 0x22
	scratch_store_b128 off, v[140:143], off offset:144
	s_clause 0x1
	global_load_b128 v[136:139], v102, s[4:5] scale_offset
	global_load_b128 v[140:143], v104, s[4:5] scale_offset
	s_wait_loadcnt 0x23
	scratch_store_b128 off, v[144:147], off offset:160
	s_wait_loadcnt 0x22
	scratch_store_b128 off, v[148:151], off offset:176
	s_wait_loadcnt 0x21
	scratch_store_b128 off, v[152:155], off offset:192
	v_add_nc_u32_e32 v118, s11, v116
	s_clause 0x1
	global_load_b128 v[144:147], v106, s[4:5] scale_offset
	global_load_b128 v[148:151], v108, s[4:5] scale_offset
	s_wait_loadcnt 0x22
	scratch_store_b128 off, v[156:159], off offset:208
	s_wait_loadcnt 0x21
	scratch_store_b128 off, v[160:163], off offset:224
	v_add_nc_u32_e32 v120, s11, v118
	s_clause 0x1
	global_load_b128 v[152:155], v110, s[4:5] scale_offset
	global_load_b128 v[156:159], v112, s[4:5] scale_offset
	v_add_nc_u32_e32 v122, s11, v120
	s_delay_alu instid0(VALU_DEP_1) | instskip(NEXT) | instid1(VALU_DEP_1)
	v_add_nc_u32_e32 v124, s11, v122
	v_add_nc_u32_e32 v126, s11, v124
	s_wait_loadcnt 0x22
	scratch_store_b128 off, v[164:167], off offset:240
	s_wait_loadcnt 0x21
	scratch_store_b128 off, v[168:171], off offset:256
	;; [unrolled: 2-line block ×3, first 2 shown]
	v_add_nc_u32_e32 v128, s11, v126
	s_clause 0x1
	global_load_b128 v[160:163], v114, s[4:5] scale_offset
	global_load_b128 v[164:167], v116, s[4:5] scale_offset
	s_mov_b32 s11, s86
	s_wait_loadcnt 0x21
	scratch_store_b128 off, v[176:179], off offset:288
	s_wait_loadcnt 0x20
	scratch_store_b128 off, v[180:183], off offset:304
	s_clause 0x1
	global_load_b128 v[168:171], v118, s[4:5] scale_offset
	global_load_b128 v[172:175], v120, s[4:5] scale_offset
	s_wait_loadcnt 0x21
	scratch_store_b128 off, v[184:187], off offset:320
	s_wait_loadcnt 0x20
	scratch_store_b128 off, v[188:191], off offset:336
	s_clause 0x1
	global_load_b128 v[176:179], v122, s[4:5] scale_offset
	global_load_b128 v[180:183], v124, s[4:5] scale_offset
	s_wait_loadcnt 0x21
	scratch_store_b128 off, v[192:195], off offset:352
	s_wait_loadcnt 0x20
	scratch_store_b128 off, v[196:199], off offset:368
	;; [unrolled: 2-line block ×3, first 2 shown]
	s_clause 0x1
	global_load_b128 v[184:187], v126, s[4:5] scale_offset
	global_load_b128 v[188:191], v128, s[4:5] scale_offset
	s_wait_loadcnt 0x20
	scratch_store_b128 off, v[204:207], off offset:400
	s_wait_loadcnt 0x1f
	scratch_store_b128 off, v[208:211], off offset:416
	;; [unrolled: 2-line block ×16, first 2 shown]
	s_wait_loadcnt 0x10
	s_set_vgpr_msb 4                        ;  msbs: dst=0 src0=0 src1=1 src2=0
	scratch_store_b128 off, v[0:3] /*v[256:259]*/, off offset:656
	s_wait_loadcnt 0xf
	s_set_vgpr_msb 0                        ;  msbs: dst=0 src0=0 src1=0 src2=0
	scratch_store_b128 off, v[132:135], off offset:672
	s_wait_loadcnt 0xe
	s_set_vgpr_msb 4                        ;  msbs: dst=0 src0=0 src1=1 src2=0
	scratch_store_b128 off, v[4:7] /*v[260:263]*/, off offset:688
	s_wait_loadcnt 0xd
	s_set_vgpr_msb 0                        ;  msbs: dst=0 src0=0 src1=0 src2=0
	scratch_store_b128 off, v[136:139], off offset:704
	s_wait_loadcnt 0xc
	scratch_store_b128 off, v[140:143], off offset:720
	s_wait_loadcnt 0xb
	;; [unrolled: 2-line block ×13, first 2 shown]
	scratch_store_b128 off, v[188:191], off offset:912
	s_cbranch_scc1 .LBB57_244
; %bb.4:
	v_cmp_eq_u32_e64 s2, 0, v1
	s_wait_xcnt 0x0
	s_and_saveexec_b32 s3, s2
; %bb.5:
	v_mov_b32_e32 v2, 0
	ds_store_b32 v2, v2 offset:1856
; %bb.6:
	s_or_b32 exec_lo, exec_lo, s3
	s_wait_storecnt_dscnt 0x0
	s_barrier_signal -1
	s_barrier_wait -1
	scratch_load_b128 v[2:5], v1, off scale_offset
	s_wait_loadcnt 0x0
	v_cmp_eq_f64_e32 vcc_lo, 0, v[2:3]
	v_cmp_eq_f64_e64 s3, 0, v[4:5]
	s_and_b32 s3, vcc_lo, s3
	s_delay_alu instid0(SALU_CYCLE_1)
	s_and_saveexec_b32 s71, s3
	s_cbranch_execz .LBB57_10
; %bb.7:
	v_mov_b32_e32 v2, 0
	s_mov_b32 s72, 0
	ds_load_b32 v3, v2 offset:1856
	s_wait_dscnt 0x0
	v_readfirstlane_b32 s3, v3
	v_add_nc_u32_e32 v3, 1, v1
	s_cmp_eq_u32 s3, 0
	s_delay_alu instid0(VALU_DEP_1) | instskip(SKIP_1) | instid1(SALU_CYCLE_1)
	v_cmp_gt_i32_e32 vcc_lo, s3, v3
	s_cselect_b32 s73, -1, 0
	s_or_b32 s73, s73, vcc_lo
	s_delay_alu instid0(SALU_CYCLE_1)
	s_and_b32 exec_lo, exec_lo, s73
	s_cbranch_execz .LBB57_10
; %bb.8:
	v_mov_b32_e32 v4, s3
.LBB57_9:                               ; =>This Inner Loop Header: Depth=1
	ds_cmpstore_rtn_b32 v4, v2, v3, v4 offset:1856
	s_wait_dscnt 0x0
	v_cmp_ne_u32_e32 vcc_lo, 0, v4
	v_cmp_le_i32_e64 s3, v4, v3
	s_and_b32 s3, vcc_lo, s3
	s_delay_alu instid0(SALU_CYCLE_1) | instskip(NEXT) | instid1(SALU_CYCLE_1)
	s_and_b32 s3, exec_lo, s3
	s_or_b32 s72, s3, s72
	s_delay_alu instid0(SALU_CYCLE_1)
	s_and_not1_b32 exec_lo, exec_lo, s72
	s_cbranch_execnz .LBB57_9
.LBB57_10:
	s_or_b32 exec_lo, exec_lo, s71
	v_mov_b32_e32 v2, 0
	s_barrier_signal -1
	s_barrier_wait -1
	ds_load_b32 v3, v2 offset:1856
	s_and_saveexec_b32 s3, s2
	s_cbranch_execz .LBB57_12
; %bb.11:
	s_lshl_b64 s[72:73], s[18:19], 2
	s_delay_alu instid0(SALU_CYCLE_1)
	s_add_nc_u64 s[72:73], s[6:7], s[72:73]
	s_wait_dscnt 0x0
	global_store_b32 v2, v3, s[72:73]
.LBB57_12:
	s_wait_xcnt 0x0
	s_or_b32 exec_lo, exec_lo, s3
	s_wait_dscnt 0x0
	v_cmp_ne_u32_e32 vcc_lo, 0, v3
	s_mov_b32 s3, 0
	s_cbranch_vccnz .LBB57_244
; %bb.13:
	v_lshl_add_u32 v19, v1, 4, 0
                                        ; implicit-def: $vgpr6_vgpr7
                                        ; implicit-def: $vgpr10_vgpr11
	scratch_load_b128 v[2:5], v19, off
	s_wait_loadcnt 0x0
	v_cmp_ngt_f64_e64 s3, |v[2:3]|, |v[4:5]|
	s_wait_xcnt 0x0
	s_and_saveexec_b32 s71, s3
	s_delay_alu instid0(SALU_CYCLE_1)
	s_xor_b32 s3, exec_lo, s71
	s_cbranch_execz .LBB57_15
; %bb.14:
	v_div_scale_f64 v[6:7], null, v[4:5], v[4:5], v[2:3]
	v_div_scale_f64 v[12:13], vcc_lo, v[2:3], v[4:5], v[2:3]
	s_delay_alu instid0(VALU_DEP_2) | instskip(SKIP_1) | instid1(TRANS32_DEP_1)
	v_rcp_f64_e32 v[8:9], v[6:7]
	v_nop
	v_fma_f64 v[10:11], -v[6:7], v[8:9], 1.0
	s_delay_alu instid0(VALU_DEP_1) | instskip(NEXT) | instid1(VALU_DEP_1)
	v_fmac_f64_e32 v[8:9], v[8:9], v[10:11]
	v_fma_f64 v[10:11], -v[6:7], v[8:9], 1.0
	s_delay_alu instid0(VALU_DEP_1) | instskip(NEXT) | instid1(VALU_DEP_1)
	v_fmac_f64_e32 v[8:9], v[8:9], v[10:11]
	v_mul_f64_e32 v[10:11], v[12:13], v[8:9]
	s_delay_alu instid0(VALU_DEP_1) | instskip(NEXT) | instid1(VALU_DEP_1)
	v_fma_f64 v[6:7], -v[6:7], v[10:11], v[12:13]
	v_div_fmas_f64 v[6:7], v[6:7], v[8:9], v[10:11]
	s_delay_alu instid0(VALU_DEP_1) | instskip(NEXT) | instid1(VALU_DEP_1)
	v_div_fixup_f64 v[6:7], v[6:7], v[4:5], v[2:3]
	v_fmac_f64_e32 v[4:5], v[2:3], v[6:7]
	s_delay_alu instid0(VALU_DEP_1) | instskip(SKIP_1) | instid1(VALU_DEP_2)
	v_div_scale_f64 v[2:3], null, v[4:5], v[4:5], 1.0
	v_div_scale_f64 v[12:13], vcc_lo, 1.0, v[4:5], 1.0
	v_rcp_f64_e32 v[8:9], v[2:3]
	v_nop
	s_delay_alu instid0(TRANS32_DEP_1) | instskip(NEXT) | instid1(VALU_DEP_1)
	v_fma_f64 v[10:11], -v[2:3], v[8:9], 1.0
	v_fmac_f64_e32 v[8:9], v[8:9], v[10:11]
	s_delay_alu instid0(VALU_DEP_1) | instskip(NEXT) | instid1(VALU_DEP_1)
	v_fma_f64 v[10:11], -v[2:3], v[8:9], 1.0
	v_fmac_f64_e32 v[8:9], v[8:9], v[10:11]
	s_delay_alu instid0(VALU_DEP_1) | instskip(NEXT) | instid1(VALU_DEP_1)
	v_mul_f64_e32 v[10:11], v[12:13], v[8:9]
	v_fma_f64 v[2:3], -v[2:3], v[10:11], v[12:13]
	s_delay_alu instid0(VALU_DEP_1) | instskip(NEXT) | instid1(VALU_DEP_1)
	v_div_fmas_f64 v[2:3], v[2:3], v[8:9], v[10:11]
	v_div_fixup_f64 v[8:9], v[2:3], v[4:5], 1.0
                                        ; implicit-def: $vgpr2_vgpr3
	s_delay_alu instid0(VALU_DEP_1) | instskip(SKIP_1) | instid1(VALU_DEP_2)
	v_mul_f64_e32 v[6:7], v[6:7], v[8:9]
	v_xor_b32_e32 v9, 0x80000000, v9
	v_xor_b32_e32 v11, 0x80000000, v7
	s_delay_alu instid0(VALU_DEP_3)
	v_mov_b32_e32 v10, v6
.LBB57_15:
	s_and_not1_saveexec_b32 s3, s3
	s_cbranch_execz .LBB57_17
; %bb.16:
	v_div_scale_f64 v[6:7], null, v[2:3], v[2:3], v[4:5]
	v_div_scale_f64 v[12:13], vcc_lo, v[4:5], v[2:3], v[4:5]
	s_delay_alu instid0(VALU_DEP_2) | instskip(SKIP_1) | instid1(TRANS32_DEP_1)
	v_rcp_f64_e32 v[8:9], v[6:7]
	v_nop
	v_fma_f64 v[10:11], -v[6:7], v[8:9], 1.0
	s_delay_alu instid0(VALU_DEP_1) | instskip(NEXT) | instid1(VALU_DEP_1)
	v_fmac_f64_e32 v[8:9], v[8:9], v[10:11]
	v_fma_f64 v[10:11], -v[6:7], v[8:9], 1.0
	s_delay_alu instid0(VALU_DEP_1) | instskip(NEXT) | instid1(VALU_DEP_1)
	v_fmac_f64_e32 v[8:9], v[8:9], v[10:11]
	v_mul_f64_e32 v[10:11], v[12:13], v[8:9]
	s_delay_alu instid0(VALU_DEP_1) | instskip(NEXT) | instid1(VALU_DEP_1)
	v_fma_f64 v[6:7], -v[6:7], v[10:11], v[12:13]
	v_div_fmas_f64 v[6:7], v[6:7], v[8:9], v[10:11]
	s_delay_alu instid0(VALU_DEP_1) | instskip(NEXT) | instid1(VALU_DEP_1)
	v_div_fixup_f64 v[8:9], v[6:7], v[2:3], v[4:5]
	v_fmac_f64_e32 v[2:3], v[4:5], v[8:9]
	s_delay_alu instid0(VALU_DEP_1) | instskip(NEXT) | instid1(VALU_DEP_1)
	v_div_scale_f64 v[4:5], null, v[2:3], v[2:3], 1.0
	v_rcp_f64_e32 v[6:7], v[4:5]
	v_nop
	s_delay_alu instid0(TRANS32_DEP_1) | instskip(NEXT) | instid1(VALU_DEP_1)
	v_fma_f64 v[10:11], -v[4:5], v[6:7], 1.0
	v_fmac_f64_e32 v[6:7], v[6:7], v[10:11]
	s_delay_alu instid0(VALU_DEP_1) | instskip(NEXT) | instid1(VALU_DEP_1)
	v_fma_f64 v[10:11], -v[4:5], v[6:7], 1.0
	v_fmac_f64_e32 v[6:7], v[6:7], v[10:11]
	v_div_scale_f64 v[10:11], vcc_lo, 1.0, v[2:3], 1.0
	s_delay_alu instid0(VALU_DEP_1) | instskip(NEXT) | instid1(VALU_DEP_1)
	v_mul_f64_e32 v[12:13], v[10:11], v[6:7]
	v_fma_f64 v[4:5], -v[4:5], v[12:13], v[10:11]
	s_delay_alu instid0(VALU_DEP_1) | instskip(NEXT) | instid1(VALU_DEP_1)
	v_div_fmas_f64 v[4:5], v[4:5], v[6:7], v[12:13]
	v_div_fixup_f64 v[6:7], v[4:5], v[2:3], 1.0
	s_delay_alu instid0(VALU_DEP_1)
	v_mul_f64_e64 v[8:9], v[8:9], -v[6:7]
	v_xor_b32_e32 v11, 0x80000000, v7
	v_mov_b32_e32 v10, v6
.LBB57_17:
	s_or_b32 exec_lo, exec_lo, s3
	s_clause 0x1
	scratch_store_b128 v19, v[6:9], off
	scratch_load_b128 v[2:5], off, s52
	v_xor_b32_e32 v13, 0x80000000, v9
	v_mov_b32_e32 v12, v8
	s_wait_xcnt 0x1
	v_add_nc_u32_e32 v6, 0x3a0, v130
	ds_store_b128 v130, v[10:13]
	s_wait_loadcnt 0x0
	ds_store_b128 v130, v[2:5] offset:928
	s_wait_storecnt_dscnt 0x0
	s_barrier_signal -1
	s_barrier_wait -1
	s_wait_xcnt 0x0
	s_and_saveexec_b32 s3, s2
	s_cbranch_execz .LBB57_19
; %bb.18:
	scratch_load_b128 v[2:5], v19, off
	ds_load_b128 v[8:11], v6
	v_mov_b32_e32 v7, 0
	ds_load_b128 v[132:135], v7 offset:16
	s_wait_loadcnt_dscnt 0x1
	v_mul_f64_e32 v[12:13], v[8:9], v[4:5]
	v_mul_f64_e32 v[4:5], v[10:11], v[4:5]
	s_delay_alu instid0(VALU_DEP_2) | instskip(NEXT) | instid1(VALU_DEP_2)
	v_fmac_f64_e32 v[12:13], v[10:11], v[2:3]
	v_fma_f64 v[2:3], v[8:9], v[2:3], -v[4:5]
	s_delay_alu instid0(VALU_DEP_2) | instskip(NEXT) | instid1(VALU_DEP_2)
	v_add_f64_e32 v[8:9], 0, v[12:13]
	v_add_f64_e32 v[2:3], 0, v[2:3]
	s_wait_dscnt 0x0
	s_delay_alu instid0(VALU_DEP_2) | instskip(NEXT) | instid1(VALU_DEP_2)
	v_mul_f64_e32 v[10:11], v[8:9], v[134:135]
	v_mul_f64_e32 v[4:5], v[2:3], v[134:135]
	s_delay_alu instid0(VALU_DEP_2) | instskip(NEXT) | instid1(VALU_DEP_2)
	v_fma_f64 v[2:3], v[2:3], v[132:133], -v[10:11]
	v_fmac_f64_e32 v[4:5], v[8:9], v[132:133]
	scratch_store_b128 off, v[2:5], off offset:16
.LBB57_19:
	s_wait_xcnt 0x0
	s_or_b32 exec_lo, exec_lo, s3
	s_wait_storecnt 0x0
	s_barrier_signal -1
	s_barrier_wait -1
	scratch_load_b128 v[2:5], off, s51
	s_mov_b32 s3, exec_lo
	s_wait_loadcnt 0x0
	ds_store_b128 v6, v[2:5]
	s_wait_dscnt 0x0
	s_barrier_signal -1
	s_barrier_wait -1
	v_cmpx_gt_u32_e32 2, v1
	s_cbranch_execz .LBB57_23
; %bb.20:
	scratch_load_b128 v[2:5], v19, off
	ds_load_b128 v[8:11], v6
	s_wait_loadcnt_dscnt 0x0
	v_mul_f64_e32 v[12:13], v[10:11], v[4:5]
	v_mul_f64_e32 v[132:133], v[8:9], v[4:5]
	s_delay_alu instid0(VALU_DEP_2) | instskip(NEXT) | instid1(VALU_DEP_2)
	v_fma_f64 v[4:5], v[8:9], v[2:3], -v[12:13]
	v_fmac_f64_e32 v[132:133], v[10:11], v[2:3]
	s_delay_alu instid0(VALU_DEP_2) | instskip(NEXT) | instid1(VALU_DEP_2)
	v_add_f64_e32 v[4:5], 0, v[4:5]
	v_add_f64_e32 v[2:3], 0, v[132:133]
	s_and_saveexec_b32 s71, s2
	s_cbranch_execz .LBB57_22
; %bb.21:
	scratch_load_b128 v[8:11], off, off offset:16
	v_mov_b32_e32 v7, 0
	ds_load_b128 v[132:135], v7 offset:944
	s_wait_loadcnt_dscnt 0x0
	v_mul_f64_e32 v[12:13], v[132:133], v[10:11]
	v_mul_f64_e32 v[10:11], v[134:135], v[10:11]
	s_delay_alu instid0(VALU_DEP_2) | instskip(NEXT) | instid1(VALU_DEP_2)
	v_fmac_f64_e32 v[12:13], v[134:135], v[8:9]
	v_fma_f64 v[8:9], v[132:133], v[8:9], -v[10:11]
	s_delay_alu instid0(VALU_DEP_2) | instskip(NEXT) | instid1(VALU_DEP_2)
	v_add_f64_e32 v[2:3], v[2:3], v[12:13]
	v_add_f64_e32 v[4:5], v[4:5], v[8:9]
.LBB57_22:
	s_or_b32 exec_lo, exec_lo, s71
	v_mov_b32_e32 v7, 0
	ds_load_b128 v[8:11], v7 offset:32
	s_wait_dscnt 0x0
	v_mul_f64_e32 v[132:133], v[2:3], v[10:11]
	v_mul_f64_e32 v[12:13], v[4:5], v[10:11]
	s_delay_alu instid0(VALU_DEP_2) | instskip(NEXT) | instid1(VALU_DEP_2)
	v_fma_f64 v[10:11], v[4:5], v[8:9], -v[132:133]
	v_fmac_f64_e32 v[12:13], v[2:3], v[8:9]
	scratch_store_b128 off, v[10:13], off offset:32
.LBB57_23:
	s_wait_xcnt 0x0
	s_or_b32 exec_lo, exec_lo, s3
	s_wait_storecnt 0x0
	s_barrier_signal -1
	s_barrier_wait -1
	scratch_load_b128 v[2:5], off, s50
	v_add_nc_u32_e32 v7, -1, v1
	s_mov_b32 s2, exec_lo
	s_wait_loadcnt 0x0
	ds_store_b128 v6, v[2:5]
	s_wait_dscnt 0x0
	s_barrier_signal -1
	s_barrier_wait -1
	v_cmpx_gt_u32_e32 3, v1
	s_cbranch_execz .LBB57_27
; %bb.24:
	v_dual_mov_b32 v10, v130 :: v_dual_add_nc_u32 v8, -1, v1
	v_mov_b64_e32 v[2:3], 0
	v_mov_b64_e32 v[4:5], 0
	v_add_nc_u32_e32 v9, 0x3a0, v130
	s_delay_alu instid0(VALU_DEP_4)
	v_or_b32_e32 v10, 8, v10
	s_mov_b32 s3, 0
.LBB57_25:                              ; =>This Inner Loop Header: Depth=1
	scratch_load_b128 v[132:135], v10, off offset:-8
	ds_load_b128 v[136:139], v9
	v_dual_add_nc_u32 v8, 1, v8 :: v_dual_add_nc_u32 v9, 16, v9
	s_wait_xcnt 0x0
	v_add_nc_u32_e32 v10, 16, v10
	s_delay_alu instid0(VALU_DEP_2) | instskip(SKIP_4) | instid1(VALU_DEP_2)
	v_cmp_lt_u32_e32 vcc_lo, 1, v8
	s_or_b32 s3, vcc_lo, s3
	s_wait_loadcnt_dscnt 0x0
	v_mul_f64_e32 v[12:13], v[138:139], v[134:135]
	v_mul_f64_e32 v[134:135], v[136:137], v[134:135]
	v_fma_f64 v[12:13], v[136:137], v[132:133], -v[12:13]
	s_delay_alu instid0(VALU_DEP_2) | instskip(NEXT) | instid1(VALU_DEP_2)
	v_fmac_f64_e32 v[134:135], v[138:139], v[132:133]
	v_add_f64_e32 v[4:5], v[4:5], v[12:13]
	s_delay_alu instid0(VALU_DEP_2)
	v_add_f64_e32 v[2:3], v[2:3], v[134:135]
	s_and_not1_b32 exec_lo, exec_lo, s3
	s_cbranch_execnz .LBB57_25
; %bb.26:
	s_or_b32 exec_lo, exec_lo, s3
	v_mov_b32_e32 v8, 0
	ds_load_b128 v[8:11], v8 offset:48
	s_wait_dscnt 0x0
	v_mul_f64_e32 v[132:133], v[2:3], v[10:11]
	v_mul_f64_e32 v[12:13], v[4:5], v[10:11]
	s_delay_alu instid0(VALU_DEP_2) | instskip(NEXT) | instid1(VALU_DEP_2)
	v_fma_f64 v[10:11], v[4:5], v[8:9], -v[132:133]
	v_fmac_f64_e32 v[12:13], v[2:3], v[8:9]
	scratch_store_b128 off, v[10:13], off offset:48
.LBB57_27:
	s_wait_xcnt 0x0
	s_or_b32 exec_lo, exec_lo, s2
	s_wait_storecnt 0x0
	s_barrier_signal -1
	s_barrier_wait -1
	scratch_load_b128 v[2:5], off, s49
	s_mov_b32 s2, exec_lo
	s_wait_loadcnt 0x0
	ds_store_b128 v6, v[2:5]
	s_wait_dscnt 0x0
	s_barrier_signal -1
	s_barrier_wait -1
	v_cmpx_gt_u32_e32 4, v1
	s_cbranch_execz .LBB57_31
; %bb.28:
	v_dual_mov_b32 v10, v130 :: v_dual_add_nc_u32 v8, -1, v1
	v_mov_b64_e32 v[2:3], 0
	v_mov_b64_e32 v[4:5], 0
	v_add_nc_u32_e32 v9, 0x3a0, v130
	s_delay_alu instid0(VALU_DEP_4)
	v_or_b32_e32 v10, 8, v10
	s_mov_b32 s3, 0
.LBB57_29:                              ; =>This Inner Loop Header: Depth=1
	scratch_load_b128 v[132:135], v10, off offset:-8
	ds_load_b128 v[136:139], v9
	v_dual_add_nc_u32 v8, 1, v8 :: v_dual_add_nc_u32 v9, 16, v9
	s_wait_xcnt 0x0
	v_add_nc_u32_e32 v10, 16, v10
	s_delay_alu instid0(VALU_DEP_2) | instskip(SKIP_4) | instid1(VALU_DEP_2)
	v_cmp_lt_u32_e32 vcc_lo, 2, v8
	s_or_b32 s3, vcc_lo, s3
	s_wait_loadcnt_dscnt 0x0
	v_mul_f64_e32 v[12:13], v[138:139], v[134:135]
	v_mul_f64_e32 v[134:135], v[136:137], v[134:135]
	v_fma_f64 v[12:13], v[136:137], v[132:133], -v[12:13]
	s_delay_alu instid0(VALU_DEP_2) | instskip(NEXT) | instid1(VALU_DEP_2)
	v_fmac_f64_e32 v[134:135], v[138:139], v[132:133]
	v_add_f64_e32 v[4:5], v[4:5], v[12:13]
	s_delay_alu instid0(VALU_DEP_2)
	v_add_f64_e32 v[2:3], v[2:3], v[134:135]
	s_and_not1_b32 exec_lo, exec_lo, s3
	s_cbranch_execnz .LBB57_29
; %bb.30:
	s_or_b32 exec_lo, exec_lo, s3
	v_mov_b32_e32 v8, 0
	ds_load_b128 v[8:11], v8 offset:64
	s_wait_dscnt 0x0
	v_mul_f64_e32 v[132:133], v[2:3], v[10:11]
	v_mul_f64_e32 v[12:13], v[4:5], v[10:11]
	s_delay_alu instid0(VALU_DEP_2) | instskip(NEXT) | instid1(VALU_DEP_2)
	v_fma_f64 v[10:11], v[4:5], v[8:9], -v[132:133]
	v_fmac_f64_e32 v[12:13], v[2:3], v[8:9]
	scratch_store_b128 off, v[10:13], off offset:64
.LBB57_31:
	s_wait_xcnt 0x0
	s_or_b32 exec_lo, exec_lo, s2
	s_wait_storecnt 0x0
	s_barrier_signal -1
	s_barrier_wait -1
	scratch_load_b128 v[2:5], off, s69
	;; [unrolled: 54-line block ×19, first 2 shown]
	s_mov_b32 s2, exec_lo
	s_wait_loadcnt 0x0
	ds_store_b128 v6, v[2:5]
	s_wait_dscnt 0x0
	s_barrier_signal -1
	s_barrier_wait -1
	v_cmpx_gt_u32_e32 22, v1
	s_cbranch_execz .LBB57_103
; %bb.100:
	v_dual_mov_b32 v10, v130 :: v_dual_add_nc_u32 v8, -1, v1
	v_mov_b64_e32 v[2:3], 0
	v_mov_b64_e32 v[4:5], 0
	v_add_nc_u32_e32 v9, 0x3a0, v130
	s_delay_alu instid0(VALU_DEP_4)
	v_or_b32_e32 v10, 8, v10
	s_mov_b32 s3, 0
.LBB57_101:                             ; =>This Inner Loop Header: Depth=1
	scratch_load_b128 v[132:135], v10, off offset:-8
	ds_load_b128 v[136:139], v9
	v_dual_add_nc_u32 v8, 1, v8 :: v_dual_add_nc_u32 v9, 16, v9
	s_wait_xcnt 0x0
	v_add_nc_u32_e32 v10, 16, v10
	s_delay_alu instid0(VALU_DEP_2) | instskip(SKIP_4) | instid1(VALU_DEP_2)
	v_cmp_lt_u32_e32 vcc_lo, 20, v8
	s_or_b32 s3, vcc_lo, s3
	s_wait_loadcnt_dscnt 0x0
	v_mul_f64_e32 v[12:13], v[138:139], v[134:135]
	v_mul_f64_e32 v[134:135], v[136:137], v[134:135]
	v_fma_f64 v[12:13], v[136:137], v[132:133], -v[12:13]
	s_delay_alu instid0(VALU_DEP_2) | instskip(NEXT) | instid1(VALU_DEP_2)
	v_fmac_f64_e32 v[134:135], v[138:139], v[132:133]
	v_add_f64_e32 v[4:5], v[4:5], v[12:13]
	s_delay_alu instid0(VALU_DEP_2)
	v_add_f64_e32 v[2:3], v[2:3], v[134:135]
	s_and_not1_b32 exec_lo, exec_lo, s3
	s_cbranch_execnz .LBB57_101
; %bb.102:
	s_or_b32 exec_lo, exec_lo, s3
	v_mov_b32_e32 v8, 0
	ds_load_b128 v[8:11], v8 offset:352
	s_wait_dscnt 0x0
	v_mul_f64_e32 v[132:133], v[2:3], v[10:11]
	v_mul_f64_e32 v[12:13], v[4:5], v[10:11]
	s_delay_alu instid0(VALU_DEP_2) | instskip(NEXT) | instid1(VALU_DEP_2)
	v_fma_f64 v[10:11], v[4:5], v[8:9], -v[132:133]
	v_fmac_f64_e32 v[12:13], v[2:3], v[8:9]
	scratch_store_b128 off, v[10:13], off offset:352
.LBB57_103:
	s_wait_xcnt 0x0
	s_or_b32 exec_lo, exec_lo, s2
	s_wait_storecnt 0x0
	s_barrier_signal -1
	s_barrier_wait -1
	scratch_load_b128 v[2:5], off, s33
	s_mov_b32 s2, exec_lo
	s_wait_loadcnt 0x0
	ds_store_b128 v6, v[2:5]
	s_wait_dscnt 0x0
	s_barrier_signal -1
	s_barrier_wait -1
	v_cmpx_gt_u32_e32 23, v1
	s_cbranch_execz .LBB57_107
; %bb.104:
	v_dual_mov_b32 v10, v130 :: v_dual_add_nc_u32 v8, -1, v1
	v_mov_b64_e32 v[2:3], 0
	v_mov_b64_e32 v[4:5], 0
	v_add_nc_u32_e32 v9, 0x3a0, v130
	s_delay_alu instid0(VALU_DEP_4)
	v_or_b32_e32 v10, 8, v10
	s_mov_b32 s3, 0
.LBB57_105:                             ; =>This Inner Loop Header: Depth=1
	scratch_load_b128 v[132:135], v10, off offset:-8
	ds_load_b128 v[136:139], v9
	v_dual_add_nc_u32 v8, 1, v8 :: v_dual_add_nc_u32 v9, 16, v9
	s_wait_xcnt 0x0
	v_add_nc_u32_e32 v10, 16, v10
	s_delay_alu instid0(VALU_DEP_2) | instskip(SKIP_4) | instid1(VALU_DEP_2)
	v_cmp_lt_u32_e32 vcc_lo, 21, v8
	s_or_b32 s3, vcc_lo, s3
	s_wait_loadcnt_dscnt 0x0
	v_mul_f64_e32 v[12:13], v[138:139], v[134:135]
	v_mul_f64_e32 v[134:135], v[136:137], v[134:135]
	v_fma_f64 v[12:13], v[136:137], v[132:133], -v[12:13]
	s_delay_alu instid0(VALU_DEP_2) | instskip(NEXT) | instid1(VALU_DEP_2)
	v_fmac_f64_e32 v[134:135], v[138:139], v[132:133]
	v_add_f64_e32 v[4:5], v[4:5], v[12:13]
	s_delay_alu instid0(VALU_DEP_2)
	v_add_f64_e32 v[2:3], v[2:3], v[134:135]
	s_and_not1_b32 exec_lo, exec_lo, s3
	s_cbranch_execnz .LBB57_105
; %bb.106:
	s_or_b32 exec_lo, exec_lo, s3
	v_mov_b32_e32 v8, 0
	ds_load_b128 v[8:11], v8 offset:368
	s_wait_dscnt 0x0
	v_mul_f64_e32 v[132:133], v[2:3], v[10:11]
	v_mul_f64_e32 v[12:13], v[4:5], v[10:11]
	s_delay_alu instid0(VALU_DEP_2) | instskip(NEXT) | instid1(VALU_DEP_2)
	v_fma_f64 v[10:11], v[4:5], v[8:9], -v[132:133]
	v_fmac_f64_e32 v[12:13], v[2:3], v[8:9]
	scratch_store_b128 off, v[10:13], off offset:368
.LBB57_107:
	s_wait_xcnt 0x0
	s_or_b32 exec_lo, exec_lo, s2
	s_wait_storecnt 0x0
	s_barrier_signal -1
	s_barrier_wait -1
	scratch_load_b128 v[2:5], off, s40
	;; [unrolled: 54-line block ×35, first 2 shown]
	s_mov_b32 s2, exec_lo
	s_wait_loadcnt 0x0
	ds_store_b128 v6, v[2:5]
	s_wait_dscnt 0x0
	s_barrier_signal -1
	s_barrier_wait -1
	v_cmpx_ne_u32_e32 57, v1
	s_cbranch_execz .LBB57_243
; %bb.240:
	v_mov_b32_e32 v8, v130
	v_mov_b64_e32 v[2:3], 0
	v_mov_b64_e32 v[4:5], 0
	s_mov_b32 s3, 0
	s_delay_alu instid0(VALU_DEP_3)
	v_or_b32_e32 v8, 8, v8
.LBB57_241:                             ; =>This Inner Loop Header: Depth=1
	scratch_load_b128 v[10:13], v8, off offset:-8
	ds_load_b128 v[130:133], v6
	v_dual_add_nc_u32 v7, 1, v7 :: v_dual_add_nc_u32 v6, 16, v6
	s_wait_xcnt 0x0
	v_add_nc_u32_e32 v8, 16, v8
	s_delay_alu instid0(VALU_DEP_2) | instskip(SKIP_4) | instid1(VALU_DEP_2)
	v_cmp_lt_u32_e32 vcc_lo, 55, v7
	s_or_b32 s3, vcc_lo, s3
	s_wait_loadcnt_dscnt 0x0
	v_mul_f64_e32 v[134:135], v[132:133], v[12:13]
	v_mul_f64_e32 v[12:13], v[130:131], v[12:13]
	v_fma_f64 v[130:131], v[130:131], v[10:11], -v[134:135]
	s_delay_alu instid0(VALU_DEP_2) | instskip(NEXT) | instid1(VALU_DEP_2)
	v_fmac_f64_e32 v[12:13], v[132:133], v[10:11]
	v_add_f64_e32 v[4:5], v[4:5], v[130:131]
	s_delay_alu instid0(VALU_DEP_2)
	v_add_f64_e32 v[2:3], v[2:3], v[12:13]
	s_and_not1_b32 exec_lo, exec_lo, s3
	s_cbranch_execnz .LBB57_241
; %bb.242:
	s_or_b32 exec_lo, exec_lo, s3
	v_mov_b32_e32 v6, 0
	ds_load_b128 v[6:9], v6 offset:912
	s_wait_dscnt 0x0
	v_mul_f64_e32 v[12:13], v[2:3], v[8:9]
	v_mul_f64_e32 v[10:11], v[4:5], v[8:9]
	s_delay_alu instid0(VALU_DEP_2) | instskip(NEXT) | instid1(VALU_DEP_2)
	v_fma_f64 v[8:9], v[4:5], v[6:7], -v[12:13]
	v_fmac_f64_e32 v[10:11], v[2:3], v[6:7]
	scratch_store_b128 off, v[8:11], off offset:912
.LBB57_243:
	s_wait_xcnt 0x0
	s_or_b32 exec_lo, exec_lo, s2
	s_mov_b32 s3, -1
	s_wait_storecnt 0x0
	s_barrier_signal -1
	s_barrier_wait -1
.LBB57_244:
	s_and_b32 vcc_lo, exec_lo, s3
	s_cbranch_vccz .LBB57_246
; %bb.245:
	s_wait_xcnt 0x13
	v_mov_b32_e32 v2, 0
	s_lshl_b64 s[2:3], s[18:19], 2
	s_delay_alu instid0(SALU_CYCLE_1)
	s_add_nc_u64 s[2:3], s[6:7], s[2:3]
	global_load_b32 v2, v2, s[2:3]
	s_wait_loadcnt 0x0
	v_cmp_ne_u32_e32 vcc_lo, 0, v2
	s_cbranch_vccz .LBB57_247
.LBB57_246:
	s_sendmsg sendmsg(MSG_DEALLOC_VGPRS)
	s_endpgm
.LBB57_247:
	s_wait_xcnt 0x13
	v_lshl_add_u32 v8, v1, 4, 0x3a0
	s_wait_xcnt 0x0
	s_mov_b32 s2, exec_lo
	v_cmpx_eq_u32_e32 57, v1
	s_cbranch_execz .LBB57_249
; %bb.248:
	scratch_load_b128 v[2:5], off, s29
	v_mov_b32_e32 v10, 0
	s_delay_alu instid0(VALU_DEP_1)
	v_dual_mov_b32 v11, v10 :: v_dual_mov_b32 v12, v10
	v_mov_b32_e32 v13, v10
	scratch_store_b128 off, v[10:13], off offset:896
	s_wait_loadcnt 0x0
	ds_store_b128 v8, v[2:5]
.LBB57_249:
	s_wait_xcnt 0x0
	s_or_b32 exec_lo, exec_lo, s2
	s_wait_storecnt_dscnt 0x0
	s_barrier_signal -1
	s_barrier_wait -1
	s_clause 0x1
	scratch_load_b128 v[4:7], off, off offset:912
	scratch_load_b128 v[10:13], off, off offset:896
	v_mov_b32_e32 v2, 0
	s_mov_b32 s2, exec_lo
	ds_load_b128 v[130:133], v2 offset:1840
	s_wait_loadcnt_dscnt 0x100
	v_mul_f64_e32 v[134:135], v[132:133], v[6:7]
	v_mul_f64_e32 v[6:7], v[130:131], v[6:7]
	s_delay_alu instid0(VALU_DEP_2) | instskip(NEXT) | instid1(VALU_DEP_2)
	v_fma_f64 v[130:131], v[130:131], v[4:5], -v[134:135]
	v_fmac_f64_e32 v[6:7], v[132:133], v[4:5]
	s_delay_alu instid0(VALU_DEP_2) | instskip(NEXT) | instid1(VALU_DEP_2)
	v_add_f64_e32 v[4:5], 0, v[130:131]
	v_add_f64_e32 v[6:7], 0, v[6:7]
	s_wait_loadcnt 0x0
	s_delay_alu instid0(VALU_DEP_2) | instskip(NEXT) | instid1(VALU_DEP_2)
	v_add_f64_e64 v[4:5], v[10:11], -v[4:5]
	v_add_f64_e64 v[6:7], v[12:13], -v[6:7]
	scratch_store_b128 off, v[4:7], off offset:896
	s_wait_xcnt 0x0
	v_cmpx_lt_u32_e32 55, v1
	s_cbranch_execz .LBB57_251
; %bb.250:
	scratch_load_b128 v[10:13], off, s25
	v_dual_mov_b32 v3, v2 :: v_dual_mov_b32 v4, v2
	v_mov_b32_e32 v5, v2
	scratch_store_b128 off, v[2:5], off offset:880
	s_wait_loadcnt 0x0
	ds_store_b128 v8, v[10:13]
.LBB57_251:
	s_wait_xcnt 0x0
	s_or_b32 exec_lo, exec_lo, s2
	s_wait_storecnt_dscnt 0x0
	s_barrier_signal -1
	s_barrier_wait -1
	s_clause 0x2
	scratch_load_b128 v[4:7], off, off offset:896
	scratch_load_b128 v[10:13], off, off offset:912
	;; [unrolled: 1-line block ×3, first 2 shown]
	ds_load_b128 v[134:137], v2 offset:1824
	ds_load_b128 v[138:141], v2 offset:1840
	s_mov_b32 s2, exec_lo
	s_wait_loadcnt_dscnt 0x201
	v_mul_f64_e32 v[2:3], v[136:137], v[6:7]
	v_mul_f64_e32 v[6:7], v[134:135], v[6:7]
	s_wait_loadcnt_dscnt 0x100
	v_mul_f64_e32 v[142:143], v[138:139], v[12:13]
	v_mul_f64_e32 v[12:13], v[140:141], v[12:13]
	s_delay_alu instid0(VALU_DEP_4) | instskip(NEXT) | instid1(VALU_DEP_4)
	v_fma_f64 v[2:3], v[134:135], v[4:5], -v[2:3]
	v_fmac_f64_e32 v[6:7], v[136:137], v[4:5]
	s_delay_alu instid0(VALU_DEP_4) | instskip(NEXT) | instid1(VALU_DEP_4)
	v_fmac_f64_e32 v[142:143], v[140:141], v[10:11]
	v_fma_f64 v[4:5], v[138:139], v[10:11], -v[12:13]
	s_delay_alu instid0(VALU_DEP_4) | instskip(NEXT) | instid1(VALU_DEP_4)
	v_add_f64_e32 v[2:3], 0, v[2:3]
	v_add_f64_e32 v[6:7], 0, v[6:7]
	s_delay_alu instid0(VALU_DEP_2) | instskip(NEXT) | instid1(VALU_DEP_2)
	v_add_f64_e32 v[2:3], v[2:3], v[4:5]
	v_add_f64_e32 v[4:5], v[6:7], v[142:143]
	s_wait_loadcnt 0x0
	s_delay_alu instid0(VALU_DEP_2) | instskip(NEXT) | instid1(VALU_DEP_2)
	v_add_f64_e64 v[2:3], v[130:131], -v[2:3]
	v_add_f64_e64 v[4:5], v[132:133], -v[4:5]
	scratch_store_b128 off, v[2:5], off offset:880
	s_wait_xcnt 0x0
	v_cmpx_lt_u32_e32 54, v1
	s_cbranch_execz .LBB57_253
; %bb.252:
	scratch_load_b128 v[2:5], off, s35
	v_mov_b32_e32 v10, 0
	s_delay_alu instid0(VALU_DEP_1)
	v_dual_mov_b32 v11, v10 :: v_dual_mov_b32 v12, v10
	v_mov_b32_e32 v13, v10
	scratch_store_b128 off, v[10:13], off offset:864
	s_wait_loadcnt 0x0
	ds_store_b128 v8, v[2:5]
.LBB57_253:
	s_wait_xcnt 0x0
	s_or_b32 exec_lo, exec_lo, s2
	s_wait_storecnt_dscnt 0x0
	s_barrier_signal -1
	s_barrier_wait -1
	s_clause 0x3
	scratch_load_b128 v[4:7], off, off offset:880
	scratch_load_b128 v[10:13], off, off offset:896
	;; [unrolled: 1-line block ×4, first 2 shown]
	v_mov_b32_e32 v2, 0
	ds_load_b128 v[138:141], v2 offset:1808
	ds_load_b128 v[142:145], v2 offset:1824
	s_mov_b32 s2, exec_lo
	s_wait_loadcnt_dscnt 0x301
	v_mul_f64_e32 v[146:147], v[140:141], v[6:7]
	v_mul_f64_e32 v[148:149], v[138:139], v[6:7]
	s_wait_loadcnt_dscnt 0x200
	v_mul_f64_e32 v[150:151], v[142:143], v[12:13]
	v_mul_f64_e32 v[12:13], v[144:145], v[12:13]
	s_delay_alu instid0(VALU_DEP_4) | instskip(NEXT) | instid1(VALU_DEP_4)
	v_fma_f64 v[138:139], v[138:139], v[4:5], -v[146:147]
	v_fmac_f64_e32 v[148:149], v[140:141], v[4:5]
	ds_load_b128 v[4:7], v2 offset:1840
	v_fmac_f64_e32 v[150:151], v[144:145], v[10:11]
	v_fma_f64 v[10:11], v[142:143], v[10:11], -v[12:13]
	s_wait_loadcnt_dscnt 0x100
	v_mul_f64_e32 v[140:141], v[4:5], v[132:133]
	v_mul_f64_e32 v[132:133], v[6:7], v[132:133]
	v_add_f64_e32 v[12:13], 0, v[138:139]
	v_add_f64_e32 v[138:139], 0, v[148:149]
	s_delay_alu instid0(VALU_DEP_4) | instskip(NEXT) | instid1(VALU_DEP_4)
	v_fmac_f64_e32 v[140:141], v[6:7], v[130:131]
	v_fma_f64 v[4:5], v[4:5], v[130:131], -v[132:133]
	s_delay_alu instid0(VALU_DEP_4) | instskip(NEXT) | instid1(VALU_DEP_4)
	v_add_f64_e32 v[6:7], v[12:13], v[10:11]
	v_add_f64_e32 v[10:11], v[138:139], v[150:151]
	s_delay_alu instid0(VALU_DEP_2) | instskip(NEXT) | instid1(VALU_DEP_2)
	v_add_f64_e32 v[4:5], v[6:7], v[4:5]
	v_add_f64_e32 v[6:7], v[10:11], v[140:141]
	s_wait_loadcnt 0x0
	s_delay_alu instid0(VALU_DEP_2) | instskip(NEXT) | instid1(VALU_DEP_2)
	v_add_f64_e64 v[4:5], v[134:135], -v[4:5]
	v_add_f64_e64 v[6:7], v[136:137], -v[6:7]
	scratch_store_b128 off, v[4:7], off offset:864
	s_wait_xcnt 0x0
	v_cmpx_lt_u32_e32 53, v1
	s_cbranch_execz .LBB57_255
; %bb.254:
	scratch_load_b128 v[10:13], off, s30
	v_dual_mov_b32 v3, v2 :: v_dual_mov_b32 v4, v2
	v_mov_b32_e32 v5, v2
	scratch_store_b128 off, v[2:5], off offset:848
	s_wait_loadcnt 0x0
	ds_store_b128 v8, v[10:13]
.LBB57_255:
	s_wait_xcnt 0x0
	s_or_b32 exec_lo, exec_lo, s2
	s_wait_storecnt_dscnt 0x0
	s_barrier_signal -1
	s_barrier_wait -1
	s_clause 0x4
	scratch_load_b128 v[4:7], off, off offset:864
	scratch_load_b128 v[10:13], off, off offset:880
	scratch_load_b128 v[130:133], off, off offset:896
	scratch_load_b128 v[134:137], off, off offset:912
	scratch_load_b128 v[138:141], off, off offset:848
	ds_load_b128 v[142:145], v2 offset:1792
	ds_load_b128 v[146:149], v2 offset:1808
	s_mov_b32 s2, exec_lo
	s_wait_loadcnt_dscnt 0x401
	v_mul_f64_e32 v[150:151], v[144:145], v[6:7]
	v_mul_f64_e32 v[152:153], v[142:143], v[6:7]
	s_wait_loadcnt_dscnt 0x300
	v_mul_f64_e32 v[154:155], v[146:147], v[12:13]
	v_mul_f64_e32 v[12:13], v[148:149], v[12:13]
	s_delay_alu instid0(VALU_DEP_4) | instskip(NEXT) | instid1(VALU_DEP_4)
	v_fma_f64 v[150:151], v[142:143], v[4:5], -v[150:151]
	v_fmac_f64_e32 v[152:153], v[144:145], v[4:5]
	ds_load_b128 v[4:7], v2 offset:1824
	ds_load_b128 v[142:145], v2 offset:1840
	v_fmac_f64_e32 v[154:155], v[148:149], v[10:11]
	v_fma_f64 v[10:11], v[146:147], v[10:11], -v[12:13]
	s_wait_loadcnt_dscnt 0x201
	v_mul_f64_e32 v[2:3], v[4:5], v[132:133]
	v_mul_f64_e32 v[132:133], v[6:7], v[132:133]
	s_wait_loadcnt_dscnt 0x100
	v_mul_f64_e32 v[148:149], v[142:143], v[136:137]
	v_mul_f64_e32 v[136:137], v[144:145], v[136:137]
	v_add_f64_e32 v[12:13], 0, v[150:151]
	v_add_f64_e32 v[146:147], 0, v[152:153]
	v_fmac_f64_e32 v[2:3], v[6:7], v[130:131]
	v_fma_f64 v[4:5], v[4:5], v[130:131], -v[132:133]
	v_fmac_f64_e32 v[148:149], v[144:145], v[134:135]
	v_add_f64_e32 v[6:7], v[12:13], v[10:11]
	v_add_f64_e32 v[10:11], v[146:147], v[154:155]
	v_fma_f64 v[12:13], v[142:143], v[134:135], -v[136:137]
	s_delay_alu instid0(VALU_DEP_3) | instskip(NEXT) | instid1(VALU_DEP_3)
	v_add_f64_e32 v[4:5], v[6:7], v[4:5]
	v_add_f64_e32 v[2:3], v[10:11], v[2:3]
	s_delay_alu instid0(VALU_DEP_2) | instskip(NEXT) | instid1(VALU_DEP_2)
	v_add_f64_e32 v[4:5], v[4:5], v[12:13]
	v_add_f64_e32 v[6:7], v[2:3], v[148:149]
	s_wait_loadcnt 0x0
	s_delay_alu instid0(VALU_DEP_2) | instskip(NEXT) | instid1(VALU_DEP_2)
	v_add_f64_e64 v[2:3], v[138:139], -v[4:5]
	v_add_f64_e64 v[4:5], v[140:141], -v[6:7]
	scratch_store_b128 off, v[2:5], off offset:848
	s_wait_xcnt 0x0
	v_cmpx_lt_u32_e32 52, v1
	s_cbranch_execz .LBB57_257
; %bb.256:
	scratch_load_b128 v[2:5], off, s41
	v_mov_b32_e32 v10, 0
	s_delay_alu instid0(VALU_DEP_1)
	v_dual_mov_b32 v11, v10 :: v_dual_mov_b32 v12, v10
	v_mov_b32_e32 v13, v10
	scratch_store_b128 off, v[10:13], off offset:832
	s_wait_loadcnt 0x0
	ds_store_b128 v8, v[2:5]
.LBB57_257:
	s_wait_xcnt 0x0
	s_or_b32 exec_lo, exec_lo, s2
	s_wait_storecnt_dscnt 0x0
	s_barrier_signal -1
	s_barrier_wait -1
	s_clause 0x5
	scratch_load_b128 v[4:7], off, off offset:848
	scratch_load_b128 v[10:13], off, off offset:864
	;; [unrolled: 1-line block ×6, first 2 shown]
	v_mov_b32_e32 v2, 0
	ds_load_b128 v[146:149], v2 offset:1776
	ds_load_b128 v[150:153], v2 offset:1792
	s_mov_b32 s2, exec_lo
	s_wait_loadcnt_dscnt 0x501
	v_mul_f64_e32 v[154:155], v[148:149], v[6:7]
	v_mul_f64_e32 v[156:157], v[146:147], v[6:7]
	s_wait_loadcnt_dscnt 0x400
	v_mul_f64_e32 v[158:159], v[150:151], v[12:13]
	v_mul_f64_e32 v[12:13], v[152:153], v[12:13]
	s_delay_alu instid0(VALU_DEP_4) | instskip(NEXT) | instid1(VALU_DEP_4)
	v_fma_f64 v[154:155], v[146:147], v[4:5], -v[154:155]
	v_fmac_f64_e32 v[156:157], v[148:149], v[4:5]
	ds_load_b128 v[4:7], v2 offset:1808
	ds_load_b128 v[146:149], v2 offset:1824
	v_fmac_f64_e32 v[158:159], v[152:153], v[10:11]
	v_fma_f64 v[10:11], v[150:151], v[10:11], -v[12:13]
	s_wait_loadcnt_dscnt 0x301
	v_mul_f64_e32 v[160:161], v[4:5], v[132:133]
	v_mul_f64_e32 v[132:133], v[6:7], v[132:133]
	s_wait_loadcnt_dscnt 0x200
	v_mul_f64_e32 v[152:153], v[146:147], v[136:137]
	v_mul_f64_e32 v[136:137], v[148:149], v[136:137]
	v_add_f64_e32 v[12:13], 0, v[154:155]
	v_add_f64_e32 v[150:151], 0, v[156:157]
	v_fmac_f64_e32 v[160:161], v[6:7], v[130:131]
	v_fma_f64 v[130:131], v[4:5], v[130:131], -v[132:133]
	ds_load_b128 v[4:7], v2 offset:1840
	v_fmac_f64_e32 v[152:153], v[148:149], v[134:135]
	v_fma_f64 v[134:135], v[146:147], v[134:135], -v[136:137]
	v_add_f64_e32 v[10:11], v[12:13], v[10:11]
	v_add_f64_e32 v[12:13], v[150:151], v[158:159]
	s_wait_loadcnt_dscnt 0x100
	v_mul_f64_e32 v[132:133], v[4:5], v[140:141]
	v_mul_f64_e32 v[140:141], v[6:7], v[140:141]
	s_delay_alu instid0(VALU_DEP_4) | instskip(NEXT) | instid1(VALU_DEP_4)
	v_add_f64_e32 v[10:11], v[10:11], v[130:131]
	v_add_f64_e32 v[12:13], v[12:13], v[160:161]
	s_delay_alu instid0(VALU_DEP_4) | instskip(NEXT) | instid1(VALU_DEP_4)
	v_fmac_f64_e32 v[132:133], v[6:7], v[138:139]
	v_fma_f64 v[4:5], v[4:5], v[138:139], -v[140:141]
	s_delay_alu instid0(VALU_DEP_4) | instskip(NEXT) | instid1(VALU_DEP_4)
	v_add_f64_e32 v[6:7], v[10:11], v[134:135]
	v_add_f64_e32 v[10:11], v[12:13], v[152:153]
	s_delay_alu instid0(VALU_DEP_2) | instskip(NEXT) | instid1(VALU_DEP_2)
	v_add_f64_e32 v[4:5], v[6:7], v[4:5]
	v_add_f64_e32 v[6:7], v[10:11], v[132:133]
	s_wait_loadcnt 0x0
	s_delay_alu instid0(VALU_DEP_2) | instskip(NEXT) | instid1(VALU_DEP_2)
	v_add_f64_e64 v[4:5], v[142:143], -v[4:5]
	v_add_f64_e64 v[6:7], v[144:145], -v[6:7]
	scratch_store_b128 off, v[4:7], off offset:832
	s_wait_xcnt 0x0
	v_cmpx_lt_u32_e32 51, v1
	s_cbranch_execz .LBB57_259
; %bb.258:
	scratch_load_b128 v[10:13], off, s38
	v_dual_mov_b32 v3, v2 :: v_dual_mov_b32 v4, v2
	v_mov_b32_e32 v5, v2
	scratch_store_b128 off, v[2:5], off offset:816
	s_wait_loadcnt 0x0
	ds_store_b128 v8, v[10:13]
.LBB57_259:
	s_wait_xcnt 0x0
	s_or_b32 exec_lo, exec_lo, s2
	s_wait_storecnt_dscnt 0x0
	s_barrier_signal -1
	s_barrier_wait -1
	s_clause 0x6
	scratch_load_b128 v[4:7], off, off offset:832
	scratch_load_b128 v[10:13], off, off offset:848
	;; [unrolled: 1-line block ×7, first 2 shown]
	ds_load_b128 v[150:153], v2 offset:1760
	ds_load_b128 v[154:157], v2 offset:1776
	s_mov_b32 s2, exec_lo
	s_wait_loadcnt_dscnt 0x601
	v_mul_f64_e32 v[158:159], v[152:153], v[6:7]
	v_mul_f64_e32 v[160:161], v[150:151], v[6:7]
	s_wait_loadcnt_dscnt 0x500
	v_mul_f64_e32 v[162:163], v[154:155], v[12:13]
	v_mul_f64_e32 v[12:13], v[156:157], v[12:13]
	s_delay_alu instid0(VALU_DEP_4) | instskip(NEXT) | instid1(VALU_DEP_4)
	v_fma_f64 v[158:159], v[150:151], v[4:5], -v[158:159]
	v_fmac_f64_e32 v[160:161], v[152:153], v[4:5]
	ds_load_b128 v[4:7], v2 offset:1792
	ds_load_b128 v[150:153], v2 offset:1808
	v_fmac_f64_e32 v[162:163], v[156:157], v[10:11]
	v_fma_f64 v[10:11], v[154:155], v[10:11], -v[12:13]
	s_wait_loadcnt_dscnt 0x401
	v_mul_f64_e32 v[164:165], v[4:5], v[132:133]
	v_mul_f64_e32 v[132:133], v[6:7], v[132:133]
	s_wait_loadcnt_dscnt 0x300
	v_mul_f64_e32 v[156:157], v[150:151], v[136:137]
	v_mul_f64_e32 v[136:137], v[152:153], v[136:137]
	v_add_f64_e32 v[12:13], 0, v[158:159]
	v_add_f64_e32 v[154:155], 0, v[160:161]
	v_fmac_f64_e32 v[164:165], v[6:7], v[130:131]
	v_fma_f64 v[130:131], v[4:5], v[130:131], -v[132:133]
	v_fmac_f64_e32 v[156:157], v[152:153], v[134:135]
	v_fma_f64 v[134:135], v[150:151], v[134:135], -v[136:137]
	v_add_f64_e32 v[132:133], v[12:13], v[10:11]
	v_add_f64_e32 v[154:155], v[154:155], v[162:163]
	ds_load_b128 v[4:7], v2 offset:1824
	ds_load_b128 v[10:13], v2 offset:1840
	s_wait_loadcnt_dscnt 0x201
	v_mul_f64_e32 v[2:3], v[4:5], v[140:141]
	v_mul_f64_e32 v[140:141], v[6:7], v[140:141]
	s_wait_loadcnt_dscnt 0x100
	v_mul_f64_e32 v[136:137], v[10:11], v[144:145]
	v_mul_f64_e32 v[144:145], v[12:13], v[144:145]
	v_add_f64_e32 v[130:131], v[132:133], v[130:131]
	v_add_f64_e32 v[132:133], v[154:155], v[164:165]
	v_fmac_f64_e32 v[2:3], v[6:7], v[138:139]
	v_fma_f64 v[4:5], v[4:5], v[138:139], -v[140:141]
	v_fmac_f64_e32 v[136:137], v[12:13], v[142:143]
	v_fma_f64 v[10:11], v[10:11], v[142:143], -v[144:145]
	v_add_f64_e32 v[6:7], v[130:131], v[134:135]
	v_add_f64_e32 v[130:131], v[132:133], v[156:157]
	s_delay_alu instid0(VALU_DEP_2) | instskip(NEXT) | instid1(VALU_DEP_2)
	v_add_f64_e32 v[4:5], v[6:7], v[4:5]
	v_add_f64_e32 v[2:3], v[130:131], v[2:3]
	s_delay_alu instid0(VALU_DEP_2) | instskip(NEXT) | instid1(VALU_DEP_2)
	v_add_f64_e32 v[4:5], v[4:5], v[10:11]
	v_add_f64_e32 v[6:7], v[2:3], v[136:137]
	s_wait_loadcnt 0x0
	s_delay_alu instid0(VALU_DEP_2) | instskip(NEXT) | instid1(VALU_DEP_2)
	v_add_f64_e64 v[2:3], v[146:147], -v[4:5]
	v_add_f64_e64 v[4:5], v[148:149], -v[6:7]
	scratch_store_b128 off, v[2:5], off offset:816
	s_wait_xcnt 0x0
	v_cmpx_lt_u32_e32 50, v1
	s_cbranch_execz .LBB57_261
; %bb.260:
	scratch_load_b128 v[2:5], off, s9
	v_mov_b32_e32 v10, 0
	s_delay_alu instid0(VALU_DEP_1)
	v_dual_mov_b32 v11, v10 :: v_dual_mov_b32 v12, v10
	v_mov_b32_e32 v13, v10
	scratch_store_b128 off, v[10:13], off offset:800
	s_wait_loadcnt 0x0
	ds_store_b128 v8, v[2:5]
.LBB57_261:
	s_wait_xcnt 0x0
	s_or_b32 exec_lo, exec_lo, s2
	s_wait_storecnt_dscnt 0x0
	s_barrier_signal -1
	s_barrier_wait -1
	s_clause 0x7
	scratch_load_b128 v[4:7], off, off offset:816
	scratch_load_b128 v[10:13], off, off offset:832
	;; [unrolled: 1-line block ×8, first 2 shown]
	v_mov_b32_e32 v2, 0
	ds_load_b128 v[154:157], v2 offset:1744
	ds_load_b128 v[158:161], v2 offset:1760
	s_mov_b32 s2, exec_lo
	s_wait_loadcnt_dscnt 0x701
	v_mul_f64_e32 v[162:163], v[156:157], v[6:7]
	v_mul_f64_e32 v[164:165], v[154:155], v[6:7]
	s_wait_loadcnt_dscnt 0x600
	v_mul_f64_e32 v[166:167], v[158:159], v[12:13]
	v_mul_f64_e32 v[12:13], v[160:161], v[12:13]
	s_delay_alu instid0(VALU_DEP_4) | instskip(NEXT) | instid1(VALU_DEP_4)
	v_fma_f64 v[162:163], v[154:155], v[4:5], -v[162:163]
	v_fmac_f64_e32 v[164:165], v[156:157], v[4:5]
	ds_load_b128 v[4:7], v2 offset:1776
	ds_load_b128 v[154:157], v2 offset:1792
	v_fmac_f64_e32 v[166:167], v[160:161], v[10:11]
	v_fma_f64 v[10:11], v[158:159], v[10:11], -v[12:13]
	s_wait_loadcnt_dscnt 0x501
	v_mul_f64_e32 v[168:169], v[4:5], v[132:133]
	v_mul_f64_e32 v[132:133], v[6:7], v[132:133]
	s_wait_loadcnt_dscnt 0x400
	v_mul_f64_e32 v[160:161], v[154:155], v[136:137]
	v_mul_f64_e32 v[136:137], v[156:157], v[136:137]
	v_add_f64_e32 v[12:13], 0, v[162:163]
	v_add_f64_e32 v[158:159], 0, v[164:165]
	v_fmac_f64_e32 v[168:169], v[6:7], v[130:131]
	v_fma_f64 v[130:131], v[4:5], v[130:131], -v[132:133]
	v_fmac_f64_e32 v[160:161], v[156:157], v[134:135]
	v_fma_f64 v[134:135], v[154:155], v[134:135], -v[136:137]
	v_add_f64_e32 v[132:133], v[12:13], v[10:11]
	v_add_f64_e32 v[158:159], v[158:159], v[166:167]
	ds_load_b128 v[4:7], v2 offset:1808
	ds_load_b128 v[10:13], v2 offset:1824
	s_wait_loadcnt_dscnt 0x301
	v_mul_f64_e32 v[162:163], v[4:5], v[140:141]
	v_mul_f64_e32 v[140:141], v[6:7], v[140:141]
	s_wait_loadcnt_dscnt 0x200
	v_mul_f64_e32 v[136:137], v[10:11], v[144:145]
	v_mul_f64_e32 v[144:145], v[12:13], v[144:145]
	v_add_f64_e32 v[130:131], v[132:133], v[130:131]
	v_add_f64_e32 v[132:133], v[158:159], v[168:169]
	v_fmac_f64_e32 v[162:163], v[6:7], v[138:139]
	v_fma_f64 v[138:139], v[4:5], v[138:139], -v[140:141]
	ds_load_b128 v[4:7], v2 offset:1840
	v_fmac_f64_e32 v[136:137], v[12:13], v[142:143]
	v_fma_f64 v[10:11], v[10:11], v[142:143], -v[144:145]
	v_add_f64_e32 v[130:131], v[130:131], v[134:135]
	v_add_f64_e32 v[132:133], v[132:133], v[160:161]
	s_wait_loadcnt_dscnt 0x100
	v_mul_f64_e32 v[134:135], v[4:5], v[148:149]
	v_mul_f64_e32 v[140:141], v[6:7], v[148:149]
	s_delay_alu instid0(VALU_DEP_4) | instskip(NEXT) | instid1(VALU_DEP_4)
	v_add_f64_e32 v[12:13], v[130:131], v[138:139]
	v_add_f64_e32 v[130:131], v[132:133], v[162:163]
	s_delay_alu instid0(VALU_DEP_4) | instskip(NEXT) | instid1(VALU_DEP_4)
	v_fmac_f64_e32 v[134:135], v[6:7], v[146:147]
	v_fma_f64 v[4:5], v[4:5], v[146:147], -v[140:141]
	s_delay_alu instid0(VALU_DEP_4) | instskip(NEXT) | instid1(VALU_DEP_4)
	v_add_f64_e32 v[6:7], v[12:13], v[10:11]
	v_add_f64_e32 v[10:11], v[130:131], v[136:137]
	s_delay_alu instid0(VALU_DEP_2) | instskip(NEXT) | instid1(VALU_DEP_2)
	v_add_f64_e32 v[4:5], v[6:7], v[4:5]
	v_add_f64_e32 v[6:7], v[10:11], v[134:135]
	s_wait_loadcnt 0x0
	s_delay_alu instid0(VALU_DEP_2) | instskip(NEXT) | instid1(VALU_DEP_2)
	v_add_f64_e64 v[4:5], v[150:151], -v[4:5]
	v_add_f64_e64 v[6:7], v[152:153], -v[6:7]
	scratch_store_b128 off, v[4:7], off offset:800
	s_wait_xcnt 0x0
	v_cmpx_lt_u32_e32 49, v1
	s_cbranch_execz .LBB57_263
; %bb.262:
	scratch_load_b128 v[10:13], off, s8
	v_dual_mov_b32 v3, v2 :: v_dual_mov_b32 v4, v2
	v_mov_b32_e32 v5, v2
	scratch_store_b128 off, v[2:5], off offset:784
	s_wait_loadcnt 0x0
	ds_store_b128 v8, v[10:13]
.LBB57_263:
	s_wait_xcnt 0x0
	s_or_b32 exec_lo, exec_lo, s2
	s_wait_storecnt_dscnt 0x0
	s_barrier_signal -1
	s_barrier_wait -1
	s_clause 0x7
	scratch_load_b128 v[4:7], off, off offset:800
	scratch_load_b128 v[10:13], off, off offset:816
	;; [unrolled: 1-line block ×8, first 2 shown]
	ds_load_b128 v[154:157], v2 offset:1728
	ds_load_b128 v[158:161], v2 offset:1744
	scratch_load_b128 v[162:165], off, off offset:784
	s_mov_b32 s2, exec_lo
	s_wait_loadcnt_dscnt 0x801
	v_mul_f64_e32 v[166:167], v[156:157], v[6:7]
	v_mul_f64_e32 v[168:169], v[154:155], v[6:7]
	s_wait_loadcnt_dscnt 0x700
	v_mul_f64_e32 v[170:171], v[158:159], v[12:13]
	v_mul_f64_e32 v[12:13], v[160:161], v[12:13]
	s_delay_alu instid0(VALU_DEP_4) | instskip(NEXT) | instid1(VALU_DEP_4)
	v_fma_f64 v[166:167], v[154:155], v[4:5], -v[166:167]
	v_fmac_f64_e32 v[168:169], v[156:157], v[4:5]
	ds_load_b128 v[4:7], v2 offset:1760
	ds_load_b128 v[154:157], v2 offset:1776
	v_fmac_f64_e32 v[170:171], v[160:161], v[10:11]
	v_fma_f64 v[10:11], v[158:159], v[10:11], -v[12:13]
	s_wait_loadcnt_dscnt 0x601
	v_mul_f64_e32 v[172:173], v[4:5], v[132:133]
	v_mul_f64_e32 v[132:133], v[6:7], v[132:133]
	s_wait_loadcnt_dscnt 0x500
	v_mul_f64_e32 v[160:161], v[154:155], v[136:137]
	v_mul_f64_e32 v[136:137], v[156:157], v[136:137]
	v_add_f64_e32 v[12:13], 0, v[166:167]
	v_add_f64_e32 v[158:159], 0, v[168:169]
	v_fmac_f64_e32 v[172:173], v[6:7], v[130:131]
	v_fma_f64 v[130:131], v[4:5], v[130:131], -v[132:133]
	v_fmac_f64_e32 v[160:161], v[156:157], v[134:135]
	v_fma_f64 v[134:135], v[154:155], v[134:135], -v[136:137]
	v_add_f64_e32 v[132:133], v[12:13], v[10:11]
	v_add_f64_e32 v[158:159], v[158:159], v[170:171]
	ds_load_b128 v[4:7], v2 offset:1792
	ds_load_b128 v[10:13], v2 offset:1808
	s_wait_loadcnt_dscnt 0x401
	v_mul_f64_e32 v[166:167], v[4:5], v[140:141]
	v_mul_f64_e32 v[140:141], v[6:7], v[140:141]
	s_wait_loadcnt_dscnt 0x300
	v_mul_f64_e32 v[136:137], v[10:11], v[144:145]
	v_mul_f64_e32 v[144:145], v[12:13], v[144:145]
	v_add_f64_e32 v[130:131], v[132:133], v[130:131]
	v_add_f64_e32 v[132:133], v[158:159], v[172:173]
	v_fmac_f64_e32 v[166:167], v[6:7], v[138:139]
	v_fma_f64 v[138:139], v[4:5], v[138:139], -v[140:141]
	v_fmac_f64_e32 v[136:137], v[12:13], v[142:143]
	v_fma_f64 v[10:11], v[10:11], v[142:143], -v[144:145]
	v_add_f64_e32 v[134:135], v[130:131], v[134:135]
	v_add_f64_e32 v[140:141], v[132:133], v[160:161]
	ds_load_b128 v[4:7], v2 offset:1824
	ds_load_b128 v[130:133], v2 offset:1840
	s_wait_loadcnt_dscnt 0x201
	v_mul_f64_e32 v[2:3], v[4:5], v[148:149]
	v_mul_f64_e32 v[148:149], v[6:7], v[148:149]
	v_add_f64_e32 v[12:13], v[134:135], v[138:139]
	v_add_f64_e32 v[134:135], v[140:141], v[166:167]
	s_wait_loadcnt_dscnt 0x100
	v_mul_f64_e32 v[138:139], v[130:131], v[152:153]
	v_mul_f64_e32 v[140:141], v[132:133], v[152:153]
	v_fmac_f64_e32 v[2:3], v[6:7], v[146:147]
	v_fma_f64 v[4:5], v[4:5], v[146:147], -v[148:149]
	v_add_f64_e32 v[6:7], v[12:13], v[10:11]
	v_add_f64_e32 v[10:11], v[134:135], v[136:137]
	v_fmac_f64_e32 v[138:139], v[132:133], v[150:151]
	v_fma_f64 v[12:13], v[130:131], v[150:151], -v[140:141]
	s_delay_alu instid0(VALU_DEP_4) | instskip(NEXT) | instid1(VALU_DEP_4)
	v_add_f64_e32 v[4:5], v[6:7], v[4:5]
	v_add_f64_e32 v[2:3], v[10:11], v[2:3]
	s_delay_alu instid0(VALU_DEP_2) | instskip(NEXT) | instid1(VALU_DEP_2)
	v_add_f64_e32 v[4:5], v[4:5], v[12:13]
	v_add_f64_e32 v[6:7], v[2:3], v[138:139]
	s_wait_loadcnt 0x0
	s_delay_alu instid0(VALU_DEP_2) | instskip(NEXT) | instid1(VALU_DEP_2)
	v_add_f64_e64 v[2:3], v[162:163], -v[4:5]
	v_add_f64_e64 v[4:5], v[164:165], -v[6:7]
	scratch_store_b128 off, v[2:5], off offset:784
	s_wait_xcnt 0x0
	v_cmpx_lt_u32_e32 48, v1
	s_cbranch_execz .LBB57_265
; %bb.264:
	scratch_load_b128 v[2:5], off, s11
	v_mov_b32_e32 v10, 0
	s_delay_alu instid0(VALU_DEP_1)
	v_dual_mov_b32 v11, v10 :: v_dual_mov_b32 v12, v10
	v_mov_b32_e32 v13, v10
	scratch_store_b128 off, v[10:13], off offset:768
	s_wait_loadcnt 0x0
	ds_store_b128 v8, v[2:5]
.LBB57_265:
	s_wait_xcnt 0x0
	s_or_b32 exec_lo, exec_lo, s2
	s_wait_storecnt_dscnt 0x0
	s_barrier_signal -1
	s_barrier_wait -1
	s_clause 0x8
	scratch_load_b128 v[4:7], off, off offset:784
	scratch_load_b128 v[10:13], off, off offset:800
	;; [unrolled: 1-line block ×9, first 2 shown]
	v_mov_b32_e32 v2, 0
	scratch_load_b128 v[162:165], off, off offset:768
	s_mov_b32 s2, exec_lo
	ds_load_b128 v[158:161], v2 offset:1712
	ds_load_b128 v[166:169], v2 offset:1728
	s_wait_loadcnt_dscnt 0x901
	v_mul_f64_e32 v[170:171], v[160:161], v[6:7]
	v_mul_f64_e32 v[172:173], v[158:159], v[6:7]
	s_wait_loadcnt_dscnt 0x800
	v_mul_f64_e32 v[174:175], v[166:167], v[12:13]
	v_mul_f64_e32 v[12:13], v[168:169], v[12:13]
	s_delay_alu instid0(VALU_DEP_4) | instskip(NEXT) | instid1(VALU_DEP_4)
	v_fma_f64 v[170:171], v[158:159], v[4:5], -v[170:171]
	v_fmac_f64_e32 v[172:173], v[160:161], v[4:5]
	ds_load_b128 v[4:7], v2 offset:1744
	ds_load_b128 v[158:161], v2 offset:1760
	v_fmac_f64_e32 v[174:175], v[168:169], v[10:11]
	v_fma_f64 v[10:11], v[166:167], v[10:11], -v[12:13]
	s_wait_loadcnt_dscnt 0x701
	v_mul_f64_e32 v[176:177], v[4:5], v[132:133]
	v_mul_f64_e32 v[132:133], v[6:7], v[132:133]
	s_wait_loadcnt_dscnt 0x600
	v_mul_f64_e32 v[168:169], v[158:159], v[136:137]
	v_mul_f64_e32 v[136:137], v[160:161], v[136:137]
	v_add_f64_e32 v[12:13], 0, v[170:171]
	v_add_f64_e32 v[166:167], 0, v[172:173]
	v_fmac_f64_e32 v[176:177], v[6:7], v[130:131]
	v_fma_f64 v[130:131], v[4:5], v[130:131], -v[132:133]
	v_fmac_f64_e32 v[168:169], v[160:161], v[134:135]
	v_fma_f64 v[134:135], v[158:159], v[134:135], -v[136:137]
	v_add_f64_e32 v[132:133], v[12:13], v[10:11]
	v_add_f64_e32 v[166:167], v[166:167], v[174:175]
	ds_load_b128 v[4:7], v2 offset:1776
	ds_load_b128 v[10:13], v2 offset:1792
	s_wait_loadcnt_dscnt 0x501
	v_mul_f64_e32 v[170:171], v[4:5], v[140:141]
	v_mul_f64_e32 v[140:141], v[6:7], v[140:141]
	s_wait_loadcnt_dscnt 0x400
	v_mul_f64_e32 v[136:137], v[10:11], v[144:145]
	v_mul_f64_e32 v[144:145], v[12:13], v[144:145]
	v_add_f64_e32 v[130:131], v[132:133], v[130:131]
	v_add_f64_e32 v[132:133], v[166:167], v[176:177]
	v_fmac_f64_e32 v[170:171], v[6:7], v[138:139]
	v_fma_f64 v[138:139], v[4:5], v[138:139], -v[140:141]
	v_fmac_f64_e32 v[136:137], v[12:13], v[142:143]
	v_fma_f64 v[10:11], v[10:11], v[142:143], -v[144:145]
	v_add_f64_e32 v[134:135], v[130:131], v[134:135]
	v_add_f64_e32 v[140:141], v[132:133], v[168:169]
	ds_load_b128 v[4:7], v2 offset:1808
	ds_load_b128 v[130:133], v2 offset:1824
	s_wait_loadcnt_dscnt 0x301
	v_mul_f64_e32 v[158:159], v[4:5], v[148:149]
	v_mul_f64_e32 v[148:149], v[6:7], v[148:149]
	v_add_f64_e32 v[12:13], v[134:135], v[138:139]
	v_add_f64_e32 v[134:135], v[140:141], v[170:171]
	s_wait_loadcnt_dscnt 0x200
	v_mul_f64_e32 v[138:139], v[130:131], v[152:153]
	v_mul_f64_e32 v[140:141], v[132:133], v[152:153]
	v_fmac_f64_e32 v[158:159], v[6:7], v[146:147]
	v_fma_f64 v[142:143], v[4:5], v[146:147], -v[148:149]
	ds_load_b128 v[4:7], v2 offset:1840
	v_add_f64_e32 v[10:11], v[12:13], v[10:11]
	v_add_f64_e32 v[12:13], v[134:135], v[136:137]
	v_fmac_f64_e32 v[138:139], v[132:133], v[150:151]
	v_fma_f64 v[130:131], v[130:131], v[150:151], -v[140:141]
	s_wait_loadcnt_dscnt 0x100
	v_mul_f64_e32 v[134:135], v[4:5], v[156:157]
	v_mul_f64_e32 v[136:137], v[6:7], v[156:157]
	v_add_f64_e32 v[10:11], v[10:11], v[142:143]
	v_add_f64_e32 v[12:13], v[12:13], v[158:159]
	s_delay_alu instid0(VALU_DEP_4) | instskip(NEXT) | instid1(VALU_DEP_4)
	v_fmac_f64_e32 v[134:135], v[6:7], v[154:155]
	v_fma_f64 v[4:5], v[4:5], v[154:155], -v[136:137]
	s_delay_alu instid0(VALU_DEP_4) | instskip(NEXT) | instid1(VALU_DEP_4)
	v_add_f64_e32 v[6:7], v[10:11], v[130:131]
	v_add_f64_e32 v[10:11], v[12:13], v[138:139]
	s_delay_alu instid0(VALU_DEP_2) | instskip(NEXT) | instid1(VALU_DEP_2)
	v_add_f64_e32 v[4:5], v[6:7], v[4:5]
	v_add_f64_e32 v[6:7], v[10:11], v[134:135]
	s_wait_loadcnt 0x0
	s_delay_alu instid0(VALU_DEP_2) | instskip(NEXT) | instid1(VALU_DEP_2)
	v_add_f64_e64 v[4:5], v[162:163], -v[4:5]
	v_add_f64_e64 v[6:7], v[164:165], -v[6:7]
	scratch_store_b128 off, v[4:7], off offset:768
	s_wait_xcnt 0x0
	v_cmpx_lt_u32_e32 47, v1
	s_cbranch_execz .LBB57_267
; %bb.266:
	scratch_load_b128 v[10:13], off, s10
	v_dual_mov_b32 v3, v2 :: v_dual_mov_b32 v4, v2
	v_mov_b32_e32 v5, v2
	scratch_store_b128 off, v[2:5], off offset:752
	s_wait_loadcnt 0x0
	ds_store_b128 v8, v[10:13]
.LBB57_267:
	s_wait_xcnt 0x0
	s_or_b32 exec_lo, exec_lo, s2
	s_wait_storecnt_dscnt 0x0
	s_barrier_signal -1
	s_barrier_wait -1
	s_clause 0x9
	scratch_load_b128 v[4:7], off, off offset:768
	scratch_load_b128 v[10:13], off, off offset:784
	;; [unrolled: 1-line block ×10, first 2 shown]
	ds_load_b128 v[162:165], v2 offset:1696
	ds_load_b128 v[166:169], v2 offset:1712
	scratch_load_b128 v[170:173], off, off offset:752
	s_mov_b32 s2, exec_lo
	s_wait_loadcnt_dscnt 0xa01
	v_mul_f64_e32 v[174:175], v[164:165], v[6:7]
	v_mul_f64_e32 v[176:177], v[162:163], v[6:7]
	s_wait_loadcnt_dscnt 0x900
	v_mul_f64_e32 v[178:179], v[166:167], v[12:13]
	v_mul_f64_e32 v[12:13], v[168:169], v[12:13]
	s_delay_alu instid0(VALU_DEP_4) | instskip(NEXT) | instid1(VALU_DEP_4)
	v_fma_f64 v[174:175], v[162:163], v[4:5], -v[174:175]
	v_fmac_f64_e32 v[176:177], v[164:165], v[4:5]
	ds_load_b128 v[4:7], v2 offset:1728
	ds_load_b128 v[162:165], v2 offset:1744
	v_fmac_f64_e32 v[178:179], v[168:169], v[10:11]
	v_fma_f64 v[10:11], v[166:167], v[10:11], -v[12:13]
	s_wait_loadcnt_dscnt 0x801
	v_mul_f64_e32 v[180:181], v[4:5], v[132:133]
	v_mul_f64_e32 v[132:133], v[6:7], v[132:133]
	s_wait_loadcnt_dscnt 0x700
	v_mul_f64_e32 v[168:169], v[162:163], v[136:137]
	v_mul_f64_e32 v[136:137], v[164:165], v[136:137]
	v_add_f64_e32 v[12:13], 0, v[174:175]
	v_add_f64_e32 v[166:167], 0, v[176:177]
	v_fmac_f64_e32 v[180:181], v[6:7], v[130:131]
	v_fma_f64 v[130:131], v[4:5], v[130:131], -v[132:133]
	v_fmac_f64_e32 v[168:169], v[164:165], v[134:135]
	v_fma_f64 v[134:135], v[162:163], v[134:135], -v[136:137]
	v_add_f64_e32 v[132:133], v[12:13], v[10:11]
	v_add_f64_e32 v[166:167], v[166:167], v[178:179]
	ds_load_b128 v[4:7], v2 offset:1760
	ds_load_b128 v[10:13], v2 offset:1776
	s_wait_loadcnt_dscnt 0x601
	v_mul_f64_e32 v[174:175], v[4:5], v[140:141]
	v_mul_f64_e32 v[140:141], v[6:7], v[140:141]
	s_wait_loadcnt_dscnt 0x500
	v_mul_f64_e32 v[136:137], v[10:11], v[144:145]
	v_mul_f64_e32 v[144:145], v[12:13], v[144:145]
	v_add_f64_e32 v[130:131], v[132:133], v[130:131]
	v_add_f64_e32 v[132:133], v[166:167], v[180:181]
	v_fmac_f64_e32 v[174:175], v[6:7], v[138:139]
	v_fma_f64 v[138:139], v[4:5], v[138:139], -v[140:141]
	v_fmac_f64_e32 v[136:137], v[12:13], v[142:143]
	v_fma_f64 v[10:11], v[10:11], v[142:143], -v[144:145]
	v_add_f64_e32 v[134:135], v[130:131], v[134:135]
	v_add_f64_e32 v[140:141], v[132:133], v[168:169]
	ds_load_b128 v[4:7], v2 offset:1792
	ds_load_b128 v[130:133], v2 offset:1808
	s_wait_loadcnt_dscnt 0x401
	v_mul_f64_e32 v[162:163], v[4:5], v[148:149]
	v_mul_f64_e32 v[148:149], v[6:7], v[148:149]
	v_add_f64_e32 v[12:13], v[134:135], v[138:139]
	v_add_f64_e32 v[134:135], v[140:141], v[174:175]
	s_wait_loadcnt_dscnt 0x300
	v_mul_f64_e32 v[138:139], v[130:131], v[152:153]
	v_mul_f64_e32 v[140:141], v[132:133], v[152:153]
	v_fmac_f64_e32 v[162:163], v[6:7], v[146:147]
	v_fma_f64 v[142:143], v[4:5], v[146:147], -v[148:149]
	v_add_f64_e32 v[144:145], v[12:13], v[10:11]
	v_add_f64_e32 v[134:135], v[134:135], v[136:137]
	ds_load_b128 v[4:7], v2 offset:1824
	ds_load_b128 v[10:13], v2 offset:1840
	v_fmac_f64_e32 v[138:139], v[132:133], v[150:151]
	v_fma_f64 v[130:131], v[130:131], v[150:151], -v[140:141]
	s_wait_loadcnt_dscnt 0x201
	v_mul_f64_e32 v[2:3], v[4:5], v[156:157]
	v_mul_f64_e32 v[136:137], v[6:7], v[156:157]
	s_wait_loadcnt_dscnt 0x100
	v_mul_f64_e32 v[140:141], v[10:11], v[160:161]
	v_add_f64_e32 v[132:133], v[144:145], v[142:143]
	v_add_f64_e32 v[134:135], v[134:135], v[162:163]
	v_mul_f64_e32 v[142:143], v[12:13], v[160:161]
	v_fmac_f64_e32 v[2:3], v[6:7], v[154:155]
	v_fma_f64 v[4:5], v[4:5], v[154:155], -v[136:137]
	v_fmac_f64_e32 v[140:141], v[12:13], v[158:159]
	v_add_f64_e32 v[6:7], v[132:133], v[130:131]
	v_add_f64_e32 v[130:131], v[134:135], v[138:139]
	v_fma_f64 v[10:11], v[10:11], v[158:159], -v[142:143]
	s_delay_alu instid0(VALU_DEP_3) | instskip(NEXT) | instid1(VALU_DEP_3)
	v_add_f64_e32 v[4:5], v[6:7], v[4:5]
	v_add_f64_e32 v[2:3], v[130:131], v[2:3]
	s_delay_alu instid0(VALU_DEP_2) | instskip(NEXT) | instid1(VALU_DEP_2)
	v_add_f64_e32 v[4:5], v[4:5], v[10:11]
	v_add_f64_e32 v[6:7], v[2:3], v[140:141]
	s_wait_loadcnt 0x0
	s_delay_alu instid0(VALU_DEP_2) | instskip(NEXT) | instid1(VALU_DEP_2)
	v_add_f64_e64 v[2:3], v[170:171], -v[4:5]
	v_add_f64_e64 v[4:5], v[172:173], -v[6:7]
	scratch_store_b128 off, v[2:5], off offset:752
	s_wait_xcnt 0x0
	v_cmpx_lt_u32_e32 46, v1
	s_cbranch_execz .LBB57_269
; %bb.268:
	scratch_load_b128 v[2:5], off, s13
	v_mov_b32_e32 v10, 0
	s_delay_alu instid0(VALU_DEP_1)
	v_dual_mov_b32 v11, v10 :: v_dual_mov_b32 v12, v10
	v_mov_b32_e32 v13, v10
	scratch_store_b128 off, v[10:13], off offset:736
	s_wait_loadcnt 0x0
	ds_store_b128 v8, v[2:5]
.LBB57_269:
	s_wait_xcnt 0x0
	s_or_b32 exec_lo, exec_lo, s2
	s_wait_storecnt_dscnt 0x0
	s_barrier_signal -1
	s_barrier_wait -1
	s_clause 0x9
	scratch_load_b128 v[4:7], off, off offset:752
	scratch_load_b128 v[10:13], off, off offset:768
	;; [unrolled: 1-line block ×10, first 2 shown]
	v_mov_b32_e32 v2, 0
	s_mov_b32 s2, exec_lo
	ds_load_b128 v[162:165], v2 offset:1680
	s_clause 0x1
	scratch_load_b128 v[166:169], off, off offset:912
	scratch_load_b128 v[170:173], off, off offset:736
	s_wait_loadcnt_dscnt 0xb00
	v_mul_f64_e32 v[178:179], v[164:165], v[6:7]
	v_mul_f64_e32 v[180:181], v[162:163], v[6:7]
	ds_load_b128 v[174:177], v2 offset:1696
	s_wait_loadcnt_dscnt 0xa00
	v_mul_f64_e32 v[182:183], v[174:175], v[12:13]
	v_mul_f64_e32 v[12:13], v[176:177], v[12:13]
	v_fma_f64 v[178:179], v[162:163], v[4:5], -v[178:179]
	v_fmac_f64_e32 v[180:181], v[164:165], v[4:5]
	ds_load_b128 v[4:7], v2 offset:1712
	ds_load_b128 v[162:165], v2 offset:1728
	s_wait_loadcnt_dscnt 0x901
	v_mul_f64_e32 v[184:185], v[4:5], v[132:133]
	v_mul_f64_e32 v[132:133], v[6:7], v[132:133]
	v_fmac_f64_e32 v[182:183], v[176:177], v[10:11]
	v_fma_f64 v[10:11], v[174:175], v[10:11], -v[12:13]
	s_wait_loadcnt_dscnt 0x800
	v_mul_f64_e32 v[176:177], v[162:163], v[136:137]
	v_mul_f64_e32 v[136:137], v[164:165], v[136:137]
	v_add_f64_e32 v[12:13], 0, v[178:179]
	v_add_f64_e32 v[174:175], 0, v[180:181]
	v_fmac_f64_e32 v[184:185], v[6:7], v[130:131]
	v_fma_f64 v[130:131], v[4:5], v[130:131], -v[132:133]
	v_fmac_f64_e32 v[176:177], v[164:165], v[134:135]
	v_fma_f64 v[134:135], v[162:163], v[134:135], -v[136:137]
	v_add_f64_e32 v[132:133], v[12:13], v[10:11]
	v_add_f64_e32 v[174:175], v[174:175], v[182:183]
	ds_load_b128 v[4:7], v2 offset:1744
	ds_load_b128 v[10:13], v2 offset:1760
	s_wait_loadcnt_dscnt 0x701
	v_mul_f64_e32 v[178:179], v[4:5], v[140:141]
	v_mul_f64_e32 v[140:141], v[6:7], v[140:141]
	s_wait_loadcnt_dscnt 0x600
	v_mul_f64_e32 v[136:137], v[10:11], v[144:145]
	v_mul_f64_e32 v[144:145], v[12:13], v[144:145]
	v_add_f64_e32 v[130:131], v[132:133], v[130:131]
	v_add_f64_e32 v[132:133], v[174:175], v[184:185]
	v_fmac_f64_e32 v[178:179], v[6:7], v[138:139]
	v_fma_f64 v[138:139], v[4:5], v[138:139], -v[140:141]
	v_fmac_f64_e32 v[136:137], v[12:13], v[142:143]
	v_fma_f64 v[10:11], v[10:11], v[142:143], -v[144:145]
	v_add_f64_e32 v[134:135], v[130:131], v[134:135]
	v_add_f64_e32 v[140:141], v[132:133], v[176:177]
	ds_load_b128 v[4:7], v2 offset:1776
	ds_load_b128 v[130:133], v2 offset:1792
	s_wait_loadcnt_dscnt 0x501
	v_mul_f64_e32 v[162:163], v[4:5], v[148:149]
	v_mul_f64_e32 v[148:149], v[6:7], v[148:149]
	v_add_f64_e32 v[12:13], v[134:135], v[138:139]
	v_add_f64_e32 v[134:135], v[140:141], v[178:179]
	s_wait_loadcnt_dscnt 0x400
	v_mul_f64_e32 v[138:139], v[130:131], v[152:153]
	v_mul_f64_e32 v[140:141], v[132:133], v[152:153]
	v_fmac_f64_e32 v[162:163], v[6:7], v[146:147]
	v_fma_f64 v[142:143], v[4:5], v[146:147], -v[148:149]
	v_add_f64_e32 v[144:145], v[12:13], v[10:11]
	v_add_f64_e32 v[134:135], v[134:135], v[136:137]
	ds_load_b128 v[4:7], v2 offset:1808
	ds_load_b128 v[10:13], v2 offset:1824
	v_fmac_f64_e32 v[138:139], v[132:133], v[150:151]
	v_fma_f64 v[130:131], v[130:131], v[150:151], -v[140:141]
	s_wait_loadcnt_dscnt 0x301
	v_mul_f64_e32 v[136:137], v[4:5], v[156:157]
	v_mul_f64_e32 v[146:147], v[6:7], v[156:157]
	s_wait_loadcnt_dscnt 0x200
	v_mul_f64_e32 v[140:141], v[10:11], v[160:161]
	v_add_f64_e32 v[132:133], v[144:145], v[142:143]
	v_add_f64_e32 v[134:135], v[134:135], v[162:163]
	v_mul_f64_e32 v[142:143], v[12:13], v[160:161]
	v_fmac_f64_e32 v[136:137], v[6:7], v[154:155]
	v_fma_f64 v[144:145], v[4:5], v[154:155], -v[146:147]
	ds_load_b128 v[4:7], v2 offset:1840
	v_fmac_f64_e32 v[140:141], v[12:13], v[158:159]
	v_add_f64_e32 v[130:131], v[132:133], v[130:131]
	v_add_f64_e32 v[132:133], v[134:135], v[138:139]
	v_fma_f64 v[10:11], v[10:11], v[158:159], -v[142:143]
	s_wait_loadcnt_dscnt 0x100
	v_mul_f64_e32 v[134:135], v[4:5], v[168:169]
	v_mul_f64_e32 v[138:139], v[6:7], v[168:169]
	v_add_f64_e32 v[12:13], v[130:131], v[144:145]
	v_add_f64_e32 v[130:131], v[132:133], v[136:137]
	s_delay_alu instid0(VALU_DEP_4) | instskip(NEXT) | instid1(VALU_DEP_4)
	v_fmac_f64_e32 v[134:135], v[6:7], v[166:167]
	v_fma_f64 v[4:5], v[4:5], v[166:167], -v[138:139]
	s_delay_alu instid0(VALU_DEP_4) | instskip(NEXT) | instid1(VALU_DEP_4)
	v_add_f64_e32 v[6:7], v[12:13], v[10:11]
	v_add_f64_e32 v[10:11], v[130:131], v[140:141]
	s_delay_alu instid0(VALU_DEP_2) | instskip(NEXT) | instid1(VALU_DEP_2)
	v_add_f64_e32 v[4:5], v[6:7], v[4:5]
	v_add_f64_e32 v[6:7], v[10:11], v[134:135]
	s_wait_loadcnt 0x0
	s_delay_alu instid0(VALU_DEP_2) | instskip(NEXT) | instid1(VALU_DEP_2)
	v_add_f64_e64 v[4:5], v[170:171], -v[4:5]
	v_add_f64_e64 v[6:7], v[172:173], -v[6:7]
	scratch_store_b128 off, v[4:7], off offset:736
	s_wait_xcnt 0x0
	v_cmpx_lt_u32_e32 45, v1
	s_cbranch_execz .LBB57_271
; %bb.270:
	scratch_load_b128 v[10:13], off, s12
	v_dual_mov_b32 v3, v2 :: v_dual_mov_b32 v4, v2
	v_mov_b32_e32 v5, v2
	scratch_store_b128 off, v[2:5], off offset:720
	s_wait_loadcnt 0x0
	ds_store_b128 v8, v[10:13]
.LBB57_271:
	s_wait_xcnt 0x0
	s_or_b32 exec_lo, exec_lo, s2
	s_wait_storecnt_dscnt 0x0
	s_barrier_signal -1
	s_barrier_wait -1
	s_clause 0x9
	scratch_load_b128 v[4:7], off, off offset:736
	scratch_load_b128 v[10:13], off, off offset:752
	;; [unrolled: 1-line block ×10, first 2 shown]
	ds_load_b128 v[162:165], v2 offset:1664
	ds_load_b128 v[170:173], v2 offset:1680
	s_clause 0x2
	scratch_load_b128 v[166:169], off, off offset:896
	scratch_load_b128 v[174:177], off, off offset:720
	;; [unrolled: 1-line block ×3, first 2 shown]
	s_mov_b32 s2, exec_lo
	s_wait_loadcnt_dscnt 0xc01
	v_mul_f64_e32 v[182:183], v[164:165], v[6:7]
	v_mul_f64_e32 v[184:185], v[162:163], v[6:7]
	s_wait_loadcnt_dscnt 0xb00
	v_mul_f64_e32 v[186:187], v[170:171], v[12:13]
	v_mul_f64_e32 v[12:13], v[172:173], v[12:13]
	s_delay_alu instid0(VALU_DEP_4) | instskip(NEXT) | instid1(VALU_DEP_4)
	v_fma_f64 v[182:183], v[162:163], v[4:5], -v[182:183]
	v_fmac_f64_e32 v[184:185], v[164:165], v[4:5]
	ds_load_b128 v[4:7], v2 offset:1696
	ds_load_b128 v[162:165], v2 offset:1712
	v_fmac_f64_e32 v[186:187], v[172:173], v[10:11]
	v_fma_f64 v[10:11], v[170:171], v[10:11], -v[12:13]
	s_wait_loadcnt_dscnt 0xa01
	v_mul_f64_e32 v[188:189], v[4:5], v[132:133]
	v_mul_f64_e32 v[132:133], v[6:7], v[132:133]
	s_wait_loadcnt_dscnt 0x900
	v_mul_f64_e32 v[172:173], v[162:163], v[136:137]
	v_mul_f64_e32 v[136:137], v[164:165], v[136:137]
	v_add_f64_e32 v[12:13], 0, v[182:183]
	v_add_f64_e32 v[170:171], 0, v[184:185]
	v_fmac_f64_e32 v[188:189], v[6:7], v[130:131]
	v_fma_f64 v[130:131], v[4:5], v[130:131], -v[132:133]
	v_fmac_f64_e32 v[172:173], v[164:165], v[134:135]
	v_fma_f64 v[134:135], v[162:163], v[134:135], -v[136:137]
	v_add_f64_e32 v[132:133], v[12:13], v[10:11]
	v_add_f64_e32 v[170:171], v[170:171], v[186:187]
	ds_load_b128 v[4:7], v2 offset:1728
	ds_load_b128 v[10:13], v2 offset:1744
	s_wait_loadcnt_dscnt 0x801
	v_mul_f64_e32 v[182:183], v[4:5], v[140:141]
	v_mul_f64_e32 v[140:141], v[6:7], v[140:141]
	s_wait_loadcnt_dscnt 0x700
	v_mul_f64_e32 v[136:137], v[10:11], v[144:145]
	v_mul_f64_e32 v[144:145], v[12:13], v[144:145]
	v_add_f64_e32 v[130:131], v[132:133], v[130:131]
	v_add_f64_e32 v[132:133], v[170:171], v[188:189]
	v_fmac_f64_e32 v[182:183], v[6:7], v[138:139]
	v_fma_f64 v[138:139], v[4:5], v[138:139], -v[140:141]
	v_fmac_f64_e32 v[136:137], v[12:13], v[142:143]
	v_fma_f64 v[10:11], v[10:11], v[142:143], -v[144:145]
	v_add_f64_e32 v[134:135], v[130:131], v[134:135]
	v_add_f64_e32 v[140:141], v[132:133], v[172:173]
	ds_load_b128 v[4:7], v2 offset:1760
	ds_load_b128 v[130:133], v2 offset:1776
	s_wait_loadcnt_dscnt 0x601
	v_mul_f64_e32 v[162:163], v[4:5], v[148:149]
	v_mul_f64_e32 v[148:149], v[6:7], v[148:149]
	v_add_f64_e32 v[12:13], v[134:135], v[138:139]
	v_add_f64_e32 v[134:135], v[140:141], v[182:183]
	s_wait_loadcnt_dscnt 0x500
	v_mul_f64_e32 v[138:139], v[130:131], v[152:153]
	v_mul_f64_e32 v[140:141], v[132:133], v[152:153]
	v_fmac_f64_e32 v[162:163], v[6:7], v[146:147]
	v_fma_f64 v[142:143], v[4:5], v[146:147], -v[148:149]
	v_add_f64_e32 v[144:145], v[12:13], v[10:11]
	v_add_f64_e32 v[134:135], v[134:135], v[136:137]
	ds_load_b128 v[4:7], v2 offset:1792
	ds_load_b128 v[10:13], v2 offset:1808
	v_fmac_f64_e32 v[138:139], v[132:133], v[150:151]
	v_fma_f64 v[130:131], v[130:131], v[150:151], -v[140:141]
	s_wait_loadcnt_dscnt 0x401
	v_mul_f64_e32 v[136:137], v[4:5], v[156:157]
	v_mul_f64_e32 v[146:147], v[6:7], v[156:157]
	s_wait_loadcnt_dscnt 0x300
	v_mul_f64_e32 v[140:141], v[10:11], v[160:161]
	v_add_f64_e32 v[132:133], v[144:145], v[142:143]
	v_add_f64_e32 v[134:135], v[134:135], v[162:163]
	v_mul_f64_e32 v[142:143], v[12:13], v[160:161]
	v_fmac_f64_e32 v[136:137], v[6:7], v[154:155]
	v_fma_f64 v[144:145], v[4:5], v[154:155], -v[146:147]
	v_fmac_f64_e32 v[140:141], v[12:13], v[158:159]
	v_add_f64_e32 v[146:147], v[132:133], v[130:131]
	v_add_f64_e32 v[134:135], v[134:135], v[138:139]
	ds_load_b128 v[4:7], v2 offset:1824
	ds_load_b128 v[130:133], v2 offset:1840
	v_fma_f64 v[10:11], v[10:11], v[158:159], -v[142:143]
	s_wait_loadcnt_dscnt 0x201
	v_mul_f64_e32 v[2:3], v[4:5], v[168:169]
	v_mul_f64_e32 v[138:139], v[6:7], v[168:169]
	s_wait_loadcnt_dscnt 0x0
	v_mul_f64_e32 v[142:143], v[132:133], v[180:181]
	v_add_f64_e32 v[12:13], v[146:147], v[144:145]
	v_add_f64_e32 v[134:135], v[134:135], v[136:137]
	v_mul_f64_e32 v[136:137], v[130:131], v[180:181]
	v_fmac_f64_e32 v[2:3], v[6:7], v[166:167]
	v_fma_f64 v[4:5], v[4:5], v[166:167], -v[138:139]
	v_add_f64_e32 v[6:7], v[12:13], v[10:11]
	v_add_f64_e32 v[10:11], v[134:135], v[140:141]
	v_fmac_f64_e32 v[136:137], v[132:133], v[178:179]
	v_fma_f64 v[12:13], v[130:131], v[178:179], -v[142:143]
	s_delay_alu instid0(VALU_DEP_4) | instskip(NEXT) | instid1(VALU_DEP_4)
	v_add_f64_e32 v[4:5], v[6:7], v[4:5]
	v_add_f64_e32 v[2:3], v[10:11], v[2:3]
	s_delay_alu instid0(VALU_DEP_2) | instskip(NEXT) | instid1(VALU_DEP_2)
	v_add_f64_e32 v[4:5], v[4:5], v[12:13]
	v_add_f64_e32 v[6:7], v[2:3], v[136:137]
	s_delay_alu instid0(VALU_DEP_2) | instskip(NEXT) | instid1(VALU_DEP_2)
	v_add_f64_e64 v[2:3], v[174:175], -v[4:5]
	v_add_f64_e64 v[4:5], v[176:177], -v[6:7]
	scratch_store_b128 off, v[2:5], off offset:720
	s_wait_xcnt 0x0
	v_cmpx_lt_u32_e32 44, v1
	s_cbranch_execz .LBB57_273
; %bb.272:
	scratch_load_b128 v[2:5], off, s15
	v_mov_b32_e32 v10, 0
	s_delay_alu instid0(VALU_DEP_1)
	v_dual_mov_b32 v11, v10 :: v_dual_mov_b32 v12, v10
	v_mov_b32_e32 v13, v10
	scratch_store_b128 off, v[10:13], off offset:704
	s_wait_loadcnt 0x0
	ds_store_b128 v8, v[2:5]
.LBB57_273:
	s_wait_xcnt 0x0
	s_or_b32 exec_lo, exec_lo, s2
	s_wait_storecnt_dscnt 0x0
	s_barrier_signal -1
	s_barrier_wait -1
	s_clause 0x9
	scratch_load_b128 v[4:7], off, off offset:720
	scratch_load_b128 v[10:13], off, off offset:736
	;; [unrolled: 1-line block ×10, first 2 shown]
	v_mov_b32_e32 v2, 0
	s_mov_b32 s2, exec_lo
	ds_load_b128 v[162:165], v2 offset:1648
	s_clause 0x2
	scratch_load_b128 v[166:169], off, off offset:880
	scratch_load_b128 v[170:173], off, off offset:704
	;; [unrolled: 1-line block ×3, first 2 shown]
	s_wait_loadcnt_dscnt 0xc00
	v_mul_f64_e32 v[182:183], v[164:165], v[6:7]
	v_mul_f64_e32 v[186:187], v[162:163], v[6:7]
	ds_load_b128 v[174:177], v2 offset:1664
	v_fma_f64 v[190:191], v[162:163], v[4:5], -v[182:183]
	v_fmac_f64_e32 v[186:187], v[164:165], v[4:5]
	ds_load_b128 v[4:7], v2 offset:1680
	s_wait_loadcnt_dscnt 0xb01
	v_mul_f64_e32 v[188:189], v[174:175], v[12:13]
	v_mul_f64_e32 v[12:13], v[176:177], v[12:13]
	scratch_load_b128 v[162:165], off, off offset:912
	ds_load_b128 v[182:185], v2 offset:1696
	s_wait_loadcnt_dscnt 0xb01
	v_mul_f64_e32 v[192:193], v[4:5], v[132:133]
	v_mul_f64_e32 v[132:133], v[6:7], v[132:133]
	v_fmac_f64_e32 v[188:189], v[176:177], v[10:11]
	v_fma_f64 v[10:11], v[174:175], v[10:11], -v[12:13]
	v_add_f64_e32 v[12:13], 0, v[190:191]
	v_add_f64_e32 v[174:175], 0, v[186:187]
	s_wait_loadcnt_dscnt 0xa00
	v_mul_f64_e32 v[176:177], v[182:183], v[136:137]
	v_mul_f64_e32 v[136:137], v[184:185], v[136:137]
	v_fmac_f64_e32 v[192:193], v[6:7], v[130:131]
	v_fma_f64 v[130:131], v[4:5], v[130:131], -v[132:133]
	v_add_f64_e32 v[132:133], v[12:13], v[10:11]
	v_add_f64_e32 v[174:175], v[174:175], v[188:189]
	ds_load_b128 v[4:7], v2 offset:1712
	ds_load_b128 v[10:13], v2 offset:1728
	v_fmac_f64_e32 v[176:177], v[184:185], v[134:135]
	v_fma_f64 v[134:135], v[182:183], v[134:135], -v[136:137]
	s_wait_loadcnt_dscnt 0x901
	v_mul_f64_e32 v[186:187], v[4:5], v[140:141]
	v_mul_f64_e32 v[140:141], v[6:7], v[140:141]
	s_wait_loadcnt_dscnt 0x800
	v_mul_f64_e32 v[136:137], v[10:11], v[144:145]
	v_mul_f64_e32 v[144:145], v[12:13], v[144:145]
	v_add_f64_e32 v[130:131], v[132:133], v[130:131]
	v_add_f64_e32 v[132:133], v[174:175], v[192:193]
	v_fmac_f64_e32 v[186:187], v[6:7], v[138:139]
	v_fma_f64 v[138:139], v[4:5], v[138:139], -v[140:141]
	v_fmac_f64_e32 v[136:137], v[12:13], v[142:143]
	v_fma_f64 v[10:11], v[10:11], v[142:143], -v[144:145]
	v_add_f64_e32 v[134:135], v[130:131], v[134:135]
	v_add_f64_e32 v[140:141], v[132:133], v[176:177]
	ds_load_b128 v[4:7], v2 offset:1744
	ds_load_b128 v[130:133], v2 offset:1760
	s_wait_loadcnt_dscnt 0x701
	v_mul_f64_e32 v[174:175], v[4:5], v[148:149]
	v_mul_f64_e32 v[148:149], v[6:7], v[148:149]
	v_add_f64_e32 v[12:13], v[134:135], v[138:139]
	v_add_f64_e32 v[134:135], v[140:141], v[186:187]
	s_wait_loadcnt_dscnt 0x600
	v_mul_f64_e32 v[138:139], v[130:131], v[152:153]
	v_mul_f64_e32 v[140:141], v[132:133], v[152:153]
	v_fmac_f64_e32 v[174:175], v[6:7], v[146:147]
	v_fma_f64 v[142:143], v[4:5], v[146:147], -v[148:149]
	v_add_f64_e32 v[144:145], v[12:13], v[10:11]
	v_add_f64_e32 v[134:135], v[134:135], v[136:137]
	ds_load_b128 v[4:7], v2 offset:1776
	ds_load_b128 v[10:13], v2 offset:1792
	v_fmac_f64_e32 v[138:139], v[132:133], v[150:151]
	v_fma_f64 v[130:131], v[130:131], v[150:151], -v[140:141]
	s_wait_loadcnt_dscnt 0x501
	v_mul_f64_e32 v[136:137], v[4:5], v[156:157]
	v_mul_f64_e32 v[146:147], v[6:7], v[156:157]
	s_wait_loadcnt_dscnt 0x400
	v_mul_f64_e32 v[140:141], v[10:11], v[160:161]
	v_add_f64_e32 v[132:133], v[144:145], v[142:143]
	v_add_f64_e32 v[134:135], v[134:135], v[174:175]
	v_mul_f64_e32 v[142:143], v[12:13], v[160:161]
	v_fmac_f64_e32 v[136:137], v[6:7], v[154:155]
	v_fma_f64 v[144:145], v[4:5], v[154:155], -v[146:147]
	v_fmac_f64_e32 v[140:141], v[12:13], v[158:159]
	v_add_f64_e32 v[146:147], v[132:133], v[130:131]
	v_add_f64_e32 v[134:135], v[134:135], v[138:139]
	ds_load_b128 v[4:7], v2 offset:1808
	ds_load_b128 v[130:133], v2 offset:1824
	v_fma_f64 v[10:11], v[10:11], v[158:159], -v[142:143]
	s_wait_loadcnt_dscnt 0x301
	v_mul_f64_e32 v[138:139], v[4:5], v[168:169]
	v_mul_f64_e32 v[148:149], v[6:7], v[168:169]
	s_wait_loadcnt_dscnt 0x100
	v_mul_f64_e32 v[142:143], v[132:133], v[180:181]
	v_add_f64_e32 v[12:13], v[146:147], v[144:145]
	v_add_f64_e32 v[134:135], v[134:135], v[136:137]
	v_mul_f64_e32 v[136:137], v[130:131], v[180:181]
	v_fmac_f64_e32 v[138:139], v[6:7], v[166:167]
	v_fma_f64 v[144:145], v[4:5], v[166:167], -v[148:149]
	ds_load_b128 v[4:7], v2 offset:1840
	v_fma_f64 v[130:131], v[130:131], v[178:179], -v[142:143]
	v_add_f64_e32 v[10:11], v[12:13], v[10:11]
	v_add_f64_e32 v[12:13], v[134:135], v[140:141]
	v_fmac_f64_e32 v[136:137], v[132:133], v[178:179]
	s_wait_loadcnt_dscnt 0x0
	v_mul_f64_e32 v[134:135], v[4:5], v[164:165]
	v_mul_f64_e32 v[140:141], v[6:7], v[164:165]
	v_add_f64_e32 v[10:11], v[10:11], v[144:145]
	v_add_f64_e32 v[12:13], v[12:13], v[138:139]
	s_delay_alu instid0(VALU_DEP_4) | instskip(NEXT) | instid1(VALU_DEP_4)
	v_fmac_f64_e32 v[134:135], v[6:7], v[162:163]
	v_fma_f64 v[4:5], v[4:5], v[162:163], -v[140:141]
	s_delay_alu instid0(VALU_DEP_4) | instskip(NEXT) | instid1(VALU_DEP_4)
	v_add_f64_e32 v[6:7], v[10:11], v[130:131]
	v_add_f64_e32 v[10:11], v[12:13], v[136:137]
	s_delay_alu instid0(VALU_DEP_2) | instskip(NEXT) | instid1(VALU_DEP_2)
	v_add_f64_e32 v[4:5], v[6:7], v[4:5]
	v_add_f64_e32 v[6:7], v[10:11], v[134:135]
	s_delay_alu instid0(VALU_DEP_2) | instskip(NEXT) | instid1(VALU_DEP_2)
	v_add_f64_e64 v[4:5], v[170:171], -v[4:5]
	v_add_f64_e64 v[6:7], v[172:173], -v[6:7]
	scratch_store_b128 off, v[4:7], off offset:704
	s_wait_xcnt 0x0
	v_cmpx_lt_u32_e32 43, v1
	s_cbranch_execz .LBB57_275
; %bb.274:
	scratch_load_b128 v[10:13], off, s14
	v_dual_mov_b32 v3, v2 :: v_dual_mov_b32 v4, v2
	v_mov_b32_e32 v5, v2
	scratch_store_b128 off, v[2:5], off offset:688
	s_wait_loadcnt 0x0
	ds_store_b128 v8, v[10:13]
.LBB57_275:
	s_wait_xcnt 0x0
	s_or_b32 exec_lo, exec_lo, s2
	s_wait_storecnt_dscnt 0x0
	s_barrier_signal -1
	s_barrier_wait -1
	s_clause 0x9
	scratch_load_b128 v[4:7], off, off offset:704
	scratch_load_b128 v[10:13], off, off offset:720
	;; [unrolled: 1-line block ×10, first 2 shown]
	ds_load_b128 v[162:165], v2 offset:1632
	ds_load_b128 v[170:173], v2 offset:1648
	s_clause 0x2
	scratch_load_b128 v[166:169], off, off offset:864
	scratch_load_b128 v[174:177], off, off offset:688
	;; [unrolled: 1-line block ×3, first 2 shown]
	s_mov_b32 s2, exec_lo
	s_wait_loadcnt_dscnt 0xc01
	v_mul_f64_e32 v[182:183], v[164:165], v[6:7]
	v_mul_f64_e32 v[186:187], v[162:163], v[6:7]
	s_wait_loadcnt_dscnt 0xb00
	v_mul_f64_e32 v[188:189], v[170:171], v[12:13]
	v_mul_f64_e32 v[12:13], v[172:173], v[12:13]
	s_delay_alu instid0(VALU_DEP_4) | instskip(NEXT) | instid1(VALU_DEP_4)
	v_fma_f64 v[190:191], v[162:163], v[4:5], -v[182:183]
	v_fmac_f64_e32 v[186:187], v[164:165], v[4:5]
	ds_load_b128 v[4:7], v2 offset:1664
	ds_load_b128 v[162:165], v2 offset:1680
	scratch_load_b128 v[182:185], off, off offset:896
	v_fmac_f64_e32 v[188:189], v[172:173], v[10:11]
	v_fma_f64 v[170:171], v[170:171], v[10:11], -v[12:13]
	scratch_load_b128 v[10:13], off, off offset:912
	s_wait_loadcnt_dscnt 0xc01
	v_mul_f64_e32 v[192:193], v[4:5], v[132:133]
	v_mul_f64_e32 v[132:133], v[6:7], v[132:133]
	v_add_f64_e32 v[172:173], 0, v[190:191]
	v_add_f64_e32 v[186:187], 0, v[186:187]
	s_wait_loadcnt_dscnt 0xb00
	v_mul_f64_e32 v[190:191], v[162:163], v[136:137]
	v_mul_f64_e32 v[136:137], v[164:165], v[136:137]
	v_fmac_f64_e32 v[192:193], v[6:7], v[130:131]
	v_fma_f64 v[194:195], v[4:5], v[130:131], -v[132:133]
	ds_load_b128 v[4:7], v2 offset:1696
	ds_load_b128 v[130:133], v2 offset:1712
	v_add_f64_e32 v[170:171], v[172:173], v[170:171]
	v_add_f64_e32 v[172:173], v[186:187], v[188:189]
	v_fmac_f64_e32 v[190:191], v[164:165], v[134:135]
	v_fma_f64 v[134:135], v[162:163], v[134:135], -v[136:137]
	s_wait_loadcnt_dscnt 0xa01
	v_mul_f64_e32 v[186:187], v[4:5], v[140:141]
	v_mul_f64_e32 v[140:141], v[6:7], v[140:141]
	s_wait_loadcnt_dscnt 0x900
	v_mul_f64_e32 v[164:165], v[130:131], v[144:145]
	v_mul_f64_e32 v[144:145], v[132:133], v[144:145]
	v_add_f64_e32 v[136:137], v[170:171], v[194:195]
	v_add_f64_e32 v[162:163], v[172:173], v[192:193]
	v_fmac_f64_e32 v[186:187], v[6:7], v[138:139]
	v_fma_f64 v[138:139], v[4:5], v[138:139], -v[140:141]
	v_fmac_f64_e32 v[164:165], v[132:133], v[142:143]
	v_fma_f64 v[130:131], v[130:131], v[142:143], -v[144:145]
	v_add_f64_e32 v[140:141], v[136:137], v[134:135]
	v_add_f64_e32 v[162:163], v[162:163], v[190:191]
	ds_load_b128 v[4:7], v2 offset:1728
	ds_load_b128 v[134:137], v2 offset:1744
	s_wait_loadcnt_dscnt 0x801
	v_mul_f64_e32 v[170:171], v[4:5], v[148:149]
	v_mul_f64_e32 v[148:149], v[6:7], v[148:149]
	s_wait_loadcnt_dscnt 0x700
	v_mul_f64_e32 v[142:143], v[136:137], v[152:153]
	v_add_f64_e32 v[132:133], v[140:141], v[138:139]
	v_add_f64_e32 v[138:139], v[162:163], v[186:187]
	v_mul_f64_e32 v[140:141], v[134:135], v[152:153]
	v_fmac_f64_e32 v[170:171], v[6:7], v[146:147]
	v_fma_f64 v[144:145], v[4:5], v[146:147], -v[148:149]
	v_fma_f64 v[134:135], v[134:135], v[150:151], -v[142:143]
	v_add_f64_e32 v[146:147], v[132:133], v[130:131]
	v_add_f64_e32 v[138:139], v[138:139], v[164:165]
	ds_load_b128 v[4:7], v2 offset:1760
	ds_load_b128 v[130:133], v2 offset:1776
	v_fmac_f64_e32 v[140:141], v[136:137], v[150:151]
	s_wait_loadcnt_dscnt 0x601
	v_mul_f64_e32 v[148:149], v[4:5], v[156:157]
	v_mul_f64_e32 v[152:153], v[6:7], v[156:157]
	s_wait_loadcnt_dscnt 0x500
	v_mul_f64_e32 v[142:143], v[130:131], v[160:161]
	v_add_f64_e32 v[136:137], v[146:147], v[144:145]
	v_add_f64_e32 v[138:139], v[138:139], v[170:171]
	v_mul_f64_e32 v[144:145], v[132:133], v[160:161]
	v_fmac_f64_e32 v[148:149], v[6:7], v[154:155]
	v_fma_f64 v[146:147], v[4:5], v[154:155], -v[152:153]
	v_fmac_f64_e32 v[142:143], v[132:133], v[158:159]
	v_add_f64_e32 v[150:151], v[136:137], v[134:135]
	v_add_f64_e32 v[138:139], v[138:139], v[140:141]
	ds_load_b128 v[4:7], v2 offset:1792
	ds_load_b128 v[134:137], v2 offset:1808
	v_fma_f64 v[130:131], v[130:131], v[158:159], -v[144:145]
	s_wait_loadcnt_dscnt 0x401
	v_mul_f64_e32 v[140:141], v[4:5], v[168:169]
	v_mul_f64_e32 v[152:153], v[6:7], v[168:169]
	s_wait_loadcnt_dscnt 0x200
	v_mul_f64_e32 v[144:145], v[134:135], v[180:181]
	v_add_f64_e32 v[132:133], v[150:151], v[146:147]
	v_add_f64_e32 v[138:139], v[138:139], v[148:149]
	v_mul_f64_e32 v[146:147], v[136:137], v[180:181]
	v_fmac_f64_e32 v[140:141], v[6:7], v[166:167]
	v_fma_f64 v[148:149], v[4:5], v[166:167], -v[152:153]
	v_fmac_f64_e32 v[144:145], v[136:137], v[178:179]
	v_add_f64_e32 v[150:151], v[132:133], v[130:131]
	v_add_f64_e32 v[138:139], v[138:139], v[142:143]
	ds_load_b128 v[4:7], v2 offset:1824
	ds_load_b128 v[130:133], v2 offset:1840
	v_fma_f64 v[134:135], v[134:135], v[178:179], -v[146:147]
	s_wait_loadcnt_dscnt 0x101
	v_mul_f64_e32 v[2:3], v[4:5], v[184:185]
	v_mul_f64_e32 v[142:143], v[6:7], v[184:185]
	v_add_f64_e32 v[136:137], v[150:151], v[148:149]
	v_add_f64_e32 v[138:139], v[138:139], v[140:141]
	s_wait_loadcnt_dscnt 0x0
	v_mul_f64_e32 v[140:141], v[130:131], v[12:13]
	v_mul_f64_e32 v[12:13], v[132:133], v[12:13]
	v_fmac_f64_e32 v[2:3], v[6:7], v[182:183]
	v_fma_f64 v[4:5], v[4:5], v[182:183], -v[142:143]
	v_add_f64_e32 v[6:7], v[136:137], v[134:135]
	v_add_f64_e32 v[134:135], v[138:139], v[144:145]
	v_fmac_f64_e32 v[140:141], v[132:133], v[10:11]
	v_fma_f64 v[10:11], v[130:131], v[10:11], -v[12:13]
	s_delay_alu instid0(VALU_DEP_4) | instskip(NEXT) | instid1(VALU_DEP_4)
	v_add_f64_e32 v[4:5], v[6:7], v[4:5]
	v_add_f64_e32 v[2:3], v[134:135], v[2:3]
	s_delay_alu instid0(VALU_DEP_2) | instskip(NEXT) | instid1(VALU_DEP_2)
	v_add_f64_e32 v[4:5], v[4:5], v[10:11]
	v_add_f64_e32 v[6:7], v[2:3], v[140:141]
	s_delay_alu instid0(VALU_DEP_2) | instskip(NEXT) | instid1(VALU_DEP_2)
	v_add_f64_e64 v[2:3], v[174:175], -v[4:5]
	v_add_f64_e64 v[4:5], v[176:177], -v[6:7]
	scratch_store_b128 off, v[2:5], off offset:688
	s_wait_xcnt 0x0
	v_cmpx_lt_u32_e32 42, v1
	s_cbranch_execz .LBB57_277
; %bb.276:
	scratch_load_b128 v[2:5], off, s21
	v_mov_b32_e32 v10, 0
	s_delay_alu instid0(VALU_DEP_1)
	v_dual_mov_b32 v11, v10 :: v_dual_mov_b32 v12, v10
	v_mov_b32_e32 v13, v10
	scratch_store_b128 off, v[10:13], off offset:672
	s_wait_loadcnt 0x0
	ds_store_b128 v8, v[2:5]
.LBB57_277:
	s_wait_xcnt 0x0
	s_or_b32 exec_lo, exec_lo, s2
	s_wait_storecnt_dscnt 0x0
	s_barrier_signal -1
	s_barrier_wait -1
	s_clause 0x9
	scratch_load_b128 v[4:7], off, off offset:688
	scratch_load_b128 v[10:13], off, off offset:704
	;; [unrolled: 1-line block ×10, first 2 shown]
	v_mov_b32_e32 v2, 0
	s_mov_b32 s2, exec_lo
	ds_load_b128 v[162:165], v2 offset:1616
	s_clause 0x2
	scratch_load_b128 v[166:169], off, off offset:848
	scratch_load_b128 v[170:173], off, off offset:672
	;; [unrolled: 1-line block ×3, first 2 shown]
	s_wait_loadcnt_dscnt 0xc00
	v_mul_f64_e32 v[182:183], v[164:165], v[6:7]
	v_mul_f64_e32 v[186:187], v[162:163], v[6:7]
	ds_load_b128 v[174:177], v2 offset:1632
	v_fma_f64 v[190:191], v[162:163], v[4:5], -v[182:183]
	v_fmac_f64_e32 v[186:187], v[164:165], v[4:5]
	ds_load_b128 v[4:7], v2 offset:1648
	s_wait_loadcnt_dscnt 0xb01
	v_mul_f64_e32 v[188:189], v[174:175], v[12:13]
	v_mul_f64_e32 v[12:13], v[176:177], v[12:13]
	scratch_load_b128 v[162:165], off, off offset:880
	ds_load_b128 v[182:185], v2 offset:1664
	s_wait_loadcnt_dscnt 0xb01
	v_mul_f64_e32 v[192:193], v[4:5], v[132:133]
	v_mul_f64_e32 v[132:133], v[6:7], v[132:133]
	v_add_f64_e32 v[186:187], 0, v[186:187]
	v_fmac_f64_e32 v[188:189], v[176:177], v[10:11]
	v_fma_f64 v[174:175], v[174:175], v[10:11], -v[12:13]
	v_add_f64_e32 v[176:177], 0, v[190:191]
	scratch_load_b128 v[10:13], off, off offset:896
	v_fmac_f64_e32 v[192:193], v[6:7], v[130:131]
	v_fma_f64 v[194:195], v[4:5], v[130:131], -v[132:133]
	ds_load_b128 v[4:7], v2 offset:1680
	s_wait_loadcnt_dscnt 0xb01
	v_mul_f64_e32 v[190:191], v[182:183], v[136:137]
	v_mul_f64_e32 v[136:137], v[184:185], v[136:137]
	scratch_load_b128 v[130:133], off, off offset:912
	v_add_f64_e32 v[186:187], v[186:187], v[188:189]
	v_add_f64_e32 v[196:197], v[176:177], v[174:175]
	ds_load_b128 v[174:177], v2 offset:1696
	s_wait_loadcnt_dscnt 0xb01
	v_mul_f64_e32 v[188:189], v[4:5], v[140:141]
	v_mul_f64_e32 v[140:141], v[6:7], v[140:141]
	v_fmac_f64_e32 v[190:191], v[184:185], v[134:135]
	v_fma_f64 v[134:135], v[182:183], v[134:135], -v[136:137]
	s_wait_loadcnt_dscnt 0xa00
	v_mul_f64_e32 v[184:185], v[174:175], v[144:145]
	v_mul_f64_e32 v[144:145], v[176:177], v[144:145]
	v_add_f64_e32 v[182:183], v[186:187], v[192:193]
	v_add_f64_e32 v[136:137], v[196:197], v[194:195]
	v_fmac_f64_e32 v[188:189], v[6:7], v[138:139]
	v_fma_f64 v[138:139], v[4:5], v[138:139], -v[140:141]
	v_fmac_f64_e32 v[184:185], v[176:177], v[142:143]
	v_fma_f64 v[142:143], v[174:175], v[142:143], -v[144:145]
	v_add_f64_e32 v[182:183], v[182:183], v[190:191]
	v_add_f64_e32 v[140:141], v[136:137], v[134:135]
	ds_load_b128 v[4:7], v2 offset:1712
	ds_load_b128 v[134:137], v2 offset:1728
	s_wait_loadcnt_dscnt 0x901
	v_mul_f64_e32 v[186:187], v[4:5], v[148:149]
	v_mul_f64_e32 v[148:149], v[6:7], v[148:149]
	s_wait_loadcnt_dscnt 0x800
	v_mul_f64_e32 v[144:145], v[134:135], v[152:153]
	v_mul_f64_e32 v[152:153], v[136:137], v[152:153]
	v_add_f64_e32 v[138:139], v[140:141], v[138:139]
	v_add_f64_e32 v[140:141], v[182:183], v[188:189]
	v_fmac_f64_e32 v[186:187], v[6:7], v[146:147]
	v_fma_f64 v[146:147], v[4:5], v[146:147], -v[148:149]
	v_fmac_f64_e32 v[144:145], v[136:137], v[150:151]
	v_fma_f64 v[134:135], v[134:135], v[150:151], -v[152:153]
	v_add_f64_e32 v[142:143], v[138:139], v[142:143]
	v_add_f64_e32 v[148:149], v[140:141], v[184:185]
	ds_load_b128 v[4:7], v2 offset:1744
	ds_load_b128 v[138:141], v2 offset:1760
	s_wait_loadcnt_dscnt 0x701
	v_mul_f64_e32 v[174:175], v[4:5], v[156:157]
	v_mul_f64_e32 v[156:157], v[6:7], v[156:157]
	v_add_f64_e32 v[136:137], v[142:143], v[146:147]
	v_add_f64_e32 v[142:143], v[148:149], v[186:187]
	s_wait_loadcnt_dscnt 0x600
	v_mul_f64_e32 v[146:147], v[138:139], v[160:161]
	v_mul_f64_e32 v[148:149], v[140:141], v[160:161]
	v_fmac_f64_e32 v[174:175], v[6:7], v[154:155]
	v_fma_f64 v[150:151], v[4:5], v[154:155], -v[156:157]
	v_add_f64_e32 v[152:153], v[136:137], v[134:135]
	v_add_f64_e32 v[142:143], v[142:143], v[144:145]
	ds_load_b128 v[4:7], v2 offset:1776
	ds_load_b128 v[134:137], v2 offset:1792
	v_fmac_f64_e32 v[146:147], v[140:141], v[158:159]
	v_fma_f64 v[138:139], v[138:139], v[158:159], -v[148:149]
	s_wait_loadcnt_dscnt 0x501
	v_mul_f64_e32 v[144:145], v[4:5], v[168:169]
	v_mul_f64_e32 v[154:155], v[6:7], v[168:169]
	s_wait_loadcnt_dscnt 0x300
	v_mul_f64_e32 v[148:149], v[134:135], v[180:181]
	v_add_f64_e32 v[140:141], v[152:153], v[150:151]
	v_add_f64_e32 v[142:143], v[142:143], v[174:175]
	v_mul_f64_e32 v[150:151], v[136:137], v[180:181]
	v_fmac_f64_e32 v[144:145], v[6:7], v[166:167]
	v_fma_f64 v[152:153], v[4:5], v[166:167], -v[154:155]
	v_fmac_f64_e32 v[148:149], v[136:137], v[178:179]
	v_add_f64_e32 v[154:155], v[140:141], v[138:139]
	v_add_f64_e32 v[142:143], v[142:143], v[146:147]
	ds_load_b128 v[4:7], v2 offset:1808
	ds_load_b128 v[138:141], v2 offset:1824
	v_fma_f64 v[134:135], v[134:135], v[178:179], -v[150:151]
	s_wait_loadcnt_dscnt 0x201
	v_mul_f64_e32 v[146:147], v[4:5], v[164:165]
	v_mul_f64_e32 v[156:157], v[6:7], v[164:165]
	v_add_f64_e32 v[136:137], v[154:155], v[152:153]
	v_add_f64_e32 v[142:143], v[142:143], v[144:145]
	s_wait_loadcnt_dscnt 0x100
	v_mul_f64_e32 v[144:145], v[138:139], v[12:13]
	v_mul_f64_e32 v[12:13], v[140:141], v[12:13]
	v_fmac_f64_e32 v[146:147], v[6:7], v[162:163]
	v_fma_f64 v[150:151], v[4:5], v[162:163], -v[156:157]
	ds_load_b128 v[4:7], v2 offset:1840
	v_add_f64_e32 v[134:135], v[136:137], v[134:135]
	v_add_f64_e32 v[136:137], v[142:143], v[148:149]
	v_fmac_f64_e32 v[144:145], v[140:141], v[10:11]
	v_fma_f64 v[10:11], v[138:139], v[10:11], -v[12:13]
	s_wait_loadcnt_dscnt 0x0
	v_mul_f64_e32 v[142:143], v[4:5], v[132:133]
	v_mul_f64_e32 v[132:133], v[6:7], v[132:133]
	v_add_f64_e32 v[12:13], v[134:135], v[150:151]
	v_add_f64_e32 v[134:135], v[136:137], v[146:147]
	s_delay_alu instid0(VALU_DEP_4) | instskip(NEXT) | instid1(VALU_DEP_4)
	v_fmac_f64_e32 v[142:143], v[6:7], v[130:131]
	v_fma_f64 v[4:5], v[4:5], v[130:131], -v[132:133]
	s_delay_alu instid0(VALU_DEP_4) | instskip(NEXT) | instid1(VALU_DEP_4)
	v_add_f64_e32 v[6:7], v[12:13], v[10:11]
	v_add_f64_e32 v[10:11], v[134:135], v[144:145]
	s_delay_alu instid0(VALU_DEP_2) | instskip(NEXT) | instid1(VALU_DEP_2)
	v_add_f64_e32 v[4:5], v[6:7], v[4:5]
	v_add_f64_e32 v[6:7], v[10:11], v[142:143]
	s_delay_alu instid0(VALU_DEP_2) | instskip(NEXT) | instid1(VALU_DEP_2)
	v_add_f64_e64 v[4:5], v[170:171], -v[4:5]
	v_add_f64_e64 v[6:7], v[172:173], -v[6:7]
	scratch_store_b128 off, v[4:7], off offset:672
	s_wait_xcnt 0x0
	v_cmpx_lt_u32_e32 41, v1
	s_cbranch_execz .LBB57_279
; %bb.278:
	scratch_load_b128 v[10:13], off, s20
	v_dual_mov_b32 v3, v2 :: v_dual_mov_b32 v4, v2
	v_mov_b32_e32 v5, v2
	scratch_store_b128 off, v[2:5], off offset:656
	s_wait_loadcnt 0x0
	ds_store_b128 v8, v[10:13]
.LBB57_279:
	s_wait_xcnt 0x0
	s_or_b32 exec_lo, exec_lo, s2
	s_wait_storecnt_dscnt 0x0
	s_barrier_signal -1
	s_barrier_wait -1
	s_clause 0x9
	scratch_load_b128 v[4:7], off, off offset:672
	scratch_load_b128 v[10:13], off, off offset:688
	;; [unrolled: 1-line block ×10, first 2 shown]
	ds_load_b128 v[162:165], v2 offset:1600
	ds_load_b128 v[170:173], v2 offset:1616
	s_clause 0x2
	scratch_load_b128 v[166:169], off, off offset:832
	scratch_load_b128 v[174:177], off, off offset:656
	;; [unrolled: 1-line block ×3, first 2 shown]
	s_mov_b32 s2, exec_lo
	s_wait_loadcnt_dscnt 0xc01
	v_mul_f64_e32 v[182:183], v[164:165], v[6:7]
	v_mul_f64_e32 v[186:187], v[162:163], v[6:7]
	s_wait_loadcnt_dscnt 0xb00
	v_mul_f64_e32 v[188:189], v[170:171], v[12:13]
	v_mul_f64_e32 v[12:13], v[172:173], v[12:13]
	s_delay_alu instid0(VALU_DEP_4) | instskip(NEXT) | instid1(VALU_DEP_4)
	v_fma_f64 v[190:191], v[162:163], v[4:5], -v[182:183]
	v_fmac_f64_e32 v[186:187], v[164:165], v[4:5]
	ds_load_b128 v[4:7], v2 offset:1632
	ds_load_b128 v[162:165], v2 offset:1648
	scratch_load_b128 v[182:185], off, off offset:864
	v_fmac_f64_e32 v[188:189], v[172:173], v[10:11]
	v_fma_f64 v[170:171], v[170:171], v[10:11], -v[12:13]
	scratch_load_b128 v[10:13], off, off offset:880
	s_wait_loadcnt_dscnt 0xc01
	v_mul_f64_e32 v[192:193], v[4:5], v[132:133]
	v_mul_f64_e32 v[132:133], v[6:7], v[132:133]
	v_add_f64_e32 v[172:173], 0, v[190:191]
	v_add_f64_e32 v[186:187], 0, v[186:187]
	s_wait_loadcnt_dscnt 0xb00
	v_mul_f64_e32 v[190:191], v[162:163], v[136:137]
	v_mul_f64_e32 v[136:137], v[164:165], v[136:137]
	v_fmac_f64_e32 v[192:193], v[6:7], v[130:131]
	v_fma_f64 v[194:195], v[4:5], v[130:131], -v[132:133]
	ds_load_b128 v[4:7], v2 offset:1664
	ds_load_b128 v[130:133], v2 offset:1680
	v_add_f64_e32 v[196:197], v[172:173], v[170:171]
	v_add_f64_e32 v[186:187], v[186:187], v[188:189]
	scratch_load_b128 v[170:173], off, off offset:896
	v_fmac_f64_e32 v[190:191], v[164:165], v[134:135]
	v_fma_f64 v[162:163], v[162:163], v[134:135], -v[136:137]
	scratch_load_b128 v[134:137], off, off offset:912
	s_wait_loadcnt_dscnt 0xc01
	v_mul_f64_e32 v[188:189], v[4:5], v[140:141]
	v_mul_f64_e32 v[140:141], v[6:7], v[140:141]
	v_add_f64_e32 v[164:165], v[196:197], v[194:195]
	v_add_f64_e32 v[186:187], v[186:187], v[192:193]
	s_wait_loadcnt_dscnt 0xb00
	v_mul_f64_e32 v[192:193], v[130:131], v[144:145]
	v_mul_f64_e32 v[144:145], v[132:133], v[144:145]
	v_fmac_f64_e32 v[188:189], v[6:7], v[138:139]
	v_fma_f64 v[194:195], v[4:5], v[138:139], -v[140:141]
	ds_load_b128 v[4:7], v2 offset:1696
	ds_load_b128 v[138:141], v2 offset:1712
	v_add_f64_e32 v[162:163], v[164:165], v[162:163]
	v_add_f64_e32 v[164:165], v[186:187], v[190:191]
	s_wait_loadcnt_dscnt 0xa01
	v_mul_f64_e32 v[186:187], v[4:5], v[148:149]
	v_mul_f64_e32 v[148:149], v[6:7], v[148:149]
	v_fmac_f64_e32 v[192:193], v[132:133], v[142:143]
	v_fma_f64 v[130:131], v[130:131], v[142:143], -v[144:145]
	s_wait_loadcnt_dscnt 0x900
	v_mul_f64_e32 v[144:145], v[138:139], v[152:153]
	v_mul_f64_e32 v[152:153], v[140:141], v[152:153]
	v_add_f64_e32 v[132:133], v[162:163], v[194:195]
	v_add_f64_e32 v[142:143], v[164:165], v[188:189]
	v_fmac_f64_e32 v[186:187], v[6:7], v[146:147]
	v_fma_f64 v[146:147], v[4:5], v[146:147], -v[148:149]
	v_fmac_f64_e32 v[144:145], v[140:141], v[150:151]
	v_fma_f64 v[138:139], v[138:139], v[150:151], -v[152:153]
	v_add_f64_e32 v[148:149], v[132:133], v[130:131]
	v_add_f64_e32 v[142:143], v[142:143], v[192:193]
	ds_load_b128 v[4:7], v2 offset:1728
	ds_load_b128 v[130:133], v2 offset:1744
	s_wait_loadcnt_dscnt 0x801
	v_mul_f64_e32 v[162:163], v[4:5], v[156:157]
	v_mul_f64_e32 v[156:157], v[6:7], v[156:157]
	v_add_f64_e32 v[140:141], v[148:149], v[146:147]
	v_add_f64_e32 v[142:143], v[142:143], v[186:187]
	s_wait_loadcnt_dscnt 0x700
	v_mul_f64_e32 v[146:147], v[130:131], v[160:161]
	v_mul_f64_e32 v[148:149], v[132:133], v[160:161]
	v_fmac_f64_e32 v[162:163], v[6:7], v[154:155]
	v_fma_f64 v[150:151], v[4:5], v[154:155], -v[156:157]
	v_add_f64_e32 v[152:153], v[140:141], v[138:139]
	v_add_f64_e32 v[142:143], v[142:143], v[144:145]
	ds_load_b128 v[4:7], v2 offset:1760
	ds_load_b128 v[138:141], v2 offset:1776
	v_fmac_f64_e32 v[146:147], v[132:133], v[158:159]
	v_fma_f64 v[130:131], v[130:131], v[158:159], -v[148:149]
	s_wait_loadcnt_dscnt 0x601
	v_mul_f64_e32 v[144:145], v[4:5], v[168:169]
	v_mul_f64_e32 v[154:155], v[6:7], v[168:169]
	s_wait_loadcnt_dscnt 0x400
	v_mul_f64_e32 v[148:149], v[138:139], v[180:181]
	v_add_f64_e32 v[132:133], v[152:153], v[150:151]
	v_add_f64_e32 v[142:143], v[142:143], v[162:163]
	v_mul_f64_e32 v[150:151], v[140:141], v[180:181]
	v_fmac_f64_e32 v[144:145], v[6:7], v[166:167]
	v_fma_f64 v[152:153], v[4:5], v[166:167], -v[154:155]
	v_fmac_f64_e32 v[148:149], v[140:141], v[178:179]
	v_add_f64_e32 v[154:155], v[132:133], v[130:131]
	v_add_f64_e32 v[142:143], v[142:143], v[146:147]
	ds_load_b128 v[4:7], v2 offset:1792
	ds_load_b128 v[130:133], v2 offset:1808
	v_fma_f64 v[138:139], v[138:139], v[178:179], -v[150:151]
	s_wait_loadcnt_dscnt 0x301
	v_mul_f64_e32 v[146:147], v[4:5], v[184:185]
	v_mul_f64_e32 v[156:157], v[6:7], v[184:185]
	v_add_f64_e32 v[140:141], v[154:155], v[152:153]
	v_add_f64_e32 v[142:143], v[142:143], v[144:145]
	s_wait_loadcnt_dscnt 0x200
	v_mul_f64_e32 v[144:145], v[130:131], v[12:13]
	v_mul_f64_e32 v[12:13], v[132:133], v[12:13]
	v_fmac_f64_e32 v[146:147], v[6:7], v[182:183]
	v_fma_f64 v[150:151], v[4:5], v[182:183], -v[156:157]
	v_add_f64_e32 v[152:153], v[140:141], v[138:139]
	v_add_f64_e32 v[142:143], v[142:143], v[148:149]
	ds_load_b128 v[4:7], v2 offset:1824
	ds_load_b128 v[138:141], v2 offset:1840
	v_fmac_f64_e32 v[144:145], v[132:133], v[10:11]
	v_fma_f64 v[10:11], v[130:131], v[10:11], -v[12:13]
	s_wait_loadcnt_dscnt 0x101
	v_mul_f64_e32 v[2:3], v[4:5], v[172:173]
	v_mul_f64_e32 v[148:149], v[6:7], v[172:173]
	s_wait_loadcnt_dscnt 0x0
	v_mul_f64_e32 v[132:133], v[138:139], v[136:137]
	v_mul_f64_e32 v[136:137], v[140:141], v[136:137]
	v_add_f64_e32 v[12:13], v[152:153], v[150:151]
	v_add_f64_e32 v[130:131], v[142:143], v[146:147]
	v_fmac_f64_e32 v[2:3], v[6:7], v[170:171]
	v_fma_f64 v[4:5], v[4:5], v[170:171], -v[148:149]
	v_fmac_f64_e32 v[132:133], v[140:141], v[134:135]
	v_add_f64_e32 v[6:7], v[12:13], v[10:11]
	v_add_f64_e32 v[10:11], v[130:131], v[144:145]
	v_fma_f64 v[12:13], v[138:139], v[134:135], -v[136:137]
	s_delay_alu instid0(VALU_DEP_3) | instskip(NEXT) | instid1(VALU_DEP_3)
	v_add_f64_e32 v[4:5], v[6:7], v[4:5]
	v_add_f64_e32 v[2:3], v[10:11], v[2:3]
	s_delay_alu instid0(VALU_DEP_2) | instskip(NEXT) | instid1(VALU_DEP_2)
	v_add_f64_e32 v[4:5], v[4:5], v[12:13]
	v_add_f64_e32 v[6:7], v[2:3], v[132:133]
	s_delay_alu instid0(VALU_DEP_2) | instskip(NEXT) | instid1(VALU_DEP_2)
	v_add_f64_e64 v[2:3], v[174:175], -v[4:5]
	v_add_f64_e64 v[4:5], v[176:177], -v[6:7]
	scratch_store_b128 off, v[2:5], off offset:656
	s_wait_xcnt 0x0
	v_cmpx_lt_u32_e32 40, v1
	s_cbranch_execz .LBB57_281
; %bb.280:
	scratch_load_b128 v[2:5], off, s23
	v_mov_b32_e32 v10, 0
	s_delay_alu instid0(VALU_DEP_1)
	v_dual_mov_b32 v11, v10 :: v_dual_mov_b32 v12, v10
	v_mov_b32_e32 v13, v10
	scratch_store_b128 off, v[10:13], off offset:640
	s_wait_loadcnt 0x0
	ds_store_b128 v8, v[2:5]
.LBB57_281:
	s_wait_xcnt 0x0
	s_or_b32 exec_lo, exec_lo, s2
	s_wait_storecnt_dscnt 0x0
	s_barrier_signal -1
	s_barrier_wait -1
	s_clause 0x9
	scratch_load_b128 v[4:7], off, off offset:656
	scratch_load_b128 v[10:13], off, off offset:672
	;; [unrolled: 1-line block ×10, first 2 shown]
	v_mov_b32_e32 v2, 0
	s_mov_b32 s2, exec_lo
	ds_load_b128 v[162:165], v2 offset:1584
	s_clause 0x2
	scratch_load_b128 v[166:169], off, off offset:816
	scratch_load_b128 v[170:173], off, off offset:640
	;; [unrolled: 1-line block ×3, first 2 shown]
	s_wait_loadcnt_dscnt 0xc00
	v_mul_f64_e32 v[182:183], v[164:165], v[6:7]
	v_mul_f64_e32 v[186:187], v[162:163], v[6:7]
	ds_load_b128 v[174:177], v2 offset:1600
	v_fma_f64 v[190:191], v[162:163], v[4:5], -v[182:183]
	v_fmac_f64_e32 v[186:187], v[164:165], v[4:5]
	ds_load_b128 v[4:7], v2 offset:1616
	s_wait_loadcnt_dscnt 0xb01
	v_mul_f64_e32 v[188:189], v[174:175], v[12:13]
	v_mul_f64_e32 v[12:13], v[176:177], v[12:13]
	scratch_load_b128 v[162:165], off, off offset:848
	ds_load_b128 v[182:185], v2 offset:1632
	s_wait_loadcnt_dscnt 0xb01
	v_mul_f64_e32 v[192:193], v[4:5], v[132:133]
	v_mul_f64_e32 v[132:133], v[6:7], v[132:133]
	v_add_f64_e32 v[186:187], 0, v[186:187]
	v_fmac_f64_e32 v[188:189], v[176:177], v[10:11]
	v_fma_f64 v[174:175], v[174:175], v[10:11], -v[12:13]
	v_add_f64_e32 v[176:177], 0, v[190:191]
	scratch_load_b128 v[10:13], off, off offset:864
	v_fmac_f64_e32 v[192:193], v[6:7], v[130:131]
	v_fma_f64 v[194:195], v[4:5], v[130:131], -v[132:133]
	ds_load_b128 v[4:7], v2 offset:1648
	s_wait_loadcnt_dscnt 0xb01
	v_mul_f64_e32 v[190:191], v[182:183], v[136:137]
	v_mul_f64_e32 v[136:137], v[184:185], v[136:137]
	scratch_load_b128 v[130:133], off, off offset:880
	v_add_f64_e32 v[186:187], v[186:187], v[188:189]
	v_add_f64_e32 v[196:197], v[176:177], v[174:175]
	ds_load_b128 v[174:177], v2 offset:1664
	s_wait_loadcnt_dscnt 0xb01
	v_mul_f64_e32 v[188:189], v[4:5], v[140:141]
	v_mul_f64_e32 v[140:141], v[6:7], v[140:141]
	v_fmac_f64_e32 v[190:191], v[184:185], v[134:135]
	v_fma_f64 v[182:183], v[182:183], v[134:135], -v[136:137]
	scratch_load_b128 v[134:137], off, off offset:896
	v_add_f64_e32 v[186:187], v[186:187], v[192:193]
	v_add_f64_e32 v[184:185], v[196:197], v[194:195]
	v_fmac_f64_e32 v[188:189], v[6:7], v[138:139]
	v_fma_f64 v[194:195], v[4:5], v[138:139], -v[140:141]
	ds_load_b128 v[4:7], v2 offset:1680
	s_wait_loadcnt_dscnt 0xb01
	v_mul_f64_e32 v[192:193], v[174:175], v[144:145]
	v_mul_f64_e32 v[144:145], v[176:177], v[144:145]
	scratch_load_b128 v[138:141], off, off offset:912
	v_add_f64_e32 v[186:187], v[186:187], v[190:191]
	s_wait_loadcnt_dscnt 0xb00
	v_mul_f64_e32 v[190:191], v[4:5], v[148:149]
	v_add_f64_e32 v[196:197], v[184:185], v[182:183]
	v_mul_f64_e32 v[148:149], v[6:7], v[148:149]
	ds_load_b128 v[182:185], v2 offset:1696
	v_fmac_f64_e32 v[192:193], v[176:177], v[142:143]
	v_fma_f64 v[142:143], v[174:175], v[142:143], -v[144:145]
	s_wait_loadcnt_dscnt 0xa00
	v_mul_f64_e32 v[176:177], v[182:183], v[152:153]
	v_mul_f64_e32 v[152:153], v[184:185], v[152:153]
	v_add_f64_e32 v[174:175], v[186:187], v[188:189]
	v_fmac_f64_e32 v[190:191], v[6:7], v[146:147]
	v_add_f64_e32 v[144:145], v[196:197], v[194:195]
	v_fma_f64 v[146:147], v[4:5], v[146:147], -v[148:149]
	v_fmac_f64_e32 v[176:177], v[184:185], v[150:151]
	v_fma_f64 v[150:151], v[182:183], v[150:151], -v[152:153]
	v_add_f64_e32 v[174:175], v[174:175], v[192:193]
	v_add_f64_e32 v[148:149], v[144:145], v[142:143]
	ds_load_b128 v[4:7], v2 offset:1712
	ds_load_b128 v[142:145], v2 offset:1728
	s_wait_loadcnt_dscnt 0x901
	v_mul_f64_e32 v[186:187], v[4:5], v[156:157]
	v_mul_f64_e32 v[156:157], v[6:7], v[156:157]
	s_wait_loadcnt_dscnt 0x800
	v_mul_f64_e32 v[152:153], v[142:143], v[160:161]
	v_mul_f64_e32 v[160:161], v[144:145], v[160:161]
	v_add_f64_e32 v[146:147], v[148:149], v[146:147]
	v_add_f64_e32 v[148:149], v[174:175], v[190:191]
	v_fmac_f64_e32 v[186:187], v[6:7], v[154:155]
	v_fma_f64 v[154:155], v[4:5], v[154:155], -v[156:157]
	v_fmac_f64_e32 v[152:153], v[144:145], v[158:159]
	v_fma_f64 v[142:143], v[142:143], v[158:159], -v[160:161]
	v_add_f64_e32 v[150:151], v[146:147], v[150:151]
	v_add_f64_e32 v[156:157], v[148:149], v[176:177]
	ds_load_b128 v[4:7], v2 offset:1744
	ds_load_b128 v[146:149], v2 offset:1760
	s_wait_loadcnt_dscnt 0x701
	v_mul_f64_e32 v[174:175], v[4:5], v[168:169]
	v_mul_f64_e32 v[168:169], v[6:7], v[168:169]
	v_add_f64_e32 v[144:145], v[150:151], v[154:155]
	v_add_f64_e32 v[150:151], v[156:157], v[186:187]
	s_wait_loadcnt_dscnt 0x500
	v_mul_f64_e32 v[154:155], v[146:147], v[180:181]
	v_mul_f64_e32 v[156:157], v[148:149], v[180:181]
	v_fmac_f64_e32 v[174:175], v[6:7], v[166:167]
	v_fma_f64 v[158:159], v[4:5], v[166:167], -v[168:169]
	v_add_f64_e32 v[160:161], v[144:145], v[142:143]
	v_add_f64_e32 v[150:151], v[150:151], v[152:153]
	ds_load_b128 v[4:7], v2 offset:1776
	ds_load_b128 v[142:145], v2 offset:1792
	v_fmac_f64_e32 v[154:155], v[148:149], v[178:179]
	v_fma_f64 v[146:147], v[146:147], v[178:179], -v[156:157]
	s_wait_loadcnt_dscnt 0x401
	v_mul_f64_e32 v[152:153], v[4:5], v[164:165]
	v_mul_f64_e32 v[164:165], v[6:7], v[164:165]
	v_add_f64_e32 v[148:149], v[160:161], v[158:159]
	v_add_f64_e32 v[150:151], v[150:151], v[174:175]
	s_wait_loadcnt_dscnt 0x300
	v_mul_f64_e32 v[156:157], v[142:143], v[12:13]
	v_mul_f64_e32 v[12:13], v[144:145], v[12:13]
	v_fmac_f64_e32 v[152:153], v[6:7], v[162:163]
	v_fma_f64 v[158:159], v[4:5], v[162:163], -v[164:165]
	v_add_f64_e32 v[160:161], v[148:149], v[146:147]
	v_add_f64_e32 v[150:151], v[150:151], v[154:155]
	ds_load_b128 v[4:7], v2 offset:1808
	ds_load_b128 v[146:149], v2 offset:1824
	v_fmac_f64_e32 v[156:157], v[144:145], v[10:11]
	v_fma_f64 v[10:11], v[142:143], v[10:11], -v[12:13]
	s_wait_loadcnt_dscnt 0x201
	v_mul_f64_e32 v[154:155], v[4:5], v[132:133]
	v_mul_f64_e32 v[132:133], v[6:7], v[132:133]
	s_wait_loadcnt_dscnt 0x100
	v_mul_f64_e32 v[144:145], v[146:147], v[136:137]
	v_mul_f64_e32 v[136:137], v[148:149], v[136:137]
	v_add_f64_e32 v[12:13], v[160:161], v[158:159]
	v_add_f64_e32 v[142:143], v[150:151], v[152:153]
	v_fmac_f64_e32 v[154:155], v[6:7], v[130:131]
	v_fma_f64 v[130:131], v[4:5], v[130:131], -v[132:133]
	ds_load_b128 v[4:7], v2 offset:1840
	v_fmac_f64_e32 v[144:145], v[148:149], v[134:135]
	v_fma_f64 v[134:135], v[146:147], v[134:135], -v[136:137]
	v_add_f64_e32 v[10:11], v[12:13], v[10:11]
	v_add_f64_e32 v[12:13], v[142:143], v[156:157]
	s_wait_loadcnt_dscnt 0x0
	v_mul_f64_e32 v[132:133], v[4:5], v[140:141]
	v_mul_f64_e32 v[140:141], v[6:7], v[140:141]
	s_delay_alu instid0(VALU_DEP_4) | instskip(NEXT) | instid1(VALU_DEP_4)
	v_add_f64_e32 v[10:11], v[10:11], v[130:131]
	v_add_f64_e32 v[12:13], v[12:13], v[154:155]
	s_delay_alu instid0(VALU_DEP_4) | instskip(NEXT) | instid1(VALU_DEP_4)
	v_fmac_f64_e32 v[132:133], v[6:7], v[138:139]
	v_fma_f64 v[4:5], v[4:5], v[138:139], -v[140:141]
	s_delay_alu instid0(VALU_DEP_4) | instskip(NEXT) | instid1(VALU_DEP_4)
	v_add_f64_e32 v[6:7], v[10:11], v[134:135]
	v_add_f64_e32 v[10:11], v[12:13], v[144:145]
	s_delay_alu instid0(VALU_DEP_2) | instskip(NEXT) | instid1(VALU_DEP_2)
	v_add_f64_e32 v[4:5], v[6:7], v[4:5]
	v_add_f64_e32 v[6:7], v[10:11], v[132:133]
	s_delay_alu instid0(VALU_DEP_2) | instskip(NEXT) | instid1(VALU_DEP_2)
	v_add_f64_e64 v[4:5], v[170:171], -v[4:5]
	v_add_f64_e64 v[6:7], v[172:173], -v[6:7]
	scratch_store_b128 off, v[4:7], off offset:640
	s_wait_xcnt 0x0
	v_cmpx_lt_u32_e32 39, v1
	s_cbranch_execz .LBB57_283
; %bb.282:
	scratch_load_b128 v[10:13], off, s22
	v_dual_mov_b32 v3, v2 :: v_dual_mov_b32 v4, v2
	v_mov_b32_e32 v5, v2
	scratch_store_b128 off, v[2:5], off offset:624
	s_wait_loadcnt 0x0
	ds_store_b128 v8, v[10:13]
.LBB57_283:
	s_wait_xcnt 0x0
	s_or_b32 exec_lo, exec_lo, s2
	s_wait_storecnt_dscnt 0x0
	s_barrier_signal -1
	s_barrier_wait -1
	s_clause 0x9
	scratch_load_b128 v[4:7], off, off offset:640
	scratch_load_b128 v[10:13], off, off offset:656
	;; [unrolled: 1-line block ×10, first 2 shown]
	ds_load_b128 v[162:165], v2 offset:1568
	ds_load_b128 v[170:173], v2 offset:1584
	s_clause 0x2
	scratch_load_b128 v[166:169], off, off offset:800
	scratch_load_b128 v[174:177], off, off offset:624
	;; [unrolled: 1-line block ×3, first 2 shown]
	s_mov_b32 s2, exec_lo
	s_wait_loadcnt_dscnt 0xc01
	v_mul_f64_e32 v[182:183], v[164:165], v[6:7]
	v_mul_f64_e32 v[186:187], v[162:163], v[6:7]
	s_wait_loadcnt_dscnt 0xb00
	v_mul_f64_e32 v[188:189], v[170:171], v[12:13]
	v_mul_f64_e32 v[12:13], v[172:173], v[12:13]
	s_delay_alu instid0(VALU_DEP_4) | instskip(NEXT) | instid1(VALU_DEP_4)
	v_fma_f64 v[190:191], v[162:163], v[4:5], -v[182:183]
	v_fmac_f64_e32 v[186:187], v[164:165], v[4:5]
	ds_load_b128 v[4:7], v2 offset:1600
	ds_load_b128 v[162:165], v2 offset:1616
	scratch_load_b128 v[182:185], off, off offset:832
	v_fmac_f64_e32 v[188:189], v[172:173], v[10:11]
	v_fma_f64 v[170:171], v[170:171], v[10:11], -v[12:13]
	scratch_load_b128 v[10:13], off, off offset:848
	s_wait_loadcnt_dscnt 0xc01
	v_mul_f64_e32 v[192:193], v[4:5], v[132:133]
	v_mul_f64_e32 v[132:133], v[6:7], v[132:133]
	v_add_f64_e32 v[172:173], 0, v[190:191]
	v_add_f64_e32 v[186:187], 0, v[186:187]
	s_wait_loadcnt_dscnt 0xb00
	v_mul_f64_e32 v[190:191], v[162:163], v[136:137]
	v_mul_f64_e32 v[136:137], v[164:165], v[136:137]
	v_fmac_f64_e32 v[192:193], v[6:7], v[130:131]
	v_fma_f64 v[194:195], v[4:5], v[130:131], -v[132:133]
	ds_load_b128 v[4:7], v2 offset:1632
	ds_load_b128 v[130:133], v2 offset:1648
	v_add_f64_e32 v[196:197], v[172:173], v[170:171]
	v_add_f64_e32 v[186:187], v[186:187], v[188:189]
	scratch_load_b128 v[170:173], off, off offset:864
	v_fmac_f64_e32 v[190:191], v[164:165], v[134:135]
	v_fma_f64 v[162:163], v[162:163], v[134:135], -v[136:137]
	scratch_load_b128 v[134:137], off, off offset:880
	s_wait_loadcnt_dscnt 0xc01
	v_mul_f64_e32 v[188:189], v[4:5], v[140:141]
	v_mul_f64_e32 v[140:141], v[6:7], v[140:141]
	v_add_f64_e32 v[164:165], v[196:197], v[194:195]
	v_add_f64_e32 v[186:187], v[186:187], v[192:193]
	s_wait_loadcnt_dscnt 0xb00
	v_mul_f64_e32 v[192:193], v[130:131], v[144:145]
	v_mul_f64_e32 v[144:145], v[132:133], v[144:145]
	v_fmac_f64_e32 v[188:189], v[6:7], v[138:139]
	v_fma_f64 v[194:195], v[4:5], v[138:139], -v[140:141]
	ds_load_b128 v[4:7], v2 offset:1664
	ds_load_b128 v[138:141], v2 offset:1680
	v_add_f64_e32 v[196:197], v[164:165], v[162:163]
	v_add_f64_e32 v[186:187], v[186:187], v[190:191]
	scratch_load_b128 v[162:165], off, off offset:896
	s_wait_loadcnt_dscnt 0xb01
	v_mul_f64_e32 v[190:191], v[4:5], v[148:149]
	v_mul_f64_e32 v[148:149], v[6:7], v[148:149]
	v_fmac_f64_e32 v[192:193], v[132:133], v[142:143]
	v_fma_f64 v[142:143], v[130:131], v[142:143], -v[144:145]
	scratch_load_b128 v[130:133], off, off offset:912
	v_add_f64_e32 v[144:145], v[196:197], v[194:195]
	v_add_f64_e32 v[186:187], v[186:187], v[188:189]
	s_wait_loadcnt_dscnt 0xb00
	v_mul_f64_e32 v[188:189], v[138:139], v[152:153]
	v_mul_f64_e32 v[152:153], v[140:141], v[152:153]
	v_fmac_f64_e32 v[190:191], v[6:7], v[146:147]
	v_fma_f64 v[146:147], v[4:5], v[146:147], -v[148:149]
	v_add_f64_e32 v[148:149], v[144:145], v[142:143]
	v_add_f64_e32 v[186:187], v[186:187], v[192:193]
	ds_load_b128 v[4:7], v2 offset:1696
	ds_load_b128 v[142:145], v2 offset:1712
	v_fmac_f64_e32 v[188:189], v[140:141], v[150:151]
	v_fma_f64 v[138:139], v[138:139], v[150:151], -v[152:153]
	s_wait_loadcnt_dscnt 0xa01
	v_mul_f64_e32 v[192:193], v[4:5], v[156:157]
	v_mul_f64_e32 v[156:157], v[6:7], v[156:157]
	s_wait_loadcnt_dscnt 0x900
	v_mul_f64_e32 v[150:151], v[144:145], v[160:161]
	v_add_f64_e32 v[140:141], v[148:149], v[146:147]
	v_add_f64_e32 v[146:147], v[186:187], v[190:191]
	v_mul_f64_e32 v[148:149], v[142:143], v[160:161]
	v_fmac_f64_e32 v[192:193], v[6:7], v[154:155]
	v_fma_f64 v[152:153], v[4:5], v[154:155], -v[156:157]
	v_fma_f64 v[142:143], v[142:143], v[158:159], -v[150:151]
	v_add_f64_e32 v[154:155], v[140:141], v[138:139]
	v_add_f64_e32 v[146:147], v[146:147], v[188:189]
	ds_load_b128 v[4:7], v2 offset:1728
	ds_load_b128 v[138:141], v2 offset:1744
	v_fmac_f64_e32 v[148:149], v[144:145], v[158:159]
	s_wait_loadcnt_dscnt 0x801
	v_mul_f64_e32 v[156:157], v[4:5], v[168:169]
	v_mul_f64_e32 v[160:161], v[6:7], v[168:169]
	s_wait_loadcnt_dscnt 0x600
	v_mul_f64_e32 v[150:151], v[138:139], v[180:181]
	v_add_f64_e32 v[144:145], v[154:155], v[152:153]
	v_add_f64_e32 v[146:147], v[146:147], v[192:193]
	v_mul_f64_e32 v[152:153], v[140:141], v[180:181]
	v_fmac_f64_e32 v[156:157], v[6:7], v[166:167]
	v_fma_f64 v[154:155], v[4:5], v[166:167], -v[160:161]
	v_fmac_f64_e32 v[150:151], v[140:141], v[178:179]
	v_add_f64_e32 v[158:159], v[144:145], v[142:143]
	v_add_f64_e32 v[146:147], v[146:147], v[148:149]
	ds_load_b128 v[4:7], v2 offset:1760
	ds_load_b128 v[142:145], v2 offset:1776
	v_fma_f64 v[138:139], v[138:139], v[178:179], -v[152:153]
	s_wait_loadcnt_dscnt 0x501
	v_mul_f64_e32 v[148:149], v[4:5], v[184:185]
	v_mul_f64_e32 v[160:161], v[6:7], v[184:185]
	s_wait_loadcnt_dscnt 0x400
	v_mul_f64_e32 v[152:153], v[142:143], v[12:13]
	v_mul_f64_e32 v[12:13], v[144:145], v[12:13]
	v_add_f64_e32 v[140:141], v[158:159], v[154:155]
	v_add_f64_e32 v[146:147], v[146:147], v[156:157]
	v_fmac_f64_e32 v[148:149], v[6:7], v[182:183]
	v_fma_f64 v[154:155], v[4:5], v[182:183], -v[160:161]
	v_fmac_f64_e32 v[152:153], v[144:145], v[10:11]
	v_fma_f64 v[10:11], v[142:143], v[10:11], -v[12:13]
	v_add_f64_e32 v[156:157], v[140:141], v[138:139]
	v_add_f64_e32 v[146:147], v[146:147], v[150:151]
	ds_load_b128 v[4:7], v2 offset:1792
	ds_load_b128 v[138:141], v2 offset:1808
	s_wait_loadcnt_dscnt 0x301
	v_mul_f64_e32 v[150:151], v[4:5], v[172:173]
	v_mul_f64_e32 v[158:159], v[6:7], v[172:173]
	s_wait_loadcnt_dscnt 0x200
	v_mul_f64_e32 v[144:145], v[138:139], v[136:137]
	v_mul_f64_e32 v[136:137], v[140:141], v[136:137]
	v_add_f64_e32 v[12:13], v[156:157], v[154:155]
	v_add_f64_e32 v[142:143], v[146:147], v[148:149]
	v_fmac_f64_e32 v[150:151], v[6:7], v[170:171]
	v_fma_f64 v[146:147], v[4:5], v[170:171], -v[158:159]
	v_fmac_f64_e32 v[144:145], v[140:141], v[134:135]
	v_fma_f64 v[134:135], v[138:139], v[134:135], -v[136:137]
	v_add_f64_e32 v[148:149], v[12:13], v[10:11]
	v_add_f64_e32 v[142:143], v[142:143], v[152:153]
	ds_load_b128 v[4:7], v2 offset:1824
	ds_load_b128 v[10:13], v2 offset:1840
	s_wait_loadcnt_dscnt 0x101
	v_mul_f64_e32 v[2:3], v[4:5], v[164:165]
	v_mul_f64_e32 v[152:153], v[6:7], v[164:165]
	s_wait_loadcnt_dscnt 0x0
	v_mul_f64_e32 v[140:141], v[10:11], v[132:133]
	v_mul_f64_e32 v[132:133], v[12:13], v[132:133]
	v_add_f64_e32 v[136:137], v[148:149], v[146:147]
	v_add_f64_e32 v[138:139], v[142:143], v[150:151]
	v_fmac_f64_e32 v[2:3], v[6:7], v[162:163]
	v_fma_f64 v[4:5], v[4:5], v[162:163], -v[152:153]
	v_fmac_f64_e32 v[140:141], v[12:13], v[130:131]
	v_fma_f64 v[10:11], v[10:11], v[130:131], -v[132:133]
	v_add_f64_e32 v[6:7], v[136:137], v[134:135]
	v_add_f64_e32 v[134:135], v[138:139], v[144:145]
	s_delay_alu instid0(VALU_DEP_2) | instskip(NEXT) | instid1(VALU_DEP_2)
	v_add_f64_e32 v[4:5], v[6:7], v[4:5]
	v_add_f64_e32 v[2:3], v[134:135], v[2:3]
	s_delay_alu instid0(VALU_DEP_2) | instskip(NEXT) | instid1(VALU_DEP_2)
	;; [unrolled: 3-line block ×3, first 2 shown]
	v_add_f64_e64 v[2:3], v[174:175], -v[4:5]
	v_add_f64_e64 v[4:5], v[176:177], -v[6:7]
	scratch_store_b128 off, v[2:5], off offset:624
	s_wait_xcnt 0x0
	v_cmpx_lt_u32_e32 38, v1
	s_cbranch_execz .LBB57_285
; %bb.284:
	scratch_load_b128 v[2:5], off, s26
	v_mov_b32_e32 v10, 0
	s_delay_alu instid0(VALU_DEP_1)
	v_dual_mov_b32 v11, v10 :: v_dual_mov_b32 v12, v10
	v_mov_b32_e32 v13, v10
	scratch_store_b128 off, v[10:13], off offset:608
	s_wait_loadcnt 0x0
	ds_store_b128 v8, v[2:5]
.LBB57_285:
	s_wait_xcnt 0x0
	s_or_b32 exec_lo, exec_lo, s2
	s_wait_storecnt_dscnt 0x0
	s_barrier_signal -1
	s_barrier_wait -1
	s_clause 0x9
	scratch_load_b128 v[4:7], off, off offset:624
	scratch_load_b128 v[10:13], off, off offset:640
	;; [unrolled: 1-line block ×10, first 2 shown]
	v_mov_b32_e32 v2, 0
	s_mov_b32 s2, exec_lo
	ds_load_b128 v[162:165], v2 offset:1552
	s_clause 0x2
	scratch_load_b128 v[166:169], off, off offset:784
	scratch_load_b128 v[170:173], off, off offset:608
	;; [unrolled: 1-line block ×3, first 2 shown]
	s_wait_loadcnt_dscnt 0xc00
	v_mul_f64_e32 v[182:183], v[164:165], v[6:7]
	v_mul_f64_e32 v[186:187], v[162:163], v[6:7]
	ds_load_b128 v[174:177], v2 offset:1568
	v_fma_f64 v[190:191], v[162:163], v[4:5], -v[182:183]
	v_fmac_f64_e32 v[186:187], v[164:165], v[4:5]
	ds_load_b128 v[4:7], v2 offset:1584
	s_wait_loadcnt_dscnt 0xb01
	v_mul_f64_e32 v[188:189], v[174:175], v[12:13]
	v_mul_f64_e32 v[12:13], v[176:177], v[12:13]
	scratch_load_b128 v[162:165], off, off offset:816
	ds_load_b128 v[182:185], v2 offset:1600
	s_wait_loadcnt_dscnt 0xb01
	v_mul_f64_e32 v[192:193], v[4:5], v[132:133]
	v_mul_f64_e32 v[132:133], v[6:7], v[132:133]
	v_add_f64_e32 v[186:187], 0, v[186:187]
	v_fmac_f64_e32 v[188:189], v[176:177], v[10:11]
	v_fma_f64 v[174:175], v[174:175], v[10:11], -v[12:13]
	v_add_f64_e32 v[176:177], 0, v[190:191]
	scratch_load_b128 v[10:13], off, off offset:832
	v_fmac_f64_e32 v[192:193], v[6:7], v[130:131]
	v_fma_f64 v[194:195], v[4:5], v[130:131], -v[132:133]
	ds_load_b128 v[4:7], v2 offset:1616
	s_wait_loadcnt_dscnt 0xb01
	v_mul_f64_e32 v[190:191], v[182:183], v[136:137]
	v_mul_f64_e32 v[136:137], v[184:185], v[136:137]
	scratch_load_b128 v[130:133], off, off offset:848
	v_add_f64_e32 v[186:187], v[186:187], v[188:189]
	v_add_f64_e32 v[196:197], v[176:177], v[174:175]
	ds_load_b128 v[174:177], v2 offset:1632
	s_wait_loadcnt_dscnt 0xb01
	v_mul_f64_e32 v[188:189], v[4:5], v[140:141]
	v_mul_f64_e32 v[140:141], v[6:7], v[140:141]
	v_fmac_f64_e32 v[190:191], v[184:185], v[134:135]
	v_fma_f64 v[182:183], v[182:183], v[134:135], -v[136:137]
	scratch_load_b128 v[134:137], off, off offset:864
	v_add_f64_e32 v[186:187], v[186:187], v[192:193]
	v_add_f64_e32 v[184:185], v[196:197], v[194:195]
	v_fmac_f64_e32 v[188:189], v[6:7], v[138:139]
	v_fma_f64 v[194:195], v[4:5], v[138:139], -v[140:141]
	ds_load_b128 v[4:7], v2 offset:1648
	s_wait_loadcnt_dscnt 0xb01
	v_mul_f64_e32 v[192:193], v[174:175], v[144:145]
	v_mul_f64_e32 v[144:145], v[176:177], v[144:145]
	scratch_load_b128 v[138:141], off, off offset:880
	v_add_f64_e32 v[186:187], v[186:187], v[190:191]
	s_wait_loadcnt_dscnt 0xb00
	v_mul_f64_e32 v[190:191], v[4:5], v[148:149]
	v_add_f64_e32 v[196:197], v[184:185], v[182:183]
	v_mul_f64_e32 v[148:149], v[6:7], v[148:149]
	ds_load_b128 v[182:185], v2 offset:1664
	v_fmac_f64_e32 v[192:193], v[176:177], v[142:143]
	v_fma_f64 v[174:175], v[174:175], v[142:143], -v[144:145]
	scratch_load_b128 v[142:145], off, off offset:896
	v_add_f64_e32 v[186:187], v[186:187], v[188:189]
	v_fmac_f64_e32 v[190:191], v[6:7], v[146:147]
	v_add_f64_e32 v[176:177], v[196:197], v[194:195]
	v_fma_f64 v[194:195], v[4:5], v[146:147], -v[148:149]
	ds_load_b128 v[4:7], v2 offset:1680
	s_wait_loadcnt_dscnt 0xb01
	v_mul_f64_e32 v[188:189], v[182:183], v[152:153]
	v_mul_f64_e32 v[152:153], v[184:185], v[152:153]
	scratch_load_b128 v[146:149], off, off offset:912
	v_add_f64_e32 v[186:187], v[186:187], v[192:193]
	s_wait_loadcnt_dscnt 0xb00
	v_mul_f64_e32 v[192:193], v[4:5], v[156:157]
	v_add_f64_e32 v[196:197], v[176:177], v[174:175]
	v_mul_f64_e32 v[156:157], v[6:7], v[156:157]
	ds_load_b128 v[174:177], v2 offset:1696
	v_fmac_f64_e32 v[188:189], v[184:185], v[150:151]
	v_fma_f64 v[150:151], v[182:183], v[150:151], -v[152:153]
	s_wait_loadcnt_dscnt 0xa00
	v_mul_f64_e32 v[184:185], v[174:175], v[160:161]
	v_mul_f64_e32 v[160:161], v[176:177], v[160:161]
	v_add_f64_e32 v[182:183], v[186:187], v[190:191]
	v_fmac_f64_e32 v[192:193], v[6:7], v[154:155]
	v_add_f64_e32 v[152:153], v[196:197], v[194:195]
	v_fma_f64 v[154:155], v[4:5], v[154:155], -v[156:157]
	v_fmac_f64_e32 v[184:185], v[176:177], v[158:159]
	v_fma_f64 v[158:159], v[174:175], v[158:159], -v[160:161]
	v_add_f64_e32 v[182:183], v[182:183], v[188:189]
	v_add_f64_e32 v[156:157], v[152:153], v[150:151]
	ds_load_b128 v[4:7], v2 offset:1712
	ds_load_b128 v[150:153], v2 offset:1728
	s_wait_loadcnt_dscnt 0x901
	v_mul_f64_e32 v[186:187], v[4:5], v[168:169]
	v_mul_f64_e32 v[168:169], v[6:7], v[168:169]
	s_wait_loadcnt_dscnt 0x700
	v_mul_f64_e32 v[160:161], v[150:151], v[180:181]
	v_mul_f64_e32 v[174:175], v[152:153], v[180:181]
	v_add_f64_e32 v[154:155], v[156:157], v[154:155]
	v_add_f64_e32 v[156:157], v[182:183], v[192:193]
	v_fmac_f64_e32 v[186:187], v[6:7], v[166:167]
	v_fma_f64 v[166:167], v[4:5], v[166:167], -v[168:169]
	v_fmac_f64_e32 v[160:161], v[152:153], v[178:179]
	v_fma_f64 v[150:151], v[150:151], v[178:179], -v[174:175]
	v_add_f64_e32 v[158:159], v[154:155], v[158:159]
	v_add_f64_e32 v[168:169], v[156:157], v[184:185]
	ds_load_b128 v[4:7], v2 offset:1744
	ds_load_b128 v[154:157], v2 offset:1760
	s_wait_loadcnt_dscnt 0x601
	v_mul_f64_e32 v[176:177], v[4:5], v[164:165]
	v_mul_f64_e32 v[164:165], v[6:7], v[164:165]
	v_add_f64_e32 v[152:153], v[158:159], v[166:167]
	v_add_f64_e32 v[158:159], v[168:169], v[186:187]
	s_wait_loadcnt_dscnt 0x500
	v_mul_f64_e32 v[166:167], v[154:155], v[12:13]
	v_mul_f64_e32 v[12:13], v[156:157], v[12:13]
	v_fmac_f64_e32 v[176:177], v[6:7], v[162:163]
	v_fma_f64 v[162:163], v[4:5], v[162:163], -v[164:165]
	v_add_f64_e32 v[164:165], v[152:153], v[150:151]
	v_add_f64_e32 v[158:159], v[158:159], v[160:161]
	ds_load_b128 v[4:7], v2 offset:1776
	ds_load_b128 v[150:153], v2 offset:1792
	v_fmac_f64_e32 v[166:167], v[156:157], v[10:11]
	v_fma_f64 v[10:11], v[154:155], v[10:11], -v[12:13]
	s_wait_loadcnt_dscnt 0x401
	v_mul_f64_e32 v[160:161], v[4:5], v[132:133]
	v_mul_f64_e32 v[132:133], v[6:7], v[132:133]
	s_wait_loadcnt_dscnt 0x300
	v_mul_f64_e32 v[156:157], v[150:151], v[136:137]
	v_mul_f64_e32 v[136:137], v[152:153], v[136:137]
	v_add_f64_e32 v[12:13], v[164:165], v[162:163]
	v_add_f64_e32 v[154:155], v[158:159], v[176:177]
	v_fmac_f64_e32 v[160:161], v[6:7], v[130:131]
	v_fma_f64 v[130:131], v[4:5], v[130:131], -v[132:133]
	v_fmac_f64_e32 v[156:157], v[152:153], v[134:135]
	v_fma_f64 v[134:135], v[150:151], v[134:135], -v[136:137]
	v_add_f64_e32 v[132:133], v[12:13], v[10:11]
	v_add_f64_e32 v[154:155], v[154:155], v[166:167]
	ds_load_b128 v[4:7], v2 offset:1808
	ds_load_b128 v[10:13], v2 offset:1824
	s_wait_loadcnt_dscnt 0x201
	v_mul_f64_e32 v[158:159], v[4:5], v[140:141]
	v_mul_f64_e32 v[140:141], v[6:7], v[140:141]
	s_wait_loadcnt_dscnt 0x100
	v_mul_f64_e32 v[136:137], v[10:11], v[144:145]
	v_mul_f64_e32 v[144:145], v[12:13], v[144:145]
	v_add_f64_e32 v[130:131], v[132:133], v[130:131]
	v_add_f64_e32 v[132:133], v[154:155], v[160:161]
	v_fmac_f64_e32 v[158:159], v[6:7], v[138:139]
	v_fma_f64 v[138:139], v[4:5], v[138:139], -v[140:141]
	ds_load_b128 v[4:7], v2 offset:1840
	v_fmac_f64_e32 v[136:137], v[12:13], v[142:143]
	v_fma_f64 v[10:11], v[10:11], v[142:143], -v[144:145]
	v_add_f64_e32 v[130:131], v[130:131], v[134:135]
	v_add_f64_e32 v[132:133], v[132:133], v[156:157]
	s_wait_loadcnt_dscnt 0x0
	v_mul_f64_e32 v[134:135], v[4:5], v[148:149]
	v_mul_f64_e32 v[140:141], v[6:7], v[148:149]
	s_delay_alu instid0(VALU_DEP_4) | instskip(NEXT) | instid1(VALU_DEP_4)
	v_add_f64_e32 v[12:13], v[130:131], v[138:139]
	v_add_f64_e32 v[130:131], v[132:133], v[158:159]
	s_delay_alu instid0(VALU_DEP_4) | instskip(NEXT) | instid1(VALU_DEP_4)
	v_fmac_f64_e32 v[134:135], v[6:7], v[146:147]
	v_fma_f64 v[4:5], v[4:5], v[146:147], -v[140:141]
	s_delay_alu instid0(VALU_DEP_4) | instskip(NEXT) | instid1(VALU_DEP_4)
	v_add_f64_e32 v[6:7], v[12:13], v[10:11]
	v_add_f64_e32 v[10:11], v[130:131], v[136:137]
	s_delay_alu instid0(VALU_DEP_2) | instskip(NEXT) | instid1(VALU_DEP_2)
	v_add_f64_e32 v[4:5], v[6:7], v[4:5]
	v_add_f64_e32 v[6:7], v[10:11], v[134:135]
	s_delay_alu instid0(VALU_DEP_2) | instskip(NEXT) | instid1(VALU_DEP_2)
	v_add_f64_e64 v[4:5], v[170:171], -v[4:5]
	v_add_f64_e64 v[6:7], v[172:173], -v[6:7]
	scratch_store_b128 off, v[4:7], off offset:608
	s_wait_xcnt 0x0
	v_cmpx_lt_u32_e32 37, v1
	s_cbranch_execz .LBB57_287
; %bb.286:
	scratch_load_b128 v[10:13], off, s24
	v_dual_mov_b32 v3, v2 :: v_dual_mov_b32 v4, v2
	v_mov_b32_e32 v5, v2
	scratch_store_b128 off, v[2:5], off offset:592
	s_wait_loadcnt 0x0
	ds_store_b128 v8, v[10:13]
.LBB57_287:
	s_wait_xcnt 0x0
	s_or_b32 exec_lo, exec_lo, s2
	s_wait_storecnt_dscnt 0x0
	s_barrier_signal -1
	s_barrier_wait -1
	s_clause 0x9
	scratch_load_b128 v[4:7], off, off offset:608
	scratch_load_b128 v[10:13], off, off offset:624
	;; [unrolled: 1-line block ×10, first 2 shown]
	ds_load_b128 v[162:165], v2 offset:1536
	ds_load_b128 v[170:173], v2 offset:1552
	s_clause 0x2
	scratch_load_b128 v[166:169], off, off offset:768
	scratch_load_b128 v[174:177], off, off offset:592
	;; [unrolled: 1-line block ×3, first 2 shown]
	s_mov_b32 s2, exec_lo
	s_wait_loadcnt_dscnt 0xc01
	v_mul_f64_e32 v[182:183], v[164:165], v[6:7]
	v_mul_f64_e32 v[186:187], v[162:163], v[6:7]
	s_wait_loadcnt_dscnt 0xb00
	v_mul_f64_e32 v[188:189], v[170:171], v[12:13]
	v_mul_f64_e32 v[12:13], v[172:173], v[12:13]
	s_delay_alu instid0(VALU_DEP_4) | instskip(NEXT) | instid1(VALU_DEP_4)
	v_fma_f64 v[190:191], v[162:163], v[4:5], -v[182:183]
	v_fmac_f64_e32 v[186:187], v[164:165], v[4:5]
	ds_load_b128 v[4:7], v2 offset:1568
	ds_load_b128 v[162:165], v2 offset:1584
	scratch_load_b128 v[182:185], off, off offset:800
	v_fmac_f64_e32 v[188:189], v[172:173], v[10:11]
	v_fma_f64 v[170:171], v[170:171], v[10:11], -v[12:13]
	scratch_load_b128 v[10:13], off, off offset:816
	s_wait_loadcnt_dscnt 0xc01
	v_mul_f64_e32 v[192:193], v[4:5], v[132:133]
	v_mul_f64_e32 v[132:133], v[6:7], v[132:133]
	v_add_f64_e32 v[172:173], 0, v[190:191]
	v_add_f64_e32 v[186:187], 0, v[186:187]
	s_wait_loadcnt_dscnt 0xb00
	v_mul_f64_e32 v[190:191], v[162:163], v[136:137]
	v_mul_f64_e32 v[136:137], v[164:165], v[136:137]
	v_fmac_f64_e32 v[192:193], v[6:7], v[130:131]
	v_fma_f64 v[194:195], v[4:5], v[130:131], -v[132:133]
	ds_load_b128 v[4:7], v2 offset:1600
	ds_load_b128 v[130:133], v2 offset:1616
	v_add_f64_e32 v[196:197], v[172:173], v[170:171]
	v_add_f64_e32 v[186:187], v[186:187], v[188:189]
	scratch_load_b128 v[170:173], off, off offset:832
	v_fmac_f64_e32 v[190:191], v[164:165], v[134:135]
	v_fma_f64 v[162:163], v[162:163], v[134:135], -v[136:137]
	scratch_load_b128 v[134:137], off, off offset:848
	s_wait_loadcnt_dscnt 0xc01
	v_mul_f64_e32 v[188:189], v[4:5], v[140:141]
	v_mul_f64_e32 v[140:141], v[6:7], v[140:141]
	v_add_f64_e32 v[164:165], v[196:197], v[194:195]
	v_add_f64_e32 v[186:187], v[186:187], v[192:193]
	s_wait_loadcnt_dscnt 0xb00
	v_mul_f64_e32 v[192:193], v[130:131], v[144:145]
	v_mul_f64_e32 v[144:145], v[132:133], v[144:145]
	v_fmac_f64_e32 v[188:189], v[6:7], v[138:139]
	v_fma_f64 v[194:195], v[4:5], v[138:139], -v[140:141]
	ds_load_b128 v[4:7], v2 offset:1632
	ds_load_b128 v[138:141], v2 offset:1648
	v_add_f64_e32 v[196:197], v[164:165], v[162:163]
	v_add_f64_e32 v[186:187], v[186:187], v[190:191]
	scratch_load_b128 v[162:165], off, off offset:864
	s_wait_loadcnt_dscnt 0xb01
	v_mul_f64_e32 v[190:191], v[4:5], v[148:149]
	v_mul_f64_e32 v[148:149], v[6:7], v[148:149]
	v_fmac_f64_e32 v[192:193], v[132:133], v[142:143]
	v_fma_f64 v[142:143], v[130:131], v[142:143], -v[144:145]
	scratch_load_b128 v[130:133], off, off offset:880
	v_add_f64_e32 v[144:145], v[196:197], v[194:195]
	v_add_f64_e32 v[186:187], v[186:187], v[188:189]
	s_wait_loadcnt_dscnt 0xb00
	v_mul_f64_e32 v[188:189], v[138:139], v[152:153]
	v_mul_f64_e32 v[152:153], v[140:141], v[152:153]
	v_fmac_f64_e32 v[190:191], v[6:7], v[146:147]
	v_fma_f64 v[194:195], v[4:5], v[146:147], -v[148:149]
	v_add_f64_e32 v[196:197], v[144:145], v[142:143]
	v_add_f64_e32 v[186:187], v[186:187], v[192:193]
	ds_load_b128 v[4:7], v2 offset:1664
	ds_load_b128 v[142:145], v2 offset:1680
	scratch_load_b128 v[146:149], off, off offset:896
	v_fmac_f64_e32 v[188:189], v[140:141], v[150:151]
	v_fma_f64 v[150:151], v[138:139], v[150:151], -v[152:153]
	scratch_load_b128 v[138:141], off, off offset:912
	s_wait_loadcnt_dscnt 0xc01
	v_mul_f64_e32 v[192:193], v[4:5], v[156:157]
	v_mul_f64_e32 v[156:157], v[6:7], v[156:157]
	v_add_f64_e32 v[152:153], v[196:197], v[194:195]
	v_add_f64_e32 v[186:187], v[186:187], v[190:191]
	s_wait_loadcnt_dscnt 0xb00
	v_mul_f64_e32 v[190:191], v[142:143], v[160:161]
	v_mul_f64_e32 v[160:161], v[144:145], v[160:161]
	v_fmac_f64_e32 v[192:193], v[6:7], v[154:155]
	v_fma_f64 v[154:155], v[4:5], v[154:155], -v[156:157]
	v_add_f64_e32 v[156:157], v[152:153], v[150:151]
	v_add_f64_e32 v[186:187], v[186:187], v[188:189]
	ds_load_b128 v[4:7], v2 offset:1696
	ds_load_b128 v[150:153], v2 offset:1712
	v_fmac_f64_e32 v[190:191], v[144:145], v[158:159]
	v_fma_f64 v[142:143], v[142:143], v[158:159], -v[160:161]
	s_wait_loadcnt_dscnt 0xa01
	v_mul_f64_e32 v[188:189], v[4:5], v[168:169]
	v_mul_f64_e32 v[168:169], v[6:7], v[168:169]
	s_wait_loadcnt_dscnt 0x800
	v_mul_f64_e32 v[158:159], v[152:153], v[180:181]
	v_add_f64_e32 v[144:145], v[156:157], v[154:155]
	v_add_f64_e32 v[154:155], v[186:187], v[192:193]
	v_mul_f64_e32 v[156:157], v[150:151], v[180:181]
	v_fmac_f64_e32 v[188:189], v[6:7], v[166:167]
	v_fma_f64 v[160:161], v[4:5], v[166:167], -v[168:169]
	v_fma_f64 v[150:151], v[150:151], v[178:179], -v[158:159]
	v_add_f64_e32 v[166:167], v[144:145], v[142:143]
	v_add_f64_e32 v[154:155], v[154:155], v[190:191]
	ds_load_b128 v[4:7], v2 offset:1728
	ds_load_b128 v[142:145], v2 offset:1744
	v_fmac_f64_e32 v[156:157], v[152:153], v[178:179]
	s_wait_loadcnt_dscnt 0x701
	v_mul_f64_e32 v[168:169], v[4:5], v[184:185]
	v_mul_f64_e32 v[180:181], v[6:7], v[184:185]
	s_wait_loadcnt_dscnt 0x600
	v_mul_f64_e32 v[158:159], v[142:143], v[12:13]
	v_mul_f64_e32 v[12:13], v[144:145], v[12:13]
	v_add_f64_e32 v[152:153], v[166:167], v[160:161]
	v_add_f64_e32 v[154:155], v[154:155], v[188:189]
	v_fmac_f64_e32 v[168:169], v[6:7], v[182:183]
	v_fma_f64 v[160:161], v[4:5], v[182:183], -v[180:181]
	v_fmac_f64_e32 v[158:159], v[144:145], v[10:11]
	v_fma_f64 v[10:11], v[142:143], v[10:11], -v[12:13]
	v_add_f64_e32 v[166:167], v[152:153], v[150:151]
	v_add_f64_e32 v[154:155], v[154:155], v[156:157]
	ds_load_b128 v[4:7], v2 offset:1760
	ds_load_b128 v[150:153], v2 offset:1776
	s_wait_loadcnt_dscnt 0x501
	v_mul_f64_e32 v[156:157], v[4:5], v[172:173]
	v_mul_f64_e32 v[172:173], v[6:7], v[172:173]
	s_wait_loadcnt_dscnt 0x400
	v_mul_f64_e32 v[144:145], v[150:151], v[136:137]
	v_mul_f64_e32 v[136:137], v[152:153], v[136:137]
	v_add_f64_e32 v[12:13], v[166:167], v[160:161]
	v_add_f64_e32 v[142:143], v[154:155], v[168:169]
	v_fmac_f64_e32 v[156:157], v[6:7], v[170:171]
	v_fma_f64 v[154:155], v[4:5], v[170:171], -v[172:173]
	v_fmac_f64_e32 v[144:145], v[152:153], v[134:135]
	v_fma_f64 v[134:135], v[150:151], v[134:135], -v[136:137]
	v_add_f64_e32 v[160:161], v[12:13], v[10:11]
	v_add_f64_e32 v[142:143], v[142:143], v[158:159]
	ds_load_b128 v[4:7], v2 offset:1792
	ds_load_b128 v[10:13], v2 offset:1808
	;; [unrolled: 16-line block ×3, first 2 shown]
	s_wait_loadcnt_dscnt 0x101
	v_mul_f64_e32 v[2:3], v[4:5], v[148:149]
	v_mul_f64_e32 v[144:145], v[6:7], v[148:149]
	v_add_f64_e32 v[12:13], v[136:137], v[154:155]
	v_add_f64_e32 v[130:131], v[142:143], v[158:159]
	s_wait_loadcnt_dscnt 0x0
	v_mul_f64_e32 v[136:137], v[132:133], v[140:141]
	v_mul_f64_e32 v[140:141], v[134:135], v[140:141]
	v_fmac_f64_e32 v[2:3], v[6:7], v[146:147]
	v_fma_f64 v[4:5], v[4:5], v[146:147], -v[144:145]
	v_add_f64_e32 v[6:7], v[12:13], v[10:11]
	v_add_f64_e32 v[10:11], v[130:131], v[150:151]
	v_fmac_f64_e32 v[136:137], v[134:135], v[138:139]
	v_fma_f64 v[12:13], v[132:133], v[138:139], -v[140:141]
	s_delay_alu instid0(VALU_DEP_4) | instskip(NEXT) | instid1(VALU_DEP_4)
	v_add_f64_e32 v[4:5], v[6:7], v[4:5]
	v_add_f64_e32 v[2:3], v[10:11], v[2:3]
	s_delay_alu instid0(VALU_DEP_2) | instskip(NEXT) | instid1(VALU_DEP_2)
	v_add_f64_e32 v[4:5], v[4:5], v[12:13]
	v_add_f64_e32 v[6:7], v[2:3], v[136:137]
	s_delay_alu instid0(VALU_DEP_2) | instskip(NEXT) | instid1(VALU_DEP_2)
	v_add_f64_e64 v[2:3], v[174:175], -v[4:5]
	v_add_f64_e64 v[4:5], v[176:177], -v[6:7]
	scratch_store_b128 off, v[2:5], off offset:592
	s_wait_xcnt 0x0
	v_cmpx_lt_u32_e32 36, v1
	s_cbranch_execz .LBB57_289
; %bb.288:
	scratch_load_b128 v[2:5], off, s31
	v_mov_b32_e32 v10, 0
	s_delay_alu instid0(VALU_DEP_1)
	v_dual_mov_b32 v11, v10 :: v_dual_mov_b32 v12, v10
	v_mov_b32_e32 v13, v10
	scratch_store_b128 off, v[10:13], off offset:576
	s_wait_loadcnt 0x0
	ds_store_b128 v8, v[2:5]
.LBB57_289:
	s_wait_xcnt 0x0
	s_or_b32 exec_lo, exec_lo, s2
	s_wait_storecnt_dscnt 0x0
	s_barrier_signal -1
	s_barrier_wait -1
	s_clause 0x9
	scratch_load_b128 v[4:7], off, off offset:592
	scratch_load_b128 v[10:13], off, off offset:608
	;; [unrolled: 1-line block ×10, first 2 shown]
	v_mov_b32_e32 v2, 0
	s_mov_b32 s2, exec_lo
	ds_load_b128 v[162:165], v2 offset:1520
	s_clause 0x2
	scratch_load_b128 v[166:169], off, off offset:752
	scratch_load_b128 v[170:173], off, off offset:576
	;; [unrolled: 1-line block ×3, first 2 shown]
	s_wait_loadcnt_dscnt 0xc00
	v_mul_f64_e32 v[182:183], v[164:165], v[6:7]
	v_mul_f64_e32 v[186:187], v[162:163], v[6:7]
	ds_load_b128 v[174:177], v2 offset:1536
	v_fma_f64 v[190:191], v[162:163], v[4:5], -v[182:183]
	v_fmac_f64_e32 v[186:187], v[164:165], v[4:5]
	ds_load_b128 v[4:7], v2 offset:1552
	s_wait_loadcnt_dscnt 0xb01
	v_mul_f64_e32 v[188:189], v[174:175], v[12:13]
	v_mul_f64_e32 v[12:13], v[176:177], v[12:13]
	scratch_load_b128 v[162:165], off, off offset:784
	ds_load_b128 v[182:185], v2 offset:1568
	s_wait_loadcnt_dscnt 0xb01
	v_mul_f64_e32 v[192:193], v[4:5], v[132:133]
	v_mul_f64_e32 v[132:133], v[6:7], v[132:133]
	v_add_f64_e32 v[186:187], 0, v[186:187]
	v_fmac_f64_e32 v[188:189], v[176:177], v[10:11]
	v_fma_f64 v[174:175], v[174:175], v[10:11], -v[12:13]
	v_add_f64_e32 v[176:177], 0, v[190:191]
	scratch_load_b128 v[10:13], off, off offset:800
	v_fmac_f64_e32 v[192:193], v[6:7], v[130:131]
	v_fma_f64 v[194:195], v[4:5], v[130:131], -v[132:133]
	ds_load_b128 v[4:7], v2 offset:1584
	s_wait_loadcnt_dscnt 0xb01
	v_mul_f64_e32 v[190:191], v[182:183], v[136:137]
	v_mul_f64_e32 v[136:137], v[184:185], v[136:137]
	scratch_load_b128 v[130:133], off, off offset:816
	v_add_f64_e32 v[186:187], v[186:187], v[188:189]
	v_add_f64_e32 v[196:197], v[176:177], v[174:175]
	ds_load_b128 v[174:177], v2 offset:1600
	s_wait_loadcnt_dscnt 0xb01
	v_mul_f64_e32 v[188:189], v[4:5], v[140:141]
	v_mul_f64_e32 v[140:141], v[6:7], v[140:141]
	v_fmac_f64_e32 v[190:191], v[184:185], v[134:135]
	v_fma_f64 v[182:183], v[182:183], v[134:135], -v[136:137]
	scratch_load_b128 v[134:137], off, off offset:832
	v_add_f64_e32 v[186:187], v[186:187], v[192:193]
	v_add_f64_e32 v[184:185], v[196:197], v[194:195]
	v_fmac_f64_e32 v[188:189], v[6:7], v[138:139]
	v_fma_f64 v[194:195], v[4:5], v[138:139], -v[140:141]
	ds_load_b128 v[4:7], v2 offset:1616
	s_wait_loadcnt_dscnt 0xb01
	v_mul_f64_e32 v[192:193], v[174:175], v[144:145]
	v_mul_f64_e32 v[144:145], v[176:177], v[144:145]
	scratch_load_b128 v[138:141], off, off offset:848
	v_add_f64_e32 v[186:187], v[186:187], v[190:191]
	s_wait_loadcnt_dscnt 0xb00
	v_mul_f64_e32 v[190:191], v[4:5], v[148:149]
	v_add_f64_e32 v[196:197], v[184:185], v[182:183]
	v_mul_f64_e32 v[148:149], v[6:7], v[148:149]
	ds_load_b128 v[182:185], v2 offset:1632
	v_fmac_f64_e32 v[192:193], v[176:177], v[142:143]
	v_fma_f64 v[174:175], v[174:175], v[142:143], -v[144:145]
	scratch_load_b128 v[142:145], off, off offset:864
	v_add_f64_e32 v[186:187], v[186:187], v[188:189]
	v_fmac_f64_e32 v[190:191], v[6:7], v[146:147]
	v_add_f64_e32 v[176:177], v[196:197], v[194:195]
	v_fma_f64 v[194:195], v[4:5], v[146:147], -v[148:149]
	ds_load_b128 v[4:7], v2 offset:1648
	s_wait_loadcnt_dscnt 0xb01
	v_mul_f64_e32 v[188:189], v[182:183], v[152:153]
	v_mul_f64_e32 v[152:153], v[184:185], v[152:153]
	scratch_load_b128 v[146:149], off, off offset:880
	v_add_f64_e32 v[186:187], v[186:187], v[192:193]
	s_wait_loadcnt_dscnt 0xb00
	v_mul_f64_e32 v[192:193], v[4:5], v[156:157]
	v_add_f64_e32 v[196:197], v[176:177], v[174:175]
	v_mul_f64_e32 v[156:157], v[6:7], v[156:157]
	ds_load_b128 v[174:177], v2 offset:1664
	v_fmac_f64_e32 v[188:189], v[184:185], v[150:151]
	v_fma_f64 v[182:183], v[182:183], v[150:151], -v[152:153]
	scratch_load_b128 v[150:153], off, off offset:896
	v_add_f64_e32 v[186:187], v[186:187], v[190:191]
	v_fmac_f64_e32 v[192:193], v[6:7], v[154:155]
	v_add_f64_e32 v[184:185], v[196:197], v[194:195]
	v_fma_f64 v[194:195], v[4:5], v[154:155], -v[156:157]
	ds_load_b128 v[4:7], v2 offset:1680
	s_wait_loadcnt_dscnt 0xb01
	v_mul_f64_e32 v[190:191], v[174:175], v[160:161]
	v_mul_f64_e32 v[160:161], v[176:177], v[160:161]
	scratch_load_b128 v[154:157], off, off offset:912
	v_add_f64_e32 v[186:187], v[186:187], v[188:189]
	s_wait_loadcnt_dscnt 0xb00
	v_mul_f64_e32 v[188:189], v[4:5], v[168:169]
	v_add_f64_e32 v[196:197], v[184:185], v[182:183]
	v_mul_f64_e32 v[168:169], v[6:7], v[168:169]
	ds_load_b128 v[182:185], v2 offset:1696
	v_fmac_f64_e32 v[190:191], v[176:177], v[158:159]
	v_fma_f64 v[158:159], v[174:175], v[158:159], -v[160:161]
	s_wait_loadcnt_dscnt 0x900
	v_mul_f64_e32 v[176:177], v[182:183], v[180:181]
	v_mul_f64_e32 v[180:181], v[184:185], v[180:181]
	v_add_f64_e32 v[174:175], v[186:187], v[192:193]
	v_fmac_f64_e32 v[188:189], v[6:7], v[166:167]
	v_add_f64_e32 v[160:161], v[196:197], v[194:195]
	v_fma_f64 v[166:167], v[4:5], v[166:167], -v[168:169]
	v_fmac_f64_e32 v[176:177], v[184:185], v[178:179]
	v_fma_f64 v[178:179], v[182:183], v[178:179], -v[180:181]
	v_add_f64_e32 v[174:175], v[174:175], v[190:191]
	v_add_f64_e32 v[168:169], v[160:161], v[158:159]
	ds_load_b128 v[4:7], v2 offset:1712
	ds_load_b128 v[158:161], v2 offset:1728
	s_wait_loadcnt_dscnt 0x801
	v_mul_f64_e32 v[186:187], v[4:5], v[164:165]
	v_mul_f64_e32 v[164:165], v[6:7], v[164:165]
	v_add_f64_e32 v[166:167], v[168:169], v[166:167]
	v_add_f64_e32 v[168:169], v[174:175], v[188:189]
	s_wait_loadcnt_dscnt 0x700
	v_mul_f64_e32 v[174:175], v[158:159], v[12:13]
	v_mul_f64_e32 v[12:13], v[160:161], v[12:13]
	v_fmac_f64_e32 v[186:187], v[6:7], v[162:163]
	v_fma_f64 v[180:181], v[4:5], v[162:163], -v[164:165]
	ds_load_b128 v[4:7], v2 offset:1744
	ds_load_b128 v[162:165], v2 offset:1760
	v_add_f64_e32 v[166:167], v[166:167], v[178:179]
	v_add_f64_e32 v[168:169], v[168:169], v[176:177]
	v_fmac_f64_e32 v[174:175], v[160:161], v[10:11]
	v_fma_f64 v[10:11], v[158:159], v[10:11], -v[12:13]
	s_wait_loadcnt_dscnt 0x601
	v_mul_f64_e32 v[176:177], v[4:5], v[132:133]
	v_mul_f64_e32 v[132:133], v[6:7], v[132:133]
	s_wait_loadcnt_dscnt 0x500
	v_mul_f64_e32 v[160:161], v[162:163], v[136:137]
	v_mul_f64_e32 v[136:137], v[164:165], v[136:137]
	v_add_f64_e32 v[12:13], v[166:167], v[180:181]
	v_add_f64_e32 v[158:159], v[168:169], v[186:187]
	v_fmac_f64_e32 v[176:177], v[6:7], v[130:131]
	v_fma_f64 v[130:131], v[4:5], v[130:131], -v[132:133]
	v_fmac_f64_e32 v[160:161], v[164:165], v[134:135]
	v_fma_f64 v[134:135], v[162:163], v[134:135], -v[136:137]
	v_add_f64_e32 v[132:133], v[12:13], v[10:11]
	v_add_f64_e32 v[158:159], v[158:159], v[174:175]
	ds_load_b128 v[4:7], v2 offset:1776
	ds_load_b128 v[10:13], v2 offset:1792
	s_wait_loadcnt_dscnt 0x401
	v_mul_f64_e32 v[166:167], v[4:5], v[140:141]
	v_mul_f64_e32 v[140:141], v[6:7], v[140:141]
	s_wait_loadcnt_dscnt 0x300
	v_mul_f64_e32 v[136:137], v[10:11], v[144:145]
	v_mul_f64_e32 v[144:145], v[12:13], v[144:145]
	v_add_f64_e32 v[130:131], v[132:133], v[130:131]
	v_add_f64_e32 v[132:133], v[158:159], v[176:177]
	v_fmac_f64_e32 v[166:167], v[6:7], v[138:139]
	v_fma_f64 v[138:139], v[4:5], v[138:139], -v[140:141]
	v_fmac_f64_e32 v[136:137], v[12:13], v[142:143]
	v_fma_f64 v[10:11], v[10:11], v[142:143], -v[144:145]
	v_add_f64_e32 v[134:135], v[130:131], v[134:135]
	v_add_f64_e32 v[140:141], v[132:133], v[160:161]
	ds_load_b128 v[4:7], v2 offset:1808
	ds_load_b128 v[130:133], v2 offset:1824
	s_wait_loadcnt_dscnt 0x201
	v_mul_f64_e32 v[158:159], v[4:5], v[148:149]
	v_mul_f64_e32 v[148:149], v[6:7], v[148:149]
	v_add_f64_e32 v[12:13], v[134:135], v[138:139]
	v_add_f64_e32 v[134:135], v[140:141], v[166:167]
	s_wait_loadcnt_dscnt 0x100
	v_mul_f64_e32 v[138:139], v[130:131], v[152:153]
	v_mul_f64_e32 v[140:141], v[132:133], v[152:153]
	v_fmac_f64_e32 v[158:159], v[6:7], v[146:147]
	v_fma_f64 v[142:143], v[4:5], v[146:147], -v[148:149]
	ds_load_b128 v[4:7], v2 offset:1840
	v_add_f64_e32 v[10:11], v[12:13], v[10:11]
	v_add_f64_e32 v[12:13], v[134:135], v[136:137]
	v_fmac_f64_e32 v[138:139], v[132:133], v[150:151]
	v_fma_f64 v[130:131], v[130:131], v[150:151], -v[140:141]
	s_wait_loadcnt_dscnt 0x0
	v_mul_f64_e32 v[134:135], v[4:5], v[156:157]
	v_mul_f64_e32 v[136:137], v[6:7], v[156:157]
	v_add_f64_e32 v[10:11], v[10:11], v[142:143]
	v_add_f64_e32 v[12:13], v[12:13], v[158:159]
	s_delay_alu instid0(VALU_DEP_4) | instskip(NEXT) | instid1(VALU_DEP_4)
	v_fmac_f64_e32 v[134:135], v[6:7], v[154:155]
	v_fma_f64 v[4:5], v[4:5], v[154:155], -v[136:137]
	s_delay_alu instid0(VALU_DEP_4) | instskip(NEXT) | instid1(VALU_DEP_4)
	v_add_f64_e32 v[6:7], v[10:11], v[130:131]
	v_add_f64_e32 v[10:11], v[12:13], v[138:139]
	s_delay_alu instid0(VALU_DEP_2) | instskip(NEXT) | instid1(VALU_DEP_2)
	v_add_f64_e32 v[4:5], v[6:7], v[4:5]
	v_add_f64_e32 v[6:7], v[10:11], v[134:135]
	s_delay_alu instid0(VALU_DEP_2) | instskip(NEXT) | instid1(VALU_DEP_2)
	v_add_f64_e64 v[4:5], v[170:171], -v[4:5]
	v_add_f64_e64 v[6:7], v[172:173], -v[6:7]
	scratch_store_b128 off, v[4:7], off offset:576
	s_wait_xcnt 0x0
	v_cmpx_lt_u32_e32 35, v1
	s_cbranch_execz .LBB57_291
; %bb.290:
	scratch_load_b128 v[10:13], off, s28
	v_dual_mov_b32 v3, v2 :: v_dual_mov_b32 v4, v2
	v_mov_b32_e32 v5, v2
	scratch_store_b128 off, v[2:5], off offset:560
	s_wait_loadcnt 0x0
	ds_store_b128 v8, v[10:13]
.LBB57_291:
	s_wait_xcnt 0x0
	s_or_b32 exec_lo, exec_lo, s2
	s_wait_storecnt_dscnt 0x0
	s_barrier_signal -1
	s_barrier_wait -1
	s_clause 0x9
	scratch_load_b128 v[4:7], off, off offset:576
	scratch_load_b128 v[10:13], off, off offset:592
	;; [unrolled: 1-line block ×10, first 2 shown]
	ds_load_b128 v[162:165], v2 offset:1504
	ds_load_b128 v[170:173], v2 offset:1520
	s_clause 0x2
	scratch_load_b128 v[166:169], off, off offset:736
	scratch_load_b128 v[174:177], off, off offset:560
	;; [unrolled: 1-line block ×3, first 2 shown]
	s_mov_b32 s2, exec_lo
	s_wait_loadcnt_dscnt 0xc01
	v_mul_f64_e32 v[182:183], v[164:165], v[6:7]
	v_mul_f64_e32 v[186:187], v[162:163], v[6:7]
	s_wait_loadcnt_dscnt 0xb00
	v_mul_f64_e32 v[188:189], v[170:171], v[12:13]
	v_mul_f64_e32 v[12:13], v[172:173], v[12:13]
	s_delay_alu instid0(VALU_DEP_4) | instskip(NEXT) | instid1(VALU_DEP_4)
	v_fma_f64 v[190:191], v[162:163], v[4:5], -v[182:183]
	v_fmac_f64_e32 v[186:187], v[164:165], v[4:5]
	ds_load_b128 v[4:7], v2 offset:1536
	ds_load_b128 v[162:165], v2 offset:1552
	scratch_load_b128 v[182:185], off, off offset:768
	v_fmac_f64_e32 v[188:189], v[172:173], v[10:11]
	v_fma_f64 v[170:171], v[170:171], v[10:11], -v[12:13]
	scratch_load_b128 v[10:13], off, off offset:784
	s_wait_loadcnt_dscnt 0xc01
	v_mul_f64_e32 v[192:193], v[4:5], v[132:133]
	v_mul_f64_e32 v[132:133], v[6:7], v[132:133]
	v_add_f64_e32 v[172:173], 0, v[190:191]
	v_add_f64_e32 v[186:187], 0, v[186:187]
	s_wait_loadcnt_dscnt 0xb00
	v_mul_f64_e32 v[190:191], v[162:163], v[136:137]
	v_mul_f64_e32 v[136:137], v[164:165], v[136:137]
	v_fmac_f64_e32 v[192:193], v[6:7], v[130:131]
	v_fma_f64 v[194:195], v[4:5], v[130:131], -v[132:133]
	ds_load_b128 v[4:7], v2 offset:1568
	ds_load_b128 v[130:133], v2 offset:1584
	v_add_f64_e32 v[196:197], v[172:173], v[170:171]
	v_add_f64_e32 v[186:187], v[186:187], v[188:189]
	scratch_load_b128 v[170:173], off, off offset:800
	v_fmac_f64_e32 v[190:191], v[164:165], v[134:135]
	v_fma_f64 v[162:163], v[162:163], v[134:135], -v[136:137]
	scratch_load_b128 v[134:137], off, off offset:816
	s_wait_loadcnt_dscnt 0xc01
	v_mul_f64_e32 v[188:189], v[4:5], v[140:141]
	v_mul_f64_e32 v[140:141], v[6:7], v[140:141]
	v_add_f64_e32 v[164:165], v[196:197], v[194:195]
	v_add_f64_e32 v[186:187], v[186:187], v[192:193]
	s_wait_loadcnt_dscnt 0xb00
	v_mul_f64_e32 v[192:193], v[130:131], v[144:145]
	v_mul_f64_e32 v[144:145], v[132:133], v[144:145]
	v_fmac_f64_e32 v[188:189], v[6:7], v[138:139]
	v_fma_f64 v[194:195], v[4:5], v[138:139], -v[140:141]
	ds_load_b128 v[4:7], v2 offset:1600
	ds_load_b128 v[138:141], v2 offset:1616
	v_add_f64_e32 v[196:197], v[164:165], v[162:163]
	v_add_f64_e32 v[186:187], v[186:187], v[190:191]
	scratch_load_b128 v[162:165], off, off offset:832
	s_wait_loadcnt_dscnt 0xb01
	v_mul_f64_e32 v[190:191], v[4:5], v[148:149]
	v_mul_f64_e32 v[148:149], v[6:7], v[148:149]
	v_fmac_f64_e32 v[192:193], v[132:133], v[142:143]
	v_fma_f64 v[142:143], v[130:131], v[142:143], -v[144:145]
	scratch_load_b128 v[130:133], off, off offset:848
	v_add_f64_e32 v[144:145], v[196:197], v[194:195]
	v_add_f64_e32 v[186:187], v[186:187], v[188:189]
	s_wait_loadcnt_dscnt 0xb00
	v_mul_f64_e32 v[188:189], v[138:139], v[152:153]
	v_mul_f64_e32 v[152:153], v[140:141], v[152:153]
	v_fmac_f64_e32 v[190:191], v[6:7], v[146:147]
	v_fma_f64 v[194:195], v[4:5], v[146:147], -v[148:149]
	v_add_f64_e32 v[196:197], v[144:145], v[142:143]
	v_add_f64_e32 v[186:187], v[186:187], v[192:193]
	ds_load_b128 v[4:7], v2 offset:1632
	ds_load_b128 v[142:145], v2 offset:1648
	scratch_load_b128 v[146:149], off, off offset:864
	v_fmac_f64_e32 v[188:189], v[140:141], v[150:151]
	v_fma_f64 v[150:151], v[138:139], v[150:151], -v[152:153]
	scratch_load_b128 v[138:141], off, off offset:880
	s_wait_loadcnt_dscnt 0xc01
	v_mul_f64_e32 v[192:193], v[4:5], v[156:157]
	v_mul_f64_e32 v[156:157], v[6:7], v[156:157]
	v_add_f64_e32 v[152:153], v[196:197], v[194:195]
	v_add_f64_e32 v[186:187], v[186:187], v[190:191]
	s_wait_loadcnt_dscnt 0xb00
	v_mul_f64_e32 v[190:191], v[142:143], v[160:161]
	v_mul_f64_e32 v[160:161], v[144:145], v[160:161]
	v_fmac_f64_e32 v[192:193], v[6:7], v[154:155]
	v_fma_f64 v[194:195], v[4:5], v[154:155], -v[156:157]
	v_add_f64_e32 v[196:197], v[152:153], v[150:151]
	v_add_f64_e32 v[186:187], v[186:187], v[188:189]
	ds_load_b128 v[4:7], v2 offset:1664
	ds_load_b128 v[150:153], v2 offset:1680
	scratch_load_b128 v[154:157], off, off offset:896
	v_fmac_f64_e32 v[190:191], v[144:145], v[158:159]
	v_fma_f64 v[158:159], v[142:143], v[158:159], -v[160:161]
	scratch_load_b128 v[142:145], off, off offset:912
	s_wait_loadcnt_dscnt 0xc01
	v_mul_f64_e32 v[188:189], v[4:5], v[168:169]
	v_mul_f64_e32 v[168:169], v[6:7], v[168:169]
	v_add_f64_e32 v[160:161], v[196:197], v[194:195]
	v_add_f64_e32 v[186:187], v[186:187], v[192:193]
	s_wait_loadcnt_dscnt 0xa00
	v_mul_f64_e32 v[192:193], v[150:151], v[180:181]
	v_mul_f64_e32 v[180:181], v[152:153], v[180:181]
	v_fmac_f64_e32 v[188:189], v[6:7], v[166:167]
	v_fma_f64 v[166:167], v[4:5], v[166:167], -v[168:169]
	v_add_f64_e32 v[168:169], v[160:161], v[158:159]
	v_add_f64_e32 v[186:187], v[186:187], v[190:191]
	ds_load_b128 v[4:7], v2 offset:1696
	ds_load_b128 v[158:161], v2 offset:1712
	v_fmac_f64_e32 v[192:193], v[152:153], v[178:179]
	v_fma_f64 v[150:151], v[150:151], v[178:179], -v[180:181]
	s_wait_loadcnt_dscnt 0x901
	v_mul_f64_e32 v[190:191], v[4:5], v[184:185]
	v_mul_f64_e32 v[184:185], v[6:7], v[184:185]
	v_add_f64_e32 v[152:153], v[168:169], v[166:167]
	v_add_f64_e32 v[166:167], v[186:187], v[188:189]
	s_wait_loadcnt_dscnt 0x800
	v_mul_f64_e32 v[168:169], v[158:159], v[12:13]
	v_mul_f64_e32 v[12:13], v[160:161], v[12:13]
	v_fmac_f64_e32 v[190:191], v[6:7], v[182:183]
	v_fma_f64 v[178:179], v[4:5], v[182:183], -v[184:185]
	v_add_f64_e32 v[180:181], v[152:153], v[150:151]
	v_add_f64_e32 v[166:167], v[166:167], v[192:193]
	ds_load_b128 v[4:7], v2 offset:1728
	ds_load_b128 v[150:153], v2 offset:1744
	v_fmac_f64_e32 v[168:169], v[160:161], v[10:11]
	v_fma_f64 v[10:11], v[158:159], v[10:11], -v[12:13]
	s_wait_loadcnt_dscnt 0x701
	v_mul_f64_e32 v[182:183], v[4:5], v[172:173]
	v_mul_f64_e32 v[172:173], v[6:7], v[172:173]
	s_wait_loadcnt_dscnt 0x600
	v_mul_f64_e32 v[160:161], v[150:151], v[136:137]
	v_mul_f64_e32 v[136:137], v[152:153], v[136:137]
	v_add_f64_e32 v[12:13], v[180:181], v[178:179]
	v_add_f64_e32 v[158:159], v[166:167], v[190:191]
	v_fmac_f64_e32 v[182:183], v[6:7], v[170:171]
	v_fma_f64 v[166:167], v[4:5], v[170:171], -v[172:173]
	v_fmac_f64_e32 v[160:161], v[152:153], v[134:135]
	v_fma_f64 v[134:135], v[150:151], v[134:135], -v[136:137]
	v_add_f64_e32 v[170:171], v[12:13], v[10:11]
	v_add_f64_e32 v[158:159], v[158:159], v[168:169]
	ds_load_b128 v[4:7], v2 offset:1760
	ds_load_b128 v[10:13], v2 offset:1776
	s_wait_loadcnt_dscnt 0x501
	v_mul_f64_e32 v[168:169], v[4:5], v[164:165]
	v_mul_f64_e32 v[164:165], v[6:7], v[164:165]
	s_wait_loadcnt_dscnt 0x400
	v_mul_f64_e32 v[152:153], v[10:11], v[132:133]
	v_add_f64_e32 v[136:137], v[170:171], v[166:167]
	v_add_f64_e32 v[150:151], v[158:159], v[182:183]
	v_mul_f64_e32 v[158:159], v[12:13], v[132:133]
	v_fmac_f64_e32 v[168:169], v[6:7], v[162:163]
	v_fma_f64 v[162:163], v[4:5], v[162:163], -v[164:165]
	v_fmac_f64_e32 v[152:153], v[12:13], v[130:131]
	v_add_f64_e32 v[136:137], v[136:137], v[134:135]
	v_add_f64_e32 v[150:151], v[150:151], v[160:161]
	ds_load_b128 v[4:7], v2 offset:1792
	ds_load_b128 v[132:135], v2 offset:1808
	v_fma_f64 v[10:11], v[10:11], v[130:131], -v[158:159]
	s_wait_loadcnt_dscnt 0x301
	v_mul_f64_e32 v[160:161], v[4:5], v[148:149]
	v_mul_f64_e32 v[148:149], v[6:7], v[148:149]
	v_add_f64_e32 v[12:13], v[136:137], v[162:163]
	v_add_f64_e32 v[130:131], v[150:151], v[168:169]
	s_wait_loadcnt_dscnt 0x200
	v_mul_f64_e32 v[136:137], v[132:133], v[140:141]
	v_mul_f64_e32 v[140:141], v[134:135], v[140:141]
	v_fmac_f64_e32 v[160:161], v[6:7], v[146:147]
	v_fma_f64 v[146:147], v[4:5], v[146:147], -v[148:149]
	v_add_f64_e32 v[148:149], v[12:13], v[10:11]
	v_add_f64_e32 v[130:131], v[130:131], v[152:153]
	ds_load_b128 v[4:7], v2 offset:1824
	ds_load_b128 v[10:13], v2 offset:1840
	v_fmac_f64_e32 v[136:137], v[134:135], v[138:139]
	v_fma_f64 v[132:133], v[132:133], v[138:139], -v[140:141]
	s_wait_loadcnt_dscnt 0x101
	v_mul_f64_e32 v[2:3], v[4:5], v[156:157]
	v_mul_f64_e32 v[150:151], v[6:7], v[156:157]
	s_wait_loadcnt_dscnt 0x0
	v_mul_f64_e32 v[138:139], v[10:11], v[144:145]
	v_mul_f64_e32 v[140:141], v[12:13], v[144:145]
	v_add_f64_e32 v[134:135], v[148:149], v[146:147]
	v_add_f64_e32 v[130:131], v[130:131], v[160:161]
	v_fmac_f64_e32 v[2:3], v[6:7], v[154:155]
	v_fma_f64 v[4:5], v[4:5], v[154:155], -v[150:151]
	v_fmac_f64_e32 v[138:139], v[12:13], v[142:143]
	v_fma_f64 v[10:11], v[10:11], v[142:143], -v[140:141]
	v_add_f64_e32 v[6:7], v[134:135], v[132:133]
	v_add_f64_e32 v[130:131], v[130:131], v[136:137]
	s_delay_alu instid0(VALU_DEP_2) | instskip(NEXT) | instid1(VALU_DEP_2)
	v_add_f64_e32 v[4:5], v[6:7], v[4:5]
	v_add_f64_e32 v[2:3], v[130:131], v[2:3]
	s_delay_alu instid0(VALU_DEP_2) | instskip(NEXT) | instid1(VALU_DEP_2)
	v_add_f64_e32 v[4:5], v[4:5], v[10:11]
	v_add_f64_e32 v[6:7], v[2:3], v[138:139]
	s_delay_alu instid0(VALU_DEP_2) | instskip(NEXT) | instid1(VALU_DEP_2)
	v_add_f64_e64 v[2:3], v[174:175], -v[4:5]
	v_add_f64_e64 v[4:5], v[176:177], -v[6:7]
	scratch_store_b128 off, v[2:5], off offset:560
	s_wait_xcnt 0x0
	v_cmpx_lt_u32_e32 34, v1
	s_cbranch_execz .LBB57_293
; %bb.292:
	scratch_load_b128 v[2:5], off, s37
	v_mov_b32_e32 v10, 0
	s_delay_alu instid0(VALU_DEP_1)
	v_dual_mov_b32 v11, v10 :: v_dual_mov_b32 v12, v10
	v_mov_b32_e32 v13, v10
	scratch_store_b128 off, v[10:13], off offset:544
	s_wait_loadcnt 0x0
	ds_store_b128 v8, v[2:5]
.LBB57_293:
	s_wait_xcnt 0x0
	s_or_b32 exec_lo, exec_lo, s2
	s_wait_storecnt_dscnt 0x0
	s_barrier_signal -1
	s_barrier_wait -1
	s_clause 0x9
	scratch_load_b128 v[4:7], off, off offset:560
	scratch_load_b128 v[10:13], off, off offset:576
	;; [unrolled: 1-line block ×10, first 2 shown]
	v_mov_b32_e32 v2, 0
	s_mov_b32 s2, exec_lo
	ds_load_b128 v[162:165], v2 offset:1488
	s_clause 0x2
	scratch_load_b128 v[166:169], off, off offset:720
	scratch_load_b128 v[170:173], off, off offset:544
	;; [unrolled: 1-line block ×3, first 2 shown]
	s_wait_loadcnt_dscnt 0xc00
	v_mul_f64_e32 v[182:183], v[164:165], v[6:7]
	v_mul_f64_e32 v[186:187], v[162:163], v[6:7]
	ds_load_b128 v[174:177], v2 offset:1504
	v_fma_f64 v[190:191], v[162:163], v[4:5], -v[182:183]
	v_fmac_f64_e32 v[186:187], v[164:165], v[4:5]
	ds_load_b128 v[4:7], v2 offset:1520
	s_wait_loadcnt_dscnt 0xb01
	v_mul_f64_e32 v[188:189], v[174:175], v[12:13]
	v_mul_f64_e32 v[12:13], v[176:177], v[12:13]
	scratch_load_b128 v[162:165], off, off offset:752
	ds_load_b128 v[182:185], v2 offset:1536
	s_wait_loadcnt_dscnt 0xb01
	v_mul_f64_e32 v[192:193], v[4:5], v[132:133]
	v_mul_f64_e32 v[132:133], v[6:7], v[132:133]
	v_add_f64_e32 v[186:187], 0, v[186:187]
	v_fmac_f64_e32 v[188:189], v[176:177], v[10:11]
	v_fma_f64 v[174:175], v[174:175], v[10:11], -v[12:13]
	v_add_f64_e32 v[176:177], 0, v[190:191]
	scratch_load_b128 v[10:13], off, off offset:768
	v_fmac_f64_e32 v[192:193], v[6:7], v[130:131]
	v_fma_f64 v[194:195], v[4:5], v[130:131], -v[132:133]
	ds_load_b128 v[4:7], v2 offset:1552
	s_wait_loadcnt_dscnt 0xb01
	v_mul_f64_e32 v[190:191], v[182:183], v[136:137]
	v_mul_f64_e32 v[136:137], v[184:185], v[136:137]
	scratch_load_b128 v[130:133], off, off offset:784
	v_add_f64_e32 v[186:187], v[186:187], v[188:189]
	v_add_f64_e32 v[196:197], v[176:177], v[174:175]
	ds_load_b128 v[174:177], v2 offset:1568
	s_wait_loadcnt_dscnt 0xb01
	v_mul_f64_e32 v[188:189], v[4:5], v[140:141]
	v_mul_f64_e32 v[140:141], v[6:7], v[140:141]
	v_fmac_f64_e32 v[190:191], v[184:185], v[134:135]
	v_fma_f64 v[182:183], v[182:183], v[134:135], -v[136:137]
	scratch_load_b128 v[134:137], off, off offset:800
	v_add_f64_e32 v[186:187], v[186:187], v[192:193]
	v_add_f64_e32 v[184:185], v[196:197], v[194:195]
	v_fmac_f64_e32 v[188:189], v[6:7], v[138:139]
	v_fma_f64 v[194:195], v[4:5], v[138:139], -v[140:141]
	ds_load_b128 v[4:7], v2 offset:1584
	s_wait_loadcnt_dscnt 0xb01
	v_mul_f64_e32 v[192:193], v[174:175], v[144:145]
	v_mul_f64_e32 v[144:145], v[176:177], v[144:145]
	scratch_load_b128 v[138:141], off, off offset:816
	v_add_f64_e32 v[186:187], v[186:187], v[190:191]
	s_wait_loadcnt_dscnt 0xb00
	v_mul_f64_e32 v[190:191], v[4:5], v[148:149]
	v_add_f64_e32 v[196:197], v[184:185], v[182:183]
	v_mul_f64_e32 v[148:149], v[6:7], v[148:149]
	ds_load_b128 v[182:185], v2 offset:1600
	v_fmac_f64_e32 v[192:193], v[176:177], v[142:143]
	v_fma_f64 v[174:175], v[174:175], v[142:143], -v[144:145]
	scratch_load_b128 v[142:145], off, off offset:832
	v_add_f64_e32 v[186:187], v[186:187], v[188:189]
	v_fmac_f64_e32 v[190:191], v[6:7], v[146:147]
	v_add_f64_e32 v[176:177], v[196:197], v[194:195]
	v_fma_f64 v[194:195], v[4:5], v[146:147], -v[148:149]
	ds_load_b128 v[4:7], v2 offset:1616
	s_wait_loadcnt_dscnt 0xb01
	v_mul_f64_e32 v[188:189], v[182:183], v[152:153]
	v_mul_f64_e32 v[152:153], v[184:185], v[152:153]
	scratch_load_b128 v[146:149], off, off offset:848
	v_add_f64_e32 v[186:187], v[186:187], v[192:193]
	s_wait_loadcnt_dscnt 0xb00
	v_mul_f64_e32 v[192:193], v[4:5], v[156:157]
	v_add_f64_e32 v[196:197], v[176:177], v[174:175]
	v_mul_f64_e32 v[156:157], v[6:7], v[156:157]
	ds_load_b128 v[174:177], v2 offset:1632
	v_fmac_f64_e32 v[188:189], v[184:185], v[150:151]
	v_fma_f64 v[182:183], v[182:183], v[150:151], -v[152:153]
	scratch_load_b128 v[150:153], off, off offset:864
	v_add_f64_e32 v[186:187], v[186:187], v[190:191]
	v_fmac_f64_e32 v[192:193], v[6:7], v[154:155]
	v_add_f64_e32 v[184:185], v[196:197], v[194:195]
	v_fma_f64 v[194:195], v[4:5], v[154:155], -v[156:157]
	ds_load_b128 v[4:7], v2 offset:1648
	s_wait_loadcnt_dscnt 0xb01
	v_mul_f64_e32 v[190:191], v[174:175], v[160:161]
	v_mul_f64_e32 v[160:161], v[176:177], v[160:161]
	scratch_load_b128 v[154:157], off, off offset:880
	v_add_f64_e32 v[186:187], v[186:187], v[188:189]
	s_wait_loadcnt_dscnt 0xb00
	v_mul_f64_e32 v[188:189], v[4:5], v[168:169]
	v_add_f64_e32 v[196:197], v[184:185], v[182:183]
	v_mul_f64_e32 v[168:169], v[6:7], v[168:169]
	ds_load_b128 v[182:185], v2 offset:1664
	v_fmac_f64_e32 v[190:191], v[176:177], v[158:159]
	v_fma_f64 v[174:175], v[174:175], v[158:159], -v[160:161]
	scratch_load_b128 v[158:161], off, off offset:896
	v_add_f64_e32 v[186:187], v[186:187], v[192:193]
	v_fmac_f64_e32 v[188:189], v[6:7], v[166:167]
	v_add_f64_e32 v[176:177], v[196:197], v[194:195]
	v_fma_f64 v[194:195], v[4:5], v[166:167], -v[168:169]
	ds_load_b128 v[4:7], v2 offset:1680
	s_wait_loadcnt_dscnt 0xa01
	v_mul_f64_e32 v[192:193], v[182:183], v[180:181]
	v_mul_f64_e32 v[180:181], v[184:185], v[180:181]
	scratch_load_b128 v[166:169], off, off offset:912
	v_add_f64_e32 v[186:187], v[186:187], v[190:191]
	v_add_f64_e32 v[196:197], v[176:177], v[174:175]
	s_wait_loadcnt_dscnt 0xa00
	v_mul_f64_e32 v[190:191], v[4:5], v[164:165]
	v_mul_f64_e32 v[164:165], v[6:7], v[164:165]
	v_fmac_f64_e32 v[192:193], v[184:185], v[178:179]
	v_fma_f64 v[178:179], v[182:183], v[178:179], -v[180:181]
	ds_load_b128 v[174:177], v2 offset:1696
	v_add_f64_e32 v[182:183], v[186:187], v[188:189]
	v_add_f64_e32 v[180:181], v[196:197], v[194:195]
	s_wait_loadcnt_dscnt 0x900
	v_mul_f64_e32 v[184:185], v[174:175], v[12:13]
	v_mul_f64_e32 v[12:13], v[176:177], v[12:13]
	v_fmac_f64_e32 v[190:191], v[6:7], v[162:163]
	v_fma_f64 v[186:187], v[4:5], v[162:163], -v[164:165]
	ds_load_b128 v[4:7], v2 offset:1712
	ds_load_b128 v[162:165], v2 offset:1728
	v_add_f64_e32 v[178:179], v[180:181], v[178:179]
	v_add_f64_e32 v[180:181], v[182:183], v[192:193]
	s_wait_loadcnt_dscnt 0x801
	v_mul_f64_e32 v[182:183], v[4:5], v[132:133]
	v_mul_f64_e32 v[132:133], v[6:7], v[132:133]
	v_fmac_f64_e32 v[184:185], v[176:177], v[10:11]
	v_fma_f64 v[10:11], v[174:175], v[10:11], -v[12:13]
	s_wait_loadcnt_dscnt 0x700
	v_mul_f64_e32 v[176:177], v[162:163], v[136:137]
	v_mul_f64_e32 v[136:137], v[164:165], v[136:137]
	v_add_f64_e32 v[12:13], v[178:179], v[186:187]
	v_add_f64_e32 v[174:175], v[180:181], v[190:191]
	v_fmac_f64_e32 v[182:183], v[6:7], v[130:131]
	v_fma_f64 v[130:131], v[4:5], v[130:131], -v[132:133]
	v_fmac_f64_e32 v[176:177], v[164:165], v[134:135]
	v_fma_f64 v[134:135], v[162:163], v[134:135], -v[136:137]
	v_add_f64_e32 v[132:133], v[12:13], v[10:11]
	v_add_f64_e32 v[174:175], v[174:175], v[184:185]
	ds_load_b128 v[4:7], v2 offset:1744
	ds_load_b128 v[10:13], v2 offset:1760
	s_wait_loadcnt_dscnt 0x601
	v_mul_f64_e32 v[178:179], v[4:5], v[140:141]
	v_mul_f64_e32 v[140:141], v[6:7], v[140:141]
	s_wait_loadcnt_dscnt 0x500
	v_mul_f64_e32 v[136:137], v[10:11], v[144:145]
	v_mul_f64_e32 v[144:145], v[12:13], v[144:145]
	v_add_f64_e32 v[130:131], v[132:133], v[130:131]
	v_add_f64_e32 v[132:133], v[174:175], v[182:183]
	v_fmac_f64_e32 v[178:179], v[6:7], v[138:139]
	v_fma_f64 v[138:139], v[4:5], v[138:139], -v[140:141]
	v_fmac_f64_e32 v[136:137], v[12:13], v[142:143]
	v_fma_f64 v[10:11], v[10:11], v[142:143], -v[144:145]
	v_add_f64_e32 v[134:135], v[130:131], v[134:135]
	v_add_f64_e32 v[140:141], v[132:133], v[176:177]
	ds_load_b128 v[4:7], v2 offset:1776
	ds_load_b128 v[130:133], v2 offset:1792
	s_wait_loadcnt_dscnt 0x401
	v_mul_f64_e32 v[162:163], v[4:5], v[148:149]
	v_mul_f64_e32 v[148:149], v[6:7], v[148:149]
	v_add_f64_e32 v[12:13], v[134:135], v[138:139]
	v_add_f64_e32 v[134:135], v[140:141], v[178:179]
	s_wait_loadcnt_dscnt 0x300
	v_mul_f64_e32 v[138:139], v[130:131], v[152:153]
	v_mul_f64_e32 v[140:141], v[132:133], v[152:153]
	v_fmac_f64_e32 v[162:163], v[6:7], v[146:147]
	v_fma_f64 v[142:143], v[4:5], v[146:147], -v[148:149]
	v_add_f64_e32 v[144:145], v[12:13], v[10:11]
	v_add_f64_e32 v[134:135], v[134:135], v[136:137]
	ds_load_b128 v[4:7], v2 offset:1808
	ds_load_b128 v[10:13], v2 offset:1824
	v_fmac_f64_e32 v[138:139], v[132:133], v[150:151]
	v_fma_f64 v[130:131], v[130:131], v[150:151], -v[140:141]
	s_wait_loadcnt_dscnt 0x201
	v_mul_f64_e32 v[136:137], v[4:5], v[156:157]
	v_mul_f64_e32 v[146:147], v[6:7], v[156:157]
	s_wait_loadcnt_dscnt 0x100
	v_mul_f64_e32 v[140:141], v[10:11], v[160:161]
	v_add_f64_e32 v[132:133], v[144:145], v[142:143]
	v_add_f64_e32 v[134:135], v[134:135], v[162:163]
	v_mul_f64_e32 v[142:143], v[12:13], v[160:161]
	v_fmac_f64_e32 v[136:137], v[6:7], v[154:155]
	v_fma_f64 v[144:145], v[4:5], v[154:155], -v[146:147]
	ds_load_b128 v[4:7], v2 offset:1840
	v_fmac_f64_e32 v[140:141], v[12:13], v[158:159]
	v_add_f64_e32 v[130:131], v[132:133], v[130:131]
	v_add_f64_e32 v[132:133], v[134:135], v[138:139]
	v_fma_f64 v[10:11], v[10:11], v[158:159], -v[142:143]
	s_wait_loadcnt_dscnt 0x0
	v_mul_f64_e32 v[134:135], v[4:5], v[168:169]
	v_mul_f64_e32 v[138:139], v[6:7], v[168:169]
	v_add_f64_e32 v[12:13], v[130:131], v[144:145]
	v_add_f64_e32 v[130:131], v[132:133], v[136:137]
	s_delay_alu instid0(VALU_DEP_4) | instskip(NEXT) | instid1(VALU_DEP_4)
	v_fmac_f64_e32 v[134:135], v[6:7], v[166:167]
	v_fma_f64 v[4:5], v[4:5], v[166:167], -v[138:139]
	s_delay_alu instid0(VALU_DEP_4) | instskip(NEXT) | instid1(VALU_DEP_4)
	v_add_f64_e32 v[6:7], v[12:13], v[10:11]
	v_add_f64_e32 v[10:11], v[130:131], v[140:141]
	s_delay_alu instid0(VALU_DEP_2) | instskip(NEXT) | instid1(VALU_DEP_2)
	v_add_f64_e32 v[4:5], v[6:7], v[4:5]
	v_add_f64_e32 v[6:7], v[10:11], v[134:135]
	s_delay_alu instid0(VALU_DEP_2) | instskip(NEXT) | instid1(VALU_DEP_2)
	v_add_f64_e64 v[4:5], v[170:171], -v[4:5]
	v_add_f64_e64 v[6:7], v[172:173], -v[6:7]
	scratch_store_b128 off, v[4:7], off offset:544
	s_wait_xcnt 0x0
	v_cmpx_lt_u32_e32 33, v1
	s_cbranch_execz .LBB57_295
; %bb.294:
	scratch_load_b128 v[10:13], off, s36
	v_dual_mov_b32 v3, v2 :: v_dual_mov_b32 v4, v2
	v_mov_b32_e32 v5, v2
	scratch_store_b128 off, v[2:5], off offset:528
	s_wait_loadcnt 0x0
	ds_store_b128 v8, v[10:13]
.LBB57_295:
	s_wait_xcnt 0x0
	s_or_b32 exec_lo, exec_lo, s2
	s_wait_storecnt_dscnt 0x0
	s_barrier_signal -1
	s_barrier_wait -1
	s_clause 0x9
	scratch_load_b128 v[4:7], off, off offset:544
	scratch_load_b128 v[10:13], off, off offset:560
	;; [unrolled: 1-line block ×10, first 2 shown]
	ds_load_b128 v[162:165], v2 offset:1472
	ds_load_b128 v[170:173], v2 offset:1488
	s_clause 0x2
	scratch_load_b128 v[166:169], off, off offset:704
	scratch_load_b128 v[174:177], off, off offset:528
	;; [unrolled: 1-line block ×3, first 2 shown]
	s_mov_b32 s2, exec_lo
	s_wait_loadcnt_dscnt 0xc01
	v_mul_f64_e32 v[182:183], v[164:165], v[6:7]
	v_mul_f64_e32 v[186:187], v[162:163], v[6:7]
	s_wait_loadcnt_dscnt 0xb00
	v_mul_f64_e32 v[188:189], v[170:171], v[12:13]
	v_mul_f64_e32 v[12:13], v[172:173], v[12:13]
	s_delay_alu instid0(VALU_DEP_4) | instskip(NEXT) | instid1(VALU_DEP_4)
	v_fma_f64 v[190:191], v[162:163], v[4:5], -v[182:183]
	v_fmac_f64_e32 v[186:187], v[164:165], v[4:5]
	ds_load_b128 v[4:7], v2 offset:1504
	ds_load_b128 v[162:165], v2 offset:1520
	scratch_load_b128 v[182:185], off, off offset:736
	v_fmac_f64_e32 v[188:189], v[172:173], v[10:11]
	v_fma_f64 v[170:171], v[170:171], v[10:11], -v[12:13]
	scratch_load_b128 v[10:13], off, off offset:752
	s_wait_loadcnt_dscnt 0xc01
	v_mul_f64_e32 v[192:193], v[4:5], v[132:133]
	v_mul_f64_e32 v[132:133], v[6:7], v[132:133]
	v_add_f64_e32 v[172:173], 0, v[190:191]
	v_add_f64_e32 v[186:187], 0, v[186:187]
	s_wait_loadcnt_dscnt 0xb00
	v_mul_f64_e32 v[190:191], v[162:163], v[136:137]
	v_mul_f64_e32 v[136:137], v[164:165], v[136:137]
	v_fmac_f64_e32 v[192:193], v[6:7], v[130:131]
	v_fma_f64 v[194:195], v[4:5], v[130:131], -v[132:133]
	ds_load_b128 v[4:7], v2 offset:1536
	ds_load_b128 v[130:133], v2 offset:1552
	v_add_f64_e32 v[196:197], v[172:173], v[170:171]
	v_add_f64_e32 v[186:187], v[186:187], v[188:189]
	scratch_load_b128 v[170:173], off, off offset:768
	v_fmac_f64_e32 v[190:191], v[164:165], v[134:135]
	v_fma_f64 v[162:163], v[162:163], v[134:135], -v[136:137]
	scratch_load_b128 v[134:137], off, off offset:784
	s_wait_loadcnt_dscnt 0xc01
	v_mul_f64_e32 v[188:189], v[4:5], v[140:141]
	v_mul_f64_e32 v[140:141], v[6:7], v[140:141]
	v_add_f64_e32 v[164:165], v[196:197], v[194:195]
	v_add_f64_e32 v[186:187], v[186:187], v[192:193]
	s_wait_loadcnt_dscnt 0xb00
	v_mul_f64_e32 v[192:193], v[130:131], v[144:145]
	v_mul_f64_e32 v[144:145], v[132:133], v[144:145]
	v_fmac_f64_e32 v[188:189], v[6:7], v[138:139]
	v_fma_f64 v[194:195], v[4:5], v[138:139], -v[140:141]
	ds_load_b128 v[4:7], v2 offset:1568
	ds_load_b128 v[138:141], v2 offset:1584
	v_add_f64_e32 v[196:197], v[164:165], v[162:163]
	v_add_f64_e32 v[186:187], v[186:187], v[190:191]
	scratch_load_b128 v[162:165], off, off offset:800
	s_wait_loadcnt_dscnt 0xb01
	v_mul_f64_e32 v[190:191], v[4:5], v[148:149]
	v_mul_f64_e32 v[148:149], v[6:7], v[148:149]
	v_fmac_f64_e32 v[192:193], v[132:133], v[142:143]
	v_fma_f64 v[142:143], v[130:131], v[142:143], -v[144:145]
	scratch_load_b128 v[130:133], off, off offset:816
	v_add_f64_e32 v[144:145], v[196:197], v[194:195]
	v_add_f64_e32 v[186:187], v[186:187], v[188:189]
	s_wait_loadcnt_dscnt 0xb00
	v_mul_f64_e32 v[188:189], v[138:139], v[152:153]
	v_mul_f64_e32 v[152:153], v[140:141], v[152:153]
	v_fmac_f64_e32 v[190:191], v[6:7], v[146:147]
	v_fma_f64 v[194:195], v[4:5], v[146:147], -v[148:149]
	v_add_f64_e32 v[196:197], v[144:145], v[142:143]
	v_add_f64_e32 v[186:187], v[186:187], v[192:193]
	ds_load_b128 v[4:7], v2 offset:1600
	ds_load_b128 v[142:145], v2 offset:1616
	scratch_load_b128 v[146:149], off, off offset:832
	v_fmac_f64_e32 v[188:189], v[140:141], v[150:151]
	v_fma_f64 v[150:151], v[138:139], v[150:151], -v[152:153]
	scratch_load_b128 v[138:141], off, off offset:848
	s_wait_loadcnt_dscnt 0xc01
	v_mul_f64_e32 v[192:193], v[4:5], v[156:157]
	v_mul_f64_e32 v[156:157], v[6:7], v[156:157]
	v_add_f64_e32 v[152:153], v[196:197], v[194:195]
	v_add_f64_e32 v[186:187], v[186:187], v[190:191]
	s_wait_loadcnt_dscnt 0xb00
	v_mul_f64_e32 v[190:191], v[142:143], v[160:161]
	v_mul_f64_e32 v[160:161], v[144:145], v[160:161]
	v_fmac_f64_e32 v[192:193], v[6:7], v[154:155]
	v_fma_f64 v[194:195], v[4:5], v[154:155], -v[156:157]
	v_add_f64_e32 v[196:197], v[152:153], v[150:151]
	v_add_f64_e32 v[186:187], v[186:187], v[188:189]
	ds_load_b128 v[4:7], v2 offset:1632
	ds_load_b128 v[150:153], v2 offset:1648
	scratch_load_b128 v[154:157], off, off offset:864
	v_fmac_f64_e32 v[190:191], v[144:145], v[158:159]
	v_fma_f64 v[158:159], v[142:143], v[158:159], -v[160:161]
	scratch_load_b128 v[142:145], off, off offset:880
	s_wait_loadcnt_dscnt 0xc01
	v_mul_f64_e32 v[188:189], v[4:5], v[168:169]
	v_mul_f64_e32 v[168:169], v[6:7], v[168:169]
	v_add_f64_e32 v[160:161], v[196:197], v[194:195]
	v_add_f64_e32 v[186:187], v[186:187], v[192:193]
	s_wait_loadcnt_dscnt 0xa00
	v_mul_f64_e32 v[192:193], v[150:151], v[180:181]
	v_mul_f64_e32 v[180:181], v[152:153], v[180:181]
	v_fmac_f64_e32 v[188:189], v[6:7], v[166:167]
	v_fma_f64 v[194:195], v[4:5], v[166:167], -v[168:169]
	v_add_f64_e32 v[196:197], v[160:161], v[158:159]
	v_add_f64_e32 v[186:187], v[186:187], v[190:191]
	ds_load_b128 v[4:7], v2 offset:1664
	ds_load_b128 v[158:161], v2 offset:1680
	scratch_load_b128 v[166:169], off, off offset:896
	v_fmac_f64_e32 v[192:193], v[152:153], v[178:179]
	v_fma_f64 v[178:179], v[150:151], v[178:179], -v[180:181]
	scratch_load_b128 v[150:153], off, off offset:912
	s_wait_loadcnt_dscnt 0xb01
	v_mul_f64_e32 v[190:191], v[4:5], v[184:185]
	v_mul_f64_e32 v[184:185], v[6:7], v[184:185]
	v_add_f64_e32 v[180:181], v[196:197], v[194:195]
	v_add_f64_e32 v[186:187], v[186:187], v[188:189]
	s_wait_loadcnt_dscnt 0xa00
	v_mul_f64_e32 v[188:189], v[158:159], v[12:13]
	v_mul_f64_e32 v[12:13], v[160:161], v[12:13]
	v_fmac_f64_e32 v[190:191], v[6:7], v[182:183]
	v_fma_f64 v[182:183], v[4:5], v[182:183], -v[184:185]
	v_add_f64_e32 v[184:185], v[180:181], v[178:179]
	v_add_f64_e32 v[186:187], v[186:187], v[192:193]
	ds_load_b128 v[4:7], v2 offset:1696
	ds_load_b128 v[178:181], v2 offset:1712
	v_fmac_f64_e32 v[188:189], v[160:161], v[10:11]
	v_fma_f64 v[10:11], v[158:159], v[10:11], -v[12:13]
	s_wait_loadcnt_dscnt 0x901
	v_mul_f64_e32 v[192:193], v[4:5], v[172:173]
	v_mul_f64_e32 v[172:173], v[6:7], v[172:173]
	s_wait_loadcnt_dscnt 0x800
	v_mul_f64_e32 v[160:161], v[178:179], v[136:137]
	v_mul_f64_e32 v[136:137], v[180:181], v[136:137]
	v_add_f64_e32 v[12:13], v[184:185], v[182:183]
	v_add_f64_e32 v[158:159], v[186:187], v[190:191]
	v_fmac_f64_e32 v[192:193], v[6:7], v[170:171]
	v_fma_f64 v[170:171], v[4:5], v[170:171], -v[172:173]
	v_fmac_f64_e32 v[160:161], v[180:181], v[134:135]
	v_fma_f64 v[134:135], v[178:179], v[134:135], -v[136:137]
	v_add_f64_e32 v[172:173], v[12:13], v[10:11]
	v_add_f64_e32 v[158:159], v[158:159], v[188:189]
	ds_load_b128 v[4:7], v2 offset:1728
	ds_load_b128 v[10:13], v2 offset:1744
	s_wait_loadcnt_dscnt 0x701
	v_mul_f64_e32 v[182:183], v[4:5], v[164:165]
	v_mul_f64_e32 v[164:165], v[6:7], v[164:165]
	v_add_f64_e32 v[136:137], v[172:173], v[170:171]
	v_add_f64_e32 v[158:159], v[158:159], v[192:193]
	s_wait_loadcnt_dscnt 0x600
	v_mul_f64_e32 v[170:171], v[10:11], v[132:133]
	v_mul_f64_e32 v[172:173], v[12:13], v[132:133]
	v_fmac_f64_e32 v[182:183], v[6:7], v[162:163]
	v_fma_f64 v[162:163], v[4:5], v[162:163], -v[164:165]
	v_add_f64_e32 v[136:137], v[136:137], v[134:135]
	v_add_f64_e32 v[158:159], v[158:159], v[160:161]
	ds_load_b128 v[4:7], v2 offset:1760
	ds_load_b128 v[132:135], v2 offset:1776
	v_fmac_f64_e32 v[170:171], v[12:13], v[130:131]
	v_fma_f64 v[10:11], v[10:11], v[130:131], -v[172:173]
	s_wait_loadcnt_dscnt 0x501
	v_mul_f64_e32 v[160:161], v[4:5], v[148:149]
	v_mul_f64_e32 v[148:149], v[6:7], v[148:149]
	v_add_f64_e32 v[12:13], v[136:137], v[162:163]
	v_add_f64_e32 v[130:131], v[158:159], v[182:183]
	s_wait_loadcnt_dscnt 0x400
	v_mul_f64_e32 v[136:137], v[132:133], v[140:141]
	v_mul_f64_e32 v[140:141], v[134:135], v[140:141]
	v_fmac_f64_e32 v[160:161], v[6:7], v[146:147]
	v_fma_f64 v[146:147], v[4:5], v[146:147], -v[148:149]
	v_add_f64_e32 v[148:149], v[12:13], v[10:11]
	v_add_f64_e32 v[130:131], v[130:131], v[170:171]
	ds_load_b128 v[4:7], v2 offset:1792
	ds_load_b128 v[10:13], v2 offset:1808
	v_fmac_f64_e32 v[136:137], v[134:135], v[138:139]
	v_fma_f64 v[132:133], v[132:133], v[138:139], -v[140:141]
	s_wait_loadcnt_dscnt 0x301
	v_mul_f64_e32 v[158:159], v[4:5], v[156:157]
	v_mul_f64_e32 v[156:157], v[6:7], v[156:157]
	s_wait_loadcnt_dscnt 0x200
	v_mul_f64_e32 v[138:139], v[10:11], v[144:145]
	v_mul_f64_e32 v[140:141], v[12:13], v[144:145]
	v_add_f64_e32 v[134:135], v[148:149], v[146:147]
	v_add_f64_e32 v[130:131], v[130:131], v[160:161]
	v_fmac_f64_e32 v[158:159], v[6:7], v[154:155]
	v_fma_f64 v[144:145], v[4:5], v[154:155], -v[156:157]
	v_fmac_f64_e32 v[138:139], v[12:13], v[142:143]
	v_fma_f64 v[10:11], v[10:11], v[142:143], -v[140:141]
	v_add_f64_e32 v[134:135], v[134:135], v[132:133]
	v_add_f64_e32 v[136:137], v[130:131], v[136:137]
	ds_load_b128 v[4:7], v2 offset:1824
	ds_load_b128 v[130:133], v2 offset:1840
	s_wait_loadcnt_dscnt 0x101
	v_mul_f64_e32 v[2:3], v[4:5], v[168:169]
	v_mul_f64_e32 v[146:147], v[6:7], v[168:169]
	s_wait_loadcnt_dscnt 0x0
	v_mul_f64_e32 v[140:141], v[132:133], v[152:153]
	v_add_f64_e32 v[12:13], v[134:135], v[144:145]
	v_add_f64_e32 v[134:135], v[136:137], v[158:159]
	v_mul_f64_e32 v[136:137], v[130:131], v[152:153]
	v_fmac_f64_e32 v[2:3], v[6:7], v[166:167]
	v_fma_f64 v[4:5], v[4:5], v[166:167], -v[146:147]
	v_add_f64_e32 v[6:7], v[12:13], v[10:11]
	v_add_f64_e32 v[10:11], v[134:135], v[138:139]
	v_fmac_f64_e32 v[136:137], v[132:133], v[150:151]
	v_fma_f64 v[12:13], v[130:131], v[150:151], -v[140:141]
	s_delay_alu instid0(VALU_DEP_4) | instskip(NEXT) | instid1(VALU_DEP_4)
	v_add_f64_e32 v[4:5], v[6:7], v[4:5]
	v_add_f64_e32 v[2:3], v[10:11], v[2:3]
	s_delay_alu instid0(VALU_DEP_2) | instskip(NEXT) | instid1(VALU_DEP_2)
	v_add_f64_e32 v[4:5], v[4:5], v[12:13]
	v_add_f64_e32 v[6:7], v[2:3], v[136:137]
	s_delay_alu instid0(VALU_DEP_2) | instskip(NEXT) | instid1(VALU_DEP_2)
	v_add_f64_e64 v[2:3], v[174:175], -v[4:5]
	v_add_f64_e64 v[4:5], v[176:177], -v[6:7]
	scratch_store_b128 off, v[2:5], off offset:528
	s_wait_xcnt 0x0
	v_cmpx_lt_u32_e32 32, v1
	s_cbranch_execz .LBB57_297
; %bb.296:
	scratch_load_b128 v[2:5], off, s47
	v_mov_b32_e32 v10, 0
	s_delay_alu instid0(VALU_DEP_1)
	v_dual_mov_b32 v11, v10 :: v_dual_mov_b32 v12, v10
	v_mov_b32_e32 v13, v10
	scratch_store_b128 off, v[10:13], off offset:512
	s_wait_loadcnt 0x0
	ds_store_b128 v8, v[2:5]
.LBB57_297:
	s_wait_xcnt 0x0
	s_or_b32 exec_lo, exec_lo, s2
	s_wait_storecnt_dscnt 0x0
	s_barrier_signal -1
	s_barrier_wait -1
	s_clause 0x9
	scratch_load_b128 v[4:7], off, off offset:528
	scratch_load_b128 v[10:13], off, off offset:544
	;; [unrolled: 1-line block ×10, first 2 shown]
	v_mov_b32_e32 v2, 0
	s_mov_b32 s2, exec_lo
	ds_load_b128 v[162:165], v2 offset:1456
	s_clause 0x2
	scratch_load_b128 v[166:169], off, off offset:688
	scratch_load_b128 v[170:173], off, off offset:512
	;; [unrolled: 1-line block ×3, first 2 shown]
	s_wait_loadcnt_dscnt 0xc00
	v_mul_f64_e32 v[182:183], v[164:165], v[6:7]
	v_mul_f64_e32 v[186:187], v[162:163], v[6:7]
	ds_load_b128 v[174:177], v2 offset:1472
	v_fma_f64 v[190:191], v[162:163], v[4:5], -v[182:183]
	v_fmac_f64_e32 v[186:187], v[164:165], v[4:5]
	ds_load_b128 v[4:7], v2 offset:1488
	s_wait_loadcnt_dscnt 0xb01
	v_mul_f64_e32 v[188:189], v[174:175], v[12:13]
	v_mul_f64_e32 v[12:13], v[176:177], v[12:13]
	scratch_load_b128 v[162:165], off, off offset:720
	ds_load_b128 v[182:185], v2 offset:1504
	s_wait_loadcnt_dscnt 0xb01
	v_mul_f64_e32 v[192:193], v[4:5], v[132:133]
	v_mul_f64_e32 v[132:133], v[6:7], v[132:133]
	v_add_f64_e32 v[186:187], 0, v[186:187]
	v_fmac_f64_e32 v[188:189], v[176:177], v[10:11]
	v_fma_f64 v[174:175], v[174:175], v[10:11], -v[12:13]
	v_add_f64_e32 v[176:177], 0, v[190:191]
	scratch_load_b128 v[10:13], off, off offset:736
	v_fmac_f64_e32 v[192:193], v[6:7], v[130:131]
	v_fma_f64 v[194:195], v[4:5], v[130:131], -v[132:133]
	ds_load_b128 v[4:7], v2 offset:1520
	s_wait_loadcnt_dscnt 0xb01
	v_mul_f64_e32 v[190:191], v[182:183], v[136:137]
	v_mul_f64_e32 v[136:137], v[184:185], v[136:137]
	scratch_load_b128 v[130:133], off, off offset:752
	v_add_f64_e32 v[186:187], v[186:187], v[188:189]
	v_add_f64_e32 v[196:197], v[176:177], v[174:175]
	ds_load_b128 v[174:177], v2 offset:1536
	s_wait_loadcnt_dscnt 0xb01
	v_mul_f64_e32 v[188:189], v[4:5], v[140:141]
	v_mul_f64_e32 v[140:141], v[6:7], v[140:141]
	v_fmac_f64_e32 v[190:191], v[184:185], v[134:135]
	v_fma_f64 v[182:183], v[182:183], v[134:135], -v[136:137]
	scratch_load_b128 v[134:137], off, off offset:768
	v_add_f64_e32 v[186:187], v[186:187], v[192:193]
	v_add_f64_e32 v[184:185], v[196:197], v[194:195]
	v_fmac_f64_e32 v[188:189], v[6:7], v[138:139]
	v_fma_f64 v[194:195], v[4:5], v[138:139], -v[140:141]
	ds_load_b128 v[4:7], v2 offset:1552
	s_wait_loadcnt_dscnt 0xb01
	v_mul_f64_e32 v[192:193], v[174:175], v[144:145]
	v_mul_f64_e32 v[144:145], v[176:177], v[144:145]
	scratch_load_b128 v[138:141], off, off offset:784
	v_add_f64_e32 v[186:187], v[186:187], v[190:191]
	s_wait_loadcnt_dscnt 0xb00
	v_mul_f64_e32 v[190:191], v[4:5], v[148:149]
	v_add_f64_e32 v[196:197], v[184:185], v[182:183]
	v_mul_f64_e32 v[148:149], v[6:7], v[148:149]
	ds_load_b128 v[182:185], v2 offset:1568
	v_fmac_f64_e32 v[192:193], v[176:177], v[142:143]
	v_fma_f64 v[174:175], v[174:175], v[142:143], -v[144:145]
	scratch_load_b128 v[142:145], off, off offset:800
	v_add_f64_e32 v[186:187], v[186:187], v[188:189]
	v_fmac_f64_e32 v[190:191], v[6:7], v[146:147]
	v_add_f64_e32 v[176:177], v[196:197], v[194:195]
	v_fma_f64 v[194:195], v[4:5], v[146:147], -v[148:149]
	ds_load_b128 v[4:7], v2 offset:1584
	s_wait_loadcnt_dscnt 0xb01
	v_mul_f64_e32 v[188:189], v[182:183], v[152:153]
	v_mul_f64_e32 v[152:153], v[184:185], v[152:153]
	scratch_load_b128 v[146:149], off, off offset:816
	v_add_f64_e32 v[186:187], v[186:187], v[192:193]
	s_wait_loadcnt_dscnt 0xb00
	v_mul_f64_e32 v[192:193], v[4:5], v[156:157]
	v_add_f64_e32 v[196:197], v[176:177], v[174:175]
	v_mul_f64_e32 v[156:157], v[6:7], v[156:157]
	ds_load_b128 v[174:177], v2 offset:1600
	v_fmac_f64_e32 v[188:189], v[184:185], v[150:151]
	v_fma_f64 v[182:183], v[182:183], v[150:151], -v[152:153]
	scratch_load_b128 v[150:153], off, off offset:832
	v_add_f64_e32 v[186:187], v[186:187], v[190:191]
	v_fmac_f64_e32 v[192:193], v[6:7], v[154:155]
	v_add_f64_e32 v[184:185], v[196:197], v[194:195]
	;; [unrolled: 18-line block ×3, first 2 shown]
	v_fma_f64 v[194:195], v[4:5], v[166:167], -v[168:169]
	ds_load_b128 v[4:7], v2 offset:1648
	s_wait_loadcnt_dscnt 0xa01
	v_mul_f64_e32 v[192:193], v[182:183], v[180:181]
	v_mul_f64_e32 v[180:181], v[184:185], v[180:181]
	scratch_load_b128 v[166:169], off, off offset:880
	v_add_f64_e32 v[186:187], v[186:187], v[190:191]
	v_add_f64_e32 v[196:197], v[176:177], v[174:175]
	s_wait_loadcnt_dscnt 0xa00
	v_mul_f64_e32 v[190:191], v[4:5], v[164:165]
	v_mul_f64_e32 v[164:165], v[6:7], v[164:165]
	v_fmac_f64_e32 v[192:193], v[184:185], v[178:179]
	v_fma_f64 v[182:183], v[182:183], v[178:179], -v[180:181]
	ds_load_b128 v[174:177], v2 offset:1664
	scratch_load_b128 v[178:181], off, off offset:896
	v_add_f64_e32 v[186:187], v[186:187], v[188:189]
	v_add_f64_e32 v[184:185], v[196:197], v[194:195]
	v_fmac_f64_e32 v[190:191], v[6:7], v[162:163]
	v_fma_f64 v[194:195], v[4:5], v[162:163], -v[164:165]
	ds_load_b128 v[4:7], v2 offset:1680
	s_wait_loadcnt_dscnt 0xa01
	v_mul_f64_e32 v[188:189], v[174:175], v[12:13]
	v_mul_f64_e32 v[12:13], v[176:177], v[12:13]
	scratch_load_b128 v[162:165], off, off offset:912
	v_add_f64_e32 v[186:187], v[186:187], v[192:193]
	s_wait_loadcnt_dscnt 0xa00
	v_mul_f64_e32 v[192:193], v[4:5], v[132:133]
	v_add_f64_e32 v[196:197], v[184:185], v[182:183]
	v_mul_f64_e32 v[132:133], v[6:7], v[132:133]
	ds_load_b128 v[182:185], v2 offset:1696
	v_fmac_f64_e32 v[188:189], v[176:177], v[10:11]
	v_fma_f64 v[10:11], v[174:175], v[10:11], -v[12:13]
	s_wait_loadcnt_dscnt 0x900
	v_mul_f64_e32 v[176:177], v[182:183], v[136:137]
	v_mul_f64_e32 v[136:137], v[184:185], v[136:137]
	v_add_f64_e32 v[174:175], v[186:187], v[190:191]
	v_fmac_f64_e32 v[192:193], v[6:7], v[130:131]
	v_add_f64_e32 v[12:13], v[196:197], v[194:195]
	v_fma_f64 v[130:131], v[4:5], v[130:131], -v[132:133]
	v_fmac_f64_e32 v[176:177], v[184:185], v[134:135]
	v_fma_f64 v[134:135], v[182:183], v[134:135], -v[136:137]
	v_add_f64_e32 v[174:175], v[174:175], v[188:189]
	v_add_f64_e32 v[132:133], v[12:13], v[10:11]
	ds_load_b128 v[4:7], v2 offset:1712
	ds_load_b128 v[10:13], v2 offset:1728
	s_wait_loadcnt_dscnt 0x801
	v_mul_f64_e32 v[186:187], v[4:5], v[140:141]
	v_mul_f64_e32 v[140:141], v[6:7], v[140:141]
	s_wait_loadcnt_dscnt 0x700
	v_mul_f64_e32 v[136:137], v[10:11], v[144:145]
	v_mul_f64_e32 v[144:145], v[12:13], v[144:145]
	v_add_f64_e32 v[130:131], v[132:133], v[130:131]
	v_add_f64_e32 v[132:133], v[174:175], v[192:193]
	v_fmac_f64_e32 v[186:187], v[6:7], v[138:139]
	v_fma_f64 v[138:139], v[4:5], v[138:139], -v[140:141]
	v_fmac_f64_e32 v[136:137], v[12:13], v[142:143]
	v_fma_f64 v[10:11], v[10:11], v[142:143], -v[144:145]
	v_add_f64_e32 v[134:135], v[130:131], v[134:135]
	v_add_f64_e32 v[140:141], v[132:133], v[176:177]
	ds_load_b128 v[4:7], v2 offset:1744
	ds_load_b128 v[130:133], v2 offset:1760
	s_wait_loadcnt_dscnt 0x601
	v_mul_f64_e32 v[174:175], v[4:5], v[148:149]
	v_mul_f64_e32 v[148:149], v[6:7], v[148:149]
	v_add_f64_e32 v[12:13], v[134:135], v[138:139]
	v_add_f64_e32 v[134:135], v[140:141], v[186:187]
	s_wait_loadcnt_dscnt 0x500
	v_mul_f64_e32 v[138:139], v[130:131], v[152:153]
	v_mul_f64_e32 v[140:141], v[132:133], v[152:153]
	v_fmac_f64_e32 v[174:175], v[6:7], v[146:147]
	v_fma_f64 v[142:143], v[4:5], v[146:147], -v[148:149]
	v_add_f64_e32 v[144:145], v[12:13], v[10:11]
	v_add_f64_e32 v[134:135], v[134:135], v[136:137]
	ds_load_b128 v[4:7], v2 offset:1776
	ds_load_b128 v[10:13], v2 offset:1792
	v_fmac_f64_e32 v[138:139], v[132:133], v[150:151]
	v_fma_f64 v[130:131], v[130:131], v[150:151], -v[140:141]
	s_wait_loadcnt_dscnt 0x401
	v_mul_f64_e32 v[136:137], v[4:5], v[156:157]
	v_mul_f64_e32 v[146:147], v[6:7], v[156:157]
	s_wait_loadcnt_dscnt 0x300
	v_mul_f64_e32 v[140:141], v[10:11], v[160:161]
	v_add_f64_e32 v[132:133], v[144:145], v[142:143]
	v_add_f64_e32 v[134:135], v[134:135], v[174:175]
	v_mul_f64_e32 v[142:143], v[12:13], v[160:161]
	v_fmac_f64_e32 v[136:137], v[6:7], v[154:155]
	v_fma_f64 v[144:145], v[4:5], v[154:155], -v[146:147]
	v_fmac_f64_e32 v[140:141], v[12:13], v[158:159]
	v_add_f64_e32 v[146:147], v[132:133], v[130:131]
	v_add_f64_e32 v[134:135], v[134:135], v[138:139]
	ds_load_b128 v[4:7], v2 offset:1808
	ds_load_b128 v[130:133], v2 offset:1824
	v_fma_f64 v[10:11], v[10:11], v[158:159], -v[142:143]
	s_wait_loadcnt_dscnt 0x201
	v_mul_f64_e32 v[138:139], v[4:5], v[168:169]
	v_mul_f64_e32 v[148:149], v[6:7], v[168:169]
	s_wait_loadcnt_dscnt 0x100
	v_mul_f64_e32 v[142:143], v[132:133], v[180:181]
	v_add_f64_e32 v[12:13], v[146:147], v[144:145]
	v_add_f64_e32 v[134:135], v[134:135], v[136:137]
	v_mul_f64_e32 v[136:137], v[130:131], v[180:181]
	v_fmac_f64_e32 v[138:139], v[6:7], v[166:167]
	v_fma_f64 v[144:145], v[4:5], v[166:167], -v[148:149]
	ds_load_b128 v[4:7], v2 offset:1840
	v_fma_f64 v[130:131], v[130:131], v[178:179], -v[142:143]
	v_add_f64_e32 v[10:11], v[12:13], v[10:11]
	v_add_f64_e32 v[12:13], v[134:135], v[140:141]
	v_fmac_f64_e32 v[136:137], v[132:133], v[178:179]
	s_wait_loadcnt_dscnt 0x0
	v_mul_f64_e32 v[134:135], v[4:5], v[164:165]
	v_mul_f64_e32 v[140:141], v[6:7], v[164:165]
	v_add_f64_e32 v[10:11], v[10:11], v[144:145]
	v_add_f64_e32 v[12:13], v[12:13], v[138:139]
	s_delay_alu instid0(VALU_DEP_4) | instskip(NEXT) | instid1(VALU_DEP_4)
	v_fmac_f64_e32 v[134:135], v[6:7], v[162:163]
	v_fma_f64 v[4:5], v[4:5], v[162:163], -v[140:141]
	s_delay_alu instid0(VALU_DEP_4) | instskip(NEXT) | instid1(VALU_DEP_4)
	v_add_f64_e32 v[6:7], v[10:11], v[130:131]
	v_add_f64_e32 v[10:11], v[12:13], v[136:137]
	s_delay_alu instid0(VALU_DEP_2) | instskip(NEXT) | instid1(VALU_DEP_2)
	v_add_f64_e32 v[4:5], v[6:7], v[4:5]
	v_add_f64_e32 v[6:7], v[10:11], v[134:135]
	s_delay_alu instid0(VALU_DEP_2) | instskip(NEXT) | instid1(VALU_DEP_2)
	v_add_f64_e64 v[4:5], v[170:171], -v[4:5]
	v_add_f64_e64 v[6:7], v[172:173], -v[6:7]
	scratch_store_b128 off, v[4:7], off offset:512
	s_wait_xcnt 0x0
	v_cmpx_lt_u32_e32 31, v1
	s_cbranch_execz .LBB57_299
; %bb.298:
	scratch_load_b128 v[10:13], off, s46
	v_dual_mov_b32 v3, v2 :: v_dual_mov_b32 v4, v2
	v_mov_b32_e32 v5, v2
	scratch_store_b128 off, v[2:5], off offset:496
	s_wait_loadcnt 0x0
	ds_store_b128 v8, v[10:13]
.LBB57_299:
	s_wait_xcnt 0x0
	s_or_b32 exec_lo, exec_lo, s2
	s_wait_storecnt_dscnt 0x0
	s_barrier_signal -1
	s_barrier_wait -1
	s_clause 0x9
	scratch_load_b128 v[4:7], off, off offset:512
	scratch_load_b128 v[10:13], off, off offset:528
	;; [unrolled: 1-line block ×10, first 2 shown]
	ds_load_b128 v[162:165], v2 offset:1440
	ds_load_b128 v[170:173], v2 offset:1456
	s_clause 0x2
	scratch_load_b128 v[166:169], off, off offset:672
	scratch_load_b128 v[174:177], off, off offset:496
	;; [unrolled: 1-line block ×3, first 2 shown]
	s_mov_b32 s2, exec_lo
	s_wait_loadcnt_dscnt 0xc01
	v_mul_f64_e32 v[182:183], v[164:165], v[6:7]
	v_mul_f64_e32 v[186:187], v[162:163], v[6:7]
	s_wait_loadcnt_dscnt 0xb00
	v_mul_f64_e32 v[188:189], v[170:171], v[12:13]
	v_mul_f64_e32 v[12:13], v[172:173], v[12:13]
	s_delay_alu instid0(VALU_DEP_4) | instskip(NEXT) | instid1(VALU_DEP_4)
	v_fma_f64 v[190:191], v[162:163], v[4:5], -v[182:183]
	v_fmac_f64_e32 v[186:187], v[164:165], v[4:5]
	ds_load_b128 v[4:7], v2 offset:1472
	ds_load_b128 v[162:165], v2 offset:1488
	scratch_load_b128 v[182:185], off, off offset:704
	v_fmac_f64_e32 v[188:189], v[172:173], v[10:11]
	v_fma_f64 v[170:171], v[170:171], v[10:11], -v[12:13]
	scratch_load_b128 v[10:13], off, off offset:720
	s_wait_loadcnt_dscnt 0xc01
	v_mul_f64_e32 v[192:193], v[4:5], v[132:133]
	v_mul_f64_e32 v[132:133], v[6:7], v[132:133]
	v_add_f64_e32 v[172:173], 0, v[190:191]
	v_add_f64_e32 v[186:187], 0, v[186:187]
	s_wait_loadcnt_dscnt 0xb00
	v_mul_f64_e32 v[190:191], v[162:163], v[136:137]
	v_mul_f64_e32 v[136:137], v[164:165], v[136:137]
	v_fmac_f64_e32 v[192:193], v[6:7], v[130:131]
	v_fma_f64 v[194:195], v[4:5], v[130:131], -v[132:133]
	ds_load_b128 v[4:7], v2 offset:1504
	ds_load_b128 v[130:133], v2 offset:1520
	v_add_f64_e32 v[196:197], v[172:173], v[170:171]
	v_add_f64_e32 v[186:187], v[186:187], v[188:189]
	scratch_load_b128 v[170:173], off, off offset:736
	v_fmac_f64_e32 v[190:191], v[164:165], v[134:135]
	v_fma_f64 v[162:163], v[162:163], v[134:135], -v[136:137]
	scratch_load_b128 v[134:137], off, off offset:752
	s_wait_loadcnt_dscnt 0xc01
	v_mul_f64_e32 v[188:189], v[4:5], v[140:141]
	v_mul_f64_e32 v[140:141], v[6:7], v[140:141]
	v_add_f64_e32 v[164:165], v[196:197], v[194:195]
	v_add_f64_e32 v[186:187], v[186:187], v[192:193]
	s_wait_loadcnt_dscnt 0xb00
	v_mul_f64_e32 v[192:193], v[130:131], v[144:145]
	v_mul_f64_e32 v[144:145], v[132:133], v[144:145]
	v_fmac_f64_e32 v[188:189], v[6:7], v[138:139]
	v_fma_f64 v[194:195], v[4:5], v[138:139], -v[140:141]
	ds_load_b128 v[4:7], v2 offset:1536
	ds_load_b128 v[138:141], v2 offset:1552
	v_add_f64_e32 v[196:197], v[164:165], v[162:163]
	v_add_f64_e32 v[186:187], v[186:187], v[190:191]
	scratch_load_b128 v[162:165], off, off offset:768
	s_wait_loadcnt_dscnt 0xb01
	v_mul_f64_e32 v[190:191], v[4:5], v[148:149]
	v_mul_f64_e32 v[148:149], v[6:7], v[148:149]
	v_fmac_f64_e32 v[192:193], v[132:133], v[142:143]
	v_fma_f64 v[142:143], v[130:131], v[142:143], -v[144:145]
	scratch_load_b128 v[130:133], off, off offset:784
	v_add_f64_e32 v[144:145], v[196:197], v[194:195]
	v_add_f64_e32 v[186:187], v[186:187], v[188:189]
	s_wait_loadcnt_dscnt 0xb00
	v_mul_f64_e32 v[188:189], v[138:139], v[152:153]
	v_mul_f64_e32 v[152:153], v[140:141], v[152:153]
	v_fmac_f64_e32 v[190:191], v[6:7], v[146:147]
	v_fma_f64 v[194:195], v[4:5], v[146:147], -v[148:149]
	v_add_f64_e32 v[196:197], v[144:145], v[142:143]
	v_add_f64_e32 v[186:187], v[186:187], v[192:193]
	ds_load_b128 v[4:7], v2 offset:1568
	ds_load_b128 v[142:145], v2 offset:1584
	scratch_load_b128 v[146:149], off, off offset:800
	v_fmac_f64_e32 v[188:189], v[140:141], v[150:151]
	v_fma_f64 v[150:151], v[138:139], v[150:151], -v[152:153]
	scratch_load_b128 v[138:141], off, off offset:816
	s_wait_loadcnt_dscnt 0xc01
	v_mul_f64_e32 v[192:193], v[4:5], v[156:157]
	v_mul_f64_e32 v[156:157], v[6:7], v[156:157]
	v_add_f64_e32 v[152:153], v[196:197], v[194:195]
	v_add_f64_e32 v[186:187], v[186:187], v[190:191]
	s_wait_loadcnt_dscnt 0xb00
	v_mul_f64_e32 v[190:191], v[142:143], v[160:161]
	v_mul_f64_e32 v[160:161], v[144:145], v[160:161]
	v_fmac_f64_e32 v[192:193], v[6:7], v[154:155]
	v_fma_f64 v[194:195], v[4:5], v[154:155], -v[156:157]
	v_add_f64_e32 v[196:197], v[152:153], v[150:151]
	v_add_f64_e32 v[186:187], v[186:187], v[188:189]
	ds_load_b128 v[4:7], v2 offset:1600
	ds_load_b128 v[150:153], v2 offset:1616
	scratch_load_b128 v[154:157], off, off offset:832
	v_fmac_f64_e32 v[190:191], v[144:145], v[158:159]
	v_fma_f64 v[158:159], v[142:143], v[158:159], -v[160:161]
	scratch_load_b128 v[142:145], off, off offset:848
	s_wait_loadcnt_dscnt 0xc01
	v_mul_f64_e32 v[188:189], v[4:5], v[168:169]
	v_mul_f64_e32 v[168:169], v[6:7], v[168:169]
	;; [unrolled: 18-line block ×4, first 2 shown]
	v_add_f64_e32 v[160:161], v[196:197], v[194:195]
	v_add_f64_e32 v[186:187], v[186:187], v[190:191]
	s_wait_loadcnt_dscnt 0xa00
	v_mul_f64_e32 v[190:191], v[178:179], v[136:137]
	v_mul_f64_e32 v[136:137], v[180:181], v[136:137]
	v_fmac_f64_e32 v[192:193], v[6:7], v[170:171]
	v_fma_f64 v[170:171], v[4:5], v[170:171], -v[172:173]
	v_add_f64_e32 v[172:173], v[160:161], v[158:159]
	v_add_f64_e32 v[186:187], v[186:187], v[188:189]
	ds_load_b128 v[4:7], v2 offset:1696
	ds_load_b128 v[158:161], v2 offset:1712
	v_fmac_f64_e32 v[190:191], v[180:181], v[134:135]
	v_fma_f64 v[134:135], v[178:179], v[134:135], -v[136:137]
	s_wait_loadcnt_dscnt 0x901
	v_mul_f64_e32 v[188:189], v[4:5], v[164:165]
	v_mul_f64_e32 v[164:165], v[6:7], v[164:165]
	s_wait_loadcnt_dscnt 0x800
	v_mul_f64_e32 v[178:179], v[160:161], v[132:133]
	v_add_f64_e32 v[136:137], v[172:173], v[170:171]
	v_add_f64_e32 v[170:171], v[186:187], v[192:193]
	v_mul_f64_e32 v[172:173], v[158:159], v[132:133]
	v_fmac_f64_e32 v[188:189], v[6:7], v[162:163]
	v_fma_f64 v[162:163], v[4:5], v[162:163], -v[164:165]
	v_add_f64_e32 v[136:137], v[136:137], v[134:135]
	v_add_f64_e32 v[164:165], v[170:171], v[190:191]
	ds_load_b128 v[4:7], v2 offset:1728
	ds_load_b128 v[132:135], v2 offset:1744
	v_fmac_f64_e32 v[172:173], v[160:161], v[130:131]
	v_fma_f64 v[130:131], v[158:159], v[130:131], -v[178:179]
	s_wait_loadcnt_dscnt 0x701
	v_mul_f64_e32 v[170:171], v[4:5], v[148:149]
	v_mul_f64_e32 v[148:149], v[6:7], v[148:149]
	s_wait_loadcnt_dscnt 0x600
	v_mul_f64_e32 v[160:161], v[132:133], v[140:141]
	v_mul_f64_e32 v[140:141], v[134:135], v[140:141]
	v_add_f64_e32 v[136:137], v[136:137], v[162:163]
	v_add_f64_e32 v[158:159], v[164:165], v[188:189]
	v_fmac_f64_e32 v[170:171], v[6:7], v[146:147]
	v_fma_f64 v[162:163], v[4:5], v[146:147], -v[148:149]
	ds_load_b128 v[4:7], v2 offset:1760
	ds_load_b128 v[146:149], v2 offset:1776
	v_fmac_f64_e32 v[160:161], v[134:135], v[138:139]
	v_fma_f64 v[132:133], v[132:133], v[138:139], -v[140:141]
	v_add_f64_e32 v[130:131], v[136:137], v[130:131]
	v_add_f64_e32 v[136:137], v[158:159], v[172:173]
	s_wait_loadcnt_dscnt 0x501
	v_mul_f64_e32 v[158:159], v[4:5], v[156:157]
	v_mul_f64_e32 v[156:157], v[6:7], v[156:157]
	s_wait_loadcnt_dscnt 0x400
	v_mul_f64_e32 v[138:139], v[148:149], v[144:145]
	v_add_f64_e32 v[130:131], v[130:131], v[162:163]
	v_add_f64_e32 v[134:135], v[136:137], v[170:171]
	v_mul_f64_e32 v[136:137], v[146:147], v[144:145]
	v_fmac_f64_e32 v[158:159], v[6:7], v[154:155]
	v_fma_f64 v[140:141], v[4:5], v[154:155], -v[156:157]
	v_fma_f64 v[138:139], v[146:147], v[142:143], -v[138:139]
	v_add_f64_e32 v[144:145], v[130:131], v[132:133]
	v_add_f64_e32 v[134:135], v[134:135], v[160:161]
	ds_load_b128 v[4:7], v2 offset:1792
	ds_load_b128 v[130:133], v2 offset:1808
	v_fmac_f64_e32 v[136:137], v[148:149], v[142:143]
	s_wait_loadcnt_dscnt 0x301
	v_mul_f64_e32 v[154:155], v[4:5], v[168:169]
	v_mul_f64_e32 v[156:157], v[6:7], v[168:169]
	s_wait_loadcnt_dscnt 0x200
	v_mul_f64_e32 v[142:143], v[130:131], v[152:153]
	v_add_f64_e32 v[140:141], v[144:145], v[140:141]
	v_add_f64_e32 v[134:135], v[134:135], v[158:159]
	v_mul_f64_e32 v[144:145], v[132:133], v[152:153]
	v_fmac_f64_e32 v[154:155], v[6:7], v[166:167]
	v_fma_f64 v[146:147], v[4:5], v[166:167], -v[156:157]
	v_fmac_f64_e32 v[142:143], v[132:133], v[150:151]
	v_add_f64_e32 v[138:139], v[140:141], v[138:139]
	v_add_f64_e32 v[140:141], v[134:135], v[136:137]
	ds_load_b128 v[4:7], v2 offset:1824
	ds_load_b128 v[134:137], v2 offset:1840
	v_fma_f64 v[130:131], v[130:131], v[150:151], -v[144:145]
	s_wait_loadcnt_dscnt 0x101
	v_mul_f64_e32 v[2:3], v[4:5], v[184:185]
	v_mul_f64_e32 v[148:149], v[6:7], v[184:185]
	v_add_f64_e32 v[132:133], v[138:139], v[146:147]
	v_add_f64_e32 v[138:139], v[140:141], v[154:155]
	s_wait_loadcnt_dscnt 0x0
	v_mul_f64_e32 v[140:141], v[134:135], v[12:13]
	v_mul_f64_e32 v[12:13], v[136:137], v[12:13]
	v_fmac_f64_e32 v[2:3], v[6:7], v[182:183]
	v_fma_f64 v[4:5], v[4:5], v[182:183], -v[148:149]
	v_add_f64_e32 v[6:7], v[132:133], v[130:131]
	v_add_f64_e32 v[130:131], v[138:139], v[142:143]
	v_fmac_f64_e32 v[140:141], v[136:137], v[10:11]
	v_fma_f64 v[10:11], v[134:135], v[10:11], -v[12:13]
	s_delay_alu instid0(VALU_DEP_4) | instskip(NEXT) | instid1(VALU_DEP_4)
	v_add_f64_e32 v[4:5], v[6:7], v[4:5]
	v_add_f64_e32 v[2:3], v[130:131], v[2:3]
	s_delay_alu instid0(VALU_DEP_2) | instskip(NEXT) | instid1(VALU_DEP_2)
	v_add_f64_e32 v[4:5], v[4:5], v[10:11]
	v_add_f64_e32 v[6:7], v[2:3], v[140:141]
	s_delay_alu instid0(VALU_DEP_2) | instskip(NEXT) | instid1(VALU_DEP_2)
	v_add_f64_e64 v[2:3], v[174:175], -v[4:5]
	v_add_f64_e64 v[4:5], v[176:177], -v[6:7]
	scratch_store_b128 off, v[2:5], off offset:496
	s_wait_xcnt 0x0
	v_cmpx_lt_u32_e32 30, v1
	s_cbranch_execz .LBB57_301
; %bb.300:
	scratch_load_b128 v[2:5], off, s44
	v_mov_b32_e32 v10, 0
	s_delay_alu instid0(VALU_DEP_1)
	v_dual_mov_b32 v11, v10 :: v_dual_mov_b32 v12, v10
	v_mov_b32_e32 v13, v10
	scratch_store_b128 off, v[10:13], off offset:480
	s_wait_loadcnt 0x0
	ds_store_b128 v8, v[2:5]
.LBB57_301:
	s_wait_xcnt 0x0
	s_or_b32 exec_lo, exec_lo, s2
	s_wait_storecnt_dscnt 0x0
	s_barrier_signal -1
	s_barrier_wait -1
	s_clause 0x9
	scratch_load_b128 v[4:7], off, off offset:496
	scratch_load_b128 v[10:13], off, off offset:512
	;; [unrolled: 1-line block ×10, first 2 shown]
	v_mov_b32_e32 v2, 0
	s_mov_b32 s2, exec_lo
	ds_load_b128 v[162:165], v2 offset:1424
	s_clause 0x2
	scratch_load_b128 v[166:169], off, off offset:656
	scratch_load_b128 v[170:173], off, off offset:480
	;; [unrolled: 1-line block ×3, first 2 shown]
	s_wait_loadcnt_dscnt 0xc00
	v_mul_f64_e32 v[182:183], v[164:165], v[6:7]
	v_mul_f64_e32 v[186:187], v[162:163], v[6:7]
	ds_load_b128 v[174:177], v2 offset:1440
	v_fma_f64 v[190:191], v[162:163], v[4:5], -v[182:183]
	v_fmac_f64_e32 v[186:187], v[164:165], v[4:5]
	ds_load_b128 v[4:7], v2 offset:1456
	s_wait_loadcnt_dscnt 0xb01
	v_mul_f64_e32 v[188:189], v[174:175], v[12:13]
	v_mul_f64_e32 v[12:13], v[176:177], v[12:13]
	scratch_load_b128 v[162:165], off, off offset:688
	ds_load_b128 v[182:185], v2 offset:1472
	s_wait_loadcnt_dscnt 0xb01
	v_mul_f64_e32 v[192:193], v[4:5], v[132:133]
	v_mul_f64_e32 v[132:133], v[6:7], v[132:133]
	v_add_f64_e32 v[186:187], 0, v[186:187]
	v_fmac_f64_e32 v[188:189], v[176:177], v[10:11]
	v_fma_f64 v[174:175], v[174:175], v[10:11], -v[12:13]
	v_add_f64_e32 v[176:177], 0, v[190:191]
	scratch_load_b128 v[10:13], off, off offset:704
	v_fmac_f64_e32 v[192:193], v[6:7], v[130:131]
	v_fma_f64 v[194:195], v[4:5], v[130:131], -v[132:133]
	ds_load_b128 v[4:7], v2 offset:1488
	s_wait_loadcnt_dscnt 0xb01
	v_mul_f64_e32 v[190:191], v[182:183], v[136:137]
	v_mul_f64_e32 v[136:137], v[184:185], v[136:137]
	scratch_load_b128 v[130:133], off, off offset:720
	v_add_f64_e32 v[186:187], v[186:187], v[188:189]
	v_add_f64_e32 v[196:197], v[176:177], v[174:175]
	ds_load_b128 v[174:177], v2 offset:1504
	s_wait_loadcnt_dscnt 0xb01
	v_mul_f64_e32 v[188:189], v[4:5], v[140:141]
	v_mul_f64_e32 v[140:141], v[6:7], v[140:141]
	v_fmac_f64_e32 v[190:191], v[184:185], v[134:135]
	v_fma_f64 v[182:183], v[182:183], v[134:135], -v[136:137]
	scratch_load_b128 v[134:137], off, off offset:736
	v_add_f64_e32 v[186:187], v[186:187], v[192:193]
	v_add_f64_e32 v[184:185], v[196:197], v[194:195]
	v_fmac_f64_e32 v[188:189], v[6:7], v[138:139]
	v_fma_f64 v[194:195], v[4:5], v[138:139], -v[140:141]
	ds_load_b128 v[4:7], v2 offset:1520
	s_wait_loadcnt_dscnt 0xb01
	v_mul_f64_e32 v[192:193], v[174:175], v[144:145]
	v_mul_f64_e32 v[144:145], v[176:177], v[144:145]
	scratch_load_b128 v[138:141], off, off offset:752
	v_add_f64_e32 v[186:187], v[186:187], v[190:191]
	s_wait_loadcnt_dscnt 0xb00
	v_mul_f64_e32 v[190:191], v[4:5], v[148:149]
	v_add_f64_e32 v[196:197], v[184:185], v[182:183]
	v_mul_f64_e32 v[148:149], v[6:7], v[148:149]
	ds_load_b128 v[182:185], v2 offset:1536
	v_fmac_f64_e32 v[192:193], v[176:177], v[142:143]
	v_fma_f64 v[174:175], v[174:175], v[142:143], -v[144:145]
	scratch_load_b128 v[142:145], off, off offset:768
	v_add_f64_e32 v[186:187], v[186:187], v[188:189]
	v_fmac_f64_e32 v[190:191], v[6:7], v[146:147]
	v_add_f64_e32 v[176:177], v[196:197], v[194:195]
	v_fma_f64 v[194:195], v[4:5], v[146:147], -v[148:149]
	ds_load_b128 v[4:7], v2 offset:1552
	s_wait_loadcnt_dscnt 0xb01
	v_mul_f64_e32 v[188:189], v[182:183], v[152:153]
	v_mul_f64_e32 v[152:153], v[184:185], v[152:153]
	scratch_load_b128 v[146:149], off, off offset:784
	v_add_f64_e32 v[186:187], v[186:187], v[192:193]
	s_wait_loadcnt_dscnt 0xb00
	v_mul_f64_e32 v[192:193], v[4:5], v[156:157]
	v_add_f64_e32 v[196:197], v[176:177], v[174:175]
	v_mul_f64_e32 v[156:157], v[6:7], v[156:157]
	ds_load_b128 v[174:177], v2 offset:1568
	v_fmac_f64_e32 v[188:189], v[184:185], v[150:151]
	v_fma_f64 v[182:183], v[182:183], v[150:151], -v[152:153]
	scratch_load_b128 v[150:153], off, off offset:800
	v_add_f64_e32 v[186:187], v[186:187], v[190:191]
	v_fmac_f64_e32 v[192:193], v[6:7], v[154:155]
	v_add_f64_e32 v[184:185], v[196:197], v[194:195]
	;; [unrolled: 18-line block ×3, first 2 shown]
	v_fma_f64 v[194:195], v[4:5], v[166:167], -v[168:169]
	ds_load_b128 v[4:7], v2 offset:1616
	s_wait_loadcnt_dscnt 0xa01
	v_mul_f64_e32 v[192:193], v[182:183], v[180:181]
	v_mul_f64_e32 v[180:181], v[184:185], v[180:181]
	scratch_load_b128 v[166:169], off, off offset:848
	v_add_f64_e32 v[186:187], v[186:187], v[190:191]
	v_add_f64_e32 v[196:197], v[176:177], v[174:175]
	s_wait_loadcnt_dscnt 0xa00
	v_mul_f64_e32 v[190:191], v[4:5], v[164:165]
	v_mul_f64_e32 v[164:165], v[6:7], v[164:165]
	v_fmac_f64_e32 v[192:193], v[184:185], v[178:179]
	v_fma_f64 v[182:183], v[182:183], v[178:179], -v[180:181]
	ds_load_b128 v[174:177], v2 offset:1632
	scratch_load_b128 v[178:181], off, off offset:864
	v_add_f64_e32 v[186:187], v[186:187], v[188:189]
	v_add_f64_e32 v[184:185], v[196:197], v[194:195]
	v_fmac_f64_e32 v[190:191], v[6:7], v[162:163]
	v_fma_f64 v[194:195], v[4:5], v[162:163], -v[164:165]
	ds_load_b128 v[4:7], v2 offset:1648
	s_wait_loadcnt_dscnt 0xa01
	v_mul_f64_e32 v[188:189], v[174:175], v[12:13]
	v_mul_f64_e32 v[12:13], v[176:177], v[12:13]
	scratch_load_b128 v[162:165], off, off offset:880
	v_add_f64_e32 v[186:187], v[186:187], v[192:193]
	s_wait_loadcnt_dscnt 0xa00
	v_mul_f64_e32 v[192:193], v[4:5], v[132:133]
	v_add_f64_e32 v[196:197], v[184:185], v[182:183]
	v_mul_f64_e32 v[132:133], v[6:7], v[132:133]
	ds_load_b128 v[182:185], v2 offset:1664
	v_fmac_f64_e32 v[188:189], v[176:177], v[10:11]
	v_fma_f64 v[174:175], v[174:175], v[10:11], -v[12:13]
	scratch_load_b128 v[10:13], off, off offset:896
	v_add_f64_e32 v[186:187], v[186:187], v[190:191]
	v_fmac_f64_e32 v[192:193], v[6:7], v[130:131]
	v_add_f64_e32 v[176:177], v[196:197], v[194:195]
	v_fma_f64 v[194:195], v[4:5], v[130:131], -v[132:133]
	ds_load_b128 v[4:7], v2 offset:1680
	s_wait_loadcnt_dscnt 0xa01
	v_mul_f64_e32 v[190:191], v[182:183], v[136:137]
	v_mul_f64_e32 v[136:137], v[184:185], v[136:137]
	scratch_load_b128 v[130:133], off, off offset:912
	v_add_f64_e32 v[186:187], v[186:187], v[188:189]
	s_wait_loadcnt_dscnt 0xa00
	v_mul_f64_e32 v[188:189], v[4:5], v[140:141]
	v_add_f64_e32 v[196:197], v[176:177], v[174:175]
	v_mul_f64_e32 v[140:141], v[6:7], v[140:141]
	ds_load_b128 v[174:177], v2 offset:1696
	v_fmac_f64_e32 v[190:191], v[184:185], v[134:135]
	v_fma_f64 v[134:135], v[182:183], v[134:135], -v[136:137]
	s_wait_loadcnt_dscnt 0x900
	v_mul_f64_e32 v[184:185], v[174:175], v[144:145]
	v_mul_f64_e32 v[144:145], v[176:177], v[144:145]
	v_add_f64_e32 v[182:183], v[186:187], v[192:193]
	v_fmac_f64_e32 v[188:189], v[6:7], v[138:139]
	v_add_f64_e32 v[136:137], v[196:197], v[194:195]
	v_fma_f64 v[138:139], v[4:5], v[138:139], -v[140:141]
	v_fmac_f64_e32 v[184:185], v[176:177], v[142:143]
	v_fma_f64 v[142:143], v[174:175], v[142:143], -v[144:145]
	v_add_f64_e32 v[182:183], v[182:183], v[190:191]
	v_add_f64_e32 v[140:141], v[136:137], v[134:135]
	ds_load_b128 v[4:7], v2 offset:1712
	ds_load_b128 v[134:137], v2 offset:1728
	s_wait_loadcnt_dscnt 0x801
	v_mul_f64_e32 v[186:187], v[4:5], v[148:149]
	v_mul_f64_e32 v[148:149], v[6:7], v[148:149]
	s_wait_loadcnt_dscnt 0x700
	v_mul_f64_e32 v[144:145], v[134:135], v[152:153]
	v_mul_f64_e32 v[152:153], v[136:137], v[152:153]
	v_add_f64_e32 v[138:139], v[140:141], v[138:139]
	v_add_f64_e32 v[140:141], v[182:183], v[188:189]
	v_fmac_f64_e32 v[186:187], v[6:7], v[146:147]
	v_fma_f64 v[146:147], v[4:5], v[146:147], -v[148:149]
	v_fmac_f64_e32 v[144:145], v[136:137], v[150:151]
	v_fma_f64 v[134:135], v[134:135], v[150:151], -v[152:153]
	v_add_f64_e32 v[142:143], v[138:139], v[142:143]
	v_add_f64_e32 v[148:149], v[140:141], v[184:185]
	ds_load_b128 v[4:7], v2 offset:1744
	ds_load_b128 v[138:141], v2 offset:1760
	s_wait_loadcnt_dscnt 0x601
	v_mul_f64_e32 v[174:175], v[4:5], v[156:157]
	v_mul_f64_e32 v[156:157], v[6:7], v[156:157]
	v_add_f64_e32 v[136:137], v[142:143], v[146:147]
	v_add_f64_e32 v[142:143], v[148:149], v[186:187]
	s_wait_loadcnt_dscnt 0x500
	v_mul_f64_e32 v[146:147], v[138:139], v[160:161]
	v_mul_f64_e32 v[148:149], v[140:141], v[160:161]
	v_fmac_f64_e32 v[174:175], v[6:7], v[154:155]
	v_fma_f64 v[150:151], v[4:5], v[154:155], -v[156:157]
	v_add_f64_e32 v[152:153], v[136:137], v[134:135]
	v_add_f64_e32 v[142:143], v[142:143], v[144:145]
	ds_load_b128 v[4:7], v2 offset:1776
	ds_load_b128 v[134:137], v2 offset:1792
	v_fmac_f64_e32 v[146:147], v[140:141], v[158:159]
	v_fma_f64 v[138:139], v[138:139], v[158:159], -v[148:149]
	s_wait_loadcnt_dscnt 0x401
	v_mul_f64_e32 v[144:145], v[4:5], v[168:169]
	v_mul_f64_e32 v[154:155], v[6:7], v[168:169]
	s_wait_loadcnt_dscnt 0x300
	v_mul_f64_e32 v[148:149], v[134:135], v[180:181]
	v_add_f64_e32 v[140:141], v[152:153], v[150:151]
	v_add_f64_e32 v[142:143], v[142:143], v[174:175]
	v_mul_f64_e32 v[150:151], v[136:137], v[180:181]
	v_fmac_f64_e32 v[144:145], v[6:7], v[166:167]
	v_fma_f64 v[152:153], v[4:5], v[166:167], -v[154:155]
	v_fmac_f64_e32 v[148:149], v[136:137], v[178:179]
	v_add_f64_e32 v[154:155], v[140:141], v[138:139]
	v_add_f64_e32 v[142:143], v[142:143], v[146:147]
	ds_load_b128 v[4:7], v2 offset:1808
	ds_load_b128 v[138:141], v2 offset:1824
	v_fma_f64 v[134:135], v[134:135], v[178:179], -v[150:151]
	s_wait_loadcnt_dscnt 0x201
	v_mul_f64_e32 v[146:147], v[4:5], v[164:165]
	v_mul_f64_e32 v[156:157], v[6:7], v[164:165]
	v_add_f64_e32 v[136:137], v[154:155], v[152:153]
	v_add_f64_e32 v[142:143], v[142:143], v[144:145]
	s_wait_loadcnt_dscnt 0x100
	v_mul_f64_e32 v[144:145], v[138:139], v[12:13]
	v_mul_f64_e32 v[12:13], v[140:141], v[12:13]
	v_fmac_f64_e32 v[146:147], v[6:7], v[162:163]
	v_fma_f64 v[150:151], v[4:5], v[162:163], -v[156:157]
	ds_load_b128 v[4:7], v2 offset:1840
	v_add_f64_e32 v[134:135], v[136:137], v[134:135]
	v_add_f64_e32 v[136:137], v[142:143], v[148:149]
	v_fmac_f64_e32 v[144:145], v[140:141], v[10:11]
	v_fma_f64 v[10:11], v[138:139], v[10:11], -v[12:13]
	s_wait_loadcnt_dscnt 0x0
	v_mul_f64_e32 v[142:143], v[4:5], v[132:133]
	v_mul_f64_e32 v[132:133], v[6:7], v[132:133]
	v_add_f64_e32 v[12:13], v[134:135], v[150:151]
	v_add_f64_e32 v[134:135], v[136:137], v[146:147]
	s_delay_alu instid0(VALU_DEP_4) | instskip(NEXT) | instid1(VALU_DEP_4)
	v_fmac_f64_e32 v[142:143], v[6:7], v[130:131]
	v_fma_f64 v[4:5], v[4:5], v[130:131], -v[132:133]
	s_delay_alu instid0(VALU_DEP_4) | instskip(NEXT) | instid1(VALU_DEP_4)
	v_add_f64_e32 v[6:7], v[12:13], v[10:11]
	v_add_f64_e32 v[10:11], v[134:135], v[144:145]
	s_delay_alu instid0(VALU_DEP_2) | instskip(NEXT) | instid1(VALU_DEP_2)
	v_add_f64_e32 v[4:5], v[6:7], v[4:5]
	v_add_f64_e32 v[6:7], v[10:11], v[142:143]
	s_delay_alu instid0(VALU_DEP_2) | instskip(NEXT) | instid1(VALU_DEP_2)
	v_add_f64_e64 v[4:5], v[170:171], -v[4:5]
	v_add_f64_e64 v[6:7], v[172:173], -v[6:7]
	scratch_store_b128 off, v[4:7], off offset:480
	s_wait_xcnt 0x0
	v_cmpx_lt_u32_e32 29, v1
	s_cbranch_execz .LBB57_303
; %bb.302:
	scratch_load_b128 v[10:13], off, s42
	v_dual_mov_b32 v3, v2 :: v_dual_mov_b32 v4, v2
	v_mov_b32_e32 v5, v2
	scratch_store_b128 off, v[2:5], off offset:464
	s_wait_loadcnt 0x0
	ds_store_b128 v8, v[10:13]
.LBB57_303:
	s_wait_xcnt 0x0
	s_or_b32 exec_lo, exec_lo, s2
	s_wait_storecnt_dscnt 0x0
	s_barrier_signal -1
	s_barrier_wait -1
	s_clause 0x9
	scratch_load_b128 v[4:7], off, off offset:480
	scratch_load_b128 v[10:13], off, off offset:496
	;; [unrolled: 1-line block ×10, first 2 shown]
	ds_load_b128 v[162:165], v2 offset:1408
	ds_load_b128 v[170:173], v2 offset:1424
	s_clause 0x2
	scratch_load_b128 v[166:169], off, off offset:640
	scratch_load_b128 v[174:177], off, off offset:464
	;; [unrolled: 1-line block ×3, first 2 shown]
	s_mov_b32 s2, exec_lo
	s_wait_loadcnt_dscnt 0xc01
	v_mul_f64_e32 v[182:183], v[164:165], v[6:7]
	v_mul_f64_e32 v[186:187], v[162:163], v[6:7]
	s_wait_loadcnt_dscnt 0xb00
	v_mul_f64_e32 v[188:189], v[170:171], v[12:13]
	v_mul_f64_e32 v[12:13], v[172:173], v[12:13]
	s_delay_alu instid0(VALU_DEP_4) | instskip(NEXT) | instid1(VALU_DEP_4)
	v_fma_f64 v[190:191], v[162:163], v[4:5], -v[182:183]
	v_fmac_f64_e32 v[186:187], v[164:165], v[4:5]
	ds_load_b128 v[4:7], v2 offset:1440
	ds_load_b128 v[162:165], v2 offset:1456
	scratch_load_b128 v[182:185], off, off offset:672
	v_fmac_f64_e32 v[188:189], v[172:173], v[10:11]
	v_fma_f64 v[170:171], v[170:171], v[10:11], -v[12:13]
	scratch_load_b128 v[10:13], off, off offset:688
	s_wait_loadcnt_dscnt 0xc01
	v_mul_f64_e32 v[192:193], v[4:5], v[132:133]
	v_mul_f64_e32 v[132:133], v[6:7], v[132:133]
	v_add_f64_e32 v[172:173], 0, v[190:191]
	v_add_f64_e32 v[186:187], 0, v[186:187]
	s_wait_loadcnt_dscnt 0xb00
	v_mul_f64_e32 v[190:191], v[162:163], v[136:137]
	v_mul_f64_e32 v[136:137], v[164:165], v[136:137]
	v_fmac_f64_e32 v[192:193], v[6:7], v[130:131]
	v_fma_f64 v[194:195], v[4:5], v[130:131], -v[132:133]
	ds_load_b128 v[4:7], v2 offset:1472
	ds_load_b128 v[130:133], v2 offset:1488
	v_add_f64_e32 v[196:197], v[172:173], v[170:171]
	v_add_f64_e32 v[186:187], v[186:187], v[188:189]
	scratch_load_b128 v[170:173], off, off offset:704
	v_fmac_f64_e32 v[190:191], v[164:165], v[134:135]
	v_fma_f64 v[162:163], v[162:163], v[134:135], -v[136:137]
	scratch_load_b128 v[134:137], off, off offset:720
	s_wait_loadcnt_dscnt 0xc01
	v_mul_f64_e32 v[188:189], v[4:5], v[140:141]
	v_mul_f64_e32 v[140:141], v[6:7], v[140:141]
	v_add_f64_e32 v[164:165], v[196:197], v[194:195]
	v_add_f64_e32 v[186:187], v[186:187], v[192:193]
	s_wait_loadcnt_dscnt 0xb00
	v_mul_f64_e32 v[192:193], v[130:131], v[144:145]
	v_mul_f64_e32 v[144:145], v[132:133], v[144:145]
	v_fmac_f64_e32 v[188:189], v[6:7], v[138:139]
	v_fma_f64 v[194:195], v[4:5], v[138:139], -v[140:141]
	ds_load_b128 v[4:7], v2 offset:1504
	ds_load_b128 v[138:141], v2 offset:1520
	v_add_f64_e32 v[196:197], v[164:165], v[162:163]
	v_add_f64_e32 v[186:187], v[186:187], v[190:191]
	scratch_load_b128 v[162:165], off, off offset:736
	s_wait_loadcnt_dscnt 0xb01
	v_mul_f64_e32 v[190:191], v[4:5], v[148:149]
	v_mul_f64_e32 v[148:149], v[6:7], v[148:149]
	v_fmac_f64_e32 v[192:193], v[132:133], v[142:143]
	v_fma_f64 v[142:143], v[130:131], v[142:143], -v[144:145]
	scratch_load_b128 v[130:133], off, off offset:752
	v_add_f64_e32 v[144:145], v[196:197], v[194:195]
	v_add_f64_e32 v[186:187], v[186:187], v[188:189]
	s_wait_loadcnt_dscnt 0xb00
	v_mul_f64_e32 v[188:189], v[138:139], v[152:153]
	v_mul_f64_e32 v[152:153], v[140:141], v[152:153]
	v_fmac_f64_e32 v[190:191], v[6:7], v[146:147]
	v_fma_f64 v[194:195], v[4:5], v[146:147], -v[148:149]
	v_add_f64_e32 v[196:197], v[144:145], v[142:143]
	v_add_f64_e32 v[186:187], v[186:187], v[192:193]
	ds_load_b128 v[4:7], v2 offset:1536
	ds_load_b128 v[142:145], v2 offset:1552
	scratch_load_b128 v[146:149], off, off offset:768
	v_fmac_f64_e32 v[188:189], v[140:141], v[150:151]
	v_fma_f64 v[150:151], v[138:139], v[150:151], -v[152:153]
	scratch_load_b128 v[138:141], off, off offset:784
	s_wait_loadcnt_dscnt 0xc01
	v_mul_f64_e32 v[192:193], v[4:5], v[156:157]
	v_mul_f64_e32 v[156:157], v[6:7], v[156:157]
	v_add_f64_e32 v[152:153], v[196:197], v[194:195]
	v_add_f64_e32 v[186:187], v[186:187], v[190:191]
	s_wait_loadcnt_dscnt 0xb00
	v_mul_f64_e32 v[190:191], v[142:143], v[160:161]
	v_mul_f64_e32 v[160:161], v[144:145], v[160:161]
	v_fmac_f64_e32 v[192:193], v[6:7], v[154:155]
	v_fma_f64 v[194:195], v[4:5], v[154:155], -v[156:157]
	v_add_f64_e32 v[196:197], v[152:153], v[150:151]
	v_add_f64_e32 v[186:187], v[186:187], v[188:189]
	ds_load_b128 v[4:7], v2 offset:1568
	ds_load_b128 v[150:153], v2 offset:1584
	scratch_load_b128 v[154:157], off, off offset:800
	v_fmac_f64_e32 v[190:191], v[144:145], v[158:159]
	v_fma_f64 v[158:159], v[142:143], v[158:159], -v[160:161]
	scratch_load_b128 v[142:145], off, off offset:816
	s_wait_loadcnt_dscnt 0xc01
	v_mul_f64_e32 v[188:189], v[4:5], v[168:169]
	v_mul_f64_e32 v[168:169], v[6:7], v[168:169]
	;; [unrolled: 18-line block ×5, first 2 shown]
	v_add_f64_e32 v[180:181], v[196:197], v[194:195]
	v_add_f64_e32 v[186:187], v[186:187], v[192:193]
	s_wait_loadcnt_dscnt 0xa00
	v_mul_f64_e32 v[192:193], v[158:159], v[132:133]
	v_mul_f64_e32 v[132:133], v[160:161], v[132:133]
	v_fmac_f64_e32 v[188:189], v[6:7], v[162:163]
	v_fma_f64 v[194:195], v[4:5], v[162:163], -v[164:165]
	ds_load_b128 v[4:7], v2 offset:1696
	ds_load_b128 v[162:165], v2 offset:1712
	v_add_f64_e32 v[178:179], v[180:181], v[178:179]
	v_add_f64_e32 v[180:181], v[186:187], v[190:191]
	v_fmac_f64_e32 v[192:193], v[160:161], v[130:131]
	v_fma_f64 v[130:131], v[158:159], v[130:131], -v[132:133]
	s_wait_loadcnt_dscnt 0x901
	v_mul_f64_e32 v[186:187], v[4:5], v[148:149]
	v_mul_f64_e32 v[148:149], v[6:7], v[148:149]
	s_wait_loadcnt_dscnt 0x800
	v_mul_f64_e32 v[160:161], v[162:163], v[140:141]
	v_mul_f64_e32 v[140:141], v[164:165], v[140:141]
	v_add_f64_e32 v[132:133], v[178:179], v[194:195]
	v_add_f64_e32 v[158:159], v[180:181], v[188:189]
	v_fmac_f64_e32 v[186:187], v[6:7], v[146:147]
	v_fma_f64 v[146:147], v[4:5], v[146:147], -v[148:149]
	v_fmac_f64_e32 v[160:161], v[164:165], v[138:139]
	v_fma_f64 v[138:139], v[162:163], v[138:139], -v[140:141]
	v_add_f64_e32 v[148:149], v[132:133], v[130:131]
	v_add_f64_e32 v[158:159], v[158:159], v[192:193]
	ds_load_b128 v[4:7], v2 offset:1728
	ds_load_b128 v[130:133], v2 offset:1744
	s_wait_loadcnt_dscnt 0x701
	v_mul_f64_e32 v[178:179], v[4:5], v[156:157]
	v_mul_f64_e32 v[156:157], v[6:7], v[156:157]
	v_add_f64_e32 v[140:141], v[148:149], v[146:147]
	v_add_f64_e32 v[146:147], v[158:159], v[186:187]
	s_wait_loadcnt_dscnt 0x600
	v_mul_f64_e32 v[148:149], v[130:131], v[144:145]
	v_mul_f64_e32 v[144:145], v[132:133], v[144:145]
	v_fmac_f64_e32 v[178:179], v[6:7], v[154:155]
	v_fma_f64 v[154:155], v[4:5], v[154:155], -v[156:157]
	v_add_f64_e32 v[156:157], v[140:141], v[138:139]
	v_add_f64_e32 v[146:147], v[146:147], v[160:161]
	ds_load_b128 v[4:7], v2 offset:1760
	ds_load_b128 v[138:141], v2 offset:1776
	v_fmac_f64_e32 v[148:149], v[132:133], v[142:143]
	v_fma_f64 v[130:131], v[130:131], v[142:143], -v[144:145]
	s_wait_loadcnt_dscnt 0x501
	v_mul_f64_e32 v[158:159], v[4:5], v[168:169]
	v_mul_f64_e32 v[160:161], v[6:7], v[168:169]
	s_wait_loadcnt_dscnt 0x400
	v_mul_f64_e32 v[144:145], v[138:139], v[152:153]
	v_add_f64_e32 v[132:133], v[156:157], v[154:155]
	v_add_f64_e32 v[142:143], v[146:147], v[178:179]
	v_mul_f64_e32 v[146:147], v[140:141], v[152:153]
	v_fmac_f64_e32 v[158:159], v[6:7], v[166:167]
	v_fma_f64 v[152:153], v[4:5], v[166:167], -v[160:161]
	v_fmac_f64_e32 v[144:145], v[140:141], v[150:151]
	v_add_f64_e32 v[154:155], v[132:133], v[130:131]
	v_add_f64_e32 v[142:143], v[142:143], v[148:149]
	ds_load_b128 v[4:7], v2 offset:1792
	ds_load_b128 v[130:133], v2 offset:1808
	v_fma_f64 v[138:139], v[138:139], v[150:151], -v[146:147]
	s_wait_loadcnt_dscnt 0x301
	v_mul_f64_e32 v[148:149], v[4:5], v[184:185]
	v_mul_f64_e32 v[156:157], v[6:7], v[184:185]
	s_wait_loadcnt_dscnt 0x200
	v_mul_f64_e32 v[146:147], v[130:131], v[12:13]
	v_mul_f64_e32 v[12:13], v[132:133], v[12:13]
	v_add_f64_e32 v[140:141], v[154:155], v[152:153]
	v_add_f64_e32 v[142:143], v[142:143], v[158:159]
	v_fmac_f64_e32 v[148:149], v[6:7], v[182:183]
	v_fma_f64 v[150:151], v[4:5], v[182:183], -v[156:157]
	v_fmac_f64_e32 v[146:147], v[132:133], v[10:11]
	v_fma_f64 v[10:11], v[130:131], v[10:11], -v[12:13]
	v_add_f64_e32 v[152:153], v[140:141], v[138:139]
	v_add_f64_e32 v[142:143], v[142:143], v[144:145]
	ds_load_b128 v[4:7], v2 offset:1824
	ds_load_b128 v[138:141], v2 offset:1840
	s_wait_loadcnt_dscnt 0x101
	v_mul_f64_e32 v[2:3], v[4:5], v[172:173]
	v_mul_f64_e32 v[144:145], v[6:7], v[172:173]
	s_wait_loadcnt_dscnt 0x0
	v_mul_f64_e32 v[132:133], v[138:139], v[136:137]
	v_mul_f64_e32 v[136:137], v[140:141], v[136:137]
	v_add_f64_e32 v[12:13], v[152:153], v[150:151]
	v_add_f64_e32 v[130:131], v[142:143], v[148:149]
	v_fmac_f64_e32 v[2:3], v[6:7], v[170:171]
	v_fma_f64 v[4:5], v[4:5], v[170:171], -v[144:145]
	v_fmac_f64_e32 v[132:133], v[140:141], v[134:135]
	v_add_f64_e32 v[6:7], v[12:13], v[10:11]
	v_add_f64_e32 v[10:11], v[130:131], v[146:147]
	v_fma_f64 v[12:13], v[138:139], v[134:135], -v[136:137]
	s_delay_alu instid0(VALU_DEP_3) | instskip(NEXT) | instid1(VALU_DEP_3)
	v_add_f64_e32 v[4:5], v[6:7], v[4:5]
	v_add_f64_e32 v[2:3], v[10:11], v[2:3]
	s_delay_alu instid0(VALU_DEP_2) | instskip(NEXT) | instid1(VALU_DEP_2)
	v_add_f64_e32 v[4:5], v[4:5], v[12:13]
	v_add_f64_e32 v[6:7], v[2:3], v[132:133]
	s_delay_alu instid0(VALU_DEP_2) | instskip(NEXT) | instid1(VALU_DEP_2)
	v_add_f64_e64 v[2:3], v[174:175], -v[4:5]
	v_add_f64_e64 v[4:5], v[176:177], -v[6:7]
	scratch_store_b128 off, v[2:5], off offset:464
	s_wait_xcnt 0x0
	v_cmpx_lt_u32_e32 28, v1
	s_cbranch_execz .LBB57_305
; %bb.304:
	scratch_load_b128 v[2:5], off, s39
	v_mov_b32_e32 v10, 0
	s_delay_alu instid0(VALU_DEP_1)
	v_dual_mov_b32 v11, v10 :: v_dual_mov_b32 v12, v10
	v_mov_b32_e32 v13, v10
	scratch_store_b128 off, v[10:13], off offset:448
	s_wait_loadcnt 0x0
	ds_store_b128 v8, v[2:5]
.LBB57_305:
	s_wait_xcnt 0x0
	s_or_b32 exec_lo, exec_lo, s2
	s_wait_storecnt_dscnt 0x0
	s_barrier_signal -1
	s_barrier_wait -1
	s_clause 0x9
	scratch_load_b128 v[4:7], off, off offset:464
	scratch_load_b128 v[10:13], off, off offset:480
	;; [unrolled: 1-line block ×10, first 2 shown]
	v_mov_b32_e32 v2, 0
	s_mov_b32 s2, exec_lo
	ds_load_b128 v[162:165], v2 offset:1392
	s_clause 0x2
	scratch_load_b128 v[166:169], off, off offset:624
	scratch_load_b128 v[170:173], off, off offset:448
	;; [unrolled: 1-line block ×3, first 2 shown]
	s_wait_loadcnt_dscnt 0xc00
	v_mul_f64_e32 v[182:183], v[164:165], v[6:7]
	v_mul_f64_e32 v[186:187], v[162:163], v[6:7]
	ds_load_b128 v[174:177], v2 offset:1408
	v_fma_f64 v[190:191], v[162:163], v[4:5], -v[182:183]
	v_fmac_f64_e32 v[186:187], v[164:165], v[4:5]
	ds_load_b128 v[4:7], v2 offset:1424
	s_wait_loadcnt_dscnt 0xb01
	v_mul_f64_e32 v[188:189], v[174:175], v[12:13]
	v_mul_f64_e32 v[12:13], v[176:177], v[12:13]
	scratch_load_b128 v[162:165], off, off offset:656
	ds_load_b128 v[182:185], v2 offset:1440
	s_wait_loadcnt_dscnt 0xb01
	v_mul_f64_e32 v[192:193], v[4:5], v[132:133]
	v_mul_f64_e32 v[132:133], v[6:7], v[132:133]
	v_add_f64_e32 v[186:187], 0, v[186:187]
	v_fmac_f64_e32 v[188:189], v[176:177], v[10:11]
	v_fma_f64 v[174:175], v[174:175], v[10:11], -v[12:13]
	v_add_f64_e32 v[176:177], 0, v[190:191]
	scratch_load_b128 v[10:13], off, off offset:672
	v_fmac_f64_e32 v[192:193], v[6:7], v[130:131]
	v_fma_f64 v[194:195], v[4:5], v[130:131], -v[132:133]
	ds_load_b128 v[4:7], v2 offset:1456
	s_wait_loadcnt_dscnt 0xb01
	v_mul_f64_e32 v[190:191], v[182:183], v[136:137]
	v_mul_f64_e32 v[136:137], v[184:185], v[136:137]
	scratch_load_b128 v[130:133], off, off offset:688
	v_add_f64_e32 v[186:187], v[186:187], v[188:189]
	v_add_f64_e32 v[196:197], v[176:177], v[174:175]
	ds_load_b128 v[174:177], v2 offset:1472
	s_wait_loadcnt_dscnt 0xb01
	v_mul_f64_e32 v[188:189], v[4:5], v[140:141]
	v_mul_f64_e32 v[140:141], v[6:7], v[140:141]
	v_fmac_f64_e32 v[190:191], v[184:185], v[134:135]
	v_fma_f64 v[182:183], v[182:183], v[134:135], -v[136:137]
	scratch_load_b128 v[134:137], off, off offset:704
	v_add_f64_e32 v[186:187], v[186:187], v[192:193]
	v_add_f64_e32 v[184:185], v[196:197], v[194:195]
	v_fmac_f64_e32 v[188:189], v[6:7], v[138:139]
	v_fma_f64 v[194:195], v[4:5], v[138:139], -v[140:141]
	ds_load_b128 v[4:7], v2 offset:1488
	s_wait_loadcnt_dscnt 0xb01
	v_mul_f64_e32 v[192:193], v[174:175], v[144:145]
	v_mul_f64_e32 v[144:145], v[176:177], v[144:145]
	scratch_load_b128 v[138:141], off, off offset:720
	v_add_f64_e32 v[186:187], v[186:187], v[190:191]
	s_wait_loadcnt_dscnt 0xb00
	v_mul_f64_e32 v[190:191], v[4:5], v[148:149]
	v_add_f64_e32 v[196:197], v[184:185], v[182:183]
	v_mul_f64_e32 v[148:149], v[6:7], v[148:149]
	ds_load_b128 v[182:185], v2 offset:1504
	v_fmac_f64_e32 v[192:193], v[176:177], v[142:143]
	v_fma_f64 v[174:175], v[174:175], v[142:143], -v[144:145]
	scratch_load_b128 v[142:145], off, off offset:736
	v_add_f64_e32 v[186:187], v[186:187], v[188:189]
	v_fmac_f64_e32 v[190:191], v[6:7], v[146:147]
	v_add_f64_e32 v[176:177], v[196:197], v[194:195]
	v_fma_f64 v[194:195], v[4:5], v[146:147], -v[148:149]
	ds_load_b128 v[4:7], v2 offset:1520
	s_wait_loadcnt_dscnt 0xb01
	v_mul_f64_e32 v[188:189], v[182:183], v[152:153]
	v_mul_f64_e32 v[152:153], v[184:185], v[152:153]
	scratch_load_b128 v[146:149], off, off offset:752
	v_add_f64_e32 v[186:187], v[186:187], v[192:193]
	s_wait_loadcnt_dscnt 0xb00
	v_mul_f64_e32 v[192:193], v[4:5], v[156:157]
	v_add_f64_e32 v[196:197], v[176:177], v[174:175]
	v_mul_f64_e32 v[156:157], v[6:7], v[156:157]
	ds_load_b128 v[174:177], v2 offset:1536
	v_fmac_f64_e32 v[188:189], v[184:185], v[150:151]
	v_fma_f64 v[182:183], v[182:183], v[150:151], -v[152:153]
	scratch_load_b128 v[150:153], off, off offset:768
	v_add_f64_e32 v[186:187], v[186:187], v[190:191]
	v_fmac_f64_e32 v[192:193], v[6:7], v[154:155]
	v_add_f64_e32 v[184:185], v[196:197], v[194:195]
	;; [unrolled: 18-line block ×3, first 2 shown]
	v_fma_f64 v[194:195], v[4:5], v[166:167], -v[168:169]
	ds_load_b128 v[4:7], v2 offset:1584
	s_wait_loadcnt_dscnt 0xa01
	v_mul_f64_e32 v[192:193], v[182:183], v[180:181]
	v_mul_f64_e32 v[180:181], v[184:185], v[180:181]
	scratch_load_b128 v[166:169], off, off offset:816
	v_add_f64_e32 v[186:187], v[186:187], v[190:191]
	v_add_f64_e32 v[196:197], v[176:177], v[174:175]
	s_wait_loadcnt_dscnt 0xa00
	v_mul_f64_e32 v[190:191], v[4:5], v[164:165]
	v_mul_f64_e32 v[164:165], v[6:7], v[164:165]
	v_fmac_f64_e32 v[192:193], v[184:185], v[178:179]
	v_fma_f64 v[182:183], v[182:183], v[178:179], -v[180:181]
	ds_load_b128 v[174:177], v2 offset:1600
	scratch_load_b128 v[178:181], off, off offset:832
	v_add_f64_e32 v[186:187], v[186:187], v[188:189]
	v_add_f64_e32 v[184:185], v[196:197], v[194:195]
	v_fmac_f64_e32 v[190:191], v[6:7], v[162:163]
	v_fma_f64 v[194:195], v[4:5], v[162:163], -v[164:165]
	ds_load_b128 v[4:7], v2 offset:1616
	s_wait_loadcnt_dscnt 0xa01
	v_mul_f64_e32 v[188:189], v[174:175], v[12:13]
	v_mul_f64_e32 v[12:13], v[176:177], v[12:13]
	scratch_load_b128 v[162:165], off, off offset:848
	v_add_f64_e32 v[186:187], v[186:187], v[192:193]
	s_wait_loadcnt_dscnt 0xa00
	v_mul_f64_e32 v[192:193], v[4:5], v[132:133]
	v_add_f64_e32 v[196:197], v[184:185], v[182:183]
	v_mul_f64_e32 v[132:133], v[6:7], v[132:133]
	ds_load_b128 v[182:185], v2 offset:1632
	v_fmac_f64_e32 v[188:189], v[176:177], v[10:11]
	v_fma_f64 v[174:175], v[174:175], v[10:11], -v[12:13]
	scratch_load_b128 v[10:13], off, off offset:864
	v_add_f64_e32 v[186:187], v[186:187], v[190:191]
	v_fmac_f64_e32 v[192:193], v[6:7], v[130:131]
	v_add_f64_e32 v[176:177], v[196:197], v[194:195]
	v_fma_f64 v[194:195], v[4:5], v[130:131], -v[132:133]
	ds_load_b128 v[4:7], v2 offset:1648
	s_wait_loadcnt_dscnt 0xa01
	v_mul_f64_e32 v[190:191], v[182:183], v[136:137]
	v_mul_f64_e32 v[136:137], v[184:185], v[136:137]
	scratch_load_b128 v[130:133], off, off offset:880
	v_add_f64_e32 v[186:187], v[186:187], v[188:189]
	s_wait_loadcnt_dscnt 0xa00
	v_mul_f64_e32 v[188:189], v[4:5], v[140:141]
	v_add_f64_e32 v[196:197], v[176:177], v[174:175]
	v_mul_f64_e32 v[140:141], v[6:7], v[140:141]
	ds_load_b128 v[174:177], v2 offset:1664
	v_fmac_f64_e32 v[190:191], v[184:185], v[134:135]
	v_fma_f64 v[182:183], v[182:183], v[134:135], -v[136:137]
	scratch_load_b128 v[134:137], off, off offset:896
	v_add_f64_e32 v[186:187], v[186:187], v[192:193]
	v_fmac_f64_e32 v[188:189], v[6:7], v[138:139]
	v_add_f64_e32 v[184:185], v[196:197], v[194:195]
	v_fma_f64 v[194:195], v[4:5], v[138:139], -v[140:141]
	ds_load_b128 v[4:7], v2 offset:1680
	s_wait_loadcnt_dscnt 0xa01
	v_mul_f64_e32 v[192:193], v[174:175], v[144:145]
	v_mul_f64_e32 v[144:145], v[176:177], v[144:145]
	scratch_load_b128 v[138:141], off, off offset:912
	v_add_f64_e32 v[186:187], v[186:187], v[190:191]
	s_wait_loadcnt_dscnt 0xa00
	v_mul_f64_e32 v[190:191], v[4:5], v[148:149]
	v_add_f64_e32 v[196:197], v[184:185], v[182:183]
	v_mul_f64_e32 v[148:149], v[6:7], v[148:149]
	ds_load_b128 v[182:185], v2 offset:1696
	v_fmac_f64_e32 v[192:193], v[176:177], v[142:143]
	v_fma_f64 v[142:143], v[174:175], v[142:143], -v[144:145]
	s_wait_loadcnt_dscnt 0x900
	v_mul_f64_e32 v[176:177], v[182:183], v[152:153]
	v_mul_f64_e32 v[152:153], v[184:185], v[152:153]
	v_add_f64_e32 v[174:175], v[186:187], v[188:189]
	v_fmac_f64_e32 v[190:191], v[6:7], v[146:147]
	v_add_f64_e32 v[144:145], v[196:197], v[194:195]
	v_fma_f64 v[146:147], v[4:5], v[146:147], -v[148:149]
	v_fmac_f64_e32 v[176:177], v[184:185], v[150:151]
	v_fma_f64 v[150:151], v[182:183], v[150:151], -v[152:153]
	v_add_f64_e32 v[174:175], v[174:175], v[192:193]
	v_add_f64_e32 v[148:149], v[144:145], v[142:143]
	ds_load_b128 v[4:7], v2 offset:1712
	ds_load_b128 v[142:145], v2 offset:1728
	s_wait_loadcnt_dscnt 0x801
	v_mul_f64_e32 v[186:187], v[4:5], v[156:157]
	v_mul_f64_e32 v[156:157], v[6:7], v[156:157]
	s_wait_loadcnt_dscnt 0x700
	v_mul_f64_e32 v[152:153], v[142:143], v[160:161]
	v_mul_f64_e32 v[160:161], v[144:145], v[160:161]
	v_add_f64_e32 v[146:147], v[148:149], v[146:147]
	v_add_f64_e32 v[148:149], v[174:175], v[190:191]
	v_fmac_f64_e32 v[186:187], v[6:7], v[154:155]
	v_fma_f64 v[154:155], v[4:5], v[154:155], -v[156:157]
	v_fmac_f64_e32 v[152:153], v[144:145], v[158:159]
	v_fma_f64 v[142:143], v[142:143], v[158:159], -v[160:161]
	v_add_f64_e32 v[150:151], v[146:147], v[150:151]
	v_add_f64_e32 v[156:157], v[148:149], v[176:177]
	ds_load_b128 v[4:7], v2 offset:1744
	ds_load_b128 v[146:149], v2 offset:1760
	s_wait_loadcnt_dscnt 0x601
	v_mul_f64_e32 v[174:175], v[4:5], v[168:169]
	v_mul_f64_e32 v[168:169], v[6:7], v[168:169]
	v_add_f64_e32 v[144:145], v[150:151], v[154:155]
	v_add_f64_e32 v[150:151], v[156:157], v[186:187]
	s_wait_loadcnt_dscnt 0x500
	v_mul_f64_e32 v[154:155], v[146:147], v[180:181]
	v_mul_f64_e32 v[156:157], v[148:149], v[180:181]
	v_fmac_f64_e32 v[174:175], v[6:7], v[166:167]
	v_fma_f64 v[158:159], v[4:5], v[166:167], -v[168:169]
	v_add_f64_e32 v[160:161], v[144:145], v[142:143]
	v_add_f64_e32 v[150:151], v[150:151], v[152:153]
	ds_load_b128 v[4:7], v2 offset:1776
	ds_load_b128 v[142:145], v2 offset:1792
	v_fmac_f64_e32 v[154:155], v[148:149], v[178:179]
	v_fma_f64 v[146:147], v[146:147], v[178:179], -v[156:157]
	s_wait_loadcnt_dscnt 0x401
	v_mul_f64_e32 v[152:153], v[4:5], v[164:165]
	v_mul_f64_e32 v[164:165], v[6:7], v[164:165]
	s_wait_loadcnt_dscnt 0x300
	v_mul_f64_e32 v[156:157], v[142:143], v[12:13]
	v_mul_f64_e32 v[12:13], v[144:145], v[12:13]
	v_add_f64_e32 v[148:149], v[160:161], v[158:159]
	v_add_f64_e32 v[150:151], v[150:151], v[174:175]
	v_fmac_f64_e32 v[152:153], v[6:7], v[162:163]
	v_fma_f64 v[158:159], v[4:5], v[162:163], -v[164:165]
	v_fmac_f64_e32 v[156:157], v[144:145], v[10:11]
	v_fma_f64 v[10:11], v[142:143], v[10:11], -v[12:13]
	v_add_f64_e32 v[160:161], v[148:149], v[146:147]
	v_add_f64_e32 v[150:151], v[150:151], v[154:155]
	ds_load_b128 v[4:7], v2 offset:1808
	ds_load_b128 v[146:149], v2 offset:1824
	s_wait_loadcnt_dscnt 0x201
	v_mul_f64_e32 v[154:155], v[4:5], v[132:133]
	v_mul_f64_e32 v[132:133], v[6:7], v[132:133]
	s_wait_loadcnt_dscnt 0x100
	v_mul_f64_e32 v[144:145], v[146:147], v[136:137]
	v_mul_f64_e32 v[136:137], v[148:149], v[136:137]
	v_add_f64_e32 v[12:13], v[160:161], v[158:159]
	v_add_f64_e32 v[142:143], v[150:151], v[152:153]
	v_fmac_f64_e32 v[154:155], v[6:7], v[130:131]
	v_fma_f64 v[130:131], v[4:5], v[130:131], -v[132:133]
	ds_load_b128 v[4:7], v2 offset:1840
	v_fmac_f64_e32 v[144:145], v[148:149], v[134:135]
	v_fma_f64 v[134:135], v[146:147], v[134:135], -v[136:137]
	v_add_f64_e32 v[10:11], v[12:13], v[10:11]
	v_add_f64_e32 v[12:13], v[142:143], v[156:157]
	s_wait_loadcnt_dscnt 0x0
	v_mul_f64_e32 v[132:133], v[4:5], v[140:141]
	v_mul_f64_e32 v[140:141], v[6:7], v[140:141]
	s_delay_alu instid0(VALU_DEP_4) | instskip(NEXT) | instid1(VALU_DEP_4)
	v_add_f64_e32 v[10:11], v[10:11], v[130:131]
	v_add_f64_e32 v[12:13], v[12:13], v[154:155]
	s_delay_alu instid0(VALU_DEP_4) | instskip(NEXT) | instid1(VALU_DEP_4)
	v_fmac_f64_e32 v[132:133], v[6:7], v[138:139]
	v_fma_f64 v[4:5], v[4:5], v[138:139], -v[140:141]
	s_delay_alu instid0(VALU_DEP_4) | instskip(NEXT) | instid1(VALU_DEP_4)
	v_add_f64_e32 v[6:7], v[10:11], v[134:135]
	v_add_f64_e32 v[10:11], v[12:13], v[144:145]
	s_delay_alu instid0(VALU_DEP_2) | instskip(NEXT) | instid1(VALU_DEP_2)
	v_add_f64_e32 v[4:5], v[6:7], v[4:5]
	v_add_f64_e32 v[6:7], v[10:11], v[132:133]
	s_delay_alu instid0(VALU_DEP_2) | instskip(NEXT) | instid1(VALU_DEP_2)
	v_add_f64_e64 v[4:5], v[170:171], -v[4:5]
	v_add_f64_e64 v[6:7], v[172:173], -v[6:7]
	scratch_store_b128 off, v[4:7], off offset:448
	s_wait_xcnt 0x0
	v_cmpx_lt_u32_e32 27, v1
	s_cbranch_execz .LBB57_307
; %bb.306:
	scratch_load_b128 v[10:13], off, s34
	v_dual_mov_b32 v3, v2 :: v_dual_mov_b32 v4, v2
	v_mov_b32_e32 v5, v2
	scratch_store_b128 off, v[2:5], off offset:432
	s_wait_loadcnt 0x0
	ds_store_b128 v8, v[10:13]
.LBB57_307:
	s_wait_xcnt 0x0
	s_or_b32 exec_lo, exec_lo, s2
	s_wait_storecnt_dscnt 0x0
	s_barrier_signal -1
	s_barrier_wait -1
	s_clause 0x9
	scratch_load_b128 v[4:7], off, off offset:448
	scratch_load_b128 v[10:13], off, off offset:464
	;; [unrolled: 1-line block ×10, first 2 shown]
	ds_load_b128 v[162:165], v2 offset:1376
	ds_load_b128 v[170:173], v2 offset:1392
	s_clause 0x2
	scratch_load_b128 v[166:169], off, off offset:608
	scratch_load_b128 v[174:177], off, off offset:432
	;; [unrolled: 1-line block ×3, first 2 shown]
	s_mov_b32 s2, exec_lo
	s_wait_loadcnt_dscnt 0xc01
	v_mul_f64_e32 v[182:183], v[164:165], v[6:7]
	v_mul_f64_e32 v[186:187], v[162:163], v[6:7]
	s_wait_loadcnt_dscnt 0xb00
	v_mul_f64_e32 v[188:189], v[170:171], v[12:13]
	v_mul_f64_e32 v[12:13], v[172:173], v[12:13]
	s_delay_alu instid0(VALU_DEP_4) | instskip(NEXT) | instid1(VALU_DEP_4)
	v_fma_f64 v[190:191], v[162:163], v[4:5], -v[182:183]
	v_fmac_f64_e32 v[186:187], v[164:165], v[4:5]
	ds_load_b128 v[4:7], v2 offset:1408
	ds_load_b128 v[162:165], v2 offset:1424
	scratch_load_b128 v[182:185], off, off offset:640
	v_fmac_f64_e32 v[188:189], v[172:173], v[10:11]
	v_fma_f64 v[170:171], v[170:171], v[10:11], -v[12:13]
	scratch_load_b128 v[10:13], off, off offset:656
	s_wait_loadcnt_dscnt 0xc01
	v_mul_f64_e32 v[192:193], v[4:5], v[132:133]
	v_mul_f64_e32 v[132:133], v[6:7], v[132:133]
	v_add_f64_e32 v[172:173], 0, v[190:191]
	v_add_f64_e32 v[186:187], 0, v[186:187]
	s_wait_loadcnt_dscnt 0xb00
	v_mul_f64_e32 v[190:191], v[162:163], v[136:137]
	v_mul_f64_e32 v[136:137], v[164:165], v[136:137]
	v_fmac_f64_e32 v[192:193], v[6:7], v[130:131]
	v_fma_f64 v[194:195], v[4:5], v[130:131], -v[132:133]
	ds_load_b128 v[4:7], v2 offset:1440
	ds_load_b128 v[130:133], v2 offset:1456
	v_add_f64_e32 v[196:197], v[172:173], v[170:171]
	v_add_f64_e32 v[186:187], v[186:187], v[188:189]
	scratch_load_b128 v[170:173], off, off offset:672
	v_fmac_f64_e32 v[190:191], v[164:165], v[134:135]
	v_fma_f64 v[162:163], v[162:163], v[134:135], -v[136:137]
	scratch_load_b128 v[134:137], off, off offset:688
	s_wait_loadcnt_dscnt 0xc01
	v_mul_f64_e32 v[188:189], v[4:5], v[140:141]
	v_mul_f64_e32 v[140:141], v[6:7], v[140:141]
	v_add_f64_e32 v[164:165], v[196:197], v[194:195]
	v_add_f64_e32 v[186:187], v[186:187], v[192:193]
	s_wait_loadcnt_dscnt 0xb00
	v_mul_f64_e32 v[192:193], v[130:131], v[144:145]
	v_mul_f64_e32 v[144:145], v[132:133], v[144:145]
	v_fmac_f64_e32 v[188:189], v[6:7], v[138:139]
	v_fma_f64 v[194:195], v[4:5], v[138:139], -v[140:141]
	ds_load_b128 v[4:7], v2 offset:1472
	ds_load_b128 v[138:141], v2 offset:1488
	v_add_f64_e32 v[196:197], v[164:165], v[162:163]
	v_add_f64_e32 v[186:187], v[186:187], v[190:191]
	scratch_load_b128 v[162:165], off, off offset:704
	s_wait_loadcnt_dscnt 0xb01
	v_mul_f64_e32 v[190:191], v[4:5], v[148:149]
	v_mul_f64_e32 v[148:149], v[6:7], v[148:149]
	v_fmac_f64_e32 v[192:193], v[132:133], v[142:143]
	v_fma_f64 v[142:143], v[130:131], v[142:143], -v[144:145]
	scratch_load_b128 v[130:133], off, off offset:720
	v_add_f64_e32 v[144:145], v[196:197], v[194:195]
	v_add_f64_e32 v[186:187], v[186:187], v[188:189]
	s_wait_loadcnt_dscnt 0xb00
	v_mul_f64_e32 v[188:189], v[138:139], v[152:153]
	v_mul_f64_e32 v[152:153], v[140:141], v[152:153]
	v_fmac_f64_e32 v[190:191], v[6:7], v[146:147]
	v_fma_f64 v[194:195], v[4:5], v[146:147], -v[148:149]
	v_add_f64_e32 v[196:197], v[144:145], v[142:143]
	v_add_f64_e32 v[186:187], v[186:187], v[192:193]
	ds_load_b128 v[4:7], v2 offset:1504
	ds_load_b128 v[142:145], v2 offset:1520
	scratch_load_b128 v[146:149], off, off offset:736
	v_fmac_f64_e32 v[188:189], v[140:141], v[150:151]
	v_fma_f64 v[150:151], v[138:139], v[150:151], -v[152:153]
	scratch_load_b128 v[138:141], off, off offset:752
	s_wait_loadcnt_dscnt 0xc01
	v_mul_f64_e32 v[192:193], v[4:5], v[156:157]
	v_mul_f64_e32 v[156:157], v[6:7], v[156:157]
	v_add_f64_e32 v[152:153], v[196:197], v[194:195]
	v_add_f64_e32 v[186:187], v[186:187], v[190:191]
	s_wait_loadcnt_dscnt 0xb00
	v_mul_f64_e32 v[190:191], v[142:143], v[160:161]
	v_mul_f64_e32 v[160:161], v[144:145], v[160:161]
	v_fmac_f64_e32 v[192:193], v[6:7], v[154:155]
	v_fma_f64 v[194:195], v[4:5], v[154:155], -v[156:157]
	v_add_f64_e32 v[196:197], v[152:153], v[150:151]
	v_add_f64_e32 v[186:187], v[186:187], v[188:189]
	ds_load_b128 v[4:7], v2 offset:1536
	ds_load_b128 v[150:153], v2 offset:1552
	scratch_load_b128 v[154:157], off, off offset:768
	v_fmac_f64_e32 v[190:191], v[144:145], v[158:159]
	v_fma_f64 v[158:159], v[142:143], v[158:159], -v[160:161]
	scratch_load_b128 v[142:145], off, off offset:784
	s_wait_loadcnt_dscnt 0xc01
	v_mul_f64_e32 v[188:189], v[4:5], v[168:169]
	v_mul_f64_e32 v[168:169], v[6:7], v[168:169]
	;; [unrolled: 18-line block ×5, first 2 shown]
	v_add_f64_e32 v[180:181], v[196:197], v[194:195]
	v_add_f64_e32 v[186:187], v[186:187], v[192:193]
	s_wait_loadcnt_dscnt 0xa00
	v_mul_f64_e32 v[192:193], v[158:159], v[132:133]
	v_mul_f64_e32 v[132:133], v[160:161], v[132:133]
	v_fmac_f64_e32 v[188:189], v[6:7], v[162:163]
	v_fma_f64 v[194:195], v[4:5], v[162:163], -v[164:165]
	ds_load_b128 v[4:7], v2 offset:1664
	ds_load_b128 v[162:165], v2 offset:1680
	v_add_f64_e32 v[196:197], v[180:181], v[178:179]
	v_add_f64_e32 v[186:187], v[186:187], v[190:191]
	scratch_load_b128 v[178:181], off, off offset:896
	v_fmac_f64_e32 v[192:193], v[160:161], v[130:131]
	v_fma_f64 v[158:159], v[158:159], v[130:131], -v[132:133]
	scratch_load_b128 v[130:133], off, off offset:912
	s_wait_loadcnt_dscnt 0xb01
	v_mul_f64_e32 v[190:191], v[4:5], v[148:149]
	v_mul_f64_e32 v[148:149], v[6:7], v[148:149]
	v_add_f64_e32 v[160:161], v[196:197], v[194:195]
	v_add_f64_e32 v[186:187], v[186:187], v[188:189]
	s_wait_loadcnt_dscnt 0xa00
	v_mul_f64_e32 v[188:189], v[162:163], v[140:141]
	v_mul_f64_e32 v[140:141], v[164:165], v[140:141]
	v_fmac_f64_e32 v[190:191], v[6:7], v[146:147]
	v_fma_f64 v[194:195], v[4:5], v[146:147], -v[148:149]
	ds_load_b128 v[4:7], v2 offset:1696
	ds_load_b128 v[146:149], v2 offset:1712
	v_add_f64_e32 v[158:159], v[160:161], v[158:159]
	v_add_f64_e32 v[160:161], v[186:187], v[192:193]
	v_fmac_f64_e32 v[188:189], v[164:165], v[138:139]
	s_wait_loadcnt_dscnt 0x901
	v_mul_f64_e32 v[186:187], v[4:5], v[156:157]
	v_mul_f64_e32 v[156:157], v[6:7], v[156:157]
	v_fma_f64 v[138:139], v[162:163], v[138:139], -v[140:141]
	v_add_f64_e32 v[140:141], v[158:159], v[194:195]
	v_add_f64_e32 v[158:159], v[160:161], v[190:191]
	s_wait_loadcnt_dscnt 0x800
	v_mul_f64_e32 v[160:161], v[146:147], v[144:145]
	v_mul_f64_e32 v[144:145], v[148:149], v[144:145]
	v_fmac_f64_e32 v[186:187], v[6:7], v[154:155]
	v_fma_f64 v[154:155], v[4:5], v[154:155], -v[156:157]
	v_add_f64_e32 v[156:157], v[140:141], v[138:139]
	v_add_f64_e32 v[158:159], v[158:159], v[188:189]
	ds_load_b128 v[4:7], v2 offset:1728
	ds_load_b128 v[138:141], v2 offset:1744
	v_fmac_f64_e32 v[160:161], v[148:149], v[142:143]
	v_fma_f64 v[142:143], v[146:147], v[142:143], -v[144:145]
	s_wait_loadcnt_dscnt 0x701
	v_mul_f64_e32 v[162:163], v[4:5], v[168:169]
	v_mul_f64_e32 v[164:165], v[6:7], v[168:169]
	s_wait_loadcnt_dscnt 0x600
	v_mul_f64_e32 v[148:149], v[138:139], v[152:153]
	v_mul_f64_e32 v[152:153], v[140:141], v[152:153]
	v_add_f64_e32 v[144:145], v[156:157], v[154:155]
	v_add_f64_e32 v[146:147], v[158:159], v[186:187]
	v_fmac_f64_e32 v[162:163], v[6:7], v[166:167]
	v_fma_f64 v[154:155], v[4:5], v[166:167], -v[164:165]
	v_fmac_f64_e32 v[148:149], v[140:141], v[150:151]
	v_fma_f64 v[138:139], v[138:139], v[150:151], -v[152:153]
	v_add_f64_e32 v[156:157], v[144:145], v[142:143]
	v_add_f64_e32 v[146:147], v[146:147], v[160:161]
	ds_load_b128 v[4:7], v2 offset:1760
	ds_load_b128 v[142:145], v2 offset:1776
	s_wait_loadcnt_dscnt 0x501
	v_mul_f64_e32 v[158:159], v[4:5], v[184:185]
	v_mul_f64_e32 v[160:161], v[6:7], v[184:185]
	s_wait_loadcnt_dscnt 0x400
	v_mul_f64_e32 v[150:151], v[142:143], v[12:13]
	v_mul_f64_e32 v[12:13], v[144:145], v[12:13]
	v_add_f64_e32 v[140:141], v[156:157], v[154:155]
	v_add_f64_e32 v[146:147], v[146:147], v[162:163]
	v_fmac_f64_e32 v[158:159], v[6:7], v[182:183]
	v_fma_f64 v[152:153], v[4:5], v[182:183], -v[160:161]
	v_fmac_f64_e32 v[150:151], v[144:145], v[10:11]
	v_fma_f64 v[10:11], v[142:143], v[10:11], -v[12:13]
	v_add_f64_e32 v[154:155], v[140:141], v[138:139]
	v_add_f64_e32 v[146:147], v[146:147], v[148:149]
	ds_load_b128 v[4:7], v2 offset:1792
	ds_load_b128 v[138:141], v2 offset:1808
	;; [unrolled: 16-line block ×3, first 2 shown]
	s_wait_loadcnt_dscnt 0x101
	v_mul_f64_e32 v[2:3], v[4:5], v[180:181]
	v_mul_f64_e32 v[150:151], v[6:7], v[180:181]
	s_wait_loadcnt_dscnt 0x0
	v_mul_f64_e32 v[140:141], v[10:11], v[132:133]
	v_mul_f64_e32 v[132:133], v[12:13], v[132:133]
	v_add_f64_e32 v[136:137], v[152:153], v[146:147]
	v_add_f64_e32 v[138:139], v[142:143], v[148:149]
	v_fmac_f64_e32 v[2:3], v[6:7], v[178:179]
	v_fma_f64 v[4:5], v[4:5], v[178:179], -v[150:151]
	v_fmac_f64_e32 v[140:141], v[12:13], v[130:131]
	v_fma_f64 v[10:11], v[10:11], v[130:131], -v[132:133]
	v_add_f64_e32 v[6:7], v[136:137], v[134:135]
	v_add_f64_e32 v[134:135], v[138:139], v[144:145]
	s_delay_alu instid0(VALU_DEP_2) | instskip(NEXT) | instid1(VALU_DEP_2)
	v_add_f64_e32 v[4:5], v[6:7], v[4:5]
	v_add_f64_e32 v[2:3], v[134:135], v[2:3]
	s_delay_alu instid0(VALU_DEP_2) | instskip(NEXT) | instid1(VALU_DEP_2)
	;; [unrolled: 3-line block ×3, first 2 shown]
	v_add_f64_e64 v[2:3], v[174:175], -v[4:5]
	v_add_f64_e64 v[4:5], v[176:177], -v[6:7]
	scratch_store_b128 off, v[2:5], off offset:432
	s_wait_xcnt 0x0
	v_cmpx_lt_u32_e32 26, v1
	s_cbranch_execz .LBB57_309
; %bb.308:
	scratch_load_b128 v[2:5], off, s45
	v_mov_b32_e32 v10, 0
	s_delay_alu instid0(VALU_DEP_1)
	v_dual_mov_b32 v11, v10 :: v_dual_mov_b32 v12, v10
	v_mov_b32_e32 v13, v10
	scratch_store_b128 off, v[10:13], off offset:416
	s_wait_loadcnt 0x0
	ds_store_b128 v8, v[2:5]
.LBB57_309:
	s_wait_xcnt 0x0
	s_or_b32 exec_lo, exec_lo, s2
	s_wait_storecnt_dscnt 0x0
	s_barrier_signal -1
	s_barrier_wait -1
	s_clause 0x9
	scratch_load_b128 v[4:7], off, off offset:432
	scratch_load_b128 v[10:13], off, off offset:448
	;; [unrolled: 1-line block ×10, first 2 shown]
	v_mov_b32_e32 v2, 0
	s_mov_b32 s2, exec_lo
	ds_load_b128 v[162:165], v2 offset:1360
	s_clause 0x2
	scratch_load_b128 v[166:169], off, off offset:592
	scratch_load_b128 v[170:173], off, off offset:416
	;; [unrolled: 1-line block ×3, first 2 shown]
	s_wait_loadcnt_dscnt 0xc00
	v_mul_f64_e32 v[182:183], v[164:165], v[6:7]
	v_mul_f64_e32 v[186:187], v[162:163], v[6:7]
	ds_load_b128 v[174:177], v2 offset:1376
	v_fma_f64 v[190:191], v[162:163], v[4:5], -v[182:183]
	v_fmac_f64_e32 v[186:187], v[164:165], v[4:5]
	ds_load_b128 v[4:7], v2 offset:1392
	s_wait_loadcnt_dscnt 0xb01
	v_mul_f64_e32 v[188:189], v[174:175], v[12:13]
	v_mul_f64_e32 v[12:13], v[176:177], v[12:13]
	scratch_load_b128 v[162:165], off, off offset:624
	ds_load_b128 v[182:185], v2 offset:1408
	s_wait_loadcnt_dscnt 0xb01
	v_mul_f64_e32 v[192:193], v[4:5], v[132:133]
	v_mul_f64_e32 v[132:133], v[6:7], v[132:133]
	v_add_f64_e32 v[186:187], 0, v[186:187]
	v_fmac_f64_e32 v[188:189], v[176:177], v[10:11]
	v_fma_f64 v[174:175], v[174:175], v[10:11], -v[12:13]
	v_add_f64_e32 v[176:177], 0, v[190:191]
	scratch_load_b128 v[10:13], off, off offset:640
	v_fmac_f64_e32 v[192:193], v[6:7], v[130:131]
	v_fma_f64 v[194:195], v[4:5], v[130:131], -v[132:133]
	ds_load_b128 v[4:7], v2 offset:1424
	s_wait_loadcnt_dscnt 0xb01
	v_mul_f64_e32 v[190:191], v[182:183], v[136:137]
	v_mul_f64_e32 v[136:137], v[184:185], v[136:137]
	scratch_load_b128 v[130:133], off, off offset:656
	v_add_f64_e32 v[186:187], v[186:187], v[188:189]
	v_add_f64_e32 v[196:197], v[176:177], v[174:175]
	ds_load_b128 v[174:177], v2 offset:1440
	s_wait_loadcnt_dscnt 0xb01
	v_mul_f64_e32 v[188:189], v[4:5], v[140:141]
	v_mul_f64_e32 v[140:141], v[6:7], v[140:141]
	v_fmac_f64_e32 v[190:191], v[184:185], v[134:135]
	v_fma_f64 v[182:183], v[182:183], v[134:135], -v[136:137]
	scratch_load_b128 v[134:137], off, off offset:672
	v_add_f64_e32 v[186:187], v[186:187], v[192:193]
	v_add_f64_e32 v[184:185], v[196:197], v[194:195]
	v_fmac_f64_e32 v[188:189], v[6:7], v[138:139]
	v_fma_f64 v[194:195], v[4:5], v[138:139], -v[140:141]
	ds_load_b128 v[4:7], v2 offset:1456
	s_wait_loadcnt_dscnt 0xb01
	v_mul_f64_e32 v[192:193], v[174:175], v[144:145]
	v_mul_f64_e32 v[144:145], v[176:177], v[144:145]
	scratch_load_b128 v[138:141], off, off offset:688
	v_add_f64_e32 v[186:187], v[186:187], v[190:191]
	s_wait_loadcnt_dscnt 0xb00
	v_mul_f64_e32 v[190:191], v[4:5], v[148:149]
	v_add_f64_e32 v[196:197], v[184:185], v[182:183]
	v_mul_f64_e32 v[148:149], v[6:7], v[148:149]
	ds_load_b128 v[182:185], v2 offset:1472
	v_fmac_f64_e32 v[192:193], v[176:177], v[142:143]
	v_fma_f64 v[174:175], v[174:175], v[142:143], -v[144:145]
	scratch_load_b128 v[142:145], off, off offset:704
	v_add_f64_e32 v[186:187], v[186:187], v[188:189]
	v_fmac_f64_e32 v[190:191], v[6:7], v[146:147]
	v_add_f64_e32 v[176:177], v[196:197], v[194:195]
	v_fma_f64 v[194:195], v[4:5], v[146:147], -v[148:149]
	ds_load_b128 v[4:7], v2 offset:1488
	s_wait_loadcnt_dscnt 0xb01
	v_mul_f64_e32 v[188:189], v[182:183], v[152:153]
	v_mul_f64_e32 v[152:153], v[184:185], v[152:153]
	scratch_load_b128 v[146:149], off, off offset:720
	v_add_f64_e32 v[186:187], v[186:187], v[192:193]
	s_wait_loadcnt_dscnt 0xb00
	v_mul_f64_e32 v[192:193], v[4:5], v[156:157]
	v_add_f64_e32 v[196:197], v[176:177], v[174:175]
	v_mul_f64_e32 v[156:157], v[6:7], v[156:157]
	ds_load_b128 v[174:177], v2 offset:1504
	v_fmac_f64_e32 v[188:189], v[184:185], v[150:151]
	v_fma_f64 v[182:183], v[182:183], v[150:151], -v[152:153]
	scratch_load_b128 v[150:153], off, off offset:736
	v_add_f64_e32 v[186:187], v[186:187], v[190:191]
	v_fmac_f64_e32 v[192:193], v[6:7], v[154:155]
	v_add_f64_e32 v[184:185], v[196:197], v[194:195]
	;; [unrolled: 18-line block ×3, first 2 shown]
	v_fma_f64 v[194:195], v[4:5], v[166:167], -v[168:169]
	ds_load_b128 v[4:7], v2 offset:1552
	s_wait_loadcnt_dscnt 0xa01
	v_mul_f64_e32 v[192:193], v[182:183], v[180:181]
	v_mul_f64_e32 v[180:181], v[184:185], v[180:181]
	scratch_load_b128 v[166:169], off, off offset:784
	v_add_f64_e32 v[186:187], v[186:187], v[190:191]
	v_add_f64_e32 v[196:197], v[176:177], v[174:175]
	s_wait_loadcnt_dscnt 0xa00
	v_mul_f64_e32 v[190:191], v[4:5], v[164:165]
	v_mul_f64_e32 v[164:165], v[6:7], v[164:165]
	v_fmac_f64_e32 v[192:193], v[184:185], v[178:179]
	v_fma_f64 v[182:183], v[182:183], v[178:179], -v[180:181]
	ds_load_b128 v[174:177], v2 offset:1568
	scratch_load_b128 v[178:181], off, off offset:800
	v_add_f64_e32 v[186:187], v[186:187], v[188:189]
	v_add_f64_e32 v[184:185], v[196:197], v[194:195]
	v_fmac_f64_e32 v[190:191], v[6:7], v[162:163]
	v_fma_f64 v[194:195], v[4:5], v[162:163], -v[164:165]
	ds_load_b128 v[4:7], v2 offset:1584
	s_wait_loadcnt_dscnt 0xa01
	v_mul_f64_e32 v[188:189], v[174:175], v[12:13]
	v_mul_f64_e32 v[12:13], v[176:177], v[12:13]
	scratch_load_b128 v[162:165], off, off offset:816
	v_add_f64_e32 v[186:187], v[186:187], v[192:193]
	s_wait_loadcnt_dscnt 0xa00
	v_mul_f64_e32 v[192:193], v[4:5], v[132:133]
	v_add_f64_e32 v[196:197], v[184:185], v[182:183]
	v_mul_f64_e32 v[132:133], v[6:7], v[132:133]
	ds_load_b128 v[182:185], v2 offset:1600
	v_fmac_f64_e32 v[188:189], v[176:177], v[10:11]
	v_fma_f64 v[174:175], v[174:175], v[10:11], -v[12:13]
	scratch_load_b128 v[10:13], off, off offset:832
	v_add_f64_e32 v[186:187], v[186:187], v[190:191]
	v_fmac_f64_e32 v[192:193], v[6:7], v[130:131]
	v_add_f64_e32 v[176:177], v[196:197], v[194:195]
	v_fma_f64 v[194:195], v[4:5], v[130:131], -v[132:133]
	ds_load_b128 v[4:7], v2 offset:1616
	s_wait_loadcnt_dscnt 0xa01
	v_mul_f64_e32 v[190:191], v[182:183], v[136:137]
	v_mul_f64_e32 v[136:137], v[184:185], v[136:137]
	scratch_load_b128 v[130:133], off, off offset:848
	v_add_f64_e32 v[186:187], v[186:187], v[188:189]
	s_wait_loadcnt_dscnt 0xa00
	v_mul_f64_e32 v[188:189], v[4:5], v[140:141]
	v_add_f64_e32 v[196:197], v[176:177], v[174:175]
	v_mul_f64_e32 v[140:141], v[6:7], v[140:141]
	ds_load_b128 v[174:177], v2 offset:1632
	v_fmac_f64_e32 v[190:191], v[184:185], v[134:135]
	v_fma_f64 v[182:183], v[182:183], v[134:135], -v[136:137]
	scratch_load_b128 v[134:137], off, off offset:864
	v_add_f64_e32 v[186:187], v[186:187], v[192:193]
	v_fmac_f64_e32 v[188:189], v[6:7], v[138:139]
	v_add_f64_e32 v[184:185], v[196:197], v[194:195]
	;; [unrolled: 18-line block ×3, first 2 shown]
	v_fma_f64 v[194:195], v[4:5], v[146:147], -v[148:149]
	ds_load_b128 v[4:7], v2 offset:1680
	s_wait_loadcnt_dscnt 0xa01
	v_mul_f64_e32 v[188:189], v[182:183], v[152:153]
	v_mul_f64_e32 v[152:153], v[184:185], v[152:153]
	scratch_load_b128 v[146:149], off, off offset:912
	v_add_f64_e32 v[186:187], v[186:187], v[192:193]
	s_wait_loadcnt_dscnt 0xa00
	v_mul_f64_e32 v[192:193], v[4:5], v[156:157]
	v_add_f64_e32 v[196:197], v[176:177], v[174:175]
	v_mul_f64_e32 v[156:157], v[6:7], v[156:157]
	ds_load_b128 v[174:177], v2 offset:1696
	v_fmac_f64_e32 v[188:189], v[184:185], v[150:151]
	v_fma_f64 v[150:151], v[182:183], v[150:151], -v[152:153]
	s_wait_loadcnt_dscnt 0x900
	v_mul_f64_e32 v[184:185], v[174:175], v[160:161]
	v_mul_f64_e32 v[160:161], v[176:177], v[160:161]
	v_add_f64_e32 v[182:183], v[186:187], v[190:191]
	v_fmac_f64_e32 v[192:193], v[6:7], v[154:155]
	v_add_f64_e32 v[152:153], v[196:197], v[194:195]
	v_fma_f64 v[154:155], v[4:5], v[154:155], -v[156:157]
	v_fmac_f64_e32 v[184:185], v[176:177], v[158:159]
	v_fma_f64 v[158:159], v[174:175], v[158:159], -v[160:161]
	v_add_f64_e32 v[182:183], v[182:183], v[188:189]
	v_add_f64_e32 v[156:157], v[152:153], v[150:151]
	ds_load_b128 v[4:7], v2 offset:1712
	ds_load_b128 v[150:153], v2 offset:1728
	s_wait_loadcnt_dscnt 0x801
	v_mul_f64_e32 v[186:187], v[4:5], v[168:169]
	v_mul_f64_e32 v[168:169], v[6:7], v[168:169]
	s_wait_loadcnt_dscnt 0x700
	v_mul_f64_e32 v[160:161], v[150:151], v[180:181]
	v_mul_f64_e32 v[174:175], v[152:153], v[180:181]
	v_add_f64_e32 v[154:155], v[156:157], v[154:155]
	v_add_f64_e32 v[156:157], v[182:183], v[192:193]
	v_fmac_f64_e32 v[186:187], v[6:7], v[166:167]
	v_fma_f64 v[166:167], v[4:5], v[166:167], -v[168:169]
	v_fmac_f64_e32 v[160:161], v[152:153], v[178:179]
	v_fma_f64 v[150:151], v[150:151], v[178:179], -v[174:175]
	v_add_f64_e32 v[158:159], v[154:155], v[158:159]
	v_add_f64_e32 v[168:169], v[156:157], v[184:185]
	ds_load_b128 v[4:7], v2 offset:1744
	ds_load_b128 v[154:157], v2 offset:1760
	s_wait_loadcnt_dscnt 0x601
	v_mul_f64_e32 v[176:177], v[4:5], v[164:165]
	v_mul_f64_e32 v[164:165], v[6:7], v[164:165]
	v_add_f64_e32 v[152:153], v[158:159], v[166:167]
	v_add_f64_e32 v[158:159], v[168:169], v[186:187]
	s_wait_loadcnt_dscnt 0x500
	v_mul_f64_e32 v[166:167], v[154:155], v[12:13]
	v_mul_f64_e32 v[12:13], v[156:157], v[12:13]
	v_fmac_f64_e32 v[176:177], v[6:7], v[162:163]
	v_fma_f64 v[162:163], v[4:5], v[162:163], -v[164:165]
	v_add_f64_e32 v[164:165], v[152:153], v[150:151]
	v_add_f64_e32 v[158:159], v[158:159], v[160:161]
	ds_load_b128 v[4:7], v2 offset:1776
	ds_load_b128 v[150:153], v2 offset:1792
	v_fmac_f64_e32 v[166:167], v[156:157], v[10:11]
	v_fma_f64 v[10:11], v[154:155], v[10:11], -v[12:13]
	s_wait_loadcnt_dscnt 0x401
	v_mul_f64_e32 v[160:161], v[4:5], v[132:133]
	v_mul_f64_e32 v[132:133], v[6:7], v[132:133]
	s_wait_loadcnt_dscnt 0x300
	v_mul_f64_e32 v[156:157], v[150:151], v[136:137]
	v_mul_f64_e32 v[136:137], v[152:153], v[136:137]
	v_add_f64_e32 v[12:13], v[164:165], v[162:163]
	v_add_f64_e32 v[154:155], v[158:159], v[176:177]
	v_fmac_f64_e32 v[160:161], v[6:7], v[130:131]
	v_fma_f64 v[130:131], v[4:5], v[130:131], -v[132:133]
	v_fmac_f64_e32 v[156:157], v[152:153], v[134:135]
	v_fma_f64 v[134:135], v[150:151], v[134:135], -v[136:137]
	v_add_f64_e32 v[132:133], v[12:13], v[10:11]
	v_add_f64_e32 v[154:155], v[154:155], v[166:167]
	ds_load_b128 v[4:7], v2 offset:1808
	ds_load_b128 v[10:13], v2 offset:1824
	s_wait_loadcnt_dscnt 0x201
	v_mul_f64_e32 v[158:159], v[4:5], v[140:141]
	v_mul_f64_e32 v[140:141], v[6:7], v[140:141]
	s_wait_loadcnt_dscnt 0x100
	v_mul_f64_e32 v[136:137], v[10:11], v[144:145]
	v_mul_f64_e32 v[144:145], v[12:13], v[144:145]
	v_add_f64_e32 v[130:131], v[132:133], v[130:131]
	v_add_f64_e32 v[132:133], v[154:155], v[160:161]
	v_fmac_f64_e32 v[158:159], v[6:7], v[138:139]
	v_fma_f64 v[138:139], v[4:5], v[138:139], -v[140:141]
	ds_load_b128 v[4:7], v2 offset:1840
	v_fmac_f64_e32 v[136:137], v[12:13], v[142:143]
	v_fma_f64 v[10:11], v[10:11], v[142:143], -v[144:145]
	v_add_f64_e32 v[130:131], v[130:131], v[134:135]
	v_add_f64_e32 v[132:133], v[132:133], v[156:157]
	s_wait_loadcnt_dscnt 0x0
	v_mul_f64_e32 v[134:135], v[4:5], v[148:149]
	v_mul_f64_e32 v[140:141], v[6:7], v[148:149]
	s_delay_alu instid0(VALU_DEP_4) | instskip(NEXT) | instid1(VALU_DEP_4)
	v_add_f64_e32 v[12:13], v[130:131], v[138:139]
	v_add_f64_e32 v[130:131], v[132:133], v[158:159]
	s_delay_alu instid0(VALU_DEP_4) | instskip(NEXT) | instid1(VALU_DEP_4)
	v_fmac_f64_e32 v[134:135], v[6:7], v[146:147]
	v_fma_f64 v[4:5], v[4:5], v[146:147], -v[140:141]
	s_delay_alu instid0(VALU_DEP_4) | instskip(NEXT) | instid1(VALU_DEP_4)
	v_add_f64_e32 v[6:7], v[12:13], v[10:11]
	v_add_f64_e32 v[10:11], v[130:131], v[136:137]
	s_delay_alu instid0(VALU_DEP_2) | instskip(NEXT) | instid1(VALU_DEP_2)
	v_add_f64_e32 v[4:5], v[6:7], v[4:5]
	v_add_f64_e32 v[6:7], v[10:11], v[134:135]
	s_delay_alu instid0(VALU_DEP_2) | instskip(NEXT) | instid1(VALU_DEP_2)
	v_add_f64_e64 v[4:5], v[170:171], -v[4:5]
	v_add_f64_e64 v[6:7], v[172:173], -v[6:7]
	scratch_store_b128 off, v[4:7], off offset:416
	s_wait_xcnt 0x0
	v_cmpx_lt_u32_e32 25, v1
	s_cbranch_execz .LBB57_311
; %bb.310:
	scratch_load_b128 v[10:13], off, s43
	v_dual_mov_b32 v3, v2 :: v_dual_mov_b32 v4, v2
	v_mov_b32_e32 v5, v2
	scratch_store_b128 off, v[2:5], off offset:400
	s_wait_loadcnt 0x0
	ds_store_b128 v8, v[10:13]
.LBB57_311:
	s_wait_xcnt 0x0
	s_or_b32 exec_lo, exec_lo, s2
	s_wait_storecnt_dscnt 0x0
	s_barrier_signal -1
	s_barrier_wait -1
	s_clause 0x9
	scratch_load_b128 v[4:7], off, off offset:416
	scratch_load_b128 v[10:13], off, off offset:432
	;; [unrolled: 1-line block ×10, first 2 shown]
	ds_load_b128 v[162:165], v2 offset:1344
	ds_load_b128 v[170:173], v2 offset:1360
	s_clause 0x2
	scratch_load_b128 v[166:169], off, off offset:576
	scratch_load_b128 v[174:177], off, off offset:400
	;; [unrolled: 1-line block ×3, first 2 shown]
	s_mov_b32 s2, exec_lo
	s_wait_loadcnt_dscnt 0xc01
	v_mul_f64_e32 v[182:183], v[164:165], v[6:7]
	v_mul_f64_e32 v[186:187], v[162:163], v[6:7]
	s_wait_loadcnt_dscnt 0xb00
	v_mul_f64_e32 v[188:189], v[170:171], v[12:13]
	v_mul_f64_e32 v[12:13], v[172:173], v[12:13]
	s_delay_alu instid0(VALU_DEP_4) | instskip(NEXT) | instid1(VALU_DEP_4)
	v_fma_f64 v[190:191], v[162:163], v[4:5], -v[182:183]
	v_fmac_f64_e32 v[186:187], v[164:165], v[4:5]
	ds_load_b128 v[4:7], v2 offset:1376
	ds_load_b128 v[162:165], v2 offset:1392
	scratch_load_b128 v[182:185], off, off offset:608
	v_fmac_f64_e32 v[188:189], v[172:173], v[10:11]
	v_fma_f64 v[170:171], v[170:171], v[10:11], -v[12:13]
	scratch_load_b128 v[10:13], off, off offset:624
	s_wait_loadcnt_dscnt 0xc01
	v_mul_f64_e32 v[192:193], v[4:5], v[132:133]
	v_mul_f64_e32 v[132:133], v[6:7], v[132:133]
	v_add_f64_e32 v[172:173], 0, v[190:191]
	v_add_f64_e32 v[186:187], 0, v[186:187]
	s_wait_loadcnt_dscnt 0xb00
	v_mul_f64_e32 v[190:191], v[162:163], v[136:137]
	v_mul_f64_e32 v[136:137], v[164:165], v[136:137]
	v_fmac_f64_e32 v[192:193], v[6:7], v[130:131]
	v_fma_f64 v[194:195], v[4:5], v[130:131], -v[132:133]
	ds_load_b128 v[4:7], v2 offset:1408
	ds_load_b128 v[130:133], v2 offset:1424
	v_add_f64_e32 v[196:197], v[172:173], v[170:171]
	v_add_f64_e32 v[186:187], v[186:187], v[188:189]
	scratch_load_b128 v[170:173], off, off offset:640
	v_fmac_f64_e32 v[190:191], v[164:165], v[134:135]
	v_fma_f64 v[162:163], v[162:163], v[134:135], -v[136:137]
	scratch_load_b128 v[134:137], off, off offset:656
	s_wait_loadcnt_dscnt 0xc01
	v_mul_f64_e32 v[188:189], v[4:5], v[140:141]
	v_mul_f64_e32 v[140:141], v[6:7], v[140:141]
	v_add_f64_e32 v[164:165], v[196:197], v[194:195]
	v_add_f64_e32 v[186:187], v[186:187], v[192:193]
	s_wait_loadcnt_dscnt 0xb00
	v_mul_f64_e32 v[192:193], v[130:131], v[144:145]
	v_mul_f64_e32 v[144:145], v[132:133], v[144:145]
	v_fmac_f64_e32 v[188:189], v[6:7], v[138:139]
	v_fma_f64 v[194:195], v[4:5], v[138:139], -v[140:141]
	ds_load_b128 v[4:7], v2 offset:1440
	ds_load_b128 v[138:141], v2 offset:1456
	v_add_f64_e32 v[196:197], v[164:165], v[162:163]
	v_add_f64_e32 v[186:187], v[186:187], v[190:191]
	scratch_load_b128 v[162:165], off, off offset:672
	s_wait_loadcnt_dscnt 0xb01
	v_mul_f64_e32 v[190:191], v[4:5], v[148:149]
	v_mul_f64_e32 v[148:149], v[6:7], v[148:149]
	v_fmac_f64_e32 v[192:193], v[132:133], v[142:143]
	v_fma_f64 v[142:143], v[130:131], v[142:143], -v[144:145]
	scratch_load_b128 v[130:133], off, off offset:688
	v_add_f64_e32 v[144:145], v[196:197], v[194:195]
	v_add_f64_e32 v[186:187], v[186:187], v[188:189]
	s_wait_loadcnt_dscnt 0xb00
	v_mul_f64_e32 v[188:189], v[138:139], v[152:153]
	v_mul_f64_e32 v[152:153], v[140:141], v[152:153]
	v_fmac_f64_e32 v[190:191], v[6:7], v[146:147]
	v_fma_f64 v[194:195], v[4:5], v[146:147], -v[148:149]
	v_add_f64_e32 v[196:197], v[144:145], v[142:143]
	v_add_f64_e32 v[186:187], v[186:187], v[192:193]
	ds_load_b128 v[4:7], v2 offset:1472
	ds_load_b128 v[142:145], v2 offset:1488
	scratch_load_b128 v[146:149], off, off offset:704
	v_fmac_f64_e32 v[188:189], v[140:141], v[150:151]
	v_fma_f64 v[150:151], v[138:139], v[150:151], -v[152:153]
	scratch_load_b128 v[138:141], off, off offset:720
	s_wait_loadcnt_dscnt 0xc01
	v_mul_f64_e32 v[192:193], v[4:5], v[156:157]
	v_mul_f64_e32 v[156:157], v[6:7], v[156:157]
	v_add_f64_e32 v[152:153], v[196:197], v[194:195]
	v_add_f64_e32 v[186:187], v[186:187], v[190:191]
	s_wait_loadcnt_dscnt 0xb00
	v_mul_f64_e32 v[190:191], v[142:143], v[160:161]
	v_mul_f64_e32 v[160:161], v[144:145], v[160:161]
	v_fmac_f64_e32 v[192:193], v[6:7], v[154:155]
	v_fma_f64 v[194:195], v[4:5], v[154:155], -v[156:157]
	v_add_f64_e32 v[196:197], v[152:153], v[150:151]
	v_add_f64_e32 v[186:187], v[186:187], v[188:189]
	ds_load_b128 v[4:7], v2 offset:1504
	ds_load_b128 v[150:153], v2 offset:1520
	scratch_load_b128 v[154:157], off, off offset:736
	v_fmac_f64_e32 v[190:191], v[144:145], v[158:159]
	v_fma_f64 v[158:159], v[142:143], v[158:159], -v[160:161]
	scratch_load_b128 v[142:145], off, off offset:752
	s_wait_loadcnt_dscnt 0xc01
	v_mul_f64_e32 v[188:189], v[4:5], v[168:169]
	v_mul_f64_e32 v[168:169], v[6:7], v[168:169]
	;; [unrolled: 18-line block ×5, first 2 shown]
	v_add_f64_e32 v[180:181], v[196:197], v[194:195]
	v_add_f64_e32 v[186:187], v[186:187], v[192:193]
	s_wait_loadcnt_dscnt 0xa00
	v_mul_f64_e32 v[192:193], v[158:159], v[132:133]
	v_mul_f64_e32 v[132:133], v[160:161], v[132:133]
	v_fmac_f64_e32 v[188:189], v[6:7], v[162:163]
	v_fma_f64 v[194:195], v[4:5], v[162:163], -v[164:165]
	ds_load_b128 v[4:7], v2 offset:1632
	ds_load_b128 v[162:165], v2 offset:1648
	v_add_f64_e32 v[196:197], v[180:181], v[178:179]
	v_add_f64_e32 v[186:187], v[186:187], v[190:191]
	scratch_load_b128 v[178:181], off, off offset:864
	v_fmac_f64_e32 v[192:193], v[160:161], v[130:131]
	v_fma_f64 v[158:159], v[158:159], v[130:131], -v[132:133]
	scratch_load_b128 v[130:133], off, off offset:880
	s_wait_loadcnt_dscnt 0xb01
	v_mul_f64_e32 v[190:191], v[4:5], v[148:149]
	v_mul_f64_e32 v[148:149], v[6:7], v[148:149]
	v_add_f64_e32 v[160:161], v[196:197], v[194:195]
	v_add_f64_e32 v[186:187], v[186:187], v[188:189]
	s_wait_loadcnt_dscnt 0xa00
	v_mul_f64_e32 v[188:189], v[162:163], v[140:141]
	v_mul_f64_e32 v[140:141], v[164:165], v[140:141]
	v_fmac_f64_e32 v[190:191], v[6:7], v[146:147]
	v_fma_f64 v[194:195], v[4:5], v[146:147], -v[148:149]
	ds_load_b128 v[4:7], v2 offset:1664
	ds_load_b128 v[146:149], v2 offset:1680
	v_add_f64_e32 v[196:197], v[160:161], v[158:159]
	v_add_f64_e32 v[186:187], v[186:187], v[192:193]
	scratch_load_b128 v[158:161], off, off offset:896
	s_wait_loadcnt_dscnt 0xa01
	v_mul_f64_e32 v[192:193], v[4:5], v[156:157]
	v_mul_f64_e32 v[156:157], v[6:7], v[156:157]
	v_fmac_f64_e32 v[188:189], v[164:165], v[138:139]
	v_fma_f64 v[162:163], v[162:163], v[138:139], -v[140:141]
	scratch_load_b128 v[138:141], off, off offset:912
	v_add_f64_e32 v[164:165], v[196:197], v[194:195]
	v_add_f64_e32 v[186:187], v[186:187], v[190:191]
	s_wait_loadcnt_dscnt 0xa00
	v_mul_f64_e32 v[190:191], v[146:147], v[144:145]
	v_mul_f64_e32 v[144:145], v[148:149], v[144:145]
	v_fmac_f64_e32 v[192:193], v[6:7], v[154:155]
	v_fma_f64 v[194:195], v[4:5], v[154:155], -v[156:157]
	ds_load_b128 v[4:7], v2 offset:1696
	ds_load_b128 v[154:157], v2 offset:1712
	v_add_f64_e32 v[162:163], v[164:165], v[162:163]
	v_add_f64_e32 v[164:165], v[186:187], v[188:189]
	v_fmac_f64_e32 v[190:191], v[148:149], v[142:143]
	s_wait_loadcnt_dscnt 0x901
	v_mul_f64_e32 v[186:187], v[4:5], v[168:169]
	v_mul_f64_e32 v[168:169], v[6:7], v[168:169]
	v_fma_f64 v[142:143], v[146:147], v[142:143], -v[144:145]
	s_wait_loadcnt_dscnt 0x800
	v_mul_f64_e32 v[148:149], v[154:155], v[152:153]
	v_mul_f64_e32 v[152:153], v[156:157], v[152:153]
	v_add_f64_e32 v[144:145], v[162:163], v[194:195]
	v_add_f64_e32 v[146:147], v[164:165], v[192:193]
	v_fmac_f64_e32 v[186:187], v[6:7], v[166:167]
	v_fma_f64 v[162:163], v[4:5], v[166:167], -v[168:169]
	v_fmac_f64_e32 v[148:149], v[156:157], v[150:151]
	v_fma_f64 v[150:151], v[154:155], v[150:151], -v[152:153]
	v_add_f64_e32 v[164:165], v[144:145], v[142:143]
	v_add_f64_e32 v[146:147], v[146:147], v[190:191]
	ds_load_b128 v[4:7], v2 offset:1728
	ds_load_b128 v[142:145], v2 offset:1744
	s_wait_loadcnt_dscnt 0x701
	v_mul_f64_e32 v[166:167], v[4:5], v[184:185]
	v_mul_f64_e32 v[168:169], v[6:7], v[184:185]
	s_wait_loadcnt_dscnt 0x600
	v_mul_f64_e32 v[154:155], v[142:143], v[12:13]
	v_mul_f64_e32 v[12:13], v[144:145], v[12:13]
	v_add_f64_e32 v[152:153], v[164:165], v[162:163]
	v_add_f64_e32 v[146:147], v[146:147], v[186:187]
	v_fmac_f64_e32 v[166:167], v[6:7], v[182:183]
	v_fma_f64 v[156:157], v[4:5], v[182:183], -v[168:169]
	v_fmac_f64_e32 v[154:155], v[144:145], v[10:11]
	v_fma_f64 v[10:11], v[142:143], v[10:11], -v[12:13]
	v_add_f64_e32 v[150:151], v[152:153], v[150:151]
	v_add_f64_e32 v[152:153], v[146:147], v[148:149]
	ds_load_b128 v[4:7], v2 offset:1760
	ds_load_b128 v[146:149], v2 offset:1776
	s_wait_loadcnt_dscnt 0x501
	v_mul_f64_e32 v[162:163], v[4:5], v[172:173]
	v_mul_f64_e32 v[164:165], v[6:7], v[172:173]
	;; [unrolled: 16-line block ×4, first 2 shown]
	v_add_f64_e32 v[12:13], v[136:137], v[150:151]
	v_add_f64_e32 v[130:131], v[142:143], v[154:155]
	s_wait_loadcnt_dscnt 0x0
	v_mul_f64_e32 v[136:137], v[132:133], v[140:141]
	v_mul_f64_e32 v[140:141], v[134:135], v[140:141]
	v_fmac_f64_e32 v[2:3], v[6:7], v[158:159]
	v_fma_f64 v[4:5], v[4:5], v[158:159], -v[144:145]
	v_add_f64_e32 v[6:7], v[12:13], v[10:11]
	v_add_f64_e32 v[10:11], v[130:131], v[146:147]
	v_fmac_f64_e32 v[136:137], v[134:135], v[138:139]
	v_fma_f64 v[12:13], v[132:133], v[138:139], -v[140:141]
	s_delay_alu instid0(VALU_DEP_4) | instskip(NEXT) | instid1(VALU_DEP_4)
	v_add_f64_e32 v[4:5], v[6:7], v[4:5]
	v_add_f64_e32 v[2:3], v[10:11], v[2:3]
	s_delay_alu instid0(VALU_DEP_2) | instskip(NEXT) | instid1(VALU_DEP_2)
	v_add_f64_e32 v[4:5], v[4:5], v[12:13]
	v_add_f64_e32 v[6:7], v[2:3], v[136:137]
	s_delay_alu instid0(VALU_DEP_2) | instskip(NEXT) | instid1(VALU_DEP_2)
	v_add_f64_e64 v[2:3], v[174:175], -v[4:5]
	v_add_f64_e64 v[4:5], v[176:177], -v[6:7]
	scratch_store_b128 off, v[2:5], off offset:400
	s_wait_xcnt 0x0
	v_cmpx_lt_u32_e32 24, v1
	s_cbranch_execz .LBB57_313
; %bb.312:
	scratch_load_b128 v[2:5], off, s40
	v_mov_b32_e32 v10, 0
	s_delay_alu instid0(VALU_DEP_1)
	v_dual_mov_b32 v11, v10 :: v_dual_mov_b32 v12, v10
	v_mov_b32_e32 v13, v10
	scratch_store_b128 off, v[10:13], off offset:384
	s_wait_loadcnt 0x0
	ds_store_b128 v8, v[2:5]
.LBB57_313:
	s_wait_xcnt 0x0
	s_or_b32 exec_lo, exec_lo, s2
	s_wait_storecnt_dscnt 0x0
	s_barrier_signal -1
	s_barrier_wait -1
	s_clause 0x9
	scratch_load_b128 v[4:7], off, off offset:400
	scratch_load_b128 v[10:13], off, off offset:416
	;; [unrolled: 1-line block ×10, first 2 shown]
	v_mov_b32_e32 v2, 0
	s_mov_b32 s2, exec_lo
	ds_load_b128 v[162:165], v2 offset:1328
	s_clause 0x2
	scratch_load_b128 v[166:169], off, off offset:560
	scratch_load_b128 v[170:173], off, off offset:384
	scratch_load_b128 v[178:181], off, off offset:576
	s_wait_loadcnt_dscnt 0xc00
	v_mul_f64_e32 v[182:183], v[164:165], v[6:7]
	v_mul_f64_e32 v[186:187], v[162:163], v[6:7]
	ds_load_b128 v[174:177], v2 offset:1344
	v_fma_f64 v[190:191], v[162:163], v[4:5], -v[182:183]
	v_fmac_f64_e32 v[186:187], v[164:165], v[4:5]
	ds_load_b128 v[4:7], v2 offset:1360
	s_wait_loadcnt_dscnt 0xb01
	v_mul_f64_e32 v[188:189], v[174:175], v[12:13]
	v_mul_f64_e32 v[12:13], v[176:177], v[12:13]
	scratch_load_b128 v[162:165], off, off offset:592
	ds_load_b128 v[182:185], v2 offset:1376
	s_wait_loadcnt_dscnt 0xb01
	v_mul_f64_e32 v[192:193], v[4:5], v[132:133]
	v_mul_f64_e32 v[132:133], v[6:7], v[132:133]
	v_add_f64_e32 v[186:187], 0, v[186:187]
	v_fmac_f64_e32 v[188:189], v[176:177], v[10:11]
	v_fma_f64 v[174:175], v[174:175], v[10:11], -v[12:13]
	v_add_f64_e32 v[176:177], 0, v[190:191]
	scratch_load_b128 v[10:13], off, off offset:608
	v_fmac_f64_e32 v[192:193], v[6:7], v[130:131]
	v_fma_f64 v[194:195], v[4:5], v[130:131], -v[132:133]
	ds_load_b128 v[4:7], v2 offset:1392
	s_wait_loadcnt_dscnt 0xb01
	v_mul_f64_e32 v[190:191], v[182:183], v[136:137]
	v_mul_f64_e32 v[136:137], v[184:185], v[136:137]
	scratch_load_b128 v[130:133], off, off offset:624
	v_add_f64_e32 v[186:187], v[186:187], v[188:189]
	v_add_f64_e32 v[196:197], v[176:177], v[174:175]
	ds_load_b128 v[174:177], v2 offset:1408
	s_wait_loadcnt_dscnt 0xb01
	v_mul_f64_e32 v[188:189], v[4:5], v[140:141]
	v_mul_f64_e32 v[140:141], v[6:7], v[140:141]
	v_fmac_f64_e32 v[190:191], v[184:185], v[134:135]
	v_fma_f64 v[182:183], v[182:183], v[134:135], -v[136:137]
	scratch_load_b128 v[134:137], off, off offset:640
	v_add_f64_e32 v[186:187], v[186:187], v[192:193]
	v_add_f64_e32 v[184:185], v[196:197], v[194:195]
	v_fmac_f64_e32 v[188:189], v[6:7], v[138:139]
	v_fma_f64 v[194:195], v[4:5], v[138:139], -v[140:141]
	ds_load_b128 v[4:7], v2 offset:1424
	s_wait_loadcnt_dscnt 0xb01
	v_mul_f64_e32 v[192:193], v[174:175], v[144:145]
	v_mul_f64_e32 v[144:145], v[176:177], v[144:145]
	scratch_load_b128 v[138:141], off, off offset:656
	v_add_f64_e32 v[186:187], v[186:187], v[190:191]
	s_wait_loadcnt_dscnt 0xb00
	v_mul_f64_e32 v[190:191], v[4:5], v[148:149]
	v_add_f64_e32 v[196:197], v[184:185], v[182:183]
	v_mul_f64_e32 v[148:149], v[6:7], v[148:149]
	ds_load_b128 v[182:185], v2 offset:1440
	v_fmac_f64_e32 v[192:193], v[176:177], v[142:143]
	v_fma_f64 v[174:175], v[174:175], v[142:143], -v[144:145]
	scratch_load_b128 v[142:145], off, off offset:672
	v_add_f64_e32 v[186:187], v[186:187], v[188:189]
	v_fmac_f64_e32 v[190:191], v[6:7], v[146:147]
	v_add_f64_e32 v[176:177], v[196:197], v[194:195]
	v_fma_f64 v[194:195], v[4:5], v[146:147], -v[148:149]
	ds_load_b128 v[4:7], v2 offset:1456
	s_wait_loadcnt_dscnt 0xb01
	v_mul_f64_e32 v[188:189], v[182:183], v[152:153]
	v_mul_f64_e32 v[152:153], v[184:185], v[152:153]
	scratch_load_b128 v[146:149], off, off offset:688
	v_add_f64_e32 v[186:187], v[186:187], v[192:193]
	s_wait_loadcnt_dscnt 0xb00
	v_mul_f64_e32 v[192:193], v[4:5], v[156:157]
	v_add_f64_e32 v[196:197], v[176:177], v[174:175]
	v_mul_f64_e32 v[156:157], v[6:7], v[156:157]
	ds_load_b128 v[174:177], v2 offset:1472
	v_fmac_f64_e32 v[188:189], v[184:185], v[150:151]
	v_fma_f64 v[182:183], v[182:183], v[150:151], -v[152:153]
	scratch_load_b128 v[150:153], off, off offset:704
	v_add_f64_e32 v[186:187], v[186:187], v[190:191]
	v_fmac_f64_e32 v[192:193], v[6:7], v[154:155]
	v_add_f64_e32 v[184:185], v[196:197], v[194:195]
	;; [unrolled: 18-line block ×3, first 2 shown]
	v_fma_f64 v[194:195], v[4:5], v[166:167], -v[168:169]
	ds_load_b128 v[4:7], v2 offset:1520
	s_wait_loadcnt_dscnt 0xa01
	v_mul_f64_e32 v[192:193], v[182:183], v[180:181]
	v_mul_f64_e32 v[180:181], v[184:185], v[180:181]
	scratch_load_b128 v[166:169], off, off offset:752
	v_add_f64_e32 v[186:187], v[186:187], v[190:191]
	v_add_f64_e32 v[196:197], v[176:177], v[174:175]
	s_wait_loadcnt_dscnt 0xa00
	v_mul_f64_e32 v[190:191], v[4:5], v[164:165]
	v_mul_f64_e32 v[164:165], v[6:7], v[164:165]
	v_fmac_f64_e32 v[192:193], v[184:185], v[178:179]
	v_fma_f64 v[182:183], v[182:183], v[178:179], -v[180:181]
	ds_load_b128 v[174:177], v2 offset:1536
	scratch_load_b128 v[178:181], off, off offset:768
	v_add_f64_e32 v[186:187], v[186:187], v[188:189]
	v_add_f64_e32 v[184:185], v[196:197], v[194:195]
	v_fmac_f64_e32 v[190:191], v[6:7], v[162:163]
	v_fma_f64 v[194:195], v[4:5], v[162:163], -v[164:165]
	ds_load_b128 v[4:7], v2 offset:1552
	s_wait_loadcnt_dscnt 0xa01
	v_mul_f64_e32 v[188:189], v[174:175], v[12:13]
	v_mul_f64_e32 v[12:13], v[176:177], v[12:13]
	scratch_load_b128 v[162:165], off, off offset:784
	v_add_f64_e32 v[186:187], v[186:187], v[192:193]
	s_wait_loadcnt_dscnt 0xa00
	v_mul_f64_e32 v[192:193], v[4:5], v[132:133]
	v_add_f64_e32 v[196:197], v[184:185], v[182:183]
	v_mul_f64_e32 v[132:133], v[6:7], v[132:133]
	ds_load_b128 v[182:185], v2 offset:1568
	v_fmac_f64_e32 v[188:189], v[176:177], v[10:11]
	v_fma_f64 v[174:175], v[174:175], v[10:11], -v[12:13]
	scratch_load_b128 v[10:13], off, off offset:800
	v_add_f64_e32 v[186:187], v[186:187], v[190:191]
	v_fmac_f64_e32 v[192:193], v[6:7], v[130:131]
	v_add_f64_e32 v[176:177], v[196:197], v[194:195]
	v_fma_f64 v[194:195], v[4:5], v[130:131], -v[132:133]
	ds_load_b128 v[4:7], v2 offset:1584
	s_wait_loadcnt_dscnt 0xa01
	v_mul_f64_e32 v[190:191], v[182:183], v[136:137]
	v_mul_f64_e32 v[136:137], v[184:185], v[136:137]
	scratch_load_b128 v[130:133], off, off offset:816
	v_add_f64_e32 v[186:187], v[186:187], v[188:189]
	s_wait_loadcnt_dscnt 0xa00
	v_mul_f64_e32 v[188:189], v[4:5], v[140:141]
	v_add_f64_e32 v[196:197], v[176:177], v[174:175]
	v_mul_f64_e32 v[140:141], v[6:7], v[140:141]
	ds_load_b128 v[174:177], v2 offset:1600
	v_fmac_f64_e32 v[190:191], v[184:185], v[134:135]
	v_fma_f64 v[182:183], v[182:183], v[134:135], -v[136:137]
	scratch_load_b128 v[134:137], off, off offset:832
	v_add_f64_e32 v[186:187], v[186:187], v[192:193]
	v_fmac_f64_e32 v[188:189], v[6:7], v[138:139]
	v_add_f64_e32 v[184:185], v[196:197], v[194:195]
	;; [unrolled: 18-line block ×4, first 2 shown]
	v_fma_f64 v[194:195], v[4:5], v[154:155], -v[156:157]
	ds_load_b128 v[4:7], v2 offset:1680
	s_wait_loadcnt_dscnt 0xa01
	v_mul_f64_e32 v[190:191], v[174:175], v[160:161]
	v_mul_f64_e32 v[160:161], v[176:177], v[160:161]
	scratch_load_b128 v[154:157], off, off offset:912
	v_add_f64_e32 v[186:187], v[186:187], v[188:189]
	s_wait_loadcnt_dscnt 0xa00
	v_mul_f64_e32 v[188:189], v[4:5], v[168:169]
	v_add_f64_e32 v[196:197], v[184:185], v[182:183]
	v_mul_f64_e32 v[168:169], v[6:7], v[168:169]
	ds_load_b128 v[182:185], v2 offset:1696
	v_fmac_f64_e32 v[190:191], v[176:177], v[158:159]
	v_fma_f64 v[158:159], v[174:175], v[158:159], -v[160:161]
	s_wait_loadcnt_dscnt 0x900
	v_mul_f64_e32 v[176:177], v[182:183], v[180:181]
	v_mul_f64_e32 v[180:181], v[184:185], v[180:181]
	v_add_f64_e32 v[174:175], v[186:187], v[192:193]
	v_fmac_f64_e32 v[188:189], v[6:7], v[166:167]
	v_add_f64_e32 v[160:161], v[196:197], v[194:195]
	v_fma_f64 v[166:167], v[4:5], v[166:167], -v[168:169]
	v_fmac_f64_e32 v[176:177], v[184:185], v[178:179]
	v_fma_f64 v[178:179], v[182:183], v[178:179], -v[180:181]
	v_add_f64_e32 v[174:175], v[174:175], v[190:191]
	v_add_f64_e32 v[168:169], v[160:161], v[158:159]
	ds_load_b128 v[4:7], v2 offset:1712
	ds_load_b128 v[158:161], v2 offset:1728
	s_wait_loadcnt_dscnt 0x801
	v_mul_f64_e32 v[186:187], v[4:5], v[164:165]
	v_mul_f64_e32 v[164:165], v[6:7], v[164:165]
	v_add_f64_e32 v[166:167], v[168:169], v[166:167]
	v_add_f64_e32 v[168:169], v[174:175], v[188:189]
	s_wait_loadcnt_dscnt 0x700
	v_mul_f64_e32 v[174:175], v[158:159], v[12:13]
	v_mul_f64_e32 v[12:13], v[160:161], v[12:13]
	v_fmac_f64_e32 v[186:187], v[6:7], v[162:163]
	v_fma_f64 v[180:181], v[4:5], v[162:163], -v[164:165]
	ds_load_b128 v[4:7], v2 offset:1744
	ds_load_b128 v[162:165], v2 offset:1760
	v_add_f64_e32 v[166:167], v[166:167], v[178:179]
	v_add_f64_e32 v[168:169], v[168:169], v[176:177]
	v_fmac_f64_e32 v[174:175], v[160:161], v[10:11]
	v_fma_f64 v[10:11], v[158:159], v[10:11], -v[12:13]
	s_wait_loadcnt_dscnt 0x601
	v_mul_f64_e32 v[176:177], v[4:5], v[132:133]
	v_mul_f64_e32 v[132:133], v[6:7], v[132:133]
	s_wait_loadcnt_dscnt 0x500
	v_mul_f64_e32 v[160:161], v[162:163], v[136:137]
	v_mul_f64_e32 v[136:137], v[164:165], v[136:137]
	v_add_f64_e32 v[12:13], v[166:167], v[180:181]
	v_add_f64_e32 v[158:159], v[168:169], v[186:187]
	v_fmac_f64_e32 v[176:177], v[6:7], v[130:131]
	v_fma_f64 v[130:131], v[4:5], v[130:131], -v[132:133]
	v_fmac_f64_e32 v[160:161], v[164:165], v[134:135]
	v_fma_f64 v[134:135], v[162:163], v[134:135], -v[136:137]
	v_add_f64_e32 v[132:133], v[12:13], v[10:11]
	v_add_f64_e32 v[158:159], v[158:159], v[174:175]
	ds_load_b128 v[4:7], v2 offset:1776
	ds_load_b128 v[10:13], v2 offset:1792
	s_wait_loadcnt_dscnt 0x401
	v_mul_f64_e32 v[166:167], v[4:5], v[140:141]
	v_mul_f64_e32 v[140:141], v[6:7], v[140:141]
	s_wait_loadcnt_dscnt 0x300
	v_mul_f64_e32 v[136:137], v[10:11], v[144:145]
	v_mul_f64_e32 v[144:145], v[12:13], v[144:145]
	v_add_f64_e32 v[130:131], v[132:133], v[130:131]
	v_add_f64_e32 v[132:133], v[158:159], v[176:177]
	v_fmac_f64_e32 v[166:167], v[6:7], v[138:139]
	v_fma_f64 v[138:139], v[4:5], v[138:139], -v[140:141]
	v_fmac_f64_e32 v[136:137], v[12:13], v[142:143]
	v_fma_f64 v[10:11], v[10:11], v[142:143], -v[144:145]
	v_add_f64_e32 v[134:135], v[130:131], v[134:135]
	v_add_f64_e32 v[140:141], v[132:133], v[160:161]
	ds_load_b128 v[4:7], v2 offset:1808
	ds_load_b128 v[130:133], v2 offset:1824
	s_wait_loadcnt_dscnt 0x201
	v_mul_f64_e32 v[158:159], v[4:5], v[148:149]
	v_mul_f64_e32 v[148:149], v[6:7], v[148:149]
	v_add_f64_e32 v[12:13], v[134:135], v[138:139]
	v_add_f64_e32 v[134:135], v[140:141], v[166:167]
	s_wait_loadcnt_dscnt 0x100
	v_mul_f64_e32 v[138:139], v[130:131], v[152:153]
	v_mul_f64_e32 v[140:141], v[132:133], v[152:153]
	v_fmac_f64_e32 v[158:159], v[6:7], v[146:147]
	v_fma_f64 v[142:143], v[4:5], v[146:147], -v[148:149]
	ds_load_b128 v[4:7], v2 offset:1840
	v_add_f64_e32 v[10:11], v[12:13], v[10:11]
	v_add_f64_e32 v[12:13], v[134:135], v[136:137]
	v_fmac_f64_e32 v[138:139], v[132:133], v[150:151]
	v_fma_f64 v[130:131], v[130:131], v[150:151], -v[140:141]
	s_wait_loadcnt_dscnt 0x0
	v_mul_f64_e32 v[134:135], v[4:5], v[156:157]
	v_mul_f64_e32 v[136:137], v[6:7], v[156:157]
	v_add_f64_e32 v[10:11], v[10:11], v[142:143]
	v_add_f64_e32 v[12:13], v[12:13], v[158:159]
	s_delay_alu instid0(VALU_DEP_4) | instskip(NEXT) | instid1(VALU_DEP_4)
	v_fmac_f64_e32 v[134:135], v[6:7], v[154:155]
	v_fma_f64 v[4:5], v[4:5], v[154:155], -v[136:137]
	s_delay_alu instid0(VALU_DEP_4) | instskip(NEXT) | instid1(VALU_DEP_4)
	v_add_f64_e32 v[6:7], v[10:11], v[130:131]
	v_add_f64_e32 v[10:11], v[12:13], v[138:139]
	s_delay_alu instid0(VALU_DEP_2) | instskip(NEXT) | instid1(VALU_DEP_2)
	v_add_f64_e32 v[4:5], v[6:7], v[4:5]
	v_add_f64_e32 v[6:7], v[10:11], v[134:135]
	s_delay_alu instid0(VALU_DEP_2) | instskip(NEXT) | instid1(VALU_DEP_2)
	v_add_f64_e64 v[4:5], v[170:171], -v[4:5]
	v_add_f64_e64 v[6:7], v[172:173], -v[6:7]
	scratch_store_b128 off, v[4:7], off offset:384
	s_wait_xcnt 0x0
	v_cmpx_lt_u32_e32 23, v1
	s_cbranch_execz .LBB57_315
; %bb.314:
	scratch_load_b128 v[10:13], off, s33
	v_dual_mov_b32 v3, v2 :: v_dual_mov_b32 v4, v2
	v_mov_b32_e32 v5, v2
	scratch_store_b128 off, v[2:5], off offset:368
	s_wait_loadcnt 0x0
	ds_store_b128 v8, v[10:13]
.LBB57_315:
	s_wait_xcnt 0x0
	s_or_b32 exec_lo, exec_lo, s2
	s_wait_storecnt_dscnt 0x0
	s_barrier_signal -1
	s_barrier_wait -1
	s_clause 0x9
	scratch_load_b128 v[4:7], off, off offset:384
	scratch_load_b128 v[10:13], off, off offset:400
	;; [unrolled: 1-line block ×10, first 2 shown]
	ds_load_b128 v[162:165], v2 offset:1312
	ds_load_b128 v[170:173], v2 offset:1328
	s_clause 0x2
	scratch_load_b128 v[166:169], off, off offset:544
	scratch_load_b128 v[174:177], off, off offset:368
	;; [unrolled: 1-line block ×3, first 2 shown]
	s_mov_b32 s2, exec_lo
	s_wait_loadcnt_dscnt 0xc01
	v_mul_f64_e32 v[182:183], v[164:165], v[6:7]
	v_mul_f64_e32 v[186:187], v[162:163], v[6:7]
	s_wait_loadcnt_dscnt 0xb00
	v_mul_f64_e32 v[188:189], v[170:171], v[12:13]
	v_mul_f64_e32 v[12:13], v[172:173], v[12:13]
	s_delay_alu instid0(VALU_DEP_4) | instskip(NEXT) | instid1(VALU_DEP_4)
	v_fma_f64 v[190:191], v[162:163], v[4:5], -v[182:183]
	v_fmac_f64_e32 v[186:187], v[164:165], v[4:5]
	ds_load_b128 v[4:7], v2 offset:1344
	ds_load_b128 v[162:165], v2 offset:1360
	scratch_load_b128 v[182:185], off, off offset:576
	v_fmac_f64_e32 v[188:189], v[172:173], v[10:11]
	v_fma_f64 v[170:171], v[170:171], v[10:11], -v[12:13]
	scratch_load_b128 v[10:13], off, off offset:592
	s_wait_loadcnt_dscnt 0xc01
	v_mul_f64_e32 v[192:193], v[4:5], v[132:133]
	v_mul_f64_e32 v[132:133], v[6:7], v[132:133]
	v_add_f64_e32 v[172:173], 0, v[190:191]
	v_add_f64_e32 v[186:187], 0, v[186:187]
	s_wait_loadcnt_dscnt 0xb00
	v_mul_f64_e32 v[190:191], v[162:163], v[136:137]
	v_mul_f64_e32 v[136:137], v[164:165], v[136:137]
	v_fmac_f64_e32 v[192:193], v[6:7], v[130:131]
	v_fma_f64 v[194:195], v[4:5], v[130:131], -v[132:133]
	ds_load_b128 v[4:7], v2 offset:1376
	ds_load_b128 v[130:133], v2 offset:1392
	v_add_f64_e32 v[196:197], v[172:173], v[170:171]
	v_add_f64_e32 v[186:187], v[186:187], v[188:189]
	scratch_load_b128 v[170:173], off, off offset:608
	v_fmac_f64_e32 v[190:191], v[164:165], v[134:135]
	v_fma_f64 v[162:163], v[162:163], v[134:135], -v[136:137]
	scratch_load_b128 v[134:137], off, off offset:624
	s_wait_loadcnt_dscnt 0xc01
	v_mul_f64_e32 v[188:189], v[4:5], v[140:141]
	v_mul_f64_e32 v[140:141], v[6:7], v[140:141]
	v_add_f64_e32 v[164:165], v[196:197], v[194:195]
	v_add_f64_e32 v[186:187], v[186:187], v[192:193]
	s_wait_loadcnt_dscnt 0xb00
	v_mul_f64_e32 v[192:193], v[130:131], v[144:145]
	v_mul_f64_e32 v[144:145], v[132:133], v[144:145]
	v_fmac_f64_e32 v[188:189], v[6:7], v[138:139]
	v_fma_f64 v[194:195], v[4:5], v[138:139], -v[140:141]
	ds_load_b128 v[4:7], v2 offset:1408
	ds_load_b128 v[138:141], v2 offset:1424
	v_add_f64_e32 v[196:197], v[164:165], v[162:163]
	v_add_f64_e32 v[186:187], v[186:187], v[190:191]
	scratch_load_b128 v[162:165], off, off offset:640
	s_wait_loadcnt_dscnt 0xb01
	v_mul_f64_e32 v[190:191], v[4:5], v[148:149]
	v_mul_f64_e32 v[148:149], v[6:7], v[148:149]
	v_fmac_f64_e32 v[192:193], v[132:133], v[142:143]
	v_fma_f64 v[142:143], v[130:131], v[142:143], -v[144:145]
	scratch_load_b128 v[130:133], off, off offset:656
	v_add_f64_e32 v[144:145], v[196:197], v[194:195]
	v_add_f64_e32 v[186:187], v[186:187], v[188:189]
	s_wait_loadcnt_dscnt 0xb00
	v_mul_f64_e32 v[188:189], v[138:139], v[152:153]
	v_mul_f64_e32 v[152:153], v[140:141], v[152:153]
	v_fmac_f64_e32 v[190:191], v[6:7], v[146:147]
	v_fma_f64 v[194:195], v[4:5], v[146:147], -v[148:149]
	v_add_f64_e32 v[196:197], v[144:145], v[142:143]
	v_add_f64_e32 v[186:187], v[186:187], v[192:193]
	ds_load_b128 v[4:7], v2 offset:1440
	ds_load_b128 v[142:145], v2 offset:1456
	scratch_load_b128 v[146:149], off, off offset:672
	v_fmac_f64_e32 v[188:189], v[140:141], v[150:151]
	v_fma_f64 v[150:151], v[138:139], v[150:151], -v[152:153]
	scratch_load_b128 v[138:141], off, off offset:688
	s_wait_loadcnt_dscnt 0xc01
	v_mul_f64_e32 v[192:193], v[4:5], v[156:157]
	v_mul_f64_e32 v[156:157], v[6:7], v[156:157]
	v_add_f64_e32 v[152:153], v[196:197], v[194:195]
	v_add_f64_e32 v[186:187], v[186:187], v[190:191]
	s_wait_loadcnt_dscnt 0xb00
	v_mul_f64_e32 v[190:191], v[142:143], v[160:161]
	v_mul_f64_e32 v[160:161], v[144:145], v[160:161]
	v_fmac_f64_e32 v[192:193], v[6:7], v[154:155]
	v_fma_f64 v[194:195], v[4:5], v[154:155], -v[156:157]
	v_add_f64_e32 v[196:197], v[152:153], v[150:151]
	v_add_f64_e32 v[186:187], v[186:187], v[188:189]
	ds_load_b128 v[4:7], v2 offset:1472
	ds_load_b128 v[150:153], v2 offset:1488
	scratch_load_b128 v[154:157], off, off offset:704
	v_fmac_f64_e32 v[190:191], v[144:145], v[158:159]
	v_fma_f64 v[158:159], v[142:143], v[158:159], -v[160:161]
	scratch_load_b128 v[142:145], off, off offset:720
	s_wait_loadcnt_dscnt 0xc01
	v_mul_f64_e32 v[188:189], v[4:5], v[168:169]
	v_mul_f64_e32 v[168:169], v[6:7], v[168:169]
	;; [unrolled: 18-line block ×5, first 2 shown]
	v_add_f64_e32 v[180:181], v[196:197], v[194:195]
	v_add_f64_e32 v[186:187], v[186:187], v[192:193]
	s_wait_loadcnt_dscnt 0xa00
	v_mul_f64_e32 v[192:193], v[158:159], v[132:133]
	v_mul_f64_e32 v[132:133], v[160:161], v[132:133]
	v_fmac_f64_e32 v[188:189], v[6:7], v[162:163]
	v_fma_f64 v[194:195], v[4:5], v[162:163], -v[164:165]
	ds_load_b128 v[4:7], v2 offset:1600
	ds_load_b128 v[162:165], v2 offset:1616
	v_add_f64_e32 v[196:197], v[180:181], v[178:179]
	v_add_f64_e32 v[186:187], v[186:187], v[190:191]
	scratch_load_b128 v[178:181], off, off offset:832
	v_fmac_f64_e32 v[192:193], v[160:161], v[130:131]
	v_fma_f64 v[158:159], v[158:159], v[130:131], -v[132:133]
	scratch_load_b128 v[130:133], off, off offset:848
	s_wait_loadcnt_dscnt 0xb01
	v_mul_f64_e32 v[190:191], v[4:5], v[148:149]
	v_mul_f64_e32 v[148:149], v[6:7], v[148:149]
	v_add_f64_e32 v[160:161], v[196:197], v[194:195]
	v_add_f64_e32 v[186:187], v[186:187], v[188:189]
	s_wait_loadcnt_dscnt 0xa00
	v_mul_f64_e32 v[188:189], v[162:163], v[140:141]
	v_mul_f64_e32 v[140:141], v[164:165], v[140:141]
	v_fmac_f64_e32 v[190:191], v[6:7], v[146:147]
	v_fma_f64 v[194:195], v[4:5], v[146:147], -v[148:149]
	ds_load_b128 v[4:7], v2 offset:1632
	ds_load_b128 v[146:149], v2 offset:1648
	v_add_f64_e32 v[196:197], v[160:161], v[158:159]
	v_add_f64_e32 v[186:187], v[186:187], v[192:193]
	scratch_load_b128 v[158:161], off, off offset:864
	s_wait_loadcnt_dscnt 0xa01
	v_mul_f64_e32 v[192:193], v[4:5], v[156:157]
	v_mul_f64_e32 v[156:157], v[6:7], v[156:157]
	v_fmac_f64_e32 v[188:189], v[164:165], v[138:139]
	v_fma_f64 v[162:163], v[162:163], v[138:139], -v[140:141]
	scratch_load_b128 v[138:141], off, off offset:880
	v_add_f64_e32 v[164:165], v[196:197], v[194:195]
	v_add_f64_e32 v[186:187], v[186:187], v[190:191]
	s_wait_loadcnt_dscnt 0xa00
	v_mul_f64_e32 v[190:191], v[146:147], v[144:145]
	v_mul_f64_e32 v[144:145], v[148:149], v[144:145]
	v_fmac_f64_e32 v[192:193], v[6:7], v[154:155]
	v_fma_f64 v[194:195], v[4:5], v[154:155], -v[156:157]
	ds_load_b128 v[4:7], v2 offset:1664
	ds_load_b128 v[154:157], v2 offset:1680
	v_add_f64_e32 v[196:197], v[164:165], v[162:163]
	v_add_f64_e32 v[186:187], v[186:187], v[188:189]
	scratch_load_b128 v[162:165], off, off offset:896
	s_wait_loadcnt_dscnt 0xa01
	v_mul_f64_e32 v[188:189], v[4:5], v[168:169]
	v_mul_f64_e32 v[168:169], v[6:7], v[168:169]
	v_fmac_f64_e32 v[190:191], v[148:149], v[142:143]
	v_fma_f64 v[146:147], v[146:147], v[142:143], -v[144:145]
	scratch_load_b128 v[142:145], off, off offset:912
	v_add_f64_e32 v[148:149], v[196:197], v[194:195]
	v_add_f64_e32 v[186:187], v[186:187], v[192:193]
	s_wait_loadcnt_dscnt 0xa00
	v_mul_f64_e32 v[192:193], v[154:155], v[152:153]
	v_mul_f64_e32 v[152:153], v[156:157], v[152:153]
	v_fmac_f64_e32 v[188:189], v[6:7], v[166:167]
	v_fma_f64 v[166:167], v[4:5], v[166:167], -v[168:169]
	v_add_f64_e32 v[168:169], v[148:149], v[146:147]
	v_add_f64_e32 v[186:187], v[186:187], v[190:191]
	ds_load_b128 v[4:7], v2 offset:1696
	ds_load_b128 v[146:149], v2 offset:1712
	v_fmac_f64_e32 v[192:193], v[156:157], v[150:151]
	v_fma_f64 v[150:151], v[154:155], v[150:151], -v[152:153]
	s_wait_loadcnt_dscnt 0x901
	v_mul_f64_e32 v[190:191], v[4:5], v[184:185]
	v_mul_f64_e32 v[184:185], v[6:7], v[184:185]
	s_wait_loadcnt_dscnt 0x800
	v_mul_f64_e32 v[156:157], v[146:147], v[12:13]
	v_mul_f64_e32 v[12:13], v[148:149], v[12:13]
	v_add_f64_e32 v[152:153], v[168:169], v[166:167]
	v_add_f64_e32 v[154:155], v[186:187], v[188:189]
	v_fmac_f64_e32 v[190:191], v[6:7], v[182:183]
	v_fma_f64 v[166:167], v[4:5], v[182:183], -v[184:185]
	v_fmac_f64_e32 v[156:157], v[148:149], v[10:11]
	v_fma_f64 v[10:11], v[146:147], v[10:11], -v[12:13]
	v_add_f64_e32 v[168:169], v[152:153], v[150:151]
	v_add_f64_e32 v[154:155], v[154:155], v[192:193]
	ds_load_b128 v[4:7], v2 offset:1728
	ds_load_b128 v[150:153], v2 offset:1744
	s_wait_loadcnt_dscnt 0x701
	v_mul_f64_e32 v[182:183], v[4:5], v[172:173]
	v_mul_f64_e32 v[172:173], v[6:7], v[172:173]
	s_wait_loadcnt_dscnt 0x600
	v_mul_f64_e32 v[148:149], v[150:151], v[136:137]
	v_mul_f64_e32 v[136:137], v[152:153], v[136:137]
	v_add_f64_e32 v[12:13], v[168:169], v[166:167]
	v_add_f64_e32 v[146:147], v[154:155], v[190:191]
	v_fmac_f64_e32 v[182:183], v[6:7], v[170:171]
	v_fma_f64 v[154:155], v[4:5], v[170:171], -v[172:173]
	v_fmac_f64_e32 v[148:149], v[152:153], v[134:135]
	v_fma_f64 v[134:135], v[150:151], v[134:135], -v[136:137]
	v_add_f64_e32 v[166:167], v[12:13], v[10:11]
	v_add_f64_e32 v[146:147], v[146:147], v[156:157]
	ds_load_b128 v[4:7], v2 offset:1760
	ds_load_b128 v[10:13], v2 offset:1776
	;; [unrolled: 16-line block ×3, first 2 shown]
	s_wait_loadcnt_dscnt 0x301
	v_mul_f64_e32 v[148:149], v[4:5], v[160:161]
	v_mul_f64_e32 v[160:161], v[6:7], v[160:161]
	v_add_f64_e32 v[12:13], v[136:137], v[154:155]
	v_add_f64_e32 v[130:131], v[146:147], v[156:157]
	s_wait_loadcnt_dscnt 0x200
	v_mul_f64_e32 v[136:137], v[132:133], v[140:141]
	v_mul_f64_e32 v[140:141], v[134:135], v[140:141]
	v_fmac_f64_e32 v[148:149], v[6:7], v[158:159]
	v_fma_f64 v[146:147], v[4:5], v[158:159], -v[160:161]
	v_add_f64_e32 v[152:153], v[12:13], v[10:11]
	v_add_f64_e32 v[130:131], v[130:131], v[150:151]
	ds_load_b128 v[4:7], v2 offset:1824
	ds_load_b128 v[10:13], v2 offset:1840
	v_fmac_f64_e32 v[136:137], v[134:135], v[138:139]
	v_fma_f64 v[132:133], v[132:133], v[138:139], -v[140:141]
	s_wait_loadcnt_dscnt 0x101
	v_mul_f64_e32 v[2:3], v[4:5], v[164:165]
	v_mul_f64_e32 v[150:151], v[6:7], v[164:165]
	s_wait_loadcnt_dscnt 0x0
	v_mul_f64_e32 v[138:139], v[10:11], v[144:145]
	v_mul_f64_e32 v[140:141], v[12:13], v[144:145]
	v_add_f64_e32 v[134:135], v[152:153], v[146:147]
	v_add_f64_e32 v[130:131], v[130:131], v[148:149]
	v_fmac_f64_e32 v[2:3], v[6:7], v[162:163]
	v_fma_f64 v[4:5], v[4:5], v[162:163], -v[150:151]
	v_fmac_f64_e32 v[138:139], v[12:13], v[142:143]
	v_fma_f64 v[10:11], v[10:11], v[142:143], -v[140:141]
	v_add_f64_e32 v[6:7], v[134:135], v[132:133]
	v_add_f64_e32 v[130:131], v[130:131], v[136:137]
	s_delay_alu instid0(VALU_DEP_2) | instskip(NEXT) | instid1(VALU_DEP_2)
	v_add_f64_e32 v[4:5], v[6:7], v[4:5]
	v_add_f64_e32 v[2:3], v[130:131], v[2:3]
	s_delay_alu instid0(VALU_DEP_2) | instskip(NEXT) | instid1(VALU_DEP_2)
	;; [unrolled: 3-line block ×3, first 2 shown]
	v_add_f64_e64 v[2:3], v[174:175], -v[4:5]
	v_add_f64_e64 v[4:5], v[176:177], -v[6:7]
	scratch_store_b128 off, v[2:5], off offset:368
	s_wait_xcnt 0x0
	v_cmpx_lt_u32_e32 22, v1
	s_cbranch_execz .LBB57_317
; %bb.316:
	scratch_load_b128 v[2:5], off, s27
	v_mov_b32_e32 v10, 0
	s_delay_alu instid0(VALU_DEP_1)
	v_dual_mov_b32 v11, v10 :: v_dual_mov_b32 v12, v10
	v_mov_b32_e32 v13, v10
	scratch_store_b128 off, v[10:13], off offset:352
	s_wait_loadcnt 0x0
	ds_store_b128 v8, v[2:5]
.LBB57_317:
	s_wait_xcnt 0x0
	s_or_b32 exec_lo, exec_lo, s2
	s_wait_storecnt_dscnt 0x0
	s_barrier_signal -1
	s_barrier_wait -1
	s_clause 0x9
	scratch_load_b128 v[4:7], off, off offset:368
	scratch_load_b128 v[10:13], off, off offset:384
	;; [unrolled: 1-line block ×10, first 2 shown]
	v_mov_b32_e32 v2, 0
	s_mov_b32 s2, exec_lo
	ds_load_b128 v[162:165], v2 offset:1296
	s_clause 0x2
	scratch_load_b128 v[166:169], off, off offset:528
	scratch_load_b128 v[170:173], off, off offset:352
	;; [unrolled: 1-line block ×3, first 2 shown]
	s_wait_loadcnt_dscnt 0xc00
	v_mul_f64_e32 v[182:183], v[164:165], v[6:7]
	v_mul_f64_e32 v[186:187], v[162:163], v[6:7]
	ds_load_b128 v[174:177], v2 offset:1312
	v_fma_f64 v[190:191], v[162:163], v[4:5], -v[182:183]
	v_fmac_f64_e32 v[186:187], v[164:165], v[4:5]
	ds_load_b128 v[4:7], v2 offset:1328
	s_wait_loadcnt_dscnt 0xb01
	v_mul_f64_e32 v[188:189], v[174:175], v[12:13]
	v_mul_f64_e32 v[12:13], v[176:177], v[12:13]
	scratch_load_b128 v[162:165], off, off offset:560
	ds_load_b128 v[182:185], v2 offset:1344
	s_wait_loadcnt_dscnt 0xb01
	v_mul_f64_e32 v[192:193], v[4:5], v[132:133]
	v_mul_f64_e32 v[132:133], v[6:7], v[132:133]
	v_add_f64_e32 v[186:187], 0, v[186:187]
	v_fmac_f64_e32 v[188:189], v[176:177], v[10:11]
	v_fma_f64 v[174:175], v[174:175], v[10:11], -v[12:13]
	v_add_f64_e32 v[176:177], 0, v[190:191]
	scratch_load_b128 v[10:13], off, off offset:576
	v_fmac_f64_e32 v[192:193], v[6:7], v[130:131]
	v_fma_f64 v[194:195], v[4:5], v[130:131], -v[132:133]
	ds_load_b128 v[4:7], v2 offset:1360
	s_wait_loadcnt_dscnt 0xb01
	v_mul_f64_e32 v[190:191], v[182:183], v[136:137]
	v_mul_f64_e32 v[136:137], v[184:185], v[136:137]
	scratch_load_b128 v[130:133], off, off offset:592
	v_add_f64_e32 v[186:187], v[186:187], v[188:189]
	v_add_f64_e32 v[196:197], v[176:177], v[174:175]
	ds_load_b128 v[174:177], v2 offset:1376
	s_wait_loadcnt_dscnt 0xb01
	v_mul_f64_e32 v[188:189], v[4:5], v[140:141]
	v_mul_f64_e32 v[140:141], v[6:7], v[140:141]
	v_fmac_f64_e32 v[190:191], v[184:185], v[134:135]
	v_fma_f64 v[182:183], v[182:183], v[134:135], -v[136:137]
	scratch_load_b128 v[134:137], off, off offset:608
	v_add_f64_e32 v[186:187], v[186:187], v[192:193]
	v_add_f64_e32 v[184:185], v[196:197], v[194:195]
	v_fmac_f64_e32 v[188:189], v[6:7], v[138:139]
	v_fma_f64 v[194:195], v[4:5], v[138:139], -v[140:141]
	ds_load_b128 v[4:7], v2 offset:1392
	s_wait_loadcnt_dscnt 0xb01
	v_mul_f64_e32 v[192:193], v[174:175], v[144:145]
	v_mul_f64_e32 v[144:145], v[176:177], v[144:145]
	scratch_load_b128 v[138:141], off, off offset:624
	v_add_f64_e32 v[186:187], v[186:187], v[190:191]
	s_wait_loadcnt_dscnt 0xb00
	v_mul_f64_e32 v[190:191], v[4:5], v[148:149]
	v_add_f64_e32 v[196:197], v[184:185], v[182:183]
	v_mul_f64_e32 v[148:149], v[6:7], v[148:149]
	ds_load_b128 v[182:185], v2 offset:1408
	v_fmac_f64_e32 v[192:193], v[176:177], v[142:143]
	v_fma_f64 v[174:175], v[174:175], v[142:143], -v[144:145]
	scratch_load_b128 v[142:145], off, off offset:640
	v_add_f64_e32 v[186:187], v[186:187], v[188:189]
	v_fmac_f64_e32 v[190:191], v[6:7], v[146:147]
	v_add_f64_e32 v[176:177], v[196:197], v[194:195]
	v_fma_f64 v[194:195], v[4:5], v[146:147], -v[148:149]
	ds_load_b128 v[4:7], v2 offset:1424
	s_wait_loadcnt_dscnt 0xb01
	v_mul_f64_e32 v[188:189], v[182:183], v[152:153]
	v_mul_f64_e32 v[152:153], v[184:185], v[152:153]
	scratch_load_b128 v[146:149], off, off offset:656
	v_add_f64_e32 v[186:187], v[186:187], v[192:193]
	s_wait_loadcnt_dscnt 0xb00
	v_mul_f64_e32 v[192:193], v[4:5], v[156:157]
	v_add_f64_e32 v[196:197], v[176:177], v[174:175]
	v_mul_f64_e32 v[156:157], v[6:7], v[156:157]
	ds_load_b128 v[174:177], v2 offset:1440
	v_fmac_f64_e32 v[188:189], v[184:185], v[150:151]
	v_fma_f64 v[182:183], v[182:183], v[150:151], -v[152:153]
	scratch_load_b128 v[150:153], off, off offset:672
	v_add_f64_e32 v[186:187], v[186:187], v[190:191]
	v_fmac_f64_e32 v[192:193], v[6:7], v[154:155]
	v_add_f64_e32 v[184:185], v[196:197], v[194:195]
	;; [unrolled: 18-line block ×3, first 2 shown]
	v_fma_f64 v[194:195], v[4:5], v[166:167], -v[168:169]
	ds_load_b128 v[4:7], v2 offset:1488
	s_wait_loadcnt_dscnt 0xa01
	v_mul_f64_e32 v[192:193], v[182:183], v[180:181]
	v_mul_f64_e32 v[180:181], v[184:185], v[180:181]
	scratch_load_b128 v[166:169], off, off offset:720
	v_add_f64_e32 v[186:187], v[186:187], v[190:191]
	v_add_f64_e32 v[196:197], v[176:177], v[174:175]
	s_wait_loadcnt_dscnt 0xa00
	v_mul_f64_e32 v[190:191], v[4:5], v[164:165]
	v_mul_f64_e32 v[164:165], v[6:7], v[164:165]
	v_fmac_f64_e32 v[192:193], v[184:185], v[178:179]
	v_fma_f64 v[182:183], v[182:183], v[178:179], -v[180:181]
	ds_load_b128 v[174:177], v2 offset:1504
	scratch_load_b128 v[178:181], off, off offset:736
	v_add_f64_e32 v[186:187], v[186:187], v[188:189]
	v_add_f64_e32 v[184:185], v[196:197], v[194:195]
	v_fmac_f64_e32 v[190:191], v[6:7], v[162:163]
	v_fma_f64 v[194:195], v[4:5], v[162:163], -v[164:165]
	ds_load_b128 v[4:7], v2 offset:1520
	s_wait_loadcnt_dscnt 0xa01
	v_mul_f64_e32 v[188:189], v[174:175], v[12:13]
	v_mul_f64_e32 v[12:13], v[176:177], v[12:13]
	scratch_load_b128 v[162:165], off, off offset:752
	v_add_f64_e32 v[186:187], v[186:187], v[192:193]
	s_wait_loadcnt_dscnt 0xa00
	v_mul_f64_e32 v[192:193], v[4:5], v[132:133]
	v_add_f64_e32 v[196:197], v[184:185], v[182:183]
	v_mul_f64_e32 v[132:133], v[6:7], v[132:133]
	ds_load_b128 v[182:185], v2 offset:1536
	v_fmac_f64_e32 v[188:189], v[176:177], v[10:11]
	v_fma_f64 v[174:175], v[174:175], v[10:11], -v[12:13]
	scratch_load_b128 v[10:13], off, off offset:768
	v_add_f64_e32 v[186:187], v[186:187], v[190:191]
	v_fmac_f64_e32 v[192:193], v[6:7], v[130:131]
	v_add_f64_e32 v[176:177], v[196:197], v[194:195]
	v_fma_f64 v[194:195], v[4:5], v[130:131], -v[132:133]
	ds_load_b128 v[4:7], v2 offset:1552
	s_wait_loadcnt_dscnt 0xa01
	v_mul_f64_e32 v[190:191], v[182:183], v[136:137]
	v_mul_f64_e32 v[136:137], v[184:185], v[136:137]
	scratch_load_b128 v[130:133], off, off offset:784
	v_add_f64_e32 v[186:187], v[186:187], v[188:189]
	s_wait_loadcnt_dscnt 0xa00
	v_mul_f64_e32 v[188:189], v[4:5], v[140:141]
	v_add_f64_e32 v[196:197], v[176:177], v[174:175]
	v_mul_f64_e32 v[140:141], v[6:7], v[140:141]
	ds_load_b128 v[174:177], v2 offset:1568
	v_fmac_f64_e32 v[190:191], v[184:185], v[134:135]
	v_fma_f64 v[182:183], v[182:183], v[134:135], -v[136:137]
	scratch_load_b128 v[134:137], off, off offset:800
	v_add_f64_e32 v[186:187], v[186:187], v[192:193]
	v_fmac_f64_e32 v[188:189], v[6:7], v[138:139]
	v_add_f64_e32 v[184:185], v[196:197], v[194:195]
	;; [unrolled: 18-line block ×5, first 2 shown]
	v_fma_f64 v[194:195], v[4:5], v[166:167], -v[168:169]
	ds_load_b128 v[4:7], v2 offset:1680
	s_wait_loadcnt_dscnt 0xa01
	v_mul_f64_e32 v[192:193], v[182:183], v[180:181]
	v_mul_f64_e32 v[180:181], v[184:185], v[180:181]
	scratch_load_b128 v[166:169], off, off offset:912
	v_add_f64_e32 v[186:187], v[186:187], v[190:191]
	s_wait_loadcnt_dscnt 0xa00
	v_mul_f64_e32 v[190:191], v[4:5], v[164:165]
	v_add_f64_e32 v[196:197], v[176:177], v[174:175]
	v_mul_f64_e32 v[164:165], v[6:7], v[164:165]
	ds_load_b128 v[174:177], v2 offset:1696
	v_fmac_f64_e32 v[192:193], v[184:185], v[178:179]
	v_fma_f64 v[178:179], v[182:183], v[178:179], -v[180:181]
	s_wait_loadcnt_dscnt 0x900
	v_mul_f64_e32 v[184:185], v[174:175], v[12:13]
	v_mul_f64_e32 v[12:13], v[176:177], v[12:13]
	v_add_f64_e32 v[182:183], v[186:187], v[188:189]
	v_fmac_f64_e32 v[190:191], v[6:7], v[162:163]
	v_add_f64_e32 v[180:181], v[196:197], v[194:195]
	v_fma_f64 v[186:187], v[4:5], v[162:163], -v[164:165]
	ds_load_b128 v[4:7], v2 offset:1712
	ds_load_b128 v[162:165], v2 offset:1728
	v_fmac_f64_e32 v[184:185], v[176:177], v[10:11]
	v_fma_f64 v[10:11], v[174:175], v[10:11], -v[12:13]
	v_add_f64_e32 v[178:179], v[180:181], v[178:179]
	v_add_f64_e32 v[180:181], v[182:183], v[192:193]
	s_wait_loadcnt_dscnt 0x801
	v_mul_f64_e32 v[182:183], v[4:5], v[132:133]
	v_mul_f64_e32 v[132:133], v[6:7], v[132:133]
	s_wait_loadcnt_dscnt 0x700
	v_mul_f64_e32 v[176:177], v[162:163], v[136:137]
	v_mul_f64_e32 v[136:137], v[164:165], v[136:137]
	v_add_f64_e32 v[12:13], v[178:179], v[186:187]
	v_add_f64_e32 v[174:175], v[180:181], v[190:191]
	v_fmac_f64_e32 v[182:183], v[6:7], v[130:131]
	v_fma_f64 v[130:131], v[4:5], v[130:131], -v[132:133]
	v_fmac_f64_e32 v[176:177], v[164:165], v[134:135]
	v_fma_f64 v[134:135], v[162:163], v[134:135], -v[136:137]
	v_add_f64_e32 v[132:133], v[12:13], v[10:11]
	v_add_f64_e32 v[174:175], v[174:175], v[184:185]
	ds_load_b128 v[4:7], v2 offset:1744
	ds_load_b128 v[10:13], v2 offset:1760
	s_wait_loadcnt_dscnt 0x601
	v_mul_f64_e32 v[178:179], v[4:5], v[140:141]
	v_mul_f64_e32 v[140:141], v[6:7], v[140:141]
	s_wait_loadcnt_dscnt 0x500
	v_mul_f64_e32 v[136:137], v[10:11], v[144:145]
	v_mul_f64_e32 v[144:145], v[12:13], v[144:145]
	v_add_f64_e32 v[130:131], v[132:133], v[130:131]
	v_add_f64_e32 v[132:133], v[174:175], v[182:183]
	v_fmac_f64_e32 v[178:179], v[6:7], v[138:139]
	v_fma_f64 v[138:139], v[4:5], v[138:139], -v[140:141]
	v_fmac_f64_e32 v[136:137], v[12:13], v[142:143]
	v_fma_f64 v[10:11], v[10:11], v[142:143], -v[144:145]
	v_add_f64_e32 v[134:135], v[130:131], v[134:135]
	v_add_f64_e32 v[140:141], v[132:133], v[176:177]
	ds_load_b128 v[4:7], v2 offset:1776
	ds_load_b128 v[130:133], v2 offset:1792
	s_wait_loadcnt_dscnt 0x401
	v_mul_f64_e32 v[162:163], v[4:5], v[148:149]
	v_mul_f64_e32 v[148:149], v[6:7], v[148:149]
	v_add_f64_e32 v[12:13], v[134:135], v[138:139]
	v_add_f64_e32 v[134:135], v[140:141], v[178:179]
	s_wait_loadcnt_dscnt 0x300
	v_mul_f64_e32 v[138:139], v[130:131], v[152:153]
	v_mul_f64_e32 v[140:141], v[132:133], v[152:153]
	v_fmac_f64_e32 v[162:163], v[6:7], v[146:147]
	v_fma_f64 v[142:143], v[4:5], v[146:147], -v[148:149]
	v_add_f64_e32 v[144:145], v[12:13], v[10:11]
	v_add_f64_e32 v[134:135], v[134:135], v[136:137]
	ds_load_b128 v[4:7], v2 offset:1808
	ds_load_b128 v[10:13], v2 offset:1824
	v_fmac_f64_e32 v[138:139], v[132:133], v[150:151]
	v_fma_f64 v[130:131], v[130:131], v[150:151], -v[140:141]
	s_wait_loadcnt_dscnt 0x201
	v_mul_f64_e32 v[136:137], v[4:5], v[156:157]
	v_mul_f64_e32 v[146:147], v[6:7], v[156:157]
	s_wait_loadcnt_dscnt 0x100
	v_mul_f64_e32 v[140:141], v[10:11], v[160:161]
	v_add_f64_e32 v[132:133], v[144:145], v[142:143]
	v_add_f64_e32 v[134:135], v[134:135], v[162:163]
	v_mul_f64_e32 v[142:143], v[12:13], v[160:161]
	v_fmac_f64_e32 v[136:137], v[6:7], v[154:155]
	v_fma_f64 v[144:145], v[4:5], v[154:155], -v[146:147]
	ds_load_b128 v[4:7], v2 offset:1840
	v_fmac_f64_e32 v[140:141], v[12:13], v[158:159]
	v_add_f64_e32 v[130:131], v[132:133], v[130:131]
	v_add_f64_e32 v[132:133], v[134:135], v[138:139]
	v_fma_f64 v[10:11], v[10:11], v[158:159], -v[142:143]
	s_wait_loadcnt_dscnt 0x0
	v_mul_f64_e32 v[134:135], v[4:5], v[168:169]
	v_mul_f64_e32 v[138:139], v[6:7], v[168:169]
	v_add_f64_e32 v[12:13], v[130:131], v[144:145]
	v_add_f64_e32 v[130:131], v[132:133], v[136:137]
	s_delay_alu instid0(VALU_DEP_4) | instskip(NEXT) | instid1(VALU_DEP_4)
	v_fmac_f64_e32 v[134:135], v[6:7], v[166:167]
	v_fma_f64 v[4:5], v[4:5], v[166:167], -v[138:139]
	s_delay_alu instid0(VALU_DEP_4) | instskip(NEXT) | instid1(VALU_DEP_4)
	v_add_f64_e32 v[6:7], v[12:13], v[10:11]
	v_add_f64_e32 v[10:11], v[130:131], v[140:141]
	s_delay_alu instid0(VALU_DEP_2) | instskip(NEXT) | instid1(VALU_DEP_2)
	v_add_f64_e32 v[4:5], v[6:7], v[4:5]
	v_add_f64_e32 v[6:7], v[10:11], v[134:135]
	s_delay_alu instid0(VALU_DEP_2) | instskip(NEXT) | instid1(VALU_DEP_2)
	v_add_f64_e64 v[4:5], v[170:171], -v[4:5]
	v_add_f64_e64 v[6:7], v[172:173], -v[6:7]
	scratch_store_b128 off, v[4:7], off offset:352
	s_wait_xcnt 0x0
	v_cmpx_lt_u32_e32 21, v1
	s_cbranch_execz .LBB57_319
; %bb.318:
	scratch_load_b128 v[10:13], off, s61
	v_dual_mov_b32 v3, v2 :: v_dual_mov_b32 v4, v2
	v_mov_b32_e32 v5, v2
	scratch_store_b128 off, v[2:5], off offset:336
	s_wait_loadcnt 0x0
	ds_store_b128 v8, v[10:13]
.LBB57_319:
	s_wait_xcnt 0x0
	s_or_b32 exec_lo, exec_lo, s2
	s_wait_storecnt_dscnt 0x0
	s_barrier_signal -1
	s_barrier_wait -1
	s_clause 0x9
	scratch_load_b128 v[4:7], off, off offset:352
	scratch_load_b128 v[10:13], off, off offset:368
	scratch_load_b128 v[130:133], off, off offset:384
	scratch_load_b128 v[134:137], off, off offset:400
	scratch_load_b128 v[138:141], off, off offset:416
	scratch_load_b128 v[142:145], off, off offset:432
	scratch_load_b128 v[146:149], off, off offset:448
	scratch_load_b128 v[150:153], off, off offset:464
	scratch_load_b128 v[154:157], off, off offset:480
	scratch_load_b128 v[158:161], off, off offset:496
	ds_load_b128 v[162:165], v2 offset:1280
	ds_load_b128 v[170:173], v2 offset:1296
	s_clause 0x2
	scratch_load_b128 v[166:169], off, off offset:512
	scratch_load_b128 v[174:177], off, off offset:336
	;; [unrolled: 1-line block ×3, first 2 shown]
	s_mov_b32 s2, exec_lo
	s_wait_loadcnt_dscnt 0xc01
	v_mul_f64_e32 v[182:183], v[164:165], v[6:7]
	v_mul_f64_e32 v[186:187], v[162:163], v[6:7]
	s_wait_loadcnt_dscnt 0xb00
	v_mul_f64_e32 v[188:189], v[170:171], v[12:13]
	v_mul_f64_e32 v[12:13], v[172:173], v[12:13]
	s_delay_alu instid0(VALU_DEP_4) | instskip(NEXT) | instid1(VALU_DEP_4)
	v_fma_f64 v[190:191], v[162:163], v[4:5], -v[182:183]
	v_fmac_f64_e32 v[186:187], v[164:165], v[4:5]
	ds_load_b128 v[4:7], v2 offset:1312
	ds_load_b128 v[162:165], v2 offset:1328
	scratch_load_b128 v[182:185], off, off offset:544
	v_fmac_f64_e32 v[188:189], v[172:173], v[10:11]
	v_fma_f64 v[170:171], v[170:171], v[10:11], -v[12:13]
	scratch_load_b128 v[10:13], off, off offset:560
	s_wait_loadcnt_dscnt 0xc01
	v_mul_f64_e32 v[192:193], v[4:5], v[132:133]
	v_mul_f64_e32 v[132:133], v[6:7], v[132:133]
	v_add_f64_e32 v[172:173], 0, v[190:191]
	v_add_f64_e32 v[186:187], 0, v[186:187]
	s_wait_loadcnt_dscnt 0xb00
	v_mul_f64_e32 v[190:191], v[162:163], v[136:137]
	v_mul_f64_e32 v[136:137], v[164:165], v[136:137]
	v_fmac_f64_e32 v[192:193], v[6:7], v[130:131]
	v_fma_f64 v[194:195], v[4:5], v[130:131], -v[132:133]
	ds_load_b128 v[4:7], v2 offset:1344
	ds_load_b128 v[130:133], v2 offset:1360
	v_add_f64_e32 v[196:197], v[172:173], v[170:171]
	v_add_f64_e32 v[186:187], v[186:187], v[188:189]
	scratch_load_b128 v[170:173], off, off offset:576
	v_fmac_f64_e32 v[190:191], v[164:165], v[134:135]
	v_fma_f64 v[162:163], v[162:163], v[134:135], -v[136:137]
	scratch_load_b128 v[134:137], off, off offset:592
	s_wait_loadcnt_dscnt 0xc01
	v_mul_f64_e32 v[188:189], v[4:5], v[140:141]
	v_mul_f64_e32 v[140:141], v[6:7], v[140:141]
	v_add_f64_e32 v[164:165], v[196:197], v[194:195]
	v_add_f64_e32 v[186:187], v[186:187], v[192:193]
	s_wait_loadcnt_dscnt 0xb00
	v_mul_f64_e32 v[192:193], v[130:131], v[144:145]
	v_mul_f64_e32 v[144:145], v[132:133], v[144:145]
	v_fmac_f64_e32 v[188:189], v[6:7], v[138:139]
	v_fma_f64 v[194:195], v[4:5], v[138:139], -v[140:141]
	ds_load_b128 v[4:7], v2 offset:1376
	ds_load_b128 v[138:141], v2 offset:1392
	v_add_f64_e32 v[196:197], v[164:165], v[162:163]
	v_add_f64_e32 v[186:187], v[186:187], v[190:191]
	scratch_load_b128 v[162:165], off, off offset:608
	s_wait_loadcnt_dscnt 0xb01
	v_mul_f64_e32 v[190:191], v[4:5], v[148:149]
	v_mul_f64_e32 v[148:149], v[6:7], v[148:149]
	v_fmac_f64_e32 v[192:193], v[132:133], v[142:143]
	v_fma_f64 v[142:143], v[130:131], v[142:143], -v[144:145]
	scratch_load_b128 v[130:133], off, off offset:624
	v_add_f64_e32 v[144:145], v[196:197], v[194:195]
	v_add_f64_e32 v[186:187], v[186:187], v[188:189]
	s_wait_loadcnt_dscnt 0xb00
	v_mul_f64_e32 v[188:189], v[138:139], v[152:153]
	v_mul_f64_e32 v[152:153], v[140:141], v[152:153]
	v_fmac_f64_e32 v[190:191], v[6:7], v[146:147]
	v_fma_f64 v[194:195], v[4:5], v[146:147], -v[148:149]
	v_add_f64_e32 v[196:197], v[144:145], v[142:143]
	v_add_f64_e32 v[186:187], v[186:187], v[192:193]
	ds_load_b128 v[4:7], v2 offset:1408
	ds_load_b128 v[142:145], v2 offset:1424
	scratch_load_b128 v[146:149], off, off offset:640
	v_fmac_f64_e32 v[188:189], v[140:141], v[150:151]
	v_fma_f64 v[150:151], v[138:139], v[150:151], -v[152:153]
	scratch_load_b128 v[138:141], off, off offset:656
	s_wait_loadcnt_dscnt 0xc01
	v_mul_f64_e32 v[192:193], v[4:5], v[156:157]
	v_mul_f64_e32 v[156:157], v[6:7], v[156:157]
	v_add_f64_e32 v[152:153], v[196:197], v[194:195]
	v_add_f64_e32 v[186:187], v[186:187], v[190:191]
	s_wait_loadcnt_dscnt 0xb00
	v_mul_f64_e32 v[190:191], v[142:143], v[160:161]
	v_mul_f64_e32 v[160:161], v[144:145], v[160:161]
	v_fmac_f64_e32 v[192:193], v[6:7], v[154:155]
	v_fma_f64 v[194:195], v[4:5], v[154:155], -v[156:157]
	v_add_f64_e32 v[196:197], v[152:153], v[150:151]
	v_add_f64_e32 v[186:187], v[186:187], v[188:189]
	ds_load_b128 v[4:7], v2 offset:1440
	ds_load_b128 v[150:153], v2 offset:1456
	scratch_load_b128 v[154:157], off, off offset:672
	v_fmac_f64_e32 v[190:191], v[144:145], v[158:159]
	v_fma_f64 v[158:159], v[142:143], v[158:159], -v[160:161]
	scratch_load_b128 v[142:145], off, off offset:688
	s_wait_loadcnt_dscnt 0xc01
	v_mul_f64_e32 v[188:189], v[4:5], v[168:169]
	v_mul_f64_e32 v[168:169], v[6:7], v[168:169]
	;; [unrolled: 18-line block ×5, first 2 shown]
	v_add_f64_e32 v[180:181], v[196:197], v[194:195]
	v_add_f64_e32 v[186:187], v[186:187], v[192:193]
	s_wait_loadcnt_dscnt 0xa00
	v_mul_f64_e32 v[192:193], v[158:159], v[132:133]
	v_mul_f64_e32 v[132:133], v[160:161], v[132:133]
	v_fmac_f64_e32 v[188:189], v[6:7], v[162:163]
	v_fma_f64 v[194:195], v[4:5], v[162:163], -v[164:165]
	ds_load_b128 v[4:7], v2 offset:1568
	ds_load_b128 v[162:165], v2 offset:1584
	v_add_f64_e32 v[196:197], v[180:181], v[178:179]
	v_add_f64_e32 v[186:187], v[186:187], v[190:191]
	scratch_load_b128 v[178:181], off, off offset:800
	v_fmac_f64_e32 v[192:193], v[160:161], v[130:131]
	v_fma_f64 v[158:159], v[158:159], v[130:131], -v[132:133]
	scratch_load_b128 v[130:133], off, off offset:816
	s_wait_loadcnt_dscnt 0xb01
	v_mul_f64_e32 v[190:191], v[4:5], v[148:149]
	v_mul_f64_e32 v[148:149], v[6:7], v[148:149]
	v_add_f64_e32 v[160:161], v[196:197], v[194:195]
	v_add_f64_e32 v[186:187], v[186:187], v[188:189]
	s_wait_loadcnt_dscnt 0xa00
	v_mul_f64_e32 v[188:189], v[162:163], v[140:141]
	v_mul_f64_e32 v[140:141], v[164:165], v[140:141]
	v_fmac_f64_e32 v[190:191], v[6:7], v[146:147]
	v_fma_f64 v[194:195], v[4:5], v[146:147], -v[148:149]
	ds_load_b128 v[4:7], v2 offset:1600
	ds_load_b128 v[146:149], v2 offset:1616
	v_add_f64_e32 v[196:197], v[160:161], v[158:159]
	v_add_f64_e32 v[186:187], v[186:187], v[192:193]
	scratch_load_b128 v[158:161], off, off offset:832
	s_wait_loadcnt_dscnt 0xa01
	v_mul_f64_e32 v[192:193], v[4:5], v[156:157]
	v_mul_f64_e32 v[156:157], v[6:7], v[156:157]
	v_fmac_f64_e32 v[188:189], v[164:165], v[138:139]
	v_fma_f64 v[162:163], v[162:163], v[138:139], -v[140:141]
	scratch_load_b128 v[138:141], off, off offset:848
	v_add_f64_e32 v[164:165], v[196:197], v[194:195]
	v_add_f64_e32 v[186:187], v[186:187], v[190:191]
	s_wait_loadcnt_dscnt 0xa00
	v_mul_f64_e32 v[190:191], v[146:147], v[144:145]
	v_mul_f64_e32 v[144:145], v[148:149], v[144:145]
	v_fmac_f64_e32 v[192:193], v[6:7], v[154:155]
	v_fma_f64 v[194:195], v[4:5], v[154:155], -v[156:157]
	ds_load_b128 v[4:7], v2 offset:1632
	ds_load_b128 v[154:157], v2 offset:1648
	v_add_f64_e32 v[196:197], v[164:165], v[162:163]
	v_add_f64_e32 v[186:187], v[186:187], v[188:189]
	scratch_load_b128 v[162:165], off, off offset:864
	s_wait_loadcnt_dscnt 0xa01
	v_mul_f64_e32 v[188:189], v[4:5], v[168:169]
	v_mul_f64_e32 v[168:169], v[6:7], v[168:169]
	v_fmac_f64_e32 v[190:191], v[148:149], v[142:143]
	v_fma_f64 v[146:147], v[146:147], v[142:143], -v[144:145]
	scratch_load_b128 v[142:145], off, off offset:880
	v_add_f64_e32 v[148:149], v[196:197], v[194:195]
	v_add_f64_e32 v[186:187], v[186:187], v[192:193]
	s_wait_loadcnt_dscnt 0xa00
	v_mul_f64_e32 v[192:193], v[154:155], v[152:153]
	v_mul_f64_e32 v[152:153], v[156:157], v[152:153]
	v_fmac_f64_e32 v[188:189], v[6:7], v[166:167]
	v_fma_f64 v[194:195], v[4:5], v[166:167], -v[168:169]
	v_add_f64_e32 v[196:197], v[148:149], v[146:147]
	v_add_f64_e32 v[186:187], v[186:187], v[190:191]
	ds_load_b128 v[4:7], v2 offset:1664
	ds_load_b128 v[146:149], v2 offset:1680
	scratch_load_b128 v[166:169], off, off offset:896
	v_fmac_f64_e32 v[192:193], v[156:157], v[150:151]
	v_fma_f64 v[154:155], v[154:155], v[150:151], -v[152:153]
	scratch_load_b128 v[150:153], off, off offset:912
	s_wait_loadcnt_dscnt 0xb01
	v_mul_f64_e32 v[190:191], v[4:5], v[184:185]
	v_mul_f64_e32 v[184:185], v[6:7], v[184:185]
	v_add_f64_e32 v[156:157], v[196:197], v[194:195]
	v_add_f64_e32 v[186:187], v[186:187], v[188:189]
	s_wait_loadcnt_dscnt 0xa00
	v_mul_f64_e32 v[188:189], v[146:147], v[12:13]
	v_mul_f64_e32 v[12:13], v[148:149], v[12:13]
	v_fmac_f64_e32 v[190:191], v[6:7], v[182:183]
	v_fma_f64 v[182:183], v[4:5], v[182:183], -v[184:185]
	v_add_f64_e32 v[184:185], v[156:157], v[154:155]
	v_add_f64_e32 v[186:187], v[186:187], v[192:193]
	ds_load_b128 v[4:7], v2 offset:1696
	ds_load_b128 v[154:157], v2 offset:1712
	v_fmac_f64_e32 v[188:189], v[148:149], v[10:11]
	v_fma_f64 v[10:11], v[146:147], v[10:11], -v[12:13]
	s_wait_loadcnt_dscnt 0x901
	v_mul_f64_e32 v[192:193], v[4:5], v[172:173]
	v_mul_f64_e32 v[172:173], v[6:7], v[172:173]
	s_wait_loadcnt_dscnt 0x800
	v_mul_f64_e32 v[148:149], v[154:155], v[136:137]
	v_mul_f64_e32 v[136:137], v[156:157], v[136:137]
	v_add_f64_e32 v[12:13], v[184:185], v[182:183]
	v_add_f64_e32 v[146:147], v[186:187], v[190:191]
	v_fmac_f64_e32 v[192:193], v[6:7], v[170:171]
	v_fma_f64 v[170:171], v[4:5], v[170:171], -v[172:173]
	v_fmac_f64_e32 v[148:149], v[156:157], v[134:135]
	v_fma_f64 v[134:135], v[154:155], v[134:135], -v[136:137]
	v_add_f64_e32 v[172:173], v[12:13], v[10:11]
	v_add_f64_e32 v[146:147], v[146:147], v[188:189]
	ds_load_b128 v[4:7], v2 offset:1728
	ds_load_b128 v[10:13], v2 offset:1744
	s_wait_loadcnt_dscnt 0x701
	v_mul_f64_e32 v[182:183], v[4:5], v[180:181]
	v_mul_f64_e32 v[180:181], v[6:7], v[180:181]
	s_wait_loadcnt_dscnt 0x600
	v_mul_f64_e32 v[154:155], v[10:11], v[132:133]
	v_mul_f64_e32 v[156:157], v[12:13], v[132:133]
	v_add_f64_e32 v[136:137], v[172:173], v[170:171]
	v_add_f64_e32 v[146:147], v[146:147], v[192:193]
	v_fmac_f64_e32 v[182:183], v[6:7], v[178:179]
	v_fma_f64 v[170:171], v[4:5], v[178:179], -v[180:181]
	v_fmac_f64_e32 v[154:155], v[12:13], v[130:131]
	v_fma_f64 v[10:11], v[10:11], v[130:131], -v[156:157]
	v_add_f64_e32 v[136:137], v[136:137], v[134:135]
	v_add_f64_e32 v[146:147], v[146:147], v[148:149]
	ds_load_b128 v[4:7], v2 offset:1760
	ds_load_b128 v[132:135], v2 offset:1776
	s_wait_loadcnt_dscnt 0x501
	v_mul_f64_e32 v[148:149], v[4:5], v[160:161]
	v_mul_f64_e32 v[160:161], v[6:7], v[160:161]
	v_add_f64_e32 v[12:13], v[136:137], v[170:171]
	v_add_f64_e32 v[130:131], v[146:147], v[182:183]
	s_wait_loadcnt_dscnt 0x400
	v_mul_f64_e32 v[136:137], v[132:133], v[140:141]
	v_mul_f64_e32 v[140:141], v[134:135], v[140:141]
	v_fmac_f64_e32 v[148:149], v[6:7], v[158:159]
	v_fma_f64 v[146:147], v[4:5], v[158:159], -v[160:161]
	v_add_f64_e32 v[156:157], v[12:13], v[10:11]
	v_add_f64_e32 v[130:131], v[130:131], v[154:155]
	ds_load_b128 v[4:7], v2 offset:1792
	ds_load_b128 v[10:13], v2 offset:1808
	v_fmac_f64_e32 v[136:137], v[134:135], v[138:139]
	v_fma_f64 v[132:133], v[132:133], v[138:139], -v[140:141]
	s_wait_loadcnt_dscnt 0x301
	v_mul_f64_e32 v[154:155], v[4:5], v[164:165]
	v_mul_f64_e32 v[158:159], v[6:7], v[164:165]
	s_wait_loadcnt_dscnt 0x200
	v_mul_f64_e32 v[138:139], v[10:11], v[144:145]
	v_mul_f64_e32 v[140:141], v[12:13], v[144:145]
	v_add_f64_e32 v[134:135], v[156:157], v[146:147]
	v_add_f64_e32 v[130:131], v[130:131], v[148:149]
	v_fmac_f64_e32 v[154:155], v[6:7], v[162:163]
	v_fma_f64 v[144:145], v[4:5], v[162:163], -v[158:159]
	v_fmac_f64_e32 v[138:139], v[12:13], v[142:143]
	v_fma_f64 v[10:11], v[10:11], v[142:143], -v[140:141]
	v_add_f64_e32 v[134:135], v[134:135], v[132:133]
	v_add_f64_e32 v[136:137], v[130:131], v[136:137]
	ds_load_b128 v[4:7], v2 offset:1824
	ds_load_b128 v[130:133], v2 offset:1840
	s_wait_loadcnt_dscnt 0x101
	v_mul_f64_e32 v[2:3], v[4:5], v[168:169]
	v_mul_f64_e32 v[146:147], v[6:7], v[168:169]
	s_wait_loadcnt_dscnt 0x0
	v_mul_f64_e32 v[140:141], v[132:133], v[152:153]
	v_add_f64_e32 v[12:13], v[134:135], v[144:145]
	v_add_f64_e32 v[134:135], v[136:137], v[154:155]
	v_mul_f64_e32 v[136:137], v[130:131], v[152:153]
	v_fmac_f64_e32 v[2:3], v[6:7], v[166:167]
	v_fma_f64 v[4:5], v[4:5], v[166:167], -v[146:147]
	v_add_f64_e32 v[6:7], v[12:13], v[10:11]
	v_add_f64_e32 v[10:11], v[134:135], v[138:139]
	v_fmac_f64_e32 v[136:137], v[132:133], v[150:151]
	v_fma_f64 v[12:13], v[130:131], v[150:151], -v[140:141]
	s_delay_alu instid0(VALU_DEP_4) | instskip(NEXT) | instid1(VALU_DEP_4)
	v_add_f64_e32 v[4:5], v[6:7], v[4:5]
	v_add_f64_e32 v[2:3], v[10:11], v[2:3]
	s_delay_alu instid0(VALU_DEP_2) | instskip(NEXT) | instid1(VALU_DEP_2)
	v_add_f64_e32 v[4:5], v[4:5], v[12:13]
	v_add_f64_e32 v[6:7], v[2:3], v[136:137]
	s_delay_alu instid0(VALU_DEP_2) | instskip(NEXT) | instid1(VALU_DEP_2)
	v_add_f64_e64 v[2:3], v[174:175], -v[4:5]
	v_add_f64_e64 v[4:5], v[176:177], -v[6:7]
	scratch_store_b128 off, v[2:5], off offset:336
	s_wait_xcnt 0x0
	v_cmpx_lt_u32_e32 20, v1
	s_cbranch_execz .LBB57_321
; %bb.320:
	scratch_load_b128 v[2:5], off, s67
	v_mov_b32_e32 v10, 0
	s_delay_alu instid0(VALU_DEP_1)
	v_dual_mov_b32 v11, v10 :: v_dual_mov_b32 v12, v10
	v_mov_b32_e32 v13, v10
	scratch_store_b128 off, v[10:13], off offset:320
	s_wait_loadcnt 0x0
	ds_store_b128 v8, v[2:5]
.LBB57_321:
	s_wait_xcnt 0x0
	s_or_b32 exec_lo, exec_lo, s2
	s_wait_storecnt_dscnt 0x0
	s_barrier_signal -1
	s_barrier_wait -1
	s_clause 0x9
	scratch_load_b128 v[4:7], off, off offset:336
	scratch_load_b128 v[10:13], off, off offset:352
	;; [unrolled: 1-line block ×10, first 2 shown]
	v_mov_b32_e32 v2, 0
	s_mov_b32 s2, exec_lo
	ds_load_b128 v[162:165], v2 offset:1264
	s_clause 0x2
	scratch_load_b128 v[166:169], off, off offset:496
	scratch_load_b128 v[170:173], off, off offset:320
	;; [unrolled: 1-line block ×3, first 2 shown]
	s_wait_loadcnt_dscnt 0xc00
	v_mul_f64_e32 v[182:183], v[164:165], v[6:7]
	v_mul_f64_e32 v[186:187], v[162:163], v[6:7]
	ds_load_b128 v[174:177], v2 offset:1280
	v_fma_f64 v[190:191], v[162:163], v[4:5], -v[182:183]
	v_fmac_f64_e32 v[186:187], v[164:165], v[4:5]
	ds_load_b128 v[4:7], v2 offset:1296
	s_wait_loadcnt_dscnt 0xb01
	v_mul_f64_e32 v[188:189], v[174:175], v[12:13]
	v_mul_f64_e32 v[12:13], v[176:177], v[12:13]
	scratch_load_b128 v[162:165], off, off offset:528
	ds_load_b128 v[182:185], v2 offset:1312
	s_wait_loadcnt_dscnt 0xb01
	v_mul_f64_e32 v[192:193], v[4:5], v[132:133]
	v_mul_f64_e32 v[132:133], v[6:7], v[132:133]
	v_add_f64_e32 v[186:187], 0, v[186:187]
	v_fmac_f64_e32 v[188:189], v[176:177], v[10:11]
	v_fma_f64 v[174:175], v[174:175], v[10:11], -v[12:13]
	v_add_f64_e32 v[176:177], 0, v[190:191]
	scratch_load_b128 v[10:13], off, off offset:544
	v_fmac_f64_e32 v[192:193], v[6:7], v[130:131]
	v_fma_f64 v[194:195], v[4:5], v[130:131], -v[132:133]
	ds_load_b128 v[4:7], v2 offset:1328
	s_wait_loadcnt_dscnt 0xb01
	v_mul_f64_e32 v[190:191], v[182:183], v[136:137]
	v_mul_f64_e32 v[136:137], v[184:185], v[136:137]
	scratch_load_b128 v[130:133], off, off offset:560
	v_add_f64_e32 v[186:187], v[186:187], v[188:189]
	v_add_f64_e32 v[196:197], v[176:177], v[174:175]
	ds_load_b128 v[174:177], v2 offset:1344
	s_wait_loadcnt_dscnt 0xb01
	v_mul_f64_e32 v[188:189], v[4:5], v[140:141]
	v_mul_f64_e32 v[140:141], v[6:7], v[140:141]
	v_fmac_f64_e32 v[190:191], v[184:185], v[134:135]
	v_fma_f64 v[182:183], v[182:183], v[134:135], -v[136:137]
	scratch_load_b128 v[134:137], off, off offset:576
	v_add_f64_e32 v[186:187], v[186:187], v[192:193]
	v_add_f64_e32 v[184:185], v[196:197], v[194:195]
	v_fmac_f64_e32 v[188:189], v[6:7], v[138:139]
	v_fma_f64 v[194:195], v[4:5], v[138:139], -v[140:141]
	ds_load_b128 v[4:7], v2 offset:1360
	s_wait_loadcnt_dscnt 0xb01
	v_mul_f64_e32 v[192:193], v[174:175], v[144:145]
	v_mul_f64_e32 v[144:145], v[176:177], v[144:145]
	scratch_load_b128 v[138:141], off, off offset:592
	v_add_f64_e32 v[186:187], v[186:187], v[190:191]
	s_wait_loadcnt_dscnt 0xb00
	v_mul_f64_e32 v[190:191], v[4:5], v[148:149]
	v_add_f64_e32 v[196:197], v[184:185], v[182:183]
	v_mul_f64_e32 v[148:149], v[6:7], v[148:149]
	ds_load_b128 v[182:185], v2 offset:1376
	v_fmac_f64_e32 v[192:193], v[176:177], v[142:143]
	v_fma_f64 v[174:175], v[174:175], v[142:143], -v[144:145]
	scratch_load_b128 v[142:145], off, off offset:608
	v_add_f64_e32 v[186:187], v[186:187], v[188:189]
	v_fmac_f64_e32 v[190:191], v[6:7], v[146:147]
	v_add_f64_e32 v[176:177], v[196:197], v[194:195]
	v_fma_f64 v[194:195], v[4:5], v[146:147], -v[148:149]
	ds_load_b128 v[4:7], v2 offset:1392
	s_wait_loadcnt_dscnt 0xb01
	v_mul_f64_e32 v[188:189], v[182:183], v[152:153]
	v_mul_f64_e32 v[152:153], v[184:185], v[152:153]
	scratch_load_b128 v[146:149], off, off offset:624
	v_add_f64_e32 v[186:187], v[186:187], v[192:193]
	s_wait_loadcnt_dscnt 0xb00
	v_mul_f64_e32 v[192:193], v[4:5], v[156:157]
	v_add_f64_e32 v[196:197], v[176:177], v[174:175]
	v_mul_f64_e32 v[156:157], v[6:7], v[156:157]
	ds_load_b128 v[174:177], v2 offset:1408
	v_fmac_f64_e32 v[188:189], v[184:185], v[150:151]
	v_fma_f64 v[182:183], v[182:183], v[150:151], -v[152:153]
	scratch_load_b128 v[150:153], off, off offset:640
	v_add_f64_e32 v[186:187], v[186:187], v[190:191]
	v_fmac_f64_e32 v[192:193], v[6:7], v[154:155]
	v_add_f64_e32 v[184:185], v[196:197], v[194:195]
	;; [unrolled: 18-line block ×3, first 2 shown]
	v_fma_f64 v[194:195], v[4:5], v[166:167], -v[168:169]
	ds_load_b128 v[4:7], v2 offset:1456
	s_wait_loadcnt_dscnt 0xa01
	v_mul_f64_e32 v[192:193], v[182:183], v[180:181]
	v_mul_f64_e32 v[180:181], v[184:185], v[180:181]
	scratch_load_b128 v[166:169], off, off offset:688
	v_add_f64_e32 v[186:187], v[186:187], v[190:191]
	v_add_f64_e32 v[196:197], v[176:177], v[174:175]
	s_wait_loadcnt_dscnt 0xa00
	v_mul_f64_e32 v[190:191], v[4:5], v[164:165]
	v_mul_f64_e32 v[164:165], v[6:7], v[164:165]
	v_fmac_f64_e32 v[192:193], v[184:185], v[178:179]
	v_fma_f64 v[182:183], v[182:183], v[178:179], -v[180:181]
	ds_load_b128 v[174:177], v2 offset:1472
	scratch_load_b128 v[178:181], off, off offset:704
	v_add_f64_e32 v[186:187], v[186:187], v[188:189]
	v_add_f64_e32 v[184:185], v[196:197], v[194:195]
	v_fmac_f64_e32 v[190:191], v[6:7], v[162:163]
	v_fma_f64 v[194:195], v[4:5], v[162:163], -v[164:165]
	ds_load_b128 v[4:7], v2 offset:1488
	s_wait_loadcnt_dscnt 0xa01
	v_mul_f64_e32 v[188:189], v[174:175], v[12:13]
	v_mul_f64_e32 v[12:13], v[176:177], v[12:13]
	scratch_load_b128 v[162:165], off, off offset:720
	v_add_f64_e32 v[186:187], v[186:187], v[192:193]
	s_wait_loadcnt_dscnt 0xa00
	v_mul_f64_e32 v[192:193], v[4:5], v[132:133]
	v_add_f64_e32 v[196:197], v[184:185], v[182:183]
	v_mul_f64_e32 v[132:133], v[6:7], v[132:133]
	ds_load_b128 v[182:185], v2 offset:1504
	v_fmac_f64_e32 v[188:189], v[176:177], v[10:11]
	v_fma_f64 v[174:175], v[174:175], v[10:11], -v[12:13]
	scratch_load_b128 v[10:13], off, off offset:736
	v_add_f64_e32 v[186:187], v[186:187], v[190:191]
	v_fmac_f64_e32 v[192:193], v[6:7], v[130:131]
	v_add_f64_e32 v[176:177], v[196:197], v[194:195]
	v_fma_f64 v[194:195], v[4:5], v[130:131], -v[132:133]
	ds_load_b128 v[4:7], v2 offset:1520
	s_wait_loadcnt_dscnt 0xa01
	v_mul_f64_e32 v[190:191], v[182:183], v[136:137]
	v_mul_f64_e32 v[136:137], v[184:185], v[136:137]
	scratch_load_b128 v[130:133], off, off offset:752
	v_add_f64_e32 v[186:187], v[186:187], v[188:189]
	s_wait_loadcnt_dscnt 0xa00
	v_mul_f64_e32 v[188:189], v[4:5], v[140:141]
	v_add_f64_e32 v[196:197], v[176:177], v[174:175]
	v_mul_f64_e32 v[140:141], v[6:7], v[140:141]
	ds_load_b128 v[174:177], v2 offset:1536
	v_fmac_f64_e32 v[190:191], v[184:185], v[134:135]
	v_fma_f64 v[182:183], v[182:183], v[134:135], -v[136:137]
	scratch_load_b128 v[134:137], off, off offset:768
	v_add_f64_e32 v[186:187], v[186:187], v[192:193]
	v_fmac_f64_e32 v[188:189], v[6:7], v[138:139]
	v_add_f64_e32 v[184:185], v[196:197], v[194:195]
	;; [unrolled: 18-line block ×6, first 2 shown]
	v_fma_f64 v[194:195], v[4:5], v[162:163], -v[164:165]
	ds_load_b128 v[4:7], v2 offset:1680
	s_wait_loadcnt_dscnt 0xa01
	v_mul_f64_e32 v[188:189], v[174:175], v[12:13]
	v_mul_f64_e32 v[12:13], v[176:177], v[12:13]
	scratch_load_b128 v[162:165], off, off offset:912
	v_add_f64_e32 v[186:187], v[186:187], v[192:193]
	s_wait_loadcnt_dscnt 0xa00
	v_mul_f64_e32 v[192:193], v[4:5], v[132:133]
	v_add_f64_e32 v[196:197], v[184:185], v[182:183]
	v_mul_f64_e32 v[132:133], v[6:7], v[132:133]
	ds_load_b128 v[182:185], v2 offset:1696
	v_fmac_f64_e32 v[188:189], v[176:177], v[10:11]
	v_fma_f64 v[10:11], v[174:175], v[10:11], -v[12:13]
	s_wait_loadcnt_dscnt 0x900
	v_mul_f64_e32 v[176:177], v[182:183], v[136:137]
	v_mul_f64_e32 v[136:137], v[184:185], v[136:137]
	v_add_f64_e32 v[174:175], v[186:187], v[190:191]
	v_fmac_f64_e32 v[192:193], v[6:7], v[130:131]
	v_add_f64_e32 v[12:13], v[196:197], v[194:195]
	v_fma_f64 v[130:131], v[4:5], v[130:131], -v[132:133]
	v_fmac_f64_e32 v[176:177], v[184:185], v[134:135]
	v_fma_f64 v[134:135], v[182:183], v[134:135], -v[136:137]
	v_add_f64_e32 v[174:175], v[174:175], v[188:189]
	v_add_f64_e32 v[132:133], v[12:13], v[10:11]
	ds_load_b128 v[4:7], v2 offset:1712
	ds_load_b128 v[10:13], v2 offset:1728
	s_wait_loadcnt_dscnt 0x801
	v_mul_f64_e32 v[186:187], v[4:5], v[140:141]
	v_mul_f64_e32 v[140:141], v[6:7], v[140:141]
	s_wait_loadcnt_dscnt 0x700
	v_mul_f64_e32 v[136:137], v[10:11], v[144:145]
	v_mul_f64_e32 v[144:145], v[12:13], v[144:145]
	v_add_f64_e32 v[130:131], v[132:133], v[130:131]
	v_add_f64_e32 v[132:133], v[174:175], v[192:193]
	v_fmac_f64_e32 v[186:187], v[6:7], v[138:139]
	v_fma_f64 v[138:139], v[4:5], v[138:139], -v[140:141]
	v_fmac_f64_e32 v[136:137], v[12:13], v[142:143]
	v_fma_f64 v[10:11], v[10:11], v[142:143], -v[144:145]
	v_add_f64_e32 v[134:135], v[130:131], v[134:135]
	v_add_f64_e32 v[140:141], v[132:133], v[176:177]
	ds_load_b128 v[4:7], v2 offset:1744
	ds_load_b128 v[130:133], v2 offset:1760
	s_wait_loadcnt_dscnt 0x601
	v_mul_f64_e32 v[174:175], v[4:5], v[148:149]
	v_mul_f64_e32 v[148:149], v[6:7], v[148:149]
	v_add_f64_e32 v[12:13], v[134:135], v[138:139]
	v_add_f64_e32 v[134:135], v[140:141], v[186:187]
	s_wait_loadcnt_dscnt 0x500
	v_mul_f64_e32 v[138:139], v[130:131], v[152:153]
	v_mul_f64_e32 v[140:141], v[132:133], v[152:153]
	v_fmac_f64_e32 v[174:175], v[6:7], v[146:147]
	v_fma_f64 v[142:143], v[4:5], v[146:147], -v[148:149]
	v_add_f64_e32 v[144:145], v[12:13], v[10:11]
	v_add_f64_e32 v[134:135], v[134:135], v[136:137]
	ds_load_b128 v[4:7], v2 offset:1776
	ds_load_b128 v[10:13], v2 offset:1792
	v_fmac_f64_e32 v[138:139], v[132:133], v[150:151]
	v_fma_f64 v[130:131], v[130:131], v[150:151], -v[140:141]
	s_wait_loadcnt_dscnt 0x401
	v_mul_f64_e32 v[136:137], v[4:5], v[156:157]
	v_mul_f64_e32 v[146:147], v[6:7], v[156:157]
	s_wait_loadcnt_dscnt 0x300
	v_mul_f64_e32 v[140:141], v[10:11], v[160:161]
	v_add_f64_e32 v[132:133], v[144:145], v[142:143]
	v_add_f64_e32 v[134:135], v[134:135], v[174:175]
	v_mul_f64_e32 v[142:143], v[12:13], v[160:161]
	v_fmac_f64_e32 v[136:137], v[6:7], v[154:155]
	v_fma_f64 v[144:145], v[4:5], v[154:155], -v[146:147]
	v_fmac_f64_e32 v[140:141], v[12:13], v[158:159]
	v_add_f64_e32 v[146:147], v[132:133], v[130:131]
	v_add_f64_e32 v[134:135], v[134:135], v[138:139]
	ds_load_b128 v[4:7], v2 offset:1808
	ds_load_b128 v[130:133], v2 offset:1824
	v_fma_f64 v[10:11], v[10:11], v[158:159], -v[142:143]
	s_wait_loadcnt_dscnt 0x201
	v_mul_f64_e32 v[138:139], v[4:5], v[168:169]
	v_mul_f64_e32 v[148:149], v[6:7], v[168:169]
	s_wait_loadcnt_dscnt 0x100
	v_mul_f64_e32 v[142:143], v[132:133], v[180:181]
	v_add_f64_e32 v[12:13], v[146:147], v[144:145]
	v_add_f64_e32 v[134:135], v[134:135], v[136:137]
	v_mul_f64_e32 v[136:137], v[130:131], v[180:181]
	v_fmac_f64_e32 v[138:139], v[6:7], v[166:167]
	v_fma_f64 v[144:145], v[4:5], v[166:167], -v[148:149]
	ds_load_b128 v[4:7], v2 offset:1840
	v_fma_f64 v[130:131], v[130:131], v[178:179], -v[142:143]
	v_add_f64_e32 v[10:11], v[12:13], v[10:11]
	v_add_f64_e32 v[12:13], v[134:135], v[140:141]
	v_fmac_f64_e32 v[136:137], v[132:133], v[178:179]
	s_wait_loadcnt_dscnt 0x0
	v_mul_f64_e32 v[134:135], v[4:5], v[164:165]
	v_mul_f64_e32 v[140:141], v[6:7], v[164:165]
	v_add_f64_e32 v[10:11], v[10:11], v[144:145]
	v_add_f64_e32 v[12:13], v[12:13], v[138:139]
	s_delay_alu instid0(VALU_DEP_4) | instskip(NEXT) | instid1(VALU_DEP_4)
	v_fmac_f64_e32 v[134:135], v[6:7], v[162:163]
	v_fma_f64 v[4:5], v[4:5], v[162:163], -v[140:141]
	s_delay_alu instid0(VALU_DEP_4) | instskip(NEXT) | instid1(VALU_DEP_4)
	v_add_f64_e32 v[6:7], v[10:11], v[130:131]
	v_add_f64_e32 v[10:11], v[12:13], v[136:137]
	s_delay_alu instid0(VALU_DEP_2) | instskip(NEXT) | instid1(VALU_DEP_2)
	v_add_f64_e32 v[4:5], v[6:7], v[4:5]
	v_add_f64_e32 v[6:7], v[10:11], v[134:135]
	s_delay_alu instid0(VALU_DEP_2) | instskip(NEXT) | instid1(VALU_DEP_2)
	v_add_f64_e64 v[4:5], v[170:171], -v[4:5]
	v_add_f64_e64 v[6:7], v[172:173], -v[6:7]
	scratch_store_b128 off, v[4:7], off offset:320
	s_wait_xcnt 0x0
	v_cmpx_lt_u32_e32 19, v1
	s_cbranch_execz .LBB57_323
; %bb.322:
	scratch_load_b128 v[10:13], off, s66
	v_dual_mov_b32 v3, v2 :: v_dual_mov_b32 v4, v2
	v_mov_b32_e32 v5, v2
	scratch_store_b128 off, v[2:5], off offset:304
	s_wait_loadcnt 0x0
	ds_store_b128 v8, v[10:13]
.LBB57_323:
	s_wait_xcnt 0x0
	s_or_b32 exec_lo, exec_lo, s2
	s_wait_storecnt_dscnt 0x0
	s_barrier_signal -1
	s_barrier_wait -1
	s_clause 0x9
	scratch_load_b128 v[4:7], off, off offset:320
	scratch_load_b128 v[10:13], off, off offset:336
	;; [unrolled: 1-line block ×10, first 2 shown]
	ds_load_b128 v[162:165], v2 offset:1248
	ds_load_b128 v[170:173], v2 offset:1264
	s_clause 0x2
	scratch_load_b128 v[166:169], off, off offset:480
	scratch_load_b128 v[174:177], off, off offset:304
	;; [unrolled: 1-line block ×3, first 2 shown]
	s_mov_b32 s2, exec_lo
	s_wait_loadcnt_dscnt 0xc01
	v_mul_f64_e32 v[182:183], v[164:165], v[6:7]
	v_mul_f64_e32 v[186:187], v[162:163], v[6:7]
	s_wait_loadcnt_dscnt 0xb00
	v_mul_f64_e32 v[188:189], v[170:171], v[12:13]
	v_mul_f64_e32 v[12:13], v[172:173], v[12:13]
	s_delay_alu instid0(VALU_DEP_4) | instskip(NEXT) | instid1(VALU_DEP_4)
	v_fma_f64 v[190:191], v[162:163], v[4:5], -v[182:183]
	v_fmac_f64_e32 v[186:187], v[164:165], v[4:5]
	ds_load_b128 v[4:7], v2 offset:1280
	ds_load_b128 v[162:165], v2 offset:1296
	scratch_load_b128 v[182:185], off, off offset:512
	v_fmac_f64_e32 v[188:189], v[172:173], v[10:11]
	v_fma_f64 v[170:171], v[170:171], v[10:11], -v[12:13]
	scratch_load_b128 v[10:13], off, off offset:528
	s_wait_loadcnt_dscnt 0xc01
	v_mul_f64_e32 v[192:193], v[4:5], v[132:133]
	v_mul_f64_e32 v[132:133], v[6:7], v[132:133]
	v_add_f64_e32 v[172:173], 0, v[190:191]
	v_add_f64_e32 v[186:187], 0, v[186:187]
	s_wait_loadcnt_dscnt 0xb00
	v_mul_f64_e32 v[190:191], v[162:163], v[136:137]
	v_mul_f64_e32 v[136:137], v[164:165], v[136:137]
	v_fmac_f64_e32 v[192:193], v[6:7], v[130:131]
	v_fma_f64 v[194:195], v[4:5], v[130:131], -v[132:133]
	ds_load_b128 v[4:7], v2 offset:1312
	ds_load_b128 v[130:133], v2 offset:1328
	v_add_f64_e32 v[196:197], v[172:173], v[170:171]
	v_add_f64_e32 v[186:187], v[186:187], v[188:189]
	scratch_load_b128 v[170:173], off, off offset:544
	v_fmac_f64_e32 v[190:191], v[164:165], v[134:135]
	v_fma_f64 v[162:163], v[162:163], v[134:135], -v[136:137]
	scratch_load_b128 v[134:137], off, off offset:560
	s_wait_loadcnt_dscnt 0xc01
	v_mul_f64_e32 v[188:189], v[4:5], v[140:141]
	v_mul_f64_e32 v[140:141], v[6:7], v[140:141]
	v_add_f64_e32 v[164:165], v[196:197], v[194:195]
	v_add_f64_e32 v[186:187], v[186:187], v[192:193]
	s_wait_loadcnt_dscnt 0xb00
	v_mul_f64_e32 v[192:193], v[130:131], v[144:145]
	v_mul_f64_e32 v[144:145], v[132:133], v[144:145]
	v_fmac_f64_e32 v[188:189], v[6:7], v[138:139]
	v_fma_f64 v[194:195], v[4:5], v[138:139], -v[140:141]
	ds_load_b128 v[4:7], v2 offset:1344
	ds_load_b128 v[138:141], v2 offset:1360
	v_add_f64_e32 v[196:197], v[164:165], v[162:163]
	v_add_f64_e32 v[186:187], v[186:187], v[190:191]
	scratch_load_b128 v[162:165], off, off offset:576
	s_wait_loadcnt_dscnt 0xb01
	v_mul_f64_e32 v[190:191], v[4:5], v[148:149]
	v_mul_f64_e32 v[148:149], v[6:7], v[148:149]
	v_fmac_f64_e32 v[192:193], v[132:133], v[142:143]
	v_fma_f64 v[142:143], v[130:131], v[142:143], -v[144:145]
	scratch_load_b128 v[130:133], off, off offset:592
	v_add_f64_e32 v[144:145], v[196:197], v[194:195]
	v_add_f64_e32 v[186:187], v[186:187], v[188:189]
	s_wait_loadcnt_dscnt 0xb00
	v_mul_f64_e32 v[188:189], v[138:139], v[152:153]
	v_mul_f64_e32 v[152:153], v[140:141], v[152:153]
	v_fmac_f64_e32 v[190:191], v[6:7], v[146:147]
	v_fma_f64 v[194:195], v[4:5], v[146:147], -v[148:149]
	v_add_f64_e32 v[196:197], v[144:145], v[142:143]
	v_add_f64_e32 v[186:187], v[186:187], v[192:193]
	ds_load_b128 v[4:7], v2 offset:1376
	ds_load_b128 v[142:145], v2 offset:1392
	scratch_load_b128 v[146:149], off, off offset:608
	v_fmac_f64_e32 v[188:189], v[140:141], v[150:151]
	v_fma_f64 v[150:151], v[138:139], v[150:151], -v[152:153]
	scratch_load_b128 v[138:141], off, off offset:624
	s_wait_loadcnt_dscnt 0xc01
	v_mul_f64_e32 v[192:193], v[4:5], v[156:157]
	v_mul_f64_e32 v[156:157], v[6:7], v[156:157]
	v_add_f64_e32 v[152:153], v[196:197], v[194:195]
	v_add_f64_e32 v[186:187], v[186:187], v[190:191]
	s_wait_loadcnt_dscnt 0xb00
	v_mul_f64_e32 v[190:191], v[142:143], v[160:161]
	v_mul_f64_e32 v[160:161], v[144:145], v[160:161]
	v_fmac_f64_e32 v[192:193], v[6:7], v[154:155]
	v_fma_f64 v[194:195], v[4:5], v[154:155], -v[156:157]
	v_add_f64_e32 v[196:197], v[152:153], v[150:151]
	v_add_f64_e32 v[186:187], v[186:187], v[188:189]
	ds_load_b128 v[4:7], v2 offset:1408
	ds_load_b128 v[150:153], v2 offset:1424
	scratch_load_b128 v[154:157], off, off offset:640
	v_fmac_f64_e32 v[190:191], v[144:145], v[158:159]
	v_fma_f64 v[158:159], v[142:143], v[158:159], -v[160:161]
	scratch_load_b128 v[142:145], off, off offset:656
	s_wait_loadcnt_dscnt 0xc01
	v_mul_f64_e32 v[188:189], v[4:5], v[168:169]
	v_mul_f64_e32 v[168:169], v[6:7], v[168:169]
	;; [unrolled: 18-line block ×5, first 2 shown]
	v_add_f64_e32 v[180:181], v[196:197], v[194:195]
	v_add_f64_e32 v[186:187], v[186:187], v[192:193]
	s_wait_loadcnt_dscnt 0xa00
	v_mul_f64_e32 v[192:193], v[158:159], v[132:133]
	v_mul_f64_e32 v[132:133], v[160:161], v[132:133]
	v_fmac_f64_e32 v[188:189], v[6:7], v[162:163]
	v_fma_f64 v[194:195], v[4:5], v[162:163], -v[164:165]
	ds_load_b128 v[4:7], v2 offset:1536
	ds_load_b128 v[162:165], v2 offset:1552
	v_add_f64_e32 v[196:197], v[180:181], v[178:179]
	v_add_f64_e32 v[186:187], v[186:187], v[190:191]
	scratch_load_b128 v[178:181], off, off offset:768
	v_fmac_f64_e32 v[192:193], v[160:161], v[130:131]
	v_fma_f64 v[158:159], v[158:159], v[130:131], -v[132:133]
	scratch_load_b128 v[130:133], off, off offset:784
	s_wait_loadcnt_dscnt 0xb01
	v_mul_f64_e32 v[190:191], v[4:5], v[148:149]
	v_mul_f64_e32 v[148:149], v[6:7], v[148:149]
	v_add_f64_e32 v[160:161], v[196:197], v[194:195]
	v_add_f64_e32 v[186:187], v[186:187], v[188:189]
	s_wait_loadcnt_dscnt 0xa00
	v_mul_f64_e32 v[188:189], v[162:163], v[140:141]
	v_mul_f64_e32 v[140:141], v[164:165], v[140:141]
	v_fmac_f64_e32 v[190:191], v[6:7], v[146:147]
	v_fma_f64 v[194:195], v[4:5], v[146:147], -v[148:149]
	ds_load_b128 v[4:7], v2 offset:1568
	ds_load_b128 v[146:149], v2 offset:1584
	v_add_f64_e32 v[196:197], v[160:161], v[158:159]
	v_add_f64_e32 v[186:187], v[186:187], v[192:193]
	scratch_load_b128 v[158:161], off, off offset:800
	s_wait_loadcnt_dscnt 0xa01
	v_mul_f64_e32 v[192:193], v[4:5], v[156:157]
	v_mul_f64_e32 v[156:157], v[6:7], v[156:157]
	v_fmac_f64_e32 v[188:189], v[164:165], v[138:139]
	v_fma_f64 v[162:163], v[162:163], v[138:139], -v[140:141]
	scratch_load_b128 v[138:141], off, off offset:816
	v_add_f64_e32 v[164:165], v[196:197], v[194:195]
	v_add_f64_e32 v[186:187], v[186:187], v[190:191]
	s_wait_loadcnt_dscnt 0xa00
	v_mul_f64_e32 v[190:191], v[146:147], v[144:145]
	v_mul_f64_e32 v[144:145], v[148:149], v[144:145]
	v_fmac_f64_e32 v[192:193], v[6:7], v[154:155]
	v_fma_f64 v[194:195], v[4:5], v[154:155], -v[156:157]
	ds_load_b128 v[4:7], v2 offset:1600
	ds_load_b128 v[154:157], v2 offset:1616
	v_add_f64_e32 v[196:197], v[164:165], v[162:163]
	v_add_f64_e32 v[186:187], v[186:187], v[188:189]
	scratch_load_b128 v[162:165], off, off offset:832
	s_wait_loadcnt_dscnt 0xa01
	v_mul_f64_e32 v[188:189], v[4:5], v[168:169]
	v_mul_f64_e32 v[168:169], v[6:7], v[168:169]
	v_fmac_f64_e32 v[190:191], v[148:149], v[142:143]
	v_fma_f64 v[146:147], v[146:147], v[142:143], -v[144:145]
	scratch_load_b128 v[142:145], off, off offset:848
	v_add_f64_e32 v[148:149], v[196:197], v[194:195]
	v_add_f64_e32 v[186:187], v[186:187], v[192:193]
	s_wait_loadcnt_dscnt 0xa00
	v_mul_f64_e32 v[192:193], v[154:155], v[152:153]
	v_mul_f64_e32 v[152:153], v[156:157], v[152:153]
	v_fmac_f64_e32 v[188:189], v[6:7], v[166:167]
	v_fma_f64 v[194:195], v[4:5], v[166:167], -v[168:169]
	v_add_f64_e32 v[196:197], v[148:149], v[146:147]
	v_add_f64_e32 v[186:187], v[186:187], v[190:191]
	ds_load_b128 v[4:7], v2 offset:1632
	ds_load_b128 v[146:149], v2 offset:1648
	scratch_load_b128 v[166:169], off, off offset:864
	v_fmac_f64_e32 v[192:193], v[156:157], v[150:151]
	v_fma_f64 v[154:155], v[154:155], v[150:151], -v[152:153]
	scratch_load_b128 v[150:153], off, off offset:880
	s_wait_loadcnt_dscnt 0xb01
	v_mul_f64_e32 v[190:191], v[4:5], v[184:185]
	v_mul_f64_e32 v[184:185], v[6:7], v[184:185]
	v_add_f64_e32 v[156:157], v[196:197], v[194:195]
	v_add_f64_e32 v[186:187], v[186:187], v[188:189]
	s_wait_loadcnt_dscnt 0xa00
	v_mul_f64_e32 v[188:189], v[146:147], v[12:13]
	v_mul_f64_e32 v[12:13], v[148:149], v[12:13]
	v_fmac_f64_e32 v[190:191], v[6:7], v[182:183]
	v_fma_f64 v[194:195], v[4:5], v[182:183], -v[184:185]
	v_add_f64_e32 v[196:197], v[156:157], v[154:155]
	v_add_f64_e32 v[186:187], v[186:187], v[192:193]
	ds_load_b128 v[4:7], v2 offset:1664
	ds_load_b128 v[154:157], v2 offset:1680
	scratch_load_b128 v[182:185], off, off offset:896
	v_fmac_f64_e32 v[188:189], v[148:149], v[10:11]
	v_fma_f64 v[146:147], v[146:147], v[10:11], -v[12:13]
	scratch_load_b128 v[10:13], off, off offset:912
	s_wait_loadcnt_dscnt 0xb01
	v_mul_f64_e32 v[192:193], v[4:5], v[172:173]
	v_mul_f64_e32 v[172:173], v[6:7], v[172:173]
	v_add_f64_e32 v[148:149], v[196:197], v[194:195]
	v_add_f64_e32 v[186:187], v[186:187], v[190:191]
	s_wait_loadcnt_dscnt 0xa00
	v_mul_f64_e32 v[190:191], v[154:155], v[136:137]
	v_mul_f64_e32 v[136:137], v[156:157], v[136:137]
	v_fmac_f64_e32 v[192:193], v[6:7], v[170:171]
	v_fma_f64 v[170:171], v[4:5], v[170:171], -v[172:173]
	v_add_f64_e32 v[172:173], v[148:149], v[146:147]
	v_add_f64_e32 v[186:187], v[186:187], v[188:189]
	ds_load_b128 v[4:7], v2 offset:1696
	ds_load_b128 v[146:149], v2 offset:1712
	v_fmac_f64_e32 v[190:191], v[156:157], v[134:135]
	v_fma_f64 v[134:135], v[154:155], v[134:135], -v[136:137]
	s_wait_loadcnt_dscnt 0x901
	v_mul_f64_e32 v[188:189], v[4:5], v[180:181]
	v_mul_f64_e32 v[180:181], v[6:7], v[180:181]
	s_wait_loadcnt_dscnt 0x800
	v_mul_f64_e32 v[156:157], v[146:147], v[132:133]
	v_add_f64_e32 v[136:137], v[172:173], v[170:171]
	v_add_f64_e32 v[154:155], v[186:187], v[192:193]
	v_mul_f64_e32 v[170:171], v[148:149], v[132:133]
	v_fmac_f64_e32 v[188:189], v[6:7], v[178:179]
	v_fma_f64 v[172:173], v[4:5], v[178:179], -v[180:181]
	v_fmac_f64_e32 v[156:157], v[148:149], v[130:131]
	v_add_f64_e32 v[136:137], v[136:137], v[134:135]
	v_add_f64_e32 v[154:155], v[154:155], v[190:191]
	ds_load_b128 v[4:7], v2 offset:1728
	ds_load_b128 v[132:135], v2 offset:1744
	v_fma_f64 v[130:131], v[146:147], v[130:131], -v[170:171]
	s_wait_loadcnt_dscnt 0x701
	v_mul_f64_e32 v[178:179], v[4:5], v[160:161]
	v_mul_f64_e32 v[160:161], v[6:7], v[160:161]
	v_add_f64_e32 v[136:137], v[136:137], v[172:173]
	v_add_f64_e32 v[146:147], v[154:155], v[188:189]
	s_wait_loadcnt_dscnt 0x600
	v_mul_f64_e32 v[154:155], v[132:133], v[140:141]
	v_mul_f64_e32 v[140:141], v[134:135], v[140:141]
	v_fmac_f64_e32 v[178:179], v[6:7], v[158:159]
	v_fma_f64 v[158:159], v[4:5], v[158:159], -v[160:161]
	v_add_f64_e32 v[130:131], v[136:137], v[130:131]
	v_add_f64_e32 v[136:137], v[146:147], v[156:157]
	ds_load_b128 v[4:7], v2 offset:1760
	ds_load_b128 v[146:149], v2 offset:1776
	v_fmac_f64_e32 v[154:155], v[134:135], v[138:139]
	v_fma_f64 v[132:133], v[132:133], v[138:139], -v[140:141]
	s_wait_loadcnt_dscnt 0x501
	v_mul_f64_e32 v[156:157], v[4:5], v[164:165]
	v_mul_f64_e32 v[160:161], v[6:7], v[164:165]
	s_wait_loadcnt_dscnt 0x400
	v_mul_f64_e32 v[138:139], v[148:149], v[144:145]
	v_add_f64_e32 v[130:131], v[130:131], v[158:159]
	v_add_f64_e32 v[134:135], v[136:137], v[178:179]
	v_mul_f64_e32 v[136:137], v[146:147], v[144:145]
	v_fmac_f64_e32 v[156:157], v[6:7], v[162:163]
	v_fma_f64 v[140:141], v[4:5], v[162:163], -v[160:161]
	v_fma_f64 v[138:139], v[146:147], v[142:143], -v[138:139]
	v_add_f64_e32 v[144:145], v[130:131], v[132:133]
	v_add_f64_e32 v[134:135], v[134:135], v[154:155]
	ds_load_b128 v[4:7], v2 offset:1792
	ds_load_b128 v[130:133], v2 offset:1808
	v_fmac_f64_e32 v[136:137], v[148:149], v[142:143]
	s_wait_loadcnt_dscnt 0x301
	v_mul_f64_e32 v[154:155], v[4:5], v[168:169]
	v_mul_f64_e32 v[158:159], v[6:7], v[168:169]
	s_wait_loadcnt_dscnt 0x200
	v_mul_f64_e32 v[142:143], v[130:131], v[152:153]
	v_add_f64_e32 v[140:141], v[144:145], v[140:141]
	v_add_f64_e32 v[134:135], v[134:135], v[156:157]
	v_mul_f64_e32 v[144:145], v[132:133], v[152:153]
	v_fmac_f64_e32 v[154:155], v[6:7], v[166:167]
	v_fma_f64 v[146:147], v[4:5], v[166:167], -v[158:159]
	v_fmac_f64_e32 v[142:143], v[132:133], v[150:151]
	v_add_f64_e32 v[138:139], v[140:141], v[138:139]
	v_add_f64_e32 v[140:141], v[134:135], v[136:137]
	ds_load_b128 v[4:7], v2 offset:1824
	ds_load_b128 v[134:137], v2 offset:1840
	v_fma_f64 v[130:131], v[130:131], v[150:151], -v[144:145]
	s_wait_loadcnt_dscnt 0x101
	v_mul_f64_e32 v[2:3], v[4:5], v[184:185]
	v_mul_f64_e32 v[148:149], v[6:7], v[184:185]
	v_add_f64_e32 v[132:133], v[138:139], v[146:147]
	v_add_f64_e32 v[138:139], v[140:141], v[154:155]
	s_wait_loadcnt_dscnt 0x0
	v_mul_f64_e32 v[140:141], v[134:135], v[12:13]
	v_mul_f64_e32 v[12:13], v[136:137], v[12:13]
	v_fmac_f64_e32 v[2:3], v[6:7], v[182:183]
	v_fma_f64 v[4:5], v[4:5], v[182:183], -v[148:149]
	v_add_f64_e32 v[6:7], v[132:133], v[130:131]
	v_add_f64_e32 v[130:131], v[138:139], v[142:143]
	v_fmac_f64_e32 v[140:141], v[136:137], v[10:11]
	v_fma_f64 v[10:11], v[134:135], v[10:11], -v[12:13]
	s_delay_alu instid0(VALU_DEP_4) | instskip(NEXT) | instid1(VALU_DEP_4)
	v_add_f64_e32 v[4:5], v[6:7], v[4:5]
	v_add_f64_e32 v[2:3], v[130:131], v[2:3]
	s_delay_alu instid0(VALU_DEP_2) | instskip(NEXT) | instid1(VALU_DEP_2)
	v_add_f64_e32 v[4:5], v[4:5], v[10:11]
	v_add_f64_e32 v[6:7], v[2:3], v[140:141]
	s_delay_alu instid0(VALU_DEP_2) | instskip(NEXT) | instid1(VALU_DEP_2)
	v_add_f64_e64 v[2:3], v[174:175], -v[4:5]
	v_add_f64_e64 v[4:5], v[176:177], -v[6:7]
	scratch_store_b128 off, v[2:5], off offset:304
	s_wait_xcnt 0x0
	v_cmpx_lt_u32_e32 18, v1
	s_cbranch_execz .LBB57_325
; %bb.324:
	scratch_load_b128 v[2:5], off, s64
	v_mov_b32_e32 v10, 0
	s_delay_alu instid0(VALU_DEP_1)
	v_dual_mov_b32 v11, v10 :: v_dual_mov_b32 v12, v10
	v_mov_b32_e32 v13, v10
	scratch_store_b128 off, v[10:13], off offset:288
	s_wait_loadcnt 0x0
	ds_store_b128 v8, v[2:5]
.LBB57_325:
	s_wait_xcnt 0x0
	s_or_b32 exec_lo, exec_lo, s2
	s_wait_storecnt_dscnt 0x0
	s_barrier_signal -1
	s_barrier_wait -1
	s_clause 0x9
	scratch_load_b128 v[4:7], off, off offset:304
	scratch_load_b128 v[10:13], off, off offset:320
	;; [unrolled: 1-line block ×10, first 2 shown]
	v_mov_b32_e32 v2, 0
	s_mov_b32 s2, exec_lo
	ds_load_b128 v[162:165], v2 offset:1232
	s_clause 0x2
	scratch_load_b128 v[166:169], off, off offset:464
	scratch_load_b128 v[170:173], off, off offset:288
	;; [unrolled: 1-line block ×3, first 2 shown]
	s_wait_loadcnt_dscnt 0xc00
	v_mul_f64_e32 v[182:183], v[164:165], v[6:7]
	v_mul_f64_e32 v[186:187], v[162:163], v[6:7]
	ds_load_b128 v[174:177], v2 offset:1248
	v_fma_f64 v[190:191], v[162:163], v[4:5], -v[182:183]
	v_fmac_f64_e32 v[186:187], v[164:165], v[4:5]
	ds_load_b128 v[4:7], v2 offset:1264
	s_wait_loadcnt_dscnt 0xb01
	v_mul_f64_e32 v[188:189], v[174:175], v[12:13]
	v_mul_f64_e32 v[12:13], v[176:177], v[12:13]
	scratch_load_b128 v[162:165], off, off offset:496
	ds_load_b128 v[182:185], v2 offset:1280
	s_wait_loadcnt_dscnt 0xb01
	v_mul_f64_e32 v[192:193], v[4:5], v[132:133]
	v_mul_f64_e32 v[132:133], v[6:7], v[132:133]
	v_add_f64_e32 v[186:187], 0, v[186:187]
	v_fmac_f64_e32 v[188:189], v[176:177], v[10:11]
	v_fma_f64 v[174:175], v[174:175], v[10:11], -v[12:13]
	v_add_f64_e32 v[176:177], 0, v[190:191]
	scratch_load_b128 v[10:13], off, off offset:512
	v_fmac_f64_e32 v[192:193], v[6:7], v[130:131]
	v_fma_f64 v[194:195], v[4:5], v[130:131], -v[132:133]
	ds_load_b128 v[4:7], v2 offset:1296
	s_wait_loadcnt_dscnt 0xb01
	v_mul_f64_e32 v[190:191], v[182:183], v[136:137]
	v_mul_f64_e32 v[136:137], v[184:185], v[136:137]
	scratch_load_b128 v[130:133], off, off offset:528
	v_add_f64_e32 v[186:187], v[186:187], v[188:189]
	v_add_f64_e32 v[196:197], v[176:177], v[174:175]
	ds_load_b128 v[174:177], v2 offset:1312
	s_wait_loadcnt_dscnt 0xb01
	v_mul_f64_e32 v[188:189], v[4:5], v[140:141]
	v_mul_f64_e32 v[140:141], v[6:7], v[140:141]
	v_fmac_f64_e32 v[190:191], v[184:185], v[134:135]
	v_fma_f64 v[182:183], v[182:183], v[134:135], -v[136:137]
	scratch_load_b128 v[134:137], off, off offset:544
	v_add_f64_e32 v[186:187], v[186:187], v[192:193]
	v_add_f64_e32 v[184:185], v[196:197], v[194:195]
	v_fmac_f64_e32 v[188:189], v[6:7], v[138:139]
	v_fma_f64 v[194:195], v[4:5], v[138:139], -v[140:141]
	ds_load_b128 v[4:7], v2 offset:1328
	s_wait_loadcnt_dscnt 0xb01
	v_mul_f64_e32 v[192:193], v[174:175], v[144:145]
	v_mul_f64_e32 v[144:145], v[176:177], v[144:145]
	scratch_load_b128 v[138:141], off, off offset:560
	v_add_f64_e32 v[186:187], v[186:187], v[190:191]
	s_wait_loadcnt_dscnt 0xb00
	v_mul_f64_e32 v[190:191], v[4:5], v[148:149]
	v_add_f64_e32 v[196:197], v[184:185], v[182:183]
	v_mul_f64_e32 v[148:149], v[6:7], v[148:149]
	ds_load_b128 v[182:185], v2 offset:1344
	v_fmac_f64_e32 v[192:193], v[176:177], v[142:143]
	v_fma_f64 v[174:175], v[174:175], v[142:143], -v[144:145]
	scratch_load_b128 v[142:145], off, off offset:576
	v_add_f64_e32 v[186:187], v[186:187], v[188:189]
	v_fmac_f64_e32 v[190:191], v[6:7], v[146:147]
	v_add_f64_e32 v[176:177], v[196:197], v[194:195]
	v_fma_f64 v[194:195], v[4:5], v[146:147], -v[148:149]
	ds_load_b128 v[4:7], v2 offset:1360
	s_wait_loadcnt_dscnt 0xb01
	v_mul_f64_e32 v[188:189], v[182:183], v[152:153]
	v_mul_f64_e32 v[152:153], v[184:185], v[152:153]
	scratch_load_b128 v[146:149], off, off offset:592
	v_add_f64_e32 v[186:187], v[186:187], v[192:193]
	s_wait_loadcnt_dscnt 0xb00
	v_mul_f64_e32 v[192:193], v[4:5], v[156:157]
	v_add_f64_e32 v[196:197], v[176:177], v[174:175]
	v_mul_f64_e32 v[156:157], v[6:7], v[156:157]
	ds_load_b128 v[174:177], v2 offset:1376
	v_fmac_f64_e32 v[188:189], v[184:185], v[150:151]
	v_fma_f64 v[182:183], v[182:183], v[150:151], -v[152:153]
	scratch_load_b128 v[150:153], off, off offset:608
	v_add_f64_e32 v[186:187], v[186:187], v[190:191]
	v_fmac_f64_e32 v[192:193], v[6:7], v[154:155]
	v_add_f64_e32 v[184:185], v[196:197], v[194:195]
	;; [unrolled: 18-line block ×3, first 2 shown]
	v_fma_f64 v[194:195], v[4:5], v[166:167], -v[168:169]
	ds_load_b128 v[4:7], v2 offset:1424
	s_wait_loadcnt_dscnt 0xa01
	v_mul_f64_e32 v[192:193], v[182:183], v[180:181]
	v_mul_f64_e32 v[180:181], v[184:185], v[180:181]
	scratch_load_b128 v[166:169], off, off offset:656
	v_add_f64_e32 v[186:187], v[186:187], v[190:191]
	v_add_f64_e32 v[196:197], v[176:177], v[174:175]
	s_wait_loadcnt_dscnt 0xa00
	v_mul_f64_e32 v[190:191], v[4:5], v[164:165]
	v_mul_f64_e32 v[164:165], v[6:7], v[164:165]
	v_fmac_f64_e32 v[192:193], v[184:185], v[178:179]
	v_fma_f64 v[182:183], v[182:183], v[178:179], -v[180:181]
	ds_load_b128 v[174:177], v2 offset:1440
	scratch_load_b128 v[178:181], off, off offset:672
	v_add_f64_e32 v[186:187], v[186:187], v[188:189]
	v_add_f64_e32 v[184:185], v[196:197], v[194:195]
	v_fmac_f64_e32 v[190:191], v[6:7], v[162:163]
	v_fma_f64 v[194:195], v[4:5], v[162:163], -v[164:165]
	ds_load_b128 v[4:7], v2 offset:1456
	s_wait_loadcnt_dscnt 0xa01
	v_mul_f64_e32 v[188:189], v[174:175], v[12:13]
	v_mul_f64_e32 v[12:13], v[176:177], v[12:13]
	scratch_load_b128 v[162:165], off, off offset:688
	v_add_f64_e32 v[186:187], v[186:187], v[192:193]
	s_wait_loadcnt_dscnt 0xa00
	v_mul_f64_e32 v[192:193], v[4:5], v[132:133]
	v_add_f64_e32 v[196:197], v[184:185], v[182:183]
	v_mul_f64_e32 v[132:133], v[6:7], v[132:133]
	ds_load_b128 v[182:185], v2 offset:1472
	v_fmac_f64_e32 v[188:189], v[176:177], v[10:11]
	v_fma_f64 v[174:175], v[174:175], v[10:11], -v[12:13]
	scratch_load_b128 v[10:13], off, off offset:704
	v_add_f64_e32 v[186:187], v[186:187], v[190:191]
	v_fmac_f64_e32 v[192:193], v[6:7], v[130:131]
	v_add_f64_e32 v[176:177], v[196:197], v[194:195]
	v_fma_f64 v[194:195], v[4:5], v[130:131], -v[132:133]
	ds_load_b128 v[4:7], v2 offset:1488
	s_wait_loadcnt_dscnt 0xa01
	v_mul_f64_e32 v[190:191], v[182:183], v[136:137]
	v_mul_f64_e32 v[136:137], v[184:185], v[136:137]
	scratch_load_b128 v[130:133], off, off offset:720
	v_add_f64_e32 v[186:187], v[186:187], v[188:189]
	s_wait_loadcnt_dscnt 0xa00
	v_mul_f64_e32 v[188:189], v[4:5], v[140:141]
	v_add_f64_e32 v[196:197], v[176:177], v[174:175]
	v_mul_f64_e32 v[140:141], v[6:7], v[140:141]
	ds_load_b128 v[174:177], v2 offset:1504
	v_fmac_f64_e32 v[190:191], v[184:185], v[134:135]
	v_fma_f64 v[182:183], v[182:183], v[134:135], -v[136:137]
	scratch_load_b128 v[134:137], off, off offset:736
	v_add_f64_e32 v[186:187], v[186:187], v[192:193]
	v_fmac_f64_e32 v[188:189], v[6:7], v[138:139]
	v_add_f64_e32 v[184:185], v[196:197], v[194:195]
	;; [unrolled: 18-line block ×7, first 2 shown]
	v_fma_f64 v[194:195], v[4:5], v[130:131], -v[132:133]
	ds_load_b128 v[4:7], v2 offset:1680
	s_wait_loadcnt_dscnt 0xa01
	v_mul_f64_e32 v[190:191], v[182:183], v[136:137]
	v_mul_f64_e32 v[136:137], v[184:185], v[136:137]
	scratch_load_b128 v[130:133], off, off offset:912
	v_add_f64_e32 v[186:187], v[186:187], v[188:189]
	s_wait_loadcnt_dscnt 0xa00
	v_mul_f64_e32 v[188:189], v[4:5], v[140:141]
	v_add_f64_e32 v[196:197], v[176:177], v[174:175]
	v_mul_f64_e32 v[140:141], v[6:7], v[140:141]
	ds_load_b128 v[174:177], v2 offset:1696
	v_fmac_f64_e32 v[190:191], v[184:185], v[134:135]
	v_fma_f64 v[134:135], v[182:183], v[134:135], -v[136:137]
	s_wait_loadcnt_dscnt 0x900
	v_mul_f64_e32 v[184:185], v[174:175], v[144:145]
	v_mul_f64_e32 v[144:145], v[176:177], v[144:145]
	v_add_f64_e32 v[182:183], v[186:187], v[192:193]
	v_fmac_f64_e32 v[188:189], v[6:7], v[138:139]
	v_add_f64_e32 v[136:137], v[196:197], v[194:195]
	v_fma_f64 v[138:139], v[4:5], v[138:139], -v[140:141]
	v_fmac_f64_e32 v[184:185], v[176:177], v[142:143]
	v_fma_f64 v[142:143], v[174:175], v[142:143], -v[144:145]
	v_add_f64_e32 v[182:183], v[182:183], v[190:191]
	v_add_f64_e32 v[140:141], v[136:137], v[134:135]
	ds_load_b128 v[4:7], v2 offset:1712
	ds_load_b128 v[134:137], v2 offset:1728
	s_wait_loadcnt_dscnt 0x801
	v_mul_f64_e32 v[186:187], v[4:5], v[148:149]
	v_mul_f64_e32 v[148:149], v[6:7], v[148:149]
	s_wait_loadcnt_dscnt 0x700
	v_mul_f64_e32 v[144:145], v[134:135], v[152:153]
	v_mul_f64_e32 v[152:153], v[136:137], v[152:153]
	v_add_f64_e32 v[138:139], v[140:141], v[138:139]
	v_add_f64_e32 v[140:141], v[182:183], v[188:189]
	v_fmac_f64_e32 v[186:187], v[6:7], v[146:147]
	v_fma_f64 v[146:147], v[4:5], v[146:147], -v[148:149]
	v_fmac_f64_e32 v[144:145], v[136:137], v[150:151]
	v_fma_f64 v[134:135], v[134:135], v[150:151], -v[152:153]
	v_add_f64_e32 v[142:143], v[138:139], v[142:143]
	v_add_f64_e32 v[148:149], v[140:141], v[184:185]
	ds_load_b128 v[4:7], v2 offset:1744
	ds_load_b128 v[138:141], v2 offset:1760
	s_wait_loadcnt_dscnt 0x601
	v_mul_f64_e32 v[174:175], v[4:5], v[156:157]
	v_mul_f64_e32 v[156:157], v[6:7], v[156:157]
	v_add_f64_e32 v[136:137], v[142:143], v[146:147]
	v_add_f64_e32 v[142:143], v[148:149], v[186:187]
	s_wait_loadcnt_dscnt 0x500
	v_mul_f64_e32 v[146:147], v[138:139], v[160:161]
	v_mul_f64_e32 v[148:149], v[140:141], v[160:161]
	v_fmac_f64_e32 v[174:175], v[6:7], v[154:155]
	v_fma_f64 v[150:151], v[4:5], v[154:155], -v[156:157]
	v_add_f64_e32 v[152:153], v[136:137], v[134:135]
	v_add_f64_e32 v[142:143], v[142:143], v[144:145]
	ds_load_b128 v[4:7], v2 offset:1776
	ds_load_b128 v[134:137], v2 offset:1792
	v_fmac_f64_e32 v[146:147], v[140:141], v[158:159]
	v_fma_f64 v[138:139], v[138:139], v[158:159], -v[148:149]
	s_wait_loadcnt_dscnt 0x401
	v_mul_f64_e32 v[144:145], v[4:5], v[168:169]
	v_mul_f64_e32 v[154:155], v[6:7], v[168:169]
	s_wait_loadcnt_dscnt 0x300
	v_mul_f64_e32 v[148:149], v[134:135], v[180:181]
	v_add_f64_e32 v[140:141], v[152:153], v[150:151]
	v_add_f64_e32 v[142:143], v[142:143], v[174:175]
	v_mul_f64_e32 v[150:151], v[136:137], v[180:181]
	v_fmac_f64_e32 v[144:145], v[6:7], v[166:167]
	v_fma_f64 v[152:153], v[4:5], v[166:167], -v[154:155]
	v_fmac_f64_e32 v[148:149], v[136:137], v[178:179]
	v_add_f64_e32 v[154:155], v[140:141], v[138:139]
	v_add_f64_e32 v[142:143], v[142:143], v[146:147]
	ds_load_b128 v[4:7], v2 offset:1808
	ds_load_b128 v[138:141], v2 offset:1824
	v_fma_f64 v[134:135], v[134:135], v[178:179], -v[150:151]
	s_wait_loadcnt_dscnt 0x201
	v_mul_f64_e32 v[146:147], v[4:5], v[164:165]
	v_mul_f64_e32 v[156:157], v[6:7], v[164:165]
	v_add_f64_e32 v[136:137], v[154:155], v[152:153]
	v_add_f64_e32 v[142:143], v[142:143], v[144:145]
	s_wait_loadcnt_dscnt 0x100
	v_mul_f64_e32 v[144:145], v[138:139], v[12:13]
	v_mul_f64_e32 v[12:13], v[140:141], v[12:13]
	v_fmac_f64_e32 v[146:147], v[6:7], v[162:163]
	v_fma_f64 v[150:151], v[4:5], v[162:163], -v[156:157]
	ds_load_b128 v[4:7], v2 offset:1840
	v_add_f64_e32 v[134:135], v[136:137], v[134:135]
	v_add_f64_e32 v[136:137], v[142:143], v[148:149]
	v_fmac_f64_e32 v[144:145], v[140:141], v[10:11]
	v_fma_f64 v[10:11], v[138:139], v[10:11], -v[12:13]
	s_wait_loadcnt_dscnt 0x0
	v_mul_f64_e32 v[142:143], v[4:5], v[132:133]
	v_mul_f64_e32 v[132:133], v[6:7], v[132:133]
	v_add_f64_e32 v[12:13], v[134:135], v[150:151]
	v_add_f64_e32 v[134:135], v[136:137], v[146:147]
	s_delay_alu instid0(VALU_DEP_4) | instskip(NEXT) | instid1(VALU_DEP_4)
	v_fmac_f64_e32 v[142:143], v[6:7], v[130:131]
	v_fma_f64 v[4:5], v[4:5], v[130:131], -v[132:133]
	s_delay_alu instid0(VALU_DEP_4) | instskip(NEXT) | instid1(VALU_DEP_4)
	v_add_f64_e32 v[6:7], v[12:13], v[10:11]
	v_add_f64_e32 v[10:11], v[134:135], v[144:145]
	s_delay_alu instid0(VALU_DEP_2) | instskip(NEXT) | instid1(VALU_DEP_2)
	v_add_f64_e32 v[4:5], v[6:7], v[4:5]
	v_add_f64_e32 v[6:7], v[10:11], v[142:143]
	s_delay_alu instid0(VALU_DEP_2) | instskip(NEXT) | instid1(VALU_DEP_2)
	v_add_f64_e64 v[4:5], v[170:171], -v[4:5]
	v_add_f64_e64 v[6:7], v[172:173], -v[6:7]
	scratch_store_b128 off, v[4:7], off offset:288
	s_wait_xcnt 0x0
	v_cmpx_lt_u32_e32 17, v1
	s_cbranch_execz .LBB57_327
; %bb.326:
	scratch_load_b128 v[10:13], off, s62
	v_dual_mov_b32 v3, v2 :: v_dual_mov_b32 v4, v2
	v_mov_b32_e32 v5, v2
	scratch_store_b128 off, v[2:5], off offset:272
	s_wait_loadcnt 0x0
	ds_store_b128 v8, v[10:13]
.LBB57_327:
	s_wait_xcnt 0x0
	s_or_b32 exec_lo, exec_lo, s2
	s_wait_storecnt_dscnt 0x0
	s_barrier_signal -1
	s_barrier_wait -1
	s_clause 0x9
	scratch_load_b128 v[4:7], off, off offset:288
	scratch_load_b128 v[10:13], off, off offset:304
	;; [unrolled: 1-line block ×10, first 2 shown]
	ds_load_b128 v[162:165], v2 offset:1216
	ds_load_b128 v[170:173], v2 offset:1232
	s_clause 0x2
	scratch_load_b128 v[166:169], off, off offset:448
	scratch_load_b128 v[174:177], off, off offset:272
	;; [unrolled: 1-line block ×3, first 2 shown]
	s_mov_b32 s2, exec_lo
	s_wait_loadcnt_dscnt 0xc01
	v_mul_f64_e32 v[182:183], v[164:165], v[6:7]
	v_mul_f64_e32 v[186:187], v[162:163], v[6:7]
	s_wait_loadcnt_dscnt 0xb00
	v_mul_f64_e32 v[188:189], v[170:171], v[12:13]
	v_mul_f64_e32 v[12:13], v[172:173], v[12:13]
	s_delay_alu instid0(VALU_DEP_4) | instskip(NEXT) | instid1(VALU_DEP_4)
	v_fma_f64 v[190:191], v[162:163], v[4:5], -v[182:183]
	v_fmac_f64_e32 v[186:187], v[164:165], v[4:5]
	ds_load_b128 v[4:7], v2 offset:1248
	ds_load_b128 v[162:165], v2 offset:1264
	scratch_load_b128 v[182:185], off, off offset:480
	v_fmac_f64_e32 v[188:189], v[172:173], v[10:11]
	v_fma_f64 v[170:171], v[170:171], v[10:11], -v[12:13]
	scratch_load_b128 v[10:13], off, off offset:496
	s_wait_loadcnt_dscnt 0xc01
	v_mul_f64_e32 v[192:193], v[4:5], v[132:133]
	v_mul_f64_e32 v[132:133], v[6:7], v[132:133]
	v_add_f64_e32 v[172:173], 0, v[190:191]
	v_add_f64_e32 v[186:187], 0, v[186:187]
	s_wait_loadcnt_dscnt 0xb00
	v_mul_f64_e32 v[190:191], v[162:163], v[136:137]
	v_mul_f64_e32 v[136:137], v[164:165], v[136:137]
	v_fmac_f64_e32 v[192:193], v[6:7], v[130:131]
	v_fma_f64 v[194:195], v[4:5], v[130:131], -v[132:133]
	ds_load_b128 v[4:7], v2 offset:1280
	ds_load_b128 v[130:133], v2 offset:1296
	v_add_f64_e32 v[196:197], v[172:173], v[170:171]
	v_add_f64_e32 v[186:187], v[186:187], v[188:189]
	scratch_load_b128 v[170:173], off, off offset:512
	v_fmac_f64_e32 v[190:191], v[164:165], v[134:135]
	v_fma_f64 v[162:163], v[162:163], v[134:135], -v[136:137]
	scratch_load_b128 v[134:137], off, off offset:528
	s_wait_loadcnt_dscnt 0xc01
	v_mul_f64_e32 v[188:189], v[4:5], v[140:141]
	v_mul_f64_e32 v[140:141], v[6:7], v[140:141]
	v_add_f64_e32 v[164:165], v[196:197], v[194:195]
	v_add_f64_e32 v[186:187], v[186:187], v[192:193]
	s_wait_loadcnt_dscnt 0xb00
	v_mul_f64_e32 v[192:193], v[130:131], v[144:145]
	v_mul_f64_e32 v[144:145], v[132:133], v[144:145]
	v_fmac_f64_e32 v[188:189], v[6:7], v[138:139]
	v_fma_f64 v[194:195], v[4:5], v[138:139], -v[140:141]
	ds_load_b128 v[4:7], v2 offset:1312
	ds_load_b128 v[138:141], v2 offset:1328
	v_add_f64_e32 v[196:197], v[164:165], v[162:163]
	v_add_f64_e32 v[186:187], v[186:187], v[190:191]
	scratch_load_b128 v[162:165], off, off offset:544
	s_wait_loadcnt_dscnt 0xb01
	v_mul_f64_e32 v[190:191], v[4:5], v[148:149]
	v_mul_f64_e32 v[148:149], v[6:7], v[148:149]
	v_fmac_f64_e32 v[192:193], v[132:133], v[142:143]
	v_fma_f64 v[142:143], v[130:131], v[142:143], -v[144:145]
	scratch_load_b128 v[130:133], off, off offset:560
	v_add_f64_e32 v[144:145], v[196:197], v[194:195]
	v_add_f64_e32 v[186:187], v[186:187], v[188:189]
	s_wait_loadcnt_dscnt 0xb00
	v_mul_f64_e32 v[188:189], v[138:139], v[152:153]
	v_mul_f64_e32 v[152:153], v[140:141], v[152:153]
	v_fmac_f64_e32 v[190:191], v[6:7], v[146:147]
	v_fma_f64 v[194:195], v[4:5], v[146:147], -v[148:149]
	v_add_f64_e32 v[196:197], v[144:145], v[142:143]
	v_add_f64_e32 v[186:187], v[186:187], v[192:193]
	ds_load_b128 v[4:7], v2 offset:1344
	ds_load_b128 v[142:145], v2 offset:1360
	scratch_load_b128 v[146:149], off, off offset:576
	v_fmac_f64_e32 v[188:189], v[140:141], v[150:151]
	v_fma_f64 v[150:151], v[138:139], v[150:151], -v[152:153]
	scratch_load_b128 v[138:141], off, off offset:592
	s_wait_loadcnt_dscnt 0xc01
	v_mul_f64_e32 v[192:193], v[4:5], v[156:157]
	v_mul_f64_e32 v[156:157], v[6:7], v[156:157]
	v_add_f64_e32 v[152:153], v[196:197], v[194:195]
	v_add_f64_e32 v[186:187], v[186:187], v[190:191]
	s_wait_loadcnt_dscnt 0xb00
	v_mul_f64_e32 v[190:191], v[142:143], v[160:161]
	v_mul_f64_e32 v[160:161], v[144:145], v[160:161]
	v_fmac_f64_e32 v[192:193], v[6:7], v[154:155]
	v_fma_f64 v[194:195], v[4:5], v[154:155], -v[156:157]
	v_add_f64_e32 v[196:197], v[152:153], v[150:151]
	v_add_f64_e32 v[186:187], v[186:187], v[188:189]
	ds_load_b128 v[4:7], v2 offset:1376
	ds_load_b128 v[150:153], v2 offset:1392
	scratch_load_b128 v[154:157], off, off offset:608
	v_fmac_f64_e32 v[190:191], v[144:145], v[158:159]
	v_fma_f64 v[158:159], v[142:143], v[158:159], -v[160:161]
	scratch_load_b128 v[142:145], off, off offset:624
	s_wait_loadcnt_dscnt 0xc01
	v_mul_f64_e32 v[188:189], v[4:5], v[168:169]
	v_mul_f64_e32 v[168:169], v[6:7], v[168:169]
	;; [unrolled: 18-line block ×5, first 2 shown]
	v_add_f64_e32 v[180:181], v[196:197], v[194:195]
	v_add_f64_e32 v[186:187], v[186:187], v[192:193]
	s_wait_loadcnt_dscnt 0xa00
	v_mul_f64_e32 v[192:193], v[158:159], v[132:133]
	v_mul_f64_e32 v[132:133], v[160:161], v[132:133]
	v_fmac_f64_e32 v[188:189], v[6:7], v[162:163]
	v_fma_f64 v[194:195], v[4:5], v[162:163], -v[164:165]
	ds_load_b128 v[4:7], v2 offset:1504
	ds_load_b128 v[162:165], v2 offset:1520
	v_add_f64_e32 v[196:197], v[180:181], v[178:179]
	v_add_f64_e32 v[186:187], v[186:187], v[190:191]
	scratch_load_b128 v[178:181], off, off offset:736
	v_fmac_f64_e32 v[192:193], v[160:161], v[130:131]
	v_fma_f64 v[158:159], v[158:159], v[130:131], -v[132:133]
	scratch_load_b128 v[130:133], off, off offset:752
	s_wait_loadcnt_dscnt 0xb01
	v_mul_f64_e32 v[190:191], v[4:5], v[148:149]
	v_mul_f64_e32 v[148:149], v[6:7], v[148:149]
	v_add_f64_e32 v[160:161], v[196:197], v[194:195]
	v_add_f64_e32 v[186:187], v[186:187], v[188:189]
	s_wait_loadcnt_dscnt 0xa00
	v_mul_f64_e32 v[188:189], v[162:163], v[140:141]
	v_mul_f64_e32 v[140:141], v[164:165], v[140:141]
	v_fmac_f64_e32 v[190:191], v[6:7], v[146:147]
	v_fma_f64 v[194:195], v[4:5], v[146:147], -v[148:149]
	ds_load_b128 v[4:7], v2 offset:1536
	ds_load_b128 v[146:149], v2 offset:1552
	v_add_f64_e32 v[196:197], v[160:161], v[158:159]
	v_add_f64_e32 v[186:187], v[186:187], v[192:193]
	scratch_load_b128 v[158:161], off, off offset:768
	s_wait_loadcnt_dscnt 0xa01
	v_mul_f64_e32 v[192:193], v[4:5], v[156:157]
	v_mul_f64_e32 v[156:157], v[6:7], v[156:157]
	v_fmac_f64_e32 v[188:189], v[164:165], v[138:139]
	v_fma_f64 v[162:163], v[162:163], v[138:139], -v[140:141]
	scratch_load_b128 v[138:141], off, off offset:784
	v_add_f64_e32 v[164:165], v[196:197], v[194:195]
	v_add_f64_e32 v[186:187], v[186:187], v[190:191]
	s_wait_loadcnt_dscnt 0xa00
	v_mul_f64_e32 v[190:191], v[146:147], v[144:145]
	v_mul_f64_e32 v[144:145], v[148:149], v[144:145]
	v_fmac_f64_e32 v[192:193], v[6:7], v[154:155]
	v_fma_f64 v[194:195], v[4:5], v[154:155], -v[156:157]
	ds_load_b128 v[4:7], v2 offset:1568
	ds_load_b128 v[154:157], v2 offset:1584
	v_add_f64_e32 v[196:197], v[164:165], v[162:163]
	v_add_f64_e32 v[186:187], v[186:187], v[188:189]
	scratch_load_b128 v[162:165], off, off offset:800
	s_wait_loadcnt_dscnt 0xa01
	v_mul_f64_e32 v[188:189], v[4:5], v[168:169]
	v_mul_f64_e32 v[168:169], v[6:7], v[168:169]
	v_fmac_f64_e32 v[190:191], v[148:149], v[142:143]
	v_fma_f64 v[146:147], v[146:147], v[142:143], -v[144:145]
	scratch_load_b128 v[142:145], off, off offset:816
	v_add_f64_e32 v[148:149], v[196:197], v[194:195]
	v_add_f64_e32 v[186:187], v[186:187], v[192:193]
	s_wait_loadcnt_dscnt 0xa00
	v_mul_f64_e32 v[192:193], v[154:155], v[152:153]
	v_mul_f64_e32 v[152:153], v[156:157], v[152:153]
	v_fmac_f64_e32 v[188:189], v[6:7], v[166:167]
	v_fma_f64 v[194:195], v[4:5], v[166:167], -v[168:169]
	v_add_f64_e32 v[196:197], v[148:149], v[146:147]
	v_add_f64_e32 v[186:187], v[186:187], v[190:191]
	ds_load_b128 v[4:7], v2 offset:1600
	ds_load_b128 v[146:149], v2 offset:1616
	scratch_load_b128 v[166:169], off, off offset:832
	v_fmac_f64_e32 v[192:193], v[156:157], v[150:151]
	v_fma_f64 v[154:155], v[154:155], v[150:151], -v[152:153]
	scratch_load_b128 v[150:153], off, off offset:848
	s_wait_loadcnt_dscnt 0xb01
	v_mul_f64_e32 v[190:191], v[4:5], v[184:185]
	v_mul_f64_e32 v[184:185], v[6:7], v[184:185]
	v_add_f64_e32 v[156:157], v[196:197], v[194:195]
	v_add_f64_e32 v[186:187], v[186:187], v[188:189]
	s_wait_loadcnt_dscnt 0xa00
	v_mul_f64_e32 v[188:189], v[146:147], v[12:13]
	v_mul_f64_e32 v[12:13], v[148:149], v[12:13]
	v_fmac_f64_e32 v[190:191], v[6:7], v[182:183]
	v_fma_f64 v[194:195], v[4:5], v[182:183], -v[184:185]
	v_add_f64_e32 v[196:197], v[156:157], v[154:155]
	v_add_f64_e32 v[186:187], v[186:187], v[192:193]
	ds_load_b128 v[4:7], v2 offset:1632
	ds_load_b128 v[154:157], v2 offset:1648
	scratch_load_b128 v[182:185], off, off offset:864
	v_fmac_f64_e32 v[188:189], v[148:149], v[10:11]
	v_fma_f64 v[146:147], v[146:147], v[10:11], -v[12:13]
	scratch_load_b128 v[10:13], off, off offset:880
	s_wait_loadcnt_dscnt 0xb01
	v_mul_f64_e32 v[192:193], v[4:5], v[172:173]
	v_mul_f64_e32 v[172:173], v[6:7], v[172:173]
	;; [unrolled: 18-line block ×3, first 2 shown]
	v_add_f64_e32 v[156:157], v[196:197], v[194:195]
	v_add_f64_e32 v[186:187], v[186:187], v[192:193]
	s_wait_loadcnt_dscnt 0xa00
	v_mul_f64_e32 v[192:193], v[146:147], v[132:133]
	v_mul_f64_e32 v[132:133], v[148:149], v[132:133]
	v_fmac_f64_e32 v[188:189], v[6:7], v[178:179]
	v_fma_f64 v[178:179], v[4:5], v[178:179], -v[180:181]
	v_add_f64_e32 v[180:181], v[156:157], v[154:155]
	v_add_f64_e32 v[186:187], v[186:187], v[190:191]
	ds_load_b128 v[4:7], v2 offset:1696
	ds_load_b128 v[154:157], v2 offset:1712
	v_fmac_f64_e32 v[192:193], v[148:149], v[130:131]
	v_fma_f64 v[130:131], v[146:147], v[130:131], -v[132:133]
	s_wait_loadcnt_dscnt 0x901
	v_mul_f64_e32 v[190:191], v[4:5], v[160:161]
	v_mul_f64_e32 v[160:161], v[6:7], v[160:161]
	s_wait_loadcnt_dscnt 0x800
	v_mul_f64_e32 v[148:149], v[154:155], v[140:141]
	v_mul_f64_e32 v[140:141], v[156:157], v[140:141]
	v_add_f64_e32 v[132:133], v[180:181], v[178:179]
	v_add_f64_e32 v[146:147], v[186:187], v[188:189]
	v_fmac_f64_e32 v[190:191], v[6:7], v[158:159]
	v_fma_f64 v[158:159], v[4:5], v[158:159], -v[160:161]
	v_fmac_f64_e32 v[148:149], v[156:157], v[138:139]
	v_fma_f64 v[138:139], v[154:155], v[138:139], -v[140:141]
	v_add_f64_e32 v[160:161], v[132:133], v[130:131]
	v_add_f64_e32 v[146:147], v[146:147], v[192:193]
	ds_load_b128 v[4:7], v2 offset:1728
	ds_load_b128 v[130:133], v2 offset:1744
	s_wait_loadcnt_dscnt 0x701
	v_mul_f64_e32 v[178:179], v[4:5], v[164:165]
	v_mul_f64_e32 v[164:165], v[6:7], v[164:165]
	s_wait_loadcnt_dscnt 0x600
	v_mul_f64_e32 v[154:155], v[130:131], v[144:145]
	v_mul_f64_e32 v[144:145], v[132:133], v[144:145]
	v_add_f64_e32 v[140:141], v[160:161], v[158:159]
	v_add_f64_e32 v[146:147], v[146:147], v[190:191]
	v_fmac_f64_e32 v[178:179], v[6:7], v[162:163]
	v_fma_f64 v[156:157], v[4:5], v[162:163], -v[164:165]
	v_fmac_f64_e32 v[154:155], v[132:133], v[142:143]
	v_fma_f64 v[130:131], v[130:131], v[142:143], -v[144:145]
	v_add_f64_e32 v[158:159], v[140:141], v[138:139]
	v_add_f64_e32 v[146:147], v[146:147], v[148:149]
	ds_load_b128 v[4:7], v2 offset:1760
	ds_load_b128 v[138:141], v2 offset:1776
	s_wait_loadcnt_dscnt 0x501
	v_mul_f64_e32 v[148:149], v[4:5], v[168:169]
	v_mul_f64_e32 v[160:161], v[6:7], v[168:169]
	s_wait_loadcnt_dscnt 0x400
	v_mul_f64_e32 v[144:145], v[138:139], v[152:153]
	v_add_f64_e32 v[132:133], v[158:159], v[156:157]
	v_add_f64_e32 v[142:143], v[146:147], v[178:179]
	v_mul_f64_e32 v[146:147], v[140:141], v[152:153]
	v_fmac_f64_e32 v[148:149], v[6:7], v[166:167]
	v_fma_f64 v[152:153], v[4:5], v[166:167], -v[160:161]
	v_fmac_f64_e32 v[144:145], v[140:141], v[150:151]
	v_add_f64_e32 v[156:157], v[132:133], v[130:131]
	v_add_f64_e32 v[142:143], v[142:143], v[154:155]
	ds_load_b128 v[4:7], v2 offset:1792
	ds_load_b128 v[130:133], v2 offset:1808
	v_fma_f64 v[138:139], v[138:139], v[150:151], -v[146:147]
	s_wait_loadcnt_dscnt 0x301
	v_mul_f64_e32 v[154:155], v[4:5], v[184:185]
	v_mul_f64_e32 v[158:159], v[6:7], v[184:185]
	s_wait_loadcnt_dscnt 0x200
	v_mul_f64_e32 v[146:147], v[130:131], v[12:13]
	v_mul_f64_e32 v[12:13], v[132:133], v[12:13]
	v_add_f64_e32 v[140:141], v[156:157], v[152:153]
	v_add_f64_e32 v[142:143], v[142:143], v[148:149]
	v_fmac_f64_e32 v[154:155], v[6:7], v[182:183]
	v_fma_f64 v[148:149], v[4:5], v[182:183], -v[158:159]
	v_fmac_f64_e32 v[146:147], v[132:133], v[10:11]
	v_fma_f64 v[10:11], v[130:131], v[10:11], -v[12:13]
	v_add_f64_e32 v[150:151], v[140:141], v[138:139]
	v_add_f64_e32 v[142:143], v[142:143], v[144:145]
	ds_load_b128 v[4:7], v2 offset:1824
	ds_load_b128 v[138:141], v2 offset:1840
	s_wait_loadcnt_dscnt 0x101
	v_mul_f64_e32 v[2:3], v[4:5], v[172:173]
	v_mul_f64_e32 v[144:145], v[6:7], v[172:173]
	s_wait_loadcnt_dscnt 0x0
	v_mul_f64_e32 v[132:133], v[138:139], v[136:137]
	v_mul_f64_e32 v[136:137], v[140:141], v[136:137]
	v_add_f64_e32 v[12:13], v[150:151], v[148:149]
	v_add_f64_e32 v[130:131], v[142:143], v[154:155]
	v_fmac_f64_e32 v[2:3], v[6:7], v[170:171]
	v_fma_f64 v[4:5], v[4:5], v[170:171], -v[144:145]
	v_fmac_f64_e32 v[132:133], v[140:141], v[134:135]
	v_add_f64_e32 v[6:7], v[12:13], v[10:11]
	v_add_f64_e32 v[10:11], v[130:131], v[146:147]
	v_fma_f64 v[12:13], v[138:139], v[134:135], -v[136:137]
	s_delay_alu instid0(VALU_DEP_3) | instskip(NEXT) | instid1(VALU_DEP_3)
	v_add_f64_e32 v[4:5], v[6:7], v[4:5]
	v_add_f64_e32 v[2:3], v[10:11], v[2:3]
	s_delay_alu instid0(VALU_DEP_2) | instskip(NEXT) | instid1(VALU_DEP_2)
	v_add_f64_e32 v[4:5], v[4:5], v[12:13]
	v_add_f64_e32 v[6:7], v[2:3], v[132:133]
	s_delay_alu instid0(VALU_DEP_2) | instskip(NEXT) | instid1(VALU_DEP_2)
	v_add_f64_e64 v[2:3], v[174:175], -v[4:5]
	v_add_f64_e64 v[4:5], v[176:177], -v[6:7]
	scratch_store_b128 off, v[2:5], off offset:272
	s_wait_xcnt 0x0
	v_cmpx_lt_u32_e32 16, v1
	s_cbranch_execz .LBB57_329
; %bb.328:
	scratch_load_b128 v[2:5], off, s59
	v_mov_b32_e32 v10, 0
	s_delay_alu instid0(VALU_DEP_1)
	v_dual_mov_b32 v11, v10 :: v_dual_mov_b32 v12, v10
	v_mov_b32_e32 v13, v10
	scratch_store_b128 off, v[10:13], off offset:256
	s_wait_loadcnt 0x0
	ds_store_b128 v8, v[2:5]
.LBB57_329:
	s_wait_xcnt 0x0
	s_or_b32 exec_lo, exec_lo, s2
	s_wait_storecnt_dscnt 0x0
	s_barrier_signal -1
	s_barrier_wait -1
	s_clause 0x9
	scratch_load_b128 v[4:7], off, off offset:272
	scratch_load_b128 v[10:13], off, off offset:288
	;; [unrolled: 1-line block ×10, first 2 shown]
	v_mov_b32_e32 v2, 0
	s_mov_b32 s2, exec_lo
	ds_load_b128 v[162:165], v2 offset:1200
	s_clause 0x2
	scratch_load_b128 v[166:169], off, off offset:432
	scratch_load_b128 v[170:173], off, off offset:256
	;; [unrolled: 1-line block ×3, first 2 shown]
	s_wait_loadcnt_dscnt 0xc00
	v_mul_f64_e32 v[182:183], v[164:165], v[6:7]
	v_mul_f64_e32 v[186:187], v[162:163], v[6:7]
	ds_load_b128 v[174:177], v2 offset:1216
	v_fma_f64 v[190:191], v[162:163], v[4:5], -v[182:183]
	v_fmac_f64_e32 v[186:187], v[164:165], v[4:5]
	ds_load_b128 v[4:7], v2 offset:1232
	s_wait_loadcnt_dscnt 0xb01
	v_mul_f64_e32 v[188:189], v[174:175], v[12:13]
	v_mul_f64_e32 v[12:13], v[176:177], v[12:13]
	scratch_load_b128 v[162:165], off, off offset:464
	ds_load_b128 v[182:185], v2 offset:1248
	s_wait_loadcnt_dscnt 0xb01
	v_mul_f64_e32 v[192:193], v[4:5], v[132:133]
	v_mul_f64_e32 v[132:133], v[6:7], v[132:133]
	v_add_f64_e32 v[186:187], 0, v[186:187]
	v_fmac_f64_e32 v[188:189], v[176:177], v[10:11]
	v_fma_f64 v[174:175], v[174:175], v[10:11], -v[12:13]
	v_add_f64_e32 v[176:177], 0, v[190:191]
	scratch_load_b128 v[10:13], off, off offset:480
	v_fmac_f64_e32 v[192:193], v[6:7], v[130:131]
	v_fma_f64 v[194:195], v[4:5], v[130:131], -v[132:133]
	ds_load_b128 v[4:7], v2 offset:1264
	s_wait_loadcnt_dscnt 0xb01
	v_mul_f64_e32 v[190:191], v[182:183], v[136:137]
	v_mul_f64_e32 v[136:137], v[184:185], v[136:137]
	scratch_load_b128 v[130:133], off, off offset:496
	v_add_f64_e32 v[186:187], v[186:187], v[188:189]
	v_add_f64_e32 v[196:197], v[176:177], v[174:175]
	ds_load_b128 v[174:177], v2 offset:1280
	s_wait_loadcnt_dscnt 0xb01
	v_mul_f64_e32 v[188:189], v[4:5], v[140:141]
	v_mul_f64_e32 v[140:141], v[6:7], v[140:141]
	v_fmac_f64_e32 v[190:191], v[184:185], v[134:135]
	v_fma_f64 v[182:183], v[182:183], v[134:135], -v[136:137]
	scratch_load_b128 v[134:137], off, off offset:512
	v_add_f64_e32 v[186:187], v[186:187], v[192:193]
	v_add_f64_e32 v[184:185], v[196:197], v[194:195]
	v_fmac_f64_e32 v[188:189], v[6:7], v[138:139]
	v_fma_f64 v[194:195], v[4:5], v[138:139], -v[140:141]
	ds_load_b128 v[4:7], v2 offset:1296
	s_wait_loadcnt_dscnt 0xb01
	v_mul_f64_e32 v[192:193], v[174:175], v[144:145]
	v_mul_f64_e32 v[144:145], v[176:177], v[144:145]
	scratch_load_b128 v[138:141], off, off offset:528
	v_add_f64_e32 v[186:187], v[186:187], v[190:191]
	s_wait_loadcnt_dscnt 0xb00
	v_mul_f64_e32 v[190:191], v[4:5], v[148:149]
	v_add_f64_e32 v[196:197], v[184:185], v[182:183]
	v_mul_f64_e32 v[148:149], v[6:7], v[148:149]
	ds_load_b128 v[182:185], v2 offset:1312
	v_fmac_f64_e32 v[192:193], v[176:177], v[142:143]
	v_fma_f64 v[174:175], v[174:175], v[142:143], -v[144:145]
	scratch_load_b128 v[142:145], off, off offset:544
	v_add_f64_e32 v[186:187], v[186:187], v[188:189]
	v_fmac_f64_e32 v[190:191], v[6:7], v[146:147]
	v_add_f64_e32 v[176:177], v[196:197], v[194:195]
	v_fma_f64 v[194:195], v[4:5], v[146:147], -v[148:149]
	ds_load_b128 v[4:7], v2 offset:1328
	s_wait_loadcnt_dscnt 0xb01
	v_mul_f64_e32 v[188:189], v[182:183], v[152:153]
	v_mul_f64_e32 v[152:153], v[184:185], v[152:153]
	scratch_load_b128 v[146:149], off, off offset:560
	v_add_f64_e32 v[186:187], v[186:187], v[192:193]
	s_wait_loadcnt_dscnt 0xb00
	v_mul_f64_e32 v[192:193], v[4:5], v[156:157]
	v_add_f64_e32 v[196:197], v[176:177], v[174:175]
	v_mul_f64_e32 v[156:157], v[6:7], v[156:157]
	ds_load_b128 v[174:177], v2 offset:1344
	v_fmac_f64_e32 v[188:189], v[184:185], v[150:151]
	v_fma_f64 v[182:183], v[182:183], v[150:151], -v[152:153]
	scratch_load_b128 v[150:153], off, off offset:576
	v_add_f64_e32 v[186:187], v[186:187], v[190:191]
	v_fmac_f64_e32 v[192:193], v[6:7], v[154:155]
	v_add_f64_e32 v[184:185], v[196:197], v[194:195]
	;; [unrolled: 18-line block ×3, first 2 shown]
	v_fma_f64 v[194:195], v[4:5], v[166:167], -v[168:169]
	ds_load_b128 v[4:7], v2 offset:1392
	s_wait_loadcnt_dscnt 0xa01
	v_mul_f64_e32 v[192:193], v[182:183], v[180:181]
	v_mul_f64_e32 v[180:181], v[184:185], v[180:181]
	scratch_load_b128 v[166:169], off, off offset:624
	v_add_f64_e32 v[186:187], v[186:187], v[190:191]
	v_add_f64_e32 v[196:197], v[176:177], v[174:175]
	s_wait_loadcnt_dscnt 0xa00
	v_mul_f64_e32 v[190:191], v[4:5], v[164:165]
	v_mul_f64_e32 v[164:165], v[6:7], v[164:165]
	v_fmac_f64_e32 v[192:193], v[184:185], v[178:179]
	v_fma_f64 v[182:183], v[182:183], v[178:179], -v[180:181]
	ds_load_b128 v[174:177], v2 offset:1408
	scratch_load_b128 v[178:181], off, off offset:640
	v_add_f64_e32 v[186:187], v[186:187], v[188:189]
	v_add_f64_e32 v[184:185], v[196:197], v[194:195]
	v_fmac_f64_e32 v[190:191], v[6:7], v[162:163]
	v_fma_f64 v[194:195], v[4:5], v[162:163], -v[164:165]
	ds_load_b128 v[4:7], v2 offset:1424
	s_wait_loadcnt_dscnt 0xa01
	v_mul_f64_e32 v[188:189], v[174:175], v[12:13]
	v_mul_f64_e32 v[12:13], v[176:177], v[12:13]
	scratch_load_b128 v[162:165], off, off offset:656
	v_add_f64_e32 v[186:187], v[186:187], v[192:193]
	s_wait_loadcnt_dscnt 0xa00
	v_mul_f64_e32 v[192:193], v[4:5], v[132:133]
	v_add_f64_e32 v[196:197], v[184:185], v[182:183]
	v_mul_f64_e32 v[132:133], v[6:7], v[132:133]
	ds_load_b128 v[182:185], v2 offset:1440
	v_fmac_f64_e32 v[188:189], v[176:177], v[10:11]
	v_fma_f64 v[174:175], v[174:175], v[10:11], -v[12:13]
	scratch_load_b128 v[10:13], off, off offset:672
	v_add_f64_e32 v[186:187], v[186:187], v[190:191]
	v_fmac_f64_e32 v[192:193], v[6:7], v[130:131]
	v_add_f64_e32 v[176:177], v[196:197], v[194:195]
	v_fma_f64 v[194:195], v[4:5], v[130:131], -v[132:133]
	ds_load_b128 v[4:7], v2 offset:1456
	s_wait_loadcnt_dscnt 0xa01
	v_mul_f64_e32 v[190:191], v[182:183], v[136:137]
	v_mul_f64_e32 v[136:137], v[184:185], v[136:137]
	scratch_load_b128 v[130:133], off, off offset:688
	v_add_f64_e32 v[186:187], v[186:187], v[188:189]
	s_wait_loadcnt_dscnt 0xa00
	v_mul_f64_e32 v[188:189], v[4:5], v[140:141]
	v_add_f64_e32 v[196:197], v[176:177], v[174:175]
	v_mul_f64_e32 v[140:141], v[6:7], v[140:141]
	ds_load_b128 v[174:177], v2 offset:1472
	v_fmac_f64_e32 v[190:191], v[184:185], v[134:135]
	v_fma_f64 v[182:183], v[182:183], v[134:135], -v[136:137]
	scratch_load_b128 v[134:137], off, off offset:704
	v_add_f64_e32 v[186:187], v[186:187], v[192:193]
	v_fmac_f64_e32 v[188:189], v[6:7], v[138:139]
	v_add_f64_e32 v[184:185], v[196:197], v[194:195]
	;; [unrolled: 18-line block ×8, first 2 shown]
	v_fma_f64 v[194:195], v[4:5], v[138:139], -v[140:141]
	ds_load_b128 v[4:7], v2 offset:1680
	s_wait_loadcnt_dscnt 0xa01
	v_mul_f64_e32 v[192:193], v[174:175], v[144:145]
	v_mul_f64_e32 v[144:145], v[176:177], v[144:145]
	scratch_load_b128 v[138:141], off, off offset:912
	v_add_f64_e32 v[186:187], v[186:187], v[190:191]
	s_wait_loadcnt_dscnt 0xa00
	v_mul_f64_e32 v[190:191], v[4:5], v[148:149]
	v_add_f64_e32 v[196:197], v[184:185], v[182:183]
	v_mul_f64_e32 v[148:149], v[6:7], v[148:149]
	ds_load_b128 v[182:185], v2 offset:1696
	v_fmac_f64_e32 v[192:193], v[176:177], v[142:143]
	v_fma_f64 v[142:143], v[174:175], v[142:143], -v[144:145]
	s_wait_loadcnt_dscnt 0x900
	v_mul_f64_e32 v[176:177], v[182:183], v[152:153]
	v_mul_f64_e32 v[152:153], v[184:185], v[152:153]
	v_add_f64_e32 v[174:175], v[186:187], v[188:189]
	v_fmac_f64_e32 v[190:191], v[6:7], v[146:147]
	v_add_f64_e32 v[144:145], v[196:197], v[194:195]
	v_fma_f64 v[146:147], v[4:5], v[146:147], -v[148:149]
	v_fmac_f64_e32 v[176:177], v[184:185], v[150:151]
	v_fma_f64 v[150:151], v[182:183], v[150:151], -v[152:153]
	v_add_f64_e32 v[174:175], v[174:175], v[192:193]
	v_add_f64_e32 v[148:149], v[144:145], v[142:143]
	ds_load_b128 v[4:7], v2 offset:1712
	ds_load_b128 v[142:145], v2 offset:1728
	s_wait_loadcnt_dscnt 0x801
	v_mul_f64_e32 v[186:187], v[4:5], v[156:157]
	v_mul_f64_e32 v[156:157], v[6:7], v[156:157]
	s_wait_loadcnt_dscnt 0x700
	v_mul_f64_e32 v[152:153], v[142:143], v[160:161]
	v_mul_f64_e32 v[160:161], v[144:145], v[160:161]
	v_add_f64_e32 v[146:147], v[148:149], v[146:147]
	v_add_f64_e32 v[148:149], v[174:175], v[190:191]
	v_fmac_f64_e32 v[186:187], v[6:7], v[154:155]
	v_fma_f64 v[154:155], v[4:5], v[154:155], -v[156:157]
	v_fmac_f64_e32 v[152:153], v[144:145], v[158:159]
	v_fma_f64 v[142:143], v[142:143], v[158:159], -v[160:161]
	v_add_f64_e32 v[150:151], v[146:147], v[150:151]
	v_add_f64_e32 v[156:157], v[148:149], v[176:177]
	ds_load_b128 v[4:7], v2 offset:1744
	ds_load_b128 v[146:149], v2 offset:1760
	s_wait_loadcnt_dscnt 0x601
	v_mul_f64_e32 v[174:175], v[4:5], v[168:169]
	v_mul_f64_e32 v[168:169], v[6:7], v[168:169]
	v_add_f64_e32 v[144:145], v[150:151], v[154:155]
	v_add_f64_e32 v[150:151], v[156:157], v[186:187]
	s_wait_loadcnt_dscnt 0x500
	v_mul_f64_e32 v[154:155], v[146:147], v[180:181]
	v_mul_f64_e32 v[156:157], v[148:149], v[180:181]
	v_fmac_f64_e32 v[174:175], v[6:7], v[166:167]
	v_fma_f64 v[158:159], v[4:5], v[166:167], -v[168:169]
	v_add_f64_e32 v[160:161], v[144:145], v[142:143]
	v_add_f64_e32 v[150:151], v[150:151], v[152:153]
	ds_load_b128 v[4:7], v2 offset:1776
	ds_load_b128 v[142:145], v2 offset:1792
	v_fmac_f64_e32 v[154:155], v[148:149], v[178:179]
	v_fma_f64 v[146:147], v[146:147], v[178:179], -v[156:157]
	s_wait_loadcnt_dscnt 0x401
	v_mul_f64_e32 v[152:153], v[4:5], v[164:165]
	v_mul_f64_e32 v[164:165], v[6:7], v[164:165]
	s_wait_loadcnt_dscnt 0x300
	v_mul_f64_e32 v[156:157], v[142:143], v[12:13]
	v_mul_f64_e32 v[12:13], v[144:145], v[12:13]
	v_add_f64_e32 v[148:149], v[160:161], v[158:159]
	v_add_f64_e32 v[150:151], v[150:151], v[174:175]
	v_fmac_f64_e32 v[152:153], v[6:7], v[162:163]
	v_fma_f64 v[158:159], v[4:5], v[162:163], -v[164:165]
	v_fmac_f64_e32 v[156:157], v[144:145], v[10:11]
	v_fma_f64 v[10:11], v[142:143], v[10:11], -v[12:13]
	v_add_f64_e32 v[160:161], v[148:149], v[146:147]
	v_add_f64_e32 v[150:151], v[150:151], v[154:155]
	ds_load_b128 v[4:7], v2 offset:1808
	ds_load_b128 v[146:149], v2 offset:1824
	s_wait_loadcnt_dscnt 0x201
	v_mul_f64_e32 v[154:155], v[4:5], v[132:133]
	v_mul_f64_e32 v[132:133], v[6:7], v[132:133]
	s_wait_loadcnt_dscnt 0x100
	v_mul_f64_e32 v[144:145], v[146:147], v[136:137]
	v_mul_f64_e32 v[136:137], v[148:149], v[136:137]
	v_add_f64_e32 v[12:13], v[160:161], v[158:159]
	v_add_f64_e32 v[142:143], v[150:151], v[152:153]
	v_fmac_f64_e32 v[154:155], v[6:7], v[130:131]
	v_fma_f64 v[130:131], v[4:5], v[130:131], -v[132:133]
	ds_load_b128 v[4:7], v2 offset:1840
	v_fmac_f64_e32 v[144:145], v[148:149], v[134:135]
	v_fma_f64 v[134:135], v[146:147], v[134:135], -v[136:137]
	v_add_f64_e32 v[10:11], v[12:13], v[10:11]
	v_add_f64_e32 v[12:13], v[142:143], v[156:157]
	s_wait_loadcnt_dscnt 0x0
	v_mul_f64_e32 v[132:133], v[4:5], v[140:141]
	v_mul_f64_e32 v[140:141], v[6:7], v[140:141]
	s_delay_alu instid0(VALU_DEP_4) | instskip(NEXT) | instid1(VALU_DEP_4)
	v_add_f64_e32 v[10:11], v[10:11], v[130:131]
	v_add_f64_e32 v[12:13], v[12:13], v[154:155]
	s_delay_alu instid0(VALU_DEP_4) | instskip(NEXT) | instid1(VALU_DEP_4)
	v_fmac_f64_e32 v[132:133], v[6:7], v[138:139]
	v_fma_f64 v[4:5], v[4:5], v[138:139], -v[140:141]
	s_delay_alu instid0(VALU_DEP_4) | instskip(NEXT) | instid1(VALU_DEP_4)
	v_add_f64_e32 v[6:7], v[10:11], v[134:135]
	v_add_f64_e32 v[10:11], v[12:13], v[144:145]
	s_delay_alu instid0(VALU_DEP_2) | instskip(NEXT) | instid1(VALU_DEP_2)
	v_add_f64_e32 v[4:5], v[6:7], v[4:5]
	v_add_f64_e32 v[6:7], v[10:11], v[132:133]
	s_delay_alu instid0(VALU_DEP_2) | instskip(NEXT) | instid1(VALU_DEP_2)
	v_add_f64_e64 v[4:5], v[170:171], -v[4:5]
	v_add_f64_e64 v[6:7], v[172:173], -v[6:7]
	scratch_store_b128 off, v[4:7], off offset:256
	s_wait_xcnt 0x0
	v_cmpx_lt_u32_e32 15, v1
	s_cbranch_execz .LBB57_331
; %bb.330:
	scratch_load_b128 v[10:13], off, s56
	v_dual_mov_b32 v3, v2 :: v_dual_mov_b32 v4, v2
	v_mov_b32_e32 v5, v2
	scratch_store_b128 off, v[2:5], off offset:240
	s_wait_loadcnt 0x0
	ds_store_b128 v8, v[10:13]
.LBB57_331:
	s_wait_xcnt 0x0
	s_or_b32 exec_lo, exec_lo, s2
	s_wait_storecnt_dscnt 0x0
	s_barrier_signal -1
	s_barrier_wait -1
	s_clause 0x9
	scratch_load_b128 v[4:7], off, off offset:256
	scratch_load_b128 v[10:13], off, off offset:272
	;; [unrolled: 1-line block ×10, first 2 shown]
	ds_load_b128 v[162:165], v2 offset:1184
	ds_load_b128 v[170:173], v2 offset:1200
	s_clause 0x2
	scratch_load_b128 v[166:169], off, off offset:416
	scratch_load_b128 v[174:177], off, off offset:240
	;; [unrolled: 1-line block ×3, first 2 shown]
	s_mov_b32 s2, exec_lo
	s_wait_loadcnt_dscnt 0xc01
	v_mul_f64_e32 v[182:183], v[164:165], v[6:7]
	v_mul_f64_e32 v[186:187], v[162:163], v[6:7]
	s_wait_loadcnt_dscnt 0xb00
	v_mul_f64_e32 v[188:189], v[170:171], v[12:13]
	v_mul_f64_e32 v[12:13], v[172:173], v[12:13]
	s_delay_alu instid0(VALU_DEP_4) | instskip(NEXT) | instid1(VALU_DEP_4)
	v_fma_f64 v[190:191], v[162:163], v[4:5], -v[182:183]
	v_fmac_f64_e32 v[186:187], v[164:165], v[4:5]
	ds_load_b128 v[4:7], v2 offset:1216
	ds_load_b128 v[162:165], v2 offset:1232
	scratch_load_b128 v[182:185], off, off offset:448
	v_fmac_f64_e32 v[188:189], v[172:173], v[10:11]
	v_fma_f64 v[170:171], v[170:171], v[10:11], -v[12:13]
	scratch_load_b128 v[10:13], off, off offset:464
	s_wait_loadcnt_dscnt 0xc01
	v_mul_f64_e32 v[192:193], v[4:5], v[132:133]
	v_mul_f64_e32 v[132:133], v[6:7], v[132:133]
	v_add_f64_e32 v[172:173], 0, v[190:191]
	v_add_f64_e32 v[186:187], 0, v[186:187]
	s_wait_loadcnt_dscnt 0xb00
	v_mul_f64_e32 v[190:191], v[162:163], v[136:137]
	v_mul_f64_e32 v[136:137], v[164:165], v[136:137]
	v_fmac_f64_e32 v[192:193], v[6:7], v[130:131]
	v_fma_f64 v[194:195], v[4:5], v[130:131], -v[132:133]
	ds_load_b128 v[4:7], v2 offset:1248
	ds_load_b128 v[130:133], v2 offset:1264
	v_add_f64_e32 v[196:197], v[172:173], v[170:171]
	v_add_f64_e32 v[186:187], v[186:187], v[188:189]
	scratch_load_b128 v[170:173], off, off offset:480
	v_fmac_f64_e32 v[190:191], v[164:165], v[134:135]
	v_fma_f64 v[162:163], v[162:163], v[134:135], -v[136:137]
	scratch_load_b128 v[134:137], off, off offset:496
	s_wait_loadcnt_dscnt 0xc01
	v_mul_f64_e32 v[188:189], v[4:5], v[140:141]
	v_mul_f64_e32 v[140:141], v[6:7], v[140:141]
	v_add_f64_e32 v[164:165], v[196:197], v[194:195]
	v_add_f64_e32 v[186:187], v[186:187], v[192:193]
	s_wait_loadcnt_dscnt 0xb00
	v_mul_f64_e32 v[192:193], v[130:131], v[144:145]
	v_mul_f64_e32 v[144:145], v[132:133], v[144:145]
	v_fmac_f64_e32 v[188:189], v[6:7], v[138:139]
	v_fma_f64 v[194:195], v[4:5], v[138:139], -v[140:141]
	ds_load_b128 v[4:7], v2 offset:1280
	ds_load_b128 v[138:141], v2 offset:1296
	v_add_f64_e32 v[196:197], v[164:165], v[162:163]
	v_add_f64_e32 v[186:187], v[186:187], v[190:191]
	scratch_load_b128 v[162:165], off, off offset:512
	s_wait_loadcnt_dscnt 0xb01
	v_mul_f64_e32 v[190:191], v[4:5], v[148:149]
	v_mul_f64_e32 v[148:149], v[6:7], v[148:149]
	v_fmac_f64_e32 v[192:193], v[132:133], v[142:143]
	v_fma_f64 v[142:143], v[130:131], v[142:143], -v[144:145]
	scratch_load_b128 v[130:133], off, off offset:528
	v_add_f64_e32 v[144:145], v[196:197], v[194:195]
	v_add_f64_e32 v[186:187], v[186:187], v[188:189]
	s_wait_loadcnt_dscnt 0xb00
	v_mul_f64_e32 v[188:189], v[138:139], v[152:153]
	v_mul_f64_e32 v[152:153], v[140:141], v[152:153]
	v_fmac_f64_e32 v[190:191], v[6:7], v[146:147]
	v_fma_f64 v[194:195], v[4:5], v[146:147], -v[148:149]
	v_add_f64_e32 v[196:197], v[144:145], v[142:143]
	v_add_f64_e32 v[186:187], v[186:187], v[192:193]
	ds_load_b128 v[4:7], v2 offset:1312
	ds_load_b128 v[142:145], v2 offset:1328
	scratch_load_b128 v[146:149], off, off offset:544
	v_fmac_f64_e32 v[188:189], v[140:141], v[150:151]
	v_fma_f64 v[150:151], v[138:139], v[150:151], -v[152:153]
	scratch_load_b128 v[138:141], off, off offset:560
	s_wait_loadcnt_dscnt 0xc01
	v_mul_f64_e32 v[192:193], v[4:5], v[156:157]
	v_mul_f64_e32 v[156:157], v[6:7], v[156:157]
	v_add_f64_e32 v[152:153], v[196:197], v[194:195]
	v_add_f64_e32 v[186:187], v[186:187], v[190:191]
	s_wait_loadcnt_dscnt 0xb00
	v_mul_f64_e32 v[190:191], v[142:143], v[160:161]
	v_mul_f64_e32 v[160:161], v[144:145], v[160:161]
	v_fmac_f64_e32 v[192:193], v[6:7], v[154:155]
	v_fma_f64 v[194:195], v[4:5], v[154:155], -v[156:157]
	v_add_f64_e32 v[196:197], v[152:153], v[150:151]
	v_add_f64_e32 v[186:187], v[186:187], v[188:189]
	ds_load_b128 v[4:7], v2 offset:1344
	ds_load_b128 v[150:153], v2 offset:1360
	scratch_load_b128 v[154:157], off, off offset:576
	v_fmac_f64_e32 v[190:191], v[144:145], v[158:159]
	v_fma_f64 v[158:159], v[142:143], v[158:159], -v[160:161]
	scratch_load_b128 v[142:145], off, off offset:592
	s_wait_loadcnt_dscnt 0xc01
	v_mul_f64_e32 v[188:189], v[4:5], v[168:169]
	v_mul_f64_e32 v[168:169], v[6:7], v[168:169]
	;; [unrolled: 18-line block ×5, first 2 shown]
	v_add_f64_e32 v[180:181], v[196:197], v[194:195]
	v_add_f64_e32 v[186:187], v[186:187], v[192:193]
	s_wait_loadcnt_dscnt 0xa00
	v_mul_f64_e32 v[192:193], v[158:159], v[132:133]
	v_mul_f64_e32 v[132:133], v[160:161], v[132:133]
	v_fmac_f64_e32 v[188:189], v[6:7], v[162:163]
	v_fma_f64 v[194:195], v[4:5], v[162:163], -v[164:165]
	ds_load_b128 v[4:7], v2 offset:1472
	ds_load_b128 v[162:165], v2 offset:1488
	v_add_f64_e32 v[196:197], v[180:181], v[178:179]
	v_add_f64_e32 v[186:187], v[186:187], v[190:191]
	scratch_load_b128 v[178:181], off, off offset:704
	v_fmac_f64_e32 v[192:193], v[160:161], v[130:131]
	v_fma_f64 v[158:159], v[158:159], v[130:131], -v[132:133]
	scratch_load_b128 v[130:133], off, off offset:720
	s_wait_loadcnt_dscnt 0xb01
	v_mul_f64_e32 v[190:191], v[4:5], v[148:149]
	v_mul_f64_e32 v[148:149], v[6:7], v[148:149]
	v_add_f64_e32 v[160:161], v[196:197], v[194:195]
	v_add_f64_e32 v[186:187], v[186:187], v[188:189]
	s_wait_loadcnt_dscnt 0xa00
	v_mul_f64_e32 v[188:189], v[162:163], v[140:141]
	v_mul_f64_e32 v[140:141], v[164:165], v[140:141]
	v_fmac_f64_e32 v[190:191], v[6:7], v[146:147]
	v_fma_f64 v[194:195], v[4:5], v[146:147], -v[148:149]
	ds_load_b128 v[4:7], v2 offset:1504
	ds_load_b128 v[146:149], v2 offset:1520
	v_add_f64_e32 v[196:197], v[160:161], v[158:159]
	v_add_f64_e32 v[186:187], v[186:187], v[192:193]
	scratch_load_b128 v[158:161], off, off offset:736
	s_wait_loadcnt_dscnt 0xa01
	v_mul_f64_e32 v[192:193], v[4:5], v[156:157]
	v_mul_f64_e32 v[156:157], v[6:7], v[156:157]
	v_fmac_f64_e32 v[188:189], v[164:165], v[138:139]
	v_fma_f64 v[162:163], v[162:163], v[138:139], -v[140:141]
	scratch_load_b128 v[138:141], off, off offset:752
	v_add_f64_e32 v[164:165], v[196:197], v[194:195]
	v_add_f64_e32 v[186:187], v[186:187], v[190:191]
	s_wait_loadcnt_dscnt 0xa00
	v_mul_f64_e32 v[190:191], v[146:147], v[144:145]
	v_mul_f64_e32 v[144:145], v[148:149], v[144:145]
	v_fmac_f64_e32 v[192:193], v[6:7], v[154:155]
	v_fma_f64 v[194:195], v[4:5], v[154:155], -v[156:157]
	ds_load_b128 v[4:7], v2 offset:1536
	ds_load_b128 v[154:157], v2 offset:1552
	v_add_f64_e32 v[196:197], v[164:165], v[162:163]
	v_add_f64_e32 v[186:187], v[186:187], v[188:189]
	scratch_load_b128 v[162:165], off, off offset:768
	s_wait_loadcnt_dscnt 0xa01
	v_mul_f64_e32 v[188:189], v[4:5], v[168:169]
	v_mul_f64_e32 v[168:169], v[6:7], v[168:169]
	v_fmac_f64_e32 v[190:191], v[148:149], v[142:143]
	v_fma_f64 v[146:147], v[146:147], v[142:143], -v[144:145]
	scratch_load_b128 v[142:145], off, off offset:784
	v_add_f64_e32 v[148:149], v[196:197], v[194:195]
	v_add_f64_e32 v[186:187], v[186:187], v[192:193]
	s_wait_loadcnt_dscnt 0xa00
	v_mul_f64_e32 v[192:193], v[154:155], v[152:153]
	v_mul_f64_e32 v[152:153], v[156:157], v[152:153]
	v_fmac_f64_e32 v[188:189], v[6:7], v[166:167]
	v_fma_f64 v[194:195], v[4:5], v[166:167], -v[168:169]
	v_add_f64_e32 v[196:197], v[148:149], v[146:147]
	v_add_f64_e32 v[186:187], v[186:187], v[190:191]
	ds_load_b128 v[4:7], v2 offset:1568
	ds_load_b128 v[146:149], v2 offset:1584
	scratch_load_b128 v[166:169], off, off offset:800
	v_fmac_f64_e32 v[192:193], v[156:157], v[150:151]
	v_fma_f64 v[154:155], v[154:155], v[150:151], -v[152:153]
	scratch_load_b128 v[150:153], off, off offset:816
	s_wait_loadcnt_dscnt 0xb01
	v_mul_f64_e32 v[190:191], v[4:5], v[184:185]
	v_mul_f64_e32 v[184:185], v[6:7], v[184:185]
	v_add_f64_e32 v[156:157], v[196:197], v[194:195]
	v_add_f64_e32 v[186:187], v[186:187], v[188:189]
	s_wait_loadcnt_dscnt 0xa00
	v_mul_f64_e32 v[188:189], v[146:147], v[12:13]
	v_mul_f64_e32 v[12:13], v[148:149], v[12:13]
	v_fmac_f64_e32 v[190:191], v[6:7], v[182:183]
	v_fma_f64 v[194:195], v[4:5], v[182:183], -v[184:185]
	v_add_f64_e32 v[196:197], v[156:157], v[154:155]
	v_add_f64_e32 v[186:187], v[186:187], v[192:193]
	ds_load_b128 v[4:7], v2 offset:1600
	ds_load_b128 v[154:157], v2 offset:1616
	scratch_load_b128 v[182:185], off, off offset:832
	v_fmac_f64_e32 v[188:189], v[148:149], v[10:11]
	v_fma_f64 v[146:147], v[146:147], v[10:11], -v[12:13]
	scratch_load_b128 v[10:13], off, off offset:848
	s_wait_loadcnt_dscnt 0xb01
	v_mul_f64_e32 v[192:193], v[4:5], v[172:173]
	v_mul_f64_e32 v[172:173], v[6:7], v[172:173]
	;; [unrolled: 18-line block ×4, first 2 shown]
	v_add_f64_e32 v[148:149], v[196:197], v[194:195]
	v_add_f64_e32 v[186:187], v[186:187], v[188:189]
	s_wait_loadcnt_dscnt 0xa00
	v_mul_f64_e32 v[188:189], v[154:155], v[140:141]
	v_mul_f64_e32 v[140:141], v[156:157], v[140:141]
	v_fmac_f64_e32 v[190:191], v[6:7], v[158:159]
	v_fma_f64 v[158:159], v[4:5], v[158:159], -v[160:161]
	v_add_f64_e32 v[160:161], v[148:149], v[146:147]
	v_add_f64_e32 v[186:187], v[186:187], v[192:193]
	ds_load_b128 v[4:7], v2 offset:1696
	ds_load_b128 v[146:149], v2 offset:1712
	v_fmac_f64_e32 v[188:189], v[156:157], v[138:139]
	v_fma_f64 v[138:139], v[154:155], v[138:139], -v[140:141]
	s_wait_loadcnt_dscnt 0x901
	v_mul_f64_e32 v[192:193], v[4:5], v[164:165]
	v_mul_f64_e32 v[164:165], v[6:7], v[164:165]
	s_wait_loadcnt_dscnt 0x800
	v_mul_f64_e32 v[156:157], v[146:147], v[144:145]
	v_mul_f64_e32 v[144:145], v[148:149], v[144:145]
	v_add_f64_e32 v[140:141], v[160:161], v[158:159]
	v_add_f64_e32 v[154:155], v[186:187], v[190:191]
	v_fmac_f64_e32 v[192:193], v[6:7], v[162:163]
	v_fma_f64 v[158:159], v[4:5], v[162:163], -v[164:165]
	v_fmac_f64_e32 v[156:157], v[148:149], v[142:143]
	v_fma_f64 v[142:143], v[146:147], v[142:143], -v[144:145]
	v_add_f64_e32 v[160:161], v[140:141], v[138:139]
	v_add_f64_e32 v[154:155], v[154:155], v[188:189]
	ds_load_b128 v[4:7], v2 offset:1728
	ds_load_b128 v[138:141], v2 offset:1744
	s_wait_loadcnt_dscnt 0x701
	v_mul_f64_e32 v[162:163], v[4:5], v[168:169]
	v_mul_f64_e32 v[164:165], v[6:7], v[168:169]
	s_wait_loadcnt_dscnt 0x600
	v_mul_f64_e32 v[148:149], v[138:139], v[152:153]
	v_mul_f64_e32 v[152:153], v[140:141], v[152:153]
	v_add_f64_e32 v[144:145], v[160:161], v[158:159]
	v_add_f64_e32 v[146:147], v[154:155], v[192:193]
	v_fmac_f64_e32 v[162:163], v[6:7], v[166:167]
	v_fma_f64 v[154:155], v[4:5], v[166:167], -v[164:165]
	v_fmac_f64_e32 v[148:149], v[140:141], v[150:151]
	v_fma_f64 v[138:139], v[138:139], v[150:151], -v[152:153]
	v_add_f64_e32 v[158:159], v[144:145], v[142:143]
	v_add_f64_e32 v[146:147], v[146:147], v[156:157]
	ds_load_b128 v[4:7], v2 offset:1760
	ds_load_b128 v[142:145], v2 offset:1776
	;; [unrolled: 16-line block ×4, first 2 shown]
	s_wait_loadcnt_dscnt 0x101
	v_mul_f64_e32 v[2:3], v[4:5], v[180:181]
	v_mul_f64_e32 v[150:151], v[6:7], v[180:181]
	s_wait_loadcnt_dscnt 0x0
	v_mul_f64_e32 v[140:141], v[10:11], v[132:133]
	v_mul_f64_e32 v[132:133], v[12:13], v[132:133]
	v_add_f64_e32 v[136:137], v[152:153], v[146:147]
	v_add_f64_e32 v[138:139], v[142:143], v[148:149]
	v_fmac_f64_e32 v[2:3], v[6:7], v[178:179]
	v_fma_f64 v[4:5], v[4:5], v[178:179], -v[150:151]
	v_fmac_f64_e32 v[140:141], v[12:13], v[130:131]
	v_fma_f64 v[10:11], v[10:11], v[130:131], -v[132:133]
	v_add_f64_e32 v[6:7], v[136:137], v[134:135]
	v_add_f64_e32 v[134:135], v[138:139], v[144:145]
	s_delay_alu instid0(VALU_DEP_2) | instskip(NEXT) | instid1(VALU_DEP_2)
	v_add_f64_e32 v[4:5], v[6:7], v[4:5]
	v_add_f64_e32 v[2:3], v[134:135], v[2:3]
	s_delay_alu instid0(VALU_DEP_2) | instskip(NEXT) | instid1(VALU_DEP_2)
	;; [unrolled: 3-line block ×3, first 2 shown]
	v_add_f64_e64 v[2:3], v[174:175], -v[4:5]
	v_add_f64_e64 v[4:5], v[176:177], -v[6:7]
	scratch_store_b128 off, v[2:5], off offset:240
	s_wait_xcnt 0x0
	v_cmpx_lt_u32_e32 14, v1
	s_cbranch_execz .LBB57_333
; %bb.332:
	scratch_load_b128 v[2:5], off, s65
	v_mov_b32_e32 v10, 0
	s_delay_alu instid0(VALU_DEP_1)
	v_dual_mov_b32 v11, v10 :: v_dual_mov_b32 v12, v10
	v_mov_b32_e32 v13, v10
	scratch_store_b128 off, v[10:13], off offset:224
	s_wait_loadcnt 0x0
	ds_store_b128 v8, v[2:5]
.LBB57_333:
	s_wait_xcnt 0x0
	s_or_b32 exec_lo, exec_lo, s2
	s_wait_storecnt_dscnt 0x0
	s_barrier_signal -1
	s_barrier_wait -1
	s_clause 0x9
	scratch_load_b128 v[4:7], off, off offset:240
	scratch_load_b128 v[10:13], off, off offset:256
	;; [unrolled: 1-line block ×10, first 2 shown]
	v_mov_b32_e32 v2, 0
	s_mov_b32 s2, exec_lo
	ds_load_b128 v[162:165], v2 offset:1168
	s_clause 0x2
	scratch_load_b128 v[166:169], off, off offset:400
	scratch_load_b128 v[170:173], off, off offset:224
	;; [unrolled: 1-line block ×3, first 2 shown]
	s_wait_loadcnt_dscnt 0xc00
	v_mul_f64_e32 v[182:183], v[164:165], v[6:7]
	v_mul_f64_e32 v[186:187], v[162:163], v[6:7]
	ds_load_b128 v[174:177], v2 offset:1184
	v_fma_f64 v[190:191], v[162:163], v[4:5], -v[182:183]
	v_fmac_f64_e32 v[186:187], v[164:165], v[4:5]
	ds_load_b128 v[4:7], v2 offset:1200
	s_wait_loadcnt_dscnt 0xb01
	v_mul_f64_e32 v[188:189], v[174:175], v[12:13]
	v_mul_f64_e32 v[12:13], v[176:177], v[12:13]
	scratch_load_b128 v[162:165], off, off offset:432
	ds_load_b128 v[182:185], v2 offset:1216
	s_wait_loadcnt_dscnt 0xb01
	v_mul_f64_e32 v[192:193], v[4:5], v[132:133]
	v_mul_f64_e32 v[132:133], v[6:7], v[132:133]
	v_add_f64_e32 v[186:187], 0, v[186:187]
	v_fmac_f64_e32 v[188:189], v[176:177], v[10:11]
	v_fma_f64 v[174:175], v[174:175], v[10:11], -v[12:13]
	v_add_f64_e32 v[176:177], 0, v[190:191]
	scratch_load_b128 v[10:13], off, off offset:448
	v_fmac_f64_e32 v[192:193], v[6:7], v[130:131]
	v_fma_f64 v[194:195], v[4:5], v[130:131], -v[132:133]
	ds_load_b128 v[4:7], v2 offset:1232
	s_wait_loadcnt_dscnt 0xb01
	v_mul_f64_e32 v[190:191], v[182:183], v[136:137]
	v_mul_f64_e32 v[136:137], v[184:185], v[136:137]
	scratch_load_b128 v[130:133], off, off offset:464
	v_add_f64_e32 v[186:187], v[186:187], v[188:189]
	v_add_f64_e32 v[196:197], v[176:177], v[174:175]
	ds_load_b128 v[174:177], v2 offset:1248
	s_wait_loadcnt_dscnt 0xb01
	v_mul_f64_e32 v[188:189], v[4:5], v[140:141]
	v_mul_f64_e32 v[140:141], v[6:7], v[140:141]
	v_fmac_f64_e32 v[190:191], v[184:185], v[134:135]
	v_fma_f64 v[182:183], v[182:183], v[134:135], -v[136:137]
	scratch_load_b128 v[134:137], off, off offset:480
	v_add_f64_e32 v[186:187], v[186:187], v[192:193]
	v_add_f64_e32 v[184:185], v[196:197], v[194:195]
	v_fmac_f64_e32 v[188:189], v[6:7], v[138:139]
	v_fma_f64 v[194:195], v[4:5], v[138:139], -v[140:141]
	ds_load_b128 v[4:7], v2 offset:1264
	s_wait_loadcnt_dscnt 0xb01
	v_mul_f64_e32 v[192:193], v[174:175], v[144:145]
	v_mul_f64_e32 v[144:145], v[176:177], v[144:145]
	scratch_load_b128 v[138:141], off, off offset:496
	v_add_f64_e32 v[186:187], v[186:187], v[190:191]
	s_wait_loadcnt_dscnt 0xb00
	v_mul_f64_e32 v[190:191], v[4:5], v[148:149]
	v_add_f64_e32 v[196:197], v[184:185], v[182:183]
	v_mul_f64_e32 v[148:149], v[6:7], v[148:149]
	ds_load_b128 v[182:185], v2 offset:1280
	v_fmac_f64_e32 v[192:193], v[176:177], v[142:143]
	v_fma_f64 v[174:175], v[174:175], v[142:143], -v[144:145]
	scratch_load_b128 v[142:145], off, off offset:512
	v_add_f64_e32 v[186:187], v[186:187], v[188:189]
	v_fmac_f64_e32 v[190:191], v[6:7], v[146:147]
	v_add_f64_e32 v[176:177], v[196:197], v[194:195]
	v_fma_f64 v[194:195], v[4:5], v[146:147], -v[148:149]
	ds_load_b128 v[4:7], v2 offset:1296
	s_wait_loadcnt_dscnt 0xb01
	v_mul_f64_e32 v[188:189], v[182:183], v[152:153]
	v_mul_f64_e32 v[152:153], v[184:185], v[152:153]
	scratch_load_b128 v[146:149], off, off offset:528
	v_add_f64_e32 v[186:187], v[186:187], v[192:193]
	s_wait_loadcnt_dscnt 0xb00
	v_mul_f64_e32 v[192:193], v[4:5], v[156:157]
	v_add_f64_e32 v[196:197], v[176:177], v[174:175]
	v_mul_f64_e32 v[156:157], v[6:7], v[156:157]
	ds_load_b128 v[174:177], v2 offset:1312
	v_fmac_f64_e32 v[188:189], v[184:185], v[150:151]
	v_fma_f64 v[182:183], v[182:183], v[150:151], -v[152:153]
	scratch_load_b128 v[150:153], off, off offset:544
	v_add_f64_e32 v[186:187], v[186:187], v[190:191]
	v_fmac_f64_e32 v[192:193], v[6:7], v[154:155]
	v_add_f64_e32 v[184:185], v[196:197], v[194:195]
	v_fma_f64 v[194:195], v[4:5], v[154:155], -v[156:157]
	ds_load_b128 v[4:7], v2 offset:1328
	s_wait_loadcnt_dscnt 0xb01
	v_mul_f64_e32 v[190:191], v[174:175], v[160:161]
	v_mul_f64_e32 v[160:161], v[176:177], v[160:161]
	scratch_load_b128 v[154:157], off, off offset:560
	v_add_f64_e32 v[186:187], v[186:187], v[188:189]
	s_wait_loadcnt_dscnt 0xb00
	v_mul_f64_e32 v[188:189], v[4:5], v[168:169]
	v_add_f64_e32 v[196:197], v[184:185], v[182:183]
	v_mul_f64_e32 v[168:169], v[6:7], v[168:169]
	ds_load_b128 v[182:185], v2 offset:1344
	v_fmac_f64_e32 v[190:191], v[176:177], v[158:159]
	v_fma_f64 v[174:175], v[174:175], v[158:159], -v[160:161]
	scratch_load_b128 v[158:161], off, off offset:576
	v_add_f64_e32 v[186:187], v[186:187], v[192:193]
	v_fmac_f64_e32 v[188:189], v[6:7], v[166:167]
	v_add_f64_e32 v[176:177], v[196:197], v[194:195]
	v_fma_f64 v[194:195], v[4:5], v[166:167], -v[168:169]
	ds_load_b128 v[4:7], v2 offset:1360
	s_wait_loadcnt_dscnt 0xa01
	v_mul_f64_e32 v[192:193], v[182:183], v[180:181]
	v_mul_f64_e32 v[180:181], v[184:185], v[180:181]
	scratch_load_b128 v[166:169], off, off offset:592
	v_add_f64_e32 v[186:187], v[186:187], v[190:191]
	v_add_f64_e32 v[196:197], v[176:177], v[174:175]
	s_wait_loadcnt_dscnt 0xa00
	v_mul_f64_e32 v[190:191], v[4:5], v[164:165]
	v_mul_f64_e32 v[164:165], v[6:7], v[164:165]
	v_fmac_f64_e32 v[192:193], v[184:185], v[178:179]
	v_fma_f64 v[182:183], v[182:183], v[178:179], -v[180:181]
	ds_load_b128 v[174:177], v2 offset:1376
	scratch_load_b128 v[178:181], off, off offset:608
	v_add_f64_e32 v[186:187], v[186:187], v[188:189]
	v_add_f64_e32 v[184:185], v[196:197], v[194:195]
	v_fmac_f64_e32 v[190:191], v[6:7], v[162:163]
	v_fma_f64 v[194:195], v[4:5], v[162:163], -v[164:165]
	ds_load_b128 v[4:7], v2 offset:1392
	s_wait_loadcnt_dscnt 0xa01
	v_mul_f64_e32 v[188:189], v[174:175], v[12:13]
	v_mul_f64_e32 v[12:13], v[176:177], v[12:13]
	scratch_load_b128 v[162:165], off, off offset:624
	v_add_f64_e32 v[186:187], v[186:187], v[192:193]
	s_wait_loadcnt_dscnt 0xa00
	v_mul_f64_e32 v[192:193], v[4:5], v[132:133]
	v_add_f64_e32 v[196:197], v[184:185], v[182:183]
	v_mul_f64_e32 v[132:133], v[6:7], v[132:133]
	ds_load_b128 v[182:185], v2 offset:1408
	v_fmac_f64_e32 v[188:189], v[176:177], v[10:11]
	v_fma_f64 v[174:175], v[174:175], v[10:11], -v[12:13]
	scratch_load_b128 v[10:13], off, off offset:640
	v_add_f64_e32 v[186:187], v[186:187], v[190:191]
	v_fmac_f64_e32 v[192:193], v[6:7], v[130:131]
	v_add_f64_e32 v[176:177], v[196:197], v[194:195]
	v_fma_f64 v[194:195], v[4:5], v[130:131], -v[132:133]
	ds_load_b128 v[4:7], v2 offset:1424
	s_wait_loadcnt_dscnt 0xa01
	v_mul_f64_e32 v[190:191], v[182:183], v[136:137]
	v_mul_f64_e32 v[136:137], v[184:185], v[136:137]
	scratch_load_b128 v[130:133], off, off offset:656
	v_add_f64_e32 v[186:187], v[186:187], v[188:189]
	s_wait_loadcnt_dscnt 0xa00
	v_mul_f64_e32 v[188:189], v[4:5], v[140:141]
	v_add_f64_e32 v[196:197], v[176:177], v[174:175]
	v_mul_f64_e32 v[140:141], v[6:7], v[140:141]
	ds_load_b128 v[174:177], v2 offset:1440
	v_fmac_f64_e32 v[190:191], v[184:185], v[134:135]
	v_fma_f64 v[182:183], v[182:183], v[134:135], -v[136:137]
	scratch_load_b128 v[134:137], off, off offset:672
	v_add_f64_e32 v[186:187], v[186:187], v[192:193]
	v_fmac_f64_e32 v[188:189], v[6:7], v[138:139]
	v_add_f64_e32 v[184:185], v[196:197], v[194:195]
	;; [unrolled: 18-line block ×9, first 2 shown]
	v_fma_f64 v[194:195], v[4:5], v[146:147], -v[148:149]
	ds_load_b128 v[4:7], v2 offset:1680
	s_wait_loadcnt_dscnt 0xa01
	v_mul_f64_e32 v[188:189], v[182:183], v[152:153]
	v_mul_f64_e32 v[152:153], v[184:185], v[152:153]
	scratch_load_b128 v[146:149], off, off offset:912
	v_add_f64_e32 v[186:187], v[186:187], v[192:193]
	s_wait_loadcnt_dscnt 0xa00
	v_mul_f64_e32 v[192:193], v[4:5], v[156:157]
	v_add_f64_e32 v[196:197], v[176:177], v[174:175]
	v_mul_f64_e32 v[156:157], v[6:7], v[156:157]
	ds_load_b128 v[174:177], v2 offset:1696
	v_fmac_f64_e32 v[188:189], v[184:185], v[150:151]
	v_fma_f64 v[150:151], v[182:183], v[150:151], -v[152:153]
	s_wait_loadcnt_dscnt 0x900
	v_mul_f64_e32 v[184:185], v[174:175], v[160:161]
	v_mul_f64_e32 v[160:161], v[176:177], v[160:161]
	v_add_f64_e32 v[182:183], v[186:187], v[190:191]
	v_fmac_f64_e32 v[192:193], v[6:7], v[154:155]
	v_add_f64_e32 v[152:153], v[196:197], v[194:195]
	v_fma_f64 v[154:155], v[4:5], v[154:155], -v[156:157]
	v_fmac_f64_e32 v[184:185], v[176:177], v[158:159]
	v_fma_f64 v[158:159], v[174:175], v[158:159], -v[160:161]
	v_add_f64_e32 v[182:183], v[182:183], v[188:189]
	v_add_f64_e32 v[156:157], v[152:153], v[150:151]
	ds_load_b128 v[4:7], v2 offset:1712
	ds_load_b128 v[150:153], v2 offset:1728
	s_wait_loadcnt_dscnt 0x801
	v_mul_f64_e32 v[186:187], v[4:5], v[168:169]
	v_mul_f64_e32 v[168:169], v[6:7], v[168:169]
	s_wait_loadcnt_dscnt 0x700
	v_mul_f64_e32 v[160:161], v[150:151], v[180:181]
	v_mul_f64_e32 v[174:175], v[152:153], v[180:181]
	v_add_f64_e32 v[154:155], v[156:157], v[154:155]
	v_add_f64_e32 v[156:157], v[182:183], v[192:193]
	v_fmac_f64_e32 v[186:187], v[6:7], v[166:167]
	v_fma_f64 v[166:167], v[4:5], v[166:167], -v[168:169]
	v_fmac_f64_e32 v[160:161], v[152:153], v[178:179]
	v_fma_f64 v[150:151], v[150:151], v[178:179], -v[174:175]
	v_add_f64_e32 v[158:159], v[154:155], v[158:159]
	v_add_f64_e32 v[168:169], v[156:157], v[184:185]
	ds_load_b128 v[4:7], v2 offset:1744
	ds_load_b128 v[154:157], v2 offset:1760
	s_wait_loadcnt_dscnt 0x601
	v_mul_f64_e32 v[176:177], v[4:5], v[164:165]
	v_mul_f64_e32 v[164:165], v[6:7], v[164:165]
	v_add_f64_e32 v[152:153], v[158:159], v[166:167]
	v_add_f64_e32 v[158:159], v[168:169], v[186:187]
	s_wait_loadcnt_dscnt 0x500
	v_mul_f64_e32 v[166:167], v[154:155], v[12:13]
	v_mul_f64_e32 v[12:13], v[156:157], v[12:13]
	v_fmac_f64_e32 v[176:177], v[6:7], v[162:163]
	v_fma_f64 v[162:163], v[4:5], v[162:163], -v[164:165]
	v_add_f64_e32 v[164:165], v[152:153], v[150:151]
	v_add_f64_e32 v[158:159], v[158:159], v[160:161]
	ds_load_b128 v[4:7], v2 offset:1776
	ds_load_b128 v[150:153], v2 offset:1792
	v_fmac_f64_e32 v[166:167], v[156:157], v[10:11]
	v_fma_f64 v[10:11], v[154:155], v[10:11], -v[12:13]
	s_wait_loadcnt_dscnt 0x401
	v_mul_f64_e32 v[160:161], v[4:5], v[132:133]
	v_mul_f64_e32 v[132:133], v[6:7], v[132:133]
	s_wait_loadcnt_dscnt 0x300
	v_mul_f64_e32 v[156:157], v[150:151], v[136:137]
	v_mul_f64_e32 v[136:137], v[152:153], v[136:137]
	v_add_f64_e32 v[12:13], v[164:165], v[162:163]
	v_add_f64_e32 v[154:155], v[158:159], v[176:177]
	v_fmac_f64_e32 v[160:161], v[6:7], v[130:131]
	v_fma_f64 v[130:131], v[4:5], v[130:131], -v[132:133]
	v_fmac_f64_e32 v[156:157], v[152:153], v[134:135]
	v_fma_f64 v[134:135], v[150:151], v[134:135], -v[136:137]
	v_add_f64_e32 v[132:133], v[12:13], v[10:11]
	v_add_f64_e32 v[154:155], v[154:155], v[166:167]
	ds_load_b128 v[4:7], v2 offset:1808
	ds_load_b128 v[10:13], v2 offset:1824
	s_wait_loadcnt_dscnt 0x201
	v_mul_f64_e32 v[158:159], v[4:5], v[140:141]
	v_mul_f64_e32 v[140:141], v[6:7], v[140:141]
	s_wait_loadcnt_dscnt 0x100
	v_mul_f64_e32 v[136:137], v[10:11], v[144:145]
	v_mul_f64_e32 v[144:145], v[12:13], v[144:145]
	v_add_f64_e32 v[130:131], v[132:133], v[130:131]
	v_add_f64_e32 v[132:133], v[154:155], v[160:161]
	v_fmac_f64_e32 v[158:159], v[6:7], v[138:139]
	v_fma_f64 v[138:139], v[4:5], v[138:139], -v[140:141]
	ds_load_b128 v[4:7], v2 offset:1840
	v_fmac_f64_e32 v[136:137], v[12:13], v[142:143]
	v_fma_f64 v[10:11], v[10:11], v[142:143], -v[144:145]
	v_add_f64_e32 v[130:131], v[130:131], v[134:135]
	v_add_f64_e32 v[132:133], v[132:133], v[156:157]
	s_wait_loadcnt_dscnt 0x0
	v_mul_f64_e32 v[134:135], v[4:5], v[148:149]
	v_mul_f64_e32 v[140:141], v[6:7], v[148:149]
	s_delay_alu instid0(VALU_DEP_4) | instskip(NEXT) | instid1(VALU_DEP_4)
	v_add_f64_e32 v[12:13], v[130:131], v[138:139]
	v_add_f64_e32 v[130:131], v[132:133], v[158:159]
	s_delay_alu instid0(VALU_DEP_4) | instskip(NEXT) | instid1(VALU_DEP_4)
	v_fmac_f64_e32 v[134:135], v[6:7], v[146:147]
	v_fma_f64 v[4:5], v[4:5], v[146:147], -v[140:141]
	s_delay_alu instid0(VALU_DEP_4) | instskip(NEXT) | instid1(VALU_DEP_4)
	v_add_f64_e32 v[6:7], v[12:13], v[10:11]
	v_add_f64_e32 v[10:11], v[130:131], v[136:137]
	s_delay_alu instid0(VALU_DEP_2) | instskip(NEXT) | instid1(VALU_DEP_2)
	v_add_f64_e32 v[4:5], v[6:7], v[4:5]
	v_add_f64_e32 v[6:7], v[10:11], v[134:135]
	s_delay_alu instid0(VALU_DEP_2) | instskip(NEXT) | instid1(VALU_DEP_2)
	v_add_f64_e64 v[4:5], v[170:171], -v[4:5]
	v_add_f64_e64 v[6:7], v[172:173], -v[6:7]
	scratch_store_b128 off, v[4:7], off offset:224
	s_wait_xcnt 0x0
	v_cmpx_lt_u32_e32 13, v1
	s_cbranch_execz .LBB57_335
; %bb.334:
	scratch_load_b128 v[10:13], off, s63
	v_dual_mov_b32 v3, v2 :: v_dual_mov_b32 v4, v2
	v_mov_b32_e32 v5, v2
	scratch_store_b128 off, v[2:5], off offset:208
	s_wait_loadcnt 0x0
	ds_store_b128 v8, v[10:13]
.LBB57_335:
	s_wait_xcnt 0x0
	s_or_b32 exec_lo, exec_lo, s2
	s_wait_storecnt_dscnt 0x0
	s_barrier_signal -1
	s_barrier_wait -1
	s_clause 0x9
	scratch_load_b128 v[4:7], off, off offset:224
	scratch_load_b128 v[10:13], off, off offset:240
	;; [unrolled: 1-line block ×10, first 2 shown]
	ds_load_b128 v[162:165], v2 offset:1152
	ds_load_b128 v[170:173], v2 offset:1168
	s_clause 0x2
	scratch_load_b128 v[166:169], off, off offset:384
	scratch_load_b128 v[174:177], off, off offset:208
	;; [unrolled: 1-line block ×3, first 2 shown]
	s_mov_b32 s2, exec_lo
	s_wait_loadcnt_dscnt 0xc01
	v_mul_f64_e32 v[182:183], v[164:165], v[6:7]
	v_mul_f64_e32 v[186:187], v[162:163], v[6:7]
	s_wait_loadcnt_dscnt 0xb00
	v_mul_f64_e32 v[188:189], v[170:171], v[12:13]
	v_mul_f64_e32 v[12:13], v[172:173], v[12:13]
	s_delay_alu instid0(VALU_DEP_4) | instskip(NEXT) | instid1(VALU_DEP_4)
	v_fma_f64 v[190:191], v[162:163], v[4:5], -v[182:183]
	v_fmac_f64_e32 v[186:187], v[164:165], v[4:5]
	ds_load_b128 v[4:7], v2 offset:1184
	ds_load_b128 v[162:165], v2 offset:1200
	scratch_load_b128 v[182:185], off, off offset:416
	v_fmac_f64_e32 v[188:189], v[172:173], v[10:11]
	v_fma_f64 v[170:171], v[170:171], v[10:11], -v[12:13]
	scratch_load_b128 v[10:13], off, off offset:432
	s_wait_loadcnt_dscnt 0xc01
	v_mul_f64_e32 v[192:193], v[4:5], v[132:133]
	v_mul_f64_e32 v[132:133], v[6:7], v[132:133]
	v_add_f64_e32 v[172:173], 0, v[190:191]
	v_add_f64_e32 v[186:187], 0, v[186:187]
	s_wait_loadcnt_dscnt 0xb00
	v_mul_f64_e32 v[190:191], v[162:163], v[136:137]
	v_mul_f64_e32 v[136:137], v[164:165], v[136:137]
	v_fmac_f64_e32 v[192:193], v[6:7], v[130:131]
	v_fma_f64 v[194:195], v[4:5], v[130:131], -v[132:133]
	ds_load_b128 v[4:7], v2 offset:1216
	ds_load_b128 v[130:133], v2 offset:1232
	v_add_f64_e32 v[196:197], v[172:173], v[170:171]
	v_add_f64_e32 v[186:187], v[186:187], v[188:189]
	scratch_load_b128 v[170:173], off, off offset:448
	v_fmac_f64_e32 v[190:191], v[164:165], v[134:135]
	v_fma_f64 v[162:163], v[162:163], v[134:135], -v[136:137]
	scratch_load_b128 v[134:137], off, off offset:464
	s_wait_loadcnt_dscnt 0xc01
	v_mul_f64_e32 v[188:189], v[4:5], v[140:141]
	v_mul_f64_e32 v[140:141], v[6:7], v[140:141]
	v_add_f64_e32 v[164:165], v[196:197], v[194:195]
	v_add_f64_e32 v[186:187], v[186:187], v[192:193]
	s_wait_loadcnt_dscnt 0xb00
	v_mul_f64_e32 v[192:193], v[130:131], v[144:145]
	v_mul_f64_e32 v[144:145], v[132:133], v[144:145]
	v_fmac_f64_e32 v[188:189], v[6:7], v[138:139]
	v_fma_f64 v[194:195], v[4:5], v[138:139], -v[140:141]
	ds_load_b128 v[4:7], v2 offset:1248
	ds_load_b128 v[138:141], v2 offset:1264
	v_add_f64_e32 v[196:197], v[164:165], v[162:163]
	v_add_f64_e32 v[186:187], v[186:187], v[190:191]
	scratch_load_b128 v[162:165], off, off offset:480
	s_wait_loadcnt_dscnt 0xb01
	v_mul_f64_e32 v[190:191], v[4:5], v[148:149]
	v_mul_f64_e32 v[148:149], v[6:7], v[148:149]
	v_fmac_f64_e32 v[192:193], v[132:133], v[142:143]
	v_fma_f64 v[142:143], v[130:131], v[142:143], -v[144:145]
	scratch_load_b128 v[130:133], off, off offset:496
	v_add_f64_e32 v[144:145], v[196:197], v[194:195]
	v_add_f64_e32 v[186:187], v[186:187], v[188:189]
	s_wait_loadcnt_dscnt 0xb00
	v_mul_f64_e32 v[188:189], v[138:139], v[152:153]
	v_mul_f64_e32 v[152:153], v[140:141], v[152:153]
	v_fmac_f64_e32 v[190:191], v[6:7], v[146:147]
	v_fma_f64 v[194:195], v[4:5], v[146:147], -v[148:149]
	v_add_f64_e32 v[196:197], v[144:145], v[142:143]
	v_add_f64_e32 v[186:187], v[186:187], v[192:193]
	ds_load_b128 v[4:7], v2 offset:1280
	ds_load_b128 v[142:145], v2 offset:1296
	scratch_load_b128 v[146:149], off, off offset:512
	v_fmac_f64_e32 v[188:189], v[140:141], v[150:151]
	v_fma_f64 v[150:151], v[138:139], v[150:151], -v[152:153]
	scratch_load_b128 v[138:141], off, off offset:528
	s_wait_loadcnt_dscnt 0xc01
	v_mul_f64_e32 v[192:193], v[4:5], v[156:157]
	v_mul_f64_e32 v[156:157], v[6:7], v[156:157]
	v_add_f64_e32 v[152:153], v[196:197], v[194:195]
	v_add_f64_e32 v[186:187], v[186:187], v[190:191]
	s_wait_loadcnt_dscnt 0xb00
	v_mul_f64_e32 v[190:191], v[142:143], v[160:161]
	v_mul_f64_e32 v[160:161], v[144:145], v[160:161]
	v_fmac_f64_e32 v[192:193], v[6:7], v[154:155]
	v_fma_f64 v[194:195], v[4:5], v[154:155], -v[156:157]
	v_add_f64_e32 v[196:197], v[152:153], v[150:151]
	v_add_f64_e32 v[186:187], v[186:187], v[188:189]
	ds_load_b128 v[4:7], v2 offset:1312
	ds_load_b128 v[150:153], v2 offset:1328
	scratch_load_b128 v[154:157], off, off offset:544
	v_fmac_f64_e32 v[190:191], v[144:145], v[158:159]
	v_fma_f64 v[158:159], v[142:143], v[158:159], -v[160:161]
	scratch_load_b128 v[142:145], off, off offset:560
	s_wait_loadcnt_dscnt 0xc01
	v_mul_f64_e32 v[188:189], v[4:5], v[168:169]
	v_mul_f64_e32 v[168:169], v[6:7], v[168:169]
	;; [unrolled: 18-line block ×5, first 2 shown]
	v_add_f64_e32 v[180:181], v[196:197], v[194:195]
	v_add_f64_e32 v[186:187], v[186:187], v[192:193]
	s_wait_loadcnt_dscnt 0xa00
	v_mul_f64_e32 v[192:193], v[158:159], v[132:133]
	v_mul_f64_e32 v[132:133], v[160:161], v[132:133]
	v_fmac_f64_e32 v[188:189], v[6:7], v[162:163]
	v_fma_f64 v[194:195], v[4:5], v[162:163], -v[164:165]
	ds_load_b128 v[4:7], v2 offset:1440
	ds_load_b128 v[162:165], v2 offset:1456
	v_add_f64_e32 v[196:197], v[180:181], v[178:179]
	v_add_f64_e32 v[186:187], v[186:187], v[190:191]
	scratch_load_b128 v[178:181], off, off offset:672
	v_fmac_f64_e32 v[192:193], v[160:161], v[130:131]
	v_fma_f64 v[158:159], v[158:159], v[130:131], -v[132:133]
	scratch_load_b128 v[130:133], off, off offset:688
	s_wait_loadcnt_dscnt 0xb01
	v_mul_f64_e32 v[190:191], v[4:5], v[148:149]
	v_mul_f64_e32 v[148:149], v[6:7], v[148:149]
	v_add_f64_e32 v[160:161], v[196:197], v[194:195]
	v_add_f64_e32 v[186:187], v[186:187], v[188:189]
	s_wait_loadcnt_dscnt 0xa00
	v_mul_f64_e32 v[188:189], v[162:163], v[140:141]
	v_mul_f64_e32 v[140:141], v[164:165], v[140:141]
	v_fmac_f64_e32 v[190:191], v[6:7], v[146:147]
	v_fma_f64 v[194:195], v[4:5], v[146:147], -v[148:149]
	ds_load_b128 v[4:7], v2 offset:1472
	ds_load_b128 v[146:149], v2 offset:1488
	v_add_f64_e32 v[196:197], v[160:161], v[158:159]
	v_add_f64_e32 v[186:187], v[186:187], v[192:193]
	scratch_load_b128 v[158:161], off, off offset:704
	s_wait_loadcnt_dscnt 0xa01
	v_mul_f64_e32 v[192:193], v[4:5], v[156:157]
	v_mul_f64_e32 v[156:157], v[6:7], v[156:157]
	v_fmac_f64_e32 v[188:189], v[164:165], v[138:139]
	v_fma_f64 v[162:163], v[162:163], v[138:139], -v[140:141]
	scratch_load_b128 v[138:141], off, off offset:720
	v_add_f64_e32 v[164:165], v[196:197], v[194:195]
	v_add_f64_e32 v[186:187], v[186:187], v[190:191]
	s_wait_loadcnt_dscnt 0xa00
	v_mul_f64_e32 v[190:191], v[146:147], v[144:145]
	v_mul_f64_e32 v[144:145], v[148:149], v[144:145]
	v_fmac_f64_e32 v[192:193], v[6:7], v[154:155]
	v_fma_f64 v[194:195], v[4:5], v[154:155], -v[156:157]
	ds_load_b128 v[4:7], v2 offset:1504
	ds_load_b128 v[154:157], v2 offset:1520
	v_add_f64_e32 v[196:197], v[164:165], v[162:163]
	v_add_f64_e32 v[186:187], v[186:187], v[188:189]
	scratch_load_b128 v[162:165], off, off offset:736
	s_wait_loadcnt_dscnt 0xa01
	v_mul_f64_e32 v[188:189], v[4:5], v[168:169]
	v_mul_f64_e32 v[168:169], v[6:7], v[168:169]
	v_fmac_f64_e32 v[190:191], v[148:149], v[142:143]
	v_fma_f64 v[146:147], v[146:147], v[142:143], -v[144:145]
	scratch_load_b128 v[142:145], off, off offset:752
	v_add_f64_e32 v[148:149], v[196:197], v[194:195]
	v_add_f64_e32 v[186:187], v[186:187], v[192:193]
	s_wait_loadcnt_dscnt 0xa00
	v_mul_f64_e32 v[192:193], v[154:155], v[152:153]
	v_mul_f64_e32 v[152:153], v[156:157], v[152:153]
	v_fmac_f64_e32 v[188:189], v[6:7], v[166:167]
	v_fma_f64 v[194:195], v[4:5], v[166:167], -v[168:169]
	v_add_f64_e32 v[196:197], v[148:149], v[146:147]
	v_add_f64_e32 v[186:187], v[186:187], v[190:191]
	ds_load_b128 v[4:7], v2 offset:1536
	ds_load_b128 v[146:149], v2 offset:1552
	scratch_load_b128 v[166:169], off, off offset:768
	v_fmac_f64_e32 v[192:193], v[156:157], v[150:151]
	v_fma_f64 v[154:155], v[154:155], v[150:151], -v[152:153]
	scratch_load_b128 v[150:153], off, off offset:784
	s_wait_loadcnt_dscnt 0xb01
	v_mul_f64_e32 v[190:191], v[4:5], v[184:185]
	v_mul_f64_e32 v[184:185], v[6:7], v[184:185]
	v_add_f64_e32 v[156:157], v[196:197], v[194:195]
	v_add_f64_e32 v[186:187], v[186:187], v[188:189]
	s_wait_loadcnt_dscnt 0xa00
	v_mul_f64_e32 v[188:189], v[146:147], v[12:13]
	v_mul_f64_e32 v[12:13], v[148:149], v[12:13]
	v_fmac_f64_e32 v[190:191], v[6:7], v[182:183]
	v_fma_f64 v[194:195], v[4:5], v[182:183], -v[184:185]
	v_add_f64_e32 v[196:197], v[156:157], v[154:155]
	v_add_f64_e32 v[186:187], v[186:187], v[192:193]
	ds_load_b128 v[4:7], v2 offset:1568
	ds_load_b128 v[154:157], v2 offset:1584
	scratch_load_b128 v[182:185], off, off offset:800
	v_fmac_f64_e32 v[188:189], v[148:149], v[10:11]
	v_fma_f64 v[146:147], v[146:147], v[10:11], -v[12:13]
	scratch_load_b128 v[10:13], off, off offset:816
	s_wait_loadcnt_dscnt 0xb01
	v_mul_f64_e32 v[192:193], v[4:5], v[172:173]
	v_mul_f64_e32 v[172:173], v[6:7], v[172:173]
	;; [unrolled: 18-line block ×5, first 2 shown]
	v_add_f64_e32 v[156:157], v[196:197], v[194:195]
	v_add_f64_e32 v[186:187], v[186:187], v[190:191]
	s_wait_loadcnt_dscnt 0xa00
	v_mul_f64_e32 v[190:191], v[146:147], v[144:145]
	v_mul_f64_e32 v[144:145], v[148:149], v[144:145]
	v_fmac_f64_e32 v[192:193], v[6:7], v[162:163]
	v_fma_f64 v[162:163], v[4:5], v[162:163], -v[164:165]
	v_add_f64_e32 v[164:165], v[156:157], v[154:155]
	v_add_f64_e32 v[186:187], v[186:187], v[188:189]
	ds_load_b128 v[4:7], v2 offset:1696
	ds_load_b128 v[154:157], v2 offset:1712
	v_fmac_f64_e32 v[190:191], v[148:149], v[142:143]
	v_fma_f64 v[142:143], v[146:147], v[142:143], -v[144:145]
	s_wait_loadcnt_dscnt 0x901
	v_mul_f64_e32 v[188:189], v[4:5], v[168:169]
	v_mul_f64_e32 v[168:169], v[6:7], v[168:169]
	s_wait_loadcnt_dscnt 0x800
	v_mul_f64_e32 v[148:149], v[154:155], v[152:153]
	v_mul_f64_e32 v[152:153], v[156:157], v[152:153]
	v_add_f64_e32 v[144:145], v[164:165], v[162:163]
	v_add_f64_e32 v[146:147], v[186:187], v[192:193]
	v_fmac_f64_e32 v[188:189], v[6:7], v[166:167]
	v_fma_f64 v[162:163], v[4:5], v[166:167], -v[168:169]
	v_fmac_f64_e32 v[148:149], v[156:157], v[150:151]
	v_fma_f64 v[150:151], v[154:155], v[150:151], -v[152:153]
	v_add_f64_e32 v[164:165], v[144:145], v[142:143]
	v_add_f64_e32 v[146:147], v[146:147], v[190:191]
	ds_load_b128 v[4:7], v2 offset:1728
	ds_load_b128 v[142:145], v2 offset:1744
	s_wait_loadcnt_dscnt 0x701
	v_mul_f64_e32 v[166:167], v[4:5], v[184:185]
	v_mul_f64_e32 v[168:169], v[6:7], v[184:185]
	s_wait_loadcnt_dscnt 0x600
	v_mul_f64_e32 v[154:155], v[142:143], v[12:13]
	v_mul_f64_e32 v[12:13], v[144:145], v[12:13]
	v_add_f64_e32 v[152:153], v[164:165], v[162:163]
	v_add_f64_e32 v[146:147], v[146:147], v[188:189]
	v_fmac_f64_e32 v[166:167], v[6:7], v[182:183]
	v_fma_f64 v[156:157], v[4:5], v[182:183], -v[168:169]
	v_fmac_f64_e32 v[154:155], v[144:145], v[10:11]
	v_fma_f64 v[10:11], v[142:143], v[10:11], -v[12:13]
	v_add_f64_e32 v[150:151], v[152:153], v[150:151]
	v_add_f64_e32 v[152:153], v[146:147], v[148:149]
	ds_load_b128 v[4:7], v2 offset:1760
	ds_load_b128 v[146:149], v2 offset:1776
	;; [unrolled: 16-line block ×4, first 2 shown]
	s_wait_loadcnt_dscnt 0x101
	v_mul_f64_e32 v[2:3], v[4:5], v[160:161]
	v_mul_f64_e32 v[144:145], v[6:7], v[160:161]
	v_add_f64_e32 v[12:13], v[136:137], v[150:151]
	v_add_f64_e32 v[130:131], v[142:143], v[154:155]
	s_wait_loadcnt_dscnt 0x0
	v_mul_f64_e32 v[136:137], v[132:133], v[140:141]
	v_mul_f64_e32 v[140:141], v[134:135], v[140:141]
	v_fmac_f64_e32 v[2:3], v[6:7], v[158:159]
	v_fma_f64 v[4:5], v[4:5], v[158:159], -v[144:145]
	v_add_f64_e32 v[6:7], v[12:13], v[10:11]
	v_add_f64_e32 v[10:11], v[130:131], v[146:147]
	v_fmac_f64_e32 v[136:137], v[134:135], v[138:139]
	v_fma_f64 v[12:13], v[132:133], v[138:139], -v[140:141]
	s_delay_alu instid0(VALU_DEP_4) | instskip(NEXT) | instid1(VALU_DEP_4)
	v_add_f64_e32 v[4:5], v[6:7], v[4:5]
	v_add_f64_e32 v[2:3], v[10:11], v[2:3]
	s_delay_alu instid0(VALU_DEP_2) | instskip(NEXT) | instid1(VALU_DEP_2)
	v_add_f64_e32 v[4:5], v[4:5], v[12:13]
	v_add_f64_e32 v[6:7], v[2:3], v[136:137]
	s_delay_alu instid0(VALU_DEP_2) | instskip(NEXT) | instid1(VALU_DEP_2)
	v_add_f64_e64 v[2:3], v[174:175], -v[4:5]
	v_add_f64_e64 v[4:5], v[176:177], -v[6:7]
	scratch_store_b128 off, v[2:5], off offset:208
	s_wait_xcnt 0x0
	v_cmpx_lt_u32_e32 12, v1
	s_cbranch_execz .LBB57_337
; %bb.336:
	scratch_load_b128 v[2:5], off, s60
	v_mov_b32_e32 v10, 0
	s_delay_alu instid0(VALU_DEP_1)
	v_dual_mov_b32 v11, v10 :: v_dual_mov_b32 v12, v10
	v_mov_b32_e32 v13, v10
	scratch_store_b128 off, v[10:13], off offset:192
	s_wait_loadcnt 0x0
	ds_store_b128 v8, v[2:5]
.LBB57_337:
	s_wait_xcnt 0x0
	s_or_b32 exec_lo, exec_lo, s2
	s_wait_storecnt_dscnt 0x0
	s_barrier_signal -1
	s_barrier_wait -1
	s_clause 0x9
	scratch_load_b128 v[4:7], off, off offset:208
	scratch_load_b128 v[10:13], off, off offset:224
	;; [unrolled: 1-line block ×10, first 2 shown]
	v_mov_b32_e32 v2, 0
	s_mov_b32 s2, exec_lo
	ds_load_b128 v[162:165], v2 offset:1136
	s_clause 0x2
	scratch_load_b128 v[166:169], off, off offset:368
	scratch_load_b128 v[170:173], off, off offset:192
	;; [unrolled: 1-line block ×3, first 2 shown]
	s_wait_loadcnt_dscnt 0xc00
	v_mul_f64_e32 v[182:183], v[164:165], v[6:7]
	v_mul_f64_e32 v[186:187], v[162:163], v[6:7]
	ds_load_b128 v[174:177], v2 offset:1152
	v_fma_f64 v[190:191], v[162:163], v[4:5], -v[182:183]
	v_fmac_f64_e32 v[186:187], v[164:165], v[4:5]
	ds_load_b128 v[4:7], v2 offset:1168
	s_wait_loadcnt_dscnt 0xb01
	v_mul_f64_e32 v[188:189], v[174:175], v[12:13]
	v_mul_f64_e32 v[12:13], v[176:177], v[12:13]
	scratch_load_b128 v[162:165], off, off offset:400
	ds_load_b128 v[182:185], v2 offset:1184
	s_wait_loadcnt_dscnt 0xb01
	v_mul_f64_e32 v[192:193], v[4:5], v[132:133]
	v_mul_f64_e32 v[132:133], v[6:7], v[132:133]
	v_add_f64_e32 v[186:187], 0, v[186:187]
	v_fmac_f64_e32 v[188:189], v[176:177], v[10:11]
	v_fma_f64 v[174:175], v[174:175], v[10:11], -v[12:13]
	v_add_f64_e32 v[176:177], 0, v[190:191]
	scratch_load_b128 v[10:13], off, off offset:416
	v_fmac_f64_e32 v[192:193], v[6:7], v[130:131]
	v_fma_f64 v[194:195], v[4:5], v[130:131], -v[132:133]
	ds_load_b128 v[4:7], v2 offset:1200
	s_wait_loadcnt_dscnt 0xb01
	v_mul_f64_e32 v[190:191], v[182:183], v[136:137]
	v_mul_f64_e32 v[136:137], v[184:185], v[136:137]
	scratch_load_b128 v[130:133], off, off offset:432
	v_add_f64_e32 v[186:187], v[186:187], v[188:189]
	v_add_f64_e32 v[196:197], v[176:177], v[174:175]
	ds_load_b128 v[174:177], v2 offset:1216
	s_wait_loadcnt_dscnt 0xb01
	v_mul_f64_e32 v[188:189], v[4:5], v[140:141]
	v_mul_f64_e32 v[140:141], v[6:7], v[140:141]
	v_fmac_f64_e32 v[190:191], v[184:185], v[134:135]
	v_fma_f64 v[182:183], v[182:183], v[134:135], -v[136:137]
	scratch_load_b128 v[134:137], off, off offset:448
	v_add_f64_e32 v[186:187], v[186:187], v[192:193]
	v_add_f64_e32 v[184:185], v[196:197], v[194:195]
	v_fmac_f64_e32 v[188:189], v[6:7], v[138:139]
	v_fma_f64 v[194:195], v[4:5], v[138:139], -v[140:141]
	ds_load_b128 v[4:7], v2 offset:1232
	s_wait_loadcnt_dscnt 0xb01
	v_mul_f64_e32 v[192:193], v[174:175], v[144:145]
	v_mul_f64_e32 v[144:145], v[176:177], v[144:145]
	scratch_load_b128 v[138:141], off, off offset:464
	v_add_f64_e32 v[186:187], v[186:187], v[190:191]
	s_wait_loadcnt_dscnt 0xb00
	v_mul_f64_e32 v[190:191], v[4:5], v[148:149]
	v_add_f64_e32 v[196:197], v[184:185], v[182:183]
	v_mul_f64_e32 v[148:149], v[6:7], v[148:149]
	ds_load_b128 v[182:185], v2 offset:1248
	v_fmac_f64_e32 v[192:193], v[176:177], v[142:143]
	v_fma_f64 v[174:175], v[174:175], v[142:143], -v[144:145]
	scratch_load_b128 v[142:145], off, off offset:480
	v_add_f64_e32 v[186:187], v[186:187], v[188:189]
	v_fmac_f64_e32 v[190:191], v[6:7], v[146:147]
	v_add_f64_e32 v[176:177], v[196:197], v[194:195]
	v_fma_f64 v[194:195], v[4:5], v[146:147], -v[148:149]
	ds_load_b128 v[4:7], v2 offset:1264
	s_wait_loadcnt_dscnt 0xb01
	v_mul_f64_e32 v[188:189], v[182:183], v[152:153]
	v_mul_f64_e32 v[152:153], v[184:185], v[152:153]
	scratch_load_b128 v[146:149], off, off offset:496
	v_add_f64_e32 v[186:187], v[186:187], v[192:193]
	s_wait_loadcnt_dscnt 0xb00
	v_mul_f64_e32 v[192:193], v[4:5], v[156:157]
	v_add_f64_e32 v[196:197], v[176:177], v[174:175]
	v_mul_f64_e32 v[156:157], v[6:7], v[156:157]
	ds_load_b128 v[174:177], v2 offset:1280
	v_fmac_f64_e32 v[188:189], v[184:185], v[150:151]
	v_fma_f64 v[182:183], v[182:183], v[150:151], -v[152:153]
	scratch_load_b128 v[150:153], off, off offset:512
	v_add_f64_e32 v[186:187], v[186:187], v[190:191]
	v_fmac_f64_e32 v[192:193], v[6:7], v[154:155]
	v_add_f64_e32 v[184:185], v[196:197], v[194:195]
	v_fma_f64 v[194:195], v[4:5], v[154:155], -v[156:157]
	ds_load_b128 v[4:7], v2 offset:1296
	s_wait_loadcnt_dscnt 0xb01
	v_mul_f64_e32 v[190:191], v[174:175], v[160:161]
	v_mul_f64_e32 v[160:161], v[176:177], v[160:161]
	scratch_load_b128 v[154:157], off, off offset:528
	v_add_f64_e32 v[186:187], v[186:187], v[188:189]
	s_wait_loadcnt_dscnt 0xb00
	v_mul_f64_e32 v[188:189], v[4:5], v[168:169]
	v_add_f64_e32 v[196:197], v[184:185], v[182:183]
	v_mul_f64_e32 v[168:169], v[6:7], v[168:169]
	ds_load_b128 v[182:185], v2 offset:1312
	v_fmac_f64_e32 v[190:191], v[176:177], v[158:159]
	v_fma_f64 v[174:175], v[174:175], v[158:159], -v[160:161]
	scratch_load_b128 v[158:161], off, off offset:544
	v_add_f64_e32 v[186:187], v[186:187], v[192:193]
	v_fmac_f64_e32 v[188:189], v[6:7], v[166:167]
	v_add_f64_e32 v[176:177], v[196:197], v[194:195]
	v_fma_f64 v[194:195], v[4:5], v[166:167], -v[168:169]
	ds_load_b128 v[4:7], v2 offset:1328
	s_wait_loadcnt_dscnt 0xa01
	v_mul_f64_e32 v[192:193], v[182:183], v[180:181]
	v_mul_f64_e32 v[180:181], v[184:185], v[180:181]
	scratch_load_b128 v[166:169], off, off offset:560
	v_add_f64_e32 v[186:187], v[186:187], v[190:191]
	v_add_f64_e32 v[196:197], v[176:177], v[174:175]
	s_wait_loadcnt_dscnt 0xa00
	v_mul_f64_e32 v[190:191], v[4:5], v[164:165]
	v_mul_f64_e32 v[164:165], v[6:7], v[164:165]
	v_fmac_f64_e32 v[192:193], v[184:185], v[178:179]
	v_fma_f64 v[182:183], v[182:183], v[178:179], -v[180:181]
	ds_load_b128 v[174:177], v2 offset:1344
	scratch_load_b128 v[178:181], off, off offset:576
	v_add_f64_e32 v[186:187], v[186:187], v[188:189]
	v_add_f64_e32 v[184:185], v[196:197], v[194:195]
	v_fmac_f64_e32 v[190:191], v[6:7], v[162:163]
	v_fma_f64 v[194:195], v[4:5], v[162:163], -v[164:165]
	ds_load_b128 v[4:7], v2 offset:1360
	s_wait_loadcnt_dscnt 0xa01
	v_mul_f64_e32 v[188:189], v[174:175], v[12:13]
	v_mul_f64_e32 v[12:13], v[176:177], v[12:13]
	scratch_load_b128 v[162:165], off, off offset:592
	v_add_f64_e32 v[186:187], v[186:187], v[192:193]
	s_wait_loadcnt_dscnt 0xa00
	v_mul_f64_e32 v[192:193], v[4:5], v[132:133]
	v_add_f64_e32 v[196:197], v[184:185], v[182:183]
	v_mul_f64_e32 v[132:133], v[6:7], v[132:133]
	ds_load_b128 v[182:185], v2 offset:1376
	v_fmac_f64_e32 v[188:189], v[176:177], v[10:11]
	v_fma_f64 v[174:175], v[174:175], v[10:11], -v[12:13]
	scratch_load_b128 v[10:13], off, off offset:608
	v_add_f64_e32 v[186:187], v[186:187], v[190:191]
	v_fmac_f64_e32 v[192:193], v[6:7], v[130:131]
	v_add_f64_e32 v[176:177], v[196:197], v[194:195]
	v_fma_f64 v[194:195], v[4:5], v[130:131], -v[132:133]
	ds_load_b128 v[4:7], v2 offset:1392
	s_wait_loadcnt_dscnt 0xa01
	v_mul_f64_e32 v[190:191], v[182:183], v[136:137]
	v_mul_f64_e32 v[136:137], v[184:185], v[136:137]
	scratch_load_b128 v[130:133], off, off offset:624
	v_add_f64_e32 v[186:187], v[186:187], v[188:189]
	s_wait_loadcnt_dscnt 0xa00
	v_mul_f64_e32 v[188:189], v[4:5], v[140:141]
	v_add_f64_e32 v[196:197], v[176:177], v[174:175]
	v_mul_f64_e32 v[140:141], v[6:7], v[140:141]
	ds_load_b128 v[174:177], v2 offset:1408
	v_fmac_f64_e32 v[190:191], v[184:185], v[134:135]
	v_fma_f64 v[182:183], v[182:183], v[134:135], -v[136:137]
	scratch_load_b128 v[134:137], off, off offset:640
	v_add_f64_e32 v[186:187], v[186:187], v[192:193]
	v_fmac_f64_e32 v[188:189], v[6:7], v[138:139]
	v_add_f64_e32 v[184:185], v[196:197], v[194:195]
	v_fma_f64 v[194:195], v[4:5], v[138:139], -v[140:141]
	ds_load_b128 v[4:7], v2 offset:1424
	s_wait_loadcnt_dscnt 0xa01
	v_mul_f64_e32 v[192:193], v[174:175], v[144:145]
	v_mul_f64_e32 v[144:145], v[176:177], v[144:145]
	scratch_load_b128 v[138:141], off, off offset:656
	v_add_f64_e32 v[186:187], v[186:187], v[190:191]
	s_wait_loadcnt_dscnt 0xa00
	v_mul_f64_e32 v[190:191], v[4:5], v[148:149]
	v_add_f64_e32 v[196:197], v[184:185], v[182:183]
	v_mul_f64_e32 v[148:149], v[6:7], v[148:149]
	ds_load_b128 v[182:185], v2 offset:1440
	v_fmac_f64_e32 v[192:193], v[176:177], v[142:143]
	v_fma_f64 v[174:175], v[174:175], v[142:143], -v[144:145]
	scratch_load_b128 v[142:145], off, off offset:672
	v_add_f64_e32 v[186:187], v[186:187], v[188:189]
	v_fmac_f64_e32 v[190:191], v[6:7], v[146:147]
	v_add_f64_e32 v[176:177], v[196:197], v[194:195]
	v_fma_f64 v[194:195], v[4:5], v[146:147], -v[148:149]
	ds_load_b128 v[4:7], v2 offset:1456
	s_wait_loadcnt_dscnt 0xa01
	v_mul_f64_e32 v[188:189], v[182:183], v[152:153]
	v_mul_f64_e32 v[152:153], v[184:185], v[152:153]
	scratch_load_b128 v[146:149], off, off offset:688
	v_add_f64_e32 v[186:187], v[186:187], v[192:193]
	s_wait_loadcnt_dscnt 0xa00
	v_mul_f64_e32 v[192:193], v[4:5], v[156:157]
	v_add_f64_e32 v[196:197], v[176:177], v[174:175]
	v_mul_f64_e32 v[156:157], v[6:7], v[156:157]
	ds_load_b128 v[174:177], v2 offset:1472
	v_fmac_f64_e32 v[188:189], v[184:185], v[150:151]
	v_fma_f64 v[182:183], v[182:183], v[150:151], -v[152:153]
	scratch_load_b128 v[150:153], off, off offset:704
	v_add_f64_e32 v[186:187], v[186:187], v[190:191]
	v_fmac_f64_e32 v[192:193], v[6:7], v[154:155]
	v_add_f64_e32 v[184:185], v[196:197], v[194:195]
	v_fma_f64 v[194:195], v[4:5], v[154:155], -v[156:157]
	ds_load_b128 v[4:7], v2 offset:1488
	s_wait_loadcnt_dscnt 0xa01
	v_mul_f64_e32 v[190:191], v[174:175], v[160:161]
	v_mul_f64_e32 v[160:161], v[176:177], v[160:161]
	scratch_load_b128 v[154:157], off, off offset:720
	v_add_f64_e32 v[186:187], v[186:187], v[188:189]
	s_wait_loadcnt_dscnt 0xa00
	v_mul_f64_e32 v[188:189], v[4:5], v[168:169]
	v_add_f64_e32 v[196:197], v[184:185], v[182:183]
	v_mul_f64_e32 v[168:169], v[6:7], v[168:169]
	ds_load_b128 v[182:185], v2 offset:1504
	v_fmac_f64_e32 v[190:191], v[176:177], v[158:159]
	v_fma_f64 v[174:175], v[174:175], v[158:159], -v[160:161]
	scratch_load_b128 v[158:161], off, off offset:736
	v_add_f64_e32 v[186:187], v[186:187], v[192:193]
	v_fmac_f64_e32 v[188:189], v[6:7], v[166:167]
	v_add_f64_e32 v[176:177], v[196:197], v[194:195]
	v_fma_f64 v[194:195], v[4:5], v[166:167], -v[168:169]
	ds_load_b128 v[4:7], v2 offset:1520
	s_wait_loadcnt_dscnt 0xa01
	v_mul_f64_e32 v[192:193], v[182:183], v[180:181]
	v_mul_f64_e32 v[180:181], v[184:185], v[180:181]
	scratch_load_b128 v[166:169], off, off offset:752
	v_add_f64_e32 v[186:187], v[186:187], v[190:191]
	s_wait_loadcnt_dscnt 0xa00
	v_mul_f64_e32 v[190:191], v[4:5], v[164:165]
	v_add_f64_e32 v[196:197], v[176:177], v[174:175]
	v_mul_f64_e32 v[164:165], v[6:7], v[164:165]
	ds_load_b128 v[174:177], v2 offset:1536
	v_fmac_f64_e32 v[192:193], v[184:185], v[178:179]
	v_fma_f64 v[182:183], v[182:183], v[178:179], -v[180:181]
	scratch_load_b128 v[178:181], off, off offset:768
	v_add_f64_e32 v[186:187], v[186:187], v[188:189]
	v_fmac_f64_e32 v[190:191], v[6:7], v[162:163]
	v_add_f64_e32 v[184:185], v[196:197], v[194:195]
	v_fma_f64 v[194:195], v[4:5], v[162:163], -v[164:165]
	ds_load_b128 v[4:7], v2 offset:1552
	s_wait_loadcnt_dscnt 0xa01
	v_mul_f64_e32 v[188:189], v[174:175], v[12:13]
	v_mul_f64_e32 v[12:13], v[176:177], v[12:13]
	scratch_load_b128 v[162:165], off, off offset:784
	v_add_f64_e32 v[186:187], v[186:187], v[192:193]
	s_wait_loadcnt_dscnt 0xa00
	v_mul_f64_e32 v[192:193], v[4:5], v[132:133]
	v_add_f64_e32 v[196:197], v[184:185], v[182:183]
	v_mul_f64_e32 v[132:133], v[6:7], v[132:133]
	ds_load_b128 v[182:185], v2 offset:1568
	v_fmac_f64_e32 v[188:189], v[176:177], v[10:11]
	v_fma_f64 v[174:175], v[174:175], v[10:11], -v[12:13]
	scratch_load_b128 v[10:13], off, off offset:800
	v_add_f64_e32 v[186:187], v[186:187], v[190:191]
	v_fmac_f64_e32 v[192:193], v[6:7], v[130:131]
	v_add_f64_e32 v[176:177], v[196:197], v[194:195]
	v_fma_f64 v[194:195], v[4:5], v[130:131], -v[132:133]
	ds_load_b128 v[4:7], v2 offset:1584
	s_wait_loadcnt_dscnt 0xa01
	v_mul_f64_e32 v[190:191], v[182:183], v[136:137]
	v_mul_f64_e32 v[136:137], v[184:185], v[136:137]
	scratch_load_b128 v[130:133], off, off offset:816
	v_add_f64_e32 v[186:187], v[186:187], v[188:189]
	s_wait_loadcnt_dscnt 0xa00
	v_mul_f64_e32 v[188:189], v[4:5], v[140:141]
	v_add_f64_e32 v[196:197], v[176:177], v[174:175]
	v_mul_f64_e32 v[140:141], v[6:7], v[140:141]
	ds_load_b128 v[174:177], v2 offset:1600
	v_fmac_f64_e32 v[190:191], v[184:185], v[134:135]
	v_fma_f64 v[182:183], v[182:183], v[134:135], -v[136:137]
	scratch_load_b128 v[134:137], off, off offset:832
	v_add_f64_e32 v[186:187], v[186:187], v[192:193]
	v_fmac_f64_e32 v[188:189], v[6:7], v[138:139]
	v_add_f64_e32 v[184:185], v[196:197], v[194:195]
	v_fma_f64 v[194:195], v[4:5], v[138:139], -v[140:141]
	ds_load_b128 v[4:7], v2 offset:1616
	s_wait_loadcnt_dscnt 0xa01
	v_mul_f64_e32 v[192:193], v[174:175], v[144:145]
	v_mul_f64_e32 v[144:145], v[176:177], v[144:145]
	scratch_load_b128 v[138:141], off, off offset:848
	v_add_f64_e32 v[186:187], v[186:187], v[190:191]
	s_wait_loadcnt_dscnt 0xa00
	v_mul_f64_e32 v[190:191], v[4:5], v[148:149]
	v_add_f64_e32 v[196:197], v[184:185], v[182:183]
	v_mul_f64_e32 v[148:149], v[6:7], v[148:149]
	ds_load_b128 v[182:185], v2 offset:1632
	v_fmac_f64_e32 v[192:193], v[176:177], v[142:143]
	v_fma_f64 v[174:175], v[174:175], v[142:143], -v[144:145]
	scratch_load_b128 v[142:145], off, off offset:864
	v_add_f64_e32 v[186:187], v[186:187], v[188:189]
	v_fmac_f64_e32 v[190:191], v[6:7], v[146:147]
	v_add_f64_e32 v[176:177], v[196:197], v[194:195]
	v_fma_f64 v[194:195], v[4:5], v[146:147], -v[148:149]
	ds_load_b128 v[4:7], v2 offset:1648
	s_wait_loadcnt_dscnt 0xa01
	v_mul_f64_e32 v[188:189], v[182:183], v[152:153]
	v_mul_f64_e32 v[152:153], v[184:185], v[152:153]
	scratch_load_b128 v[146:149], off, off offset:880
	v_add_f64_e32 v[186:187], v[186:187], v[192:193]
	s_wait_loadcnt_dscnt 0xa00
	v_mul_f64_e32 v[192:193], v[4:5], v[156:157]
	v_add_f64_e32 v[196:197], v[176:177], v[174:175]
	v_mul_f64_e32 v[156:157], v[6:7], v[156:157]
	ds_load_b128 v[174:177], v2 offset:1664
	v_fmac_f64_e32 v[188:189], v[184:185], v[150:151]
	v_fma_f64 v[182:183], v[182:183], v[150:151], -v[152:153]
	scratch_load_b128 v[150:153], off, off offset:896
	v_add_f64_e32 v[186:187], v[186:187], v[190:191]
	v_fmac_f64_e32 v[192:193], v[6:7], v[154:155]
	v_add_f64_e32 v[184:185], v[196:197], v[194:195]
	v_fma_f64 v[194:195], v[4:5], v[154:155], -v[156:157]
	ds_load_b128 v[4:7], v2 offset:1680
	s_wait_loadcnt_dscnt 0xa01
	v_mul_f64_e32 v[190:191], v[174:175], v[160:161]
	v_mul_f64_e32 v[160:161], v[176:177], v[160:161]
	scratch_load_b128 v[154:157], off, off offset:912
	v_add_f64_e32 v[186:187], v[186:187], v[188:189]
	s_wait_loadcnt_dscnt 0xa00
	v_mul_f64_e32 v[188:189], v[4:5], v[168:169]
	v_add_f64_e32 v[196:197], v[184:185], v[182:183]
	v_mul_f64_e32 v[168:169], v[6:7], v[168:169]
	ds_load_b128 v[182:185], v2 offset:1696
	v_fmac_f64_e32 v[190:191], v[176:177], v[158:159]
	v_fma_f64 v[158:159], v[174:175], v[158:159], -v[160:161]
	s_wait_loadcnt_dscnt 0x900
	v_mul_f64_e32 v[176:177], v[182:183], v[180:181]
	v_mul_f64_e32 v[180:181], v[184:185], v[180:181]
	v_add_f64_e32 v[174:175], v[186:187], v[192:193]
	v_fmac_f64_e32 v[188:189], v[6:7], v[166:167]
	v_add_f64_e32 v[160:161], v[196:197], v[194:195]
	v_fma_f64 v[166:167], v[4:5], v[166:167], -v[168:169]
	v_fmac_f64_e32 v[176:177], v[184:185], v[178:179]
	v_fma_f64 v[178:179], v[182:183], v[178:179], -v[180:181]
	v_add_f64_e32 v[174:175], v[174:175], v[190:191]
	v_add_f64_e32 v[168:169], v[160:161], v[158:159]
	ds_load_b128 v[4:7], v2 offset:1712
	ds_load_b128 v[158:161], v2 offset:1728
	s_wait_loadcnt_dscnt 0x801
	v_mul_f64_e32 v[186:187], v[4:5], v[164:165]
	v_mul_f64_e32 v[164:165], v[6:7], v[164:165]
	v_add_f64_e32 v[166:167], v[168:169], v[166:167]
	v_add_f64_e32 v[168:169], v[174:175], v[188:189]
	s_wait_loadcnt_dscnt 0x700
	v_mul_f64_e32 v[174:175], v[158:159], v[12:13]
	v_mul_f64_e32 v[12:13], v[160:161], v[12:13]
	v_fmac_f64_e32 v[186:187], v[6:7], v[162:163]
	v_fma_f64 v[180:181], v[4:5], v[162:163], -v[164:165]
	ds_load_b128 v[4:7], v2 offset:1744
	ds_load_b128 v[162:165], v2 offset:1760
	v_add_f64_e32 v[166:167], v[166:167], v[178:179]
	v_add_f64_e32 v[168:169], v[168:169], v[176:177]
	v_fmac_f64_e32 v[174:175], v[160:161], v[10:11]
	v_fma_f64 v[10:11], v[158:159], v[10:11], -v[12:13]
	s_wait_loadcnt_dscnt 0x601
	v_mul_f64_e32 v[176:177], v[4:5], v[132:133]
	v_mul_f64_e32 v[132:133], v[6:7], v[132:133]
	s_wait_loadcnt_dscnt 0x500
	v_mul_f64_e32 v[160:161], v[162:163], v[136:137]
	v_mul_f64_e32 v[136:137], v[164:165], v[136:137]
	v_add_f64_e32 v[12:13], v[166:167], v[180:181]
	v_add_f64_e32 v[158:159], v[168:169], v[186:187]
	v_fmac_f64_e32 v[176:177], v[6:7], v[130:131]
	v_fma_f64 v[130:131], v[4:5], v[130:131], -v[132:133]
	v_fmac_f64_e32 v[160:161], v[164:165], v[134:135]
	v_fma_f64 v[134:135], v[162:163], v[134:135], -v[136:137]
	v_add_f64_e32 v[132:133], v[12:13], v[10:11]
	v_add_f64_e32 v[158:159], v[158:159], v[174:175]
	ds_load_b128 v[4:7], v2 offset:1776
	ds_load_b128 v[10:13], v2 offset:1792
	s_wait_loadcnt_dscnt 0x401
	v_mul_f64_e32 v[166:167], v[4:5], v[140:141]
	v_mul_f64_e32 v[140:141], v[6:7], v[140:141]
	s_wait_loadcnt_dscnt 0x300
	v_mul_f64_e32 v[136:137], v[10:11], v[144:145]
	v_mul_f64_e32 v[144:145], v[12:13], v[144:145]
	v_add_f64_e32 v[130:131], v[132:133], v[130:131]
	v_add_f64_e32 v[132:133], v[158:159], v[176:177]
	v_fmac_f64_e32 v[166:167], v[6:7], v[138:139]
	v_fma_f64 v[138:139], v[4:5], v[138:139], -v[140:141]
	v_fmac_f64_e32 v[136:137], v[12:13], v[142:143]
	v_fma_f64 v[10:11], v[10:11], v[142:143], -v[144:145]
	v_add_f64_e32 v[134:135], v[130:131], v[134:135]
	v_add_f64_e32 v[140:141], v[132:133], v[160:161]
	ds_load_b128 v[4:7], v2 offset:1808
	ds_load_b128 v[130:133], v2 offset:1824
	s_wait_loadcnt_dscnt 0x201
	v_mul_f64_e32 v[158:159], v[4:5], v[148:149]
	v_mul_f64_e32 v[148:149], v[6:7], v[148:149]
	v_add_f64_e32 v[12:13], v[134:135], v[138:139]
	v_add_f64_e32 v[134:135], v[140:141], v[166:167]
	s_wait_loadcnt_dscnt 0x100
	v_mul_f64_e32 v[138:139], v[130:131], v[152:153]
	v_mul_f64_e32 v[140:141], v[132:133], v[152:153]
	v_fmac_f64_e32 v[158:159], v[6:7], v[146:147]
	v_fma_f64 v[142:143], v[4:5], v[146:147], -v[148:149]
	ds_load_b128 v[4:7], v2 offset:1840
	v_add_f64_e32 v[10:11], v[12:13], v[10:11]
	v_add_f64_e32 v[12:13], v[134:135], v[136:137]
	v_fmac_f64_e32 v[138:139], v[132:133], v[150:151]
	v_fma_f64 v[130:131], v[130:131], v[150:151], -v[140:141]
	s_wait_loadcnt_dscnt 0x0
	v_mul_f64_e32 v[134:135], v[4:5], v[156:157]
	v_mul_f64_e32 v[136:137], v[6:7], v[156:157]
	v_add_f64_e32 v[10:11], v[10:11], v[142:143]
	v_add_f64_e32 v[12:13], v[12:13], v[158:159]
	s_delay_alu instid0(VALU_DEP_4) | instskip(NEXT) | instid1(VALU_DEP_4)
	v_fmac_f64_e32 v[134:135], v[6:7], v[154:155]
	v_fma_f64 v[4:5], v[4:5], v[154:155], -v[136:137]
	s_delay_alu instid0(VALU_DEP_4) | instskip(NEXT) | instid1(VALU_DEP_4)
	v_add_f64_e32 v[6:7], v[10:11], v[130:131]
	v_add_f64_e32 v[10:11], v[12:13], v[138:139]
	s_delay_alu instid0(VALU_DEP_2) | instskip(NEXT) | instid1(VALU_DEP_2)
	v_add_f64_e32 v[4:5], v[6:7], v[4:5]
	v_add_f64_e32 v[6:7], v[10:11], v[134:135]
	s_delay_alu instid0(VALU_DEP_2) | instskip(NEXT) | instid1(VALU_DEP_2)
	v_add_f64_e64 v[4:5], v[170:171], -v[4:5]
	v_add_f64_e64 v[6:7], v[172:173], -v[6:7]
	scratch_store_b128 off, v[4:7], off offset:192
	s_wait_xcnt 0x0
	v_cmpx_lt_u32_e32 11, v1
	s_cbranch_execz .LBB57_339
; %bb.338:
	scratch_load_b128 v[10:13], off, s57
	v_dual_mov_b32 v3, v2 :: v_dual_mov_b32 v4, v2
	v_mov_b32_e32 v5, v2
	scratch_store_b128 off, v[2:5], off offset:176
	s_wait_loadcnt 0x0
	ds_store_b128 v8, v[10:13]
.LBB57_339:
	s_wait_xcnt 0x0
	s_or_b32 exec_lo, exec_lo, s2
	s_wait_storecnt_dscnt 0x0
	s_barrier_signal -1
	s_barrier_wait -1
	s_clause 0x9
	scratch_load_b128 v[4:7], off, off offset:192
	scratch_load_b128 v[10:13], off, off offset:208
	;; [unrolled: 1-line block ×10, first 2 shown]
	ds_load_b128 v[162:165], v2 offset:1120
	ds_load_b128 v[170:173], v2 offset:1136
	s_clause 0x2
	scratch_load_b128 v[166:169], off, off offset:352
	scratch_load_b128 v[174:177], off, off offset:176
	;; [unrolled: 1-line block ×3, first 2 shown]
	s_mov_b32 s2, exec_lo
	s_wait_loadcnt_dscnt 0xc01
	v_mul_f64_e32 v[182:183], v[164:165], v[6:7]
	v_mul_f64_e32 v[186:187], v[162:163], v[6:7]
	s_wait_loadcnt_dscnt 0xb00
	v_mul_f64_e32 v[188:189], v[170:171], v[12:13]
	v_mul_f64_e32 v[12:13], v[172:173], v[12:13]
	s_delay_alu instid0(VALU_DEP_4) | instskip(NEXT) | instid1(VALU_DEP_4)
	v_fma_f64 v[190:191], v[162:163], v[4:5], -v[182:183]
	v_fmac_f64_e32 v[186:187], v[164:165], v[4:5]
	ds_load_b128 v[4:7], v2 offset:1152
	ds_load_b128 v[162:165], v2 offset:1168
	scratch_load_b128 v[182:185], off, off offset:384
	v_fmac_f64_e32 v[188:189], v[172:173], v[10:11]
	v_fma_f64 v[170:171], v[170:171], v[10:11], -v[12:13]
	scratch_load_b128 v[10:13], off, off offset:400
	s_wait_loadcnt_dscnt 0xc01
	v_mul_f64_e32 v[192:193], v[4:5], v[132:133]
	v_mul_f64_e32 v[132:133], v[6:7], v[132:133]
	v_add_f64_e32 v[172:173], 0, v[190:191]
	v_add_f64_e32 v[186:187], 0, v[186:187]
	s_wait_loadcnt_dscnt 0xb00
	v_mul_f64_e32 v[190:191], v[162:163], v[136:137]
	v_mul_f64_e32 v[136:137], v[164:165], v[136:137]
	v_fmac_f64_e32 v[192:193], v[6:7], v[130:131]
	v_fma_f64 v[194:195], v[4:5], v[130:131], -v[132:133]
	ds_load_b128 v[4:7], v2 offset:1184
	ds_load_b128 v[130:133], v2 offset:1200
	v_add_f64_e32 v[196:197], v[172:173], v[170:171]
	v_add_f64_e32 v[186:187], v[186:187], v[188:189]
	scratch_load_b128 v[170:173], off, off offset:416
	v_fmac_f64_e32 v[190:191], v[164:165], v[134:135]
	v_fma_f64 v[162:163], v[162:163], v[134:135], -v[136:137]
	scratch_load_b128 v[134:137], off, off offset:432
	s_wait_loadcnt_dscnt 0xc01
	v_mul_f64_e32 v[188:189], v[4:5], v[140:141]
	v_mul_f64_e32 v[140:141], v[6:7], v[140:141]
	v_add_f64_e32 v[164:165], v[196:197], v[194:195]
	v_add_f64_e32 v[186:187], v[186:187], v[192:193]
	s_wait_loadcnt_dscnt 0xb00
	v_mul_f64_e32 v[192:193], v[130:131], v[144:145]
	v_mul_f64_e32 v[144:145], v[132:133], v[144:145]
	v_fmac_f64_e32 v[188:189], v[6:7], v[138:139]
	v_fma_f64 v[194:195], v[4:5], v[138:139], -v[140:141]
	ds_load_b128 v[4:7], v2 offset:1216
	ds_load_b128 v[138:141], v2 offset:1232
	v_add_f64_e32 v[196:197], v[164:165], v[162:163]
	v_add_f64_e32 v[186:187], v[186:187], v[190:191]
	scratch_load_b128 v[162:165], off, off offset:448
	s_wait_loadcnt_dscnt 0xb01
	v_mul_f64_e32 v[190:191], v[4:5], v[148:149]
	v_mul_f64_e32 v[148:149], v[6:7], v[148:149]
	v_fmac_f64_e32 v[192:193], v[132:133], v[142:143]
	v_fma_f64 v[142:143], v[130:131], v[142:143], -v[144:145]
	scratch_load_b128 v[130:133], off, off offset:464
	v_add_f64_e32 v[144:145], v[196:197], v[194:195]
	v_add_f64_e32 v[186:187], v[186:187], v[188:189]
	s_wait_loadcnt_dscnt 0xb00
	v_mul_f64_e32 v[188:189], v[138:139], v[152:153]
	v_mul_f64_e32 v[152:153], v[140:141], v[152:153]
	v_fmac_f64_e32 v[190:191], v[6:7], v[146:147]
	v_fma_f64 v[194:195], v[4:5], v[146:147], -v[148:149]
	v_add_f64_e32 v[196:197], v[144:145], v[142:143]
	v_add_f64_e32 v[186:187], v[186:187], v[192:193]
	ds_load_b128 v[4:7], v2 offset:1248
	ds_load_b128 v[142:145], v2 offset:1264
	scratch_load_b128 v[146:149], off, off offset:480
	v_fmac_f64_e32 v[188:189], v[140:141], v[150:151]
	v_fma_f64 v[150:151], v[138:139], v[150:151], -v[152:153]
	scratch_load_b128 v[138:141], off, off offset:496
	s_wait_loadcnt_dscnt 0xc01
	v_mul_f64_e32 v[192:193], v[4:5], v[156:157]
	v_mul_f64_e32 v[156:157], v[6:7], v[156:157]
	v_add_f64_e32 v[152:153], v[196:197], v[194:195]
	v_add_f64_e32 v[186:187], v[186:187], v[190:191]
	s_wait_loadcnt_dscnt 0xb00
	v_mul_f64_e32 v[190:191], v[142:143], v[160:161]
	v_mul_f64_e32 v[160:161], v[144:145], v[160:161]
	v_fmac_f64_e32 v[192:193], v[6:7], v[154:155]
	v_fma_f64 v[194:195], v[4:5], v[154:155], -v[156:157]
	v_add_f64_e32 v[196:197], v[152:153], v[150:151]
	v_add_f64_e32 v[186:187], v[186:187], v[188:189]
	ds_load_b128 v[4:7], v2 offset:1280
	ds_load_b128 v[150:153], v2 offset:1296
	scratch_load_b128 v[154:157], off, off offset:512
	v_fmac_f64_e32 v[190:191], v[144:145], v[158:159]
	v_fma_f64 v[158:159], v[142:143], v[158:159], -v[160:161]
	scratch_load_b128 v[142:145], off, off offset:528
	s_wait_loadcnt_dscnt 0xc01
	v_mul_f64_e32 v[188:189], v[4:5], v[168:169]
	v_mul_f64_e32 v[168:169], v[6:7], v[168:169]
	;; [unrolled: 18-line block ×5, first 2 shown]
	v_add_f64_e32 v[180:181], v[196:197], v[194:195]
	v_add_f64_e32 v[186:187], v[186:187], v[192:193]
	s_wait_loadcnt_dscnt 0xa00
	v_mul_f64_e32 v[192:193], v[158:159], v[132:133]
	v_mul_f64_e32 v[132:133], v[160:161], v[132:133]
	v_fmac_f64_e32 v[188:189], v[6:7], v[162:163]
	v_fma_f64 v[194:195], v[4:5], v[162:163], -v[164:165]
	ds_load_b128 v[4:7], v2 offset:1408
	ds_load_b128 v[162:165], v2 offset:1424
	v_add_f64_e32 v[196:197], v[180:181], v[178:179]
	v_add_f64_e32 v[186:187], v[186:187], v[190:191]
	scratch_load_b128 v[178:181], off, off offset:640
	v_fmac_f64_e32 v[192:193], v[160:161], v[130:131]
	v_fma_f64 v[158:159], v[158:159], v[130:131], -v[132:133]
	scratch_load_b128 v[130:133], off, off offset:656
	s_wait_loadcnt_dscnt 0xb01
	v_mul_f64_e32 v[190:191], v[4:5], v[148:149]
	v_mul_f64_e32 v[148:149], v[6:7], v[148:149]
	v_add_f64_e32 v[160:161], v[196:197], v[194:195]
	v_add_f64_e32 v[186:187], v[186:187], v[188:189]
	s_wait_loadcnt_dscnt 0xa00
	v_mul_f64_e32 v[188:189], v[162:163], v[140:141]
	v_mul_f64_e32 v[140:141], v[164:165], v[140:141]
	v_fmac_f64_e32 v[190:191], v[6:7], v[146:147]
	v_fma_f64 v[194:195], v[4:5], v[146:147], -v[148:149]
	ds_load_b128 v[4:7], v2 offset:1440
	ds_load_b128 v[146:149], v2 offset:1456
	v_add_f64_e32 v[196:197], v[160:161], v[158:159]
	v_add_f64_e32 v[186:187], v[186:187], v[192:193]
	scratch_load_b128 v[158:161], off, off offset:672
	s_wait_loadcnt_dscnt 0xa01
	v_mul_f64_e32 v[192:193], v[4:5], v[156:157]
	v_mul_f64_e32 v[156:157], v[6:7], v[156:157]
	v_fmac_f64_e32 v[188:189], v[164:165], v[138:139]
	v_fma_f64 v[162:163], v[162:163], v[138:139], -v[140:141]
	scratch_load_b128 v[138:141], off, off offset:688
	v_add_f64_e32 v[164:165], v[196:197], v[194:195]
	v_add_f64_e32 v[186:187], v[186:187], v[190:191]
	s_wait_loadcnt_dscnt 0xa00
	v_mul_f64_e32 v[190:191], v[146:147], v[144:145]
	v_mul_f64_e32 v[144:145], v[148:149], v[144:145]
	v_fmac_f64_e32 v[192:193], v[6:7], v[154:155]
	v_fma_f64 v[194:195], v[4:5], v[154:155], -v[156:157]
	ds_load_b128 v[4:7], v2 offset:1472
	ds_load_b128 v[154:157], v2 offset:1488
	v_add_f64_e32 v[196:197], v[164:165], v[162:163]
	v_add_f64_e32 v[186:187], v[186:187], v[188:189]
	scratch_load_b128 v[162:165], off, off offset:704
	s_wait_loadcnt_dscnt 0xa01
	v_mul_f64_e32 v[188:189], v[4:5], v[168:169]
	v_mul_f64_e32 v[168:169], v[6:7], v[168:169]
	v_fmac_f64_e32 v[190:191], v[148:149], v[142:143]
	v_fma_f64 v[146:147], v[146:147], v[142:143], -v[144:145]
	scratch_load_b128 v[142:145], off, off offset:720
	v_add_f64_e32 v[148:149], v[196:197], v[194:195]
	v_add_f64_e32 v[186:187], v[186:187], v[192:193]
	s_wait_loadcnt_dscnt 0xa00
	v_mul_f64_e32 v[192:193], v[154:155], v[152:153]
	v_mul_f64_e32 v[152:153], v[156:157], v[152:153]
	v_fmac_f64_e32 v[188:189], v[6:7], v[166:167]
	v_fma_f64 v[194:195], v[4:5], v[166:167], -v[168:169]
	v_add_f64_e32 v[196:197], v[148:149], v[146:147]
	v_add_f64_e32 v[186:187], v[186:187], v[190:191]
	ds_load_b128 v[4:7], v2 offset:1504
	ds_load_b128 v[146:149], v2 offset:1520
	scratch_load_b128 v[166:169], off, off offset:736
	v_fmac_f64_e32 v[192:193], v[156:157], v[150:151]
	v_fma_f64 v[154:155], v[154:155], v[150:151], -v[152:153]
	scratch_load_b128 v[150:153], off, off offset:752
	s_wait_loadcnt_dscnt 0xb01
	v_mul_f64_e32 v[190:191], v[4:5], v[184:185]
	v_mul_f64_e32 v[184:185], v[6:7], v[184:185]
	v_add_f64_e32 v[156:157], v[196:197], v[194:195]
	v_add_f64_e32 v[186:187], v[186:187], v[188:189]
	s_wait_loadcnt_dscnt 0xa00
	v_mul_f64_e32 v[188:189], v[146:147], v[12:13]
	v_mul_f64_e32 v[12:13], v[148:149], v[12:13]
	v_fmac_f64_e32 v[190:191], v[6:7], v[182:183]
	v_fma_f64 v[194:195], v[4:5], v[182:183], -v[184:185]
	v_add_f64_e32 v[196:197], v[156:157], v[154:155]
	v_add_f64_e32 v[186:187], v[186:187], v[192:193]
	ds_load_b128 v[4:7], v2 offset:1536
	ds_load_b128 v[154:157], v2 offset:1552
	scratch_load_b128 v[182:185], off, off offset:768
	v_fmac_f64_e32 v[188:189], v[148:149], v[10:11]
	v_fma_f64 v[146:147], v[146:147], v[10:11], -v[12:13]
	scratch_load_b128 v[10:13], off, off offset:784
	s_wait_loadcnt_dscnt 0xb01
	v_mul_f64_e32 v[192:193], v[4:5], v[172:173]
	v_mul_f64_e32 v[172:173], v[6:7], v[172:173]
	;; [unrolled: 18-line block ×6, first 2 shown]
	v_add_f64_e32 v[148:149], v[196:197], v[194:195]
	v_add_f64_e32 v[186:187], v[186:187], v[192:193]
	s_wait_loadcnt_dscnt 0xa00
	v_mul_f64_e32 v[192:193], v[154:155], v[152:153]
	v_mul_f64_e32 v[152:153], v[156:157], v[152:153]
	v_fmac_f64_e32 v[188:189], v[6:7], v[166:167]
	v_fma_f64 v[166:167], v[4:5], v[166:167], -v[168:169]
	v_add_f64_e32 v[168:169], v[148:149], v[146:147]
	v_add_f64_e32 v[186:187], v[186:187], v[190:191]
	ds_load_b128 v[4:7], v2 offset:1696
	ds_load_b128 v[146:149], v2 offset:1712
	v_fmac_f64_e32 v[192:193], v[156:157], v[150:151]
	v_fma_f64 v[150:151], v[154:155], v[150:151], -v[152:153]
	s_wait_loadcnt_dscnt 0x901
	v_mul_f64_e32 v[190:191], v[4:5], v[184:185]
	v_mul_f64_e32 v[184:185], v[6:7], v[184:185]
	s_wait_loadcnt_dscnt 0x800
	v_mul_f64_e32 v[156:157], v[146:147], v[12:13]
	v_mul_f64_e32 v[12:13], v[148:149], v[12:13]
	v_add_f64_e32 v[152:153], v[168:169], v[166:167]
	v_add_f64_e32 v[154:155], v[186:187], v[188:189]
	v_fmac_f64_e32 v[190:191], v[6:7], v[182:183]
	v_fma_f64 v[166:167], v[4:5], v[182:183], -v[184:185]
	v_fmac_f64_e32 v[156:157], v[148:149], v[10:11]
	v_fma_f64 v[10:11], v[146:147], v[10:11], -v[12:13]
	v_add_f64_e32 v[168:169], v[152:153], v[150:151]
	v_add_f64_e32 v[154:155], v[154:155], v[192:193]
	ds_load_b128 v[4:7], v2 offset:1728
	ds_load_b128 v[150:153], v2 offset:1744
	s_wait_loadcnt_dscnt 0x701
	v_mul_f64_e32 v[182:183], v[4:5], v[172:173]
	v_mul_f64_e32 v[172:173], v[6:7], v[172:173]
	s_wait_loadcnt_dscnt 0x600
	v_mul_f64_e32 v[148:149], v[150:151], v[136:137]
	v_mul_f64_e32 v[136:137], v[152:153], v[136:137]
	v_add_f64_e32 v[12:13], v[168:169], v[166:167]
	v_add_f64_e32 v[146:147], v[154:155], v[190:191]
	v_fmac_f64_e32 v[182:183], v[6:7], v[170:171]
	v_fma_f64 v[154:155], v[4:5], v[170:171], -v[172:173]
	v_fmac_f64_e32 v[148:149], v[152:153], v[134:135]
	v_fma_f64 v[134:135], v[150:151], v[134:135], -v[136:137]
	v_add_f64_e32 v[166:167], v[12:13], v[10:11]
	v_add_f64_e32 v[146:147], v[146:147], v[156:157]
	ds_load_b128 v[4:7], v2 offset:1760
	ds_load_b128 v[10:13], v2 offset:1776
	;; [unrolled: 16-line block ×3, first 2 shown]
	s_wait_loadcnt_dscnt 0x301
	v_mul_f64_e32 v[148:149], v[4:5], v[160:161]
	v_mul_f64_e32 v[160:161], v[6:7], v[160:161]
	v_add_f64_e32 v[12:13], v[136:137], v[154:155]
	v_add_f64_e32 v[130:131], v[146:147], v[156:157]
	s_wait_loadcnt_dscnt 0x200
	v_mul_f64_e32 v[136:137], v[132:133], v[140:141]
	v_mul_f64_e32 v[140:141], v[134:135], v[140:141]
	v_fmac_f64_e32 v[148:149], v[6:7], v[158:159]
	v_fma_f64 v[146:147], v[4:5], v[158:159], -v[160:161]
	v_add_f64_e32 v[152:153], v[12:13], v[10:11]
	v_add_f64_e32 v[130:131], v[130:131], v[150:151]
	ds_load_b128 v[4:7], v2 offset:1824
	ds_load_b128 v[10:13], v2 offset:1840
	v_fmac_f64_e32 v[136:137], v[134:135], v[138:139]
	v_fma_f64 v[132:133], v[132:133], v[138:139], -v[140:141]
	s_wait_loadcnt_dscnt 0x101
	v_mul_f64_e32 v[2:3], v[4:5], v[164:165]
	v_mul_f64_e32 v[150:151], v[6:7], v[164:165]
	s_wait_loadcnt_dscnt 0x0
	v_mul_f64_e32 v[138:139], v[10:11], v[144:145]
	v_mul_f64_e32 v[140:141], v[12:13], v[144:145]
	v_add_f64_e32 v[134:135], v[152:153], v[146:147]
	v_add_f64_e32 v[130:131], v[130:131], v[148:149]
	v_fmac_f64_e32 v[2:3], v[6:7], v[162:163]
	v_fma_f64 v[4:5], v[4:5], v[162:163], -v[150:151]
	v_fmac_f64_e32 v[138:139], v[12:13], v[142:143]
	v_fma_f64 v[10:11], v[10:11], v[142:143], -v[140:141]
	v_add_f64_e32 v[6:7], v[134:135], v[132:133]
	v_add_f64_e32 v[130:131], v[130:131], v[136:137]
	s_delay_alu instid0(VALU_DEP_2) | instskip(NEXT) | instid1(VALU_DEP_2)
	v_add_f64_e32 v[4:5], v[6:7], v[4:5]
	v_add_f64_e32 v[2:3], v[130:131], v[2:3]
	s_delay_alu instid0(VALU_DEP_2) | instskip(NEXT) | instid1(VALU_DEP_2)
	;; [unrolled: 3-line block ×3, first 2 shown]
	v_add_f64_e64 v[2:3], v[174:175], -v[4:5]
	v_add_f64_e64 v[4:5], v[176:177], -v[6:7]
	scratch_store_b128 off, v[2:5], off offset:176
	s_wait_xcnt 0x0
	v_cmpx_lt_u32_e32 10, v1
	s_cbranch_execz .LBB57_341
; %bb.340:
	scratch_load_b128 v[2:5], off, s55
	v_mov_b32_e32 v10, 0
	s_delay_alu instid0(VALU_DEP_1)
	v_dual_mov_b32 v11, v10 :: v_dual_mov_b32 v12, v10
	v_mov_b32_e32 v13, v10
	scratch_store_b128 off, v[10:13], off offset:160
	s_wait_loadcnt 0x0
	ds_store_b128 v8, v[2:5]
.LBB57_341:
	s_wait_xcnt 0x0
	s_or_b32 exec_lo, exec_lo, s2
	s_wait_storecnt_dscnt 0x0
	s_barrier_signal -1
	s_barrier_wait -1
	s_clause 0x9
	scratch_load_b128 v[4:7], off, off offset:176
	scratch_load_b128 v[10:13], off, off offset:192
	;; [unrolled: 1-line block ×10, first 2 shown]
	v_mov_b32_e32 v2, 0
	s_mov_b32 s2, exec_lo
	ds_load_b128 v[162:165], v2 offset:1104
	s_clause 0x2
	scratch_load_b128 v[166:169], off, off offset:336
	scratch_load_b128 v[170:173], off, off offset:160
	;; [unrolled: 1-line block ×3, first 2 shown]
	s_wait_loadcnt_dscnt 0xc00
	v_mul_f64_e32 v[182:183], v[164:165], v[6:7]
	v_mul_f64_e32 v[186:187], v[162:163], v[6:7]
	ds_load_b128 v[174:177], v2 offset:1120
	v_fma_f64 v[190:191], v[162:163], v[4:5], -v[182:183]
	v_fmac_f64_e32 v[186:187], v[164:165], v[4:5]
	ds_load_b128 v[4:7], v2 offset:1136
	s_wait_loadcnt_dscnt 0xb01
	v_mul_f64_e32 v[188:189], v[174:175], v[12:13]
	v_mul_f64_e32 v[12:13], v[176:177], v[12:13]
	scratch_load_b128 v[162:165], off, off offset:368
	ds_load_b128 v[182:185], v2 offset:1152
	s_wait_loadcnt_dscnt 0xb01
	v_mul_f64_e32 v[192:193], v[4:5], v[132:133]
	v_mul_f64_e32 v[132:133], v[6:7], v[132:133]
	v_add_f64_e32 v[186:187], 0, v[186:187]
	v_fmac_f64_e32 v[188:189], v[176:177], v[10:11]
	v_fma_f64 v[174:175], v[174:175], v[10:11], -v[12:13]
	v_add_f64_e32 v[176:177], 0, v[190:191]
	scratch_load_b128 v[10:13], off, off offset:384
	v_fmac_f64_e32 v[192:193], v[6:7], v[130:131]
	v_fma_f64 v[194:195], v[4:5], v[130:131], -v[132:133]
	ds_load_b128 v[4:7], v2 offset:1168
	s_wait_loadcnt_dscnt 0xb01
	v_mul_f64_e32 v[190:191], v[182:183], v[136:137]
	v_mul_f64_e32 v[136:137], v[184:185], v[136:137]
	scratch_load_b128 v[130:133], off, off offset:400
	v_add_f64_e32 v[186:187], v[186:187], v[188:189]
	v_add_f64_e32 v[196:197], v[176:177], v[174:175]
	ds_load_b128 v[174:177], v2 offset:1184
	s_wait_loadcnt_dscnt 0xb01
	v_mul_f64_e32 v[188:189], v[4:5], v[140:141]
	v_mul_f64_e32 v[140:141], v[6:7], v[140:141]
	v_fmac_f64_e32 v[190:191], v[184:185], v[134:135]
	v_fma_f64 v[182:183], v[182:183], v[134:135], -v[136:137]
	scratch_load_b128 v[134:137], off, off offset:416
	v_add_f64_e32 v[186:187], v[186:187], v[192:193]
	v_add_f64_e32 v[184:185], v[196:197], v[194:195]
	v_fmac_f64_e32 v[188:189], v[6:7], v[138:139]
	v_fma_f64 v[194:195], v[4:5], v[138:139], -v[140:141]
	ds_load_b128 v[4:7], v2 offset:1200
	s_wait_loadcnt_dscnt 0xb01
	v_mul_f64_e32 v[192:193], v[174:175], v[144:145]
	v_mul_f64_e32 v[144:145], v[176:177], v[144:145]
	scratch_load_b128 v[138:141], off, off offset:432
	v_add_f64_e32 v[186:187], v[186:187], v[190:191]
	s_wait_loadcnt_dscnt 0xb00
	v_mul_f64_e32 v[190:191], v[4:5], v[148:149]
	v_add_f64_e32 v[196:197], v[184:185], v[182:183]
	v_mul_f64_e32 v[148:149], v[6:7], v[148:149]
	ds_load_b128 v[182:185], v2 offset:1216
	v_fmac_f64_e32 v[192:193], v[176:177], v[142:143]
	v_fma_f64 v[174:175], v[174:175], v[142:143], -v[144:145]
	scratch_load_b128 v[142:145], off, off offset:448
	v_add_f64_e32 v[186:187], v[186:187], v[188:189]
	v_fmac_f64_e32 v[190:191], v[6:7], v[146:147]
	v_add_f64_e32 v[176:177], v[196:197], v[194:195]
	v_fma_f64 v[194:195], v[4:5], v[146:147], -v[148:149]
	ds_load_b128 v[4:7], v2 offset:1232
	s_wait_loadcnt_dscnt 0xb01
	v_mul_f64_e32 v[188:189], v[182:183], v[152:153]
	v_mul_f64_e32 v[152:153], v[184:185], v[152:153]
	scratch_load_b128 v[146:149], off, off offset:464
	v_add_f64_e32 v[186:187], v[186:187], v[192:193]
	s_wait_loadcnt_dscnt 0xb00
	v_mul_f64_e32 v[192:193], v[4:5], v[156:157]
	v_add_f64_e32 v[196:197], v[176:177], v[174:175]
	v_mul_f64_e32 v[156:157], v[6:7], v[156:157]
	ds_load_b128 v[174:177], v2 offset:1248
	v_fmac_f64_e32 v[188:189], v[184:185], v[150:151]
	v_fma_f64 v[182:183], v[182:183], v[150:151], -v[152:153]
	scratch_load_b128 v[150:153], off, off offset:480
	v_add_f64_e32 v[186:187], v[186:187], v[190:191]
	v_fmac_f64_e32 v[192:193], v[6:7], v[154:155]
	v_add_f64_e32 v[184:185], v[196:197], v[194:195]
	;; [unrolled: 18-line block ×3, first 2 shown]
	v_fma_f64 v[194:195], v[4:5], v[166:167], -v[168:169]
	ds_load_b128 v[4:7], v2 offset:1296
	s_wait_loadcnt_dscnt 0xa01
	v_mul_f64_e32 v[192:193], v[182:183], v[180:181]
	v_mul_f64_e32 v[180:181], v[184:185], v[180:181]
	scratch_load_b128 v[166:169], off, off offset:528
	v_add_f64_e32 v[186:187], v[186:187], v[190:191]
	v_add_f64_e32 v[196:197], v[176:177], v[174:175]
	s_wait_loadcnt_dscnt 0xa00
	v_mul_f64_e32 v[190:191], v[4:5], v[164:165]
	v_mul_f64_e32 v[164:165], v[6:7], v[164:165]
	v_fmac_f64_e32 v[192:193], v[184:185], v[178:179]
	v_fma_f64 v[182:183], v[182:183], v[178:179], -v[180:181]
	ds_load_b128 v[174:177], v2 offset:1312
	scratch_load_b128 v[178:181], off, off offset:544
	v_add_f64_e32 v[186:187], v[186:187], v[188:189]
	v_add_f64_e32 v[184:185], v[196:197], v[194:195]
	v_fmac_f64_e32 v[190:191], v[6:7], v[162:163]
	v_fma_f64 v[194:195], v[4:5], v[162:163], -v[164:165]
	ds_load_b128 v[4:7], v2 offset:1328
	s_wait_loadcnt_dscnt 0xa01
	v_mul_f64_e32 v[188:189], v[174:175], v[12:13]
	v_mul_f64_e32 v[12:13], v[176:177], v[12:13]
	scratch_load_b128 v[162:165], off, off offset:560
	v_add_f64_e32 v[186:187], v[186:187], v[192:193]
	s_wait_loadcnt_dscnt 0xa00
	v_mul_f64_e32 v[192:193], v[4:5], v[132:133]
	v_add_f64_e32 v[196:197], v[184:185], v[182:183]
	v_mul_f64_e32 v[132:133], v[6:7], v[132:133]
	ds_load_b128 v[182:185], v2 offset:1344
	v_fmac_f64_e32 v[188:189], v[176:177], v[10:11]
	v_fma_f64 v[174:175], v[174:175], v[10:11], -v[12:13]
	scratch_load_b128 v[10:13], off, off offset:576
	v_add_f64_e32 v[186:187], v[186:187], v[190:191]
	v_fmac_f64_e32 v[192:193], v[6:7], v[130:131]
	v_add_f64_e32 v[176:177], v[196:197], v[194:195]
	v_fma_f64 v[194:195], v[4:5], v[130:131], -v[132:133]
	ds_load_b128 v[4:7], v2 offset:1360
	s_wait_loadcnt_dscnt 0xa01
	v_mul_f64_e32 v[190:191], v[182:183], v[136:137]
	v_mul_f64_e32 v[136:137], v[184:185], v[136:137]
	scratch_load_b128 v[130:133], off, off offset:592
	v_add_f64_e32 v[186:187], v[186:187], v[188:189]
	s_wait_loadcnt_dscnt 0xa00
	v_mul_f64_e32 v[188:189], v[4:5], v[140:141]
	v_add_f64_e32 v[196:197], v[176:177], v[174:175]
	v_mul_f64_e32 v[140:141], v[6:7], v[140:141]
	ds_load_b128 v[174:177], v2 offset:1376
	v_fmac_f64_e32 v[190:191], v[184:185], v[134:135]
	v_fma_f64 v[182:183], v[182:183], v[134:135], -v[136:137]
	scratch_load_b128 v[134:137], off, off offset:608
	v_add_f64_e32 v[186:187], v[186:187], v[192:193]
	v_fmac_f64_e32 v[188:189], v[6:7], v[138:139]
	v_add_f64_e32 v[184:185], v[196:197], v[194:195]
	;; [unrolled: 18-line block ×11, first 2 shown]
	v_fma_f64 v[194:195], v[4:5], v[166:167], -v[168:169]
	ds_load_b128 v[4:7], v2 offset:1680
	s_wait_loadcnt_dscnt 0xa01
	v_mul_f64_e32 v[192:193], v[182:183], v[180:181]
	v_mul_f64_e32 v[180:181], v[184:185], v[180:181]
	scratch_load_b128 v[166:169], off, off offset:912
	v_add_f64_e32 v[186:187], v[186:187], v[190:191]
	s_wait_loadcnt_dscnt 0xa00
	v_mul_f64_e32 v[190:191], v[4:5], v[164:165]
	v_add_f64_e32 v[196:197], v[176:177], v[174:175]
	v_mul_f64_e32 v[164:165], v[6:7], v[164:165]
	ds_load_b128 v[174:177], v2 offset:1696
	v_fmac_f64_e32 v[192:193], v[184:185], v[178:179]
	v_fma_f64 v[178:179], v[182:183], v[178:179], -v[180:181]
	s_wait_loadcnt_dscnt 0x900
	v_mul_f64_e32 v[184:185], v[174:175], v[12:13]
	v_mul_f64_e32 v[12:13], v[176:177], v[12:13]
	v_add_f64_e32 v[182:183], v[186:187], v[188:189]
	v_fmac_f64_e32 v[190:191], v[6:7], v[162:163]
	v_add_f64_e32 v[180:181], v[196:197], v[194:195]
	v_fma_f64 v[186:187], v[4:5], v[162:163], -v[164:165]
	ds_load_b128 v[4:7], v2 offset:1712
	ds_load_b128 v[162:165], v2 offset:1728
	v_fmac_f64_e32 v[184:185], v[176:177], v[10:11]
	v_fma_f64 v[10:11], v[174:175], v[10:11], -v[12:13]
	v_add_f64_e32 v[178:179], v[180:181], v[178:179]
	v_add_f64_e32 v[180:181], v[182:183], v[192:193]
	s_wait_loadcnt_dscnt 0x801
	v_mul_f64_e32 v[182:183], v[4:5], v[132:133]
	v_mul_f64_e32 v[132:133], v[6:7], v[132:133]
	s_wait_loadcnt_dscnt 0x700
	v_mul_f64_e32 v[176:177], v[162:163], v[136:137]
	v_mul_f64_e32 v[136:137], v[164:165], v[136:137]
	v_add_f64_e32 v[12:13], v[178:179], v[186:187]
	v_add_f64_e32 v[174:175], v[180:181], v[190:191]
	v_fmac_f64_e32 v[182:183], v[6:7], v[130:131]
	v_fma_f64 v[130:131], v[4:5], v[130:131], -v[132:133]
	v_fmac_f64_e32 v[176:177], v[164:165], v[134:135]
	v_fma_f64 v[134:135], v[162:163], v[134:135], -v[136:137]
	v_add_f64_e32 v[132:133], v[12:13], v[10:11]
	v_add_f64_e32 v[174:175], v[174:175], v[184:185]
	ds_load_b128 v[4:7], v2 offset:1744
	ds_load_b128 v[10:13], v2 offset:1760
	s_wait_loadcnt_dscnt 0x601
	v_mul_f64_e32 v[178:179], v[4:5], v[140:141]
	v_mul_f64_e32 v[140:141], v[6:7], v[140:141]
	s_wait_loadcnt_dscnt 0x500
	v_mul_f64_e32 v[136:137], v[10:11], v[144:145]
	v_mul_f64_e32 v[144:145], v[12:13], v[144:145]
	v_add_f64_e32 v[130:131], v[132:133], v[130:131]
	v_add_f64_e32 v[132:133], v[174:175], v[182:183]
	v_fmac_f64_e32 v[178:179], v[6:7], v[138:139]
	v_fma_f64 v[138:139], v[4:5], v[138:139], -v[140:141]
	v_fmac_f64_e32 v[136:137], v[12:13], v[142:143]
	v_fma_f64 v[10:11], v[10:11], v[142:143], -v[144:145]
	v_add_f64_e32 v[134:135], v[130:131], v[134:135]
	v_add_f64_e32 v[140:141], v[132:133], v[176:177]
	ds_load_b128 v[4:7], v2 offset:1776
	ds_load_b128 v[130:133], v2 offset:1792
	s_wait_loadcnt_dscnt 0x401
	v_mul_f64_e32 v[162:163], v[4:5], v[148:149]
	v_mul_f64_e32 v[148:149], v[6:7], v[148:149]
	v_add_f64_e32 v[12:13], v[134:135], v[138:139]
	v_add_f64_e32 v[134:135], v[140:141], v[178:179]
	s_wait_loadcnt_dscnt 0x300
	v_mul_f64_e32 v[138:139], v[130:131], v[152:153]
	v_mul_f64_e32 v[140:141], v[132:133], v[152:153]
	v_fmac_f64_e32 v[162:163], v[6:7], v[146:147]
	v_fma_f64 v[142:143], v[4:5], v[146:147], -v[148:149]
	v_add_f64_e32 v[144:145], v[12:13], v[10:11]
	v_add_f64_e32 v[134:135], v[134:135], v[136:137]
	ds_load_b128 v[4:7], v2 offset:1808
	ds_load_b128 v[10:13], v2 offset:1824
	v_fmac_f64_e32 v[138:139], v[132:133], v[150:151]
	v_fma_f64 v[130:131], v[130:131], v[150:151], -v[140:141]
	s_wait_loadcnt_dscnt 0x201
	v_mul_f64_e32 v[136:137], v[4:5], v[156:157]
	v_mul_f64_e32 v[146:147], v[6:7], v[156:157]
	s_wait_loadcnt_dscnt 0x100
	v_mul_f64_e32 v[140:141], v[10:11], v[160:161]
	v_add_f64_e32 v[132:133], v[144:145], v[142:143]
	v_add_f64_e32 v[134:135], v[134:135], v[162:163]
	v_mul_f64_e32 v[142:143], v[12:13], v[160:161]
	v_fmac_f64_e32 v[136:137], v[6:7], v[154:155]
	v_fma_f64 v[144:145], v[4:5], v[154:155], -v[146:147]
	ds_load_b128 v[4:7], v2 offset:1840
	v_fmac_f64_e32 v[140:141], v[12:13], v[158:159]
	v_add_f64_e32 v[130:131], v[132:133], v[130:131]
	v_add_f64_e32 v[132:133], v[134:135], v[138:139]
	v_fma_f64 v[10:11], v[10:11], v[158:159], -v[142:143]
	s_wait_loadcnt_dscnt 0x0
	v_mul_f64_e32 v[134:135], v[4:5], v[168:169]
	v_mul_f64_e32 v[138:139], v[6:7], v[168:169]
	v_add_f64_e32 v[12:13], v[130:131], v[144:145]
	v_add_f64_e32 v[130:131], v[132:133], v[136:137]
	s_delay_alu instid0(VALU_DEP_4) | instskip(NEXT) | instid1(VALU_DEP_4)
	v_fmac_f64_e32 v[134:135], v[6:7], v[166:167]
	v_fma_f64 v[4:5], v[4:5], v[166:167], -v[138:139]
	s_delay_alu instid0(VALU_DEP_4) | instskip(NEXT) | instid1(VALU_DEP_4)
	v_add_f64_e32 v[6:7], v[12:13], v[10:11]
	v_add_f64_e32 v[10:11], v[130:131], v[140:141]
	s_delay_alu instid0(VALU_DEP_2) | instskip(NEXT) | instid1(VALU_DEP_2)
	v_add_f64_e32 v[4:5], v[6:7], v[4:5]
	v_add_f64_e32 v[6:7], v[10:11], v[134:135]
	s_delay_alu instid0(VALU_DEP_2) | instskip(NEXT) | instid1(VALU_DEP_2)
	v_add_f64_e64 v[4:5], v[170:171], -v[4:5]
	v_add_f64_e64 v[6:7], v[172:173], -v[6:7]
	scratch_store_b128 off, v[4:7], off offset:160
	s_wait_xcnt 0x0
	v_cmpx_lt_u32_e32 9, v1
	s_cbranch_execz .LBB57_343
; %bb.342:
	scratch_load_b128 v[10:13], off, s54
	v_dual_mov_b32 v3, v2 :: v_dual_mov_b32 v4, v2
	v_mov_b32_e32 v5, v2
	scratch_store_b128 off, v[2:5], off offset:144
	s_wait_loadcnt 0x0
	ds_store_b128 v8, v[10:13]
.LBB57_343:
	s_wait_xcnt 0x0
	s_or_b32 exec_lo, exec_lo, s2
	s_wait_storecnt_dscnt 0x0
	s_barrier_signal -1
	s_barrier_wait -1
	s_clause 0x9
	scratch_load_b128 v[4:7], off, off offset:160
	scratch_load_b128 v[10:13], off, off offset:176
	;; [unrolled: 1-line block ×10, first 2 shown]
	ds_load_b128 v[162:165], v2 offset:1088
	ds_load_b128 v[170:173], v2 offset:1104
	s_clause 0x2
	scratch_load_b128 v[166:169], off, off offset:320
	scratch_load_b128 v[174:177], off, off offset:144
	;; [unrolled: 1-line block ×3, first 2 shown]
	s_mov_b32 s2, exec_lo
	s_wait_loadcnt_dscnt 0xc01
	v_mul_f64_e32 v[182:183], v[164:165], v[6:7]
	v_mul_f64_e32 v[186:187], v[162:163], v[6:7]
	s_wait_loadcnt_dscnt 0xb00
	v_mul_f64_e32 v[188:189], v[170:171], v[12:13]
	v_mul_f64_e32 v[12:13], v[172:173], v[12:13]
	s_delay_alu instid0(VALU_DEP_4) | instskip(NEXT) | instid1(VALU_DEP_4)
	v_fma_f64 v[190:191], v[162:163], v[4:5], -v[182:183]
	v_fmac_f64_e32 v[186:187], v[164:165], v[4:5]
	ds_load_b128 v[4:7], v2 offset:1120
	ds_load_b128 v[162:165], v2 offset:1136
	scratch_load_b128 v[182:185], off, off offset:352
	v_fmac_f64_e32 v[188:189], v[172:173], v[10:11]
	v_fma_f64 v[170:171], v[170:171], v[10:11], -v[12:13]
	scratch_load_b128 v[10:13], off, off offset:368
	s_wait_loadcnt_dscnt 0xc01
	v_mul_f64_e32 v[192:193], v[4:5], v[132:133]
	v_mul_f64_e32 v[132:133], v[6:7], v[132:133]
	v_add_f64_e32 v[172:173], 0, v[190:191]
	v_add_f64_e32 v[186:187], 0, v[186:187]
	s_wait_loadcnt_dscnt 0xb00
	v_mul_f64_e32 v[190:191], v[162:163], v[136:137]
	v_mul_f64_e32 v[136:137], v[164:165], v[136:137]
	v_fmac_f64_e32 v[192:193], v[6:7], v[130:131]
	v_fma_f64 v[194:195], v[4:5], v[130:131], -v[132:133]
	ds_load_b128 v[4:7], v2 offset:1152
	ds_load_b128 v[130:133], v2 offset:1168
	v_add_f64_e32 v[196:197], v[172:173], v[170:171]
	v_add_f64_e32 v[186:187], v[186:187], v[188:189]
	scratch_load_b128 v[170:173], off, off offset:384
	v_fmac_f64_e32 v[190:191], v[164:165], v[134:135]
	v_fma_f64 v[162:163], v[162:163], v[134:135], -v[136:137]
	scratch_load_b128 v[134:137], off, off offset:400
	s_wait_loadcnt_dscnt 0xc01
	v_mul_f64_e32 v[188:189], v[4:5], v[140:141]
	v_mul_f64_e32 v[140:141], v[6:7], v[140:141]
	v_add_f64_e32 v[164:165], v[196:197], v[194:195]
	v_add_f64_e32 v[186:187], v[186:187], v[192:193]
	s_wait_loadcnt_dscnt 0xb00
	v_mul_f64_e32 v[192:193], v[130:131], v[144:145]
	v_mul_f64_e32 v[144:145], v[132:133], v[144:145]
	v_fmac_f64_e32 v[188:189], v[6:7], v[138:139]
	v_fma_f64 v[194:195], v[4:5], v[138:139], -v[140:141]
	ds_load_b128 v[4:7], v2 offset:1184
	ds_load_b128 v[138:141], v2 offset:1200
	v_add_f64_e32 v[196:197], v[164:165], v[162:163]
	v_add_f64_e32 v[186:187], v[186:187], v[190:191]
	scratch_load_b128 v[162:165], off, off offset:416
	s_wait_loadcnt_dscnt 0xb01
	v_mul_f64_e32 v[190:191], v[4:5], v[148:149]
	v_mul_f64_e32 v[148:149], v[6:7], v[148:149]
	v_fmac_f64_e32 v[192:193], v[132:133], v[142:143]
	v_fma_f64 v[142:143], v[130:131], v[142:143], -v[144:145]
	scratch_load_b128 v[130:133], off, off offset:432
	v_add_f64_e32 v[144:145], v[196:197], v[194:195]
	v_add_f64_e32 v[186:187], v[186:187], v[188:189]
	s_wait_loadcnt_dscnt 0xb00
	v_mul_f64_e32 v[188:189], v[138:139], v[152:153]
	v_mul_f64_e32 v[152:153], v[140:141], v[152:153]
	v_fmac_f64_e32 v[190:191], v[6:7], v[146:147]
	v_fma_f64 v[194:195], v[4:5], v[146:147], -v[148:149]
	v_add_f64_e32 v[196:197], v[144:145], v[142:143]
	v_add_f64_e32 v[186:187], v[186:187], v[192:193]
	ds_load_b128 v[4:7], v2 offset:1216
	ds_load_b128 v[142:145], v2 offset:1232
	scratch_load_b128 v[146:149], off, off offset:448
	v_fmac_f64_e32 v[188:189], v[140:141], v[150:151]
	v_fma_f64 v[150:151], v[138:139], v[150:151], -v[152:153]
	scratch_load_b128 v[138:141], off, off offset:464
	s_wait_loadcnt_dscnt 0xc01
	v_mul_f64_e32 v[192:193], v[4:5], v[156:157]
	v_mul_f64_e32 v[156:157], v[6:7], v[156:157]
	v_add_f64_e32 v[152:153], v[196:197], v[194:195]
	v_add_f64_e32 v[186:187], v[186:187], v[190:191]
	s_wait_loadcnt_dscnt 0xb00
	v_mul_f64_e32 v[190:191], v[142:143], v[160:161]
	v_mul_f64_e32 v[160:161], v[144:145], v[160:161]
	v_fmac_f64_e32 v[192:193], v[6:7], v[154:155]
	v_fma_f64 v[194:195], v[4:5], v[154:155], -v[156:157]
	v_add_f64_e32 v[196:197], v[152:153], v[150:151]
	v_add_f64_e32 v[186:187], v[186:187], v[188:189]
	ds_load_b128 v[4:7], v2 offset:1248
	ds_load_b128 v[150:153], v2 offset:1264
	scratch_load_b128 v[154:157], off, off offset:480
	v_fmac_f64_e32 v[190:191], v[144:145], v[158:159]
	v_fma_f64 v[158:159], v[142:143], v[158:159], -v[160:161]
	scratch_load_b128 v[142:145], off, off offset:496
	s_wait_loadcnt_dscnt 0xc01
	v_mul_f64_e32 v[188:189], v[4:5], v[168:169]
	v_mul_f64_e32 v[168:169], v[6:7], v[168:169]
	;; [unrolled: 18-line block ×5, first 2 shown]
	v_add_f64_e32 v[180:181], v[196:197], v[194:195]
	v_add_f64_e32 v[186:187], v[186:187], v[192:193]
	s_wait_loadcnt_dscnt 0xa00
	v_mul_f64_e32 v[192:193], v[158:159], v[132:133]
	v_mul_f64_e32 v[132:133], v[160:161], v[132:133]
	v_fmac_f64_e32 v[188:189], v[6:7], v[162:163]
	v_fma_f64 v[194:195], v[4:5], v[162:163], -v[164:165]
	ds_load_b128 v[4:7], v2 offset:1376
	ds_load_b128 v[162:165], v2 offset:1392
	v_add_f64_e32 v[196:197], v[180:181], v[178:179]
	v_add_f64_e32 v[186:187], v[186:187], v[190:191]
	scratch_load_b128 v[178:181], off, off offset:608
	v_fmac_f64_e32 v[192:193], v[160:161], v[130:131]
	v_fma_f64 v[158:159], v[158:159], v[130:131], -v[132:133]
	scratch_load_b128 v[130:133], off, off offset:624
	s_wait_loadcnt_dscnt 0xb01
	v_mul_f64_e32 v[190:191], v[4:5], v[148:149]
	v_mul_f64_e32 v[148:149], v[6:7], v[148:149]
	v_add_f64_e32 v[160:161], v[196:197], v[194:195]
	v_add_f64_e32 v[186:187], v[186:187], v[188:189]
	s_wait_loadcnt_dscnt 0xa00
	v_mul_f64_e32 v[188:189], v[162:163], v[140:141]
	v_mul_f64_e32 v[140:141], v[164:165], v[140:141]
	v_fmac_f64_e32 v[190:191], v[6:7], v[146:147]
	v_fma_f64 v[194:195], v[4:5], v[146:147], -v[148:149]
	ds_load_b128 v[4:7], v2 offset:1408
	ds_load_b128 v[146:149], v2 offset:1424
	v_add_f64_e32 v[196:197], v[160:161], v[158:159]
	v_add_f64_e32 v[186:187], v[186:187], v[192:193]
	scratch_load_b128 v[158:161], off, off offset:640
	s_wait_loadcnt_dscnt 0xa01
	v_mul_f64_e32 v[192:193], v[4:5], v[156:157]
	v_mul_f64_e32 v[156:157], v[6:7], v[156:157]
	v_fmac_f64_e32 v[188:189], v[164:165], v[138:139]
	v_fma_f64 v[162:163], v[162:163], v[138:139], -v[140:141]
	scratch_load_b128 v[138:141], off, off offset:656
	v_add_f64_e32 v[164:165], v[196:197], v[194:195]
	v_add_f64_e32 v[186:187], v[186:187], v[190:191]
	s_wait_loadcnt_dscnt 0xa00
	v_mul_f64_e32 v[190:191], v[146:147], v[144:145]
	v_mul_f64_e32 v[144:145], v[148:149], v[144:145]
	v_fmac_f64_e32 v[192:193], v[6:7], v[154:155]
	v_fma_f64 v[194:195], v[4:5], v[154:155], -v[156:157]
	ds_load_b128 v[4:7], v2 offset:1440
	ds_load_b128 v[154:157], v2 offset:1456
	v_add_f64_e32 v[196:197], v[164:165], v[162:163]
	v_add_f64_e32 v[186:187], v[186:187], v[188:189]
	scratch_load_b128 v[162:165], off, off offset:672
	s_wait_loadcnt_dscnt 0xa01
	v_mul_f64_e32 v[188:189], v[4:5], v[168:169]
	v_mul_f64_e32 v[168:169], v[6:7], v[168:169]
	v_fmac_f64_e32 v[190:191], v[148:149], v[142:143]
	v_fma_f64 v[146:147], v[146:147], v[142:143], -v[144:145]
	scratch_load_b128 v[142:145], off, off offset:688
	v_add_f64_e32 v[148:149], v[196:197], v[194:195]
	v_add_f64_e32 v[186:187], v[186:187], v[192:193]
	s_wait_loadcnt_dscnt 0xa00
	v_mul_f64_e32 v[192:193], v[154:155], v[152:153]
	v_mul_f64_e32 v[152:153], v[156:157], v[152:153]
	v_fmac_f64_e32 v[188:189], v[6:7], v[166:167]
	v_fma_f64 v[194:195], v[4:5], v[166:167], -v[168:169]
	v_add_f64_e32 v[196:197], v[148:149], v[146:147]
	v_add_f64_e32 v[186:187], v[186:187], v[190:191]
	ds_load_b128 v[4:7], v2 offset:1472
	ds_load_b128 v[146:149], v2 offset:1488
	scratch_load_b128 v[166:169], off, off offset:704
	v_fmac_f64_e32 v[192:193], v[156:157], v[150:151]
	v_fma_f64 v[154:155], v[154:155], v[150:151], -v[152:153]
	scratch_load_b128 v[150:153], off, off offset:720
	s_wait_loadcnt_dscnt 0xb01
	v_mul_f64_e32 v[190:191], v[4:5], v[184:185]
	v_mul_f64_e32 v[184:185], v[6:7], v[184:185]
	v_add_f64_e32 v[156:157], v[196:197], v[194:195]
	v_add_f64_e32 v[186:187], v[186:187], v[188:189]
	s_wait_loadcnt_dscnt 0xa00
	v_mul_f64_e32 v[188:189], v[146:147], v[12:13]
	v_mul_f64_e32 v[12:13], v[148:149], v[12:13]
	v_fmac_f64_e32 v[190:191], v[6:7], v[182:183]
	v_fma_f64 v[194:195], v[4:5], v[182:183], -v[184:185]
	v_add_f64_e32 v[196:197], v[156:157], v[154:155]
	v_add_f64_e32 v[186:187], v[186:187], v[192:193]
	ds_load_b128 v[4:7], v2 offset:1504
	ds_load_b128 v[154:157], v2 offset:1520
	scratch_load_b128 v[182:185], off, off offset:736
	v_fmac_f64_e32 v[188:189], v[148:149], v[10:11]
	v_fma_f64 v[146:147], v[146:147], v[10:11], -v[12:13]
	scratch_load_b128 v[10:13], off, off offset:752
	s_wait_loadcnt_dscnt 0xb01
	v_mul_f64_e32 v[192:193], v[4:5], v[172:173]
	v_mul_f64_e32 v[172:173], v[6:7], v[172:173]
	;; [unrolled: 18-line block ×7, first 2 shown]
	v_add_f64_e32 v[156:157], v[196:197], v[194:195]
	v_add_f64_e32 v[186:187], v[186:187], v[188:189]
	s_wait_loadcnt_dscnt 0xa00
	v_mul_f64_e32 v[188:189], v[146:147], v[12:13]
	v_mul_f64_e32 v[12:13], v[148:149], v[12:13]
	v_fmac_f64_e32 v[190:191], v[6:7], v[182:183]
	v_fma_f64 v[182:183], v[4:5], v[182:183], -v[184:185]
	v_add_f64_e32 v[184:185], v[156:157], v[154:155]
	v_add_f64_e32 v[186:187], v[186:187], v[192:193]
	ds_load_b128 v[4:7], v2 offset:1696
	ds_load_b128 v[154:157], v2 offset:1712
	v_fmac_f64_e32 v[188:189], v[148:149], v[10:11]
	v_fma_f64 v[10:11], v[146:147], v[10:11], -v[12:13]
	s_wait_loadcnt_dscnt 0x901
	v_mul_f64_e32 v[192:193], v[4:5], v[172:173]
	v_mul_f64_e32 v[172:173], v[6:7], v[172:173]
	s_wait_loadcnt_dscnt 0x800
	v_mul_f64_e32 v[148:149], v[154:155], v[136:137]
	v_mul_f64_e32 v[136:137], v[156:157], v[136:137]
	v_add_f64_e32 v[12:13], v[184:185], v[182:183]
	v_add_f64_e32 v[146:147], v[186:187], v[190:191]
	v_fmac_f64_e32 v[192:193], v[6:7], v[170:171]
	v_fma_f64 v[170:171], v[4:5], v[170:171], -v[172:173]
	v_fmac_f64_e32 v[148:149], v[156:157], v[134:135]
	v_fma_f64 v[134:135], v[154:155], v[134:135], -v[136:137]
	v_add_f64_e32 v[172:173], v[12:13], v[10:11]
	v_add_f64_e32 v[146:147], v[146:147], v[188:189]
	ds_load_b128 v[4:7], v2 offset:1728
	ds_load_b128 v[10:13], v2 offset:1744
	s_wait_loadcnt_dscnt 0x701
	v_mul_f64_e32 v[182:183], v[4:5], v[180:181]
	v_mul_f64_e32 v[180:181], v[6:7], v[180:181]
	s_wait_loadcnt_dscnt 0x600
	v_mul_f64_e32 v[154:155], v[10:11], v[132:133]
	v_mul_f64_e32 v[156:157], v[12:13], v[132:133]
	v_add_f64_e32 v[136:137], v[172:173], v[170:171]
	v_add_f64_e32 v[146:147], v[146:147], v[192:193]
	v_fmac_f64_e32 v[182:183], v[6:7], v[178:179]
	v_fma_f64 v[170:171], v[4:5], v[178:179], -v[180:181]
	v_fmac_f64_e32 v[154:155], v[12:13], v[130:131]
	v_fma_f64 v[10:11], v[10:11], v[130:131], -v[156:157]
	v_add_f64_e32 v[136:137], v[136:137], v[134:135]
	v_add_f64_e32 v[146:147], v[146:147], v[148:149]
	ds_load_b128 v[4:7], v2 offset:1760
	ds_load_b128 v[132:135], v2 offset:1776
	s_wait_loadcnt_dscnt 0x501
	v_mul_f64_e32 v[148:149], v[4:5], v[160:161]
	v_mul_f64_e32 v[160:161], v[6:7], v[160:161]
	v_add_f64_e32 v[12:13], v[136:137], v[170:171]
	v_add_f64_e32 v[130:131], v[146:147], v[182:183]
	s_wait_loadcnt_dscnt 0x400
	v_mul_f64_e32 v[136:137], v[132:133], v[140:141]
	v_mul_f64_e32 v[140:141], v[134:135], v[140:141]
	v_fmac_f64_e32 v[148:149], v[6:7], v[158:159]
	v_fma_f64 v[146:147], v[4:5], v[158:159], -v[160:161]
	v_add_f64_e32 v[156:157], v[12:13], v[10:11]
	v_add_f64_e32 v[130:131], v[130:131], v[154:155]
	ds_load_b128 v[4:7], v2 offset:1792
	ds_load_b128 v[10:13], v2 offset:1808
	v_fmac_f64_e32 v[136:137], v[134:135], v[138:139]
	v_fma_f64 v[132:133], v[132:133], v[138:139], -v[140:141]
	s_wait_loadcnt_dscnt 0x301
	v_mul_f64_e32 v[154:155], v[4:5], v[164:165]
	v_mul_f64_e32 v[158:159], v[6:7], v[164:165]
	s_wait_loadcnt_dscnt 0x200
	v_mul_f64_e32 v[138:139], v[10:11], v[144:145]
	v_mul_f64_e32 v[140:141], v[12:13], v[144:145]
	v_add_f64_e32 v[134:135], v[156:157], v[146:147]
	v_add_f64_e32 v[130:131], v[130:131], v[148:149]
	v_fmac_f64_e32 v[154:155], v[6:7], v[162:163]
	v_fma_f64 v[144:145], v[4:5], v[162:163], -v[158:159]
	v_fmac_f64_e32 v[138:139], v[12:13], v[142:143]
	v_fma_f64 v[10:11], v[10:11], v[142:143], -v[140:141]
	v_add_f64_e32 v[134:135], v[134:135], v[132:133]
	v_add_f64_e32 v[136:137], v[130:131], v[136:137]
	ds_load_b128 v[4:7], v2 offset:1824
	ds_load_b128 v[130:133], v2 offset:1840
	s_wait_loadcnt_dscnt 0x101
	v_mul_f64_e32 v[2:3], v[4:5], v[168:169]
	v_mul_f64_e32 v[146:147], v[6:7], v[168:169]
	s_wait_loadcnt_dscnt 0x0
	v_mul_f64_e32 v[140:141], v[132:133], v[152:153]
	v_add_f64_e32 v[12:13], v[134:135], v[144:145]
	v_add_f64_e32 v[134:135], v[136:137], v[154:155]
	v_mul_f64_e32 v[136:137], v[130:131], v[152:153]
	v_fmac_f64_e32 v[2:3], v[6:7], v[166:167]
	v_fma_f64 v[4:5], v[4:5], v[166:167], -v[146:147]
	v_add_f64_e32 v[6:7], v[12:13], v[10:11]
	v_add_f64_e32 v[10:11], v[134:135], v[138:139]
	v_fmac_f64_e32 v[136:137], v[132:133], v[150:151]
	v_fma_f64 v[12:13], v[130:131], v[150:151], -v[140:141]
	s_delay_alu instid0(VALU_DEP_4) | instskip(NEXT) | instid1(VALU_DEP_4)
	v_add_f64_e32 v[4:5], v[6:7], v[4:5]
	v_add_f64_e32 v[2:3], v[10:11], v[2:3]
	s_delay_alu instid0(VALU_DEP_2) | instskip(NEXT) | instid1(VALU_DEP_2)
	v_add_f64_e32 v[4:5], v[4:5], v[12:13]
	v_add_f64_e32 v[6:7], v[2:3], v[136:137]
	s_delay_alu instid0(VALU_DEP_2) | instskip(NEXT) | instid1(VALU_DEP_2)
	v_add_f64_e64 v[2:3], v[174:175], -v[4:5]
	v_add_f64_e64 v[4:5], v[176:177], -v[6:7]
	scratch_store_b128 off, v[2:5], off offset:144
	s_wait_xcnt 0x0
	v_cmpx_lt_u32_e32 8, v1
	s_cbranch_execz .LBB57_345
; %bb.344:
	scratch_load_b128 v[2:5], off, s53
	v_mov_b32_e32 v10, 0
	s_delay_alu instid0(VALU_DEP_1)
	v_dual_mov_b32 v11, v10 :: v_dual_mov_b32 v12, v10
	v_mov_b32_e32 v13, v10
	scratch_store_b128 off, v[10:13], off offset:128
	s_wait_loadcnt 0x0
	ds_store_b128 v8, v[2:5]
.LBB57_345:
	s_wait_xcnt 0x0
	s_or_b32 exec_lo, exec_lo, s2
	s_wait_storecnt_dscnt 0x0
	s_barrier_signal -1
	s_barrier_wait -1
	s_clause 0x9
	scratch_load_b128 v[4:7], off, off offset:144
	scratch_load_b128 v[10:13], off, off offset:160
	;; [unrolled: 1-line block ×10, first 2 shown]
	v_mov_b32_e32 v2, 0
	s_mov_b32 s2, exec_lo
	ds_load_b128 v[162:165], v2 offset:1072
	s_clause 0x2
	scratch_load_b128 v[166:169], off, off offset:304
	scratch_load_b128 v[170:173], off, off offset:128
	;; [unrolled: 1-line block ×3, first 2 shown]
	s_wait_loadcnt_dscnt 0xc00
	v_mul_f64_e32 v[182:183], v[164:165], v[6:7]
	v_mul_f64_e32 v[186:187], v[162:163], v[6:7]
	ds_load_b128 v[174:177], v2 offset:1088
	v_fma_f64 v[190:191], v[162:163], v[4:5], -v[182:183]
	v_fmac_f64_e32 v[186:187], v[164:165], v[4:5]
	ds_load_b128 v[4:7], v2 offset:1104
	s_wait_loadcnt_dscnt 0xb01
	v_mul_f64_e32 v[188:189], v[174:175], v[12:13]
	v_mul_f64_e32 v[12:13], v[176:177], v[12:13]
	scratch_load_b128 v[162:165], off, off offset:336
	ds_load_b128 v[182:185], v2 offset:1120
	s_wait_loadcnt_dscnt 0xb01
	v_mul_f64_e32 v[192:193], v[4:5], v[132:133]
	v_mul_f64_e32 v[132:133], v[6:7], v[132:133]
	v_add_f64_e32 v[186:187], 0, v[186:187]
	v_fmac_f64_e32 v[188:189], v[176:177], v[10:11]
	v_fma_f64 v[174:175], v[174:175], v[10:11], -v[12:13]
	v_add_f64_e32 v[176:177], 0, v[190:191]
	scratch_load_b128 v[10:13], off, off offset:352
	v_fmac_f64_e32 v[192:193], v[6:7], v[130:131]
	v_fma_f64 v[194:195], v[4:5], v[130:131], -v[132:133]
	ds_load_b128 v[4:7], v2 offset:1136
	s_wait_loadcnt_dscnt 0xb01
	v_mul_f64_e32 v[190:191], v[182:183], v[136:137]
	v_mul_f64_e32 v[136:137], v[184:185], v[136:137]
	scratch_load_b128 v[130:133], off, off offset:368
	v_add_f64_e32 v[186:187], v[186:187], v[188:189]
	v_add_f64_e32 v[196:197], v[176:177], v[174:175]
	ds_load_b128 v[174:177], v2 offset:1152
	s_wait_loadcnt_dscnt 0xb01
	v_mul_f64_e32 v[188:189], v[4:5], v[140:141]
	v_mul_f64_e32 v[140:141], v[6:7], v[140:141]
	v_fmac_f64_e32 v[190:191], v[184:185], v[134:135]
	v_fma_f64 v[182:183], v[182:183], v[134:135], -v[136:137]
	scratch_load_b128 v[134:137], off, off offset:384
	v_add_f64_e32 v[186:187], v[186:187], v[192:193]
	v_add_f64_e32 v[184:185], v[196:197], v[194:195]
	v_fmac_f64_e32 v[188:189], v[6:7], v[138:139]
	v_fma_f64 v[194:195], v[4:5], v[138:139], -v[140:141]
	ds_load_b128 v[4:7], v2 offset:1168
	s_wait_loadcnt_dscnt 0xb01
	v_mul_f64_e32 v[192:193], v[174:175], v[144:145]
	v_mul_f64_e32 v[144:145], v[176:177], v[144:145]
	scratch_load_b128 v[138:141], off, off offset:400
	v_add_f64_e32 v[186:187], v[186:187], v[190:191]
	s_wait_loadcnt_dscnt 0xb00
	v_mul_f64_e32 v[190:191], v[4:5], v[148:149]
	v_add_f64_e32 v[196:197], v[184:185], v[182:183]
	v_mul_f64_e32 v[148:149], v[6:7], v[148:149]
	ds_load_b128 v[182:185], v2 offset:1184
	v_fmac_f64_e32 v[192:193], v[176:177], v[142:143]
	v_fma_f64 v[174:175], v[174:175], v[142:143], -v[144:145]
	scratch_load_b128 v[142:145], off, off offset:416
	v_add_f64_e32 v[186:187], v[186:187], v[188:189]
	v_fmac_f64_e32 v[190:191], v[6:7], v[146:147]
	v_add_f64_e32 v[176:177], v[196:197], v[194:195]
	v_fma_f64 v[194:195], v[4:5], v[146:147], -v[148:149]
	ds_load_b128 v[4:7], v2 offset:1200
	s_wait_loadcnt_dscnt 0xb01
	v_mul_f64_e32 v[188:189], v[182:183], v[152:153]
	v_mul_f64_e32 v[152:153], v[184:185], v[152:153]
	scratch_load_b128 v[146:149], off, off offset:432
	v_add_f64_e32 v[186:187], v[186:187], v[192:193]
	s_wait_loadcnt_dscnt 0xb00
	v_mul_f64_e32 v[192:193], v[4:5], v[156:157]
	v_add_f64_e32 v[196:197], v[176:177], v[174:175]
	v_mul_f64_e32 v[156:157], v[6:7], v[156:157]
	ds_load_b128 v[174:177], v2 offset:1216
	v_fmac_f64_e32 v[188:189], v[184:185], v[150:151]
	v_fma_f64 v[182:183], v[182:183], v[150:151], -v[152:153]
	scratch_load_b128 v[150:153], off, off offset:448
	v_add_f64_e32 v[186:187], v[186:187], v[190:191]
	v_fmac_f64_e32 v[192:193], v[6:7], v[154:155]
	v_add_f64_e32 v[184:185], v[196:197], v[194:195]
	;; [unrolled: 18-line block ×3, first 2 shown]
	v_fma_f64 v[194:195], v[4:5], v[166:167], -v[168:169]
	ds_load_b128 v[4:7], v2 offset:1264
	s_wait_loadcnt_dscnt 0xa01
	v_mul_f64_e32 v[192:193], v[182:183], v[180:181]
	v_mul_f64_e32 v[180:181], v[184:185], v[180:181]
	scratch_load_b128 v[166:169], off, off offset:496
	v_add_f64_e32 v[186:187], v[186:187], v[190:191]
	v_add_f64_e32 v[196:197], v[176:177], v[174:175]
	s_wait_loadcnt_dscnt 0xa00
	v_mul_f64_e32 v[190:191], v[4:5], v[164:165]
	v_mul_f64_e32 v[164:165], v[6:7], v[164:165]
	v_fmac_f64_e32 v[192:193], v[184:185], v[178:179]
	v_fma_f64 v[182:183], v[182:183], v[178:179], -v[180:181]
	ds_load_b128 v[174:177], v2 offset:1280
	scratch_load_b128 v[178:181], off, off offset:512
	v_add_f64_e32 v[186:187], v[186:187], v[188:189]
	v_add_f64_e32 v[184:185], v[196:197], v[194:195]
	v_fmac_f64_e32 v[190:191], v[6:7], v[162:163]
	v_fma_f64 v[194:195], v[4:5], v[162:163], -v[164:165]
	ds_load_b128 v[4:7], v2 offset:1296
	s_wait_loadcnt_dscnt 0xa01
	v_mul_f64_e32 v[188:189], v[174:175], v[12:13]
	v_mul_f64_e32 v[12:13], v[176:177], v[12:13]
	scratch_load_b128 v[162:165], off, off offset:528
	v_add_f64_e32 v[186:187], v[186:187], v[192:193]
	s_wait_loadcnt_dscnt 0xa00
	v_mul_f64_e32 v[192:193], v[4:5], v[132:133]
	v_add_f64_e32 v[196:197], v[184:185], v[182:183]
	v_mul_f64_e32 v[132:133], v[6:7], v[132:133]
	ds_load_b128 v[182:185], v2 offset:1312
	v_fmac_f64_e32 v[188:189], v[176:177], v[10:11]
	v_fma_f64 v[174:175], v[174:175], v[10:11], -v[12:13]
	scratch_load_b128 v[10:13], off, off offset:544
	v_add_f64_e32 v[186:187], v[186:187], v[190:191]
	v_fmac_f64_e32 v[192:193], v[6:7], v[130:131]
	v_add_f64_e32 v[176:177], v[196:197], v[194:195]
	v_fma_f64 v[194:195], v[4:5], v[130:131], -v[132:133]
	ds_load_b128 v[4:7], v2 offset:1328
	s_wait_loadcnt_dscnt 0xa01
	v_mul_f64_e32 v[190:191], v[182:183], v[136:137]
	v_mul_f64_e32 v[136:137], v[184:185], v[136:137]
	scratch_load_b128 v[130:133], off, off offset:560
	v_add_f64_e32 v[186:187], v[186:187], v[188:189]
	s_wait_loadcnt_dscnt 0xa00
	v_mul_f64_e32 v[188:189], v[4:5], v[140:141]
	v_add_f64_e32 v[196:197], v[176:177], v[174:175]
	v_mul_f64_e32 v[140:141], v[6:7], v[140:141]
	ds_load_b128 v[174:177], v2 offset:1344
	v_fmac_f64_e32 v[190:191], v[184:185], v[134:135]
	v_fma_f64 v[182:183], v[182:183], v[134:135], -v[136:137]
	scratch_load_b128 v[134:137], off, off offset:576
	v_add_f64_e32 v[186:187], v[186:187], v[192:193]
	v_fmac_f64_e32 v[188:189], v[6:7], v[138:139]
	v_add_f64_e32 v[184:185], v[196:197], v[194:195]
	;; [unrolled: 18-line block ×12, first 2 shown]
	v_fma_f64 v[194:195], v[4:5], v[162:163], -v[164:165]
	ds_load_b128 v[4:7], v2 offset:1680
	s_wait_loadcnt_dscnt 0xa01
	v_mul_f64_e32 v[188:189], v[174:175], v[12:13]
	v_mul_f64_e32 v[12:13], v[176:177], v[12:13]
	scratch_load_b128 v[162:165], off, off offset:912
	v_add_f64_e32 v[186:187], v[186:187], v[192:193]
	s_wait_loadcnt_dscnt 0xa00
	v_mul_f64_e32 v[192:193], v[4:5], v[132:133]
	v_add_f64_e32 v[196:197], v[184:185], v[182:183]
	v_mul_f64_e32 v[132:133], v[6:7], v[132:133]
	ds_load_b128 v[182:185], v2 offset:1696
	v_fmac_f64_e32 v[188:189], v[176:177], v[10:11]
	v_fma_f64 v[10:11], v[174:175], v[10:11], -v[12:13]
	s_wait_loadcnt_dscnt 0x900
	v_mul_f64_e32 v[176:177], v[182:183], v[136:137]
	v_mul_f64_e32 v[136:137], v[184:185], v[136:137]
	v_add_f64_e32 v[174:175], v[186:187], v[190:191]
	v_fmac_f64_e32 v[192:193], v[6:7], v[130:131]
	v_add_f64_e32 v[12:13], v[196:197], v[194:195]
	v_fma_f64 v[130:131], v[4:5], v[130:131], -v[132:133]
	v_fmac_f64_e32 v[176:177], v[184:185], v[134:135]
	v_fma_f64 v[134:135], v[182:183], v[134:135], -v[136:137]
	v_add_f64_e32 v[174:175], v[174:175], v[188:189]
	v_add_f64_e32 v[132:133], v[12:13], v[10:11]
	ds_load_b128 v[4:7], v2 offset:1712
	ds_load_b128 v[10:13], v2 offset:1728
	s_wait_loadcnt_dscnt 0x801
	v_mul_f64_e32 v[186:187], v[4:5], v[140:141]
	v_mul_f64_e32 v[140:141], v[6:7], v[140:141]
	s_wait_loadcnt_dscnt 0x700
	v_mul_f64_e32 v[136:137], v[10:11], v[144:145]
	v_mul_f64_e32 v[144:145], v[12:13], v[144:145]
	v_add_f64_e32 v[130:131], v[132:133], v[130:131]
	v_add_f64_e32 v[132:133], v[174:175], v[192:193]
	v_fmac_f64_e32 v[186:187], v[6:7], v[138:139]
	v_fma_f64 v[138:139], v[4:5], v[138:139], -v[140:141]
	v_fmac_f64_e32 v[136:137], v[12:13], v[142:143]
	v_fma_f64 v[10:11], v[10:11], v[142:143], -v[144:145]
	v_add_f64_e32 v[134:135], v[130:131], v[134:135]
	v_add_f64_e32 v[140:141], v[132:133], v[176:177]
	ds_load_b128 v[4:7], v2 offset:1744
	ds_load_b128 v[130:133], v2 offset:1760
	s_wait_loadcnt_dscnt 0x601
	v_mul_f64_e32 v[174:175], v[4:5], v[148:149]
	v_mul_f64_e32 v[148:149], v[6:7], v[148:149]
	v_add_f64_e32 v[12:13], v[134:135], v[138:139]
	v_add_f64_e32 v[134:135], v[140:141], v[186:187]
	s_wait_loadcnt_dscnt 0x500
	v_mul_f64_e32 v[138:139], v[130:131], v[152:153]
	v_mul_f64_e32 v[140:141], v[132:133], v[152:153]
	v_fmac_f64_e32 v[174:175], v[6:7], v[146:147]
	v_fma_f64 v[142:143], v[4:5], v[146:147], -v[148:149]
	v_add_f64_e32 v[144:145], v[12:13], v[10:11]
	v_add_f64_e32 v[134:135], v[134:135], v[136:137]
	ds_load_b128 v[4:7], v2 offset:1776
	ds_load_b128 v[10:13], v2 offset:1792
	v_fmac_f64_e32 v[138:139], v[132:133], v[150:151]
	v_fma_f64 v[130:131], v[130:131], v[150:151], -v[140:141]
	s_wait_loadcnt_dscnt 0x401
	v_mul_f64_e32 v[136:137], v[4:5], v[156:157]
	v_mul_f64_e32 v[146:147], v[6:7], v[156:157]
	s_wait_loadcnt_dscnt 0x300
	v_mul_f64_e32 v[140:141], v[10:11], v[160:161]
	v_add_f64_e32 v[132:133], v[144:145], v[142:143]
	v_add_f64_e32 v[134:135], v[134:135], v[174:175]
	v_mul_f64_e32 v[142:143], v[12:13], v[160:161]
	v_fmac_f64_e32 v[136:137], v[6:7], v[154:155]
	v_fma_f64 v[144:145], v[4:5], v[154:155], -v[146:147]
	v_fmac_f64_e32 v[140:141], v[12:13], v[158:159]
	v_add_f64_e32 v[146:147], v[132:133], v[130:131]
	v_add_f64_e32 v[134:135], v[134:135], v[138:139]
	ds_load_b128 v[4:7], v2 offset:1808
	ds_load_b128 v[130:133], v2 offset:1824
	v_fma_f64 v[10:11], v[10:11], v[158:159], -v[142:143]
	s_wait_loadcnt_dscnt 0x201
	v_mul_f64_e32 v[138:139], v[4:5], v[168:169]
	v_mul_f64_e32 v[148:149], v[6:7], v[168:169]
	s_wait_loadcnt_dscnt 0x100
	v_mul_f64_e32 v[142:143], v[132:133], v[180:181]
	v_add_f64_e32 v[12:13], v[146:147], v[144:145]
	v_add_f64_e32 v[134:135], v[134:135], v[136:137]
	v_mul_f64_e32 v[136:137], v[130:131], v[180:181]
	v_fmac_f64_e32 v[138:139], v[6:7], v[166:167]
	v_fma_f64 v[144:145], v[4:5], v[166:167], -v[148:149]
	ds_load_b128 v[4:7], v2 offset:1840
	v_fma_f64 v[130:131], v[130:131], v[178:179], -v[142:143]
	v_add_f64_e32 v[10:11], v[12:13], v[10:11]
	v_add_f64_e32 v[12:13], v[134:135], v[140:141]
	v_fmac_f64_e32 v[136:137], v[132:133], v[178:179]
	s_wait_loadcnt_dscnt 0x0
	v_mul_f64_e32 v[134:135], v[4:5], v[164:165]
	v_mul_f64_e32 v[140:141], v[6:7], v[164:165]
	v_add_f64_e32 v[10:11], v[10:11], v[144:145]
	v_add_f64_e32 v[12:13], v[12:13], v[138:139]
	s_delay_alu instid0(VALU_DEP_4) | instskip(NEXT) | instid1(VALU_DEP_4)
	v_fmac_f64_e32 v[134:135], v[6:7], v[162:163]
	v_fma_f64 v[4:5], v[4:5], v[162:163], -v[140:141]
	s_delay_alu instid0(VALU_DEP_4) | instskip(NEXT) | instid1(VALU_DEP_4)
	v_add_f64_e32 v[6:7], v[10:11], v[130:131]
	v_add_f64_e32 v[10:11], v[12:13], v[136:137]
	s_delay_alu instid0(VALU_DEP_2) | instskip(NEXT) | instid1(VALU_DEP_2)
	v_add_f64_e32 v[4:5], v[6:7], v[4:5]
	v_add_f64_e32 v[6:7], v[10:11], v[134:135]
	s_delay_alu instid0(VALU_DEP_2) | instskip(NEXT) | instid1(VALU_DEP_2)
	v_add_f64_e64 v[4:5], v[170:171], -v[4:5]
	v_add_f64_e64 v[6:7], v[172:173], -v[6:7]
	scratch_store_b128 off, v[4:7], off offset:128
	s_wait_xcnt 0x0
	v_cmpx_lt_u32_e32 7, v1
	s_cbranch_execz .LBB57_347
; %bb.346:
	scratch_load_b128 v[10:13], off, s58
	v_dual_mov_b32 v3, v2 :: v_dual_mov_b32 v4, v2
	v_mov_b32_e32 v5, v2
	scratch_store_b128 off, v[2:5], off offset:112
	s_wait_loadcnt 0x0
	ds_store_b128 v8, v[10:13]
.LBB57_347:
	s_wait_xcnt 0x0
	s_or_b32 exec_lo, exec_lo, s2
	s_wait_storecnt_dscnt 0x0
	s_barrier_signal -1
	s_barrier_wait -1
	s_clause 0x9
	scratch_load_b128 v[4:7], off, off offset:128
	scratch_load_b128 v[10:13], off, off offset:144
	;; [unrolled: 1-line block ×10, first 2 shown]
	ds_load_b128 v[162:165], v2 offset:1056
	ds_load_b128 v[170:173], v2 offset:1072
	s_clause 0x2
	scratch_load_b128 v[166:169], off, off offset:288
	scratch_load_b128 v[174:177], off, off offset:112
	;; [unrolled: 1-line block ×3, first 2 shown]
	s_mov_b32 s2, exec_lo
	s_wait_loadcnt_dscnt 0xc01
	v_mul_f64_e32 v[182:183], v[164:165], v[6:7]
	v_mul_f64_e32 v[186:187], v[162:163], v[6:7]
	s_wait_loadcnt_dscnt 0xb00
	v_mul_f64_e32 v[188:189], v[170:171], v[12:13]
	v_mul_f64_e32 v[12:13], v[172:173], v[12:13]
	s_delay_alu instid0(VALU_DEP_4) | instskip(NEXT) | instid1(VALU_DEP_4)
	v_fma_f64 v[190:191], v[162:163], v[4:5], -v[182:183]
	v_fmac_f64_e32 v[186:187], v[164:165], v[4:5]
	ds_load_b128 v[4:7], v2 offset:1088
	ds_load_b128 v[162:165], v2 offset:1104
	scratch_load_b128 v[182:185], off, off offset:320
	v_fmac_f64_e32 v[188:189], v[172:173], v[10:11]
	v_fma_f64 v[170:171], v[170:171], v[10:11], -v[12:13]
	scratch_load_b128 v[10:13], off, off offset:336
	s_wait_loadcnt_dscnt 0xc01
	v_mul_f64_e32 v[192:193], v[4:5], v[132:133]
	v_mul_f64_e32 v[132:133], v[6:7], v[132:133]
	v_add_f64_e32 v[172:173], 0, v[190:191]
	v_add_f64_e32 v[186:187], 0, v[186:187]
	s_wait_loadcnt_dscnt 0xb00
	v_mul_f64_e32 v[190:191], v[162:163], v[136:137]
	v_mul_f64_e32 v[136:137], v[164:165], v[136:137]
	v_fmac_f64_e32 v[192:193], v[6:7], v[130:131]
	v_fma_f64 v[194:195], v[4:5], v[130:131], -v[132:133]
	ds_load_b128 v[4:7], v2 offset:1120
	ds_load_b128 v[130:133], v2 offset:1136
	v_add_f64_e32 v[196:197], v[172:173], v[170:171]
	v_add_f64_e32 v[186:187], v[186:187], v[188:189]
	scratch_load_b128 v[170:173], off, off offset:352
	v_fmac_f64_e32 v[190:191], v[164:165], v[134:135]
	v_fma_f64 v[162:163], v[162:163], v[134:135], -v[136:137]
	scratch_load_b128 v[134:137], off, off offset:368
	s_wait_loadcnt_dscnt 0xc01
	v_mul_f64_e32 v[188:189], v[4:5], v[140:141]
	v_mul_f64_e32 v[140:141], v[6:7], v[140:141]
	v_add_f64_e32 v[164:165], v[196:197], v[194:195]
	v_add_f64_e32 v[186:187], v[186:187], v[192:193]
	s_wait_loadcnt_dscnt 0xb00
	v_mul_f64_e32 v[192:193], v[130:131], v[144:145]
	v_mul_f64_e32 v[144:145], v[132:133], v[144:145]
	v_fmac_f64_e32 v[188:189], v[6:7], v[138:139]
	v_fma_f64 v[194:195], v[4:5], v[138:139], -v[140:141]
	ds_load_b128 v[4:7], v2 offset:1152
	ds_load_b128 v[138:141], v2 offset:1168
	v_add_f64_e32 v[196:197], v[164:165], v[162:163]
	v_add_f64_e32 v[186:187], v[186:187], v[190:191]
	scratch_load_b128 v[162:165], off, off offset:384
	s_wait_loadcnt_dscnt 0xb01
	v_mul_f64_e32 v[190:191], v[4:5], v[148:149]
	v_mul_f64_e32 v[148:149], v[6:7], v[148:149]
	v_fmac_f64_e32 v[192:193], v[132:133], v[142:143]
	v_fma_f64 v[142:143], v[130:131], v[142:143], -v[144:145]
	scratch_load_b128 v[130:133], off, off offset:400
	v_add_f64_e32 v[144:145], v[196:197], v[194:195]
	v_add_f64_e32 v[186:187], v[186:187], v[188:189]
	s_wait_loadcnt_dscnt 0xb00
	v_mul_f64_e32 v[188:189], v[138:139], v[152:153]
	v_mul_f64_e32 v[152:153], v[140:141], v[152:153]
	v_fmac_f64_e32 v[190:191], v[6:7], v[146:147]
	v_fma_f64 v[194:195], v[4:5], v[146:147], -v[148:149]
	v_add_f64_e32 v[196:197], v[144:145], v[142:143]
	v_add_f64_e32 v[186:187], v[186:187], v[192:193]
	ds_load_b128 v[4:7], v2 offset:1184
	ds_load_b128 v[142:145], v2 offset:1200
	scratch_load_b128 v[146:149], off, off offset:416
	v_fmac_f64_e32 v[188:189], v[140:141], v[150:151]
	v_fma_f64 v[150:151], v[138:139], v[150:151], -v[152:153]
	scratch_load_b128 v[138:141], off, off offset:432
	s_wait_loadcnt_dscnt 0xc01
	v_mul_f64_e32 v[192:193], v[4:5], v[156:157]
	v_mul_f64_e32 v[156:157], v[6:7], v[156:157]
	v_add_f64_e32 v[152:153], v[196:197], v[194:195]
	v_add_f64_e32 v[186:187], v[186:187], v[190:191]
	s_wait_loadcnt_dscnt 0xb00
	v_mul_f64_e32 v[190:191], v[142:143], v[160:161]
	v_mul_f64_e32 v[160:161], v[144:145], v[160:161]
	v_fmac_f64_e32 v[192:193], v[6:7], v[154:155]
	v_fma_f64 v[194:195], v[4:5], v[154:155], -v[156:157]
	v_add_f64_e32 v[196:197], v[152:153], v[150:151]
	v_add_f64_e32 v[186:187], v[186:187], v[188:189]
	ds_load_b128 v[4:7], v2 offset:1216
	ds_load_b128 v[150:153], v2 offset:1232
	scratch_load_b128 v[154:157], off, off offset:448
	v_fmac_f64_e32 v[190:191], v[144:145], v[158:159]
	v_fma_f64 v[158:159], v[142:143], v[158:159], -v[160:161]
	scratch_load_b128 v[142:145], off, off offset:464
	s_wait_loadcnt_dscnt 0xc01
	v_mul_f64_e32 v[188:189], v[4:5], v[168:169]
	v_mul_f64_e32 v[168:169], v[6:7], v[168:169]
	;; [unrolled: 18-line block ×5, first 2 shown]
	v_add_f64_e32 v[180:181], v[196:197], v[194:195]
	v_add_f64_e32 v[186:187], v[186:187], v[192:193]
	s_wait_loadcnt_dscnt 0xa00
	v_mul_f64_e32 v[192:193], v[158:159], v[132:133]
	v_mul_f64_e32 v[132:133], v[160:161], v[132:133]
	v_fmac_f64_e32 v[188:189], v[6:7], v[162:163]
	v_fma_f64 v[194:195], v[4:5], v[162:163], -v[164:165]
	ds_load_b128 v[4:7], v2 offset:1344
	ds_load_b128 v[162:165], v2 offset:1360
	v_add_f64_e32 v[196:197], v[180:181], v[178:179]
	v_add_f64_e32 v[186:187], v[186:187], v[190:191]
	scratch_load_b128 v[178:181], off, off offset:576
	v_fmac_f64_e32 v[192:193], v[160:161], v[130:131]
	v_fma_f64 v[158:159], v[158:159], v[130:131], -v[132:133]
	scratch_load_b128 v[130:133], off, off offset:592
	s_wait_loadcnt_dscnt 0xb01
	v_mul_f64_e32 v[190:191], v[4:5], v[148:149]
	v_mul_f64_e32 v[148:149], v[6:7], v[148:149]
	v_add_f64_e32 v[160:161], v[196:197], v[194:195]
	v_add_f64_e32 v[186:187], v[186:187], v[188:189]
	s_wait_loadcnt_dscnt 0xa00
	v_mul_f64_e32 v[188:189], v[162:163], v[140:141]
	v_mul_f64_e32 v[140:141], v[164:165], v[140:141]
	v_fmac_f64_e32 v[190:191], v[6:7], v[146:147]
	v_fma_f64 v[194:195], v[4:5], v[146:147], -v[148:149]
	ds_load_b128 v[4:7], v2 offset:1376
	ds_load_b128 v[146:149], v2 offset:1392
	v_add_f64_e32 v[196:197], v[160:161], v[158:159]
	v_add_f64_e32 v[186:187], v[186:187], v[192:193]
	scratch_load_b128 v[158:161], off, off offset:608
	s_wait_loadcnt_dscnt 0xa01
	v_mul_f64_e32 v[192:193], v[4:5], v[156:157]
	v_mul_f64_e32 v[156:157], v[6:7], v[156:157]
	v_fmac_f64_e32 v[188:189], v[164:165], v[138:139]
	v_fma_f64 v[162:163], v[162:163], v[138:139], -v[140:141]
	scratch_load_b128 v[138:141], off, off offset:624
	v_add_f64_e32 v[164:165], v[196:197], v[194:195]
	v_add_f64_e32 v[186:187], v[186:187], v[190:191]
	s_wait_loadcnt_dscnt 0xa00
	v_mul_f64_e32 v[190:191], v[146:147], v[144:145]
	v_mul_f64_e32 v[144:145], v[148:149], v[144:145]
	v_fmac_f64_e32 v[192:193], v[6:7], v[154:155]
	v_fma_f64 v[194:195], v[4:5], v[154:155], -v[156:157]
	ds_load_b128 v[4:7], v2 offset:1408
	ds_load_b128 v[154:157], v2 offset:1424
	v_add_f64_e32 v[196:197], v[164:165], v[162:163]
	v_add_f64_e32 v[186:187], v[186:187], v[188:189]
	scratch_load_b128 v[162:165], off, off offset:640
	s_wait_loadcnt_dscnt 0xa01
	v_mul_f64_e32 v[188:189], v[4:5], v[168:169]
	v_mul_f64_e32 v[168:169], v[6:7], v[168:169]
	v_fmac_f64_e32 v[190:191], v[148:149], v[142:143]
	v_fma_f64 v[146:147], v[146:147], v[142:143], -v[144:145]
	scratch_load_b128 v[142:145], off, off offset:656
	v_add_f64_e32 v[148:149], v[196:197], v[194:195]
	v_add_f64_e32 v[186:187], v[186:187], v[192:193]
	s_wait_loadcnt_dscnt 0xa00
	v_mul_f64_e32 v[192:193], v[154:155], v[152:153]
	v_mul_f64_e32 v[152:153], v[156:157], v[152:153]
	v_fmac_f64_e32 v[188:189], v[6:7], v[166:167]
	v_fma_f64 v[194:195], v[4:5], v[166:167], -v[168:169]
	v_add_f64_e32 v[196:197], v[148:149], v[146:147]
	v_add_f64_e32 v[186:187], v[186:187], v[190:191]
	ds_load_b128 v[4:7], v2 offset:1440
	ds_load_b128 v[146:149], v2 offset:1456
	scratch_load_b128 v[166:169], off, off offset:672
	v_fmac_f64_e32 v[192:193], v[156:157], v[150:151]
	v_fma_f64 v[154:155], v[154:155], v[150:151], -v[152:153]
	scratch_load_b128 v[150:153], off, off offset:688
	s_wait_loadcnt_dscnt 0xb01
	v_mul_f64_e32 v[190:191], v[4:5], v[184:185]
	v_mul_f64_e32 v[184:185], v[6:7], v[184:185]
	v_add_f64_e32 v[156:157], v[196:197], v[194:195]
	v_add_f64_e32 v[186:187], v[186:187], v[188:189]
	s_wait_loadcnt_dscnt 0xa00
	v_mul_f64_e32 v[188:189], v[146:147], v[12:13]
	v_mul_f64_e32 v[12:13], v[148:149], v[12:13]
	v_fmac_f64_e32 v[190:191], v[6:7], v[182:183]
	v_fma_f64 v[194:195], v[4:5], v[182:183], -v[184:185]
	v_add_f64_e32 v[196:197], v[156:157], v[154:155]
	v_add_f64_e32 v[186:187], v[186:187], v[192:193]
	ds_load_b128 v[4:7], v2 offset:1472
	ds_load_b128 v[154:157], v2 offset:1488
	scratch_load_b128 v[182:185], off, off offset:704
	v_fmac_f64_e32 v[188:189], v[148:149], v[10:11]
	v_fma_f64 v[146:147], v[146:147], v[10:11], -v[12:13]
	scratch_load_b128 v[10:13], off, off offset:720
	s_wait_loadcnt_dscnt 0xb01
	v_mul_f64_e32 v[192:193], v[4:5], v[172:173]
	v_mul_f64_e32 v[172:173], v[6:7], v[172:173]
	;; [unrolled: 18-line block ×8, first 2 shown]
	v_add_f64_e32 v[148:149], v[196:197], v[194:195]
	v_add_f64_e32 v[186:187], v[186:187], v[190:191]
	s_wait_loadcnt_dscnt 0xa00
	v_mul_f64_e32 v[190:191], v[154:155], v[136:137]
	v_mul_f64_e32 v[136:137], v[156:157], v[136:137]
	v_fmac_f64_e32 v[192:193], v[6:7], v[170:171]
	v_fma_f64 v[170:171], v[4:5], v[170:171], -v[172:173]
	v_add_f64_e32 v[172:173], v[148:149], v[146:147]
	v_add_f64_e32 v[186:187], v[186:187], v[188:189]
	ds_load_b128 v[4:7], v2 offset:1696
	ds_load_b128 v[146:149], v2 offset:1712
	v_fmac_f64_e32 v[190:191], v[156:157], v[134:135]
	v_fma_f64 v[134:135], v[154:155], v[134:135], -v[136:137]
	s_wait_loadcnt_dscnt 0x901
	v_mul_f64_e32 v[188:189], v[4:5], v[180:181]
	v_mul_f64_e32 v[180:181], v[6:7], v[180:181]
	s_wait_loadcnt_dscnt 0x800
	v_mul_f64_e32 v[156:157], v[146:147], v[132:133]
	v_add_f64_e32 v[136:137], v[172:173], v[170:171]
	v_add_f64_e32 v[154:155], v[186:187], v[192:193]
	v_mul_f64_e32 v[170:171], v[148:149], v[132:133]
	v_fmac_f64_e32 v[188:189], v[6:7], v[178:179]
	v_fma_f64 v[172:173], v[4:5], v[178:179], -v[180:181]
	v_fmac_f64_e32 v[156:157], v[148:149], v[130:131]
	v_add_f64_e32 v[136:137], v[136:137], v[134:135]
	v_add_f64_e32 v[154:155], v[154:155], v[190:191]
	ds_load_b128 v[4:7], v2 offset:1728
	ds_load_b128 v[132:135], v2 offset:1744
	v_fma_f64 v[130:131], v[146:147], v[130:131], -v[170:171]
	s_wait_loadcnt_dscnt 0x701
	v_mul_f64_e32 v[178:179], v[4:5], v[160:161]
	v_mul_f64_e32 v[160:161], v[6:7], v[160:161]
	v_add_f64_e32 v[136:137], v[136:137], v[172:173]
	v_add_f64_e32 v[146:147], v[154:155], v[188:189]
	s_wait_loadcnt_dscnt 0x600
	v_mul_f64_e32 v[154:155], v[132:133], v[140:141]
	v_mul_f64_e32 v[140:141], v[134:135], v[140:141]
	v_fmac_f64_e32 v[178:179], v[6:7], v[158:159]
	v_fma_f64 v[158:159], v[4:5], v[158:159], -v[160:161]
	v_add_f64_e32 v[130:131], v[136:137], v[130:131]
	v_add_f64_e32 v[136:137], v[146:147], v[156:157]
	ds_load_b128 v[4:7], v2 offset:1760
	ds_load_b128 v[146:149], v2 offset:1776
	v_fmac_f64_e32 v[154:155], v[134:135], v[138:139]
	v_fma_f64 v[132:133], v[132:133], v[138:139], -v[140:141]
	s_wait_loadcnt_dscnt 0x501
	v_mul_f64_e32 v[156:157], v[4:5], v[164:165]
	v_mul_f64_e32 v[160:161], v[6:7], v[164:165]
	s_wait_loadcnt_dscnt 0x400
	v_mul_f64_e32 v[138:139], v[148:149], v[144:145]
	v_add_f64_e32 v[130:131], v[130:131], v[158:159]
	v_add_f64_e32 v[134:135], v[136:137], v[178:179]
	v_mul_f64_e32 v[136:137], v[146:147], v[144:145]
	v_fmac_f64_e32 v[156:157], v[6:7], v[162:163]
	v_fma_f64 v[140:141], v[4:5], v[162:163], -v[160:161]
	v_fma_f64 v[138:139], v[146:147], v[142:143], -v[138:139]
	v_add_f64_e32 v[144:145], v[130:131], v[132:133]
	v_add_f64_e32 v[134:135], v[134:135], v[154:155]
	ds_load_b128 v[4:7], v2 offset:1792
	ds_load_b128 v[130:133], v2 offset:1808
	v_fmac_f64_e32 v[136:137], v[148:149], v[142:143]
	s_wait_loadcnt_dscnt 0x301
	v_mul_f64_e32 v[154:155], v[4:5], v[168:169]
	v_mul_f64_e32 v[158:159], v[6:7], v[168:169]
	s_wait_loadcnt_dscnt 0x200
	v_mul_f64_e32 v[142:143], v[130:131], v[152:153]
	v_add_f64_e32 v[140:141], v[144:145], v[140:141]
	v_add_f64_e32 v[134:135], v[134:135], v[156:157]
	v_mul_f64_e32 v[144:145], v[132:133], v[152:153]
	v_fmac_f64_e32 v[154:155], v[6:7], v[166:167]
	v_fma_f64 v[146:147], v[4:5], v[166:167], -v[158:159]
	v_fmac_f64_e32 v[142:143], v[132:133], v[150:151]
	v_add_f64_e32 v[138:139], v[140:141], v[138:139]
	v_add_f64_e32 v[140:141], v[134:135], v[136:137]
	ds_load_b128 v[4:7], v2 offset:1824
	ds_load_b128 v[134:137], v2 offset:1840
	v_fma_f64 v[130:131], v[130:131], v[150:151], -v[144:145]
	s_wait_loadcnt_dscnt 0x101
	v_mul_f64_e32 v[2:3], v[4:5], v[184:185]
	v_mul_f64_e32 v[148:149], v[6:7], v[184:185]
	v_add_f64_e32 v[132:133], v[138:139], v[146:147]
	v_add_f64_e32 v[138:139], v[140:141], v[154:155]
	s_wait_loadcnt_dscnt 0x0
	v_mul_f64_e32 v[140:141], v[134:135], v[12:13]
	v_mul_f64_e32 v[12:13], v[136:137], v[12:13]
	v_fmac_f64_e32 v[2:3], v[6:7], v[182:183]
	v_fma_f64 v[4:5], v[4:5], v[182:183], -v[148:149]
	v_add_f64_e32 v[6:7], v[132:133], v[130:131]
	v_add_f64_e32 v[130:131], v[138:139], v[142:143]
	v_fmac_f64_e32 v[140:141], v[136:137], v[10:11]
	v_fma_f64 v[10:11], v[134:135], v[10:11], -v[12:13]
	s_delay_alu instid0(VALU_DEP_4) | instskip(NEXT) | instid1(VALU_DEP_4)
	v_add_f64_e32 v[4:5], v[6:7], v[4:5]
	v_add_f64_e32 v[2:3], v[130:131], v[2:3]
	s_delay_alu instid0(VALU_DEP_2) | instskip(NEXT) | instid1(VALU_DEP_2)
	v_add_f64_e32 v[4:5], v[4:5], v[10:11]
	v_add_f64_e32 v[6:7], v[2:3], v[140:141]
	s_delay_alu instid0(VALU_DEP_2) | instskip(NEXT) | instid1(VALU_DEP_2)
	v_add_f64_e64 v[2:3], v[174:175], -v[4:5]
	v_add_f64_e64 v[4:5], v[176:177], -v[6:7]
	scratch_store_b128 off, v[2:5], off offset:112
	s_wait_xcnt 0x0
	v_cmpx_lt_u32_e32 6, v1
	s_cbranch_execz .LBB57_349
; %bb.348:
	scratch_load_b128 v[2:5], off, s68
	v_mov_b32_e32 v10, 0
	s_delay_alu instid0(VALU_DEP_1)
	v_dual_mov_b32 v11, v10 :: v_dual_mov_b32 v12, v10
	v_mov_b32_e32 v13, v10
	scratch_store_b128 off, v[10:13], off offset:96
	s_wait_loadcnt 0x0
	ds_store_b128 v8, v[2:5]
.LBB57_349:
	s_wait_xcnt 0x0
	s_or_b32 exec_lo, exec_lo, s2
	s_wait_storecnt_dscnt 0x0
	s_barrier_signal -1
	s_barrier_wait -1
	s_clause 0x9
	scratch_load_b128 v[4:7], off, off offset:112
	scratch_load_b128 v[10:13], off, off offset:128
	;; [unrolled: 1-line block ×10, first 2 shown]
	v_mov_b32_e32 v2, 0
	s_mov_b32 s2, exec_lo
	ds_load_b128 v[162:165], v2 offset:1040
	s_clause 0x2
	scratch_load_b128 v[166:169], off, off offset:272
	scratch_load_b128 v[170:173], off, off offset:96
	;; [unrolled: 1-line block ×3, first 2 shown]
	s_wait_loadcnt_dscnt 0xc00
	v_mul_f64_e32 v[182:183], v[164:165], v[6:7]
	v_mul_f64_e32 v[186:187], v[162:163], v[6:7]
	ds_load_b128 v[174:177], v2 offset:1056
	v_fma_f64 v[190:191], v[162:163], v[4:5], -v[182:183]
	v_fmac_f64_e32 v[186:187], v[164:165], v[4:5]
	ds_load_b128 v[4:7], v2 offset:1072
	s_wait_loadcnt_dscnt 0xb01
	v_mul_f64_e32 v[188:189], v[174:175], v[12:13]
	v_mul_f64_e32 v[12:13], v[176:177], v[12:13]
	scratch_load_b128 v[162:165], off, off offset:304
	ds_load_b128 v[182:185], v2 offset:1088
	s_wait_loadcnt_dscnt 0xb01
	v_mul_f64_e32 v[192:193], v[4:5], v[132:133]
	v_mul_f64_e32 v[132:133], v[6:7], v[132:133]
	v_add_f64_e32 v[186:187], 0, v[186:187]
	v_fmac_f64_e32 v[188:189], v[176:177], v[10:11]
	v_fma_f64 v[174:175], v[174:175], v[10:11], -v[12:13]
	v_add_f64_e32 v[176:177], 0, v[190:191]
	scratch_load_b128 v[10:13], off, off offset:320
	v_fmac_f64_e32 v[192:193], v[6:7], v[130:131]
	v_fma_f64 v[194:195], v[4:5], v[130:131], -v[132:133]
	ds_load_b128 v[4:7], v2 offset:1104
	s_wait_loadcnt_dscnt 0xb01
	v_mul_f64_e32 v[190:191], v[182:183], v[136:137]
	v_mul_f64_e32 v[136:137], v[184:185], v[136:137]
	scratch_load_b128 v[130:133], off, off offset:336
	v_add_f64_e32 v[186:187], v[186:187], v[188:189]
	v_add_f64_e32 v[196:197], v[176:177], v[174:175]
	ds_load_b128 v[174:177], v2 offset:1120
	s_wait_loadcnt_dscnt 0xb01
	v_mul_f64_e32 v[188:189], v[4:5], v[140:141]
	v_mul_f64_e32 v[140:141], v[6:7], v[140:141]
	v_fmac_f64_e32 v[190:191], v[184:185], v[134:135]
	v_fma_f64 v[182:183], v[182:183], v[134:135], -v[136:137]
	scratch_load_b128 v[134:137], off, off offset:352
	v_add_f64_e32 v[186:187], v[186:187], v[192:193]
	v_add_f64_e32 v[184:185], v[196:197], v[194:195]
	v_fmac_f64_e32 v[188:189], v[6:7], v[138:139]
	v_fma_f64 v[194:195], v[4:5], v[138:139], -v[140:141]
	ds_load_b128 v[4:7], v2 offset:1136
	s_wait_loadcnt_dscnt 0xb01
	v_mul_f64_e32 v[192:193], v[174:175], v[144:145]
	v_mul_f64_e32 v[144:145], v[176:177], v[144:145]
	scratch_load_b128 v[138:141], off, off offset:368
	v_add_f64_e32 v[186:187], v[186:187], v[190:191]
	s_wait_loadcnt_dscnt 0xb00
	v_mul_f64_e32 v[190:191], v[4:5], v[148:149]
	v_add_f64_e32 v[196:197], v[184:185], v[182:183]
	v_mul_f64_e32 v[148:149], v[6:7], v[148:149]
	ds_load_b128 v[182:185], v2 offset:1152
	v_fmac_f64_e32 v[192:193], v[176:177], v[142:143]
	v_fma_f64 v[174:175], v[174:175], v[142:143], -v[144:145]
	scratch_load_b128 v[142:145], off, off offset:384
	v_add_f64_e32 v[186:187], v[186:187], v[188:189]
	v_fmac_f64_e32 v[190:191], v[6:7], v[146:147]
	v_add_f64_e32 v[176:177], v[196:197], v[194:195]
	v_fma_f64 v[194:195], v[4:5], v[146:147], -v[148:149]
	ds_load_b128 v[4:7], v2 offset:1168
	s_wait_loadcnt_dscnt 0xb01
	v_mul_f64_e32 v[188:189], v[182:183], v[152:153]
	v_mul_f64_e32 v[152:153], v[184:185], v[152:153]
	scratch_load_b128 v[146:149], off, off offset:400
	v_add_f64_e32 v[186:187], v[186:187], v[192:193]
	s_wait_loadcnt_dscnt 0xb00
	v_mul_f64_e32 v[192:193], v[4:5], v[156:157]
	v_add_f64_e32 v[196:197], v[176:177], v[174:175]
	v_mul_f64_e32 v[156:157], v[6:7], v[156:157]
	ds_load_b128 v[174:177], v2 offset:1184
	v_fmac_f64_e32 v[188:189], v[184:185], v[150:151]
	v_fma_f64 v[182:183], v[182:183], v[150:151], -v[152:153]
	scratch_load_b128 v[150:153], off, off offset:416
	v_add_f64_e32 v[186:187], v[186:187], v[190:191]
	v_fmac_f64_e32 v[192:193], v[6:7], v[154:155]
	v_add_f64_e32 v[184:185], v[196:197], v[194:195]
	;; [unrolled: 18-line block ×3, first 2 shown]
	v_fma_f64 v[194:195], v[4:5], v[166:167], -v[168:169]
	ds_load_b128 v[4:7], v2 offset:1232
	s_wait_loadcnt_dscnt 0xa01
	v_mul_f64_e32 v[192:193], v[182:183], v[180:181]
	v_mul_f64_e32 v[180:181], v[184:185], v[180:181]
	scratch_load_b128 v[166:169], off, off offset:464
	v_add_f64_e32 v[186:187], v[186:187], v[190:191]
	v_add_f64_e32 v[196:197], v[176:177], v[174:175]
	s_wait_loadcnt_dscnt 0xa00
	v_mul_f64_e32 v[190:191], v[4:5], v[164:165]
	v_mul_f64_e32 v[164:165], v[6:7], v[164:165]
	v_fmac_f64_e32 v[192:193], v[184:185], v[178:179]
	v_fma_f64 v[182:183], v[182:183], v[178:179], -v[180:181]
	ds_load_b128 v[174:177], v2 offset:1248
	scratch_load_b128 v[178:181], off, off offset:480
	v_add_f64_e32 v[186:187], v[186:187], v[188:189]
	v_add_f64_e32 v[184:185], v[196:197], v[194:195]
	v_fmac_f64_e32 v[190:191], v[6:7], v[162:163]
	v_fma_f64 v[194:195], v[4:5], v[162:163], -v[164:165]
	ds_load_b128 v[4:7], v2 offset:1264
	s_wait_loadcnt_dscnt 0xa01
	v_mul_f64_e32 v[188:189], v[174:175], v[12:13]
	v_mul_f64_e32 v[12:13], v[176:177], v[12:13]
	scratch_load_b128 v[162:165], off, off offset:496
	v_add_f64_e32 v[186:187], v[186:187], v[192:193]
	s_wait_loadcnt_dscnt 0xa00
	v_mul_f64_e32 v[192:193], v[4:5], v[132:133]
	v_add_f64_e32 v[196:197], v[184:185], v[182:183]
	v_mul_f64_e32 v[132:133], v[6:7], v[132:133]
	ds_load_b128 v[182:185], v2 offset:1280
	v_fmac_f64_e32 v[188:189], v[176:177], v[10:11]
	v_fma_f64 v[174:175], v[174:175], v[10:11], -v[12:13]
	scratch_load_b128 v[10:13], off, off offset:512
	v_add_f64_e32 v[186:187], v[186:187], v[190:191]
	v_fmac_f64_e32 v[192:193], v[6:7], v[130:131]
	v_add_f64_e32 v[176:177], v[196:197], v[194:195]
	v_fma_f64 v[194:195], v[4:5], v[130:131], -v[132:133]
	ds_load_b128 v[4:7], v2 offset:1296
	s_wait_loadcnt_dscnt 0xa01
	v_mul_f64_e32 v[190:191], v[182:183], v[136:137]
	v_mul_f64_e32 v[136:137], v[184:185], v[136:137]
	scratch_load_b128 v[130:133], off, off offset:528
	v_add_f64_e32 v[186:187], v[186:187], v[188:189]
	s_wait_loadcnt_dscnt 0xa00
	v_mul_f64_e32 v[188:189], v[4:5], v[140:141]
	v_add_f64_e32 v[196:197], v[176:177], v[174:175]
	v_mul_f64_e32 v[140:141], v[6:7], v[140:141]
	ds_load_b128 v[174:177], v2 offset:1312
	v_fmac_f64_e32 v[190:191], v[184:185], v[134:135]
	v_fma_f64 v[182:183], v[182:183], v[134:135], -v[136:137]
	scratch_load_b128 v[134:137], off, off offset:544
	v_add_f64_e32 v[186:187], v[186:187], v[192:193]
	v_fmac_f64_e32 v[188:189], v[6:7], v[138:139]
	v_add_f64_e32 v[184:185], v[196:197], v[194:195]
	;; [unrolled: 18-line block ×13, first 2 shown]
	v_fma_f64 v[194:195], v[4:5], v[130:131], -v[132:133]
	ds_load_b128 v[4:7], v2 offset:1680
	s_wait_loadcnt_dscnt 0xa01
	v_mul_f64_e32 v[190:191], v[182:183], v[136:137]
	v_mul_f64_e32 v[136:137], v[184:185], v[136:137]
	scratch_load_b128 v[130:133], off, off offset:912
	v_add_f64_e32 v[186:187], v[186:187], v[188:189]
	s_wait_loadcnt_dscnt 0xa00
	v_mul_f64_e32 v[188:189], v[4:5], v[140:141]
	v_add_f64_e32 v[196:197], v[176:177], v[174:175]
	v_mul_f64_e32 v[140:141], v[6:7], v[140:141]
	ds_load_b128 v[174:177], v2 offset:1696
	v_fmac_f64_e32 v[190:191], v[184:185], v[134:135]
	v_fma_f64 v[134:135], v[182:183], v[134:135], -v[136:137]
	s_wait_loadcnt_dscnt 0x900
	v_mul_f64_e32 v[184:185], v[174:175], v[144:145]
	v_mul_f64_e32 v[144:145], v[176:177], v[144:145]
	v_add_f64_e32 v[182:183], v[186:187], v[192:193]
	v_fmac_f64_e32 v[188:189], v[6:7], v[138:139]
	v_add_f64_e32 v[136:137], v[196:197], v[194:195]
	v_fma_f64 v[138:139], v[4:5], v[138:139], -v[140:141]
	v_fmac_f64_e32 v[184:185], v[176:177], v[142:143]
	v_fma_f64 v[142:143], v[174:175], v[142:143], -v[144:145]
	v_add_f64_e32 v[182:183], v[182:183], v[190:191]
	v_add_f64_e32 v[140:141], v[136:137], v[134:135]
	ds_load_b128 v[4:7], v2 offset:1712
	ds_load_b128 v[134:137], v2 offset:1728
	s_wait_loadcnt_dscnt 0x801
	v_mul_f64_e32 v[186:187], v[4:5], v[148:149]
	v_mul_f64_e32 v[148:149], v[6:7], v[148:149]
	s_wait_loadcnt_dscnt 0x700
	v_mul_f64_e32 v[144:145], v[134:135], v[152:153]
	v_mul_f64_e32 v[152:153], v[136:137], v[152:153]
	v_add_f64_e32 v[138:139], v[140:141], v[138:139]
	v_add_f64_e32 v[140:141], v[182:183], v[188:189]
	v_fmac_f64_e32 v[186:187], v[6:7], v[146:147]
	v_fma_f64 v[146:147], v[4:5], v[146:147], -v[148:149]
	v_fmac_f64_e32 v[144:145], v[136:137], v[150:151]
	v_fma_f64 v[134:135], v[134:135], v[150:151], -v[152:153]
	v_add_f64_e32 v[142:143], v[138:139], v[142:143]
	v_add_f64_e32 v[148:149], v[140:141], v[184:185]
	ds_load_b128 v[4:7], v2 offset:1744
	ds_load_b128 v[138:141], v2 offset:1760
	s_wait_loadcnt_dscnt 0x601
	v_mul_f64_e32 v[174:175], v[4:5], v[156:157]
	v_mul_f64_e32 v[156:157], v[6:7], v[156:157]
	v_add_f64_e32 v[136:137], v[142:143], v[146:147]
	v_add_f64_e32 v[142:143], v[148:149], v[186:187]
	s_wait_loadcnt_dscnt 0x500
	v_mul_f64_e32 v[146:147], v[138:139], v[160:161]
	v_mul_f64_e32 v[148:149], v[140:141], v[160:161]
	v_fmac_f64_e32 v[174:175], v[6:7], v[154:155]
	v_fma_f64 v[150:151], v[4:5], v[154:155], -v[156:157]
	v_add_f64_e32 v[152:153], v[136:137], v[134:135]
	v_add_f64_e32 v[142:143], v[142:143], v[144:145]
	ds_load_b128 v[4:7], v2 offset:1776
	ds_load_b128 v[134:137], v2 offset:1792
	v_fmac_f64_e32 v[146:147], v[140:141], v[158:159]
	v_fma_f64 v[138:139], v[138:139], v[158:159], -v[148:149]
	s_wait_loadcnt_dscnt 0x401
	v_mul_f64_e32 v[144:145], v[4:5], v[168:169]
	v_mul_f64_e32 v[154:155], v[6:7], v[168:169]
	s_wait_loadcnt_dscnt 0x300
	v_mul_f64_e32 v[148:149], v[134:135], v[180:181]
	v_add_f64_e32 v[140:141], v[152:153], v[150:151]
	v_add_f64_e32 v[142:143], v[142:143], v[174:175]
	v_mul_f64_e32 v[150:151], v[136:137], v[180:181]
	v_fmac_f64_e32 v[144:145], v[6:7], v[166:167]
	v_fma_f64 v[152:153], v[4:5], v[166:167], -v[154:155]
	v_fmac_f64_e32 v[148:149], v[136:137], v[178:179]
	v_add_f64_e32 v[154:155], v[140:141], v[138:139]
	v_add_f64_e32 v[142:143], v[142:143], v[146:147]
	ds_load_b128 v[4:7], v2 offset:1808
	ds_load_b128 v[138:141], v2 offset:1824
	v_fma_f64 v[134:135], v[134:135], v[178:179], -v[150:151]
	s_wait_loadcnt_dscnt 0x201
	v_mul_f64_e32 v[146:147], v[4:5], v[164:165]
	v_mul_f64_e32 v[156:157], v[6:7], v[164:165]
	v_add_f64_e32 v[136:137], v[154:155], v[152:153]
	v_add_f64_e32 v[142:143], v[142:143], v[144:145]
	s_wait_loadcnt_dscnt 0x100
	v_mul_f64_e32 v[144:145], v[138:139], v[12:13]
	v_mul_f64_e32 v[12:13], v[140:141], v[12:13]
	v_fmac_f64_e32 v[146:147], v[6:7], v[162:163]
	v_fma_f64 v[150:151], v[4:5], v[162:163], -v[156:157]
	ds_load_b128 v[4:7], v2 offset:1840
	v_add_f64_e32 v[134:135], v[136:137], v[134:135]
	v_add_f64_e32 v[136:137], v[142:143], v[148:149]
	v_fmac_f64_e32 v[144:145], v[140:141], v[10:11]
	v_fma_f64 v[10:11], v[138:139], v[10:11], -v[12:13]
	s_wait_loadcnt_dscnt 0x0
	v_mul_f64_e32 v[142:143], v[4:5], v[132:133]
	v_mul_f64_e32 v[132:133], v[6:7], v[132:133]
	v_add_f64_e32 v[12:13], v[134:135], v[150:151]
	v_add_f64_e32 v[134:135], v[136:137], v[146:147]
	s_delay_alu instid0(VALU_DEP_4) | instskip(NEXT) | instid1(VALU_DEP_4)
	v_fmac_f64_e32 v[142:143], v[6:7], v[130:131]
	v_fma_f64 v[4:5], v[4:5], v[130:131], -v[132:133]
	s_delay_alu instid0(VALU_DEP_4) | instskip(NEXT) | instid1(VALU_DEP_4)
	v_add_f64_e32 v[6:7], v[12:13], v[10:11]
	v_add_f64_e32 v[10:11], v[134:135], v[144:145]
	s_delay_alu instid0(VALU_DEP_2) | instskip(NEXT) | instid1(VALU_DEP_2)
	v_add_f64_e32 v[4:5], v[6:7], v[4:5]
	v_add_f64_e32 v[6:7], v[10:11], v[142:143]
	s_delay_alu instid0(VALU_DEP_2) | instskip(NEXT) | instid1(VALU_DEP_2)
	v_add_f64_e64 v[4:5], v[170:171], -v[4:5]
	v_add_f64_e64 v[6:7], v[172:173], -v[6:7]
	scratch_store_b128 off, v[4:7], off offset:96
	s_wait_xcnt 0x0
	v_cmpx_lt_u32_e32 5, v1
	s_cbranch_execz .LBB57_351
; %bb.350:
	scratch_load_b128 v[10:13], off, s69
	v_dual_mov_b32 v3, v2 :: v_dual_mov_b32 v4, v2
	v_mov_b32_e32 v5, v2
	scratch_store_b128 off, v[2:5], off offset:80
	s_wait_loadcnt 0x0
	ds_store_b128 v8, v[10:13]
.LBB57_351:
	s_wait_xcnt 0x0
	s_or_b32 exec_lo, exec_lo, s2
	s_wait_storecnt_dscnt 0x0
	s_barrier_signal -1
	s_barrier_wait -1
	s_clause 0x9
	scratch_load_b128 v[4:7], off, off offset:96
	scratch_load_b128 v[10:13], off, off offset:112
	;; [unrolled: 1-line block ×10, first 2 shown]
	ds_load_b128 v[162:165], v2 offset:1024
	ds_load_b128 v[170:173], v2 offset:1040
	s_clause 0x2
	scratch_load_b128 v[166:169], off, off offset:256
	scratch_load_b128 v[174:177], off, off offset:80
	;; [unrolled: 1-line block ×3, first 2 shown]
	s_mov_b32 s2, exec_lo
	s_wait_loadcnt_dscnt 0xc01
	v_mul_f64_e32 v[182:183], v[164:165], v[6:7]
	v_mul_f64_e32 v[186:187], v[162:163], v[6:7]
	s_wait_loadcnt_dscnt 0xb00
	v_mul_f64_e32 v[188:189], v[170:171], v[12:13]
	v_mul_f64_e32 v[12:13], v[172:173], v[12:13]
	s_delay_alu instid0(VALU_DEP_4) | instskip(NEXT) | instid1(VALU_DEP_4)
	v_fma_f64 v[190:191], v[162:163], v[4:5], -v[182:183]
	v_fmac_f64_e32 v[186:187], v[164:165], v[4:5]
	ds_load_b128 v[4:7], v2 offset:1056
	ds_load_b128 v[162:165], v2 offset:1072
	scratch_load_b128 v[182:185], off, off offset:288
	v_fmac_f64_e32 v[188:189], v[172:173], v[10:11]
	v_fma_f64 v[170:171], v[170:171], v[10:11], -v[12:13]
	scratch_load_b128 v[10:13], off, off offset:304
	s_wait_loadcnt_dscnt 0xc01
	v_mul_f64_e32 v[192:193], v[4:5], v[132:133]
	v_mul_f64_e32 v[132:133], v[6:7], v[132:133]
	v_add_f64_e32 v[172:173], 0, v[190:191]
	v_add_f64_e32 v[186:187], 0, v[186:187]
	s_wait_loadcnt_dscnt 0xb00
	v_mul_f64_e32 v[190:191], v[162:163], v[136:137]
	v_mul_f64_e32 v[136:137], v[164:165], v[136:137]
	v_fmac_f64_e32 v[192:193], v[6:7], v[130:131]
	v_fma_f64 v[194:195], v[4:5], v[130:131], -v[132:133]
	ds_load_b128 v[4:7], v2 offset:1088
	ds_load_b128 v[130:133], v2 offset:1104
	v_add_f64_e32 v[196:197], v[172:173], v[170:171]
	v_add_f64_e32 v[186:187], v[186:187], v[188:189]
	scratch_load_b128 v[170:173], off, off offset:320
	v_fmac_f64_e32 v[190:191], v[164:165], v[134:135]
	v_fma_f64 v[162:163], v[162:163], v[134:135], -v[136:137]
	scratch_load_b128 v[134:137], off, off offset:336
	s_wait_loadcnt_dscnt 0xc01
	v_mul_f64_e32 v[188:189], v[4:5], v[140:141]
	v_mul_f64_e32 v[140:141], v[6:7], v[140:141]
	v_add_f64_e32 v[164:165], v[196:197], v[194:195]
	v_add_f64_e32 v[186:187], v[186:187], v[192:193]
	s_wait_loadcnt_dscnt 0xb00
	v_mul_f64_e32 v[192:193], v[130:131], v[144:145]
	v_mul_f64_e32 v[144:145], v[132:133], v[144:145]
	v_fmac_f64_e32 v[188:189], v[6:7], v[138:139]
	v_fma_f64 v[194:195], v[4:5], v[138:139], -v[140:141]
	ds_load_b128 v[4:7], v2 offset:1120
	ds_load_b128 v[138:141], v2 offset:1136
	v_add_f64_e32 v[196:197], v[164:165], v[162:163]
	v_add_f64_e32 v[186:187], v[186:187], v[190:191]
	scratch_load_b128 v[162:165], off, off offset:352
	s_wait_loadcnt_dscnt 0xb01
	v_mul_f64_e32 v[190:191], v[4:5], v[148:149]
	v_mul_f64_e32 v[148:149], v[6:7], v[148:149]
	v_fmac_f64_e32 v[192:193], v[132:133], v[142:143]
	v_fma_f64 v[142:143], v[130:131], v[142:143], -v[144:145]
	scratch_load_b128 v[130:133], off, off offset:368
	v_add_f64_e32 v[144:145], v[196:197], v[194:195]
	v_add_f64_e32 v[186:187], v[186:187], v[188:189]
	s_wait_loadcnt_dscnt 0xb00
	v_mul_f64_e32 v[188:189], v[138:139], v[152:153]
	v_mul_f64_e32 v[152:153], v[140:141], v[152:153]
	v_fmac_f64_e32 v[190:191], v[6:7], v[146:147]
	v_fma_f64 v[194:195], v[4:5], v[146:147], -v[148:149]
	v_add_f64_e32 v[196:197], v[144:145], v[142:143]
	v_add_f64_e32 v[186:187], v[186:187], v[192:193]
	ds_load_b128 v[4:7], v2 offset:1152
	ds_load_b128 v[142:145], v2 offset:1168
	scratch_load_b128 v[146:149], off, off offset:384
	v_fmac_f64_e32 v[188:189], v[140:141], v[150:151]
	v_fma_f64 v[150:151], v[138:139], v[150:151], -v[152:153]
	scratch_load_b128 v[138:141], off, off offset:400
	s_wait_loadcnt_dscnt 0xc01
	v_mul_f64_e32 v[192:193], v[4:5], v[156:157]
	v_mul_f64_e32 v[156:157], v[6:7], v[156:157]
	v_add_f64_e32 v[152:153], v[196:197], v[194:195]
	v_add_f64_e32 v[186:187], v[186:187], v[190:191]
	s_wait_loadcnt_dscnt 0xb00
	v_mul_f64_e32 v[190:191], v[142:143], v[160:161]
	v_mul_f64_e32 v[160:161], v[144:145], v[160:161]
	v_fmac_f64_e32 v[192:193], v[6:7], v[154:155]
	v_fma_f64 v[194:195], v[4:5], v[154:155], -v[156:157]
	v_add_f64_e32 v[196:197], v[152:153], v[150:151]
	v_add_f64_e32 v[186:187], v[186:187], v[188:189]
	ds_load_b128 v[4:7], v2 offset:1184
	ds_load_b128 v[150:153], v2 offset:1200
	scratch_load_b128 v[154:157], off, off offset:416
	v_fmac_f64_e32 v[190:191], v[144:145], v[158:159]
	v_fma_f64 v[158:159], v[142:143], v[158:159], -v[160:161]
	scratch_load_b128 v[142:145], off, off offset:432
	s_wait_loadcnt_dscnt 0xc01
	v_mul_f64_e32 v[188:189], v[4:5], v[168:169]
	v_mul_f64_e32 v[168:169], v[6:7], v[168:169]
	;; [unrolled: 18-line block ×5, first 2 shown]
	v_add_f64_e32 v[180:181], v[196:197], v[194:195]
	v_add_f64_e32 v[186:187], v[186:187], v[192:193]
	s_wait_loadcnt_dscnt 0xa00
	v_mul_f64_e32 v[192:193], v[158:159], v[132:133]
	v_mul_f64_e32 v[132:133], v[160:161], v[132:133]
	v_fmac_f64_e32 v[188:189], v[6:7], v[162:163]
	v_fma_f64 v[194:195], v[4:5], v[162:163], -v[164:165]
	ds_load_b128 v[4:7], v2 offset:1312
	ds_load_b128 v[162:165], v2 offset:1328
	v_add_f64_e32 v[196:197], v[180:181], v[178:179]
	v_add_f64_e32 v[186:187], v[186:187], v[190:191]
	scratch_load_b128 v[178:181], off, off offset:544
	v_fmac_f64_e32 v[192:193], v[160:161], v[130:131]
	v_fma_f64 v[158:159], v[158:159], v[130:131], -v[132:133]
	scratch_load_b128 v[130:133], off, off offset:560
	s_wait_loadcnt_dscnt 0xb01
	v_mul_f64_e32 v[190:191], v[4:5], v[148:149]
	v_mul_f64_e32 v[148:149], v[6:7], v[148:149]
	v_add_f64_e32 v[160:161], v[196:197], v[194:195]
	v_add_f64_e32 v[186:187], v[186:187], v[188:189]
	s_wait_loadcnt_dscnt 0xa00
	v_mul_f64_e32 v[188:189], v[162:163], v[140:141]
	v_mul_f64_e32 v[140:141], v[164:165], v[140:141]
	v_fmac_f64_e32 v[190:191], v[6:7], v[146:147]
	v_fma_f64 v[194:195], v[4:5], v[146:147], -v[148:149]
	ds_load_b128 v[4:7], v2 offset:1344
	ds_load_b128 v[146:149], v2 offset:1360
	v_add_f64_e32 v[196:197], v[160:161], v[158:159]
	v_add_f64_e32 v[186:187], v[186:187], v[192:193]
	scratch_load_b128 v[158:161], off, off offset:576
	s_wait_loadcnt_dscnt 0xa01
	v_mul_f64_e32 v[192:193], v[4:5], v[156:157]
	v_mul_f64_e32 v[156:157], v[6:7], v[156:157]
	v_fmac_f64_e32 v[188:189], v[164:165], v[138:139]
	v_fma_f64 v[162:163], v[162:163], v[138:139], -v[140:141]
	scratch_load_b128 v[138:141], off, off offset:592
	v_add_f64_e32 v[164:165], v[196:197], v[194:195]
	v_add_f64_e32 v[186:187], v[186:187], v[190:191]
	s_wait_loadcnt_dscnt 0xa00
	v_mul_f64_e32 v[190:191], v[146:147], v[144:145]
	v_mul_f64_e32 v[144:145], v[148:149], v[144:145]
	v_fmac_f64_e32 v[192:193], v[6:7], v[154:155]
	v_fma_f64 v[194:195], v[4:5], v[154:155], -v[156:157]
	ds_load_b128 v[4:7], v2 offset:1376
	ds_load_b128 v[154:157], v2 offset:1392
	v_add_f64_e32 v[196:197], v[164:165], v[162:163]
	v_add_f64_e32 v[186:187], v[186:187], v[188:189]
	scratch_load_b128 v[162:165], off, off offset:608
	s_wait_loadcnt_dscnt 0xa01
	v_mul_f64_e32 v[188:189], v[4:5], v[168:169]
	v_mul_f64_e32 v[168:169], v[6:7], v[168:169]
	v_fmac_f64_e32 v[190:191], v[148:149], v[142:143]
	v_fma_f64 v[146:147], v[146:147], v[142:143], -v[144:145]
	scratch_load_b128 v[142:145], off, off offset:624
	v_add_f64_e32 v[148:149], v[196:197], v[194:195]
	v_add_f64_e32 v[186:187], v[186:187], v[192:193]
	s_wait_loadcnt_dscnt 0xa00
	v_mul_f64_e32 v[192:193], v[154:155], v[152:153]
	v_mul_f64_e32 v[152:153], v[156:157], v[152:153]
	v_fmac_f64_e32 v[188:189], v[6:7], v[166:167]
	v_fma_f64 v[194:195], v[4:5], v[166:167], -v[168:169]
	v_add_f64_e32 v[196:197], v[148:149], v[146:147]
	v_add_f64_e32 v[186:187], v[186:187], v[190:191]
	ds_load_b128 v[4:7], v2 offset:1408
	ds_load_b128 v[146:149], v2 offset:1424
	scratch_load_b128 v[166:169], off, off offset:640
	v_fmac_f64_e32 v[192:193], v[156:157], v[150:151]
	v_fma_f64 v[154:155], v[154:155], v[150:151], -v[152:153]
	scratch_load_b128 v[150:153], off, off offset:656
	s_wait_loadcnt_dscnt 0xb01
	v_mul_f64_e32 v[190:191], v[4:5], v[184:185]
	v_mul_f64_e32 v[184:185], v[6:7], v[184:185]
	v_add_f64_e32 v[156:157], v[196:197], v[194:195]
	v_add_f64_e32 v[186:187], v[186:187], v[188:189]
	s_wait_loadcnt_dscnt 0xa00
	v_mul_f64_e32 v[188:189], v[146:147], v[12:13]
	v_mul_f64_e32 v[12:13], v[148:149], v[12:13]
	v_fmac_f64_e32 v[190:191], v[6:7], v[182:183]
	v_fma_f64 v[194:195], v[4:5], v[182:183], -v[184:185]
	v_add_f64_e32 v[196:197], v[156:157], v[154:155]
	v_add_f64_e32 v[186:187], v[186:187], v[192:193]
	ds_load_b128 v[4:7], v2 offset:1440
	ds_load_b128 v[154:157], v2 offset:1456
	scratch_load_b128 v[182:185], off, off offset:672
	v_fmac_f64_e32 v[188:189], v[148:149], v[10:11]
	v_fma_f64 v[146:147], v[146:147], v[10:11], -v[12:13]
	scratch_load_b128 v[10:13], off, off offset:688
	s_wait_loadcnt_dscnt 0xb01
	v_mul_f64_e32 v[192:193], v[4:5], v[172:173]
	v_mul_f64_e32 v[172:173], v[6:7], v[172:173]
	;; [unrolled: 18-line block ×9, first 2 shown]
	v_add_f64_e32 v[156:157], v[196:197], v[194:195]
	v_add_f64_e32 v[186:187], v[186:187], v[192:193]
	s_wait_loadcnt_dscnt 0xa00
	v_mul_f64_e32 v[192:193], v[146:147], v[132:133]
	v_mul_f64_e32 v[132:133], v[148:149], v[132:133]
	v_fmac_f64_e32 v[188:189], v[6:7], v[178:179]
	v_fma_f64 v[178:179], v[4:5], v[178:179], -v[180:181]
	v_add_f64_e32 v[180:181], v[156:157], v[154:155]
	v_add_f64_e32 v[186:187], v[186:187], v[190:191]
	ds_load_b128 v[4:7], v2 offset:1696
	ds_load_b128 v[154:157], v2 offset:1712
	v_fmac_f64_e32 v[192:193], v[148:149], v[130:131]
	v_fma_f64 v[130:131], v[146:147], v[130:131], -v[132:133]
	s_wait_loadcnt_dscnt 0x901
	v_mul_f64_e32 v[190:191], v[4:5], v[160:161]
	v_mul_f64_e32 v[160:161], v[6:7], v[160:161]
	s_wait_loadcnt_dscnt 0x800
	v_mul_f64_e32 v[148:149], v[154:155], v[140:141]
	v_mul_f64_e32 v[140:141], v[156:157], v[140:141]
	v_add_f64_e32 v[132:133], v[180:181], v[178:179]
	v_add_f64_e32 v[146:147], v[186:187], v[188:189]
	v_fmac_f64_e32 v[190:191], v[6:7], v[158:159]
	v_fma_f64 v[158:159], v[4:5], v[158:159], -v[160:161]
	v_fmac_f64_e32 v[148:149], v[156:157], v[138:139]
	v_fma_f64 v[138:139], v[154:155], v[138:139], -v[140:141]
	v_add_f64_e32 v[160:161], v[132:133], v[130:131]
	v_add_f64_e32 v[146:147], v[146:147], v[192:193]
	ds_load_b128 v[4:7], v2 offset:1728
	ds_load_b128 v[130:133], v2 offset:1744
	s_wait_loadcnt_dscnt 0x701
	v_mul_f64_e32 v[178:179], v[4:5], v[164:165]
	v_mul_f64_e32 v[164:165], v[6:7], v[164:165]
	s_wait_loadcnt_dscnt 0x600
	v_mul_f64_e32 v[154:155], v[130:131], v[144:145]
	v_mul_f64_e32 v[144:145], v[132:133], v[144:145]
	v_add_f64_e32 v[140:141], v[160:161], v[158:159]
	v_add_f64_e32 v[146:147], v[146:147], v[190:191]
	v_fmac_f64_e32 v[178:179], v[6:7], v[162:163]
	v_fma_f64 v[156:157], v[4:5], v[162:163], -v[164:165]
	v_fmac_f64_e32 v[154:155], v[132:133], v[142:143]
	v_fma_f64 v[130:131], v[130:131], v[142:143], -v[144:145]
	v_add_f64_e32 v[158:159], v[140:141], v[138:139]
	v_add_f64_e32 v[146:147], v[146:147], v[148:149]
	ds_load_b128 v[4:7], v2 offset:1760
	ds_load_b128 v[138:141], v2 offset:1776
	s_wait_loadcnt_dscnt 0x501
	v_mul_f64_e32 v[148:149], v[4:5], v[168:169]
	v_mul_f64_e32 v[160:161], v[6:7], v[168:169]
	s_wait_loadcnt_dscnt 0x400
	v_mul_f64_e32 v[144:145], v[138:139], v[152:153]
	v_add_f64_e32 v[132:133], v[158:159], v[156:157]
	v_add_f64_e32 v[142:143], v[146:147], v[178:179]
	v_mul_f64_e32 v[146:147], v[140:141], v[152:153]
	v_fmac_f64_e32 v[148:149], v[6:7], v[166:167]
	v_fma_f64 v[152:153], v[4:5], v[166:167], -v[160:161]
	v_fmac_f64_e32 v[144:145], v[140:141], v[150:151]
	v_add_f64_e32 v[156:157], v[132:133], v[130:131]
	v_add_f64_e32 v[142:143], v[142:143], v[154:155]
	ds_load_b128 v[4:7], v2 offset:1792
	ds_load_b128 v[130:133], v2 offset:1808
	v_fma_f64 v[138:139], v[138:139], v[150:151], -v[146:147]
	s_wait_loadcnt_dscnt 0x301
	v_mul_f64_e32 v[154:155], v[4:5], v[184:185]
	v_mul_f64_e32 v[158:159], v[6:7], v[184:185]
	s_wait_loadcnt_dscnt 0x200
	v_mul_f64_e32 v[146:147], v[130:131], v[12:13]
	v_mul_f64_e32 v[12:13], v[132:133], v[12:13]
	v_add_f64_e32 v[140:141], v[156:157], v[152:153]
	v_add_f64_e32 v[142:143], v[142:143], v[148:149]
	v_fmac_f64_e32 v[154:155], v[6:7], v[182:183]
	v_fma_f64 v[148:149], v[4:5], v[182:183], -v[158:159]
	v_fmac_f64_e32 v[146:147], v[132:133], v[10:11]
	v_fma_f64 v[10:11], v[130:131], v[10:11], -v[12:13]
	v_add_f64_e32 v[150:151], v[140:141], v[138:139]
	v_add_f64_e32 v[142:143], v[142:143], v[144:145]
	ds_load_b128 v[4:7], v2 offset:1824
	ds_load_b128 v[138:141], v2 offset:1840
	s_wait_loadcnt_dscnt 0x101
	v_mul_f64_e32 v[2:3], v[4:5], v[172:173]
	v_mul_f64_e32 v[144:145], v[6:7], v[172:173]
	s_wait_loadcnt_dscnt 0x0
	v_mul_f64_e32 v[132:133], v[138:139], v[136:137]
	v_mul_f64_e32 v[136:137], v[140:141], v[136:137]
	v_add_f64_e32 v[12:13], v[150:151], v[148:149]
	v_add_f64_e32 v[130:131], v[142:143], v[154:155]
	v_fmac_f64_e32 v[2:3], v[6:7], v[170:171]
	v_fma_f64 v[4:5], v[4:5], v[170:171], -v[144:145]
	v_fmac_f64_e32 v[132:133], v[140:141], v[134:135]
	v_add_f64_e32 v[6:7], v[12:13], v[10:11]
	v_add_f64_e32 v[10:11], v[130:131], v[146:147]
	v_fma_f64 v[12:13], v[138:139], v[134:135], -v[136:137]
	s_delay_alu instid0(VALU_DEP_3) | instskip(NEXT) | instid1(VALU_DEP_3)
	v_add_f64_e32 v[4:5], v[6:7], v[4:5]
	v_add_f64_e32 v[2:3], v[10:11], v[2:3]
	s_delay_alu instid0(VALU_DEP_2) | instskip(NEXT) | instid1(VALU_DEP_2)
	v_add_f64_e32 v[4:5], v[4:5], v[12:13]
	v_add_f64_e32 v[6:7], v[2:3], v[132:133]
	s_delay_alu instid0(VALU_DEP_2) | instskip(NEXT) | instid1(VALU_DEP_2)
	v_add_f64_e64 v[2:3], v[174:175], -v[4:5]
	v_add_f64_e64 v[4:5], v[176:177], -v[6:7]
	scratch_store_b128 off, v[2:5], off offset:80
	s_wait_xcnt 0x0
	v_cmpx_lt_u32_e32 4, v1
	s_cbranch_execz .LBB57_353
; %bb.352:
	scratch_load_b128 v[2:5], off, s49
	v_mov_b32_e32 v10, 0
	s_delay_alu instid0(VALU_DEP_1)
	v_dual_mov_b32 v11, v10 :: v_dual_mov_b32 v12, v10
	v_mov_b32_e32 v13, v10
	scratch_store_b128 off, v[10:13], off offset:64
	s_wait_loadcnt 0x0
	ds_store_b128 v8, v[2:5]
.LBB57_353:
	s_wait_xcnt 0x0
	s_or_b32 exec_lo, exec_lo, s2
	s_wait_storecnt_dscnt 0x0
	s_barrier_signal -1
	s_barrier_wait -1
	s_clause 0x9
	scratch_load_b128 v[4:7], off, off offset:80
	scratch_load_b128 v[10:13], off, off offset:96
	;; [unrolled: 1-line block ×10, first 2 shown]
	v_mov_b32_e32 v2, 0
	s_mov_b32 s2, exec_lo
	ds_load_b128 v[162:165], v2 offset:1008
	s_clause 0x2
	scratch_load_b128 v[166:169], off, off offset:240
	scratch_load_b128 v[170:173], off, off offset:64
	;; [unrolled: 1-line block ×3, first 2 shown]
	s_wait_loadcnt_dscnt 0xc00
	v_mul_f64_e32 v[182:183], v[164:165], v[6:7]
	v_mul_f64_e32 v[186:187], v[162:163], v[6:7]
	ds_load_b128 v[174:177], v2 offset:1024
	v_fma_f64 v[190:191], v[162:163], v[4:5], -v[182:183]
	v_fmac_f64_e32 v[186:187], v[164:165], v[4:5]
	ds_load_b128 v[4:7], v2 offset:1040
	s_wait_loadcnt_dscnt 0xb01
	v_mul_f64_e32 v[188:189], v[174:175], v[12:13]
	v_mul_f64_e32 v[12:13], v[176:177], v[12:13]
	scratch_load_b128 v[162:165], off, off offset:272
	ds_load_b128 v[182:185], v2 offset:1056
	s_wait_loadcnt_dscnt 0xb01
	v_mul_f64_e32 v[192:193], v[4:5], v[132:133]
	v_mul_f64_e32 v[132:133], v[6:7], v[132:133]
	v_add_f64_e32 v[186:187], 0, v[186:187]
	v_fmac_f64_e32 v[188:189], v[176:177], v[10:11]
	v_fma_f64 v[174:175], v[174:175], v[10:11], -v[12:13]
	v_add_f64_e32 v[176:177], 0, v[190:191]
	scratch_load_b128 v[10:13], off, off offset:288
	v_fmac_f64_e32 v[192:193], v[6:7], v[130:131]
	v_fma_f64 v[194:195], v[4:5], v[130:131], -v[132:133]
	ds_load_b128 v[4:7], v2 offset:1072
	s_wait_loadcnt_dscnt 0xb01
	v_mul_f64_e32 v[190:191], v[182:183], v[136:137]
	v_mul_f64_e32 v[136:137], v[184:185], v[136:137]
	scratch_load_b128 v[130:133], off, off offset:304
	v_add_f64_e32 v[186:187], v[186:187], v[188:189]
	v_add_f64_e32 v[196:197], v[176:177], v[174:175]
	ds_load_b128 v[174:177], v2 offset:1088
	s_wait_loadcnt_dscnt 0xb01
	v_mul_f64_e32 v[188:189], v[4:5], v[140:141]
	v_mul_f64_e32 v[140:141], v[6:7], v[140:141]
	v_fmac_f64_e32 v[190:191], v[184:185], v[134:135]
	v_fma_f64 v[182:183], v[182:183], v[134:135], -v[136:137]
	scratch_load_b128 v[134:137], off, off offset:320
	v_add_f64_e32 v[186:187], v[186:187], v[192:193]
	v_add_f64_e32 v[184:185], v[196:197], v[194:195]
	v_fmac_f64_e32 v[188:189], v[6:7], v[138:139]
	v_fma_f64 v[194:195], v[4:5], v[138:139], -v[140:141]
	ds_load_b128 v[4:7], v2 offset:1104
	s_wait_loadcnt_dscnt 0xb01
	v_mul_f64_e32 v[192:193], v[174:175], v[144:145]
	v_mul_f64_e32 v[144:145], v[176:177], v[144:145]
	scratch_load_b128 v[138:141], off, off offset:336
	v_add_f64_e32 v[186:187], v[186:187], v[190:191]
	s_wait_loadcnt_dscnt 0xb00
	v_mul_f64_e32 v[190:191], v[4:5], v[148:149]
	v_add_f64_e32 v[196:197], v[184:185], v[182:183]
	v_mul_f64_e32 v[148:149], v[6:7], v[148:149]
	ds_load_b128 v[182:185], v2 offset:1120
	v_fmac_f64_e32 v[192:193], v[176:177], v[142:143]
	v_fma_f64 v[174:175], v[174:175], v[142:143], -v[144:145]
	scratch_load_b128 v[142:145], off, off offset:352
	v_add_f64_e32 v[186:187], v[186:187], v[188:189]
	v_fmac_f64_e32 v[190:191], v[6:7], v[146:147]
	v_add_f64_e32 v[176:177], v[196:197], v[194:195]
	v_fma_f64 v[194:195], v[4:5], v[146:147], -v[148:149]
	ds_load_b128 v[4:7], v2 offset:1136
	s_wait_loadcnt_dscnt 0xb01
	v_mul_f64_e32 v[188:189], v[182:183], v[152:153]
	v_mul_f64_e32 v[152:153], v[184:185], v[152:153]
	scratch_load_b128 v[146:149], off, off offset:368
	v_add_f64_e32 v[186:187], v[186:187], v[192:193]
	s_wait_loadcnt_dscnt 0xb00
	v_mul_f64_e32 v[192:193], v[4:5], v[156:157]
	v_add_f64_e32 v[196:197], v[176:177], v[174:175]
	v_mul_f64_e32 v[156:157], v[6:7], v[156:157]
	ds_load_b128 v[174:177], v2 offset:1152
	v_fmac_f64_e32 v[188:189], v[184:185], v[150:151]
	v_fma_f64 v[182:183], v[182:183], v[150:151], -v[152:153]
	scratch_load_b128 v[150:153], off, off offset:384
	v_add_f64_e32 v[186:187], v[186:187], v[190:191]
	v_fmac_f64_e32 v[192:193], v[6:7], v[154:155]
	v_add_f64_e32 v[184:185], v[196:197], v[194:195]
	;; [unrolled: 18-line block ×3, first 2 shown]
	v_fma_f64 v[194:195], v[4:5], v[166:167], -v[168:169]
	ds_load_b128 v[4:7], v2 offset:1200
	s_wait_loadcnt_dscnt 0xa01
	v_mul_f64_e32 v[192:193], v[182:183], v[180:181]
	v_mul_f64_e32 v[180:181], v[184:185], v[180:181]
	scratch_load_b128 v[166:169], off, off offset:432
	v_add_f64_e32 v[186:187], v[186:187], v[190:191]
	v_add_f64_e32 v[196:197], v[176:177], v[174:175]
	s_wait_loadcnt_dscnt 0xa00
	v_mul_f64_e32 v[190:191], v[4:5], v[164:165]
	v_mul_f64_e32 v[164:165], v[6:7], v[164:165]
	v_fmac_f64_e32 v[192:193], v[184:185], v[178:179]
	v_fma_f64 v[182:183], v[182:183], v[178:179], -v[180:181]
	ds_load_b128 v[174:177], v2 offset:1216
	scratch_load_b128 v[178:181], off, off offset:448
	v_add_f64_e32 v[186:187], v[186:187], v[188:189]
	v_add_f64_e32 v[184:185], v[196:197], v[194:195]
	v_fmac_f64_e32 v[190:191], v[6:7], v[162:163]
	v_fma_f64 v[194:195], v[4:5], v[162:163], -v[164:165]
	ds_load_b128 v[4:7], v2 offset:1232
	s_wait_loadcnt_dscnt 0xa01
	v_mul_f64_e32 v[188:189], v[174:175], v[12:13]
	v_mul_f64_e32 v[12:13], v[176:177], v[12:13]
	scratch_load_b128 v[162:165], off, off offset:464
	v_add_f64_e32 v[186:187], v[186:187], v[192:193]
	s_wait_loadcnt_dscnt 0xa00
	v_mul_f64_e32 v[192:193], v[4:5], v[132:133]
	v_add_f64_e32 v[196:197], v[184:185], v[182:183]
	v_mul_f64_e32 v[132:133], v[6:7], v[132:133]
	ds_load_b128 v[182:185], v2 offset:1248
	v_fmac_f64_e32 v[188:189], v[176:177], v[10:11]
	v_fma_f64 v[174:175], v[174:175], v[10:11], -v[12:13]
	scratch_load_b128 v[10:13], off, off offset:480
	v_add_f64_e32 v[186:187], v[186:187], v[190:191]
	v_fmac_f64_e32 v[192:193], v[6:7], v[130:131]
	v_add_f64_e32 v[176:177], v[196:197], v[194:195]
	v_fma_f64 v[194:195], v[4:5], v[130:131], -v[132:133]
	ds_load_b128 v[4:7], v2 offset:1264
	s_wait_loadcnt_dscnt 0xa01
	v_mul_f64_e32 v[190:191], v[182:183], v[136:137]
	v_mul_f64_e32 v[136:137], v[184:185], v[136:137]
	scratch_load_b128 v[130:133], off, off offset:496
	v_add_f64_e32 v[186:187], v[186:187], v[188:189]
	s_wait_loadcnt_dscnt 0xa00
	v_mul_f64_e32 v[188:189], v[4:5], v[140:141]
	v_add_f64_e32 v[196:197], v[176:177], v[174:175]
	v_mul_f64_e32 v[140:141], v[6:7], v[140:141]
	ds_load_b128 v[174:177], v2 offset:1280
	v_fmac_f64_e32 v[190:191], v[184:185], v[134:135]
	v_fma_f64 v[182:183], v[182:183], v[134:135], -v[136:137]
	scratch_load_b128 v[134:137], off, off offset:512
	v_add_f64_e32 v[186:187], v[186:187], v[192:193]
	v_fmac_f64_e32 v[188:189], v[6:7], v[138:139]
	v_add_f64_e32 v[184:185], v[196:197], v[194:195]
	;; [unrolled: 18-line block ×14, first 2 shown]
	v_fma_f64 v[194:195], v[4:5], v[138:139], -v[140:141]
	ds_load_b128 v[4:7], v2 offset:1680
	s_wait_loadcnt_dscnt 0xa01
	v_mul_f64_e32 v[192:193], v[174:175], v[144:145]
	v_mul_f64_e32 v[144:145], v[176:177], v[144:145]
	scratch_load_b128 v[138:141], off, off offset:912
	v_add_f64_e32 v[186:187], v[186:187], v[190:191]
	s_wait_loadcnt_dscnt 0xa00
	v_mul_f64_e32 v[190:191], v[4:5], v[148:149]
	v_add_f64_e32 v[196:197], v[184:185], v[182:183]
	v_mul_f64_e32 v[148:149], v[6:7], v[148:149]
	ds_load_b128 v[182:185], v2 offset:1696
	v_fmac_f64_e32 v[192:193], v[176:177], v[142:143]
	v_fma_f64 v[142:143], v[174:175], v[142:143], -v[144:145]
	s_wait_loadcnt_dscnt 0x900
	v_mul_f64_e32 v[176:177], v[182:183], v[152:153]
	v_mul_f64_e32 v[152:153], v[184:185], v[152:153]
	v_add_f64_e32 v[174:175], v[186:187], v[188:189]
	v_fmac_f64_e32 v[190:191], v[6:7], v[146:147]
	v_add_f64_e32 v[144:145], v[196:197], v[194:195]
	v_fma_f64 v[146:147], v[4:5], v[146:147], -v[148:149]
	v_fmac_f64_e32 v[176:177], v[184:185], v[150:151]
	v_fma_f64 v[150:151], v[182:183], v[150:151], -v[152:153]
	v_add_f64_e32 v[174:175], v[174:175], v[192:193]
	v_add_f64_e32 v[148:149], v[144:145], v[142:143]
	ds_load_b128 v[4:7], v2 offset:1712
	ds_load_b128 v[142:145], v2 offset:1728
	s_wait_loadcnt_dscnt 0x801
	v_mul_f64_e32 v[186:187], v[4:5], v[156:157]
	v_mul_f64_e32 v[156:157], v[6:7], v[156:157]
	s_wait_loadcnt_dscnt 0x700
	v_mul_f64_e32 v[152:153], v[142:143], v[160:161]
	v_mul_f64_e32 v[160:161], v[144:145], v[160:161]
	v_add_f64_e32 v[146:147], v[148:149], v[146:147]
	v_add_f64_e32 v[148:149], v[174:175], v[190:191]
	v_fmac_f64_e32 v[186:187], v[6:7], v[154:155]
	v_fma_f64 v[154:155], v[4:5], v[154:155], -v[156:157]
	v_fmac_f64_e32 v[152:153], v[144:145], v[158:159]
	v_fma_f64 v[142:143], v[142:143], v[158:159], -v[160:161]
	v_add_f64_e32 v[150:151], v[146:147], v[150:151]
	v_add_f64_e32 v[156:157], v[148:149], v[176:177]
	ds_load_b128 v[4:7], v2 offset:1744
	ds_load_b128 v[146:149], v2 offset:1760
	s_wait_loadcnt_dscnt 0x601
	v_mul_f64_e32 v[174:175], v[4:5], v[168:169]
	v_mul_f64_e32 v[168:169], v[6:7], v[168:169]
	v_add_f64_e32 v[144:145], v[150:151], v[154:155]
	v_add_f64_e32 v[150:151], v[156:157], v[186:187]
	s_wait_loadcnt_dscnt 0x500
	v_mul_f64_e32 v[154:155], v[146:147], v[180:181]
	v_mul_f64_e32 v[156:157], v[148:149], v[180:181]
	v_fmac_f64_e32 v[174:175], v[6:7], v[166:167]
	v_fma_f64 v[158:159], v[4:5], v[166:167], -v[168:169]
	v_add_f64_e32 v[160:161], v[144:145], v[142:143]
	v_add_f64_e32 v[150:151], v[150:151], v[152:153]
	ds_load_b128 v[4:7], v2 offset:1776
	ds_load_b128 v[142:145], v2 offset:1792
	v_fmac_f64_e32 v[154:155], v[148:149], v[178:179]
	v_fma_f64 v[146:147], v[146:147], v[178:179], -v[156:157]
	s_wait_loadcnt_dscnt 0x401
	v_mul_f64_e32 v[152:153], v[4:5], v[164:165]
	v_mul_f64_e32 v[164:165], v[6:7], v[164:165]
	s_wait_loadcnt_dscnt 0x300
	v_mul_f64_e32 v[156:157], v[142:143], v[12:13]
	v_mul_f64_e32 v[12:13], v[144:145], v[12:13]
	v_add_f64_e32 v[148:149], v[160:161], v[158:159]
	v_add_f64_e32 v[150:151], v[150:151], v[174:175]
	v_fmac_f64_e32 v[152:153], v[6:7], v[162:163]
	v_fma_f64 v[158:159], v[4:5], v[162:163], -v[164:165]
	v_fmac_f64_e32 v[156:157], v[144:145], v[10:11]
	v_fma_f64 v[10:11], v[142:143], v[10:11], -v[12:13]
	v_add_f64_e32 v[160:161], v[148:149], v[146:147]
	v_add_f64_e32 v[150:151], v[150:151], v[154:155]
	ds_load_b128 v[4:7], v2 offset:1808
	ds_load_b128 v[146:149], v2 offset:1824
	s_wait_loadcnt_dscnt 0x201
	v_mul_f64_e32 v[154:155], v[4:5], v[132:133]
	v_mul_f64_e32 v[132:133], v[6:7], v[132:133]
	s_wait_loadcnt_dscnt 0x100
	v_mul_f64_e32 v[144:145], v[146:147], v[136:137]
	v_mul_f64_e32 v[136:137], v[148:149], v[136:137]
	v_add_f64_e32 v[12:13], v[160:161], v[158:159]
	v_add_f64_e32 v[142:143], v[150:151], v[152:153]
	v_fmac_f64_e32 v[154:155], v[6:7], v[130:131]
	v_fma_f64 v[130:131], v[4:5], v[130:131], -v[132:133]
	ds_load_b128 v[4:7], v2 offset:1840
	v_fmac_f64_e32 v[144:145], v[148:149], v[134:135]
	v_fma_f64 v[134:135], v[146:147], v[134:135], -v[136:137]
	v_add_f64_e32 v[10:11], v[12:13], v[10:11]
	v_add_f64_e32 v[12:13], v[142:143], v[156:157]
	s_wait_loadcnt_dscnt 0x0
	v_mul_f64_e32 v[132:133], v[4:5], v[140:141]
	v_mul_f64_e32 v[140:141], v[6:7], v[140:141]
	s_delay_alu instid0(VALU_DEP_4) | instskip(NEXT) | instid1(VALU_DEP_4)
	v_add_f64_e32 v[10:11], v[10:11], v[130:131]
	v_add_f64_e32 v[12:13], v[12:13], v[154:155]
	s_delay_alu instid0(VALU_DEP_4) | instskip(NEXT) | instid1(VALU_DEP_4)
	v_fmac_f64_e32 v[132:133], v[6:7], v[138:139]
	v_fma_f64 v[4:5], v[4:5], v[138:139], -v[140:141]
	s_delay_alu instid0(VALU_DEP_4) | instskip(NEXT) | instid1(VALU_DEP_4)
	v_add_f64_e32 v[6:7], v[10:11], v[134:135]
	v_add_f64_e32 v[10:11], v[12:13], v[144:145]
	s_delay_alu instid0(VALU_DEP_2) | instskip(NEXT) | instid1(VALU_DEP_2)
	v_add_f64_e32 v[4:5], v[6:7], v[4:5]
	v_add_f64_e32 v[6:7], v[10:11], v[132:133]
	s_delay_alu instid0(VALU_DEP_2) | instskip(NEXT) | instid1(VALU_DEP_2)
	v_add_f64_e64 v[4:5], v[170:171], -v[4:5]
	v_add_f64_e64 v[6:7], v[172:173], -v[6:7]
	scratch_store_b128 off, v[4:7], off offset:64
	s_wait_xcnt 0x0
	v_cmpx_lt_u32_e32 3, v1
	s_cbranch_execz .LBB57_355
; %bb.354:
	scratch_load_b128 v[10:13], off, s50
	v_dual_mov_b32 v3, v2 :: v_dual_mov_b32 v4, v2
	v_mov_b32_e32 v5, v2
	scratch_store_b128 off, v[2:5], off offset:48
	s_wait_loadcnt 0x0
	ds_store_b128 v8, v[10:13]
.LBB57_355:
	s_wait_xcnt 0x0
	s_or_b32 exec_lo, exec_lo, s2
	s_wait_storecnt_dscnt 0x0
	s_barrier_signal -1
	s_barrier_wait -1
	s_clause 0x9
	scratch_load_b128 v[4:7], off, off offset:64
	scratch_load_b128 v[10:13], off, off offset:80
	;; [unrolled: 1-line block ×10, first 2 shown]
	ds_load_b128 v[162:165], v2 offset:992
	ds_load_b128 v[170:173], v2 offset:1008
	s_clause 0x2
	scratch_load_b128 v[166:169], off, off offset:224
	scratch_load_b128 v[174:177], off, off offset:48
	;; [unrolled: 1-line block ×3, first 2 shown]
	s_mov_b32 s2, exec_lo
	s_wait_loadcnt_dscnt 0xc01
	v_mul_f64_e32 v[182:183], v[164:165], v[6:7]
	v_mul_f64_e32 v[186:187], v[162:163], v[6:7]
	s_wait_loadcnt_dscnt 0xb00
	v_mul_f64_e32 v[188:189], v[170:171], v[12:13]
	v_mul_f64_e32 v[12:13], v[172:173], v[12:13]
	s_delay_alu instid0(VALU_DEP_4) | instskip(NEXT) | instid1(VALU_DEP_4)
	v_fma_f64 v[190:191], v[162:163], v[4:5], -v[182:183]
	v_fmac_f64_e32 v[186:187], v[164:165], v[4:5]
	ds_load_b128 v[4:7], v2 offset:1024
	ds_load_b128 v[162:165], v2 offset:1040
	scratch_load_b128 v[182:185], off, off offset:256
	v_fmac_f64_e32 v[188:189], v[172:173], v[10:11]
	v_fma_f64 v[170:171], v[170:171], v[10:11], -v[12:13]
	scratch_load_b128 v[10:13], off, off offset:272
	s_wait_loadcnt_dscnt 0xc01
	v_mul_f64_e32 v[192:193], v[4:5], v[132:133]
	v_mul_f64_e32 v[132:133], v[6:7], v[132:133]
	v_add_f64_e32 v[172:173], 0, v[190:191]
	v_add_f64_e32 v[186:187], 0, v[186:187]
	s_wait_loadcnt_dscnt 0xb00
	v_mul_f64_e32 v[190:191], v[162:163], v[136:137]
	v_mul_f64_e32 v[136:137], v[164:165], v[136:137]
	v_fmac_f64_e32 v[192:193], v[6:7], v[130:131]
	v_fma_f64 v[194:195], v[4:5], v[130:131], -v[132:133]
	ds_load_b128 v[4:7], v2 offset:1056
	ds_load_b128 v[130:133], v2 offset:1072
	v_add_f64_e32 v[196:197], v[172:173], v[170:171]
	v_add_f64_e32 v[186:187], v[186:187], v[188:189]
	scratch_load_b128 v[170:173], off, off offset:288
	v_fmac_f64_e32 v[190:191], v[164:165], v[134:135]
	v_fma_f64 v[162:163], v[162:163], v[134:135], -v[136:137]
	scratch_load_b128 v[134:137], off, off offset:304
	s_wait_loadcnt_dscnt 0xc01
	v_mul_f64_e32 v[188:189], v[4:5], v[140:141]
	v_mul_f64_e32 v[140:141], v[6:7], v[140:141]
	v_add_f64_e32 v[164:165], v[196:197], v[194:195]
	v_add_f64_e32 v[186:187], v[186:187], v[192:193]
	s_wait_loadcnt_dscnt 0xb00
	v_mul_f64_e32 v[192:193], v[130:131], v[144:145]
	v_mul_f64_e32 v[144:145], v[132:133], v[144:145]
	v_fmac_f64_e32 v[188:189], v[6:7], v[138:139]
	v_fma_f64 v[194:195], v[4:5], v[138:139], -v[140:141]
	ds_load_b128 v[4:7], v2 offset:1088
	ds_load_b128 v[138:141], v2 offset:1104
	v_add_f64_e32 v[196:197], v[164:165], v[162:163]
	v_add_f64_e32 v[186:187], v[186:187], v[190:191]
	scratch_load_b128 v[162:165], off, off offset:320
	s_wait_loadcnt_dscnt 0xb01
	v_mul_f64_e32 v[190:191], v[4:5], v[148:149]
	v_mul_f64_e32 v[148:149], v[6:7], v[148:149]
	v_fmac_f64_e32 v[192:193], v[132:133], v[142:143]
	v_fma_f64 v[142:143], v[130:131], v[142:143], -v[144:145]
	scratch_load_b128 v[130:133], off, off offset:336
	v_add_f64_e32 v[144:145], v[196:197], v[194:195]
	v_add_f64_e32 v[186:187], v[186:187], v[188:189]
	s_wait_loadcnt_dscnt 0xb00
	v_mul_f64_e32 v[188:189], v[138:139], v[152:153]
	v_mul_f64_e32 v[152:153], v[140:141], v[152:153]
	v_fmac_f64_e32 v[190:191], v[6:7], v[146:147]
	v_fma_f64 v[194:195], v[4:5], v[146:147], -v[148:149]
	v_add_f64_e32 v[196:197], v[144:145], v[142:143]
	v_add_f64_e32 v[186:187], v[186:187], v[192:193]
	ds_load_b128 v[4:7], v2 offset:1120
	ds_load_b128 v[142:145], v2 offset:1136
	scratch_load_b128 v[146:149], off, off offset:352
	v_fmac_f64_e32 v[188:189], v[140:141], v[150:151]
	v_fma_f64 v[150:151], v[138:139], v[150:151], -v[152:153]
	scratch_load_b128 v[138:141], off, off offset:368
	s_wait_loadcnt_dscnt 0xc01
	v_mul_f64_e32 v[192:193], v[4:5], v[156:157]
	v_mul_f64_e32 v[156:157], v[6:7], v[156:157]
	v_add_f64_e32 v[152:153], v[196:197], v[194:195]
	v_add_f64_e32 v[186:187], v[186:187], v[190:191]
	s_wait_loadcnt_dscnt 0xb00
	v_mul_f64_e32 v[190:191], v[142:143], v[160:161]
	v_mul_f64_e32 v[160:161], v[144:145], v[160:161]
	v_fmac_f64_e32 v[192:193], v[6:7], v[154:155]
	v_fma_f64 v[194:195], v[4:5], v[154:155], -v[156:157]
	v_add_f64_e32 v[196:197], v[152:153], v[150:151]
	v_add_f64_e32 v[186:187], v[186:187], v[188:189]
	ds_load_b128 v[4:7], v2 offset:1152
	ds_load_b128 v[150:153], v2 offset:1168
	scratch_load_b128 v[154:157], off, off offset:384
	v_fmac_f64_e32 v[190:191], v[144:145], v[158:159]
	v_fma_f64 v[158:159], v[142:143], v[158:159], -v[160:161]
	scratch_load_b128 v[142:145], off, off offset:400
	s_wait_loadcnt_dscnt 0xc01
	v_mul_f64_e32 v[188:189], v[4:5], v[168:169]
	v_mul_f64_e32 v[168:169], v[6:7], v[168:169]
	v_add_f64_e32 v[160:161], v[196:197], v[194:195]
	v_add_f64_e32 v[186:187], v[186:187], v[192:193]
	s_wait_loadcnt_dscnt 0xa00
	v_mul_f64_e32 v[192:193], v[150:151], v[180:181]
	v_mul_f64_e32 v[180:181], v[152:153], v[180:181]
	v_fmac_f64_e32 v[188:189], v[6:7], v[166:167]
	v_fma_f64 v[194:195], v[4:5], v[166:167], -v[168:169]
	v_add_f64_e32 v[196:197], v[160:161], v[158:159]
	v_add_f64_e32 v[186:187], v[186:187], v[190:191]
	ds_load_b128 v[4:7], v2 offset:1184
	ds_load_b128 v[158:161], v2 offset:1200
	scratch_load_b128 v[166:169], off, off offset:416
	v_fmac_f64_e32 v[192:193], v[152:153], v[178:179]
	v_fma_f64 v[178:179], v[150:151], v[178:179], -v[180:181]
	scratch_load_b128 v[150:153], off, off offset:432
	s_wait_loadcnt_dscnt 0xb01
	v_mul_f64_e32 v[190:191], v[4:5], v[184:185]
	v_mul_f64_e32 v[184:185], v[6:7], v[184:185]
	v_add_f64_e32 v[180:181], v[196:197], v[194:195]
	v_add_f64_e32 v[186:187], v[186:187], v[188:189]
	s_wait_loadcnt_dscnt 0xa00
	v_mul_f64_e32 v[188:189], v[158:159], v[12:13]
	v_mul_f64_e32 v[12:13], v[160:161], v[12:13]
	v_fmac_f64_e32 v[190:191], v[6:7], v[182:183]
	v_fma_f64 v[194:195], v[4:5], v[182:183], -v[184:185]
	v_add_f64_e32 v[196:197], v[180:181], v[178:179]
	v_add_f64_e32 v[186:187], v[186:187], v[192:193]
	ds_load_b128 v[4:7], v2 offset:1216
	ds_load_b128 v[178:181], v2 offset:1232
	scratch_load_b128 v[182:185], off, off offset:448
	v_fmac_f64_e32 v[188:189], v[160:161], v[10:11]
	v_fma_f64 v[158:159], v[158:159], v[10:11], -v[12:13]
	scratch_load_b128 v[10:13], off, off offset:464
	s_wait_loadcnt_dscnt 0xb01
	v_mul_f64_e32 v[192:193], v[4:5], v[172:173]
	v_mul_f64_e32 v[172:173], v[6:7], v[172:173]
	v_add_f64_e32 v[160:161], v[196:197], v[194:195]
	v_add_f64_e32 v[186:187], v[186:187], v[190:191]
	s_wait_loadcnt_dscnt 0xa00
	v_mul_f64_e32 v[190:191], v[178:179], v[136:137]
	v_mul_f64_e32 v[136:137], v[180:181], v[136:137]
	v_fmac_f64_e32 v[192:193], v[6:7], v[170:171]
	v_fma_f64 v[194:195], v[4:5], v[170:171], -v[172:173]
	v_add_f64_e32 v[196:197], v[160:161], v[158:159]
	v_add_f64_e32 v[186:187], v[186:187], v[188:189]
	ds_load_b128 v[4:7], v2 offset:1248
	ds_load_b128 v[158:161], v2 offset:1264
	scratch_load_b128 v[170:173], off, off offset:480
	v_fmac_f64_e32 v[190:191], v[180:181], v[134:135]
	v_fma_f64 v[178:179], v[178:179], v[134:135], -v[136:137]
	scratch_load_b128 v[134:137], off, off offset:496
	s_wait_loadcnt_dscnt 0xb01
	v_mul_f64_e32 v[188:189], v[4:5], v[164:165]
	v_mul_f64_e32 v[164:165], v[6:7], v[164:165]
	v_add_f64_e32 v[180:181], v[196:197], v[194:195]
	v_add_f64_e32 v[186:187], v[186:187], v[192:193]
	s_wait_loadcnt_dscnt 0xa00
	v_mul_f64_e32 v[192:193], v[158:159], v[132:133]
	v_mul_f64_e32 v[132:133], v[160:161], v[132:133]
	v_fmac_f64_e32 v[188:189], v[6:7], v[162:163]
	v_fma_f64 v[194:195], v[4:5], v[162:163], -v[164:165]
	ds_load_b128 v[4:7], v2 offset:1280
	ds_load_b128 v[162:165], v2 offset:1296
	v_add_f64_e32 v[196:197], v[180:181], v[178:179]
	v_add_f64_e32 v[186:187], v[186:187], v[190:191]
	scratch_load_b128 v[178:181], off, off offset:512
	v_fmac_f64_e32 v[192:193], v[160:161], v[130:131]
	v_fma_f64 v[158:159], v[158:159], v[130:131], -v[132:133]
	scratch_load_b128 v[130:133], off, off offset:528
	s_wait_loadcnt_dscnt 0xb01
	v_mul_f64_e32 v[190:191], v[4:5], v[148:149]
	v_mul_f64_e32 v[148:149], v[6:7], v[148:149]
	v_add_f64_e32 v[160:161], v[196:197], v[194:195]
	v_add_f64_e32 v[186:187], v[186:187], v[188:189]
	s_wait_loadcnt_dscnt 0xa00
	v_mul_f64_e32 v[188:189], v[162:163], v[140:141]
	v_mul_f64_e32 v[140:141], v[164:165], v[140:141]
	v_fmac_f64_e32 v[190:191], v[6:7], v[146:147]
	v_fma_f64 v[194:195], v[4:5], v[146:147], -v[148:149]
	ds_load_b128 v[4:7], v2 offset:1312
	ds_load_b128 v[146:149], v2 offset:1328
	v_add_f64_e32 v[196:197], v[160:161], v[158:159]
	v_add_f64_e32 v[186:187], v[186:187], v[192:193]
	scratch_load_b128 v[158:161], off, off offset:544
	s_wait_loadcnt_dscnt 0xa01
	v_mul_f64_e32 v[192:193], v[4:5], v[156:157]
	v_mul_f64_e32 v[156:157], v[6:7], v[156:157]
	v_fmac_f64_e32 v[188:189], v[164:165], v[138:139]
	v_fma_f64 v[162:163], v[162:163], v[138:139], -v[140:141]
	scratch_load_b128 v[138:141], off, off offset:560
	v_add_f64_e32 v[164:165], v[196:197], v[194:195]
	v_add_f64_e32 v[186:187], v[186:187], v[190:191]
	s_wait_loadcnt_dscnt 0xa00
	v_mul_f64_e32 v[190:191], v[146:147], v[144:145]
	v_mul_f64_e32 v[144:145], v[148:149], v[144:145]
	v_fmac_f64_e32 v[192:193], v[6:7], v[154:155]
	v_fma_f64 v[194:195], v[4:5], v[154:155], -v[156:157]
	ds_load_b128 v[4:7], v2 offset:1344
	ds_load_b128 v[154:157], v2 offset:1360
	v_add_f64_e32 v[196:197], v[164:165], v[162:163]
	v_add_f64_e32 v[186:187], v[186:187], v[188:189]
	scratch_load_b128 v[162:165], off, off offset:576
	s_wait_loadcnt_dscnt 0xa01
	v_mul_f64_e32 v[188:189], v[4:5], v[168:169]
	v_mul_f64_e32 v[168:169], v[6:7], v[168:169]
	v_fmac_f64_e32 v[190:191], v[148:149], v[142:143]
	v_fma_f64 v[146:147], v[146:147], v[142:143], -v[144:145]
	scratch_load_b128 v[142:145], off, off offset:592
	v_add_f64_e32 v[148:149], v[196:197], v[194:195]
	v_add_f64_e32 v[186:187], v[186:187], v[192:193]
	s_wait_loadcnt_dscnt 0xa00
	v_mul_f64_e32 v[192:193], v[154:155], v[152:153]
	v_mul_f64_e32 v[152:153], v[156:157], v[152:153]
	v_fmac_f64_e32 v[188:189], v[6:7], v[166:167]
	v_fma_f64 v[194:195], v[4:5], v[166:167], -v[168:169]
	v_add_f64_e32 v[196:197], v[148:149], v[146:147]
	v_add_f64_e32 v[186:187], v[186:187], v[190:191]
	ds_load_b128 v[4:7], v2 offset:1376
	ds_load_b128 v[146:149], v2 offset:1392
	scratch_load_b128 v[166:169], off, off offset:608
	v_fmac_f64_e32 v[192:193], v[156:157], v[150:151]
	v_fma_f64 v[154:155], v[154:155], v[150:151], -v[152:153]
	scratch_load_b128 v[150:153], off, off offset:624
	s_wait_loadcnt_dscnt 0xb01
	v_mul_f64_e32 v[190:191], v[4:5], v[184:185]
	v_mul_f64_e32 v[184:185], v[6:7], v[184:185]
	v_add_f64_e32 v[156:157], v[196:197], v[194:195]
	v_add_f64_e32 v[186:187], v[186:187], v[188:189]
	s_wait_loadcnt_dscnt 0xa00
	v_mul_f64_e32 v[188:189], v[146:147], v[12:13]
	v_mul_f64_e32 v[12:13], v[148:149], v[12:13]
	v_fmac_f64_e32 v[190:191], v[6:7], v[182:183]
	v_fma_f64 v[194:195], v[4:5], v[182:183], -v[184:185]
	v_add_f64_e32 v[196:197], v[156:157], v[154:155]
	v_add_f64_e32 v[186:187], v[186:187], v[192:193]
	ds_load_b128 v[4:7], v2 offset:1408
	ds_load_b128 v[154:157], v2 offset:1424
	scratch_load_b128 v[182:185], off, off offset:640
	v_fmac_f64_e32 v[188:189], v[148:149], v[10:11]
	v_fma_f64 v[146:147], v[146:147], v[10:11], -v[12:13]
	scratch_load_b128 v[10:13], off, off offset:656
	s_wait_loadcnt_dscnt 0xb01
	v_mul_f64_e32 v[192:193], v[4:5], v[172:173]
	v_mul_f64_e32 v[172:173], v[6:7], v[172:173]
	;; [unrolled: 18-line block ×10, first 2 shown]
	v_add_f64_e32 v[148:149], v[196:197], v[194:195]
	v_add_f64_e32 v[186:187], v[186:187], v[188:189]
	s_wait_loadcnt_dscnt 0xa00
	v_mul_f64_e32 v[188:189], v[154:155], v[140:141]
	v_mul_f64_e32 v[140:141], v[156:157], v[140:141]
	v_fmac_f64_e32 v[190:191], v[6:7], v[158:159]
	v_fma_f64 v[158:159], v[4:5], v[158:159], -v[160:161]
	v_add_f64_e32 v[160:161], v[148:149], v[146:147]
	v_add_f64_e32 v[186:187], v[186:187], v[192:193]
	ds_load_b128 v[4:7], v2 offset:1696
	ds_load_b128 v[146:149], v2 offset:1712
	v_fmac_f64_e32 v[188:189], v[156:157], v[138:139]
	v_fma_f64 v[138:139], v[154:155], v[138:139], -v[140:141]
	s_wait_loadcnt_dscnt 0x901
	v_mul_f64_e32 v[192:193], v[4:5], v[164:165]
	v_mul_f64_e32 v[164:165], v[6:7], v[164:165]
	s_wait_loadcnt_dscnt 0x800
	v_mul_f64_e32 v[156:157], v[146:147], v[144:145]
	v_mul_f64_e32 v[144:145], v[148:149], v[144:145]
	v_add_f64_e32 v[140:141], v[160:161], v[158:159]
	v_add_f64_e32 v[154:155], v[186:187], v[190:191]
	v_fmac_f64_e32 v[192:193], v[6:7], v[162:163]
	v_fma_f64 v[158:159], v[4:5], v[162:163], -v[164:165]
	v_fmac_f64_e32 v[156:157], v[148:149], v[142:143]
	v_fma_f64 v[142:143], v[146:147], v[142:143], -v[144:145]
	v_add_f64_e32 v[160:161], v[140:141], v[138:139]
	v_add_f64_e32 v[154:155], v[154:155], v[188:189]
	ds_load_b128 v[4:7], v2 offset:1728
	ds_load_b128 v[138:141], v2 offset:1744
	s_wait_loadcnt_dscnt 0x701
	v_mul_f64_e32 v[162:163], v[4:5], v[168:169]
	v_mul_f64_e32 v[164:165], v[6:7], v[168:169]
	s_wait_loadcnt_dscnt 0x600
	v_mul_f64_e32 v[148:149], v[138:139], v[152:153]
	v_mul_f64_e32 v[152:153], v[140:141], v[152:153]
	v_add_f64_e32 v[144:145], v[160:161], v[158:159]
	v_add_f64_e32 v[146:147], v[154:155], v[192:193]
	v_fmac_f64_e32 v[162:163], v[6:7], v[166:167]
	v_fma_f64 v[154:155], v[4:5], v[166:167], -v[164:165]
	v_fmac_f64_e32 v[148:149], v[140:141], v[150:151]
	v_fma_f64 v[138:139], v[138:139], v[150:151], -v[152:153]
	v_add_f64_e32 v[158:159], v[144:145], v[142:143]
	v_add_f64_e32 v[146:147], v[146:147], v[156:157]
	ds_load_b128 v[4:7], v2 offset:1760
	ds_load_b128 v[142:145], v2 offset:1776
	;; [unrolled: 16-line block ×4, first 2 shown]
	s_wait_loadcnt_dscnt 0x101
	v_mul_f64_e32 v[2:3], v[4:5], v[180:181]
	v_mul_f64_e32 v[150:151], v[6:7], v[180:181]
	s_wait_loadcnt_dscnt 0x0
	v_mul_f64_e32 v[140:141], v[10:11], v[132:133]
	v_mul_f64_e32 v[132:133], v[12:13], v[132:133]
	v_add_f64_e32 v[136:137], v[152:153], v[146:147]
	v_add_f64_e32 v[138:139], v[142:143], v[148:149]
	v_fmac_f64_e32 v[2:3], v[6:7], v[178:179]
	v_fma_f64 v[4:5], v[4:5], v[178:179], -v[150:151]
	v_fmac_f64_e32 v[140:141], v[12:13], v[130:131]
	v_fma_f64 v[10:11], v[10:11], v[130:131], -v[132:133]
	v_add_f64_e32 v[6:7], v[136:137], v[134:135]
	v_add_f64_e32 v[134:135], v[138:139], v[144:145]
	s_delay_alu instid0(VALU_DEP_2) | instskip(NEXT) | instid1(VALU_DEP_2)
	v_add_f64_e32 v[4:5], v[6:7], v[4:5]
	v_add_f64_e32 v[2:3], v[134:135], v[2:3]
	s_delay_alu instid0(VALU_DEP_2) | instskip(NEXT) | instid1(VALU_DEP_2)
	;; [unrolled: 3-line block ×3, first 2 shown]
	v_add_f64_e64 v[2:3], v[174:175], -v[4:5]
	v_add_f64_e64 v[4:5], v[176:177], -v[6:7]
	scratch_store_b128 off, v[2:5], off offset:48
	s_wait_xcnt 0x0
	v_cmpx_lt_u32_e32 2, v1
	s_cbranch_execz .LBB57_357
; %bb.356:
	scratch_load_b128 v[2:5], off, s51
	v_mov_b32_e32 v10, 0
	s_delay_alu instid0(VALU_DEP_1)
	v_dual_mov_b32 v11, v10 :: v_dual_mov_b32 v12, v10
	v_mov_b32_e32 v13, v10
	scratch_store_b128 off, v[10:13], off offset:32
	s_wait_loadcnt 0x0
	ds_store_b128 v8, v[2:5]
.LBB57_357:
	s_wait_xcnt 0x0
	s_or_b32 exec_lo, exec_lo, s2
	s_wait_storecnt_dscnt 0x0
	s_barrier_signal -1
	s_barrier_wait -1
	s_clause 0x9
	scratch_load_b128 v[4:7], off, off offset:48
	scratch_load_b128 v[10:13], off, off offset:64
	;; [unrolled: 1-line block ×10, first 2 shown]
	v_mov_b32_e32 v2, 0
	s_mov_b32 s2, exec_lo
	v_dual_ashrrev_i32 v21, 31, v20 :: v_dual_ashrrev_i32 v19, 31, v18
	v_ashrrev_i32_e32 v23, 31, v22
	ds_load_b128 v[162:165], v2 offset:976
	s_clause 0x2
	scratch_load_b128 v[166:169], off, off offset:208
	scratch_load_b128 v[170:173], off, off offset:32
	;; [unrolled: 1-line block ×3, first 2 shown]
	v_ashrrev_i32_e32 v27, 31, v26
	v_ashrrev_i32_e32 v31, 31, v30
	v_dual_ashrrev_i32 v35, 31, v34 :: v_dual_ashrrev_i32 v25, 31, v24
	v_ashrrev_i32_e32 v29, 31, v28
	v_ashrrev_i32_e32 v33, 31, v32
	v_dual_ashrrev_i32 v37, 31, v36 :: v_dual_ashrrev_i32 v39, 31, v38
	v_dual_ashrrev_i32 v43, 31, v42 :: v_dual_ashrrev_i32 v41, 31, v40
	v_ashrrev_i32_e32 v47, 31, v46
	v_ashrrev_i32_e32 v51, 31, v50
	v_dual_ashrrev_i32 v55, 31, v54 :: v_dual_ashrrev_i32 v45, 31, v44
	v_dual_ashrrev_i32 v49, 31, v48 :: v_dual_ashrrev_i32 v59, 31, v58
	;; [unrolled: 1-line block ×10, first 2 shown]
	v_ashrrev_i32_e32 v95, 31, v94
	v_dual_ashrrev_i32 v99, 31, v98 :: v_dual_ashrrev_i32 v85, 31, v84
	v_ashrrev_i32_e32 v89, 31, v88
	v_dual_ashrrev_i32 v93, 31, v92 :: v_dual_ashrrev_i32 v103, 31, v102
	v_dual_ashrrev_i32 v107, 31, v106 :: v_dual_ashrrev_i32 v97, 31, v96
	;; [unrolled: 1-line block ×3, first 2 shown]
	v_ashrrev_i32_e32 v115, 31, v114
	v_dual_ashrrev_i32 v119, 31, v118 :: v_dual_ashrrev_i32 v105, 31, v104
	v_dual_ashrrev_i32 v123, 31, v122 :: v_dual_ashrrev_i32 v109, 31, v108
	;; [unrolled: 1-line block ×3, first 2 shown]
	v_ashrrev_i32_e32 v117, 31, v116
	v_ashrrev_i32_e32 v121, 31, v120
	;; [unrolled: 1-line block ×3, first 2 shown]
	s_wait_loadcnt_dscnt 0xc00
	v_dual_mul_f64 v[182:183], v[164:165], v[6:7] :: v_dual_ashrrev_i32 v129, 31, v128
	v_mul_f64_e32 v[186:187], v[162:163], v[6:7]
	ds_load_b128 v[174:177], v2 offset:992
	v_fma_f64 v[190:191], v[162:163], v[4:5], -v[182:183]
	v_fmac_f64_e32 v[186:187], v[164:165], v[4:5]
	ds_load_b128 v[4:7], v2 offset:1008
	s_wait_loadcnt_dscnt 0xb01
	v_mul_f64_e32 v[188:189], v[174:175], v[12:13]
	v_mul_f64_e32 v[12:13], v[176:177], v[12:13]
	scratch_load_b128 v[162:165], off, off offset:240
	ds_load_b128 v[182:185], v2 offset:1024
	s_wait_loadcnt_dscnt 0xb01
	v_mul_f64_e32 v[192:193], v[4:5], v[132:133]
	v_mul_f64_e32 v[132:133], v[6:7], v[132:133]
	v_add_f64_e32 v[186:187], 0, v[186:187]
	v_fmac_f64_e32 v[188:189], v[176:177], v[10:11]
	v_fma_f64 v[174:175], v[174:175], v[10:11], -v[12:13]
	v_add_f64_e32 v[176:177], 0, v[190:191]
	scratch_load_b128 v[10:13], off, off offset:256
	v_fmac_f64_e32 v[192:193], v[6:7], v[130:131]
	v_fma_f64 v[194:195], v[4:5], v[130:131], -v[132:133]
	ds_load_b128 v[4:7], v2 offset:1040
	s_wait_loadcnt_dscnt 0xb01
	v_mul_f64_e32 v[190:191], v[182:183], v[136:137]
	v_mul_f64_e32 v[136:137], v[184:185], v[136:137]
	scratch_load_b128 v[130:133], off, off offset:272
	v_add_f64_e32 v[186:187], v[186:187], v[188:189]
	v_add_f64_e32 v[196:197], v[176:177], v[174:175]
	ds_load_b128 v[174:177], v2 offset:1056
	s_wait_loadcnt_dscnt 0xb01
	v_mul_f64_e32 v[188:189], v[4:5], v[140:141]
	v_mul_f64_e32 v[140:141], v[6:7], v[140:141]
	v_fmac_f64_e32 v[190:191], v[184:185], v[134:135]
	v_fma_f64 v[182:183], v[182:183], v[134:135], -v[136:137]
	scratch_load_b128 v[134:137], off, off offset:288
	v_add_f64_e32 v[186:187], v[186:187], v[192:193]
	v_add_f64_e32 v[184:185], v[196:197], v[194:195]
	v_fmac_f64_e32 v[188:189], v[6:7], v[138:139]
	v_fma_f64 v[194:195], v[4:5], v[138:139], -v[140:141]
	ds_load_b128 v[4:7], v2 offset:1072
	s_wait_loadcnt_dscnt 0xb01
	v_mul_f64_e32 v[192:193], v[174:175], v[144:145]
	v_mul_f64_e32 v[144:145], v[176:177], v[144:145]
	scratch_load_b128 v[138:141], off, off offset:304
	v_add_f64_e32 v[186:187], v[186:187], v[190:191]
	s_wait_loadcnt_dscnt 0xb00
	v_mul_f64_e32 v[190:191], v[4:5], v[148:149]
	v_add_f64_e32 v[196:197], v[184:185], v[182:183]
	v_mul_f64_e32 v[148:149], v[6:7], v[148:149]
	ds_load_b128 v[182:185], v2 offset:1088
	v_fmac_f64_e32 v[192:193], v[176:177], v[142:143]
	v_fma_f64 v[174:175], v[174:175], v[142:143], -v[144:145]
	scratch_load_b128 v[142:145], off, off offset:320
	v_add_f64_e32 v[186:187], v[186:187], v[188:189]
	v_fmac_f64_e32 v[190:191], v[6:7], v[146:147]
	v_add_f64_e32 v[176:177], v[196:197], v[194:195]
	v_fma_f64 v[194:195], v[4:5], v[146:147], -v[148:149]
	ds_load_b128 v[4:7], v2 offset:1104
	s_wait_loadcnt_dscnt 0xb01
	v_mul_f64_e32 v[188:189], v[182:183], v[152:153]
	v_mul_f64_e32 v[152:153], v[184:185], v[152:153]
	scratch_load_b128 v[146:149], off, off offset:336
	v_add_f64_e32 v[186:187], v[186:187], v[192:193]
	s_wait_loadcnt_dscnt 0xb00
	v_mul_f64_e32 v[192:193], v[4:5], v[156:157]
	v_add_f64_e32 v[196:197], v[176:177], v[174:175]
	v_mul_f64_e32 v[156:157], v[6:7], v[156:157]
	ds_load_b128 v[174:177], v2 offset:1120
	v_fmac_f64_e32 v[188:189], v[184:185], v[150:151]
	v_fma_f64 v[182:183], v[182:183], v[150:151], -v[152:153]
	scratch_load_b128 v[150:153], off, off offset:352
	v_add_f64_e32 v[186:187], v[186:187], v[190:191]
	v_fmac_f64_e32 v[192:193], v[6:7], v[154:155]
	v_add_f64_e32 v[184:185], v[196:197], v[194:195]
	;; [unrolled: 18-line block ×3, first 2 shown]
	v_fma_f64 v[194:195], v[4:5], v[166:167], -v[168:169]
	ds_load_b128 v[4:7], v2 offset:1168
	s_wait_loadcnt_dscnt 0xa01
	v_mul_f64_e32 v[192:193], v[182:183], v[180:181]
	v_mul_f64_e32 v[180:181], v[184:185], v[180:181]
	scratch_load_b128 v[166:169], off, off offset:400
	v_add_f64_e32 v[186:187], v[186:187], v[190:191]
	v_add_f64_e32 v[196:197], v[176:177], v[174:175]
	s_wait_loadcnt_dscnt 0xa00
	v_mul_f64_e32 v[190:191], v[4:5], v[164:165]
	v_mul_f64_e32 v[164:165], v[6:7], v[164:165]
	v_fmac_f64_e32 v[192:193], v[184:185], v[178:179]
	v_fma_f64 v[182:183], v[182:183], v[178:179], -v[180:181]
	ds_load_b128 v[174:177], v2 offset:1184
	scratch_load_b128 v[178:181], off, off offset:416
	v_add_f64_e32 v[186:187], v[186:187], v[188:189]
	v_add_f64_e32 v[184:185], v[196:197], v[194:195]
	v_fmac_f64_e32 v[190:191], v[6:7], v[162:163]
	v_fma_f64 v[194:195], v[4:5], v[162:163], -v[164:165]
	ds_load_b128 v[4:7], v2 offset:1200
	s_wait_loadcnt_dscnt 0xa01
	v_mul_f64_e32 v[188:189], v[174:175], v[12:13]
	v_mul_f64_e32 v[12:13], v[176:177], v[12:13]
	scratch_load_b128 v[162:165], off, off offset:432
	v_add_f64_e32 v[186:187], v[186:187], v[192:193]
	s_wait_loadcnt_dscnt 0xa00
	v_mul_f64_e32 v[192:193], v[4:5], v[132:133]
	v_add_f64_e32 v[196:197], v[184:185], v[182:183]
	v_mul_f64_e32 v[132:133], v[6:7], v[132:133]
	ds_load_b128 v[182:185], v2 offset:1216
	v_fmac_f64_e32 v[188:189], v[176:177], v[10:11]
	v_fma_f64 v[174:175], v[174:175], v[10:11], -v[12:13]
	scratch_load_b128 v[10:13], off, off offset:448
	v_add_f64_e32 v[186:187], v[186:187], v[190:191]
	v_fmac_f64_e32 v[192:193], v[6:7], v[130:131]
	v_add_f64_e32 v[176:177], v[196:197], v[194:195]
	v_fma_f64 v[194:195], v[4:5], v[130:131], -v[132:133]
	ds_load_b128 v[4:7], v2 offset:1232
	s_wait_loadcnt_dscnt 0xa01
	v_mul_f64_e32 v[190:191], v[182:183], v[136:137]
	v_mul_f64_e32 v[136:137], v[184:185], v[136:137]
	scratch_load_b128 v[130:133], off, off offset:464
	v_add_f64_e32 v[186:187], v[186:187], v[188:189]
	s_wait_loadcnt_dscnt 0xa00
	v_mul_f64_e32 v[188:189], v[4:5], v[140:141]
	v_add_f64_e32 v[196:197], v[176:177], v[174:175]
	v_mul_f64_e32 v[140:141], v[6:7], v[140:141]
	ds_load_b128 v[174:177], v2 offset:1248
	v_fmac_f64_e32 v[190:191], v[184:185], v[134:135]
	v_fma_f64 v[182:183], v[182:183], v[134:135], -v[136:137]
	scratch_load_b128 v[134:137], off, off offset:480
	v_add_f64_e32 v[186:187], v[186:187], v[192:193]
	v_fmac_f64_e32 v[188:189], v[6:7], v[138:139]
	v_add_f64_e32 v[184:185], v[196:197], v[194:195]
	;; [unrolled: 18-line block ×15, first 2 shown]
	v_fma_f64 v[194:195], v[4:5], v[146:147], -v[148:149]
	ds_load_b128 v[4:7], v2 offset:1680
	s_wait_loadcnt_dscnt 0xa01
	v_mul_f64_e32 v[188:189], v[182:183], v[152:153]
	v_mul_f64_e32 v[152:153], v[184:185], v[152:153]
	scratch_load_b128 v[146:149], off, off offset:912
	v_add_f64_e32 v[186:187], v[186:187], v[192:193]
	s_wait_loadcnt_dscnt 0xa00
	v_mul_f64_e32 v[192:193], v[4:5], v[156:157]
	v_add_f64_e32 v[196:197], v[176:177], v[174:175]
	v_mul_f64_e32 v[156:157], v[6:7], v[156:157]
	ds_load_b128 v[174:177], v2 offset:1696
	v_fmac_f64_e32 v[188:189], v[184:185], v[150:151]
	v_fma_f64 v[150:151], v[182:183], v[150:151], -v[152:153]
	s_wait_loadcnt_dscnt 0x900
	v_mul_f64_e32 v[184:185], v[174:175], v[160:161]
	v_mul_f64_e32 v[160:161], v[176:177], v[160:161]
	v_add_f64_e32 v[182:183], v[186:187], v[190:191]
	v_fmac_f64_e32 v[192:193], v[6:7], v[154:155]
	v_add_f64_e32 v[152:153], v[196:197], v[194:195]
	v_fma_f64 v[154:155], v[4:5], v[154:155], -v[156:157]
	v_fmac_f64_e32 v[184:185], v[176:177], v[158:159]
	v_fma_f64 v[158:159], v[174:175], v[158:159], -v[160:161]
	v_add_f64_e32 v[182:183], v[182:183], v[188:189]
	v_add_f64_e32 v[156:157], v[152:153], v[150:151]
	ds_load_b128 v[4:7], v2 offset:1712
	ds_load_b128 v[150:153], v2 offset:1728
	s_wait_loadcnt_dscnt 0x801
	v_mul_f64_e32 v[186:187], v[4:5], v[168:169]
	v_mul_f64_e32 v[168:169], v[6:7], v[168:169]
	s_wait_loadcnt_dscnt 0x700
	v_mul_f64_e32 v[160:161], v[150:151], v[180:181]
	v_mul_f64_e32 v[174:175], v[152:153], v[180:181]
	v_add_f64_e32 v[154:155], v[156:157], v[154:155]
	v_add_f64_e32 v[156:157], v[182:183], v[192:193]
	v_fmac_f64_e32 v[186:187], v[6:7], v[166:167]
	v_fma_f64 v[166:167], v[4:5], v[166:167], -v[168:169]
	v_fmac_f64_e32 v[160:161], v[152:153], v[178:179]
	v_fma_f64 v[150:151], v[150:151], v[178:179], -v[174:175]
	v_add_f64_e32 v[158:159], v[154:155], v[158:159]
	v_add_f64_e32 v[168:169], v[156:157], v[184:185]
	ds_load_b128 v[4:7], v2 offset:1744
	ds_load_b128 v[154:157], v2 offset:1760
	s_wait_loadcnt_dscnt 0x601
	v_mul_f64_e32 v[176:177], v[4:5], v[164:165]
	v_mul_f64_e32 v[164:165], v[6:7], v[164:165]
	v_add_f64_e32 v[152:153], v[158:159], v[166:167]
	v_add_f64_e32 v[158:159], v[168:169], v[186:187]
	s_wait_loadcnt_dscnt 0x500
	v_mul_f64_e32 v[166:167], v[154:155], v[12:13]
	v_mul_f64_e32 v[12:13], v[156:157], v[12:13]
	v_fmac_f64_e32 v[176:177], v[6:7], v[162:163]
	v_fma_f64 v[162:163], v[4:5], v[162:163], -v[164:165]
	v_add_f64_e32 v[164:165], v[152:153], v[150:151]
	v_add_f64_e32 v[158:159], v[158:159], v[160:161]
	ds_load_b128 v[4:7], v2 offset:1776
	ds_load_b128 v[150:153], v2 offset:1792
	v_fmac_f64_e32 v[166:167], v[156:157], v[10:11]
	v_fma_f64 v[10:11], v[154:155], v[10:11], -v[12:13]
	s_wait_loadcnt_dscnt 0x401
	v_mul_f64_e32 v[160:161], v[4:5], v[132:133]
	v_mul_f64_e32 v[132:133], v[6:7], v[132:133]
	s_wait_loadcnt_dscnt 0x300
	v_mul_f64_e32 v[156:157], v[150:151], v[136:137]
	v_mul_f64_e32 v[136:137], v[152:153], v[136:137]
	v_add_f64_e32 v[12:13], v[164:165], v[162:163]
	v_add_f64_e32 v[154:155], v[158:159], v[176:177]
	v_fmac_f64_e32 v[160:161], v[6:7], v[130:131]
	v_fma_f64 v[130:131], v[4:5], v[130:131], -v[132:133]
	v_fmac_f64_e32 v[156:157], v[152:153], v[134:135]
	v_fma_f64 v[134:135], v[150:151], v[134:135], -v[136:137]
	v_add_f64_e32 v[132:133], v[12:13], v[10:11]
	v_add_f64_e32 v[154:155], v[154:155], v[166:167]
	ds_load_b128 v[4:7], v2 offset:1808
	ds_load_b128 v[10:13], v2 offset:1824
	s_wait_loadcnt_dscnt 0x201
	v_mul_f64_e32 v[158:159], v[4:5], v[140:141]
	v_mul_f64_e32 v[140:141], v[6:7], v[140:141]
	s_wait_loadcnt_dscnt 0x100
	v_mul_f64_e32 v[136:137], v[10:11], v[144:145]
	v_mul_f64_e32 v[144:145], v[12:13], v[144:145]
	v_add_f64_e32 v[130:131], v[132:133], v[130:131]
	v_add_f64_e32 v[132:133], v[154:155], v[160:161]
	v_fmac_f64_e32 v[158:159], v[6:7], v[138:139]
	v_fma_f64 v[138:139], v[4:5], v[138:139], -v[140:141]
	ds_load_b128 v[4:7], v2 offset:1840
	v_fmac_f64_e32 v[136:137], v[12:13], v[142:143]
	v_fma_f64 v[10:11], v[10:11], v[142:143], -v[144:145]
	v_add_f64_e32 v[130:131], v[130:131], v[134:135]
	v_add_f64_e32 v[132:133], v[132:133], v[156:157]
	s_wait_loadcnt_dscnt 0x0
	v_mul_f64_e32 v[134:135], v[4:5], v[148:149]
	v_mul_f64_e32 v[140:141], v[6:7], v[148:149]
	s_delay_alu instid0(VALU_DEP_4) | instskip(NEXT) | instid1(VALU_DEP_4)
	v_add_f64_e32 v[12:13], v[130:131], v[138:139]
	v_add_f64_e32 v[130:131], v[132:133], v[158:159]
	s_delay_alu instid0(VALU_DEP_4) | instskip(NEXT) | instid1(VALU_DEP_4)
	v_fmac_f64_e32 v[134:135], v[6:7], v[146:147]
	v_fma_f64 v[4:5], v[4:5], v[146:147], -v[140:141]
	s_delay_alu instid0(VALU_DEP_4) | instskip(NEXT) | instid1(VALU_DEP_4)
	v_add_f64_e32 v[6:7], v[12:13], v[10:11]
	v_add_f64_e32 v[10:11], v[130:131], v[136:137]
	s_delay_alu instid0(VALU_DEP_2) | instskip(NEXT) | instid1(VALU_DEP_2)
	v_add_f64_e32 v[4:5], v[6:7], v[4:5]
	v_add_f64_e32 v[6:7], v[10:11], v[134:135]
	s_delay_alu instid0(VALU_DEP_2) | instskip(NEXT) | instid1(VALU_DEP_2)
	v_add_f64_e64 v[4:5], v[170:171], -v[4:5]
	v_add_f64_e64 v[6:7], v[172:173], -v[6:7]
	scratch_store_b128 off, v[4:7], off offset:32
	s_wait_xcnt 0x0
	v_cmpx_lt_u32_e32 1, v1
	s_cbranch_execz .LBB57_359
; %bb.358:
	scratch_load_b128 v[10:13], off, s52
	v_dual_mov_b32 v3, v2 :: v_dual_mov_b32 v4, v2
	v_mov_b32_e32 v5, v2
	scratch_store_b128 off, v[2:5], off offset:16
	s_wait_loadcnt 0x0
	ds_store_b128 v8, v[10:13]
.LBB57_359:
	s_wait_xcnt 0x0
	s_or_b32 exec_lo, exec_lo, s2
	s_wait_storecnt_dscnt 0x0
	s_barrier_signal -1
	s_barrier_wait -1
	s_clause 0x9
	scratch_load_b128 v[4:7], off, off offset:32
	scratch_load_b128 v[10:13], off, off offset:48
	;; [unrolled: 1-line block ×10, first 2 shown]
	ds_load_b128 v[162:165], v2 offset:960
	ds_load_b128 v[170:173], v2 offset:976
	s_clause 0x2
	scratch_load_b128 v[166:169], off, off offset:192
	scratch_load_b128 v[174:177], off, off offset:16
	;; [unrolled: 1-line block ×3, first 2 shown]
	s_mov_b32 s2, exec_lo
	s_wait_loadcnt_dscnt 0xc01
	v_mul_f64_e32 v[182:183], v[164:165], v[6:7]
	v_mul_f64_e32 v[186:187], v[162:163], v[6:7]
	s_wait_loadcnt_dscnt 0xb00
	v_mul_f64_e32 v[188:189], v[170:171], v[12:13]
	v_mul_f64_e32 v[12:13], v[172:173], v[12:13]
	s_delay_alu instid0(VALU_DEP_4) | instskip(NEXT) | instid1(VALU_DEP_4)
	v_fma_f64 v[190:191], v[162:163], v[4:5], -v[182:183]
	v_fmac_f64_e32 v[186:187], v[164:165], v[4:5]
	ds_load_b128 v[4:7], v2 offset:992
	ds_load_b128 v[162:165], v2 offset:1008
	scratch_load_b128 v[182:185], off, off offset:224
	v_fmac_f64_e32 v[188:189], v[172:173], v[10:11]
	v_fma_f64 v[170:171], v[170:171], v[10:11], -v[12:13]
	scratch_load_b128 v[10:13], off, off offset:240
	s_wait_loadcnt_dscnt 0xc01
	v_mul_f64_e32 v[192:193], v[4:5], v[132:133]
	v_mul_f64_e32 v[132:133], v[6:7], v[132:133]
	v_add_f64_e32 v[172:173], 0, v[190:191]
	v_add_f64_e32 v[186:187], 0, v[186:187]
	s_wait_loadcnt_dscnt 0xb00
	v_mul_f64_e32 v[190:191], v[162:163], v[136:137]
	v_mul_f64_e32 v[136:137], v[164:165], v[136:137]
	v_fmac_f64_e32 v[192:193], v[6:7], v[130:131]
	v_fma_f64 v[194:195], v[4:5], v[130:131], -v[132:133]
	ds_load_b128 v[4:7], v2 offset:1024
	ds_load_b128 v[130:133], v2 offset:1040
	v_add_f64_e32 v[196:197], v[172:173], v[170:171]
	v_add_f64_e32 v[186:187], v[186:187], v[188:189]
	scratch_load_b128 v[170:173], off, off offset:256
	v_fmac_f64_e32 v[190:191], v[164:165], v[134:135]
	v_fma_f64 v[162:163], v[162:163], v[134:135], -v[136:137]
	scratch_load_b128 v[134:137], off, off offset:272
	s_wait_loadcnt_dscnt 0xc01
	v_mul_f64_e32 v[188:189], v[4:5], v[140:141]
	v_mul_f64_e32 v[140:141], v[6:7], v[140:141]
	v_add_f64_e32 v[164:165], v[196:197], v[194:195]
	v_add_f64_e32 v[186:187], v[186:187], v[192:193]
	s_wait_loadcnt_dscnt 0xb00
	v_mul_f64_e32 v[192:193], v[130:131], v[144:145]
	v_mul_f64_e32 v[144:145], v[132:133], v[144:145]
	v_fmac_f64_e32 v[188:189], v[6:7], v[138:139]
	v_fma_f64 v[194:195], v[4:5], v[138:139], -v[140:141]
	ds_load_b128 v[4:7], v2 offset:1056
	ds_load_b128 v[138:141], v2 offset:1072
	v_add_f64_e32 v[196:197], v[164:165], v[162:163]
	v_add_f64_e32 v[186:187], v[186:187], v[190:191]
	scratch_load_b128 v[162:165], off, off offset:288
	s_wait_loadcnt_dscnt 0xb01
	v_mul_f64_e32 v[190:191], v[4:5], v[148:149]
	v_mul_f64_e32 v[148:149], v[6:7], v[148:149]
	v_fmac_f64_e32 v[192:193], v[132:133], v[142:143]
	v_fma_f64 v[142:143], v[130:131], v[142:143], -v[144:145]
	scratch_load_b128 v[130:133], off, off offset:304
	v_add_f64_e32 v[144:145], v[196:197], v[194:195]
	v_add_f64_e32 v[186:187], v[186:187], v[188:189]
	s_wait_loadcnt_dscnt 0xb00
	v_mul_f64_e32 v[188:189], v[138:139], v[152:153]
	v_mul_f64_e32 v[152:153], v[140:141], v[152:153]
	v_fmac_f64_e32 v[190:191], v[6:7], v[146:147]
	v_fma_f64 v[194:195], v[4:5], v[146:147], -v[148:149]
	v_add_f64_e32 v[196:197], v[144:145], v[142:143]
	v_add_f64_e32 v[186:187], v[186:187], v[192:193]
	ds_load_b128 v[4:7], v2 offset:1088
	ds_load_b128 v[142:145], v2 offset:1104
	scratch_load_b128 v[146:149], off, off offset:320
	v_fmac_f64_e32 v[188:189], v[140:141], v[150:151]
	v_fma_f64 v[150:151], v[138:139], v[150:151], -v[152:153]
	scratch_load_b128 v[138:141], off, off offset:336
	s_wait_loadcnt_dscnt 0xc01
	v_mul_f64_e32 v[192:193], v[4:5], v[156:157]
	v_mul_f64_e32 v[156:157], v[6:7], v[156:157]
	v_add_f64_e32 v[152:153], v[196:197], v[194:195]
	v_add_f64_e32 v[186:187], v[186:187], v[190:191]
	s_wait_loadcnt_dscnt 0xb00
	v_mul_f64_e32 v[190:191], v[142:143], v[160:161]
	v_mul_f64_e32 v[160:161], v[144:145], v[160:161]
	v_fmac_f64_e32 v[192:193], v[6:7], v[154:155]
	v_fma_f64 v[194:195], v[4:5], v[154:155], -v[156:157]
	v_add_f64_e32 v[196:197], v[152:153], v[150:151]
	v_add_f64_e32 v[186:187], v[186:187], v[188:189]
	ds_load_b128 v[4:7], v2 offset:1120
	ds_load_b128 v[150:153], v2 offset:1136
	scratch_load_b128 v[154:157], off, off offset:352
	v_fmac_f64_e32 v[190:191], v[144:145], v[158:159]
	v_fma_f64 v[158:159], v[142:143], v[158:159], -v[160:161]
	scratch_load_b128 v[142:145], off, off offset:368
	s_wait_loadcnt_dscnt 0xc01
	v_mul_f64_e32 v[188:189], v[4:5], v[168:169]
	v_mul_f64_e32 v[168:169], v[6:7], v[168:169]
	;; [unrolled: 18-line block ×5, first 2 shown]
	v_add_f64_e32 v[180:181], v[196:197], v[194:195]
	v_add_f64_e32 v[186:187], v[186:187], v[192:193]
	s_wait_loadcnt_dscnt 0xa00
	v_mul_f64_e32 v[192:193], v[158:159], v[132:133]
	v_mul_f64_e32 v[132:133], v[160:161], v[132:133]
	v_fmac_f64_e32 v[188:189], v[6:7], v[162:163]
	v_fma_f64 v[194:195], v[4:5], v[162:163], -v[164:165]
	ds_load_b128 v[4:7], v2 offset:1248
	ds_load_b128 v[162:165], v2 offset:1264
	v_add_f64_e32 v[196:197], v[180:181], v[178:179]
	v_add_f64_e32 v[186:187], v[186:187], v[190:191]
	scratch_load_b128 v[178:181], off, off offset:480
	v_fmac_f64_e32 v[192:193], v[160:161], v[130:131]
	v_fma_f64 v[158:159], v[158:159], v[130:131], -v[132:133]
	scratch_load_b128 v[130:133], off, off offset:496
	s_wait_loadcnt_dscnt 0xb01
	v_mul_f64_e32 v[190:191], v[4:5], v[148:149]
	v_mul_f64_e32 v[148:149], v[6:7], v[148:149]
	v_add_f64_e32 v[160:161], v[196:197], v[194:195]
	v_add_f64_e32 v[186:187], v[186:187], v[188:189]
	s_wait_loadcnt_dscnt 0xa00
	v_mul_f64_e32 v[188:189], v[162:163], v[140:141]
	v_mul_f64_e32 v[140:141], v[164:165], v[140:141]
	v_fmac_f64_e32 v[190:191], v[6:7], v[146:147]
	v_fma_f64 v[194:195], v[4:5], v[146:147], -v[148:149]
	ds_load_b128 v[4:7], v2 offset:1280
	ds_load_b128 v[146:149], v2 offset:1296
	v_add_f64_e32 v[196:197], v[160:161], v[158:159]
	v_add_f64_e32 v[186:187], v[186:187], v[192:193]
	scratch_load_b128 v[158:161], off, off offset:512
	s_wait_loadcnt_dscnt 0xa01
	v_mul_f64_e32 v[192:193], v[4:5], v[156:157]
	v_mul_f64_e32 v[156:157], v[6:7], v[156:157]
	v_fmac_f64_e32 v[188:189], v[164:165], v[138:139]
	v_fma_f64 v[162:163], v[162:163], v[138:139], -v[140:141]
	scratch_load_b128 v[138:141], off, off offset:528
	v_add_f64_e32 v[164:165], v[196:197], v[194:195]
	v_add_f64_e32 v[186:187], v[186:187], v[190:191]
	s_wait_loadcnt_dscnt 0xa00
	v_mul_f64_e32 v[190:191], v[146:147], v[144:145]
	v_mul_f64_e32 v[144:145], v[148:149], v[144:145]
	v_fmac_f64_e32 v[192:193], v[6:7], v[154:155]
	v_fma_f64 v[194:195], v[4:5], v[154:155], -v[156:157]
	ds_load_b128 v[4:7], v2 offset:1312
	ds_load_b128 v[154:157], v2 offset:1328
	v_add_f64_e32 v[196:197], v[164:165], v[162:163]
	v_add_f64_e32 v[186:187], v[186:187], v[188:189]
	scratch_load_b128 v[162:165], off, off offset:544
	s_wait_loadcnt_dscnt 0xa01
	v_mul_f64_e32 v[188:189], v[4:5], v[168:169]
	v_mul_f64_e32 v[168:169], v[6:7], v[168:169]
	v_fmac_f64_e32 v[190:191], v[148:149], v[142:143]
	v_fma_f64 v[146:147], v[146:147], v[142:143], -v[144:145]
	scratch_load_b128 v[142:145], off, off offset:560
	v_add_f64_e32 v[148:149], v[196:197], v[194:195]
	v_add_f64_e32 v[186:187], v[186:187], v[192:193]
	s_wait_loadcnt_dscnt 0xa00
	v_mul_f64_e32 v[192:193], v[154:155], v[152:153]
	v_mul_f64_e32 v[152:153], v[156:157], v[152:153]
	v_fmac_f64_e32 v[188:189], v[6:7], v[166:167]
	v_fma_f64 v[194:195], v[4:5], v[166:167], -v[168:169]
	v_add_f64_e32 v[196:197], v[148:149], v[146:147]
	v_add_f64_e32 v[186:187], v[186:187], v[190:191]
	ds_load_b128 v[4:7], v2 offset:1344
	ds_load_b128 v[146:149], v2 offset:1360
	scratch_load_b128 v[166:169], off, off offset:576
	v_fmac_f64_e32 v[192:193], v[156:157], v[150:151]
	v_fma_f64 v[154:155], v[154:155], v[150:151], -v[152:153]
	scratch_load_b128 v[150:153], off, off offset:592
	s_wait_loadcnt_dscnt 0xb01
	v_mul_f64_e32 v[190:191], v[4:5], v[184:185]
	v_mul_f64_e32 v[184:185], v[6:7], v[184:185]
	v_add_f64_e32 v[156:157], v[196:197], v[194:195]
	v_add_f64_e32 v[186:187], v[186:187], v[188:189]
	s_wait_loadcnt_dscnt 0xa00
	v_mul_f64_e32 v[188:189], v[146:147], v[12:13]
	v_mul_f64_e32 v[12:13], v[148:149], v[12:13]
	v_fmac_f64_e32 v[190:191], v[6:7], v[182:183]
	v_fma_f64 v[194:195], v[4:5], v[182:183], -v[184:185]
	v_add_f64_e32 v[196:197], v[156:157], v[154:155]
	v_add_f64_e32 v[186:187], v[186:187], v[192:193]
	ds_load_b128 v[4:7], v2 offset:1376
	ds_load_b128 v[154:157], v2 offset:1392
	scratch_load_b128 v[182:185], off, off offset:608
	v_fmac_f64_e32 v[188:189], v[148:149], v[10:11]
	v_fma_f64 v[146:147], v[146:147], v[10:11], -v[12:13]
	scratch_load_b128 v[10:13], off, off offset:624
	s_wait_loadcnt_dscnt 0xb01
	v_mul_f64_e32 v[192:193], v[4:5], v[172:173]
	v_mul_f64_e32 v[172:173], v[6:7], v[172:173]
	;; [unrolled: 18-line block ×11, first 2 shown]
	v_add_f64_e32 v[156:157], v[196:197], v[194:195]
	v_add_f64_e32 v[186:187], v[186:187], v[190:191]
	s_wait_loadcnt_dscnt 0xa00
	v_mul_f64_e32 v[190:191], v[146:147], v[144:145]
	v_mul_f64_e32 v[144:145], v[148:149], v[144:145]
	v_fmac_f64_e32 v[192:193], v[6:7], v[162:163]
	v_fma_f64 v[162:163], v[4:5], v[162:163], -v[164:165]
	v_add_f64_e32 v[164:165], v[156:157], v[154:155]
	v_add_f64_e32 v[186:187], v[186:187], v[188:189]
	ds_load_b128 v[4:7], v2 offset:1696
	ds_load_b128 v[154:157], v2 offset:1712
	v_fmac_f64_e32 v[190:191], v[148:149], v[142:143]
	v_fma_f64 v[142:143], v[146:147], v[142:143], -v[144:145]
	s_wait_loadcnt_dscnt 0x901
	v_mul_f64_e32 v[188:189], v[4:5], v[168:169]
	v_mul_f64_e32 v[168:169], v[6:7], v[168:169]
	s_wait_loadcnt_dscnt 0x800
	v_mul_f64_e32 v[148:149], v[154:155], v[152:153]
	v_mul_f64_e32 v[152:153], v[156:157], v[152:153]
	v_add_f64_e32 v[144:145], v[164:165], v[162:163]
	v_add_f64_e32 v[146:147], v[186:187], v[192:193]
	v_fmac_f64_e32 v[188:189], v[6:7], v[166:167]
	v_fma_f64 v[162:163], v[4:5], v[166:167], -v[168:169]
	v_fmac_f64_e32 v[148:149], v[156:157], v[150:151]
	v_fma_f64 v[150:151], v[154:155], v[150:151], -v[152:153]
	v_add_f64_e32 v[164:165], v[144:145], v[142:143]
	v_add_f64_e32 v[146:147], v[146:147], v[190:191]
	ds_load_b128 v[4:7], v2 offset:1728
	ds_load_b128 v[142:145], v2 offset:1744
	s_wait_loadcnt_dscnt 0x701
	v_mul_f64_e32 v[166:167], v[4:5], v[184:185]
	v_mul_f64_e32 v[168:169], v[6:7], v[184:185]
	s_wait_loadcnt_dscnt 0x600
	v_mul_f64_e32 v[154:155], v[142:143], v[12:13]
	v_mul_f64_e32 v[12:13], v[144:145], v[12:13]
	v_add_f64_e32 v[152:153], v[164:165], v[162:163]
	v_add_f64_e32 v[146:147], v[146:147], v[188:189]
	v_fmac_f64_e32 v[166:167], v[6:7], v[182:183]
	v_fma_f64 v[156:157], v[4:5], v[182:183], -v[168:169]
	v_fmac_f64_e32 v[154:155], v[144:145], v[10:11]
	v_fma_f64 v[10:11], v[142:143], v[10:11], -v[12:13]
	v_add_f64_e32 v[150:151], v[152:153], v[150:151]
	v_add_f64_e32 v[152:153], v[146:147], v[148:149]
	ds_load_b128 v[4:7], v2 offset:1760
	ds_load_b128 v[146:149], v2 offset:1776
	;; [unrolled: 16-line block ×4, first 2 shown]
	s_wait_loadcnt_dscnt 0x101
	v_mul_f64_e32 v[2:3], v[4:5], v[160:161]
	v_mul_f64_e32 v[144:145], v[6:7], v[160:161]
	v_add_f64_e32 v[12:13], v[136:137], v[150:151]
	v_add_f64_e32 v[130:131], v[142:143], v[154:155]
	s_wait_loadcnt_dscnt 0x0
	v_mul_f64_e32 v[136:137], v[132:133], v[140:141]
	v_mul_f64_e32 v[140:141], v[134:135], v[140:141]
	v_fmac_f64_e32 v[2:3], v[6:7], v[158:159]
	v_fma_f64 v[4:5], v[4:5], v[158:159], -v[144:145]
	v_add_f64_e32 v[6:7], v[12:13], v[10:11]
	v_add_f64_e32 v[10:11], v[130:131], v[146:147]
	v_fmac_f64_e32 v[136:137], v[134:135], v[138:139]
	v_fma_f64 v[12:13], v[132:133], v[138:139], -v[140:141]
	s_delay_alu instid0(VALU_DEP_4) | instskip(NEXT) | instid1(VALU_DEP_4)
	v_add_f64_e32 v[4:5], v[6:7], v[4:5]
	v_add_f64_e32 v[2:3], v[10:11], v[2:3]
	s_delay_alu instid0(VALU_DEP_2) | instskip(NEXT) | instid1(VALU_DEP_2)
	v_add_f64_e32 v[4:5], v[4:5], v[12:13]
	v_add_f64_e32 v[6:7], v[2:3], v[136:137]
	s_delay_alu instid0(VALU_DEP_2) | instskip(NEXT) | instid1(VALU_DEP_2)
	v_add_f64_e64 v[2:3], v[174:175], -v[4:5]
	v_add_f64_e64 v[4:5], v[176:177], -v[6:7]
	scratch_store_b128 off, v[2:5], off offset:16
	s_wait_xcnt 0x0
	v_cmpx_ne_u32_e32 0, v1
	s_cbranch_execz .LBB57_361
; %bb.360:
	scratch_load_b128 v[2:5], off, off
	v_mov_b32_e32 v10, 0
	s_delay_alu instid0(VALU_DEP_1)
	v_dual_mov_b32 v11, v10 :: v_dual_mov_b32 v12, v10
	v_mov_b32_e32 v13, v10
	scratch_store_b128 off, v[10:13], off
	s_wait_loadcnt 0x0
	ds_store_b128 v8, v[2:5]
.LBB57_361:
	s_wait_xcnt 0x0
	s_or_b32 exec_lo, exec_lo, s2
	s_wait_storecnt_dscnt 0x0
	s_barrier_signal -1
	s_barrier_wait -1
	s_clause 0x9
	scratch_load_b128 v[2:5], off, off offset:16
	scratch_load_b128 v[6:9], off, off offset:32
	;; [unrolled: 1-line block ×10, first 2 shown]
	v_mov_b32_e32 v156, 0
	s_and_b32 vcc_lo, exec_lo, s70
	ds_load_b128 v[162:165], v156 offset:944
	s_clause 0x2
	scratch_load_b128 v[166:169], off, off offset:176
	scratch_load_b128 v[170:173], off, off
	scratch_load_b128 v[178:181], off, off offset:192
	s_wait_loadcnt_dscnt 0xc00
	v_mul_f64_e32 v[154:155], v[164:165], v[4:5]
	v_mul_f64_e32 v[186:187], v[162:163], v[4:5]
	ds_load_b128 v[174:177], v156 offset:960
	ds_load_b128 v[182:185], v156 offset:992
	v_fma_f64 v[154:155], v[162:163], v[2:3], -v[154:155]
	v_fmac_f64_e32 v[186:187], v[164:165], v[2:3]
	ds_load_b128 v[2:5], v156 offset:976
	s_wait_loadcnt_dscnt 0xb02
	v_mul_f64_e32 v[188:189], v[174:175], v[8:9]
	v_mul_f64_e32 v[8:9], v[176:177], v[8:9]
	scratch_load_b128 v[162:165], off, off offset:208
	s_wait_loadcnt_dscnt 0xb00
	v_mul_f64_e32 v[190:191], v[2:3], v[12:13]
	v_mul_f64_e32 v[12:13], v[4:5], v[12:13]
	v_add_f64_e32 v[154:155], 0, v[154:155]
	v_fmac_f64_e32 v[188:189], v[176:177], v[6:7]
	v_fma_f64 v[174:175], v[174:175], v[6:7], -v[8:9]
	v_add_f64_e32 v[176:177], 0, v[186:187]
	scratch_load_b128 v[6:9], off, off offset:224
	v_fmac_f64_e32 v[190:191], v[4:5], v[10:11]
	v_fma_f64 v[192:193], v[2:3], v[10:11], -v[12:13]
	ds_load_b128 v[2:5], v156 offset:1008
	s_wait_loadcnt 0xb
	v_mul_f64_e32 v[186:187], v[182:183], v[132:133]
	v_mul_f64_e32 v[132:133], v[184:185], v[132:133]
	scratch_load_b128 v[10:13], off, off offset:240
	v_add_f64_e32 v[154:155], v[154:155], v[174:175]
	v_add_f64_e32 v[188:189], v[176:177], v[188:189]
	ds_load_b128 v[174:177], v156 offset:1024
	s_wait_loadcnt_dscnt 0xb01
	v_mul_f64_e32 v[194:195], v[2:3], v[136:137]
	v_mul_f64_e32 v[136:137], v[4:5], v[136:137]
	v_fmac_f64_e32 v[186:187], v[184:185], v[130:131]
	v_fma_f64 v[182:183], v[182:183], v[130:131], -v[132:133]
	scratch_load_b128 v[130:133], off, off offset:256
	v_add_f64_e32 v[154:155], v[154:155], v[192:193]
	v_add_f64_e32 v[184:185], v[188:189], v[190:191]
	v_fmac_f64_e32 v[194:195], v[4:5], v[134:135]
	v_fma_f64 v[190:191], v[2:3], v[134:135], -v[136:137]
	ds_load_b128 v[2:5], v156 offset:1040
	s_wait_loadcnt_dscnt 0xb01
	v_mul_f64_e32 v[188:189], v[174:175], v[140:141]
	v_mul_f64_e32 v[140:141], v[176:177], v[140:141]
	scratch_load_b128 v[134:137], off, off offset:272
	s_wait_loadcnt_dscnt 0xb00
	v_mul_f64_e32 v[192:193], v[2:3], v[144:145]
	v_mul_f64_e32 v[144:145], v[4:5], v[144:145]
	v_add_f64_e32 v[154:155], v[154:155], v[182:183]
	v_add_f64_e32 v[186:187], v[184:185], v[186:187]
	ds_load_b128 v[182:185], v156 offset:1056
	v_fmac_f64_e32 v[188:189], v[176:177], v[138:139]
	v_fma_f64 v[174:175], v[174:175], v[138:139], -v[140:141]
	scratch_load_b128 v[138:141], off, off offset:288
	v_fmac_f64_e32 v[192:193], v[4:5], v[142:143]
	v_add_f64_e32 v[154:155], v[154:155], v[190:191]
	v_add_f64_e32 v[176:177], v[186:187], v[194:195]
	v_fma_f64 v[190:191], v[2:3], v[142:143], -v[144:145]
	ds_load_b128 v[2:5], v156 offset:1072
	s_wait_loadcnt_dscnt 0xb01
	v_mul_f64_e32 v[186:187], v[182:183], v[148:149]
	v_mul_f64_e32 v[148:149], v[184:185], v[148:149]
	scratch_load_b128 v[142:145], off, off offset:304
	s_wait_loadcnt_dscnt 0xb00
	v_mul_f64_e32 v[194:195], v[2:3], v[152:153]
	v_mul_f64_e32 v[152:153], v[4:5], v[152:153]
	v_add_f64_e32 v[154:155], v[154:155], v[174:175]
	v_add_f64_e32 v[188:189], v[176:177], v[188:189]
	ds_load_b128 v[174:177], v156 offset:1088
	v_fmac_f64_e32 v[186:187], v[184:185], v[146:147]
	v_fma_f64 v[182:183], v[182:183], v[146:147], -v[148:149]
	scratch_load_b128 v[146:149], off, off offset:320
	v_fmac_f64_e32 v[194:195], v[4:5], v[150:151]
	v_add_f64_e32 v[154:155], v[154:155], v[190:191]
	v_add_f64_e32 v[184:185], v[188:189], v[192:193]
	;; [unrolled: 18-line block ×3, first 2 shown]
	v_fma_f64 v[190:191], v[2:3], v[166:167], -v[168:169]
	ds_load_b128 v[2:5], v156 offset:1136
	s_wait_loadcnt_dscnt 0xa01
	v_mul_f64_e32 v[186:187], v[182:183], v[180:181]
	v_mul_f64_e32 v[180:181], v[184:185], v[180:181]
	scratch_load_b128 v[166:169], off, off offset:368
	v_add_f64_e32 v[154:155], v[154:155], v[174:175]
	v_add_f64_e32 v[188:189], v[176:177], v[188:189]
	s_wait_loadcnt_dscnt 0xa00
	v_mul_f64_e32 v[194:195], v[2:3], v[164:165]
	v_mul_f64_e32 v[164:165], v[4:5], v[164:165]
	v_fmac_f64_e32 v[186:187], v[184:185], v[178:179]
	v_fma_f64 v[182:183], v[182:183], v[178:179], -v[180:181]
	ds_load_b128 v[174:177], v156 offset:1152
	scratch_load_b128 v[178:181], off, off offset:384
	v_add_f64_e32 v[154:155], v[154:155], v[190:191]
	v_add_f64_e32 v[184:185], v[188:189], v[192:193]
	v_fmac_f64_e32 v[194:195], v[4:5], v[162:163]
	v_fma_f64 v[190:191], v[2:3], v[162:163], -v[164:165]
	ds_load_b128 v[2:5], v156 offset:1168
	s_wait_loadcnt_dscnt 0xa01
	v_mul_f64_e32 v[188:189], v[174:175], v[8:9]
	v_mul_f64_e32 v[8:9], v[176:177], v[8:9]
	scratch_load_b128 v[162:165], off, off offset:400
	s_wait_loadcnt_dscnt 0xa00
	v_mul_f64_e32 v[192:193], v[2:3], v[12:13]
	v_mul_f64_e32 v[12:13], v[4:5], v[12:13]
	v_add_f64_e32 v[154:155], v[154:155], v[182:183]
	v_add_f64_e32 v[186:187], v[184:185], v[186:187]
	ds_load_b128 v[182:185], v156 offset:1184
	v_fmac_f64_e32 v[188:189], v[176:177], v[6:7]
	v_fma_f64 v[174:175], v[174:175], v[6:7], -v[8:9]
	scratch_load_b128 v[6:9], off, off offset:416
	v_fmac_f64_e32 v[192:193], v[4:5], v[10:11]
	v_add_f64_e32 v[154:155], v[154:155], v[190:191]
	v_add_f64_e32 v[176:177], v[186:187], v[194:195]
	v_fma_f64 v[190:191], v[2:3], v[10:11], -v[12:13]
	ds_load_b128 v[2:5], v156 offset:1200
	s_wait_loadcnt_dscnt 0xa01
	v_mul_f64_e32 v[186:187], v[182:183], v[132:133]
	v_mul_f64_e32 v[132:133], v[184:185], v[132:133]
	scratch_load_b128 v[10:13], off, off offset:432
	s_wait_loadcnt_dscnt 0xa00
	v_mul_f64_e32 v[194:195], v[2:3], v[136:137]
	v_mul_f64_e32 v[136:137], v[4:5], v[136:137]
	v_add_f64_e32 v[154:155], v[154:155], v[174:175]
	v_add_f64_e32 v[188:189], v[176:177], v[188:189]
	ds_load_b128 v[174:177], v156 offset:1216
	v_fmac_f64_e32 v[186:187], v[184:185], v[130:131]
	v_fma_f64 v[182:183], v[182:183], v[130:131], -v[132:133]
	scratch_load_b128 v[130:133], off, off offset:448
	v_fmac_f64_e32 v[194:195], v[4:5], v[134:135]
	v_add_f64_e32 v[154:155], v[154:155], v[190:191]
	v_add_f64_e32 v[184:185], v[188:189], v[192:193]
	;; [unrolled: 18-line block ×16, first 2 shown]
	v_fma_f64 v[190:191], v[2:3], v[150:151], -v[152:153]
	ds_load_b128 v[2:5], v156 offset:1680
	s_wait_loadcnt_dscnt 0xa01
	v_mul_f64_e32 v[188:189], v[174:175], v[160:161]
	v_mul_f64_e32 v[160:161], v[176:177], v[160:161]
	scratch_load_b128 v[150:153], off, off offset:912
	s_wait_loadcnt_dscnt 0xa00
	v_mul_f64_e32 v[192:193], v[2:3], v[168:169]
	v_mul_f64_e32 v[168:169], v[4:5], v[168:169]
	v_add_f64_e32 v[154:155], v[154:155], v[182:183]
	v_add_f64_e32 v[186:187], v[184:185], v[186:187]
	ds_load_b128 v[182:185], v156 offset:1696
	v_fmac_f64_e32 v[188:189], v[176:177], v[158:159]
	v_fma_f64 v[158:159], v[174:175], v[158:159], -v[160:161]
	s_wait_loadcnt_dscnt 0x900
	v_mul_f64_e32 v[174:175], v[182:183], v[180:181]
	v_mul_f64_e32 v[176:177], v[184:185], v[180:181]
	v_fmac_f64_e32 v[192:193], v[4:5], v[166:167]
	v_fma_f64 v[166:167], v[2:3], v[166:167], -v[168:169]
	v_add_f64_e32 v[154:155], v[154:155], v[190:191]
	v_add_f64_e32 v[160:161], v[186:187], v[194:195]
	v_fmac_f64_e32 v[174:175], v[184:185], v[178:179]
	v_fma_f64 v[176:177], v[182:183], v[178:179], -v[176:177]
	s_delay_alu instid0(VALU_DEP_4) | instskip(NEXT) | instid1(VALU_DEP_4)
	v_add_f64_e32 v[154:155], v[154:155], v[158:159]
	v_add_f64_e32 v[168:169], v[160:161], v[188:189]
	ds_load_b128 v[2:5], v156 offset:1712
	ds_load_b128 v[158:161], v156 offset:1728
	s_wait_loadcnt_dscnt 0x801
	v_mul_f64_e32 v[180:181], v[2:3], v[164:165]
	v_mul_f64_e32 v[164:165], v[4:5], v[164:165]
	v_add_f64_e32 v[154:155], v[154:155], v[166:167]
	v_add_f64_e32 v[166:167], v[168:169], v[192:193]
	s_wait_loadcnt_dscnt 0x700
	v_mul_f64_e32 v[168:169], v[158:159], v[8:9]
	v_mul_f64_e32 v[8:9], v[160:161], v[8:9]
	v_fmac_f64_e32 v[180:181], v[4:5], v[162:163]
	v_fma_f64 v[178:179], v[2:3], v[162:163], -v[164:165]
	ds_load_b128 v[2:5], v156 offset:1744
	ds_load_b128 v[162:165], v156 offset:1760
	v_add_f64_e32 v[154:155], v[154:155], v[176:177]
	v_add_f64_e32 v[166:167], v[166:167], v[174:175]
	v_fmac_f64_e32 v[168:169], v[160:161], v[6:7]
	v_fma_f64 v[6:7], v[158:159], v[6:7], -v[8:9]
	s_wait_loadcnt_dscnt 0x601
	v_mul_f64_e32 v[174:175], v[2:3], v[12:13]
	v_mul_f64_e32 v[12:13], v[4:5], v[12:13]
	s_wait_loadcnt_dscnt 0x500
	v_mul_f64_e32 v[158:159], v[162:163], v[132:133]
	v_mul_f64_e32 v[132:133], v[164:165], v[132:133]
	v_add_f64_e32 v[8:9], v[154:155], v[178:179]
	v_add_f64_e32 v[154:155], v[166:167], v[180:181]
	v_fmac_f64_e32 v[174:175], v[4:5], v[10:11]
	v_fma_f64 v[10:11], v[2:3], v[10:11], -v[12:13]
	v_fmac_f64_e32 v[158:159], v[164:165], v[130:131]
	v_fma_f64 v[130:131], v[162:163], v[130:131], -v[132:133]
	v_add_f64_e32 v[12:13], v[8:9], v[6:7]
	v_add_f64_e32 v[154:155], v[154:155], v[168:169]
	ds_load_b128 v[2:5], v156 offset:1776
	ds_load_b128 v[6:9], v156 offset:1792
	s_wait_loadcnt_dscnt 0x401
	v_mul_f64_e32 v[160:161], v[2:3], v[136:137]
	v_mul_f64_e32 v[136:137], v[4:5], v[136:137]
	s_wait_loadcnt_dscnt 0x300
	v_mul_f64_e32 v[132:133], v[6:7], v[140:141]
	v_mul_f64_e32 v[140:141], v[8:9], v[140:141]
	v_add_f64_e32 v[10:11], v[12:13], v[10:11]
	v_add_f64_e32 v[12:13], v[154:155], v[174:175]
	v_fmac_f64_e32 v[160:161], v[4:5], v[134:135]
	v_fma_f64 v[134:135], v[2:3], v[134:135], -v[136:137]
	v_fmac_f64_e32 v[132:133], v[8:9], v[138:139]
	v_fma_f64 v[6:7], v[6:7], v[138:139], -v[140:141]
	v_lshl_add_u64 v[140:141], v[30:31], 4, s[4:5]
	v_lshl_add_u64 v[30:31], v[44:45], 4, s[4:5]
	v_lshl_add_u64 v[44:45], v[82:83], 4, s[4:5]
	v_lshl_add_u64 v[82:83], v[120:121], 4, s[4:5]
	v_add_f64_e32 v[130:131], v[10:11], v[130:131]
	v_add_f64_e32 v[136:137], v[12:13], v[158:159]
	ds_load_b128 v[2:5], v156 offset:1808
	ds_load_b128 v[10:13], v156 offset:1824
	s_wait_loadcnt_dscnt 0x201
	v_mul_f64_e32 v[154:155], v[2:3], v[144:145]
	v_mul_f64_e32 v[144:145], v[4:5], v[144:145]
	v_add_f64_e32 v[8:9], v[130:131], v[134:135]
	v_add_f64_e32 v[130:131], v[136:137], v[160:161]
	s_wait_loadcnt_dscnt 0x100
	v_mul_f64_e32 v[134:135], v[10:11], v[148:149]
	v_mul_f64_e32 v[136:137], v[12:13], v[148:149]
	v_lshl_add_u64 v[148:149], v[22:23], 4, s[4:5]
	v_lshl_add_u64 v[22:23], v[62:63], 4, s[4:5]
	;; [unrolled: 1-line block ×3, first 2 shown]
	v_fmac_f64_e32 v[154:155], v[4:5], v[142:143]
	v_fma_f64 v[138:139], v[2:3], v[142:143], -v[144:145]
	ds_load_b128 v[2:5], v156 offset:1840
	v_lshl_add_u64 v[144:145], v[28:29], 4, s[4:5]
	v_lshl_add_u64 v[142:143], v[32:33], 4, s[4:5]
	;; [unrolled: 1-line block ×6, first 2 shown]
	v_add_f64_e32 v[6:7], v[8:9], v[6:7]
	v_add_f64_e32 v[8:9], v[130:131], v[132:133]
	v_fmac_f64_e32 v[134:135], v[12:13], v[146:147]
	v_fma_f64 v[10:11], v[10:11], v[146:147], -v[136:137]
	v_lshl_add_u64 v[146:147], v[26:27], 4, s[4:5]
	v_lshl_add_u64 v[136:137], v[36:37], 4, s[4:5]
	;; [unrolled: 1-line block ×7, first 2 shown]
	s_wait_loadcnt_dscnt 0x0
	v_mul_f64_e32 v[130:131], v[2:3], v[152:153]
	v_mul_f64_e32 v[132:133], v[4:5], v[152:153]
	v_lshl_add_u64 v[152:153], v[20:21], 4, s[4:5]
	v_lshl_add_u64 v[20:21], v[60:61], 4, s[4:5]
	;; [unrolled: 1-line block ×4, first 2 shown]
	v_add_f64_e32 v[6:7], v[6:7], v[138:139]
	v_add_f64_e32 v[8:9], v[8:9], v[154:155]
	v_lshl_add_u64 v[154:155], v[18:19], 4, s[4:5]
	v_lshl_add_u64 v[138:139], v[34:35], 4, s[4:5]
	v_lshl_add_u64 v[18:19], v[58:59], 4, s[4:5]
	v_lshl_add_u64 v[34:35], v[72:73], 4, s[4:5]
	v_lshl_add_u64 v[58:59], v[96:97], 4, s[4:5]
	v_lshl_add_u64 v[72:73], v[110:111], 4, s[4:5]
	v_fmac_f64_e32 v[130:131], v[4:5], v[150:151]
	v_fma_f64 v[2:3], v[2:3], v[150:151], -v[132:133]
	v_lshl_add_u64 v[150:151], v[24:25], 4, s[4:5]
	v_lshl_add_u64 v[132:133], v[38:39], 4, s[4:5]
	;; [unrolled: 1-line block ×6, first 2 shown]
	v_add_f64_e32 v[4:5], v[6:7], v[10:11]
	v_add_f64_e32 v[6:7], v[8:9], v[134:135]
	v_lshl_add_u64 v[134:135], v[40:41], 4, s[4:5]
	v_lshl_add_u64 v[8:9], v[52:53], 4, s[4:5]
	;; [unrolled: 1-line block ×8, first 2 shown]
	v_add_f64_e32 v[158:159], v[4:5], v[2:3]
	v_add_f64_e32 v[160:161], v[6:7], v[130:131]
	v_lshl_add_u64 v[130:131], v[42:43], 4, s[4:5]
	v_lshl_add_u64 v[2:3], v[46:47], 4, s[4:5]
	;; [unrolled: 1-line block ×12, first 2 shown]
	v_add_f64_e64 v[158:159], v[170:171], -v[158:159]
	v_add_f64_e64 v[160:161], v[172:173], -v[160:161]
	scratch_store_b128 off, v[158:161], off
	s_cbranch_vccz .LBB57_476
; %bb.362:
	global_load_b32 v92, v156, s[16:17] offset:224
	s_load_b64 s[2:3], s[0:1], 0x4
	v_bfe_u32 v93, v0, 10, 10
	v_bfe_u32 v0, v0, 20, 10
	s_wait_kmcnt 0x0
	s_lshr_b32 s0, s2, 16
	s_delay_alu instid0(VALU_DEP_2) | instskip(SKIP_1) | instid1(SALU_CYCLE_1)
	v_mul_u32_u24_e32 v93, s3, v93
	s_mul_i32 s0, s0, s3
	v_mul_u32_u24_e32 v1, s0, v1
	s_delay_alu instid0(VALU_DEP_1) | instskip(NEXT) | instid1(VALU_DEP_1)
	v_add3_u32 v0, v1, v93, v0
	v_lshl_add_u32 v0, v0, 4, 0x748
	s_wait_loadcnt 0x0
	v_cmp_ne_u32_e32 vcc_lo, 57, v92
	s_cbranch_vccz .LBB57_364
; %bb.363:
	v_lshlrev_b32_e32 v1, 4, v92
	s_clause 0x1
	scratch_load_b128 v[92:95], off, s29
	scratch_load_b128 v[96:99], v1, off offset:-16
	s_wait_loadcnt 0x1
	ds_store_2addr_b64 v0, v[92:93], v[94:95] offset1:1
	s_wait_loadcnt 0x0
	s_clause 0x1
	scratch_store_b128 off, v[96:99], s29
	scratch_store_b128 v1, v[92:95], off offset:-16
.LBB57_364:
	s_wait_xcnt 0x0
	v_mov_b32_e32 v1, 0
	global_load_b32 v92, v1, s[16:17] offset:220
	s_wait_loadcnt 0x0
	v_cmp_eq_u32_e32 vcc_lo, 56, v92
	s_cbranch_vccnz .LBB57_366
; %bb.365:
	v_lshlrev_b32_e32 v92, 4, v92
	s_delay_alu instid0(VALU_DEP_1)
	v_mov_b32_e32 v100, v92
	s_clause 0x1
	scratch_load_b128 v[92:95], off, s25
	scratch_load_b128 v[96:99], v100, off offset:-16
	s_wait_loadcnt 0x1
	ds_store_2addr_b64 v0, v[92:93], v[94:95] offset1:1
	s_wait_loadcnt 0x0
	s_clause 0x1
	scratch_store_b128 off, v[96:99], s25
	scratch_store_b128 v100, v[92:95], off offset:-16
.LBB57_366:
	global_load_b32 v1, v1, s[16:17] offset:216
	s_wait_loadcnt 0x0
	v_cmp_eq_u32_e32 vcc_lo, 55, v1
	s_cbranch_vccnz .LBB57_368
; %bb.367:
	s_wait_xcnt 0x0
	v_lshlrev_b32_e32 v1, 4, v1
	s_clause 0x1
	scratch_load_b128 v[92:95], off, s35
	scratch_load_b128 v[96:99], v1, off offset:-16
	s_wait_loadcnt 0x1
	ds_store_2addr_b64 v0, v[92:93], v[94:95] offset1:1
	s_wait_loadcnt 0x0
	s_clause 0x1
	scratch_store_b128 off, v[96:99], s35
	scratch_store_b128 v1, v[92:95], off offset:-16
.LBB57_368:
	s_wait_xcnt 0x0
	v_mov_b32_e32 v1, 0
	global_load_b32 v92, v1, s[16:17] offset:212
	s_wait_loadcnt 0x0
	v_cmp_eq_u32_e32 vcc_lo, 54, v92
	s_cbranch_vccnz .LBB57_370
; %bb.369:
	v_lshlrev_b32_e32 v92, 4, v92
	s_delay_alu instid0(VALU_DEP_1)
	v_mov_b32_e32 v100, v92
	s_clause 0x1
	scratch_load_b128 v[92:95], off, s30
	scratch_load_b128 v[96:99], v100, off offset:-16
	s_wait_loadcnt 0x1
	ds_store_2addr_b64 v0, v[92:93], v[94:95] offset1:1
	s_wait_loadcnt 0x0
	s_clause 0x1
	scratch_store_b128 off, v[96:99], s30
	scratch_store_b128 v100, v[92:95], off offset:-16
.LBB57_370:
	global_load_b32 v1, v1, s[16:17] offset:208
	s_wait_loadcnt 0x0
	v_cmp_eq_u32_e32 vcc_lo, 53, v1
	s_cbranch_vccnz .LBB57_372
; %bb.371:
	s_wait_xcnt 0x0
	v_lshlrev_b32_e32 v1, 4, v1
	s_clause 0x1
	scratch_load_b128 v[92:95], off, s41
	scratch_load_b128 v[96:99], v1, off offset:-16
	s_wait_loadcnt 0x1
	ds_store_2addr_b64 v0, v[92:93], v[94:95] offset1:1
	s_wait_loadcnt 0x0
	s_clause 0x1
	scratch_store_b128 off, v[96:99], s41
	scratch_store_b128 v1, v[92:95], off offset:-16
.LBB57_372:
	s_wait_xcnt 0x0
	v_mov_b32_e32 v1, 0
	global_load_b32 v92, v1, s[16:17] offset:204
	s_wait_loadcnt 0x0
	v_cmp_eq_u32_e32 vcc_lo, 52, v92
	s_cbranch_vccnz .LBB57_374
; %bb.373:
	v_lshlrev_b32_e32 v92, 4, v92
	s_delay_alu instid0(VALU_DEP_1)
	v_mov_b32_e32 v100, v92
	s_clause 0x1
	scratch_load_b128 v[92:95], off, s38
	scratch_load_b128 v[96:99], v100, off offset:-16
	s_wait_loadcnt 0x1
	ds_store_2addr_b64 v0, v[92:93], v[94:95] offset1:1
	s_wait_loadcnt 0x0
	s_clause 0x1
	scratch_store_b128 off, v[96:99], s38
	scratch_store_b128 v100, v[92:95], off offset:-16
.LBB57_374:
	global_load_b32 v1, v1, s[16:17] offset:200
	s_wait_loadcnt 0x0
	v_cmp_eq_u32_e32 vcc_lo, 51, v1
	s_cbranch_vccnz .LBB57_376
; %bb.375:
	s_wait_xcnt 0x0
	v_lshlrev_b32_e32 v1, 4, v1
	s_clause 0x1
	scratch_load_b128 v[92:95], off, s9
	scratch_load_b128 v[96:99], v1, off offset:-16
	s_wait_loadcnt 0x1
	ds_store_2addr_b64 v0, v[92:93], v[94:95] offset1:1
	s_wait_loadcnt 0x0
	s_clause 0x1
	scratch_store_b128 off, v[96:99], s9
	scratch_store_b128 v1, v[92:95], off offset:-16
.LBB57_376:
	s_wait_xcnt 0x0
	v_mov_b32_e32 v1, 0
	global_load_b32 v92, v1, s[16:17] offset:196
	s_wait_loadcnt 0x0
	v_cmp_eq_u32_e32 vcc_lo, 50, v92
	s_cbranch_vccnz .LBB57_378
; %bb.377:
	v_lshlrev_b32_e32 v92, 4, v92
	s_delay_alu instid0(VALU_DEP_1)
	v_mov_b32_e32 v100, v92
	s_clause 0x1
	scratch_load_b128 v[92:95], off, s8
	scratch_load_b128 v[96:99], v100, off offset:-16
	s_wait_loadcnt 0x1
	ds_store_2addr_b64 v0, v[92:93], v[94:95] offset1:1
	s_wait_loadcnt 0x0
	s_clause 0x1
	scratch_store_b128 off, v[96:99], s8
	scratch_store_b128 v100, v[92:95], off offset:-16
.LBB57_378:
	global_load_b32 v1, v1, s[16:17] offset:192
	s_wait_loadcnt 0x0
	v_cmp_eq_u32_e32 vcc_lo, 49, v1
	s_cbranch_vccnz .LBB57_380
; %bb.379:
	s_wait_xcnt 0x0
	v_lshlrev_b32_e32 v1, 4, v1
	s_clause 0x1
	scratch_load_b128 v[92:95], off, s11
	scratch_load_b128 v[96:99], v1, off offset:-16
	s_wait_loadcnt 0x1
	ds_store_2addr_b64 v0, v[92:93], v[94:95] offset1:1
	s_wait_loadcnt 0x0
	s_clause 0x1
	scratch_store_b128 off, v[96:99], s11
	scratch_store_b128 v1, v[92:95], off offset:-16
.LBB57_380:
	s_wait_xcnt 0x0
	v_mov_b32_e32 v1, 0
	global_load_b32 v92, v1, s[16:17] offset:188
	s_wait_loadcnt 0x0
	v_cmp_eq_u32_e32 vcc_lo, 48, v92
	s_cbranch_vccnz .LBB57_382
; %bb.381:
	v_lshlrev_b32_e32 v92, 4, v92
	s_delay_alu instid0(VALU_DEP_1)
	v_mov_b32_e32 v100, v92
	s_clause 0x1
	scratch_load_b128 v[92:95], off, s10
	scratch_load_b128 v[96:99], v100, off offset:-16
	s_wait_loadcnt 0x1
	ds_store_2addr_b64 v0, v[92:93], v[94:95] offset1:1
	s_wait_loadcnt 0x0
	s_clause 0x1
	scratch_store_b128 off, v[96:99], s10
	scratch_store_b128 v100, v[92:95], off offset:-16
.LBB57_382:
	global_load_b32 v1, v1, s[16:17] offset:184
	s_wait_loadcnt 0x0
	v_cmp_eq_u32_e32 vcc_lo, 47, v1
	s_cbranch_vccnz .LBB57_384
; %bb.383:
	s_wait_xcnt 0x0
	v_lshlrev_b32_e32 v1, 4, v1
	s_clause 0x1
	scratch_load_b128 v[92:95], off, s13
	scratch_load_b128 v[96:99], v1, off offset:-16
	s_wait_loadcnt 0x1
	ds_store_2addr_b64 v0, v[92:93], v[94:95] offset1:1
	s_wait_loadcnt 0x0
	s_clause 0x1
	scratch_store_b128 off, v[96:99], s13
	scratch_store_b128 v1, v[92:95], off offset:-16
.LBB57_384:
	s_wait_xcnt 0x0
	v_mov_b32_e32 v1, 0
	global_load_b32 v92, v1, s[16:17] offset:180
	s_wait_loadcnt 0x0
	v_cmp_eq_u32_e32 vcc_lo, 46, v92
	s_cbranch_vccnz .LBB57_386
; %bb.385:
	v_lshlrev_b32_e32 v92, 4, v92
	s_delay_alu instid0(VALU_DEP_1)
	v_mov_b32_e32 v100, v92
	s_clause 0x1
	scratch_load_b128 v[92:95], off, s12
	scratch_load_b128 v[96:99], v100, off offset:-16
	s_wait_loadcnt 0x1
	ds_store_2addr_b64 v0, v[92:93], v[94:95] offset1:1
	s_wait_loadcnt 0x0
	s_clause 0x1
	scratch_store_b128 off, v[96:99], s12
	scratch_store_b128 v100, v[92:95], off offset:-16
.LBB57_386:
	global_load_b32 v1, v1, s[16:17] offset:176
	s_wait_loadcnt 0x0
	v_cmp_eq_u32_e32 vcc_lo, 45, v1
	s_cbranch_vccnz .LBB57_388
; %bb.387:
	s_wait_xcnt 0x0
	v_lshlrev_b32_e32 v1, 4, v1
	s_clause 0x1
	scratch_load_b128 v[92:95], off, s15
	scratch_load_b128 v[96:99], v1, off offset:-16
	s_wait_loadcnt 0x1
	ds_store_2addr_b64 v0, v[92:93], v[94:95] offset1:1
	s_wait_loadcnt 0x0
	s_clause 0x1
	scratch_store_b128 off, v[96:99], s15
	scratch_store_b128 v1, v[92:95], off offset:-16
.LBB57_388:
	s_wait_xcnt 0x0
	v_mov_b32_e32 v1, 0
	global_load_b32 v92, v1, s[16:17] offset:172
	s_wait_loadcnt 0x0
	v_cmp_eq_u32_e32 vcc_lo, 44, v92
	s_cbranch_vccnz .LBB57_390
; %bb.389:
	v_lshlrev_b32_e32 v92, 4, v92
	s_delay_alu instid0(VALU_DEP_1)
	v_mov_b32_e32 v100, v92
	s_clause 0x1
	scratch_load_b128 v[92:95], off, s14
	scratch_load_b128 v[96:99], v100, off offset:-16
	s_wait_loadcnt 0x1
	ds_store_2addr_b64 v0, v[92:93], v[94:95] offset1:1
	s_wait_loadcnt 0x0
	s_clause 0x1
	scratch_store_b128 off, v[96:99], s14
	scratch_store_b128 v100, v[92:95], off offset:-16
.LBB57_390:
	global_load_b32 v1, v1, s[16:17] offset:168
	s_wait_loadcnt 0x0
	v_cmp_eq_u32_e32 vcc_lo, 43, v1
	s_cbranch_vccnz .LBB57_392
; %bb.391:
	s_wait_xcnt 0x0
	v_lshlrev_b32_e32 v1, 4, v1
	s_clause 0x1
	scratch_load_b128 v[92:95], off, s21
	scratch_load_b128 v[96:99], v1, off offset:-16
	s_wait_loadcnt 0x1
	ds_store_2addr_b64 v0, v[92:93], v[94:95] offset1:1
	s_wait_loadcnt 0x0
	s_clause 0x1
	scratch_store_b128 off, v[96:99], s21
	scratch_store_b128 v1, v[92:95], off offset:-16
.LBB57_392:
	s_wait_xcnt 0x0
	v_mov_b32_e32 v1, 0
	global_load_b32 v92, v1, s[16:17] offset:164
	s_wait_loadcnt 0x0
	v_cmp_eq_u32_e32 vcc_lo, 42, v92
	s_cbranch_vccnz .LBB57_394
; %bb.393:
	v_lshlrev_b32_e32 v92, 4, v92
	s_delay_alu instid0(VALU_DEP_1)
	v_mov_b32_e32 v100, v92
	s_clause 0x1
	scratch_load_b128 v[92:95], off, s20
	scratch_load_b128 v[96:99], v100, off offset:-16
	s_wait_loadcnt 0x1
	ds_store_2addr_b64 v0, v[92:93], v[94:95] offset1:1
	s_wait_loadcnt 0x0
	s_clause 0x1
	scratch_store_b128 off, v[96:99], s20
	scratch_store_b128 v100, v[92:95], off offset:-16
.LBB57_394:
	global_load_b32 v1, v1, s[16:17] offset:160
	s_wait_loadcnt 0x0
	v_cmp_eq_u32_e32 vcc_lo, 41, v1
	s_cbranch_vccnz .LBB57_396
; %bb.395:
	s_wait_xcnt 0x0
	v_lshlrev_b32_e32 v1, 4, v1
	s_clause 0x1
	scratch_load_b128 v[92:95], off, s23
	scratch_load_b128 v[96:99], v1, off offset:-16
	s_wait_loadcnt 0x1
	ds_store_2addr_b64 v0, v[92:93], v[94:95] offset1:1
	s_wait_loadcnt 0x0
	s_clause 0x1
	scratch_store_b128 off, v[96:99], s23
	scratch_store_b128 v1, v[92:95], off offset:-16
.LBB57_396:
	s_wait_xcnt 0x0
	v_mov_b32_e32 v1, 0
	global_load_b32 v92, v1, s[16:17] offset:156
	s_wait_loadcnt 0x0
	v_cmp_eq_u32_e32 vcc_lo, 40, v92
	s_cbranch_vccnz .LBB57_398
; %bb.397:
	v_lshlrev_b32_e32 v92, 4, v92
	s_delay_alu instid0(VALU_DEP_1)
	v_mov_b32_e32 v100, v92
	s_clause 0x1
	scratch_load_b128 v[92:95], off, s22
	scratch_load_b128 v[96:99], v100, off offset:-16
	s_wait_loadcnt 0x1
	ds_store_2addr_b64 v0, v[92:93], v[94:95] offset1:1
	s_wait_loadcnt 0x0
	s_clause 0x1
	scratch_store_b128 off, v[96:99], s22
	scratch_store_b128 v100, v[92:95], off offset:-16
.LBB57_398:
	global_load_b32 v1, v1, s[16:17] offset:152
	s_wait_loadcnt 0x0
	v_cmp_eq_u32_e32 vcc_lo, 39, v1
	s_cbranch_vccnz .LBB57_400
; %bb.399:
	s_wait_xcnt 0x0
	v_lshlrev_b32_e32 v1, 4, v1
	s_clause 0x1
	scratch_load_b128 v[92:95], off, s26
	scratch_load_b128 v[96:99], v1, off offset:-16
	s_wait_loadcnt 0x1
	ds_store_2addr_b64 v0, v[92:93], v[94:95] offset1:1
	s_wait_loadcnt 0x0
	s_clause 0x1
	scratch_store_b128 off, v[96:99], s26
	scratch_store_b128 v1, v[92:95], off offset:-16
.LBB57_400:
	s_wait_xcnt 0x0
	v_mov_b32_e32 v1, 0
	global_load_b32 v92, v1, s[16:17] offset:148
	s_wait_loadcnt 0x0
	v_cmp_eq_u32_e32 vcc_lo, 38, v92
	s_cbranch_vccnz .LBB57_402
; %bb.401:
	v_lshlrev_b32_e32 v92, 4, v92
	s_delay_alu instid0(VALU_DEP_1)
	v_mov_b32_e32 v100, v92
	s_clause 0x1
	scratch_load_b128 v[92:95], off, s24
	scratch_load_b128 v[96:99], v100, off offset:-16
	s_wait_loadcnt 0x1
	ds_store_2addr_b64 v0, v[92:93], v[94:95] offset1:1
	s_wait_loadcnt 0x0
	s_clause 0x1
	scratch_store_b128 off, v[96:99], s24
	scratch_store_b128 v100, v[92:95], off offset:-16
.LBB57_402:
	global_load_b32 v1, v1, s[16:17] offset:144
	s_wait_loadcnt 0x0
	v_cmp_eq_u32_e32 vcc_lo, 37, v1
	s_cbranch_vccnz .LBB57_404
; %bb.403:
	s_wait_xcnt 0x0
	v_lshlrev_b32_e32 v1, 4, v1
	s_clause 0x1
	scratch_load_b128 v[92:95], off, s31
	scratch_load_b128 v[96:99], v1, off offset:-16
	s_wait_loadcnt 0x1
	ds_store_2addr_b64 v0, v[92:93], v[94:95] offset1:1
	s_wait_loadcnt 0x0
	s_clause 0x1
	scratch_store_b128 off, v[96:99], s31
	scratch_store_b128 v1, v[92:95], off offset:-16
.LBB57_404:
	s_wait_xcnt 0x0
	v_mov_b32_e32 v1, 0
	global_load_b32 v92, v1, s[16:17] offset:140
	s_wait_loadcnt 0x0
	v_cmp_eq_u32_e32 vcc_lo, 36, v92
	s_cbranch_vccnz .LBB57_406
; %bb.405:
	v_lshlrev_b32_e32 v92, 4, v92
	s_delay_alu instid0(VALU_DEP_1)
	v_mov_b32_e32 v100, v92
	s_clause 0x1
	scratch_load_b128 v[92:95], off, s28
	scratch_load_b128 v[96:99], v100, off offset:-16
	s_wait_loadcnt 0x1
	ds_store_2addr_b64 v0, v[92:93], v[94:95] offset1:1
	s_wait_loadcnt 0x0
	s_clause 0x1
	scratch_store_b128 off, v[96:99], s28
	scratch_store_b128 v100, v[92:95], off offset:-16
.LBB57_406:
	global_load_b32 v1, v1, s[16:17] offset:136
	s_wait_loadcnt 0x0
	v_cmp_eq_u32_e32 vcc_lo, 35, v1
	s_cbranch_vccnz .LBB57_408
; %bb.407:
	s_wait_xcnt 0x0
	v_lshlrev_b32_e32 v1, 4, v1
	s_clause 0x1
	scratch_load_b128 v[92:95], off, s37
	scratch_load_b128 v[96:99], v1, off offset:-16
	s_wait_loadcnt 0x1
	ds_store_2addr_b64 v0, v[92:93], v[94:95] offset1:1
	s_wait_loadcnt 0x0
	s_clause 0x1
	scratch_store_b128 off, v[96:99], s37
	scratch_store_b128 v1, v[92:95], off offset:-16
.LBB57_408:
	s_wait_xcnt 0x0
	v_mov_b32_e32 v1, 0
	global_load_b32 v92, v1, s[16:17] offset:132
	s_wait_loadcnt 0x0
	v_cmp_eq_u32_e32 vcc_lo, 34, v92
	s_cbranch_vccnz .LBB57_410
; %bb.409:
	v_lshlrev_b32_e32 v92, 4, v92
	s_delay_alu instid0(VALU_DEP_1)
	v_mov_b32_e32 v100, v92
	s_clause 0x1
	scratch_load_b128 v[92:95], off, s36
	scratch_load_b128 v[96:99], v100, off offset:-16
	s_wait_loadcnt 0x1
	ds_store_2addr_b64 v0, v[92:93], v[94:95] offset1:1
	s_wait_loadcnt 0x0
	s_clause 0x1
	scratch_store_b128 off, v[96:99], s36
	scratch_store_b128 v100, v[92:95], off offset:-16
.LBB57_410:
	global_load_b32 v1, v1, s[16:17] offset:128
	s_wait_loadcnt 0x0
	v_cmp_eq_u32_e32 vcc_lo, 33, v1
	s_cbranch_vccnz .LBB57_412
; %bb.411:
	s_wait_xcnt 0x0
	v_lshlrev_b32_e32 v1, 4, v1
	s_clause 0x1
	scratch_load_b128 v[92:95], off, s47
	scratch_load_b128 v[96:99], v1, off offset:-16
	s_wait_loadcnt 0x1
	ds_store_2addr_b64 v0, v[92:93], v[94:95] offset1:1
	s_wait_loadcnt 0x0
	s_clause 0x1
	scratch_store_b128 off, v[96:99], s47
	scratch_store_b128 v1, v[92:95], off offset:-16
.LBB57_412:
	s_wait_xcnt 0x0
	v_mov_b32_e32 v1, 0
	global_load_b32 v92, v1, s[16:17] offset:124
	s_wait_loadcnt 0x0
	v_cmp_eq_u32_e32 vcc_lo, 32, v92
	s_cbranch_vccnz .LBB57_414
; %bb.413:
	v_lshlrev_b32_e32 v92, 4, v92
	s_delay_alu instid0(VALU_DEP_1)
	v_mov_b32_e32 v100, v92
	s_clause 0x1
	scratch_load_b128 v[92:95], off, s46
	scratch_load_b128 v[96:99], v100, off offset:-16
	s_wait_loadcnt 0x1
	ds_store_2addr_b64 v0, v[92:93], v[94:95] offset1:1
	s_wait_loadcnt 0x0
	s_clause 0x1
	scratch_store_b128 off, v[96:99], s46
	scratch_store_b128 v100, v[92:95], off offset:-16
.LBB57_414:
	global_load_b32 v1, v1, s[16:17] offset:120
	s_wait_loadcnt 0x0
	v_cmp_eq_u32_e32 vcc_lo, 31, v1
	s_cbranch_vccnz .LBB57_416
; %bb.415:
	s_wait_xcnt 0x0
	v_lshlrev_b32_e32 v1, 4, v1
	s_clause 0x1
	scratch_load_b128 v[92:95], off, s44
	scratch_load_b128 v[96:99], v1, off offset:-16
	s_wait_loadcnt 0x1
	ds_store_2addr_b64 v0, v[92:93], v[94:95] offset1:1
	s_wait_loadcnt 0x0
	s_clause 0x1
	scratch_store_b128 off, v[96:99], s44
	scratch_store_b128 v1, v[92:95], off offset:-16
.LBB57_416:
	s_wait_xcnt 0x0
	v_mov_b32_e32 v1, 0
	global_load_b32 v92, v1, s[16:17] offset:116
	s_wait_loadcnt 0x0
	v_cmp_eq_u32_e32 vcc_lo, 30, v92
	s_cbranch_vccnz .LBB57_418
; %bb.417:
	v_lshlrev_b32_e32 v92, 4, v92
	s_delay_alu instid0(VALU_DEP_1)
	v_mov_b32_e32 v100, v92
	s_clause 0x1
	scratch_load_b128 v[92:95], off, s42
	scratch_load_b128 v[96:99], v100, off offset:-16
	s_wait_loadcnt 0x1
	ds_store_2addr_b64 v0, v[92:93], v[94:95] offset1:1
	s_wait_loadcnt 0x0
	s_clause 0x1
	scratch_store_b128 off, v[96:99], s42
	scratch_store_b128 v100, v[92:95], off offset:-16
.LBB57_418:
	global_load_b32 v1, v1, s[16:17] offset:112
	s_wait_loadcnt 0x0
	v_cmp_eq_u32_e32 vcc_lo, 29, v1
	s_cbranch_vccnz .LBB57_420
; %bb.419:
	s_wait_xcnt 0x0
	v_lshlrev_b32_e32 v1, 4, v1
	s_clause 0x1
	scratch_load_b128 v[92:95], off, s39
	scratch_load_b128 v[96:99], v1, off offset:-16
	s_wait_loadcnt 0x1
	ds_store_2addr_b64 v0, v[92:93], v[94:95] offset1:1
	s_wait_loadcnt 0x0
	s_clause 0x1
	scratch_store_b128 off, v[96:99], s39
	scratch_store_b128 v1, v[92:95], off offset:-16
.LBB57_420:
	s_wait_xcnt 0x0
	v_mov_b32_e32 v1, 0
	global_load_b32 v92, v1, s[16:17] offset:108
	s_wait_loadcnt 0x0
	v_cmp_eq_u32_e32 vcc_lo, 28, v92
	s_cbranch_vccnz .LBB57_422
; %bb.421:
	v_lshlrev_b32_e32 v92, 4, v92
	s_delay_alu instid0(VALU_DEP_1)
	v_mov_b32_e32 v100, v92
	s_clause 0x1
	scratch_load_b128 v[92:95], off, s34
	scratch_load_b128 v[96:99], v100, off offset:-16
	s_wait_loadcnt 0x1
	ds_store_2addr_b64 v0, v[92:93], v[94:95] offset1:1
	s_wait_loadcnt 0x0
	s_clause 0x1
	scratch_store_b128 off, v[96:99], s34
	scratch_store_b128 v100, v[92:95], off offset:-16
.LBB57_422:
	global_load_b32 v1, v1, s[16:17] offset:104
	s_wait_loadcnt 0x0
	v_cmp_eq_u32_e32 vcc_lo, 27, v1
	s_cbranch_vccnz .LBB57_424
; %bb.423:
	s_wait_xcnt 0x0
	v_lshlrev_b32_e32 v1, 4, v1
	s_clause 0x1
	scratch_load_b128 v[92:95], off, s45
	scratch_load_b128 v[96:99], v1, off offset:-16
	s_wait_loadcnt 0x1
	ds_store_2addr_b64 v0, v[92:93], v[94:95] offset1:1
	s_wait_loadcnt 0x0
	s_clause 0x1
	scratch_store_b128 off, v[96:99], s45
	scratch_store_b128 v1, v[92:95], off offset:-16
.LBB57_424:
	s_wait_xcnt 0x0
	v_mov_b32_e32 v1, 0
	global_load_b32 v92, v1, s[16:17] offset:100
	s_wait_loadcnt 0x0
	v_cmp_eq_u32_e32 vcc_lo, 26, v92
	s_cbranch_vccnz .LBB57_426
; %bb.425:
	v_lshlrev_b32_e32 v92, 4, v92
	s_delay_alu instid0(VALU_DEP_1)
	v_mov_b32_e32 v100, v92
	s_clause 0x1
	scratch_load_b128 v[92:95], off, s43
	scratch_load_b128 v[96:99], v100, off offset:-16
	s_wait_loadcnt 0x1
	ds_store_2addr_b64 v0, v[92:93], v[94:95] offset1:1
	s_wait_loadcnt 0x0
	s_clause 0x1
	scratch_store_b128 off, v[96:99], s43
	scratch_store_b128 v100, v[92:95], off offset:-16
.LBB57_426:
	global_load_b32 v1, v1, s[16:17] offset:96
	s_wait_loadcnt 0x0
	v_cmp_eq_u32_e32 vcc_lo, 25, v1
	s_cbranch_vccnz .LBB57_428
; %bb.427:
	s_wait_xcnt 0x0
	v_lshlrev_b32_e32 v1, 4, v1
	s_clause 0x1
	scratch_load_b128 v[92:95], off, s40
	scratch_load_b128 v[96:99], v1, off offset:-16
	s_wait_loadcnt 0x1
	ds_store_2addr_b64 v0, v[92:93], v[94:95] offset1:1
	s_wait_loadcnt 0x0
	s_clause 0x1
	scratch_store_b128 off, v[96:99], s40
	scratch_store_b128 v1, v[92:95], off offset:-16
.LBB57_428:
	s_wait_xcnt 0x0
	v_mov_b32_e32 v1, 0
	global_load_b32 v92, v1, s[16:17] offset:92
	s_wait_loadcnt 0x0
	v_cmp_eq_u32_e32 vcc_lo, 24, v92
	s_cbranch_vccnz .LBB57_430
; %bb.429:
	v_lshlrev_b32_e32 v92, 4, v92
	s_delay_alu instid0(VALU_DEP_1)
	v_mov_b32_e32 v100, v92
	s_clause 0x1
	scratch_load_b128 v[92:95], off, s33
	scratch_load_b128 v[96:99], v100, off offset:-16
	s_wait_loadcnt 0x1
	ds_store_2addr_b64 v0, v[92:93], v[94:95] offset1:1
	s_wait_loadcnt 0x0
	s_clause 0x1
	scratch_store_b128 off, v[96:99], s33
	scratch_store_b128 v100, v[92:95], off offset:-16
.LBB57_430:
	global_load_b32 v1, v1, s[16:17] offset:88
	s_wait_loadcnt 0x0
	v_cmp_eq_u32_e32 vcc_lo, 23, v1
	s_cbranch_vccnz .LBB57_432
; %bb.431:
	s_wait_xcnt 0x0
	v_lshlrev_b32_e32 v1, 4, v1
	s_clause 0x1
	scratch_load_b128 v[92:95], off, s27
	scratch_load_b128 v[96:99], v1, off offset:-16
	s_wait_loadcnt 0x1
	ds_store_2addr_b64 v0, v[92:93], v[94:95] offset1:1
	s_wait_loadcnt 0x0
	s_clause 0x1
	scratch_store_b128 off, v[96:99], s27
	scratch_store_b128 v1, v[92:95], off offset:-16
.LBB57_432:
	s_wait_xcnt 0x0
	v_mov_b32_e32 v1, 0
	global_load_b32 v92, v1, s[16:17] offset:84
	s_wait_loadcnt 0x0
	v_cmp_eq_u32_e32 vcc_lo, 22, v92
	s_cbranch_vccnz .LBB57_434
; %bb.433:
	v_lshlrev_b32_e32 v92, 4, v92
	s_delay_alu instid0(VALU_DEP_1)
	v_mov_b32_e32 v100, v92
	s_clause 0x1
	scratch_load_b128 v[92:95], off, s61
	scratch_load_b128 v[96:99], v100, off offset:-16
	s_wait_loadcnt 0x1
	ds_store_2addr_b64 v0, v[92:93], v[94:95] offset1:1
	s_wait_loadcnt 0x0
	s_clause 0x1
	scratch_store_b128 off, v[96:99], s61
	scratch_store_b128 v100, v[92:95], off offset:-16
.LBB57_434:
	global_load_b32 v1, v1, s[16:17] offset:80
	s_wait_loadcnt 0x0
	v_cmp_eq_u32_e32 vcc_lo, 21, v1
	s_cbranch_vccnz .LBB57_436
; %bb.435:
	s_wait_xcnt 0x0
	v_lshlrev_b32_e32 v1, 4, v1
	s_clause 0x1
	scratch_load_b128 v[92:95], off, s67
	scratch_load_b128 v[96:99], v1, off offset:-16
	s_wait_loadcnt 0x1
	ds_store_2addr_b64 v0, v[92:93], v[94:95] offset1:1
	s_wait_loadcnt 0x0
	s_clause 0x1
	scratch_store_b128 off, v[96:99], s67
	scratch_store_b128 v1, v[92:95], off offset:-16
.LBB57_436:
	s_wait_xcnt 0x0
	v_mov_b32_e32 v1, 0
	global_load_b32 v92, v1, s[16:17] offset:76
	s_wait_loadcnt 0x0
	v_cmp_eq_u32_e32 vcc_lo, 20, v92
	s_cbranch_vccnz .LBB57_438
; %bb.437:
	v_lshlrev_b32_e32 v92, 4, v92
	s_delay_alu instid0(VALU_DEP_1)
	v_mov_b32_e32 v100, v92
	s_clause 0x1
	scratch_load_b128 v[92:95], off, s66
	scratch_load_b128 v[96:99], v100, off offset:-16
	s_wait_loadcnt 0x1
	ds_store_2addr_b64 v0, v[92:93], v[94:95] offset1:1
	s_wait_loadcnt 0x0
	s_clause 0x1
	scratch_store_b128 off, v[96:99], s66
	scratch_store_b128 v100, v[92:95], off offset:-16
.LBB57_438:
	global_load_b32 v1, v1, s[16:17] offset:72
	s_wait_loadcnt 0x0
	v_cmp_eq_u32_e32 vcc_lo, 19, v1
	s_cbranch_vccnz .LBB57_440
; %bb.439:
	s_wait_xcnt 0x0
	v_lshlrev_b32_e32 v1, 4, v1
	s_clause 0x1
	scratch_load_b128 v[92:95], off, s64
	scratch_load_b128 v[96:99], v1, off offset:-16
	s_wait_loadcnt 0x1
	ds_store_2addr_b64 v0, v[92:93], v[94:95] offset1:1
	s_wait_loadcnt 0x0
	s_clause 0x1
	scratch_store_b128 off, v[96:99], s64
	scratch_store_b128 v1, v[92:95], off offset:-16
.LBB57_440:
	s_wait_xcnt 0x0
	v_mov_b32_e32 v1, 0
	global_load_b32 v92, v1, s[16:17] offset:68
	s_wait_loadcnt 0x0
	v_cmp_eq_u32_e32 vcc_lo, 18, v92
	s_cbranch_vccnz .LBB57_442
; %bb.441:
	v_lshlrev_b32_e32 v92, 4, v92
	s_delay_alu instid0(VALU_DEP_1)
	v_mov_b32_e32 v100, v92
	s_clause 0x1
	scratch_load_b128 v[92:95], off, s62
	scratch_load_b128 v[96:99], v100, off offset:-16
	s_wait_loadcnt 0x1
	ds_store_2addr_b64 v0, v[92:93], v[94:95] offset1:1
	s_wait_loadcnt 0x0
	s_clause 0x1
	scratch_store_b128 off, v[96:99], s62
	scratch_store_b128 v100, v[92:95], off offset:-16
.LBB57_442:
	global_load_b32 v1, v1, s[16:17] offset:64
	s_wait_loadcnt 0x0
	v_cmp_eq_u32_e32 vcc_lo, 17, v1
	s_cbranch_vccnz .LBB57_444
; %bb.443:
	s_wait_xcnt 0x0
	v_lshlrev_b32_e32 v1, 4, v1
	s_clause 0x1
	scratch_load_b128 v[92:95], off, s59
	scratch_load_b128 v[96:99], v1, off offset:-16
	s_wait_loadcnt 0x1
	ds_store_2addr_b64 v0, v[92:93], v[94:95] offset1:1
	s_wait_loadcnt 0x0
	s_clause 0x1
	scratch_store_b128 off, v[96:99], s59
	scratch_store_b128 v1, v[92:95], off offset:-16
.LBB57_444:
	s_wait_xcnt 0x0
	v_mov_b32_e32 v1, 0
	global_load_b32 v92, v1, s[16:17] offset:60
	s_wait_loadcnt 0x0
	v_cmp_eq_u32_e32 vcc_lo, 16, v92
	s_cbranch_vccnz .LBB57_446
; %bb.445:
	v_lshlrev_b32_e32 v92, 4, v92
	s_delay_alu instid0(VALU_DEP_1)
	v_mov_b32_e32 v100, v92
	s_clause 0x1
	scratch_load_b128 v[92:95], off, s56
	scratch_load_b128 v[96:99], v100, off offset:-16
	s_wait_loadcnt 0x1
	ds_store_2addr_b64 v0, v[92:93], v[94:95] offset1:1
	s_wait_loadcnt 0x0
	s_clause 0x1
	scratch_store_b128 off, v[96:99], s56
	scratch_store_b128 v100, v[92:95], off offset:-16
.LBB57_446:
	global_load_b32 v1, v1, s[16:17] offset:56
	s_wait_loadcnt 0x0
	v_cmp_eq_u32_e32 vcc_lo, 15, v1
	s_cbranch_vccnz .LBB57_448
; %bb.447:
	s_wait_xcnt 0x0
	v_lshlrev_b32_e32 v1, 4, v1
	s_clause 0x1
	scratch_load_b128 v[92:95], off, s65
	scratch_load_b128 v[96:99], v1, off offset:-16
	s_wait_loadcnt 0x1
	ds_store_2addr_b64 v0, v[92:93], v[94:95] offset1:1
	s_wait_loadcnt 0x0
	s_clause 0x1
	scratch_store_b128 off, v[96:99], s65
	scratch_store_b128 v1, v[92:95], off offset:-16
.LBB57_448:
	s_wait_xcnt 0x0
	v_mov_b32_e32 v1, 0
	global_load_b32 v92, v1, s[16:17] offset:52
	s_wait_loadcnt 0x0
	v_cmp_eq_u32_e32 vcc_lo, 14, v92
	s_cbranch_vccnz .LBB57_450
; %bb.449:
	v_lshlrev_b32_e32 v92, 4, v92
	s_delay_alu instid0(VALU_DEP_1)
	v_mov_b32_e32 v100, v92
	s_clause 0x1
	scratch_load_b128 v[92:95], off, s63
	scratch_load_b128 v[96:99], v100, off offset:-16
	s_wait_loadcnt 0x1
	ds_store_2addr_b64 v0, v[92:93], v[94:95] offset1:1
	s_wait_loadcnt 0x0
	s_clause 0x1
	scratch_store_b128 off, v[96:99], s63
	scratch_store_b128 v100, v[92:95], off offset:-16
.LBB57_450:
	global_load_b32 v1, v1, s[16:17] offset:48
	s_wait_loadcnt 0x0
	v_cmp_eq_u32_e32 vcc_lo, 13, v1
	s_cbranch_vccnz .LBB57_452
; %bb.451:
	s_wait_xcnt 0x0
	v_lshlrev_b32_e32 v1, 4, v1
	s_clause 0x1
	scratch_load_b128 v[92:95], off, s60
	scratch_load_b128 v[96:99], v1, off offset:-16
	s_wait_loadcnt 0x1
	ds_store_2addr_b64 v0, v[92:93], v[94:95] offset1:1
	s_wait_loadcnt 0x0
	s_clause 0x1
	scratch_store_b128 off, v[96:99], s60
	scratch_store_b128 v1, v[92:95], off offset:-16
.LBB57_452:
	s_wait_xcnt 0x0
	v_mov_b32_e32 v1, 0
	global_load_b32 v92, v1, s[16:17] offset:44
	s_wait_loadcnt 0x0
	v_cmp_eq_u32_e32 vcc_lo, 12, v92
	s_cbranch_vccnz .LBB57_454
; %bb.453:
	v_lshlrev_b32_e32 v92, 4, v92
	s_delay_alu instid0(VALU_DEP_1)
	v_mov_b32_e32 v100, v92
	s_clause 0x1
	scratch_load_b128 v[92:95], off, s57
	scratch_load_b128 v[96:99], v100, off offset:-16
	s_wait_loadcnt 0x1
	ds_store_2addr_b64 v0, v[92:93], v[94:95] offset1:1
	s_wait_loadcnt 0x0
	s_clause 0x1
	scratch_store_b128 off, v[96:99], s57
	scratch_store_b128 v100, v[92:95], off offset:-16
.LBB57_454:
	global_load_b32 v1, v1, s[16:17] offset:40
	s_wait_loadcnt 0x0
	v_cmp_eq_u32_e32 vcc_lo, 11, v1
	s_cbranch_vccnz .LBB57_456
; %bb.455:
	s_wait_xcnt 0x0
	v_lshlrev_b32_e32 v1, 4, v1
	s_clause 0x1
	scratch_load_b128 v[92:95], off, s55
	scratch_load_b128 v[96:99], v1, off offset:-16
	s_wait_loadcnt 0x1
	ds_store_2addr_b64 v0, v[92:93], v[94:95] offset1:1
	s_wait_loadcnt 0x0
	s_clause 0x1
	scratch_store_b128 off, v[96:99], s55
	scratch_store_b128 v1, v[92:95], off offset:-16
.LBB57_456:
	s_wait_xcnt 0x0
	v_mov_b32_e32 v1, 0
	global_load_b32 v92, v1, s[16:17] offset:36
	s_wait_loadcnt 0x0
	v_cmp_eq_u32_e32 vcc_lo, 10, v92
	s_cbranch_vccnz .LBB57_458
; %bb.457:
	v_lshlrev_b32_e32 v92, 4, v92
	s_delay_alu instid0(VALU_DEP_1)
	v_mov_b32_e32 v100, v92
	s_clause 0x1
	scratch_load_b128 v[92:95], off, s54
	scratch_load_b128 v[96:99], v100, off offset:-16
	s_wait_loadcnt 0x1
	ds_store_2addr_b64 v0, v[92:93], v[94:95] offset1:1
	s_wait_loadcnt 0x0
	s_clause 0x1
	scratch_store_b128 off, v[96:99], s54
	scratch_store_b128 v100, v[92:95], off offset:-16
.LBB57_458:
	global_load_b32 v1, v1, s[16:17] offset:32
	s_wait_loadcnt 0x0
	v_cmp_eq_u32_e32 vcc_lo, 9, v1
	s_cbranch_vccnz .LBB57_460
; %bb.459:
	s_wait_xcnt 0x0
	v_lshlrev_b32_e32 v1, 4, v1
	s_clause 0x1
	scratch_load_b128 v[92:95], off, s53
	scratch_load_b128 v[96:99], v1, off offset:-16
	s_wait_loadcnt 0x1
	ds_store_2addr_b64 v0, v[92:93], v[94:95] offset1:1
	s_wait_loadcnt 0x0
	s_clause 0x1
	scratch_store_b128 off, v[96:99], s53
	scratch_store_b128 v1, v[92:95], off offset:-16
.LBB57_460:
	s_wait_xcnt 0x0
	v_mov_b32_e32 v1, 0
	global_load_b32 v92, v1, s[16:17] offset:28
	s_wait_loadcnt 0x0
	v_cmp_eq_u32_e32 vcc_lo, 8, v92
	s_cbranch_vccnz .LBB57_462
; %bb.461:
	v_lshlrev_b32_e32 v92, 4, v92
	s_delay_alu instid0(VALU_DEP_1)
	v_mov_b32_e32 v100, v92
	s_clause 0x1
	scratch_load_b128 v[92:95], off, s58
	scratch_load_b128 v[96:99], v100, off offset:-16
	s_wait_loadcnt 0x1
	ds_store_2addr_b64 v0, v[92:93], v[94:95] offset1:1
	s_wait_loadcnt 0x0
	s_clause 0x1
	scratch_store_b128 off, v[96:99], s58
	scratch_store_b128 v100, v[92:95], off offset:-16
.LBB57_462:
	global_load_b32 v1, v1, s[16:17] offset:24
	s_wait_loadcnt 0x0
	v_cmp_eq_u32_e32 vcc_lo, 7, v1
	s_cbranch_vccnz .LBB57_464
; %bb.463:
	s_wait_xcnt 0x0
	v_lshlrev_b32_e32 v1, 4, v1
	s_clause 0x1
	scratch_load_b128 v[92:95], off, s68
	scratch_load_b128 v[96:99], v1, off offset:-16
	s_wait_loadcnt 0x1
	ds_store_2addr_b64 v0, v[92:93], v[94:95] offset1:1
	s_wait_loadcnt 0x0
	s_clause 0x1
	scratch_store_b128 off, v[96:99], s68
	scratch_store_b128 v1, v[92:95], off offset:-16
.LBB57_464:
	s_wait_xcnt 0x0
	v_mov_b32_e32 v1, 0
	global_load_b32 v92, v1, s[16:17] offset:20
	s_wait_loadcnt 0x0
	v_cmp_eq_u32_e32 vcc_lo, 6, v92
	s_cbranch_vccnz .LBB57_466
; %bb.465:
	v_lshlrev_b32_e32 v92, 4, v92
	s_delay_alu instid0(VALU_DEP_1)
	v_mov_b32_e32 v100, v92
	s_clause 0x1
	scratch_load_b128 v[92:95], off, s69
	scratch_load_b128 v[96:99], v100, off offset:-16
	s_wait_loadcnt 0x1
	ds_store_2addr_b64 v0, v[92:93], v[94:95] offset1:1
	s_wait_loadcnt 0x0
	s_clause 0x1
	scratch_store_b128 off, v[96:99], s69
	scratch_store_b128 v100, v[92:95], off offset:-16
.LBB57_466:
	global_load_b32 v1, v1, s[16:17] offset:16
	s_wait_loadcnt 0x0
	v_cmp_eq_u32_e32 vcc_lo, 5, v1
	s_cbranch_vccnz .LBB57_468
; %bb.467:
	s_wait_xcnt 0x0
	v_lshlrev_b32_e32 v1, 4, v1
	s_clause 0x1
	scratch_load_b128 v[92:95], off, s49
	scratch_load_b128 v[96:99], v1, off offset:-16
	s_wait_loadcnt 0x1
	ds_store_2addr_b64 v0, v[92:93], v[94:95] offset1:1
	s_wait_loadcnt 0x0
	s_clause 0x1
	scratch_store_b128 off, v[96:99], s49
	scratch_store_b128 v1, v[92:95], off offset:-16
.LBB57_468:
	s_wait_xcnt 0x0
	v_mov_b32_e32 v1, 0
	global_load_b32 v92, v1, s[16:17] offset:12
	s_wait_loadcnt 0x0
	v_cmp_eq_u32_e32 vcc_lo, 4, v92
	s_cbranch_vccnz .LBB57_470
; %bb.469:
	v_lshlrev_b32_e32 v92, 4, v92
	s_delay_alu instid0(VALU_DEP_1)
	v_mov_b32_e32 v100, v92
	s_clause 0x1
	scratch_load_b128 v[92:95], off, s50
	scratch_load_b128 v[96:99], v100, off offset:-16
	s_wait_loadcnt 0x1
	ds_store_2addr_b64 v0, v[92:93], v[94:95] offset1:1
	s_wait_loadcnt 0x0
	s_clause 0x1
	scratch_store_b128 off, v[96:99], s50
	scratch_store_b128 v100, v[92:95], off offset:-16
.LBB57_470:
	global_load_b32 v1, v1, s[16:17] offset:8
	s_wait_loadcnt 0x0
	v_cmp_eq_u32_e32 vcc_lo, 3, v1
	s_cbranch_vccnz .LBB57_472
; %bb.471:
	s_wait_xcnt 0x0
	v_lshlrev_b32_e32 v1, 4, v1
	s_clause 0x1
	scratch_load_b128 v[92:95], off, s51
	scratch_load_b128 v[96:99], v1, off offset:-16
	s_wait_loadcnt 0x1
	ds_store_2addr_b64 v0, v[92:93], v[94:95] offset1:1
	s_wait_loadcnt 0x0
	s_clause 0x1
	scratch_store_b128 off, v[96:99], s51
	scratch_store_b128 v1, v[92:95], off offset:-16
.LBB57_472:
	s_wait_xcnt 0x0
	v_mov_b32_e32 v1, 0
	global_load_b32 v92, v1, s[16:17] offset:4
	s_wait_loadcnt 0x0
	v_cmp_eq_u32_e32 vcc_lo, 2, v92
	s_cbranch_vccnz .LBB57_474
; %bb.473:
	v_lshlrev_b32_e32 v92, 4, v92
	s_delay_alu instid0(VALU_DEP_1)
	v_mov_b32_e32 v100, v92
	s_clause 0x1
	scratch_load_b128 v[92:95], off, s52
	scratch_load_b128 v[96:99], v100, off offset:-16
	s_wait_loadcnt 0x1
	ds_store_2addr_b64 v0, v[92:93], v[94:95] offset1:1
	s_wait_loadcnt 0x0
	s_clause 0x1
	scratch_store_b128 off, v[96:99], s52
	scratch_store_b128 v100, v[92:95], off offset:-16
.LBB57_474:
	global_load_b32 v1, v1, s[16:17]
	s_wait_loadcnt 0x0
	v_cmp_eq_u32_e32 vcc_lo, 1, v1
	s_cbranch_vccnz .LBB57_476
; %bb.475:
	s_wait_xcnt 0x0
	v_lshlrev_b32_e32 v1, 4, v1
	scratch_load_b128 v[92:95], off, off
	scratch_load_b128 v[96:99], v1, off offset:-16
	s_wait_loadcnt 0x1
	ds_store_2addr_b64 v0, v[92:93], v[94:95] offset1:1
	s_wait_loadcnt 0x0
	scratch_store_b128 off, v[96:99], off
	scratch_store_b128 v1, v[92:95], off offset:-16
.LBB57_476:
	scratch_load_b128 v[92:95], off, off
	s_clause 0x20
	scratch_load_b128 v[96:99], off, s52
	scratch_load_b128 v[100:103], off, s51
	;; [unrolled: 1-line block ×21, first 2 shown]
	; meta instruction
	; meta instruction
	;; [unrolled: 1-line block ×15, first 2 shown]
	scratch_load_b128 v[208:211], off, s27
	scratch_load_b128 v[212:215], off, s33
	;; [unrolled: 1-line block ×12, first 2 shown]
	s_wait_loadcnt 0x21
	global_store_b128 v[14:15], v[92:95], off
	s_wait_loadcnt 0x20
	global_store_b128 v[16:17], v[96:99], off
	s_clause 0x1
	scratch_load_b128 v[14:17], off, s36
	scratch_load_b128 v[92:95], off, s37
	s_wait_loadcnt 0x21
	global_store_b128 v[154:155], v[100:103], off
	s_clause 0x1
	scratch_load_b128 v[96:99], off, s28
	scratch_load_b128 v[100:103], off, s31
	;; [unrolled: 5-line block ×3, first 2 shown]
	s_wait_loadcnt 0x23
	global_store_b128 v[148:149], v[108:111], off
	s_wait_loadcnt 0x22
	global_store_b128 v[150:151], v[112:115], off
	s_clause 0x1
	scratch_load_b128 v[108:111], off, s22
	scratch_load_b128 v[112:115], off, s23
	s_wait_loadcnt 0x23
	global_store_b128 v[146:147], v[116:119], off
	s_clause 0x1
	scratch_load_b128 v[116:119], off, s20
	scratch_load_b128 v[146:149], off, s21
	s_wait_loadcnt 0x24
	global_store_b128 v[144:145], v[120:123], off
	s_clause 0x2
	scratch_load_b128 v[120:123], off, s14
	s_set_vgpr_msb 64                       ;  msbs: dst=1 src0=0 src1=0 src2=0
	scratch_load_b128 v[0:3] /*v[256:259]*/, off, s15
	s_wait_loadcnt 0x25
	global_store_b128 v[140:141], v[124:127], off
	s_wait_loadcnt 0x24
	global_store_b128 v[142:143], v[156:159], off
	s_set_vgpr_msb 0                        ;  msbs: dst=0 src0=0 src1=0 src2=0
	s_clause 0x1
	scratch_load_b128 v[124:127], off, s12
	scratch_load_b128 v[140:143], off, s13
	s_wait_loadcnt 0x25
	global_store_b128 v[138:139], v[160:163], off
	s_clause 0x1
	scratch_load_b128 v[156:159], off, s10
	scratch_load_b128 v[160:163], off, s11
	s_wait_loadcnt 0x26
	global_store_b128 v[136:137], v[164:167], off
	;; [unrolled: 5-line block ×3, first 2 shown]
	s_wait_loadcnt 0x26
	global_store_b128 v[134:135], v[172:175], off
	s_clause 0x1
	scratch_load_b128 v[132:135], off, s38
	scratch_load_b128 v[168:171], off, s41
	s_wait_loadcnt 0x27
	global_store_b128 v[130:131], v[176:179], off
	s_clause 0x1
	scratch_load_b128 v[128:131], off, s30
	scratch_load_b128 v[172:175], off, s35
	;; [unrolled: 5-line block ×3, first 2 shown]
	s_wait_loadcnt 0x29
	global_store_b128 v[2:3], v[184:187], off
	s_wait_loadcnt 0x28
	global_store_b128 v[4:5], v[188:191], off
	s_wait_loadcnt 0x27
	global_store_b128 v[6:7], v[192:195], off
	s_wait_loadcnt 0x26
	global_store_b128 v[8:9], v[196:199], off
	s_wait_loadcnt 0x25
	global_store_b128 v[10:11], v[200:203], off
	s_wait_loadcnt 0x24
	global_store_b128 v[12:13], v[204:207], off
	s_wait_loadcnt 0x23
	global_store_b128 v[18:19], v[208:211], off
	s_wait_loadcnt 0x22
	global_store_b128 v[20:21], v[212:215], off
	s_wait_loadcnt 0x21
	global_store_b128 v[22:23], v[216:219], off
	s_wait_loadcnt 0x20
	global_store_b128 v[24:25], v[220:223], off
	s_wait_loadcnt 0x1f
	global_store_b128 v[26:27], v[224:227], off
	s_wait_loadcnt 0x1e
	global_store_b128 v[28:29], v[228:231], off
	s_wait_loadcnt 0x1d
	global_store_b128 v[32:33], v[232:235], off
	s_wait_loadcnt 0x1c
	global_store_b128 v[34:35], v[236:239], off
	s_wait_loadcnt 0x1b
	global_store_b128 v[36:37], v[240:243], off
	s_wait_loadcnt 0x1a
	global_store_b128 v[38:39], v[244:247], off
	s_wait_loadcnt 0x19
	global_store_b128 v[40:41], v[248:251], off
	s_wait_loadcnt 0x17
	global_store_b128 v[42:43], v[14:17], off
	s_wait_loadcnt 0x16
	global_store_b128 v[44:45], v[92:95], off
	s_wait_loadcnt 0x15
	global_store_b128 v[46:47], v[96:99], off
	s_wait_loadcnt 0x14
	global_store_b128 v[48:49], v[100:103], off
	s_wait_loadcnt 0x13
	global_store_b128 v[50:51], v[104:107], off
	s_wait_loadcnt 0x12
	global_store_b128 v[52:53], v[152:155], off
	s_wait_loadcnt 0x11
	global_store_b128 v[54:55], v[108:111], off
	s_wait_loadcnt 0x10
	global_store_b128 v[56:57], v[112:115], off
	s_wait_loadcnt 0xf
	global_store_b128 v[58:59], v[116:119], off
	s_wait_loadcnt 0xe
	global_store_b128 v[60:61], v[146:149], off
	s_wait_loadcnt 0xd
	global_store_b128 v[62:63], v[120:123], off
	s_wait_loadcnt 0xc
	s_set_vgpr_msb 4                        ;  msbs: dst=0 src0=0 src1=1 src2=0
	global_store_b128 v[64:65], v[0:3] /*v[256:259]*/, off
	s_wait_loadcnt 0xb
	s_set_vgpr_msb 0                        ;  msbs: dst=0 src0=0 src1=0 src2=0
	global_store_b128 v[66:67], v[124:127], off
	s_wait_loadcnt 0xa
	global_store_b128 v[68:69], v[140:143], off
	s_wait_loadcnt 0x9
	;; [unrolled: 2-line block ×11, first 2 shown]
	s_clause 0x1
	global_store_b128 v[88:89], v[180:183], off
	global_store_b128 v[90:91], v[252:255], off
	s_sendmsg sendmsg(MSG_DEALLOC_VGPRS)
	s_endpgm
	.section	.rodata,"a",@progbits
	.p2align	6, 0x0
	.amdhsa_kernel _ZN9rocsolver6v33100L18getri_kernel_smallILi58E19rocblas_complex_numIdEPS3_EEvT1_iilPiilS6_bb
		.amdhsa_group_segment_fixed_size 2888
		.amdhsa_private_segment_fixed_size 944
		.amdhsa_kernarg_size 60
		.amdhsa_user_sgpr_count 4
		.amdhsa_user_sgpr_dispatch_ptr 1
		.amdhsa_user_sgpr_queue_ptr 0
		.amdhsa_user_sgpr_kernarg_segment_ptr 1
		.amdhsa_user_sgpr_dispatch_id 0
		.amdhsa_user_sgpr_kernarg_preload_length 0
		.amdhsa_user_sgpr_kernarg_preload_offset 0
		.amdhsa_user_sgpr_private_segment_size 0
		.amdhsa_wavefront_size32 1
		.amdhsa_uses_dynamic_stack 0
		.amdhsa_enable_private_segment 1
		.amdhsa_system_sgpr_workgroup_id_x 1
		.amdhsa_system_sgpr_workgroup_id_y 0
		.amdhsa_system_sgpr_workgroup_id_z 0
		.amdhsa_system_sgpr_workgroup_info 0
		.amdhsa_system_vgpr_workitem_id 2
		.amdhsa_next_free_vgpr 264
		.amdhsa_next_free_sgpr 96
		.amdhsa_named_barrier_count 0
		.amdhsa_reserve_vcc 1
		.amdhsa_float_round_mode_32 0
		.amdhsa_float_round_mode_16_64 0
		.amdhsa_float_denorm_mode_32 3
		.amdhsa_float_denorm_mode_16_64 3
		.amdhsa_fp16_overflow 0
		.amdhsa_memory_ordered 1
		.amdhsa_forward_progress 1
		.amdhsa_inst_pref_size 255
		.amdhsa_round_robin_scheduling 0
		.amdhsa_exception_fp_ieee_invalid_op 0
		.amdhsa_exception_fp_denorm_src 0
		.amdhsa_exception_fp_ieee_div_zero 0
		.amdhsa_exception_fp_ieee_overflow 0
		.amdhsa_exception_fp_ieee_underflow 0
		.amdhsa_exception_fp_ieee_inexact 0
		.amdhsa_exception_int_div_zero 0
	.end_amdhsa_kernel
	.section	.text._ZN9rocsolver6v33100L18getri_kernel_smallILi58E19rocblas_complex_numIdEPS3_EEvT1_iilPiilS6_bb,"axG",@progbits,_ZN9rocsolver6v33100L18getri_kernel_smallILi58E19rocblas_complex_numIdEPS3_EEvT1_iilPiilS6_bb,comdat
.Lfunc_end57:
	.size	_ZN9rocsolver6v33100L18getri_kernel_smallILi58E19rocblas_complex_numIdEPS3_EEvT1_iilPiilS6_bb, .Lfunc_end57-_ZN9rocsolver6v33100L18getri_kernel_smallILi58E19rocblas_complex_numIdEPS3_EEvT1_iilPiilS6_bb
                                        ; -- End function
	.set _ZN9rocsolver6v33100L18getri_kernel_smallILi58E19rocblas_complex_numIdEPS3_EEvT1_iilPiilS6_bb.num_vgpr, 264
	.set _ZN9rocsolver6v33100L18getri_kernel_smallILi58E19rocblas_complex_numIdEPS3_EEvT1_iilPiilS6_bb.num_agpr, 0
	.set _ZN9rocsolver6v33100L18getri_kernel_smallILi58E19rocblas_complex_numIdEPS3_EEvT1_iilPiilS6_bb.numbered_sgpr, 96
	.set _ZN9rocsolver6v33100L18getri_kernel_smallILi58E19rocblas_complex_numIdEPS3_EEvT1_iilPiilS6_bb.num_named_barrier, 0
	.set _ZN9rocsolver6v33100L18getri_kernel_smallILi58E19rocblas_complex_numIdEPS3_EEvT1_iilPiilS6_bb.private_seg_size, 944
	.set _ZN9rocsolver6v33100L18getri_kernel_smallILi58E19rocblas_complex_numIdEPS3_EEvT1_iilPiilS6_bb.uses_vcc, 1
	.set _ZN9rocsolver6v33100L18getri_kernel_smallILi58E19rocblas_complex_numIdEPS3_EEvT1_iilPiilS6_bb.uses_flat_scratch, 1
	.set _ZN9rocsolver6v33100L18getri_kernel_smallILi58E19rocblas_complex_numIdEPS3_EEvT1_iilPiilS6_bb.has_dyn_sized_stack, 0
	.set _ZN9rocsolver6v33100L18getri_kernel_smallILi58E19rocblas_complex_numIdEPS3_EEvT1_iilPiilS6_bb.has_recursion, 0
	.set _ZN9rocsolver6v33100L18getri_kernel_smallILi58E19rocblas_complex_numIdEPS3_EEvT1_iilPiilS6_bb.has_indirect_call, 0
	.section	.AMDGPU.csdata,"",@progbits
; Kernel info:
; codeLenInByte = 122076
; TotalNumSgprs: 98
; NumVgprs: 264
; ScratchSize: 944
; MemoryBound: 0
; FloatMode: 240
; IeeeMode: 1
; LDSByteSize: 2888 bytes/workgroup (compile time only)
; SGPRBlocks: 0
; VGPRBlocks: 16
; NumSGPRsForWavesPerEU: 98
; NumVGPRsForWavesPerEU: 264
; NamedBarCnt: 0
; Occupancy: 3
; WaveLimiterHint : 1
; COMPUTE_PGM_RSRC2:SCRATCH_EN: 1
; COMPUTE_PGM_RSRC2:USER_SGPR: 4
; COMPUTE_PGM_RSRC2:TRAP_HANDLER: 0
; COMPUTE_PGM_RSRC2:TGID_X_EN: 1
; COMPUTE_PGM_RSRC2:TGID_Y_EN: 0
; COMPUTE_PGM_RSRC2:TGID_Z_EN: 0
; COMPUTE_PGM_RSRC2:TIDIG_COMP_CNT: 2
	.section	.text._ZN9rocsolver6v33100L18getri_kernel_smallILi59E19rocblas_complex_numIdEPS3_EEvT1_iilPiilS6_bb,"axG",@progbits,_ZN9rocsolver6v33100L18getri_kernel_smallILi59E19rocblas_complex_numIdEPS3_EEvT1_iilPiilS6_bb,comdat
	.globl	_ZN9rocsolver6v33100L18getri_kernel_smallILi59E19rocblas_complex_numIdEPS3_EEvT1_iilPiilS6_bb ; -- Begin function _ZN9rocsolver6v33100L18getri_kernel_smallILi59E19rocblas_complex_numIdEPS3_EEvT1_iilPiilS6_bb
	.p2align	8
	.type	_ZN9rocsolver6v33100L18getri_kernel_smallILi59E19rocblas_complex_numIdEPS3_EEvT1_iilPiilS6_bb,@function
_ZN9rocsolver6v33100L18getri_kernel_smallILi59E19rocblas_complex_numIdEPS3_EEvT1_iilPiilS6_bb: ; @_ZN9rocsolver6v33100L18getri_kernel_smallILi59E19rocblas_complex_numIdEPS3_EEvT1_iilPiilS6_bb
; %bb.0:
	v_and_b32_e32 v1, 0x3ff, v0
	s_mov_b32 s4, exec_lo
	s_delay_alu instid0(VALU_DEP_1)
	v_cmpx_gt_u32_e32 59, v1
	s_cbranch_execz .LBB58_250
; %bb.1:
	s_clause 0x2
	s_load_b32 s8, s[2:3], 0x38
	s_load_b128 s[12:15], s[2:3], 0x10
	s_load_b128 s[4:7], s[2:3], 0x28
	s_getreg_b32 s11, hwreg(HW_REG_IB_STS2, 6, 4)
                                        ; implicit-def: $sgpr16_sgpr17
	s_wait_kmcnt 0x0
	s_bitcmp1_b32 s8, 8
	s_cselect_b32 s71, -1, 0
	s_bfe_u32 s9, ttmp6, 0x4000c
	s_and_b32 s10, ttmp6, 15
	s_add_co_i32 s9, s9, 1
	s_delay_alu instid0(SALU_CYCLE_1) | instskip(NEXT) | instid1(SALU_CYCLE_1)
	s_mul_i32 s9, ttmp9, s9
	s_add_co_i32 s10, s10, s9
	s_cmp_eq_u32 s11, 0
	s_cselect_b32 s18, ttmp9, s10
	s_bfe_u32 s8, s8, 0x10008
	s_ashr_i32 s19, s18, 31
	s_cmp_eq_u32 s8, 0
	s_cbranch_scc1 .LBB58_3
; %bb.2:
	s_load_b32 s8, s[2:3], 0x20
	s_mul_u64 s[4:5], s[4:5], s[18:19]
	s_delay_alu instid0(SALU_CYCLE_1) | instskip(NEXT) | instid1(SALU_CYCLE_1)
	s_lshl_b64 s[4:5], s[4:5], 2
	s_add_nc_u64 s[4:5], s[14:15], s[4:5]
	s_wait_kmcnt 0x0
	s_ashr_i32 s9, s8, 31
	s_delay_alu instid0(SALU_CYCLE_1) | instskip(NEXT) | instid1(SALU_CYCLE_1)
	s_lshl_b64 s[8:9], s[8:9], 2
	s_add_nc_u64 s[16:17], s[4:5], s[8:9]
.LBB58_3:
	s_clause 0x1
	s_load_b128 s[8:11], s[2:3], 0x0
	s_load_b32 s72, s[2:3], 0x38
	s_wait_xcnt 0x0
	s_mul_u64 s[2:3], s[12:13], s[18:19]
	s_movk_i32 s73, 0x210
	s_lshl_b64 s[2:3], s[2:3], 4
	s_movk_i32 s74, 0x220
	s_movk_i32 s75, 0x230
	;; [unrolled: 1-line block ×15, first 2 shown]
	s_wait_kmcnt 0x0
	v_add3_u32 v18, s11, s11, v1
	s_ashr_i32 s5, s10, 31
	s_mov_b32 s4, s10
	s_add_nc_u64 s[2:3], s[8:9], s[2:3]
	s_lshl_b64 s[4:5], s[4:5], 4
	v_add_nc_u32_e32 v20, s11, v18
	s_add_nc_u64 s[4:5], s[2:3], s[4:5]
	s_ashr_i32 s3, s11, 31
	s_mov_b32 s2, s11
	global_load_b128 v[2:5], v1, s[4:5] scale_offset
	v_add_nc_u32_e32 v22, s11, v20
	s_movk_i32 s89, 0x310
	s_movk_i32 s90, 0x320
	;; [unrolled: 1-line block ×4, first 2 shown]
	v_add_nc_u32_e32 v24, s11, v22
	s_movk_i32 s93, 0x350
	s_movk_i32 s94, 0x360
	;; [unrolled: 1-line block ×4, first 2 shown]
	v_add_nc_u32_e32 v26, s11, v24
	s_movk_i32 s97, 0x390
	s_movk_i32 s98, 0x3a0
	s_mov_b32 s52, 16
	s_mov_b32 s51, 32
	v_add_nc_u32_e32 v28, s11, v26
	s_mov_b32 s50, 48
	s_mov_b32 s49, 64
	s_movk_i32 s70, 0x50
	s_movk_i32 s69, 0x60
	v_add_nc_u32_e32 v30, s11, v28
	s_movk_i32 s68, 0x70
	s_movk_i32 s53, 0x80
	;; [unrolled: 1-line block ×4, first 2 shown]
	v_dual_add_nc_u32 v32, s11, v30 :: v_dual_lshlrev_b32 v132, 4, v1
	s_movk_i32 s57, 0xb0
	s_movk_i32 s59, 0xc0
	;; [unrolled: 1-line block ×3, first 2 shown]
	s_delay_alu instid0(VALU_DEP_1) | instskip(SKIP_3) | instid1(VALU_DEP_1)
	v_dual_mov_b32 v133, 0 :: v_dual_add_nc_u32 v34, s11, v32
	s_movk_i32 s65, 0xe0
	s_movk_i32 s56, 0xf0
	;; [unrolled: 1-line block ×3, first 2 shown]
	v_add_nc_u32_e32 v36, s11, v34
	v_add_nc_u64_e32 v[16:17], s[4:5], v[132:133]
	s_movk_i32 s61, 0x110
	s_movk_i32 s64, 0x120
	;; [unrolled: 1-line block ×3, first 2 shown]
	v_add_nc_u32_e32 v38, s11, v36
	s_movk_i32 s67, 0x140
	s_movk_i32 s60, 0x150
	v_lshl_add_u64 v[14:15], s[2:3], 4, v[16:17]
	s_movk_i32 s63, 0x160
	v_add_nc_u32_e32 v40, s11, v38
	s_clause 0x9
	global_load_b128 v[6:9], v18, s[4:5] scale_offset
	global_load_b128 v[10:13], v20, s[4:5] scale_offset
	global_load_b128 v[114:117], v[14:15], off
	global_load_b128 v[118:121], v22, s[4:5] scale_offset
	global_load_b128 v[122:125], v24, s[4:5] scale_offset
	;; [unrolled: 1-line block ×7, first 2 shown]
	v_add_nc_u32_e32 v42, s11, v40
	s_movk_i32 s39, 0x170
	s_movk_i32 s41, 0x180
	;; [unrolled: 1-line block ×4, first 2 shown]
	v_add_nc_u32_e32 v44, s11, v42
	s_movk_i32 s40, 0x1b0
	s_movk_i32 s42, 0x1c0
	;; [unrolled: 1-line block ×4, first 2 shown]
	v_add_nc_u32_e32 v46, s11, v44
	s_clause 0x4
	global_load_b128 v[150:153], v36, s[4:5] scale_offset
	global_load_b128 v[154:157], v38, s[4:5] scale_offset
	;; [unrolled: 1-line block ×5, first 2 shown]
	s_movk_i32 s47, 0x1f0
	s_movk_i32 s48, 0x200
	v_add_nc_u32_e32 v48, s11, v46
	s_mov_b32 s37, s73
	s_mov_b32 s38, s74
	s_mov_b32 s35, s75
	s_mov_b32 s36, s76
	v_add_nc_u32_e32 v50, s11, v48
	s_mov_b32 s33, s77
	s_mov_b32 s34, s78
	s_mov_b32 s30, s79
	s_mov_b32 s31, s80
	;; [unrolled: 5-line block ×3, first 2 shown]
	v_add_nc_u32_e32 v54, s11, v52
	s_clause 0x1
	global_load_b128 v[170:173], v46, s[4:5] scale_offset
	global_load_b128 v[174:177], v48, s[4:5] scale_offset
	s_mov_b32 s21, s85
	s_mov_b32 s22, s86
	;; [unrolled: 1-line block ×3, first 2 shown]
	v_add_nc_u32_e32 v56, s11, v54
	s_mov_b32 s20, s88
	s_mov_b32 s13, s89
	;; [unrolled: 1-line block ×4, first 2 shown]
	v_add_nc_u32_e32 v58, s11, v56
	s_clause 0x2
	global_load_b128 v[178:181], v50, s[4:5] scale_offset
	global_load_b128 v[182:185], v52, s[4:5] scale_offset
	;; [unrolled: 1-line block ×3, first 2 shown]
	s_mov_b32 s9, s93
	s_mov_b32 s10, s94
	s_clause 0x1
	global_load_b128 v[190:193], v56, s[4:5] scale_offset
	global_load_b128 v[194:197], v58, s[4:5] scale_offset
	v_add_nc_u32_e32 v60, s11, v58
	s_mov_b32 s8, s95
	s_mov_b32 s28, s96
	;; [unrolled: 1-line block ×4, first 2 shown]
	v_add_nc_u32_e32 v62, s11, v60
	s_bitcmp0_b32 s72, 0
	s_mov_b32 s3, -1
	s_delay_alu instid0(VALU_DEP_1) | instskip(NEXT) | instid1(VALU_DEP_1)
	v_add_nc_u32_e32 v64, s11, v62
	v_add_nc_u32_e32 v66, s11, v64
	s_delay_alu instid0(VALU_DEP_1) | instskip(NEXT) | instid1(VALU_DEP_1)
	v_add_nc_u32_e32 v68, s11, v66
	v_add_nc_u32_e32 v72, s11, v68
	s_clause 0x3
	global_load_b128 v[198:201], v60, s[4:5] scale_offset
	global_load_b128 v[202:205], v62, s[4:5] scale_offset
	;; [unrolled: 1-line block ×4, first 2 shown]
	v_add_nc_u32_e32 v70, s11, v72
	s_delay_alu instid0(VALU_DEP_1) | instskip(NEXT) | instid1(VALU_DEP_1)
	v_add_nc_u32_e32 v74, s11, v70
	v_add_nc_u32_e32 v76, s11, v74
	s_clause 0x2
	global_load_b128 v[214:217], v68, s[4:5] scale_offset
	global_load_b128 v[218:221], v72, s[4:5] scale_offset
	global_load_b128 v[222:225], v70, s[4:5] scale_offset
	v_add_nc_u32_e32 v78, s11, v76
	s_delay_alu instid0(VALU_DEP_1) | instskip(NEXT) | instid1(VALU_DEP_1)
	v_add_nc_u32_e32 v80, s11, v78
	v_add_nc_u32_e32 v82, s11, v80
	s_delay_alu instid0(VALU_DEP_1) | instskip(NEXT) | instid1(VALU_DEP_1)
	v_add_nc_u32_e32 v84, s11, v82
	v_add_nc_u32_e32 v86, s11, v84
	s_clause 0x3
	global_load_b128 v[226:229], v74, s[4:5] scale_offset
	global_load_b128 v[230:233], v76, s[4:5] scale_offset
	;; [unrolled: 1-line block ×4, first 2 shown]
	v_add_nc_u32_e32 v88, s11, v86
	s_delay_alu instid0(VALU_DEP_1) | instskip(SKIP_4) | instid1(VALU_DEP_1)
	v_add_nc_u32_e32 v90, s11, v88
	s_clause 0x1
	global_load_b128 v[242:245], v82, s[4:5] scale_offset
	global_load_b128 v[246:249], v84, s[4:5] scale_offset
	v_add_nc_u32_e32 v92, s11, v90
	v_add_nc_u32_e32 v94, s11, v92
	s_delay_alu instid0(VALU_DEP_1) | instskip(NEXT) | instid1(VALU_DEP_1)
	v_add_nc_u32_e32 v96, s11, v94
	v_add_nc_u32_e32 v98, s11, v96
	s_delay_alu instid0(VALU_DEP_1) | instskip(NEXT) | instid1(VALU_DEP_1)
	;; [unrolled: 3-line block ×4, first 2 shown]
	v_add_nc_u32_e32 v108, s11, v106
	v_add_nc_u32_e32 v110, s11, v108
	s_delay_alu instid0(VALU_DEP_1)
	v_add_nc_u32_e32 v112, s11, v110
	s_wait_loadcnt 0x23
	scratch_store_b128 off, v[2:5], off
	s_clause 0x1
	global_load_b128 v[2:5], v86, s[4:5] scale_offset
	global_load_b128 v[250:253], v88, s[4:5] scale_offset
	s_wait_loadcnt 0x24
	scratch_store_b128 off, v[6:9], off offset:32
	s_wait_loadcnt 0x23
	scratch_store_b128 off, v[10:13], off offset:48
	s_clause 0x1
	global_load_b128 v[6:9], v90, s[4:5] scale_offset
	global_load_b128 v[10:13], v92, s[4:5] scale_offset
	s_wait_loadcnt 0x24
	scratch_store_b128 off, v[114:117], off offset:16
	s_wait_xcnt 0x0
	v_add_nc_u32_e32 v114, s11, v112
	s_wait_loadcnt 0x23
	scratch_store_b128 off, v[118:121], off offset:64
	s_wait_loadcnt 0x22
	scratch_store_b128 off, v[122:125], off offset:80
	s_clause 0x2
	global_load_b128 v[254:257], v94, s[4:5] scale_offset
	s_set_vgpr_msb 64                       ;  msbs: dst=1 src0=0 src1=0 src2=0
	global_load_b128 v[2:5] /*v[258:261]*/, v96, s[4:5] scale_offset
	s_wait_loadcnt 0x23
	scratch_store_b128 off, v[126:129], off offset:96
	s_wait_loadcnt 0x22
	scratch_store_b128 off, v[134:137], off offset:112
	s_set_vgpr_msb 0                        ;  msbs: dst=0 src0=0 src1=0 src2=0
	s_clause 0x2
	global_load_b128 v[134:137], v98, s[4:5] scale_offset
	s_set_vgpr_msb 64                       ;  msbs: dst=1 src0=0 src1=0 src2=0
	global_load_b128 v[6:9] /*v[262:265]*/, v100, s[4:5] scale_offset
	s_set_vgpr_msb 0                        ;  msbs: dst=0 src0=0 src1=0 src2=0
	v_add_nc_u32_e32 v116, s11, v114
	s_wait_loadcnt 0x23
	scratch_store_b128 off, v[138:141], off offset:128
	s_wait_loadcnt 0x22
	scratch_store_b128 off, v[142:145], off offset:144
	;; [unrolled: 2-line block ×3, first 2 shown]
	s_clause 0x1
	global_load_b128 v[138:141], v102, s[4:5] scale_offset
	global_load_b128 v[142:145], v104, s[4:5] scale_offset
	s_wait_loadcnt 0x22
	scratch_store_b128 off, v[150:153], off offset:176
	s_wait_loadcnt 0x21
	scratch_store_b128 off, v[154:157], off offset:192
	v_add_nc_u32_e32 v118, s11, v116
	s_clause 0x1
	global_load_b128 v[146:149], v106, s[4:5] scale_offset
	global_load_b128 v[150:153], v108, s[4:5] scale_offset
	s_wait_loadcnt 0x22
	scratch_store_b128 off, v[158:161], off offset:208
	s_wait_loadcnt 0x21
	scratch_store_b128 off, v[162:165], off offset:224
	;; [unrolled: 2-line block ×3, first 2 shown]
	s_clause 0x1
	global_load_b128 v[154:157], v110, s[4:5] scale_offset
	global_load_b128 v[158:161], v112, s[4:5] scale_offset
	v_add_nc_u32_e32 v120, s11, v118
	s_wait_loadcnt 0x21
	scratch_store_b128 off, v[170:173], off offset:256
	s_wait_loadcnt 0x20
	scratch_store_b128 off, v[174:177], off offset:272
	v_add_nc_u32_e32 v122, s11, v120
	s_clause 0x1
	global_load_b128 v[162:165], v114, s[4:5] scale_offset
	global_load_b128 v[166:169], v116, s[4:5] scale_offset
	v_add_nc_u32_e32 v124, s11, v122
	s_wait_loadcnt 0x21
	scratch_store_b128 off, v[178:181], off offset:288
	s_wait_loadcnt 0x20
	scratch_store_b128 off, v[182:185], off offset:304
	;; [unrolled: 2-line block ×3, first 2 shown]
	v_add_nc_u32_e32 v126, s11, v124
	s_clause 0x1
	global_load_b128 v[170:173], v118, s[4:5] scale_offset
	global_load_b128 v[174:177], v120, s[4:5] scale_offset
	s_wait_loadcnt 0x20
	scratch_store_b128 off, v[190:193], off offset:336
	s_wait_loadcnt 0x1f
	scratch_store_b128 off, v[194:197], off offset:352
	s_clause 0x1
	global_load_b128 v[178:181], v122, s[4:5] scale_offset
	global_load_b128 v[182:185], v124, s[4:5] scale_offset
	s_wait_loadcnt 0x20
	scratch_store_b128 off, v[198:201], off offset:368
	s_wait_loadcnt 0x1f
	scratch_store_b128 off, v[202:205], off offset:384
	v_add_nc_u32_e32 v128, s11, v126
	s_clause 0x1
	global_load_b128 v[186:189], v126, s[4:5] scale_offset
	global_load_b128 v[190:193], v128, s[4:5] scale_offset
	v_add_nc_u32_e32 v130, s11, v128
	s_mov_b32 s11, s91
	s_wait_loadcnt 0x20
	scratch_store_b128 off, v[206:209], off offset:400
	s_wait_loadcnt 0x1f
	scratch_store_b128 off, v[210:213], off offset:416
	global_load_b128 v[194:197], v130, s[4:5] scale_offset
	s_wait_loadcnt 0x1f
	scratch_store_b128 off, v[214:217], off offset:432
	s_wait_loadcnt 0x1e
	scratch_store_b128 off, v[218:221], off offset:448
	;; [unrolled: 2-line block ×14, first 2 shown]
	s_wait_loadcnt 0x11
	s_set_vgpr_msb 4                        ;  msbs: dst=0 src0=0 src1=1 src2=0
	scratch_store_b128 off, v[2:5] /*v[258:261]*/, off offset:656
	s_wait_loadcnt 0x10
	s_set_vgpr_msb 0                        ;  msbs: dst=0 src0=0 src1=0 src2=0
	scratch_store_b128 off, v[134:137], off offset:672
	s_wait_loadcnt 0xf
	s_set_vgpr_msb 4                        ;  msbs: dst=0 src0=0 src1=1 src2=0
	scratch_store_b128 off, v[6:9] /*v[262:265]*/, off offset:688
	s_wait_loadcnt 0xe
	s_set_vgpr_msb 0                        ;  msbs: dst=0 src0=0 src1=0 src2=0
	scratch_store_b128 off, v[138:141], off offset:704
	s_wait_loadcnt 0xd
	scratch_store_b128 off, v[142:145], off offset:720
	s_wait_loadcnt 0xc
	;; [unrolled: 2-line block ×14, first 2 shown]
	scratch_store_b128 off, v[194:197], off offset:928
	s_cbranch_scc1 .LBB58_248
; %bb.4:
	v_cmp_eq_u32_e64 s2, 0, v1
	s_wait_xcnt 0x0
	s_and_saveexec_b32 s3, s2
; %bb.5:
	v_mov_b32_e32 v2, 0
	ds_store_b32 v2, v2 offset:1888
; %bb.6:
	s_or_b32 exec_lo, exec_lo, s3
	s_wait_storecnt_dscnt 0x0
	s_barrier_signal -1
	s_barrier_wait -1
	scratch_load_b128 v[2:5], v1, off scale_offset
	s_wait_loadcnt 0x0
	v_cmp_eq_f64_e32 vcc_lo, 0, v[2:3]
	v_cmp_eq_f64_e64 s3, 0, v[4:5]
	s_and_b32 s3, vcc_lo, s3
	s_delay_alu instid0(SALU_CYCLE_1)
	s_and_saveexec_b32 s72, s3
	s_cbranch_execz .LBB58_10
; %bb.7:
	v_mov_b32_e32 v2, 0
	s_mov_b32 s73, 0
	ds_load_b32 v3, v2 offset:1888
	s_wait_dscnt 0x0
	v_readfirstlane_b32 s3, v3
	v_add_nc_u32_e32 v3, 1, v1
	s_cmp_eq_u32 s3, 0
	s_delay_alu instid0(VALU_DEP_1) | instskip(SKIP_1) | instid1(SALU_CYCLE_1)
	v_cmp_gt_i32_e32 vcc_lo, s3, v3
	s_cselect_b32 s74, -1, 0
	s_or_b32 s74, s74, vcc_lo
	s_delay_alu instid0(SALU_CYCLE_1)
	s_and_b32 exec_lo, exec_lo, s74
	s_cbranch_execz .LBB58_10
; %bb.8:
	v_mov_b32_e32 v4, s3
.LBB58_9:                               ; =>This Inner Loop Header: Depth=1
	ds_cmpstore_rtn_b32 v4, v2, v3, v4 offset:1888
	s_wait_dscnt 0x0
	v_cmp_ne_u32_e32 vcc_lo, 0, v4
	v_cmp_le_i32_e64 s3, v4, v3
	s_and_b32 s3, vcc_lo, s3
	s_delay_alu instid0(SALU_CYCLE_1) | instskip(NEXT) | instid1(SALU_CYCLE_1)
	s_and_b32 s3, exec_lo, s3
	s_or_b32 s73, s3, s73
	s_delay_alu instid0(SALU_CYCLE_1)
	s_and_not1_b32 exec_lo, exec_lo, s73
	s_cbranch_execnz .LBB58_9
.LBB58_10:
	s_or_b32 exec_lo, exec_lo, s72
	v_mov_b32_e32 v2, 0
	s_barrier_signal -1
	s_barrier_wait -1
	ds_load_b32 v3, v2 offset:1888
	s_and_saveexec_b32 s3, s2
	s_cbranch_execz .LBB58_12
; %bb.11:
	s_lshl_b64 s[72:73], s[18:19], 2
	s_delay_alu instid0(SALU_CYCLE_1)
	s_add_nc_u64 s[72:73], s[6:7], s[72:73]
	s_wait_dscnt 0x0
	global_store_b32 v2, v3, s[72:73]
.LBB58_12:
	s_wait_xcnt 0x0
	s_or_b32 exec_lo, exec_lo, s3
	s_wait_dscnt 0x0
	v_cmp_ne_u32_e32 vcc_lo, 0, v3
	s_mov_b32 s3, 0
	s_cbranch_vccnz .LBB58_248
; %bb.13:
	v_lshl_add_u32 v19, v1, 4, 0
                                        ; implicit-def: $vgpr6_vgpr7
                                        ; implicit-def: $vgpr10_vgpr11
	scratch_load_b128 v[2:5], v19, off
	s_wait_loadcnt 0x0
	v_cmp_ngt_f64_e64 s3, |v[2:3]|, |v[4:5]|
	s_wait_xcnt 0x0
	s_and_saveexec_b32 s72, s3
	s_delay_alu instid0(SALU_CYCLE_1)
	s_xor_b32 s3, exec_lo, s72
	s_cbranch_execz .LBB58_15
; %bb.14:
	v_div_scale_f64 v[6:7], null, v[4:5], v[4:5], v[2:3]
	v_div_scale_f64 v[12:13], vcc_lo, v[2:3], v[4:5], v[2:3]
	s_delay_alu instid0(VALU_DEP_2) | instskip(SKIP_1) | instid1(TRANS32_DEP_1)
	v_rcp_f64_e32 v[8:9], v[6:7]
	v_nop
	v_fma_f64 v[10:11], -v[6:7], v[8:9], 1.0
	s_delay_alu instid0(VALU_DEP_1) | instskip(NEXT) | instid1(VALU_DEP_1)
	v_fmac_f64_e32 v[8:9], v[8:9], v[10:11]
	v_fma_f64 v[10:11], -v[6:7], v[8:9], 1.0
	s_delay_alu instid0(VALU_DEP_1) | instskip(NEXT) | instid1(VALU_DEP_1)
	v_fmac_f64_e32 v[8:9], v[8:9], v[10:11]
	v_mul_f64_e32 v[10:11], v[12:13], v[8:9]
	s_delay_alu instid0(VALU_DEP_1) | instskip(NEXT) | instid1(VALU_DEP_1)
	v_fma_f64 v[6:7], -v[6:7], v[10:11], v[12:13]
	v_div_fmas_f64 v[6:7], v[6:7], v[8:9], v[10:11]
	s_delay_alu instid0(VALU_DEP_1) | instskip(NEXT) | instid1(VALU_DEP_1)
	v_div_fixup_f64 v[6:7], v[6:7], v[4:5], v[2:3]
	v_fmac_f64_e32 v[4:5], v[2:3], v[6:7]
	s_delay_alu instid0(VALU_DEP_1) | instskip(SKIP_1) | instid1(VALU_DEP_2)
	v_div_scale_f64 v[2:3], null, v[4:5], v[4:5], 1.0
	v_div_scale_f64 v[12:13], vcc_lo, 1.0, v[4:5], 1.0
	v_rcp_f64_e32 v[8:9], v[2:3]
	v_nop
	s_delay_alu instid0(TRANS32_DEP_1) | instskip(NEXT) | instid1(VALU_DEP_1)
	v_fma_f64 v[10:11], -v[2:3], v[8:9], 1.0
	v_fmac_f64_e32 v[8:9], v[8:9], v[10:11]
	s_delay_alu instid0(VALU_DEP_1) | instskip(NEXT) | instid1(VALU_DEP_1)
	v_fma_f64 v[10:11], -v[2:3], v[8:9], 1.0
	v_fmac_f64_e32 v[8:9], v[8:9], v[10:11]
	s_delay_alu instid0(VALU_DEP_1) | instskip(NEXT) | instid1(VALU_DEP_1)
	v_mul_f64_e32 v[10:11], v[12:13], v[8:9]
	v_fma_f64 v[2:3], -v[2:3], v[10:11], v[12:13]
	s_delay_alu instid0(VALU_DEP_1) | instskip(NEXT) | instid1(VALU_DEP_1)
	v_div_fmas_f64 v[2:3], v[2:3], v[8:9], v[10:11]
	v_div_fixup_f64 v[8:9], v[2:3], v[4:5], 1.0
                                        ; implicit-def: $vgpr2_vgpr3
	s_delay_alu instid0(VALU_DEP_1) | instskip(SKIP_1) | instid1(VALU_DEP_2)
	v_mul_f64_e32 v[6:7], v[6:7], v[8:9]
	v_xor_b32_e32 v9, 0x80000000, v9
	v_xor_b32_e32 v11, 0x80000000, v7
	s_delay_alu instid0(VALU_DEP_3)
	v_mov_b32_e32 v10, v6
.LBB58_15:
	s_and_not1_saveexec_b32 s3, s3
	s_cbranch_execz .LBB58_17
; %bb.16:
	v_div_scale_f64 v[6:7], null, v[2:3], v[2:3], v[4:5]
	v_div_scale_f64 v[12:13], vcc_lo, v[4:5], v[2:3], v[4:5]
	s_delay_alu instid0(VALU_DEP_2) | instskip(SKIP_1) | instid1(TRANS32_DEP_1)
	v_rcp_f64_e32 v[8:9], v[6:7]
	v_nop
	v_fma_f64 v[10:11], -v[6:7], v[8:9], 1.0
	s_delay_alu instid0(VALU_DEP_1) | instskip(NEXT) | instid1(VALU_DEP_1)
	v_fmac_f64_e32 v[8:9], v[8:9], v[10:11]
	v_fma_f64 v[10:11], -v[6:7], v[8:9], 1.0
	s_delay_alu instid0(VALU_DEP_1) | instskip(NEXT) | instid1(VALU_DEP_1)
	v_fmac_f64_e32 v[8:9], v[8:9], v[10:11]
	v_mul_f64_e32 v[10:11], v[12:13], v[8:9]
	s_delay_alu instid0(VALU_DEP_1) | instskip(NEXT) | instid1(VALU_DEP_1)
	v_fma_f64 v[6:7], -v[6:7], v[10:11], v[12:13]
	v_div_fmas_f64 v[6:7], v[6:7], v[8:9], v[10:11]
	s_delay_alu instid0(VALU_DEP_1) | instskip(NEXT) | instid1(VALU_DEP_1)
	v_div_fixup_f64 v[8:9], v[6:7], v[2:3], v[4:5]
	v_fmac_f64_e32 v[2:3], v[4:5], v[8:9]
	s_delay_alu instid0(VALU_DEP_1) | instskip(NEXT) | instid1(VALU_DEP_1)
	v_div_scale_f64 v[4:5], null, v[2:3], v[2:3], 1.0
	v_rcp_f64_e32 v[6:7], v[4:5]
	v_nop
	s_delay_alu instid0(TRANS32_DEP_1) | instskip(NEXT) | instid1(VALU_DEP_1)
	v_fma_f64 v[10:11], -v[4:5], v[6:7], 1.0
	v_fmac_f64_e32 v[6:7], v[6:7], v[10:11]
	s_delay_alu instid0(VALU_DEP_1) | instskip(NEXT) | instid1(VALU_DEP_1)
	v_fma_f64 v[10:11], -v[4:5], v[6:7], 1.0
	v_fmac_f64_e32 v[6:7], v[6:7], v[10:11]
	v_div_scale_f64 v[10:11], vcc_lo, 1.0, v[2:3], 1.0
	s_delay_alu instid0(VALU_DEP_1) | instskip(NEXT) | instid1(VALU_DEP_1)
	v_mul_f64_e32 v[12:13], v[10:11], v[6:7]
	v_fma_f64 v[4:5], -v[4:5], v[12:13], v[10:11]
	s_delay_alu instid0(VALU_DEP_1) | instskip(NEXT) | instid1(VALU_DEP_1)
	v_div_fmas_f64 v[4:5], v[4:5], v[6:7], v[12:13]
	v_div_fixup_f64 v[6:7], v[4:5], v[2:3], 1.0
	s_delay_alu instid0(VALU_DEP_1)
	v_mul_f64_e64 v[8:9], v[8:9], -v[6:7]
	v_xor_b32_e32 v11, 0x80000000, v7
	v_mov_b32_e32 v10, v6
.LBB58_17:
	s_or_b32 exec_lo, exec_lo, s3
	s_clause 0x1
	scratch_store_b128 v19, v[6:9], off
	scratch_load_b128 v[2:5], off, s52
	v_xor_b32_e32 v13, 0x80000000, v9
	v_mov_b32_e32 v12, v8
	s_wait_xcnt 0x1
	v_add_nc_u32_e32 v6, 0x3b0, v132
	ds_store_b128 v132, v[10:13]
	s_wait_loadcnt 0x0
	ds_store_b128 v132, v[2:5] offset:944
	s_wait_storecnt_dscnt 0x0
	s_barrier_signal -1
	s_barrier_wait -1
	s_wait_xcnt 0x0
	s_and_saveexec_b32 s3, s2
	s_cbranch_execz .LBB58_19
; %bb.18:
	scratch_load_b128 v[2:5], v19, off
	ds_load_b128 v[8:11], v6
	v_mov_b32_e32 v7, 0
	ds_load_b128 v[134:137], v7 offset:16
	s_wait_loadcnt_dscnt 0x1
	v_mul_f64_e32 v[12:13], v[8:9], v[4:5]
	v_mul_f64_e32 v[4:5], v[10:11], v[4:5]
	s_delay_alu instid0(VALU_DEP_2) | instskip(NEXT) | instid1(VALU_DEP_2)
	v_fmac_f64_e32 v[12:13], v[10:11], v[2:3]
	v_fma_f64 v[2:3], v[8:9], v[2:3], -v[4:5]
	s_delay_alu instid0(VALU_DEP_2) | instskip(NEXT) | instid1(VALU_DEP_2)
	v_add_f64_e32 v[8:9], 0, v[12:13]
	v_add_f64_e32 v[2:3], 0, v[2:3]
	s_wait_dscnt 0x0
	s_delay_alu instid0(VALU_DEP_2) | instskip(NEXT) | instid1(VALU_DEP_2)
	v_mul_f64_e32 v[10:11], v[8:9], v[136:137]
	v_mul_f64_e32 v[4:5], v[2:3], v[136:137]
	s_delay_alu instid0(VALU_DEP_2) | instskip(NEXT) | instid1(VALU_DEP_2)
	v_fma_f64 v[2:3], v[2:3], v[134:135], -v[10:11]
	v_fmac_f64_e32 v[4:5], v[8:9], v[134:135]
	scratch_store_b128 off, v[2:5], off offset:16
.LBB58_19:
	s_wait_xcnt 0x0
	s_or_b32 exec_lo, exec_lo, s3
	s_wait_storecnt 0x0
	s_barrier_signal -1
	s_barrier_wait -1
	scratch_load_b128 v[2:5], off, s51
	s_mov_b32 s3, exec_lo
	s_wait_loadcnt 0x0
	ds_store_b128 v6, v[2:5]
	s_wait_dscnt 0x0
	s_barrier_signal -1
	s_barrier_wait -1
	v_cmpx_gt_u32_e32 2, v1
	s_cbranch_execz .LBB58_23
; %bb.20:
	scratch_load_b128 v[2:5], v19, off
	ds_load_b128 v[8:11], v6
	s_wait_loadcnt_dscnt 0x0
	v_mul_f64_e32 v[12:13], v[10:11], v[4:5]
	v_mul_f64_e32 v[134:135], v[8:9], v[4:5]
	s_delay_alu instid0(VALU_DEP_2) | instskip(NEXT) | instid1(VALU_DEP_2)
	v_fma_f64 v[4:5], v[8:9], v[2:3], -v[12:13]
	v_fmac_f64_e32 v[134:135], v[10:11], v[2:3]
	s_delay_alu instid0(VALU_DEP_2) | instskip(NEXT) | instid1(VALU_DEP_2)
	v_add_f64_e32 v[4:5], 0, v[4:5]
	v_add_f64_e32 v[2:3], 0, v[134:135]
	s_and_saveexec_b32 s72, s2
	s_cbranch_execz .LBB58_22
; %bb.21:
	scratch_load_b128 v[8:11], off, off offset:16
	v_mov_b32_e32 v7, 0
	ds_load_b128 v[134:137], v7 offset:960
	s_wait_loadcnt_dscnt 0x0
	v_mul_f64_e32 v[12:13], v[134:135], v[10:11]
	v_mul_f64_e32 v[10:11], v[136:137], v[10:11]
	s_delay_alu instid0(VALU_DEP_2) | instskip(NEXT) | instid1(VALU_DEP_2)
	v_fmac_f64_e32 v[12:13], v[136:137], v[8:9]
	v_fma_f64 v[8:9], v[134:135], v[8:9], -v[10:11]
	s_delay_alu instid0(VALU_DEP_2) | instskip(NEXT) | instid1(VALU_DEP_2)
	v_add_f64_e32 v[2:3], v[2:3], v[12:13]
	v_add_f64_e32 v[4:5], v[4:5], v[8:9]
.LBB58_22:
	s_or_b32 exec_lo, exec_lo, s72
	v_mov_b32_e32 v7, 0
	ds_load_b128 v[8:11], v7 offset:32
	s_wait_dscnt 0x0
	v_mul_f64_e32 v[134:135], v[2:3], v[10:11]
	v_mul_f64_e32 v[12:13], v[4:5], v[10:11]
	s_delay_alu instid0(VALU_DEP_2) | instskip(NEXT) | instid1(VALU_DEP_2)
	v_fma_f64 v[10:11], v[4:5], v[8:9], -v[134:135]
	v_fmac_f64_e32 v[12:13], v[2:3], v[8:9]
	scratch_store_b128 off, v[10:13], off offset:32
.LBB58_23:
	s_wait_xcnt 0x0
	s_or_b32 exec_lo, exec_lo, s3
	s_wait_storecnt 0x0
	s_barrier_signal -1
	s_barrier_wait -1
	scratch_load_b128 v[2:5], off, s50
	v_add_nc_u32_e32 v7, -1, v1
	s_mov_b32 s2, exec_lo
	s_wait_loadcnt 0x0
	ds_store_b128 v6, v[2:5]
	s_wait_dscnt 0x0
	s_barrier_signal -1
	s_barrier_wait -1
	v_cmpx_gt_u32_e32 3, v1
	s_cbranch_execz .LBB58_27
; %bb.24:
	v_dual_mov_b32 v10, v132 :: v_dual_add_nc_u32 v8, -1, v1
	v_mov_b64_e32 v[2:3], 0
	v_mov_b64_e32 v[4:5], 0
	v_add_nc_u32_e32 v9, 0x3b0, v132
	s_delay_alu instid0(VALU_DEP_4)
	v_or_b32_e32 v10, 8, v10
	s_mov_b32 s3, 0
.LBB58_25:                              ; =>This Inner Loop Header: Depth=1
	scratch_load_b128 v[134:137], v10, off offset:-8
	ds_load_b128 v[138:141], v9
	s_wait_xcnt 0x0
	v_dual_add_nc_u32 v9, 16, v9 :: v_dual_add_nc_u32 v10, 16, v10
	v_add_nc_u32_e32 v8, 1, v8
	s_delay_alu instid0(VALU_DEP_1) | instskip(SKIP_4) | instid1(VALU_DEP_2)
	v_cmp_lt_u32_e32 vcc_lo, 1, v8
	s_or_b32 s3, vcc_lo, s3
	s_wait_loadcnt_dscnt 0x0
	v_mul_f64_e32 v[12:13], v[140:141], v[136:137]
	v_mul_f64_e32 v[136:137], v[138:139], v[136:137]
	v_fma_f64 v[12:13], v[138:139], v[134:135], -v[12:13]
	s_delay_alu instid0(VALU_DEP_2) | instskip(NEXT) | instid1(VALU_DEP_2)
	v_fmac_f64_e32 v[136:137], v[140:141], v[134:135]
	v_add_f64_e32 v[4:5], v[4:5], v[12:13]
	s_delay_alu instid0(VALU_DEP_2)
	v_add_f64_e32 v[2:3], v[2:3], v[136:137]
	s_and_not1_b32 exec_lo, exec_lo, s3
	s_cbranch_execnz .LBB58_25
; %bb.26:
	s_or_b32 exec_lo, exec_lo, s3
	v_mov_b32_e32 v8, 0
	ds_load_b128 v[8:11], v8 offset:48
	s_wait_dscnt 0x0
	v_mul_f64_e32 v[134:135], v[2:3], v[10:11]
	v_mul_f64_e32 v[12:13], v[4:5], v[10:11]
	s_delay_alu instid0(VALU_DEP_2) | instskip(NEXT) | instid1(VALU_DEP_2)
	v_fma_f64 v[10:11], v[4:5], v[8:9], -v[134:135]
	v_fmac_f64_e32 v[12:13], v[2:3], v[8:9]
	scratch_store_b128 off, v[10:13], off offset:48
.LBB58_27:
	s_wait_xcnt 0x0
	s_or_b32 exec_lo, exec_lo, s2
	s_wait_storecnt 0x0
	s_barrier_signal -1
	s_barrier_wait -1
	scratch_load_b128 v[2:5], off, s49
	s_mov_b32 s2, exec_lo
	s_wait_loadcnt 0x0
	ds_store_b128 v6, v[2:5]
	s_wait_dscnt 0x0
	s_barrier_signal -1
	s_barrier_wait -1
	v_cmpx_gt_u32_e32 4, v1
	s_cbranch_execz .LBB58_31
; %bb.28:
	v_dual_mov_b32 v10, v132 :: v_dual_add_nc_u32 v8, -1, v1
	v_mov_b64_e32 v[2:3], 0
	v_mov_b64_e32 v[4:5], 0
	v_add_nc_u32_e32 v9, 0x3b0, v132
	s_delay_alu instid0(VALU_DEP_4)
	v_or_b32_e32 v10, 8, v10
	s_mov_b32 s3, 0
.LBB58_29:                              ; =>This Inner Loop Header: Depth=1
	scratch_load_b128 v[134:137], v10, off offset:-8
	ds_load_b128 v[138:141], v9
	s_wait_xcnt 0x0
	v_dual_add_nc_u32 v9, 16, v9 :: v_dual_add_nc_u32 v10, 16, v10
	v_add_nc_u32_e32 v8, 1, v8
	s_delay_alu instid0(VALU_DEP_1) | instskip(SKIP_4) | instid1(VALU_DEP_2)
	v_cmp_lt_u32_e32 vcc_lo, 2, v8
	s_or_b32 s3, vcc_lo, s3
	s_wait_loadcnt_dscnt 0x0
	v_mul_f64_e32 v[12:13], v[140:141], v[136:137]
	v_mul_f64_e32 v[136:137], v[138:139], v[136:137]
	v_fma_f64 v[12:13], v[138:139], v[134:135], -v[12:13]
	s_delay_alu instid0(VALU_DEP_2) | instskip(NEXT) | instid1(VALU_DEP_2)
	v_fmac_f64_e32 v[136:137], v[140:141], v[134:135]
	v_add_f64_e32 v[4:5], v[4:5], v[12:13]
	s_delay_alu instid0(VALU_DEP_2)
	v_add_f64_e32 v[2:3], v[2:3], v[136:137]
	s_and_not1_b32 exec_lo, exec_lo, s3
	s_cbranch_execnz .LBB58_29
; %bb.30:
	s_or_b32 exec_lo, exec_lo, s3
	v_mov_b32_e32 v8, 0
	ds_load_b128 v[8:11], v8 offset:64
	s_wait_dscnt 0x0
	v_mul_f64_e32 v[134:135], v[2:3], v[10:11]
	v_mul_f64_e32 v[12:13], v[4:5], v[10:11]
	s_delay_alu instid0(VALU_DEP_2) | instskip(NEXT) | instid1(VALU_DEP_2)
	v_fma_f64 v[10:11], v[4:5], v[8:9], -v[134:135]
	v_fmac_f64_e32 v[12:13], v[2:3], v[8:9]
	scratch_store_b128 off, v[10:13], off offset:64
.LBB58_31:
	s_wait_xcnt 0x0
	s_or_b32 exec_lo, exec_lo, s2
	s_wait_storecnt 0x0
	s_barrier_signal -1
	s_barrier_wait -1
	scratch_load_b128 v[2:5], off, s70
	;; [unrolled: 54-line block ×19, first 2 shown]
	s_mov_b32 s2, exec_lo
	s_wait_loadcnt 0x0
	ds_store_b128 v6, v[2:5]
	s_wait_dscnt 0x0
	s_barrier_signal -1
	s_barrier_wait -1
	v_cmpx_gt_u32_e32 22, v1
	s_cbranch_execz .LBB58_103
; %bb.100:
	v_dual_mov_b32 v10, v132 :: v_dual_add_nc_u32 v8, -1, v1
	v_mov_b64_e32 v[2:3], 0
	v_mov_b64_e32 v[4:5], 0
	v_add_nc_u32_e32 v9, 0x3b0, v132
	s_delay_alu instid0(VALU_DEP_4)
	v_or_b32_e32 v10, 8, v10
	s_mov_b32 s3, 0
.LBB58_101:                             ; =>This Inner Loop Header: Depth=1
	scratch_load_b128 v[134:137], v10, off offset:-8
	ds_load_b128 v[138:141], v9
	s_wait_xcnt 0x0
	v_dual_add_nc_u32 v9, 16, v9 :: v_dual_add_nc_u32 v10, 16, v10
	v_add_nc_u32_e32 v8, 1, v8
	s_delay_alu instid0(VALU_DEP_1) | instskip(SKIP_4) | instid1(VALU_DEP_2)
	v_cmp_lt_u32_e32 vcc_lo, 20, v8
	s_or_b32 s3, vcc_lo, s3
	s_wait_loadcnt_dscnt 0x0
	v_mul_f64_e32 v[12:13], v[140:141], v[136:137]
	v_mul_f64_e32 v[136:137], v[138:139], v[136:137]
	v_fma_f64 v[12:13], v[138:139], v[134:135], -v[12:13]
	s_delay_alu instid0(VALU_DEP_2) | instskip(NEXT) | instid1(VALU_DEP_2)
	v_fmac_f64_e32 v[136:137], v[140:141], v[134:135]
	v_add_f64_e32 v[4:5], v[4:5], v[12:13]
	s_delay_alu instid0(VALU_DEP_2)
	v_add_f64_e32 v[2:3], v[2:3], v[136:137]
	s_and_not1_b32 exec_lo, exec_lo, s3
	s_cbranch_execnz .LBB58_101
; %bb.102:
	s_or_b32 exec_lo, exec_lo, s3
	v_mov_b32_e32 v8, 0
	ds_load_b128 v[8:11], v8 offset:352
	s_wait_dscnt 0x0
	v_mul_f64_e32 v[134:135], v[2:3], v[10:11]
	v_mul_f64_e32 v[12:13], v[4:5], v[10:11]
	s_delay_alu instid0(VALU_DEP_2) | instskip(NEXT) | instid1(VALU_DEP_2)
	v_fma_f64 v[10:11], v[4:5], v[8:9], -v[134:135]
	v_fmac_f64_e32 v[12:13], v[2:3], v[8:9]
	scratch_store_b128 off, v[10:13], off offset:352
.LBB58_103:
	s_wait_xcnt 0x0
	s_or_b32 exec_lo, exec_lo, s2
	s_wait_storecnt 0x0
	s_barrier_signal -1
	s_barrier_wait -1
	scratch_load_b128 v[2:5], off, s39
	s_mov_b32 s2, exec_lo
	s_wait_loadcnt 0x0
	ds_store_b128 v6, v[2:5]
	s_wait_dscnt 0x0
	s_barrier_signal -1
	s_barrier_wait -1
	v_cmpx_gt_u32_e32 23, v1
	s_cbranch_execz .LBB58_107
; %bb.104:
	v_dual_mov_b32 v10, v132 :: v_dual_add_nc_u32 v8, -1, v1
	v_mov_b64_e32 v[2:3], 0
	v_mov_b64_e32 v[4:5], 0
	v_add_nc_u32_e32 v9, 0x3b0, v132
	s_delay_alu instid0(VALU_DEP_4)
	v_or_b32_e32 v10, 8, v10
	s_mov_b32 s3, 0
.LBB58_105:                             ; =>This Inner Loop Header: Depth=1
	scratch_load_b128 v[134:137], v10, off offset:-8
	ds_load_b128 v[138:141], v9
	s_wait_xcnt 0x0
	v_dual_add_nc_u32 v9, 16, v9 :: v_dual_add_nc_u32 v10, 16, v10
	v_add_nc_u32_e32 v8, 1, v8
	s_delay_alu instid0(VALU_DEP_1) | instskip(SKIP_4) | instid1(VALU_DEP_2)
	v_cmp_lt_u32_e32 vcc_lo, 21, v8
	s_or_b32 s3, vcc_lo, s3
	s_wait_loadcnt_dscnt 0x0
	v_mul_f64_e32 v[12:13], v[140:141], v[136:137]
	v_mul_f64_e32 v[136:137], v[138:139], v[136:137]
	v_fma_f64 v[12:13], v[138:139], v[134:135], -v[12:13]
	s_delay_alu instid0(VALU_DEP_2) | instskip(NEXT) | instid1(VALU_DEP_2)
	v_fmac_f64_e32 v[136:137], v[140:141], v[134:135]
	v_add_f64_e32 v[4:5], v[4:5], v[12:13]
	s_delay_alu instid0(VALU_DEP_2)
	v_add_f64_e32 v[2:3], v[2:3], v[136:137]
	s_and_not1_b32 exec_lo, exec_lo, s3
	s_cbranch_execnz .LBB58_105
; %bb.106:
	s_or_b32 exec_lo, exec_lo, s3
	v_mov_b32_e32 v8, 0
	ds_load_b128 v[8:11], v8 offset:368
	s_wait_dscnt 0x0
	v_mul_f64_e32 v[134:135], v[2:3], v[10:11]
	v_mul_f64_e32 v[12:13], v[4:5], v[10:11]
	s_delay_alu instid0(VALU_DEP_2) | instskip(NEXT) | instid1(VALU_DEP_2)
	v_fma_f64 v[10:11], v[4:5], v[8:9], -v[134:135]
	v_fmac_f64_e32 v[12:13], v[2:3], v[8:9]
	scratch_store_b128 off, v[10:13], off offset:368
.LBB58_107:
	s_wait_xcnt 0x0
	s_or_b32 exec_lo, exec_lo, s2
	s_wait_storecnt 0x0
	s_barrier_signal -1
	s_barrier_wait -1
	scratch_load_b128 v[2:5], off, s41
	;; [unrolled: 54-line block ×36, first 2 shown]
	s_mov_b32 s2, exec_lo
	s_wait_loadcnt 0x0
	ds_store_b128 v6, v[2:5]
	s_wait_dscnt 0x0
	s_barrier_signal -1
	s_barrier_wait -1
	v_cmpx_ne_u32_e32 58, v1
	s_cbranch_execz .LBB58_247
; %bb.244:
	v_mov_b32_e32 v8, v132
	v_mov_b64_e32 v[2:3], 0
	v_mov_b64_e32 v[4:5], 0
	s_mov_b32 s3, 0
	s_delay_alu instid0(VALU_DEP_3)
	v_or_b32_e32 v8, 8, v8
.LBB58_245:                             ; =>This Inner Loop Header: Depth=1
	scratch_load_b128 v[10:13], v8, off offset:-8
	ds_load_b128 v[132:135], v6
	v_dual_add_nc_u32 v7, 1, v7 :: v_dual_add_nc_u32 v6, 16, v6
	s_wait_xcnt 0x0
	v_add_nc_u32_e32 v8, 16, v8
	s_delay_alu instid0(VALU_DEP_2) | instskip(SKIP_4) | instid1(VALU_DEP_2)
	v_cmp_lt_u32_e32 vcc_lo, 56, v7
	s_or_b32 s3, vcc_lo, s3
	s_wait_loadcnt_dscnt 0x0
	v_mul_f64_e32 v[136:137], v[134:135], v[12:13]
	v_mul_f64_e32 v[12:13], v[132:133], v[12:13]
	v_fma_f64 v[132:133], v[132:133], v[10:11], -v[136:137]
	s_delay_alu instid0(VALU_DEP_2) | instskip(NEXT) | instid1(VALU_DEP_2)
	v_fmac_f64_e32 v[12:13], v[134:135], v[10:11]
	v_add_f64_e32 v[4:5], v[4:5], v[132:133]
	s_delay_alu instid0(VALU_DEP_2)
	v_add_f64_e32 v[2:3], v[2:3], v[12:13]
	s_and_not1_b32 exec_lo, exec_lo, s3
	s_cbranch_execnz .LBB58_245
; %bb.246:
	s_or_b32 exec_lo, exec_lo, s3
	v_mov_b32_e32 v6, 0
	ds_load_b128 v[6:9], v6 offset:928
	s_wait_dscnt 0x0
	v_mul_f64_e32 v[12:13], v[2:3], v[8:9]
	v_mul_f64_e32 v[10:11], v[4:5], v[8:9]
	s_delay_alu instid0(VALU_DEP_2) | instskip(NEXT) | instid1(VALU_DEP_2)
	v_fma_f64 v[8:9], v[4:5], v[6:7], -v[12:13]
	v_fmac_f64_e32 v[10:11], v[2:3], v[6:7]
	scratch_store_b128 off, v[8:11], off offset:928
.LBB58_247:
	s_wait_xcnt 0x0
	s_or_b32 exec_lo, exec_lo, s2
	s_mov_b32 s3, -1
	s_wait_storecnt 0x0
	s_barrier_signal -1
	s_barrier_wait -1
.LBB58_248:
	s_and_b32 vcc_lo, exec_lo, s3
	s_cbranch_vccz .LBB58_250
; %bb.249:
	s_wait_xcnt 0x16
	v_mov_b32_e32 v2, 0
	s_lshl_b64 s[2:3], s[18:19], 2
	s_delay_alu instid0(SALU_CYCLE_1)
	s_add_nc_u64 s[2:3], s[6:7], s[2:3]
	global_load_b32 v2, v2, s[2:3]
	s_wait_loadcnt 0x0
	v_cmp_ne_u32_e32 vcc_lo, 0, v2
	s_cbranch_vccz .LBB58_251
.LBB58_250:
	s_sendmsg sendmsg(MSG_DEALLOC_VGPRS)
	s_endpgm
.LBB58_251:
	s_wait_xcnt 0x15
	v_lshl_add_u32 v8, v1, 4, 0x3b0
	s_wait_xcnt 0x0
	s_mov_b32 s2, exec_lo
	v_cmpx_eq_u32_e32 58, v1
	s_cbranch_execz .LBB58_253
; %bb.252:
	scratch_load_b128 v[2:5], off, s23
	v_mov_b32_e32 v10, 0
	s_delay_alu instid0(VALU_DEP_1)
	v_dual_mov_b32 v11, v10 :: v_dual_mov_b32 v12, v10
	v_mov_b32_e32 v13, v10
	scratch_store_b128 off, v[10:13], off offset:912
	s_wait_loadcnt 0x0
	ds_store_b128 v8, v[2:5]
.LBB58_253:
	s_wait_xcnt 0x0
	s_or_b32 exec_lo, exec_lo, s2
	s_wait_storecnt_dscnt 0x0
	s_barrier_signal -1
	s_barrier_wait -1
	s_clause 0x1
	scratch_load_b128 v[4:7], off, off offset:928
	scratch_load_b128 v[10:13], off, off offset:912
	v_mov_b32_e32 v2, 0
	s_mov_b32 s2, exec_lo
	ds_load_b128 v[132:135], v2 offset:1872
	s_wait_loadcnt_dscnt 0x100
	v_mul_f64_e32 v[136:137], v[134:135], v[6:7]
	v_mul_f64_e32 v[6:7], v[132:133], v[6:7]
	s_delay_alu instid0(VALU_DEP_2) | instskip(NEXT) | instid1(VALU_DEP_2)
	v_fma_f64 v[132:133], v[132:133], v[4:5], -v[136:137]
	v_fmac_f64_e32 v[6:7], v[134:135], v[4:5]
	s_delay_alu instid0(VALU_DEP_2) | instskip(NEXT) | instid1(VALU_DEP_2)
	v_add_f64_e32 v[4:5], 0, v[132:133]
	v_add_f64_e32 v[6:7], 0, v[6:7]
	s_wait_loadcnt 0x0
	s_delay_alu instid0(VALU_DEP_2) | instskip(NEXT) | instid1(VALU_DEP_2)
	v_add_f64_e64 v[4:5], v[10:11], -v[4:5]
	v_add_f64_e64 v[6:7], v[12:13], -v[6:7]
	scratch_store_b128 off, v[4:7], off offset:912
	s_wait_xcnt 0x0
	v_cmpx_lt_u32_e32 56, v1
	s_cbranch_execz .LBB58_255
; %bb.254:
	scratch_load_b128 v[10:13], off, s28
	v_dual_mov_b32 v3, v2 :: v_dual_mov_b32 v4, v2
	v_mov_b32_e32 v5, v2
	scratch_store_b128 off, v[2:5], off offset:896
	s_wait_loadcnt 0x0
	ds_store_b128 v8, v[10:13]
.LBB58_255:
	s_wait_xcnt 0x0
	s_or_b32 exec_lo, exec_lo, s2
	s_wait_storecnt_dscnt 0x0
	s_barrier_signal -1
	s_barrier_wait -1
	s_clause 0x2
	scratch_load_b128 v[4:7], off, off offset:912
	scratch_load_b128 v[10:13], off, off offset:928
	;; [unrolled: 1-line block ×3, first 2 shown]
	ds_load_b128 v[136:139], v2 offset:1856
	ds_load_b128 v[140:143], v2 offset:1872
	s_mov_b32 s2, exec_lo
	s_wait_loadcnt_dscnt 0x201
	v_mul_f64_e32 v[2:3], v[138:139], v[6:7]
	v_mul_f64_e32 v[6:7], v[136:137], v[6:7]
	s_wait_loadcnt_dscnt 0x100
	v_mul_f64_e32 v[144:145], v[140:141], v[12:13]
	v_mul_f64_e32 v[12:13], v[142:143], v[12:13]
	s_delay_alu instid0(VALU_DEP_4) | instskip(NEXT) | instid1(VALU_DEP_4)
	v_fma_f64 v[2:3], v[136:137], v[4:5], -v[2:3]
	v_fmac_f64_e32 v[6:7], v[138:139], v[4:5]
	s_delay_alu instid0(VALU_DEP_4) | instskip(NEXT) | instid1(VALU_DEP_4)
	v_fmac_f64_e32 v[144:145], v[142:143], v[10:11]
	v_fma_f64 v[4:5], v[140:141], v[10:11], -v[12:13]
	s_delay_alu instid0(VALU_DEP_4) | instskip(NEXT) | instid1(VALU_DEP_4)
	v_add_f64_e32 v[2:3], 0, v[2:3]
	v_add_f64_e32 v[6:7], 0, v[6:7]
	s_delay_alu instid0(VALU_DEP_2) | instskip(NEXT) | instid1(VALU_DEP_2)
	v_add_f64_e32 v[2:3], v[2:3], v[4:5]
	v_add_f64_e32 v[4:5], v[6:7], v[144:145]
	s_wait_loadcnt 0x0
	s_delay_alu instid0(VALU_DEP_2) | instskip(NEXT) | instid1(VALU_DEP_2)
	v_add_f64_e64 v[2:3], v[132:133], -v[2:3]
	v_add_f64_e64 v[4:5], v[134:135], -v[4:5]
	scratch_store_b128 off, v[2:5], off offset:896
	s_wait_xcnt 0x0
	v_cmpx_lt_u32_e32 55, v1
	s_cbranch_execz .LBB58_257
; %bb.256:
	scratch_load_b128 v[2:5], off, s8
	v_mov_b32_e32 v10, 0
	s_delay_alu instid0(VALU_DEP_1)
	v_dual_mov_b32 v11, v10 :: v_dual_mov_b32 v12, v10
	v_mov_b32_e32 v13, v10
	scratch_store_b128 off, v[10:13], off offset:880
	s_wait_loadcnt 0x0
	ds_store_b128 v8, v[2:5]
.LBB58_257:
	s_wait_xcnt 0x0
	s_or_b32 exec_lo, exec_lo, s2
	s_wait_storecnt_dscnt 0x0
	s_barrier_signal -1
	s_barrier_wait -1
	s_clause 0x3
	scratch_load_b128 v[4:7], off, off offset:896
	scratch_load_b128 v[10:13], off, off offset:912
	;; [unrolled: 1-line block ×4, first 2 shown]
	v_mov_b32_e32 v2, 0
	ds_load_b128 v[140:143], v2 offset:1840
	ds_load_b128 v[144:147], v2 offset:1856
	s_mov_b32 s2, exec_lo
	s_wait_loadcnt_dscnt 0x301
	v_mul_f64_e32 v[148:149], v[142:143], v[6:7]
	v_mul_f64_e32 v[150:151], v[140:141], v[6:7]
	s_wait_loadcnt_dscnt 0x200
	v_mul_f64_e32 v[152:153], v[144:145], v[12:13]
	v_mul_f64_e32 v[12:13], v[146:147], v[12:13]
	s_delay_alu instid0(VALU_DEP_4) | instskip(NEXT) | instid1(VALU_DEP_4)
	v_fma_f64 v[140:141], v[140:141], v[4:5], -v[148:149]
	v_fmac_f64_e32 v[150:151], v[142:143], v[4:5]
	ds_load_b128 v[4:7], v2 offset:1872
	v_fmac_f64_e32 v[152:153], v[146:147], v[10:11]
	v_fma_f64 v[10:11], v[144:145], v[10:11], -v[12:13]
	s_wait_loadcnt_dscnt 0x100
	v_mul_f64_e32 v[142:143], v[4:5], v[134:135]
	v_mul_f64_e32 v[134:135], v[6:7], v[134:135]
	v_add_f64_e32 v[12:13], 0, v[140:141]
	v_add_f64_e32 v[140:141], 0, v[150:151]
	s_delay_alu instid0(VALU_DEP_4) | instskip(NEXT) | instid1(VALU_DEP_4)
	v_fmac_f64_e32 v[142:143], v[6:7], v[132:133]
	v_fma_f64 v[4:5], v[4:5], v[132:133], -v[134:135]
	s_delay_alu instid0(VALU_DEP_4) | instskip(NEXT) | instid1(VALU_DEP_4)
	v_add_f64_e32 v[6:7], v[12:13], v[10:11]
	v_add_f64_e32 v[10:11], v[140:141], v[152:153]
	s_delay_alu instid0(VALU_DEP_2) | instskip(NEXT) | instid1(VALU_DEP_2)
	v_add_f64_e32 v[4:5], v[6:7], v[4:5]
	v_add_f64_e32 v[6:7], v[10:11], v[142:143]
	s_wait_loadcnt 0x0
	s_delay_alu instid0(VALU_DEP_2) | instskip(NEXT) | instid1(VALU_DEP_2)
	v_add_f64_e64 v[4:5], v[136:137], -v[4:5]
	v_add_f64_e64 v[6:7], v[138:139], -v[6:7]
	scratch_store_b128 off, v[4:7], off offset:880
	s_wait_xcnt 0x0
	v_cmpx_lt_u32_e32 54, v1
	s_cbranch_execz .LBB58_259
; %bb.258:
	scratch_load_b128 v[10:13], off, s10
	v_dual_mov_b32 v3, v2 :: v_dual_mov_b32 v4, v2
	v_mov_b32_e32 v5, v2
	scratch_store_b128 off, v[2:5], off offset:864
	s_wait_loadcnt 0x0
	ds_store_b128 v8, v[10:13]
.LBB58_259:
	s_wait_xcnt 0x0
	s_or_b32 exec_lo, exec_lo, s2
	s_wait_storecnt_dscnt 0x0
	s_barrier_signal -1
	s_barrier_wait -1
	s_clause 0x4
	scratch_load_b128 v[4:7], off, off offset:880
	scratch_load_b128 v[10:13], off, off offset:896
	;; [unrolled: 1-line block ×5, first 2 shown]
	ds_load_b128 v[144:147], v2 offset:1824
	ds_load_b128 v[148:151], v2 offset:1840
	s_mov_b32 s2, exec_lo
	s_wait_loadcnt_dscnt 0x401
	v_mul_f64_e32 v[152:153], v[146:147], v[6:7]
	v_mul_f64_e32 v[154:155], v[144:145], v[6:7]
	s_wait_loadcnt_dscnt 0x300
	v_mul_f64_e32 v[156:157], v[148:149], v[12:13]
	v_mul_f64_e32 v[12:13], v[150:151], v[12:13]
	s_delay_alu instid0(VALU_DEP_4) | instskip(NEXT) | instid1(VALU_DEP_4)
	v_fma_f64 v[152:153], v[144:145], v[4:5], -v[152:153]
	v_fmac_f64_e32 v[154:155], v[146:147], v[4:5]
	ds_load_b128 v[4:7], v2 offset:1856
	ds_load_b128 v[144:147], v2 offset:1872
	v_fmac_f64_e32 v[156:157], v[150:151], v[10:11]
	v_fma_f64 v[10:11], v[148:149], v[10:11], -v[12:13]
	s_wait_loadcnt_dscnt 0x201
	v_mul_f64_e32 v[2:3], v[4:5], v[134:135]
	v_mul_f64_e32 v[134:135], v[6:7], v[134:135]
	s_wait_loadcnt_dscnt 0x100
	v_mul_f64_e32 v[150:151], v[144:145], v[138:139]
	v_mul_f64_e32 v[138:139], v[146:147], v[138:139]
	v_add_f64_e32 v[12:13], 0, v[152:153]
	v_add_f64_e32 v[148:149], 0, v[154:155]
	v_fmac_f64_e32 v[2:3], v[6:7], v[132:133]
	v_fma_f64 v[4:5], v[4:5], v[132:133], -v[134:135]
	v_fmac_f64_e32 v[150:151], v[146:147], v[136:137]
	v_add_f64_e32 v[6:7], v[12:13], v[10:11]
	v_add_f64_e32 v[10:11], v[148:149], v[156:157]
	v_fma_f64 v[12:13], v[144:145], v[136:137], -v[138:139]
	s_delay_alu instid0(VALU_DEP_3) | instskip(NEXT) | instid1(VALU_DEP_3)
	v_add_f64_e32 v[4:5], v[6:7], v[4:5]
	v_add_f64_e32 v[2:3], v[10:11], v[2:3]
	s_delay_alu instid0(VALU_DEP_2) | instskip(NEXT) | instid1(VALU_DEP_2)
	v_add_f64_e32 v[4:5], v[4:5], v[12:13]
	v_add_f64_e32 v[6:7], v[2:3], v[150:151]
	s_wait_loadcnt 0x0
	s_delay_alu instid0(VALU_DEP_2) | instskip(NEXT) | instid1(VALU_DEP_2)
	v_add_f64_e64 v[2:3], v[140:141], -v[4:5]
	v_add_f64_e64 v[4:5], v[142:143], -v[6:7]
	scratch_store_b128 off, v[2:5], off offset:864
	s_wait_xcnt 0x0
	v_cmpx_lt_u32_e32 53, v1
	s_cbranch_execz .LBB58_261
; %bb.260:
	scratch_load_b128 v[2:5], off, s9
	v_mov_b32_e32 v10, 0
	s_delay_alu instid0(VALU_DEP_1)
	v_dual_mov_b32 v11, v10 :: v_dual_mov_b32 v12, v10
	v_mov_b32_e32 v13, v10
	scratch_store_b128 off, v[10:13], off offset:848
	s_wait_loadcnt 0x0
	ds_store_b128 v8, v[2:5]
.LBB58_261:
	s_wait_xcnt 0x0
	s_or_b32 exec_lo, exec_lo, s2
	s_wait_storecnt_dscnt 0x0
	s_barrier_signal -1
	s_barrier_wait -1
	s_clause 0x5
	scratch_load_b128 v[4:7], off, off offset:864
	scratch_load_b128 v[10:13], off, off offset:880
	;; [unrolled: 1-line block ×6, first 2 shown]
	v_mov_b32_e32 v2, 0
	ds_load_b128 v[148:151], v2 offset:1808
	ds_load_b128 v[152:155], v2 offset:1824
	s_mov_b32 s2, exec_lo
	s_wait_loadcnt_dscnt 0x501
	v_mul_f64_e32 v[156:157], v[150:151], v[6:7]
	v_mul_f64_e32 v[158:159], v[148:149], v[6:7]
	s_wait_loadcnt_dscnt 0x400
	v_mul_f64_e32 v[160:161], v[152:153], v[12:13]
	v_mul_f64_e32 v[12:13], v[154:155], v[12:13]
	s_delay_alu instid0(VALU_DEP_4) | instskip(NEXT) | instid1(VALU_DEP_4)
	v_fma_f64 v[156:157], v[148:149], v[4:5], -v[156:157]
	v_fmac_f64_e32 v[158:159], v[150:151], v[4:5]
	ds_load_b128 v[4:7], v2 offset:1840
	ds_load_b128 v[148:151], v2 offset:1856
	v_fmac_f64_e32 v[160:161], v[154:155], v[10:11]
	v_fma_f64 v[10:11], v[152:153], v[10:11], -v[12:13]
	s_wait_loadcnt_dscnt 0x301
	v_mul_f64_e32 v[162:163], v[4:5], v[134:135]
	v_mul_f64_e32 v[134:135], v[6:7], v[134:135]
	s_wait_loadcnt_dscnt 0x200
	v_mul_f64_e32 v[154:155], v[148:149], v[138:139]
	v_mul_f64_e32 v[138:139], v[150:151], v[138:139]
	v_add_f64_e32 v[12:13], 0, v[156:157]
	v_add_f64_e32 v[152:153], 0, v[158:159]
	v_fmac_f64_e32 v[162:163], v[6:7], v[132:133]
	v_fma_f64 v[132:133], v[4:5], v[132:133], -v[134:135]
	ds_load_b128 v[4:7], v2 offset:1872
	v_fmac_f64_e32 v[154:155], v[150:151], v[136:137]
	v_fma_f64 v[136:137], v[148:149], v[136:137], -v[138:139]
	v_add_f64_e32 v[10:11], v[12:13], v[10:11]
	v_add_f64_e32 v[12:13], v[152:153], v[160:161]
	s_wait_loadcnt_dscnt 0x100
	v_mul_f64_e32 v[134:135], v[4:5], v[142:143]
	v_mul_f64_e32 v[142:143], v[6:7], v[142:143]
	s_delay_alu instid0(VALU_DEP_4) | instskip(NEXT) | instid1(VALU_DEP_4)
	v_add_f64_e32 v[10:11], v[10:11], v[132:133]
	v_add_f64_e32 v[12:13], v[12:13], v[162:163]
	s_delay_alu instid0(VALU_DEP_4) | instskip(NEXT) | instid1(VALU_DEP_4)
	v_fmac_f64_e32 v[134:135], v[6:7], v[140:141]
	v_fma_f64 v[4:5], v[4:5], v[140:141], -v[142:143]
	s_delay_alu instid0(VALU_DEP_4) | instskip(NEXT) | instid1(VALU_DEP_4)
	v_add_f64_e32 v[6:7], v[10:11], v[136:137]
	v_add_f64_e32 v[10:11], v[12:13], v[154:155]
	s_delay_alu instid0(VALU_DEP_2) | instskip(NEXT) | instid1(VALU_DEP_2)
	v_add_f64_e32 v[4:5], v[6:7], v[4:5]
	v_add_f64_e32 v[6:7], v[10:11], v[134:135]
	s_wait_loadcnt 0x0
	s_delay_alu instid0(VALU_DEP_2) | instskip(NEXT) | instid1(VALU_DEP_2)
	v_add_f64_e64 v[4:5], v[144:145], -v[4:5]
	v_add_f64_e64 v[6:7], v[146:147], -v[6:7]
	scratch_store_b128 off, v[4:7], off offset:848
	s_wait_xcnt 0x0
	v_cmpx_lt_u32_e32 52, v1
	s_cbranch_execz .LBB58_263
; %bb.262:
	scratch_load_b128 v[10:13], off, s12
	v_dual_mov_b32 v3, v2 :: v_dual_mov_b32 v4, v2
	v_mov_b32_e32 v5, v2
	scratch_store_b128 off, v[2:5], off offset:832
	s_wait_loadcnt 0x0
	ds_store_b128 v8, v[10:13]
.LBB58_263:
	s_wait_xcnt 0x0
	s_or_b32 exec_lo, exec_lo, s2
	s_wait_storecnt_dscnt 0x0
	s_barrier_signal -1
	s_barrier_wait -1
	s_clause 0x6
	scratch_load_b128 v[4:7], off, off offset:848
	scratch_load_b128 v[10:13], off, off offset:864
	;; [unrolled: 1-line block ×7, first 2 shown]
	ds_load_b128 v[152:155], v2 offset:1792
	ds_load_b128 v[156:159], v2 offset:1808
	s_mov_b32 s2, exec_lo
	s_wait_loadcnt_dscnt 0x601
	v_mul_f64_e32 v[160:161], v[154:155], v[6:7]
	v_mul_f64_e32 v[162:163], v[152:153], v[6:7]
	s_wait_loadcnt_dscnt 0x500
	v_mul_f64_e32 v[164:165], v[156:157], v[12:13]
	v_mul_f64_e32 v[12:13], v[158:159], v[12:13]
	s_delay_alu instid0(VALU_DEP_4) | instskip(NEXT) | instid1(VALU_DEP_4)
	v_fma_f64 v[160:161], v[152:153], v[4:5], -v[160:161]
	v_fmac_f64_e32 v[162:163], v[154:155], v[4:5]
	ds_load_b128 v[4:7], v2 offset:1824
	ds_load_b128 v[152:155], v2 offset:1840
	v_fmac_f64_e32 v[164:165], v[158:159], v[10:11]
	v_fma_f64 v[10:11], v[156:157], v[10:11], -v[12:13]
	s_wait_loadcnt_dscnt 0x401
	v_mul_f64_e32 v[166:167], v[4:5], v[134:135]
	v_mul_f64_e32 v[134:135], v[6:7], v[134:135]
	s_wait_loadcnt_dscnt 0x300
	v_mul_f64_e32 v[158:159], v[152:153], v[138:139]
	v_mul_f64_e32 v[138:139], v[154:155], v[138:139]
	v_add_f64_e32 v[12:13], 0, v[160:161]
	v_add_f64_e32 v[156:157], 0, v[162:163]
	v_fmac_f64_e32 v[166:167], v[6:7], v[132:133]
	v_fma_f64 v[132:133], v[4:5], v[132:133], -v[134:135]
	v_fmac_f64_e32 v[158:159], v[154:155], v[136:137]
	v_fma_f64 v[136:137], v[152:153], v[136:137], -v[138:139]
	v_add_f64_e32 v[134:135], v[12:13], v[10:11]
	v_add_f64_e32 v[156:157], v[156:157], v[164:165]
	ds_load_b128 v[4:7], v2 offset:1856
	ds_load_b128 v[10:13], v2 offset:1872
	s_wait_loadcnt_dscnt 0x201
	v_mul_f64_e32 v[2:3], v[4:5], v[142:143]
	v_mul_f64_e32 v[142:143], v[6:7], v[142:143]
	s_wait_loadcnt_dscnt 0x100
	v_mul_f64_e32 v[138:139], v[10:11], v[146:147]
	v_mul_f64_e32 v[146:147], v[12:13], v[146:147]
	v_add_f64_e32 v[132:133], v[134:135], v[132:133]
	v_add_f64_e32 v[134:135], v[156:157], v[166:167]
	v_fmac_f64_e32 v[2:3], v[6:7], v[140:141]
	v_fma_f64 v[4:5], v[4:5], v[140:141], -v[142:143]
	v_fmac_f64_e32 v[138:139], v[12:13], v[144:145]
	v_fma_f64 v[10:11], v[10:11], v[144:145], -v[146:147]
	v_add_f64_e32 v[6:7], v[132:133], v[136:137]
	v_add_f64_e32 v[132:133], v[134:135], v[158:159]
	s_delay_alu instid0(VALU_DEP_2) | instskip(NEXT) | instid1(VALU_DEP_2)
	v_add_f64_e32 v[4:5], v[6:7], v[4:5]
	v_add_f64_e32 v[2:3], v[132:133], v[2:3]
	s_delay_alu instid0(VALU_DEP_2) | instskip(NEXT) | instid1(VALU_DEP_2)
	v_add_f64_e32 v[4:5], v[4:5], v[10:11]
	v_add_f64_e32 v[6:7], v[2:3], v[138:139]
	s_wait_loadcnt 0x0
	s_delay_alu instid0(VALU_DEP_2) | instskip(NEXT) | instid1(VALU_DEP_2)
	v_add_f64_e64 v[2:3], v[148:149], -v[4:5]
	v_add_f64_e64 v[4:5], v[150:151], -v[6:7]
	scratch_store_b128 off, v[2:5], off offset:832
	s_wait_xcnt 0x0
	v_cmpx_lt_u32_e32 51, v1
	s_cbranch_execz .LBB58_265
; %bb.264:
	scratch_load_b128 v[2:5], off, s11
	v_mov_b32_e32 v10, 0
	s_delay_alu instid0(VALU_DEP_1)
	v_dual_mov_b32 v11, v10 :: v_dual_mov_b32 v12, v10
	v_mov_b32_e32 v13, v10
	scratch_store_b128 off, v[10:13], off offset:816
	s_wait_loadcnt 0x0
	ds_store_b128 v8, v[2:5]
.LBB58_265:
	s_wait_xcnt 0x0
	s_or_b32 exec_lo, exec_lo, s2
	s_wait_storecnt_dscnt 0x0
	s_barrier_signal -1
	s_barrier_wait -1
	s_clause 0x7
	scratch_load_b128 v[4:7], off, off offset:832
	scratch_load_b128 v[10:13], off, off offset:848
	;; [unrolled: 1-line block ×8, first 2 shown]
	v_mov_b32_e32 v2, 0
	ds_load_b128 v[156:159], v2 offset:1776
	ds_load_b128 v[160:163], v2 offset:1792
	s_mov_b32 s2, exec_lo
	s_wait_loadcnt_dscnt 0x701
	v_mul_f64_e32 v[164:165], v[158:159], v[6:7]
	v_mul_f64_e32 v[166:167], v[156:157], v[6:7]
	s_wait_loadcnt_dscnt 0x600
	v_mul_f64_e32 v[168:169], v[160:161], v[12:13]
	v_mul_f64_e32 v[12:13], v[162:163], v[12:13]
	s_delay_alu instid0(VALU_DEP_4) | instskip(NEXT) | instid1(VALU_DEP_4)
	v_fma_f64 v[164:165], v[156:157], v[4:5], -v[164:165]
	v_fmac_f64_e32 v[166:167], v[158:159], v[4:5]
	ds_load_b128 v[4:7], v2 offset:1808
	ds_load_b128 v[156:159], v2 offset:1824
	v_fmac_f64_e32 v[168:169], v[162:163], v[10:11]
	v_fma_f64 v[10:11], v[160:161], v[10:11], -v[12:13]
	s_wait_loadcnt_dscnt 0x501
	v_mul_f64_e32 v[170:171], v[4:5], v[134:135]
	v_mul_f64_e32 v[134:135], v[6:7], v[134:135]
	s_wait_loadcnt_dscnt 0x400
	v_mul_f64_e32 v[162:163], v[156:157], v[138:139]
	v_mul_f64_e32 v[138:139], v[158:159], v[138:139]
	v_add_f64_e32 v[12:13], 0, v[164:165]
	v_add_f64_e32 v[160:161], 0, v[166:167]
	v_fmac_f64_e32 v[170:171], v[6:7], v[132:133]
	v_fma_f64 v[132:133], v[4:5], v[132:133], -v[134:135]
	v_fmac_f64_e32 v[162:163], v[158:159], v[136:137]
	v_fma_f64 v[136:137], v[156:157], v[136:137], -v[138:139]
	v_add_f64_e32 v[134:135], v[12:13], v[10:11]
	v_add_f64_e32 v[160:161], v[160:161], v[168:169]
	ds_load_b128 v[4:7], v2 offset:1840
	ds_load_b128 v[10:13], v2 offset:1856
	s_wait_loadcnt_dscnt 0x301
	v_mul_f64_e32 v[164:165], v[4:5], v[142:143]
	v_mul_f64_e32 v[142:143], v[6:7], v[142:143]
	s_wait_loadcnt_dscnt 0x200
	v_mul_f64_e32 v[138:139], v[10:11], v[146:147]
	v_mul_f64_e32 v[146:147], v[12:13], v[146:147]
	v_add_f64_e32 v[132:133], v[134:135], v[132:133]
	v_add_f64_e32 v[134:135], v[160:161], v[170:171]
	v_fmac_f64_e32 v[164:165], v[6:7], v[140:141]
	v_fma_f64 v[140:141], v[4:5], v[140:141], -v[142:143]
	ds_load_b128 v[4:7], v2 offset:1872
	v_fmac_f64_e32 v[138:139], v[12:13], v[144:145]
	v_fma_f64 v[10:11], v[10:11], v[144:145], -v[146:147]
	v_add_f64_e32 v[132:133], v[132:133], v[136:137]
	v_add_f64_e32 v[134:135], v[134:135], v[162:163]
	s_wait_loadcnt_dscnt 0x100
	v_mul_f64_e32 v[136:137], v[4:5], v[150:151]
	v_mul_f64_e32 v[142:143], v[6:7], v[150:151]
	s_delay_alu instid0(VALU_DEP_4) | instskip(NEXT) | instid1(VALU_DEP_4)
	v_add_f64_e32 v[12:13], v[132:133], v[140:141]
	v_add_f64_e32 v[132:133], v[134:135], v[164:165]
	s_delay_alu instid0(VALU_DEP_4) | instskip(NEXT) | instid1(VALU_DEP_4)
	v_fmac_f64_e32 v[136:137], v[6:7], v[148:149]
	v_fma_f64 v[4:5], v[4:5], v[148:149], -v[142:143]
	s_delay_alu instid0(VALU_DEP_4) | instskip(NEXT) | instid1(VALU_DEP_4)
	v_add_f64_e32 v[6:7], v[12:13], v[10:11]
	v_add_f64_e32 v[10:11], v[132:133], v[138:139]
	s_delay_alu instid0(VALU_DEP_2) | instskip(NEXT) | instid1(VALU_DEP_2)
	v_add_f64_e32 v[4:5], v[6:7], v[4:5]
	v_add_f64_e32 v[6:7], v[10:11], v[136:137]
	s_wait_loadcnt 0x0
	s_delay_alu instid0(VALU_DEP_2) | instskip(NEXT) | instid1(VALU_DEP_2)
	v_add_f64_e64 v[4:5], v[152:153], -v[4:5]
	v_add_f64_e64 v[6:7], v[154:155], -v[6:7]
	scratch_store_b128 off, v[4:7], off offset:816
	s_wait_xcnt 0x0
	v_cmpx_lt_u32_e32 50, v1
	s_cbranch_execz .LBB58_267
; %bb.266:
	scratch_load_b128 v[10:13], off, s14
	v_dual_mov_b32 v3, v2 :: v_dual_mov_b32 v4, v2
	v_mov_b32_e32 v5, v2
	scratch_store_b128 off, v[2:5], off offset:800
	s_wait_loadcnt 0x0
	ds_store_b128 v8, v[10:13]
.LBB58_267:
	s_wait_xcnt 0x0
	s_or_b32 exec_lo, exec_lo, s2
	s_wait_storecnt_dscnt 0x0
	s_barrier_signal -1
	s_barrier_wait -1
	s_clause 0x7
	scratch_load_b128 v[4:7], off, off offset:816
	scratch_load_b128 v[10:13], off, off offset:832
	;; [unrolled: 1-line block ×8, first 2 shown]
	ds_load_b128 v[156:159], v2 offset:1760
	ds_load_b128 v[160:163], v2 offset:1776
	scratch_load_b128 v[164:167], off, off offset:800
	s_mov_b32 s2, exec_lo
	s_wait_loadcnt_dscnt 0x801
	v_mul_f64_e32 v[168:169], v[158:159], v[6:7]
	v_mul_f64_e32 v[170:171], v[156:157], v[6:7]
	s_wait_loadcnt_dscnt 0x700
	v_mul_f64_e32 v[172:173], v[160:161], v[12:13]
	v_mul_f64_e32 v[12:13], v[162:163], v[12:13]
	s_delay_alu instid0(VALU_DEP_4) | instskip(NEXT) | instid1(VALU_DEP_4)
	v_fma_f64 v[168:169], v[156:157], v[4:5], -v[168:169]
	v_fmac_f64_e32 v[170:171], v[158:159], v[4:5]
	ds_load_b128 v[4:7], v2 offset:1792
	ds_load_b128 v[156:159], v2 offset:1808
	v_fmac_f64_e32 v[172:173], v[162:163], v[10:11]
	v_fma_f64 v[10:11], v[160:161], v[10:11], -v[12:13]
	s_wait_loadcnt_dscnt 0x601
	v_mul_f64_e32 v[174:175], v[4:5], v[134:135]
	v_mul_f64_e32 v[134:135], v[6:7], v[134:135]
	s_wait_loadcnt_dscnt 0x500
	v_mul_f64_e32 v[162:163], v[156:157], v[138:139]
	v_mul_f64_e32 v[138:139], v[158:159], v[138:139]
	v_add_f64_e32 v[12:13], 0, v[168:169]
	v_add_f64_e32 v[160:161], 0, v[170:171]
	v_fmac_f64_e32 v[174:175], v[6:7], v[132:133]
	v_fma_f64 v[132:133], v[4:5], v[132:133], -v[134:135]
	v_fmac_f64_e32 v[162:163], v[158:159], v[136:137]
	v_fma_f64 v[136:137], v[156:157], v[136:137], -v[138:139]
	v_add_f64_e32 v[134:135], v[12:13], v[10:11]
	v_add_f64_e32 v[160:161], v[160:161], v[172:173]
	ds_load_b128 v[4:7], v2 offset:1824
	ds_load_b128 v[10:13], v2 offset:1840
	s_wait_loadcnt_dscnt 0x401
	v_mul_f64_e32 v[168:169], v[4:5], v[142:143]
	v_mul_f64_e32 v[142:143], v[6:7], v[142:143]
	s_wait_loadcnt_dscnt 0x300
	v_mul_f64_e32 v[138:139], v[10:11], v[146:147]
	v_mul_f64_e32 v[146:147], v[12:13], v[146:147]
	v_add_f64_e32 v[132:133], v[134:135], v[132:133]
	v_add_f64_e32 v[134:135], v[160:161], v[174:175]
	v_fmac_f64_e32 v[168:169], v[6:7], v[140:141]
	v_fma_f64 v[140:141], v[4:5], v[140:141], -v[142:143]
	v_fmac_f64_e32 v[138:139], v[12:13], v[144:145]
	v_fma_f64 v[10:11], v[10:11], v[144:145], -v[146:147]
	v_add_f64_e32 v[136:137], v[132:133], v[136:137]
	v_add_f64_e32 v[142:143], v[134:135], v[162:163]
	ds_load_b128 v[4:7], v2 offset:1856
	ds_load_b128 v[132:135], v2 offset:1872
	s_wait_loadcnt_dscnt 0x201
	v_mul_f64_e32 v[2:3], v[4:5], v[150:151]
	v_mul_f64_e32 v[150:151], v[6:7], v[150:151]
	v_add_f64_e32 v[12:13], v[136:137], v[140:141]
	v_add_f64_e32 v[136:137], v[142:143], v[168:169]
	s_wait_loadcnt_dscnt 0x100
	v_mul_f64_e32 v[140:141], v[132:133], v[154:155]
	v_mul_f64_e32 v[142:143], v[134:135], v[154:155]
	v_fmac_f64_e32 v[2:3], v[6:7], v[148:149]
	v_fma_f64 v[4:5], v[4:5], v[148:149], -v[150:151]
	v_add_f64_e32 v[6:7], v[12:13], v[10:11]
	v_add_f64_e32 v[10:11], v[136:137], v[138:139]
	v_fmac_f64_e32 v[140:141], v[134:135], v[152:153]
	v_fma_f64 v[12:13], v[132:133], v[152:153], -v[142:143]
	s_delay_alu instid0(VALU_DEP_4) | instskip(NEXT) | instid1(VALU_DEP_4)
	v_add_f64_e32 v[4:5], v[6:7], v[4:5]
	v_add_f64_e32 v[2:3], v[10:11], v[2:3]
	s_delay_alu instid0(VALU_DEP_2) | instskip(NEXT) | instid1(VALU_DEP_2)
	v_add_f64_e32 v[4:5], v[4:5], v[12:13]
	v_add_f64_e32 v[6:7], v[2:3], v[140:141]
	s_wait_loadcnt 0x0
	s_delay_alu instid0(VALU_DEP_2) | instskip(NEXT) | instid1(VALU_DEP_2)
	v_add_f64_e64 v[2:3], v[164:165], -v[4:5]
	v_add_f64_e64 v[4:5], v[166:167], -v[6:7]
	scratch_store_b128 off, v[2:5], off offset:800
	s_wait_xcnt 0x0
	v_cmpx_lt_u32_e32 49, v1
	s_cbranch_execz .LBB58_269
; %bb.268:
	scratch_load_b128 v[2:5], off, s13
	v_mov_b32_e32 v10, 0
	s_delay_alu instid0(VALU_DEP_1)
	v_dual_mov_b32 v11, v10 :: v_dual_mov_b32 v12, v10
	v_mov_b32_e32 v13, v10
	scratch_store_b128 off, v[10:13], off offset:784
	s_wait_loadcnt 0x0
	ds_store_b128 v8, v[2:5]
.LBB58_269:
	s_wait_xcnt 0x0
	s_or_b32 exec_lo, exec_lo, s2
	s_wait_storecnt_dscnt 0x0
	s_barrier_signal -1
	s_barrier_wait -1
	s_clause 0x8
	scratch_load_b128 v[4:7], off, off offset:800
	scratch_load_b128 v[10:13], off, off offset:816
	;; [unrolled: 1-line block ×9, first 2 shown]
	v_mov_b32_e32 v2, 0
	scratch_load_b128 v[164:167], off, off offset:784
	s_mov_b32 s2, exec_lo
	ds_load_b128 v[160:163], v2 offset:1744
	ds_load_b128 v[168:171], v2 offset:1760
	s_wait_loadcnt_dscnt 0x901
	v_mul_f64_e32 v[172:173], v[162:163], v[6:7]
	v_mul_f64_e32 v[174:175], v[160:161], v[6:7]
	s_wait_loadcnt_dscnt 0x800
	v_mul_f64_e32 v[176:177], v[168:169], v[12:13]
	v_mul_f64_e32 v[12:13], v[170:171], v[12:13]
	s_delay_alu instid0(VALU_DEP_4) | instskip(NEXT) | instid1(VALU_DEP_4)
	v_fma_f64 v[172:173], v[160:161], v[4:5], -v[172:173]
	v_fmac_f64_e32 v[174:175], v[162:163], v[4:5]
	ds_load_b128 v[4:7], v2 offset:1776
	ds_load_b128 v[160:163], v2 offset:1792
	v_fmac_f64_e32 v[176:177], v[170:171], v[10:11]
	v_fma_f64 v[10:11], v[168:169], v[10:11], -v[12:13]
	s_wait_loadcnt_dscnt 0x701
	v_mul_f64_e32 v[178:179], v[4:5], v[134:135]
	v_mul_f64_e32 v[134:135], v[6:7], v[134:135]
	s_wait_loadcnt_dscnt 0x600
	v_mul_f64_e32 v[170:171], v[160:161], v[138:139]
	v_mul_f64_e32 v[138:139], v[162:163], v[138:139]
	v_add_f64_e32 v[12:13], 0, v[172:173]
	v_add_f64_e32 v[168:169], 0, v[174:175]
	v_fmac_f64_e32 v[178:179], v[6:7], v[132:133]
	v_fma_f64 v[132:133], v[4:5], v[132:133], -v[134:135]
	v_fmac_f64_e32 v[170:171], v[162:163], v[136:137]
	v_fma_f64 v[136:137], v[160:161], v[136:137], -v[138:139]
	v_add_f64_e32 v[134:135], v[12:13], v[10:11]
	v_add_f64_e32 v[168:169], v[168:169], v[176:177]
	ds_load_b128 v[4:7], v2 offset:1808
	ds_load_b128 v[10:13], v2 offset:1824
	s_wait_loadcnt_dscnt 0x501
	v_mul_f64_e32 v[172:173], v[4:5], v[142:143]
	v_mul_f64_e32 v[142:143], v[6:7], v[142:143]
	s_wait_loadcnt_dscnt 0x400
	v_mul_f64_e32 v[138:139], v[10:11], v[146:147]
	v_mul_f64_e32 v[146:147], v[12:13], v[146:147]
	v_add_f64_e32 v[132:133], v[134:135], v[132:133]
	v_add_f64_e32 v[134:135], v[168:169], v[178:179]
	v_fmac_f64_e32 v[172:173], v[6:7], v[140:141]
	v_fma_f64 v[140:141], v[4:5], v[140:141], -v[142:143]
	v_fmac_f64_e32 v[138:139], v[12:13], v[144:145]
	v_fma_f64 v[10:11], v[10:11], v[144:145], -v[146:147]
	v_add_f64_e32 v[136:137], v[132:133], v[136:137]
	v_add_f64_e32 v[142:143], v[134:135], v[170:171]
	ds_load_b128 v[4:7], v2 offset:1840
	ds_load_b128 v[132:135], v2 offset:1856
	s_wait_loadcnt_dscnt 0x301
	v_mul_f64_e32 v[160:161], v[4:5], v[150:151]
	v_mul_f64_e32 v[150:151], v[6:7], v[150:151]
	v_add_f64_e32 v[12:13], v[136:137], v[140:141]
	v_add_f64_e32 v[136:137], v[142:143], v[172:173]
	s_wait_loadcnt_dscnt 0x200
	v_mul_f64_e32 v[140:141], v[132:133], v[154:155]
	v_mul_f64_e32 v[142:143], v[134:135], v[154:155]
	v_fmac_f64_e32 v[160:161], v[6:7], v[148:149]
	v_fma_f64 v[144:145], v[4:5], v[148:149], -v[150:151]
	ds_load_b128 v[4:7], v2 offset:1872
	v_add_f64_e32 v[10:11], v[12:13], v[10:11]
	v_add_f64_e32 v[12:13], v[136:137], v[138:139]
	v_fmac_f64_e32 v[140:141], v[134:135], v[152:153]
	v_fma_f64 v[132:133], v[132:133], v[152:153], -v[142:143]
	s_wait_loadcnt_dscnt 0x100
	v_mul_f64_e32 v[136:137], v[4:5], v[158:159]
	v_mul_f64_e32 v[138:139], v[6:7], v[158:159]
	v_add_f64_e32 v[10:11], v[10:11], v[144:145]
	v_add_f64_e32 v[12:13], v[12:13], v[160:161]
	s_delay_alu instid0(VALU_DEP_4) | instskip(NEXT) | instid1(VALU_DEP_4)
	v_fmac_f64_e32 v[136:137], v[6:7], v[156:157]
	v_fma_f64 v[4:5], v[4:5], v[156:157], -v[138:139]
	s_delay_alu instid0(VALU_DEP_4) | instskip(NEXT) | instid1(VALU_DEP_4)
	v_add_f64_e32 v[6:7], v[10:11], v[132:133]
	v_add_f64_e32 v[10:11], v[12:13], v[140:141]
	s_delay_alu instid0(VALU_DEP_2) | instskip(NEXT) | instid1(VALU_DEP_2)
	v_add_f64_e32 v[4:5], v[6:7], v[4:5]
	v_add_f64_e32 v[6:7], v[10:11], v[136:137]
	s_wait_loadcnt 0x0
	s_delay_alu instid0(VALU_DEP_2) | instskip(NEXT) | instid1(VALU_DEP_2)
	v_add_f64_e64 v[4:5], v[164:165], -v[4:5]
	v_add_f64_e64 v[6:7], v[166:167], -v[6:7]
	scratch_store_b128 off, v[4:7], off offset:784
	s_wait_xcnt 0x0
	v_cmpx_lt_u32_e32 48, v1
	s_cbranch_execz .LBB58_271
; %bb.270:
	scratch_load_b128 v[10:13], off, s20
	v_dual_mov_b32 v3, v2 :: v_dual_mov_b32 v4, v2
	v_mov_b32_e32 v5, v2
	scratch_store_b128 off, v[2:5], off offset:768
	s_wait_loadcnt 0x0
	ds_store_b128 v8, v[10:13]
.LBB58_271:
	s_wait_xcnt 0x0
	s_or_b32 exec_lo, exec_lo, s2
	s_wait_storecnt_dscnt 0x0
	s_barrier_signal -1
	s_barrier_wait -1
	s_clause 0x9
	scratch_load_b128 v[4:7], off, off offset:784
	scratch_load_b128 v[10:13], off, off offset:800
	;; [unrolled: 1-line block ×10, first 2 shown]
	ds_load_b128 v[164:167], v2 offset:1728
	ds_load_b128 v[168:171], v2 offset:1744
	scratch_load_b128 v[172:175], off, off offset:768
	s_mov_b32 s2, exec_lo
	s_wait_loadcnt_dscnt 0xa01
	v_mul_f64_e32 v[176:177], v[166:167], v[6:7]
	v_mul_f64_e32 v[178:179], v[164:165], v[6:7]
	s_wait_loadcnt_dscnt 0x900
	v_mul_f64_e32 v[180:181], v[168:169], v[12:13]
	v_mul_f64_e32 v[12:13], v[170:171], v[12:13]
	s_delay_alu instid0(VALU_DEP_4) | instskip(NEXT) | instid1(VALU_DEP_4)
	v_fma_f64 v[176:177], v[164:165], v[4:5], -v[176:177]
	v_fmac_f64_e32 v[178:179], v[166:167], v[4:5]
	ds_load_b128 v[4:7], v2 offset:1760
	ds_load_b128 v[164:167], v2 offset:1776
	v_fmac_f64_e32 v[180:181], v[170:171], v[10:11]
	v_fma_f64 v[10:11], v[168:169], v[10:11], -v[12:13]
	s_wait_loadcnt_dscnt 0x801
	v_mul_f64_e32 v[182:183], v[4:5], v[134:135]
	v_mul_f64_e32 v[134:135], v[6:7], v[134:135]
	s_wait_loadcnt_dscnt 0x700
	v_mul_f64_e32 v[170:171], v[164:165], v[138:139]
	v_mul_f64_e32 v[138:139], v[166:167], v[138:139]
	v_add_f64_e32 v[12:13], 0, v[176:177]
	v_add_f64_e32 v[168:169], 0, v[178:179]
	v_fmac_f64_e32 v[182:183], v[6:7], v[132:133]
	v_fma_f64 v[132:133], v[4:5], v[132:133], -v[134:135]
	v_fmac_f64_e32 v[170:171], v[166:167], v[136:137]
	v_fma_f64 v[136:137], v[164:165], v[136:137], -v[138:139]
	v_add_f64_e32 v[134:135], v[12:13], v[10:11]
	v_add_f64_e32 v[168:169], v[168:169], v[180:181]
	ds_load_b128 v[4:7], v2 offset:1792
	ds_load_b128 v[10:13], v2 offset:1808
	s_wait_loadcnt_dscnt 0x601
	v_mul_f64_e32 v[176:177], v[4:5], v[142:143]
	v_mul_f64_e32 v[142:143], v[6:7], v[142:143]
	s_wait_loadcnt_dscnt 0x500
	v_mul_f64_e32 v[138:139], v[10:11], v[146:147]
	v_mul_f64_e32 v[146:147], v[12:13], v[146:147]
	v_add_f64_e32 v[132:133], v[134:135], v[132:133]
	v_add_f64_e32 v[134:135], v[168:169], v[182:183]
	v_fmac_f64_e32 v[176:177], v[6:7], v[140:141]
	v_fma_f64 v[140:141], v[4:5], v[140:141], -v[142:143]
	v_fmac_f64_e32 v[138:139], v[12:13], v[144:145]
	v_fma_f64 v[10:11], v[10:11], v[144:145], -v[146:147]
	v_add_f64_e32 v[136:137], v[132:133], v[136:137]
	v_add_f64_e32 v[142:143], v[134:135], v[170:171]
	ds_load_b128 v[4:7], v2 offset:1824
	ds_load_b128 v[132:135], v2 offset:1840
	s_wait_loadcnt_dscnt 0x401
	v_mul_f64_e32 v[164:165], v[4:5], v[150:151]
	v_mul_f64_e32 v[150:151], v[6:7], v[150:151]
	v_add_f64_e32 v[12:13], v[136:137], v[140:141]
	v_add_f64_e32 v[136:137], v[142:143], v[176:177]
	s_wait_loadcnt_dscnt 0x300
	v_mul_f64_e32 v[140:141], v[132:133], v[154:155]
	v_mul_f64_e32 v[142:143], v[134:135], v[154:155]
	v_fmac_f64_e32 v[164:165], v[6:7], v[148:149]
	v_fma_f64 v[144:145], v[4:5], v[148:149], -v[150:151]
	v_add_f64_e32 v[146:147], v[12:13], v[10:11]
	v_add_f64_e32 v[136:137], v[136:137], v[138:139]
	ds_load_b128 v[4:7], v2 offset:1856
	ds_load_b128 v[10:13], v2 offset:1872
	v_fmac_f64_e32 v[140:141], v[134:135], v[152:153]
	v_fma_f64 v[132:133], v[132:133], v[152:153], -v[142:143]
	s_wait_loadcnt_dscnt 0x201
	v_mul_f64_e32 v[2:3], v[4:5], v[158:159]
	v_mul_f64_e32 v[138:139], v[6:7], v[158:159]
	s_wait_loadcnt_dscnt 0x100
	v_mul_f64_e32 v[142:143], v[10:11], v[162:163]
	v_add_f64_e32 v[134:135], v[146:147], v[144:145]
	v_add_f64_e32 v[136:137], v[136:137], v[164:165]
	v_mul_f64_e32 v[144:145], v[12:13], v[162:163]
	v_fmac_f64_e32 v[2:3], v[6:7], v[156:157]
	v_fma_f64 v[4:5], v[4:5], v[156:157], -v[138:139]
	v_fmac_f64_e32 v[142:143], v[12:13], v[160:161]
	v_add_f64_e32 v[6:7], v[134:135], v[132:133]
	v_add_f64_e32 v[132:133], v[136:137], v[140:141]
	v_fma_f64 v[10:11], v[10:11], v[160:161], -v[144:145]
	s_delay_alu instid0(VALU_DEP_3) | instskip(NEXT) | instid1(VALU_DEP_3)
	v_add_f64_e32 v[4:5], v[6:7], v[4:5]
	v_add_f64_e32 v[2:3], v[132:133], v[2:3]
	s_delay_alu instid0(VALU_DEP_2) | instskip(NEXT) | instid1(VALU_DEP_2)
	v_add_f64_e32 v[4:5], v[4:5], v[10:11]
	v_add_f64_e32 v[6:7], v[2:3], v[142:143]
	s_wait_loadcnt 0x0
	s_delay_alu instid0(VALU_DEP_2) | instskip(NEXT) | instid1(VALU_DEP_2)
	v_add_f64_e64 v[2:3], v[172:173], -v[4:5]
	v_add_f64_e64 v[4:5], v[174:175], -v[6:7]
	scratch_store_b128 off, v[2:5], off offset:768
	s_wait_xcnt 0x0
	v_cmpx_lt_u32_e32 47, v1
	s_cbranch_execz .LBB58_273
; %bb.272:
	scratch_load_b128 v[2:5], off, s15
	v_mov_b32_e32 v10, 0
	s_delay_alu instid0(VALU_DEP_1)
	v_dual_mov_b32 v11, v10 :: v_dual_mov_b32 v12, v10
	v_mov_b32_e32 v13, v10
	scratch_store_b128 off, v[10:13], off offset:752
	s_wait_loadcnt 0x0
	ds_store_b128 v8, v[2:5]
.LBB58_273:
	s_wait_xcnt 0x0
	s_or_b32 exec_lo, exec_lo, s2
	s_wait_storecnt_dscnt 0x0
	s_barrier_signal -1
	s_barrier_wait -1
	s_clause 0x9
	scratch_load_b128 v[4:7], off, off offset:768
	scratch_load_b128 v[10:13], off, off offset:784
	;; [unrolled: 1-line block ×10, first 2 shown]
	v_mov_b32_e32 v2, 0
	s_mov_b32 s2, exec_lo
	ds_load_b128 v[164:167], v2 offset:1712
	s_clause 0x1
	scratch_load_b128 v[168:171], off, off offset:928
	scratch_load_b128 v[172:175], off, off offset:752
	s_wait_loadcnt_dscnt 0xb00
	v_mul_f64_e32 v[180:181], v[166:167], v[6:7]
	v_mul_f64_e32 v[182:183], v[164:165], v[6:7]
	ds_load_b128 v[176:179], v2 offset:1728
	s_wait_loadcnt_dscnt 0xa00
	v_mul_f64_e32 v[184:185], v[176:177], v[12:13]
	v_mul_f64_e32 v[12:13], v[178:179], v[12:13]
	v_fma_f64 v[180:181], v[164:165], v[4:5], -v[180:181]
	v_fmac_f64_e32 v[182:183], v[166:167], v[4:5]
	ds_load_b128 v[4:7], v2 offset:1744
	ds_load_b128 v[164:167], v2 offset:1760
	s_wait_loadcnt_dscnt 0x901
	v_mul_f64_e32 v[186:187], v[4:5], v[134:135]
	v_mul_f64_e32 v[134:135], v[6:7], v[134:135]
	v_fmac_f64_e32 v[184:185], v[178:179], v[10:11]
	v_fma_f64 v[10:11], v[176:177], v[10:11], -v[12:13]
	s_wait_loadcnt_dscnt 0x800
	v_mul_f64_e32 v[178:179], v[164:165], v[138:139]
	v_mul_f64_e32 v[138:139], v[166:167], v[138:139]
	v_add_f64_e32 v[12:13], 0, v[180:181]
	v_add_f64_e32 v[176:177], 0, v[182:183]
	v_fmac_f64_e32 v[186:187], v[6:7], v[132:133]
	v_fma_f64 v[132:133], v[4:5], v[132:133], -v[134:135]
	v_fmac_f64_e32 v[178:179], v[166:167], v[136:137]
	v_fma_f64 v[136:137], v[164:165], v[136:137], -v[138:139]
	v_add_f64_e32 v[134:135], v[12:13], v[10:11]
	v_add_f64_e32 v[176:177], v[176:177], v[184:185]
	ds_load_b128 v[4:7], v2 offset:1776
	ds_load_b128 v[10:13], v2 offset:1792
	s_wait_loadcnt_dscnt 0x701
	v_mul_f64_e32 v[180:181], v[4:5], v[142:143]
	v_mul_f64_e32 v[142:143], v[6:7], v[142:143]
	s_wait_loadcnt_dscnt 0x600
	v_mul_f64_e32 v[138:139], v[10:11], v[146:147]
	v_mul_f64_e32 v[146:147], v[12:13], v[146:147]
	v_add_f64_e32 v[132:133], v[134:135], v[132:133]
	v_add_f64_e32 v[134:135], v[176:177], v[186:187]
	v_fmac_f64_e32 v[180:181], v[6:7], v[140:141]
	v_fma_f64 v[140:141], v[4:5], v[140:141], -v[142:143]
	v_fmac_f64_e32 v[138:139], v[12:13], v[144:145]
	v_fma_f64 v[10:11], v[10:11], v[144:145], -v[146:147]
	v_add_f64_e32 v[136:137], v[132:133], v[136:137]
	v_add_f64_e32 v[142:143], v[134:135], v[178:179]
	ds_load_b128 v[4:7], v2 offset:1808
	ds_load_b128 v[132:135], v2 offset:1824
	s_wait_loadcnt_dscnt 0x501
	v_mul_f64_e32 v[164:165], v[4:5], v[150:151]
	v_mul_f64_e32 v[150:151], v[6:7], v[150:151]
	v_add_f64_e32 v[12:13], v[136:137], v[140:141]
	v_add_f64_e32 v[136:137], v[142:143], v[180:181]
	s_wait_loadcnt_dscnt 0x400
	v_mul_f64_e32 v[140:141], v[132:133], v[154:155]
	v_mul_f64_e32 v[142:143], v[134:135], v[154:155]
	v_fmac_f64_e32 v[164:165], v[6:7], v[148:149]
	v_fma_f64 v[144:145], v[4:5], v[148:149], -v[150:151]
	v_add_f64_e32 v[146:147], v[12:13], v[10:11]
	v_add_f64_e32 v[136:137], v[136:137], v[138:139]
	ds_load_b128 v[4:7], v2 offset:1840
	ds_load_b128 v[10:13], v2 offset:1856
	v_fmac_f64_e32 v[140:141], v[134:135], v[152:153]
	v_fma_f64 v[132:133], v[132:133], v[152:153], -v[142:143]
	s_wait_loadcnt_dscnt 0x301
	v_mul_f64_e32 v[138:139], v[4:5], v[158:159]
	v_mul_f64_e32 v[148:149], v[6:7], v[158:159]
	s_wait_loadcnt_dscnt 0x200
	v_mul_f64_e32 v[142:143], v[10:11], v[162:163]
	v_add_f64_e32 v[134:135], v[146:147], v[144:145]
	v_add_f64_e32 v[136:137], v[136:137], v[164:165]
	v_mul_f64_e32 v[144:145], v[12:13], v[162:163]
	v_fmac_f64_e32 v[138:139], v[6:7], v[156:157]
	v_fma_f64 v[146:147], v[4:5], v[156:157], -v[148:149]
	ds_load_b128 v[4:7], v2 offset:1872
	v_fmac_f64_e32 v[142:143], v[12:13], v[160:161]
	v_add_f64_e32 v[132:133], v[134:135], v[132:133]
	v_add_f64_e32 v[134:135], v[136:137], v[140:141]
	v_fma_f64 v[10:11], v[10:11], v[160:161], -v[144:145]
	s_wait_loadcnt_dscnt 0x100
	v_mul_f64_e32 v[136:137], v[4:5], v[170:171]
	v_mul_f64_e32 v[140:141], v[6:7], v[170:171]
	v_add_f64_e32 v[12:13], v[132:133], v[146:147]
	v_add_f64_e32 v[132:133], v[134:135], v[138:139]
	s_delay_alu instid0(VALU_DEP_4) | instskip(NEXT) | instid1(VALU_DEP_4)
	v_fmac_f64_e32 v[136:137], v[6:7], v[168:169]
	v_fma_f64 v[4:5], v[4:5], v[168:169], -v[140:141]
	s_delay_alu instid0(VALU_DEP_4) | instskip(NEXT) | instid1(VALU_DEP_4)
	v_add_f64_e32 v[6:7], v[12:13], v[10:11]
	v_add_f64_e32 v[10:11], v[132:133], v[142:143]
	s_delay_alu instid0(VALU_DEP_2) | instskip(NEXT) | instid1(VALU_DEP_2)
	v_add_f64_e32 v[4:5], v[6:7], v[4:5]
	v_add_f64_e32 v[6:7], v[10:11], v[136:137]
	s_wait_loadcnt 0x0
	s_delay_alu instid0(VALU_DEP_2) | instskip(NEXT) | instid1(VALU_DEP_2)
	v_add_f64_e64 v[4:5], v[172:173], -v[4:5]
	v_add_f64_e64 v[6:7], v[174:175], -v[6:7]
	scratch_store_b128 off, v[4:7], off offset:752
	s_wait_xcnt 0x0
	v_cmpx_lt_u32_e32 46, v1
	s_cbranch_execz .LBB58_275
; %bb.274:
	scratch_load_b128 v[10:13], off, s22
	v_dual_mov_b32 v3, v2 :: v_dual_mov_b32 v4, v2
	v_mov_b32_e32 v5, v2
	scratch_store_b128 off, v[2:5], off offset:736
	s_wait_loadcnt 0x0
	ds_store_b128 v8, v[10:13]
.LBB58_275:
	s_wait_xcnt 0x0
	s_or_b32 exec_lo, exec_lo, s2
	s_wait_storecnt_dscnt 0x0
	s_barrier_signal -1
	s_barrier_wait -1
	s_clause 0x9
	scratch_load_b128 v[4:7], off, off offset:752
	scratch_load_b128 v[10:13], off, off offset:768
	;; [unrolled: 1-line block ×10, first 2 shown]
	ds_load_b128 v[164:167], v2 offset:1696
	ds_load_b128 v[172:175], v2 offset:1712
	s_clause 0x2
	scratch_load_b128 v[168:171], off, off offset:912
	scratch_load_b128 v[176:179], off, off offset:736
	;; [unrolled: 1-line block ×3, first 2 shown]
	s_mov_b32 s2, exec_lo
	s_wait_loadcnt_dscnt 0xc01
	v_mul_f64_e32 v[184:185], v[166:167], v[6:7]
	v_mul_f64_e32 v[186:187], v[164:165], v[6:7]
	s_wait_loadcnt_dscnt 0xb00
	v_mul_f64_e32 v[188:189], v[172:173], v[12:13]
	v_mul_f64_e32 v[12:13], v[174:175], v[12:13]
	s_delay_alu instid0(VALU_DEP_4) | instskip(NEXT) | instid1(VALU_DEP_4)
	v_fma_f64 v[184:185], v[164:165], v[4:5], -v[184:185]
	v_fmac_f64_e32 v[186:187], v[166:167], v[4:5]
	ds_load_b128 v[4:7], v2 offset:1728
	ds_load_b128 v[164:167], v2 offset:1744
	v_fmac_f64_e32 v[188:189], v[174:175], v[10:11]
	v_fma_f64 v[10:11], v[172:173], v[10:11], -v[12:13]
	s_wait_loadcnt_dscnt 0xa01
	v_mul_f64_e32 v[190:191], v[4:5], v[134:135]
	v_mul_f64_e32 v[134:135], v[6:7], v[134:135]
	s_wait_loadcnt_dscnt 0x900
	v_mul_f64_e32 v[174:175], v[164:165], v[138:139]
	v_mul_f64_e32 v[138:139], v[166:167], v[138:139]
	v_add_f64_e32 v[12:13], 0, v[184:185]
	v_add_f64_e32 v[172:173], 0, v[186:187]
	v_fmac_f64_e32 v[190:191], v[6:7], v[132:133]
	v_fma_f64 v[132:133], v[4:5], v[132:133], -v[134:135]
	v_fmac_f64_e32 v[174:175], v[166:167], v[136:137]
	v_fma_f64 v[136:137], v[164:165], v[136:137], -v[138:139]
	v_add_f64_e32 v[134:135], v[12:13], v[10:11]
	v_add_f64_e32 v[172:173], v[172:173], v[188:189]
	ds_load_b128 v[4:7], v2 offset:1760
	ds_load_b128 v[10:13], v2 offset:1776
	s_wait_loadcnt_dscnt 0x801
	v_mul_f64_e32 v[184:185], v[4:5], v[142:143]
	v_mul_f64_e32 v[142:143], v[6:7], v[142:143]
	s_wait_loadcnt_dscnt 0x700
	v_mul_f64_e32 v[138:139], v[10:11], v[146:147]
	v_mul_f64_e32 v[146:147], v[12:13], v[146:147]
	v_add_f64_e32 v[132:133], v[134:135], v[132:133]
	v_add_f64_e32 v[134:135], v[172:173], v[190:191]
	v_fmac_f64_e32 v[184:185], v[6:7], v[140:141]
	v_fma_f64 v[140:141], v[4:5], v[140:141], -v[142:143]
	v_fmac_f64_e32 v[138:139], v[12:13], v[144:145]
	v_fma_f64 v[10:11], v[10:11], v[144:145], -v[146:147]
	v_add_f64_e32 v[136:137], v[132:133], v[136:137]
	v_add_f64_e32 v[142:143], v[134:135], v[174:175]
	ds_load_b128 v[4:7], v2 offset:1792
	ds_load_b128 v[132:135], v2 offset:1808
	s_wait_loadcnt_dscnt 0x601
	v_mul_f64_e32 v[164:165], v[4:5], v[150:151]
	v_mul_f64_e32 v[150:151], v[6:7], v[150:151]
	v_add_f64_e32 v[12:13], v[136:137], v[140:141]
	v_add_f64_e32 v[136:137], v[142:143], v[184:185]
	s_wait_loadcnt_dscnt 0x500
	v_mul_f64_e32 v[140:141], v[132:133], v[154:155]
	v_mul_f64_e32 v[142:143], v[134:135], v[154:155]
	v_fmac_f64_e32 v[164:165], v[6:7], v[148:149]
	v_fma_f64 v[144:145], v[4:5], v[148:149], -v[150:151]
	v_add_f64_e32 v[146:147], v[12:13], v[10:11]
	v_add_f64_e32 v[136:137], v[136:137], v[138:139]
	ds_load_b128 v[4:7], v2 offset:1824
	ds_load_b128 v[10:13], v2 offset:1840
	v_fmac_f64_e32 v[140:141], v[134:135], v[152:153]
	v_fma_f64 v[132:133], v[132:133], v[152:153], -v[142:143]
	s_wait_loadcnt_dscnt 0x401
	v_mul_f64_e32 v[138:139], v[4:5], v[158:159]
	v_mul_f64_e32 v[148:149], v[6:7], v[158:159]
	s_wait_loadcnt_dscnt 0x300
	v_mul_f64_e32 v[142:143], v[10:11], v[162:163]
	v_add_f64_e32 v[134:135], v[146:147], v[144:145]
	v_add_f64_e32 v[136:137], v[136:137], v[164:165]
	v_mul_f64_e32 v[144:145], v[12:13], v[162:163]
	v_fmac_f64_e32 v[138:139], v[6:7], v[156:157]
	v_fma_f64 v[146:147], v[4:5], v[156:157], -v[148:149]
	v_fmac_f64_e32 v[142:143], v[12:13], v[160:161]
	v_add_f64_e32 v[148:149], v[134:135], v[132:133]
	v_add_f64_e32 v[136:137], v[136:137], v[140:141]
	ds_load_b128 v[4:7], v2 offset:1856
	ds_load_b128 v[132:135], v2 offset:1872
	v_fma_f64 v[10:11], v[10:11], v[160:161], -v[144:145]
	s_wait_loadcnt_dscnt 0x201
	v_mul_f64_e32 v[2:3], v[4:5], v[170:171]
	v_mul_f64_e32 v[140:141], v[6:7], v[170:171]
	s_wait_loadcnt_dscnt 0x0
	v_mul_f64_e32 v[144:145], v[134:135], v[182:183]
	v_add_f64_e32 v[12:13], v[148:149], v[146:147]
	v_add_f64_e32 v[136:137], v[136:137], v[138:139]
	v_mul_f64_e32 v[138:139], v[132:133], v[182:183]
	v_fmac_f64_e32 v[2:3], v[6:7], v[168:169]
	v_fma_f64 v[4:5], v[4:5], v[168:169], -v[140:141]
	v_add_f64_e32 v[6:7], v[12:13], v[10:11]
	v_add_f64_e32 v[10:11], v[136:137], v[142:143]
	v_fmac_f64_e32 v[138:139], v[134:135], v[180:181]
	v_fma_f64 v[12:13], v[132:133], v[180:181], -v[144:145]
	s_delay_alu instid0(VALU_DEP_4) | instskip(NEXT) | instid1(VALU_DEP_4)
	v_add_f64_e32 v[4:5], v[6:7], v[4:5]
	v_add_f64_e32 v[2:3], v[10:11], v[2:3]
	s_delay_alu instid0(VALU_DEP_2) | instskip(NEXT) | instid1(VALU_DEP_2)
	v_add_f64_e32 v[4:5], v[4:5], v[12:13]
	v_add_f64_e32 v[6:7], v[2:3], v[138:139]
	s_delay_alu instid0(VALU_DEP_2) | instskip(NEXT) | instid1(VALU_DEP_2)
	v_add_f64_e64 v[2:3], v[176:177], -v[4:5]
	v_add_f64_e64 v[4:5], v[178:179], -v[6:7]
	scratch_store_b128 off, v[2:5], off offset:736
	s_wait_xcnt 0x0
	v_cmpx_lt_u32_e32 45, v1
	s_cbranch_execz .LBB58_277
; %bb.276:
	scratch_load_b128 v[2:5], off, s21
	v_mov_b32_e32 v10, 0
	s_delay_alu instid0(VALU_DEP_1)
	v_dual_mov_b32 v11, v10 :: v_dual_mov_b32 v12, v10
	v_mov_b32_e32 v13, v10
	scratch_store_b128 off, v[10:13], off offset:720
	s_wait_loadcnt 0x0
	ds_store_b128 v8, v[2:5]
.LBB58_277:
	s_wait_xcnt 0x0
	s_or_b32 exec_lo, exec_lo, s2
	s_wait_storecnt_dscnt 0x0
	s_barrier_signal -1
	s_barrier_wait -1
	s_clause 0x9
	scratch_load_b128 v[4:7], off, off offset:736
	scratch_load_b128 v[10:13], off, off offset:752
	;; [unrolled: 1-line block ×10, first 2 shown]
	v_mov_b32_e32 v2, 0
	s_mov_b32 s2, exec_lo
	ds_load_b128 v[164:167], v2 offset:1680
	s_clause 0x2
	scratch_load_b128 v[168:171], off, off offset:896
	scratch_load_b128 v[172:175], off, off offset:720
	;; [unrolled: 1-line block ×3, first 2 shown]
	s_wait_loadcnt_dscnt 0xc00
	v_mul_f64_e32 v[184:185], v[166:167], v[6:7]
	v_mul_f64_e32 v[188:189], v[164:165], v[6:7]
	ds_load_b128 v[176:179], v2 offset:1696
	v_fma_f64 v[192:193], v[164:165], v[4:5], -v[184:185]
	v_fmac_f64_e32 v[188:189], v[166:167], v[4:5]
	ds_load_b128 v[4:7], v2 offset:1712
	s_wait_loadcnt_dscnt 0xb01
	v_mul_f64_e32 v[190:191], v[176:177], v[12:13]
	v_mul_f64_e32 v[12:13], v[178:179], v[12:13]
	scratch_load_b128 v[164:167], off, off offset:928
	ds_load_b128 v[184:187], v2 offset:1728
	s_wait_loadcnt_dscnt 0xb01
	v_mul_f64_e32 v[194:195], v[4:5], v[134:135]
	v_mul_f64_e32 v[134:135], v[6:7], v[134:135]
	v_fmac_f64_e32 v[190:191], v[178:179], v[10:11]
	v_fma_f64 v[10:11], v[176:177], v[10:11], -v[12:13]
	v_add_f64_e32 v[12:13], 0, v[192:193]
	v_add_f64_e32 v[176:177], 0, v[188:189]
	s_wait_loadcnt_dscnt 0xa00
	v_mul_f64_e32 v[178:179], v[184:185], v[138:139]
	v_mul_f64_e32 v[138:139], v[186:187], v[138:139]
	v_fmac_f64_e32 v[194:195], v[6:7], v[132:133]
	v_fma_f64 v[132:133], v[4:5], v[132:133], -v[134:135]
	v_add_f64_e32 v[134:135], v[12:13], v[10:11]
	v_add_f64_e32 v[176:177], v[176:177], v[190:191]
	ds_load_b128 v[4:7], v2 offset:1744
	ds_load_b128 v[10:13], v2 offset:1760
	v_fmac_f64_e32 v[178:179], v[186:187], v[136:137]
	v_fma_f64 v[136:137], v[184:185], v[136:137], -v[138:139]
	s_wait_loadcnt_dscnt 0x901
	v_mul_f64_e32 v[188:189], v[4:5], v[142:143]
	v_mul_f64_e32 v[142:143], v[6:7], v[142:143]
	s_wait_loadcnt_dscnt 0x800
	v_mul_f64_e32 v[138:139], v[10:11], v[146:147]
	v_mul_f64_e32 v[146:147], v[12:13], v[146:147]
	v_add_f64_e32 v[132:133], v[134:135], v[132:133]
	v_add_f64_e32 v[134:135], v[176:177], v[194:195]
	v_fmac_f64_e32 v[188:189], v[6:7], v[140:141]
	v_fma_f64 v[140:141], v[4:5], v[140:141], -v[142:143]
	v_fmac_f64_e32 v[138:139], v[12:13], v[144:145]
	v_fma_f64 v[10:11], v[10:11], v[144:145], -v[146:147]
	v_add_f64_e32 v[136:137], v[132:133], v[136:137]
	v_add_f64_e32 v[142:143], v[134:135], v[178:179]
	ds_load_b128 v[4:7], v2 offset:1776
	ds_load_b128 v[132:135], v2 offset:1792
	s_wait_loadcnt_dscnt 0x701
	v_mul_f64_e32 v[176:177], v[4:5], v[150:151]
	v_mul_f64_e32 v[150:151], v[6:7], v[150:151]
	v_add_f64_e32 v[12:13], v[136:137], v[140:141]
	v_add_f64_e32 v[136:137], v[142:143], v[188:189]
	s_wait_loadcnt_dscnt 0x600
	v_mul_f64_e32 v[140:141], v[132:133], v[154:155]
	v_mul_f64_e32 v[142:143], v[134:135], v[154:155]
	v_fmac_f64_e32 v[176:177], v[6:7], v[148:149]
	v_fma_f64 v[144:145], v[4:5], v[148:149], -v[150:151]
	v_add_f64_e32 v[146:147], v[12:13], v[10:11]
	v_add_f64_e32 v[136:137], v[136:137], v[138:139]
	ds_load_b128 v[4:7], v2 offset:1808
	ds_load_b128 v[10:13], v2 offset:1824
	v_fmac_f64_e32 v[140:141], v[134:135], v[152:153]
	v_fma_f64 v[132:133], v[132:133], v[152:153], -v[142:143]
	s_wait_loadcnt_dscnt 0x501
	v_mul_f64_e32 v[138:139], v[4:5], v[158:159]
	v_mul_f64_e32 v[148:149], v[6:7], v[158:159]
	s_wait_loadcnt_dscnt 0x400
	v_mul_f64_e32 v[142:143], v[10:11], v[162:163]
	v_add_f64_e32 v[134:135], v[146:147], v[144:145]
	v_add_f64_e32 v[136:137], v[136:137], v[176:177]
	v_mul_f64_e32 v[144:145], v[12:13], v[162:163]
	v_fmac_f64_e32 v[138:139], v[6:7], v[156:157]
	v_fma_f64 v[146:147], v[4:5], v[156:157], -v[148:149]
	v_fmac_f64_e32 v[142:143], v[12:13], v[160:161]
	v_add_f64_e32 v[148:149], v[134:135], v[132:133]
	v_add_f64_e32 v[136:137], v[136:137], v[140:141]
	ds_load_b128 v[4:7], v2 offset:1840
	ds_load_b128 v[132:135], v2 offset:1856
	v_fma_f64 v[10:11], v[10:11], v[160:161], -v[144:145]
	s_wait_loadcnt_dscnt 0x301
	v_mul_f64_e32 v[140:141], v[4:5], v[170:171]
	v_mul_f64_e32 v[150:151], v[6:7], v[170:171]
	s_wait_loadcnt_dscnt 0x100
	v_mul_f64_e32 v[144:145], v[134:135], v[182:183]
	v_add_f64_e32 v[12:13], v[148:149], v[146:147]
	v_add_f64_e32 v[136:137], v[136:137], v[138:139]
	v_mul_f64_e32 v[138:139], v[132:133], v[182:183]
	v_fmac_f64_e32 v[140:141], v[6:7], v[168:169]
	v_fma_f64 v[146:147], v[4:5], v[168:169], -v[150:151]
	ds_load_b128 v[4:7], v2 offset:1872
	v_fma_f64 v[132:133], v[132:133], v[180:181], -v[144:145]
	v_add_f64_e32 v[10:11], v[12:13], v[10:11]
	v_add_f64_e32 v[12:13], v[136:137], v[142:143]
	v_fmac_f64_e32 v[138:139], v[134:135], v[180:181]
	s_wait_loadcnt_dscnt 0x0
	v_mul_f64_e32 v[136:137], v[4:5], v[166:167]
	v_mul_f64_e32 v[142:143], v[6:7], v[166:167]
	v_add_f64_e32 v[10:11], v[10:11], v[146:147]
	v_add_f64_e32 v[12:13], v[12:13], v[140:141]
	s_delay_alu instid0(VALU_DEP_4) | instskip(NEXT) | instid1(VALU_DEP_4)
	v_fmac_f64_e32 v[136:137], v[6:7], v[164:165]
	v_fma_f64 v[4:5], v[4:5], v[164:165], -v[142:143]
	s_delay_alu instid0(VALU_DEP_4) | instskip(NEXT) | instid1(VALU_DEP_4)
	v_add_f64_e32 v[6:7], v[10:11], v[132:133]
	v_add_f64_e32 v[10:11], v[12:13], v[138:139]
	s_delay_alu instid0(VALU_DEP_2) | instskip(NEXT) | instid1(VALU_DEP_2)
	v_add_f64_e32 v[4:5], v[6:7], v[4:5]
	v_add_f64_e32 v[6:7], v[10:11], v[136:137]
	s_delay_alu instid0(VALU_DEP_2) | instskip(NEXT) | instid1(VALU_DEP_2)
	v_add_f64_e64 v[4:5], v[172:173], -v[4:5]
	v_add_f64_e64 v[6:7], v[174:175], -v[6:7]
	scratch_store_b128 off, v[4:7], off offset:720
	s_wait_xcnt 0x0
	v_cmpx_lt_u32_e32 44, v1
	s_cbranch_execz .LBB58_279
; %bb.278:
	scratch_load_b128 v[10:13], off, s26
	v_dual_mov_b32 v3, v2 :: v_dual_mov_b32 v4, v2
	v_mov_b32_e32 v5, v2
	scratch_store_b128 off, v[2:5], off offset:704
	s_wait_loadcnt 0x0
	ds_store_b128 v8, v[10:13]
.LBB58_279:
	s_wait_xcnt 0x0
	s_or_b32 exec_lo, exec_lo, s2
	s_wait_storecnt_dscnt 0x0
	s_barrier_signal -1
	s_barrier_wait -1
	s_clause 0x9
	scratch_load_b128 v[4:7], off, off offset:720
	scratch_load_b128 v[10:13], off, off offset:736
	;; [unrolled: 1-line block ×10, first 2 shown]
	ds_load_b128 v[164:167], v2 offset:1664
	ds_load_b128 v[172:175], v2 offset:1680
	s_clause 0x2
	scratch_load_b128 v[168:171], off, off offset:880
	scratch_load_b128 v[176:179], off, off offset:704
	;; [unrolled: 1-line block ×3, first 2 shown]
	s_mov_b32 s2, exec_lo
	s_wait_loadcnt_dscnt 0xc01
	v_mul_f64_e32 v[184:185], v[166:167], v[6:7]
	v_mul_f64_e32 v[188:189], v[164:165], v[6:7]
	s_wait_loadcnt_dscnt 0xb00
	v_mul_f64_e32 v[190:191], v[172:173], v[12:13]
	v_mul_f64_e32 v[12:13], v[174:175], v[12:13]
	s_delay_alu instid0(VALU_DEP_4) | instskip(NEXT) | instid1(VALU_DEP_4)
	v_fma_f64 v[192:193], v[164:165], v[4:5], -v[184:185]
	v_fmac_f64_e32 v[188:189], v[166:167], v[4:5]
	ds_load_b128 v[4:7], v2 offset:1696
	ds_load_b128 v[164:167], v2 offset:1712
	scratch_load_b128 v[184:187], off, off offset:912
	v_fmac_f64_e32 v[190:191], v[174:175], v[10:11]
	v_fma_f64 v[172:173], v[172:173], v[10:11], -v[12:13]
	scratch_load_b128 v[10:13], off, off offset:928
	s_wait_loadcnt_dscnt 0xc01
	v_mul_f64_e32 v[194:195], v[4:5], v[134:135]
	v_mul_f64_e32 v[134:135], v[6:7], v[134:135]
	v_add_f64_e32 v[174:175], 0, v[192:193]
	v_add_f64_e32 v[188:189], 0, v[188:189]
	s_wait_loadcnt_dscnt 0xb00
	v_mul_f64_e32 v[192:193], v[164:165], v[138:139]
	v_mul_f64_e32 v[138:139], v[166:167], v[138:139]
	v_fmac_f64_e32 v[194:195], v[6:7], v[132:133]
	v_fma_f64 v[196:197], v[4:5], v[132:133], -v[134:135]
	ds_load_b128 v[4:7], v2 offset:1728
	ds_load_b128 v[132:135], v2 offset:1744
	v_add_f64_e32 v[172:173], v[174:175], v[172:173]
	v_add_f64_e32 v[174:175], v[188:189], v[190:191]
	v_fmac_f64_e32 v[192:193], v[166:167], v[136:137]
	v_fma_f64 v[136:137], v[164:165], v[136:137], -v[138:139]
	s_wait_loadcnt_dscnt 0xa01
	v_mul_f64_e32 v[188:189], v[4:5], v[142:143]
	v_mul_f64_e32 v[142:143], v[6:7], v[142:143]
	s_wait_loadcnt_dscnt 0x900
	v_mul_f64_e32 v[166:167], v[132:133], v[146:147]
	v_mul_f64_e32 v[146:147], v[134:135], v[146:147]
	v_add_f64_e32 v[138:139], v[172:173], v[196:197]
	v_add_f64_e32 v[164:165], v[174:175], v[194:195]
	v_fmac_f64_e32 v[188:189], v[6:7], v[140:141]
	v_fma_f64 v[140:141], v[4:5], v[140:141], -v[142:143]
	v_fmac_f64_e32 v[166:167], v[134:135], v[144:145]
	v_fma_f64 v[132:133], v[132:133], v[144:145], -v[146:147]
	v_add_f64_e32 v[142:143], v[138:139], v[136:137]
	v_add_f64_e32 v[164:165], v[164:165], v[192:193]
	ds_load_b128 v[4:7], v2 offset:1760
	ds_load_b128 v[136:139], v2 offset:1776
	s_wait_loadcnt_dscnt 0x801
	v_mul_f64_e32 v[172:173], v[4:5], v[150:151]
	v_mul_f64_e32 v[150:151], v[6:7], v[150:151]
	s_wait_loadcnt_dscnt 0x700
	v_mul_f64_e32 v[144:145], v[138:139], v[154:155]
	v_add_f64_e32 v[134:135], v[142:143], v[140:141]
	v_add_f64_e32 v[140:141], v[164:165], v[188:189]
	v_mul_f64_e32 v[142:143], v[136:137], v[154:155]
	v_fmac_f64_e32 v[172:173], v[6:7], v[148:149]
	v_fma_f64 v[146:147], v[4:5], v[148:149], -v[150:151]
	v_fma_f64 v[136:137], v[136:137], v[152:153], -v[144:145]
	v_add_f64_e32 v[148:149], v[134:135], v[132:133]
	v_add_f64_e32 v[140:141], v[140:141], v[166:167]
	ds_load_b128 v[4:7], v2 offset:1792
	ds_load_b128 v[132:135], v2 offset:1808
	v_fmac_f64_e32 v[142:143], v[138:139], v[152:153]
	s_wait_loadcnt_dscnt 0x601
	v_mul_f64_e32 v[150:151], v[4:5], v[158:159]
	v_mul_f64_e32 v[154:155], v[6:7], v[158:159]
	s_wait_loadcnt_dscnt 0x500
	v_mul_f64_e32 v[144:145], v[132:133], v[162:163]
	v_add_f64_e32 v[138:139], v[148:149], v[146:147]
	v_add_f64_e32 v[140:141], v[140:141], v[172:173]
	v_mul_f64_e32 v[146:147], v[134:135], v[162:163]
	v_fmac_f64_e32 v[150:151], v[6:7], v[156:157]
	v_fma_f64 v[148:149], v[4:5], v[156:157], -v[154:155]
	v_fmac_f64_e32 v[144:145], v[134:135], v[160:161]
	v_add_f64_e32 v[152:153], v[138:139], v[136:137]
	v_add_f64_e32 v[140:141], v[140:141], v[142:143]
	ds_load_b128 v[4:7], v2 offset:1824
	ds_load_b128 v[136:139], v2 offset:1840
	v_fma_f64 v[132:133], v[132:133], v[160:161], -v[146:147]
	s_wait_loadcnt_dscnt 0x401
	v_mul_f64_e32 v[142:143], v[4:5], v[170:171]
	v_mul_f64_e32 v[154:155], v[6:7], v[170:171]
	s_wait_loadcnt_dscnt 0x200
	v_mul_f64_e32 v[146:147], v[136:137], v[182:183]
	v_add_f64_e32 v[134:135], v[152:153], v[148:149]
	v_add_f64_e32 v[140:141], v[140:141], v[150:151]
	v_mul_f64_e32 v[148:149], v[138:139], v[182:183]
	v_fmac_f64_e32 v[142:143], v[6:7], v[168:169]
	v_fma_f64 v[150:151], v[4:5], v[168:169], -v[154:155]
	v_fmac_f64_e32 v[146:147], v[138:139], v[180:181]
	v_add_f64_e32 v[152:153], v[134:135], v[132:133]
	v_add_f64_e32 v[140:141], v[140:141], v[144:145]
	ds_load_b128 v[4:7], v2 offset:1856
	ds_load_b128 v[132:135], v2 offset:1872
	v_fma_f64 v[136:137], v[136:137], v[180:181], -v[148:149]
	s_wait_loadcnt_dscnt 0x101
	v_mul_f64_e32 v[2:3], v[4:5], v[186:187]
	v_mul_f64_e32 v[144:145], v[6:7], v[186:187]
	v_add_f64_e32 v[138:139], v[152:153], v[150:151]
	v_add_f64_e32 v[140:141], v[140:141], v[142:143]
	s_wait_loadcnt_dscnt 0x0
	v_mul_f64_e32 v[142:143], v[132:133], v[12:13]
	v_mul_f64_e32 v[12:13], v[134:135], v[12:13]
	v_fmac_f64_e32 v[2:3], v[6:7], v[184:185]
	v_fma_f64 v[4:5], v[4:5], v[184:185], -v[144:145]
	v_add_f64_e32 v[6:7], v[138:139], v[136:137]
	v_add_f64_e32 v[136:137], v[140:141], v[146:147]
	v_fmac_f64_e32 v[142:143], v[134:135], v[10:11]
	v_fma_f64 v[10:11], v[132:133], v[10:11], -v[12:13]
	s_delay_alu instid0(VALU_DEP_4) | instskip(NEXT) | instid1(VALU_DEP_4)
	v_add_f64_e32 v[4:5], v[6:7], v[4:5]
	v_add_f64_e32 v[2:3], v[136:137], v[2:3]
	s_delay_alu instid0(VALU_DEP_2) | instskip(NEXT) | instid1(VALU_DEP_2)
	v_add_f64_e32 v[4:5], v[4:5], v[10:11]
	v_add_f64_e32 v[6:7], v[2:3], v[142:143]
	s_delay_alu instid0(VALU_DEP_2) | instskip(NEXT) | instid1(VALU_DEP_2)
	v_add_f64_e64 v[2:3], v[176:177], -v[4:5]
	v_add_f64_e64 v[4:5], v[178:179], -v[6:7]
	scratch_store_b128 off, v[2:5], off offset:704
	s_wait_xcnt 0x0
	v_cmpx_lt_u32_e32 43, v1
	s_cbranch_execz .LBB58_281
; %bb.280:
	scratch_load_b128 v[2:5], off, s24
	v_mov_b32_e32 v10, 0
	s_delay_alu instid0(VALU_DEP_1)
	v_dual_mov_b32 v11, v10 :: v_dual_mov_b32 v12, v10
	v_mov_b32_e32 v13, v10
	scratch_store_b128 off, v[10:13], off offset:688
	s_wait_loadcnt 0x0
	ds_store_b128 v8, v[2:5]
.LBB58_281:
	s_wait_xcnt 0x0
	s_or_b32 exec_lo, exec_lo, s2
	s_wait_storecnt_dscnt 0x0
	s_barrier_signal -1
	s_barrier_wait -1
	s_clause 0x9
	scratch_load_b128 v[4:7], off, off offset:704
	scratch_load_b128 v[10:13], off, off offset:720
	;; [unrolled: 1-line block ×10, first 2 shown]
	v_mov_b32_e32 v2, 0
	s_mov_b32 s2, exec_lo
	ds_load_b128 v[164:167], v2 offset:1648
	s_clause 0x2
	scratch_load_b128 v[168:171], off, off offset:864
	scratch_load_b128 v[172:175], off, off offset:688
	;; [unrolled: 1-line block ×3, first 2 shown]
	s_wait_loadcnt_dscnt 0xc00
	v_mul_f64_e32 v[184:185], v[166:167], v[6:7]
	v_mul_f64_e32 v[188:189], v[164:165], v[6:7]
	ds_load_b128 v[176:179], v2 offset:1664
	v_fma_f64 v[192:193], v[164:165], v[4:5], -v[184:185]
	v_fmac_f64_e32 v[188:189], v[166:167], v[4:5]
	ds_load_b128 v[4:7], v2 offset:1680
	s_wait_loadcnt_dscnt 0xb01
	v_mul_f64_e32 v[190:191], v[176:177], v[12:13]
	v_mul_f64_e32 v[12:13], v[178:179], v[12:13]
	scratch_load_b128 v[164:167], off, off offset:896
	ds_load_b128 v[184:187], v2 offset:1696
	s_wait_loadcnt_dscnt 0xb01
	v_mul_f64_e32 v[194:195], v[4:5], v[134:135]
	v_mul_f64_e32 v[134:135], v[6:7], v[134:135]
	v_add_f64_e32 v[188:189], 0, v[188:189]
	v_fmac_f64_e32 v[190:191], v[178:179], v[10:11]
	v_fma_f64 v[176:177], v[176:177], v[10:11], -v[12:13]
	v_add_f64_e32 v[178:179], 0, v[192:193]
	scratch_load_b128 v[10:13], off, off offset:912
	v_fmac_f64_e32 v[194:195], v[6:7], v[132:133]
	v_fma_f64 v[196:197], v[4:5], v[132:133], -v[134:135]
	ds_load_b128 v[4:7], v2 offset:1712
	s_wait_loadcnt_dscnt 0xb01
	v_mul_f64_e32 v[192:193], v[184:185], v[138:139]
	v_mul_f64_e32 v[138:139], v[186:187], v[138:139]
	scratch_load_b128 v[132:135], off, off offset:928
	v_add_f64_e32 v[188:189], v[188:189], v[190:191]
	v_add_f64_e32 v[198:199], v[178:179], v[176:177]
	ds_load_b128 v[176:179], v2 offset:1728
	s_wait_loadcnt_dscnt 0xb01
	v_mul_f64_e32 v[190:191], v[4:5], v[142:143]
	v_mul_f64_e32 v[142:143], v[6:7], v[142:143]
	v_fmac_f64_e32 v[192:193], v[186:187], v[136:137]
	v_fma_f64 v[136:137], v[184:185], v[136:137], -v[138:139]
	s_wait_loadcnt_dscnt 0xa00
	v_mul_f64_e32 v[186:187], v[176:177], v[146:147]
	v_mul_f64_e32 v[146:147], v[178:179], v[146:147]
	v_add_f64_e32 v[184:185], v[188:189], v[194:195]
	v_add_f64_e32 v[138:139], v[198:199], v[196:197]
	v_fmac_f64_e32 v[190:191], v[6:7], v[140:141]
	v_fma_f64 v[140:141], v[4:5], v[140:141], -v[142:143]
	v_fmac_f64_e32 v[186:187], v[178:179], v[144:145]
	v_fma_f64 v[144:145], v[176:177], v[144:145], -v[146:147]
	v_add_f64_e32 v[184:185], v[184:185], v[192:193]
	v_add_f64_e32 v[142:143], v[138:139], v[136:137]
	ds_load_b128 v[4:7], v2 offset:1744
	ds_load_b128 v[136:139], v2 offset:1760
	s_wait_loadcnt_dscnt 0x901
	v_mul_f64_e32 v[188:189], v[4:5], v[150:151]
	v_mul_f64_e32 v[150:151], v[6:7], v[150:151]
	s_wait_loadcnt_dscnt 0x800
	v_mul_f64_e32 v[146:147], v[136:137], v[154:155]
	v_mul_f64_e32 v[154:155], v[138:139], v[154:155]
	v_add_f64_e32 v[140:141], v[142:143], v[140:141]
	v_add_f64_e32 v[142:143], v[184:185], v[190:191]
	v_fmac_f64_e32 v[188:189], v[6:7], v[148:149]
	v_fma_f64 v[148:149], v[4:5], v[148:149], -v[150:151]
	v_fmac_f64_e32 v[146:147], v[138:139], v[152:153]
	v_fma_f64 v[136:137], v[136:137], v[152:153], -v[154:155]
	v_add_f64_e32 v[144:145], v[140:141], v[144:145]
	v_add_f64_e32 v[150:151], v[142:143], v[186:187]
	ds_load_b128 v[4:7], v2 offset:1776
	ds_load_b128 v[140:143], v2 offset:1792
	s_wait_loadcnt_dscnt 0x701
	v_mul_f64_e32 v[176:177], v[4:5], v[158:159]
	v_mul_f64_e32 v[158:159], v[6:7], v[158:159]
	v_add_f64_e32 v[138:139], v[144:145], v[148:149]
	v_add_f64_e32 v[144:145], v[150:151], v[188:189]
	s_wait_loadcnt_dscnt 0x600
	v_mul_f64_e32 v[148:149], v[140:141], v[162:163]
	v_mul_f64_e32 v[150:151], v[142:143], v[162:163]
	v_fmac_f64_e32 v[176:177], v[6:7], v[156:157]
	v_fma_f64 v[152:153], v[4:5], v[156:157], -v[158:159]
	v_add_f64_e32 v[154:155], v[138:139], v[136:137]
	v_add_f64_e32 v[144:145], v[144:145], v[146:147]
	ds_load_b128 v[4:7], v2 offset:1808
	ds_load_b128 v[136:139], v2 offset:1824
	v_fmac_f64_e32 v[148:149], v[142:143], v[160:161]
	v_fma_f64 v[140:141], v[140:141], v[160:161], -v[150:151]
	s_wait_loadcnt_dscnt 0x501
	v_mul_f64_e32 v[146:147], v[4:5], v[170:171]
	v_mul_f64_e32 v[156:157], v[6:7], v[170:171]
	s_wait_loadcnt_dscnt 0x300
	v_mul_f64_e32 v[150:151], v[136:137], v[182:183]
	v_add_f64_e32 v[142:143], v[154:155], v[152:153]
	v_add_f64_e32 v[144:145], v[144:145], v[176:177]
	v_mul_f64_e32 v[152:153], v[138:139], v[182:183]
	v_fmac_f64_e32 v[146:147], v[6:7], v[168:169]
	v_fma_f64 v[154:155], v[4:5], v[168:169], -v[156:157]
	v_fmac_f64_e32 v[150:151], v[138:139], v[180:181]
	v_add_f64_e32 v[156:157], v[142:143], v[140:141]
	v_add_f64_e32 v[144:145], v[144:145], v[148:149]
	ds_load_b128 v[4:7], v2 offset:1840
	ds_load_b128 v[140:143], v2 offset:1856
	v_fma_f64 v[136:137], v[136:137], v[180:181], -v[152:153]
	s_wait_loadcnt_dscnt 0x201
	v_mul_f64_e32 v[148:149], v[4:5], v[166:167]
	v_mul_f64_e32 v[158:159], v[6:7], v[166:167]
	v_add_f64_e32 v[138:139], v[156:157], v[154:155]
	v_add_f64_e32 v[144:145], v[144:145], v[146:147]
	s_wait_loadcnt_dscnt 0x100
	v_mul_f64_e32 v[146:147], v[140:141], v[12:13]
	v_mul_f64_e32 v[12:13], v[142:143], v[12:13]
	v_fmac_f64_e32 v[148:149], v[6:7], v[164:165]
	v_fma_f64 v[152:153], v[4:5], v[164:165], -v[158:159]
	ds_load_b128 v[4:7], v2 offset:1872
	v_add_f64_e32 v[136:137], v[138:139], v[136:137]
	v_add_f64_e32 v[138:139], v[144:145], v[150:151]
	v_fmac_f64_e32 v[146:147], v[142:143], v[10:11]
	v_fma_f64 v[10:11], v[140:141], v[10:11], -v[12:13]
	s_wait_loadcnt_dscnt 0x0
	v_mul_f64_e32 v[144:145], v[4:5], v[134:135]
	v_mul_f64_e32 v[134:135], v[6:7], v[134:135]
	v_add_f64_e32 v[12:13], v[136:137], v[152:153]
	v_add_f64_e32 v[136:137], v[138:139], v[148:149]
	s_delay_alu instid0(VALU_DEP_4) | instskip(NEXT) | instid1(VALU_DEP_4)
	v_fmac_f64_e32 v[144:145], v[6:7], v[132:133]
	v_fma_f64 v[4:5], v[4:5], v[132:133], -v[134:135]
	s_delay_alu instid0(VALU_DEP_4) | instskip(NEXT) | instid1(VALU_DEP_4)
	v_add_f64_e32 v[6:7], v[12:13], v[10:11]
	v_add_f64_e32 v[10:11], v[136:137], v[146:147]
	s_delay_alu instid0(VALU_DEP_2) | instskip(NEXT) | instid1(VALU_DEP_2)
	v_add_f64_e32 v[4:5], v[6:7], v[4:5]
	v_add_f64_e32 v[6:7], v[10:11], v[144:145]
	s_delay_alu instid0(VALU_DEP_2) | instskip(NEXT) | instid1(VALU_DEP_2)
	v_add_f64_e64 v[4:5], v[172:173], -v[4:5]
	v_add_f64_e64 v[6:7], v[174:175], -v[6:7]
	scratch_store_b128 off, v[4:7], off offset:688
	s_wait_xcnt 0x0
	v_cmpx_lt_u32_e32 42, v1
	s_cbranch_execz .LBB58_283
; %bb.282:
	scratch_load_b128 v[10:13], off, s29
	v_dual_mov_b32 v3, v2 :: v_dual_mov_b32 v4, v2
	v_mov_b32_e32 v5, v2
	scratch_store_b128 off, v[2:5], off offset:672
	s_wait_loadcnt 0x0
	ds_store_b128 v8, v[10:13]
.LBB58_283:
	s_wait_xcnt 0x0
	s_or_b32 exec_lo, exec_lo, s2
	s_wait_storecnt_dscnt 0x0
	s_barrier_signal -1
	s_barrier_wait -1
	s_clause 0x9
	scratch_load_b128 v[4:7], off, off offset:688
	scratch_load_b128 v[10:13], off, off offset:704
	;; [unrolled: 1-line block ×10, first 2 shown]
	ds_load_b128 v[164:167], v2 offset:1632
	ds_load_b128 v[172:175], v2 offset:1648
	s_clause 0x2
	scratch_load_b128 v[168:171], off, off offset:848
	scratch_load_b128 v[176:179], off, off offset:672
	;; [unrolled: 1-line block ×3, first 2 shown]
	s_mov_b32 s2, exec_lo
	s_wait_loadcnt_dscnt 0xc01
	v_mul_f64_e32 v[184:185], v[166:167], v[6:7]
	v_mul_f64_e32 v[188:189], v[164:165], v[6:7]
	s_wait_loadcnt_dscnt 0xb00
	v_mul_f64_e32 v[190:191], v[172:173], v[12:13]
	v_mul_f64_e32 v[12:13], v[174:175], v[12:13]
	s_delay_alu instid0(VALU_DEP_4) | instskip(NEXT) | instid1(VALU_DEP_4)
	v_fma_f64 v[192:193], v[164:165], v[4:5], -v[184:185]
	v_fmac_f64_e32 v[188:189], v[166:167], v[4:5]
	ds_load_b128 v[4:7], v2 offset:1664
	ds_load_b128 v[164:167], v2 offset:1680
	scratch_load_b128 v[184:187], off, off offset:880
	v_fmac_f64_e32 v[190:191], v[174:175], v[10:11]
	v_fma_f64 v[172:173], v[172:173], v[10:11], -v[12:13]
	scratch_load_b128 v[10:13], off, off offset:896
	s_wait_loadcnt_dscnt 0xc01
	v_mul_f64_e32 v[194:195], v[4:5], v[134:135]
	v_mul_f64_e32 v[134:135], v[6:7], v[134:135]
	v_add_f64_e32 v[174:175], 0, v[192:193]
	v_add_f64_e32 v[188:189], 0, v[188:189]
	s_wait_loadcnt_dscnt 0xb00
	v_mul_f64_e32 v[192:193], v[164:165], v[138:139]
	v_mul_f64_e32 v[138:139], v[166:167], v[138:139]
	v_fmac_f64_e32 v[194:195], v[6:7], v[132:133]
	v_fma_f64 v[196:197], v[4:5], v[132:133], -v[134:135]
	ds_load_b128 v[4:7], v2 offset:1696
	ds_load_b128 v[132:135], v2 offset:1712
	v_add_f64_e32 v[198:199], v[174:175], v[172:173]
	v_add_f64_e32 v[188:189], v[188:189], v[190:191]
	scratch_load_b128 v[172:175], off, off offset:912
	v_fmac_f64_e32 v[192:193], v[166:167], v[136:137]
	v_fma_f64 v[164:165], v[164:165], v[136:137], -v[138:139]
	scratch_load_b128 v[136:139], off, off offset:928
	s_wait_loadcnt_dscnt 0xc01
	v_mul_f64_e32 v[190:191], v[4:5], v[142:143]
	v_mul_f64_e32 v[142:143], v[6:7], v[142:143]
	v_add_f64_e32 v[166:167], v[198:199], v[196:197]
	v_add_f64_e32 v[188:189], v[188:189], v[194:195]
	s_wait_loadcnt_dscnt 0xb00
	v_mul_f64_e32 v[194:195], v[132:133], v[146:147]
	v_mul_f64_e32 v[146:147], v[134:135], v[146:147]
	v_fmac_f64_e32 v[190:191], v[6:7], v[140:141]
	v_fma_f64 v[196:197], v[4:5], v[140:141], -v[142:143]
	ds_load_b128 v[4:7], v2 offset:1728
	ds_load_b128 v[140:143], v2 offset:1744
	v_add_f64_e32 v[164:165], v[166:167], v[164:165]
	v_add_f64_e32 v[166:167], v[188:189], v[192:193]
	s_wait_loadcnt_dscnt 0xa01
	v_mul_f64_e32 v[188:189], v[4:5], v[150:151]
	v_mul_f64_e32 v[150:151], v[6:7], v[150:151]
	v_fmac_f64_e32 v[194:195], v[134:135], v[144:145]
	v_fma_f64 v[132:133], v[132:133], v[144:145], -v[146:147]
	s_wait_loadcnt_dscnt 0x900
	v_mul_f64_e32 v[146:147], v[140:141], v[154:155]
	v_mul_f64_e32 v[154:155], v[142:143], v[154:155]
	v_add_f64_e32 v[134:135], v[164:165], v[196:197]
	v_add_f64_e32 v[144:145], v[166:167], v[190:191]
	v_fmac_f64_e32 v[188:189], v[6:7], v[148:149]
	v_fma_f64 v[148:149], v[4:5], v[148:149], -v[150:151]
	v_fmac_f64_e32 v[146:147], v[142:143], v[152:153]
	v_fma_f64 v[140:141], v[140:141], v[152:153], -v[154:155]
	v_add_f64_e32 v[150:151], v[134:135], v[132:133]
	v_add_f64_e32 v[144:145], v[144:145], v[194:195]
	ds_load_b128 v[4:7], v2 offset:1760
	ds_load_b128 v[132:135], v2 offset:1776
	s_wait_loadcnt_dscnt 0x801
	v_mul_f64_e32 v[164:165], v[4:5], v[158:159]
	v_mul_f64_e32 v[158:159], v[6:7], v[158:159]
	v_add_f64_e32 v[142:143], v[150:151], v[148:149]
	v_add_f64_e32 v[144:145], v[144:145], v[188:189]
	s_wait_loadcnt_dscnt 0x700
	v_mul_f64_e32 v[148:149], v[132:133], v[162:163]
	v_mul_f64_e32 v[150:151], v[134:135], v[162:163]
	v_fmac_f64_e32 v[164:165], v[6:7], v[156:157]
	v_fma_f64 v[152:153], v[4:5], v[156:157], -v[158:159]
	v_add_f64_e32 v[154:155], v[142:143], v[140:141]
	v_add_f64_e32 v[144:145], v[144:145], v[146:147]
	ds_load_b128 v[4:7], v2 offset:1792
	ds_load_b128 v[140:143], v2 offset:1808
	v_fmac_f64_e32 v[148:149], v[134:135], v[160:161]
	v_fma_f64 v[132:133], v[132:133], v[160:161], -v[150:151]
	s_wait_loadcnt_dscnt 0x601
	v_mul_f64_e32 v[146:147], v[4:5], v[170:171]
	v_mul_f64_e32 v[156:157], v[6:7], v[170:171]
	s_wait_loadcnt_dscnt 0x400
	v_mul_f64_e32 v[150:151], v[140:141], v[182:183]
	v_add_f64_e32 v[134:135], v[154:155], v[152:153]
	v_add_f64_e32 v[144:145], v[144:145], v[164:165]
	v_mul_f64_e32 v[152:153], v[142:143], v[182:183]
	v_fmac_f64_e32 v[146:147], v[6:7], v[168:169]
	v_fma_f64 v[154:155], v[4:5], v[168:169], -v[156:157]
	v_fmac_f64_e32 v[150:151], v[142:143], v[180:181]
	v_add_f64_e32 v[156:157], v[134:135], v[132:133]
	v_add_f64_e32 v[144:145], v[144:145], v[148:149]
	ds_load_b128 v[4:7], v2 offset:1824
	ds_load_b128 v[132:135], v2 offset:1840
	v_fma_f64 v[140:141], v[140:141], v[180:181], -v[152:153]
	s_wait_loadcnt_dscnt 0x301
	v_mul_f64_e32 v[148:149], v[4:5], v[186:187]
	v_mul_f64_e32 v[158:159], v[6:7], v[186:187]
	v_add_f64_e32 v[142:143], v[156:157], v[154:155]
	v_add_f64_e32 v[144:145], v[144:145], v[146:147]
	s_wait_loadcnt_dscnt 0x200
	v_mul_f64_e32 v[146:147], v[132:133], v[12:13]
	v_mul_f64_e32 v[12:13], v[134:135], v[12:13]
	v_fmac_f64_e32 v[148:149], v[6:7], v[184:185]
	v_fma_f64 v[152:153], v[4:5], v[184:185], -v[158:159]
	v_add_f64_e32 v[154:155], v[142:143], v[140:141]
	v_add_f64_e32 v[144:145], v[144:145], v[150:151]
	ds_load_b128 v[4:7], v2 offset:1856
	ds_load_b128 v[140:143], v2 offset:1872
	v_fmac_f64_e32 v[146:147], v[134:135], v[10:11]
	v_fma_f64 v[10:11], v[132:133], v[10:11], -v[12:13]
	s_wait_loadcnt_dscnt 0x101
	v_mul_f64_e32 v[2:3], v[4:5], v[174:175]
	v_mul_f64_e32 v[150:151], v[6:7], v[174:175]
	s_wait_loadcnt_dscnt 0x0
	v_mul_f64_e32 v[134:135], v[140:141], v[138:139]
	v_mul_f64_e32 v[138:139], v[142:143], v[138:139]
	v_add_f64_e32 v[12:13], v[154:155], v[152:153]
	v_add_f64_e32 v[132:133], v[144:145], v[148:149]
	v_fmac_f64_e32 v[2:3], v[6:7], v[172:173]
	v_fma_f64 v[4:5], v[4:5], v[172:173], -v[150:151]
	v_fmac_f64_e32 v[134:135], v[142:143], v[136:137]
	v_add_f64_e32 v[6:7], v[12:13], v[10:11]
	v_add_f64_e32 v[10:11], v[132:133], v[146:147]
	v_fma_f64 v[12:13], v[140:141], v[136:137], -v[138:139]
	s_delay_alu instid0(VALU_DEP_3) | instskip(NEXT) | instid1(VALU_DEP_3)
	v_add_f64_e32 v[4:5], v[6:7], v[4:5]
	v_add_f64_e32 v[2:3], v[10:11], v[2:3]
	s_delay_alu instid0(VALU_DEP_2) | instskip(NEXT) | instid1(VALU_DEP_2)
	v_add_f64_e32 v[4:5], v[4:5], v[12:13]
	v_add_f64_e32 v[6:7], v[2:3], v[134:135]
	s_delay_alu instid0(VALU_DEP_2) | instskip(NEXT) | instid1(VALU_DEP_2)
	v_add_f64_e64 v[2:3], v[176:177], -v[4:5]
	v_add_f64_e64 v[4:5], v[178:179], -v[6:7]
	scratch_store_b128 off, v[2:5], off offset:672
	s_wait_xcnt 0x0
	v_cmpx_lt_u32_e32 41, v1
	s_cbranch_execz .LBB58_285
; %bb.284:
	scratch_load_b128 v[2:5], off, s27
	v_mov_b32_e32 v10, 0
	s_delay_alu instid0(VALU_DEP_1)
	v_dual_mov_b32 v11, v10 :: v_dual_mov_b32 v12, v10
	v_mov_b32_e32 v13, v10
	scratch_store_b128 off, v[10:13], off offset:656
	s_wait_loadcnt 0x0
	ds_store_b128 v8, v[2:5]
.LBB58_285:
	s_wait_xcnt 0x0
	s_or_b32 exec_lo, exec_lo, s2
	s_wait_storecnt_dscnt 0x0
	s_barrier_signal -1
	s_barrier_wait -1
	s_clause 0x9
	scratch_load_b128 v[4:7], off, off offset:672
	scratch_load_b128 v[10:13], off, off offset:688
	scratch_load_b128 v[132:135], off, off offset:704
	scratch_load_b128 v[136:139], off, off offset:720
	scratch_load_b128 v[140:143], off, off offset:736
	scratch_load_b128 v[144:147], off, off offset:752
	scratch_load_b128 v[148:151], off, off offset:768
	scratch_load_b128 v[152:155], off, off offset:784
	scratch_load_b128 v[156:159], off, off offset:800
	scratch_load_b128 v[160:163], off, off offset:816
	v_mov_b32_e32 v2, 0
	s_mov_b32 s2, exec_lo
	ds_load_b128 v[164:167], v2 offset:1616
	s_clause 0x2
	scratch_load_b128 v[168:171], off, off offset:832
	scratch_load_b128 v[172:175], off, off offset:656
	;; [unrolled: 1-line block ×3, first 2 shown]
	s_wait_loadcnt_dscnt 0xc00
	v_mul_f64_e32 v[184:185], v[166:167], v[6:7]
	v_mul_f64_e32 v[188:189], v[164:165], v[6:7]
	ds_load_b128 v[176:179], v2 offset:1632
	v_fma_f64 v[192:193], v[164:165], v[4:5], -v[184:185]
	v_fmac_f64_e32 v[188:189], v[166:167], v[4:5]
	ds_load_b128 v[4:7], v2 offset:1648
	s_wait_loadcnt_dscnt 0xb01
	v_mul_f64_e32 v[190:191], v[176:177], v[12:13]
	v_mul_f64_e32 v[12:13], v[178:179], v[12:13]
	scratch_load_b128 v[164:167], off, off offset:864
	ds_load_b128 v[184:187], v2 offset:1664
	s_wait_loadcnt_dscnt 0xb01
	v_mul_f64_e32 v[194:195], v[4:5], v[134:135]
	v_mul_f64_e32 v[134:135], v[6:7], v[134:135]
	v_add_f64_e32 v[188:189], 0, v[188:189]
	v_fmac_f64_e32 v[190:191], v[178:179], v[10:11]
	v_fma_f64 v[176:177], v[176:177], v[10:11], -v[12:13]
	v_add_f64_e32 v[178:179], 0, v[192:193]
	scratch_load_b128 v[10:13], off, off offset:880
	v_fmac_f64_e32 v[194:195], v[6:7], v[132:133]
	v_fma_f64 v[196:197], v[4:5], v[132:133], -v[134:135]
	ds_load_b128 v[4:7], v2 offset:1680
	s_wait_loadcnt_dscnt 0xb01
	v_mul_f64_e32 v[192:193], v[184:185], v[138:139]
	v_mul_f64_e32 v[138:139], v[186:187], v[138:139]
	scratch_load_b128 v[132:135], off, off offset:896
	v_add_f64_e32 v[188:189], v[188:189], v[190:191]
	v_add_f64_e32 v[198:199], v[178:179], v[176:177]
	ds_load_b128 v[176:179], v2 offset:1696
	s_wait_loadcnt_dscnt 0xb01
	v_mul_f64_e32 v[190:191], v[4:5], v[142:143]
	v_mul_f64_e32 v[142:143], v[6:7], v[142:143]
	v_fmac_f64_e32 v[192:193], v[186:187], v[136:137]
	v_fma_f64 v[184:185], v[184:185], v[136:137], -v[138:139]
	scratch_load_b128 v[136:139], off, off offset:912
	v_add_f64_e32 v[188:189], v[188:189], v[194:195]
	v_add_f64_e32 v[186:187], v[198:199], v[196:197]
	v_fmac_f64_e32 v[190:191], v[6:7], v[140:141]
	v_fma_f64 v[196:197], v[4:5], v[140:141], -v[142:143]
	ds_load_b128 v[4:7], v2 offset:1712
	s_wait_loadcnt_dscnt 0xb01
	v_mul_f64_e32 v[194:195], v[176:177], v[146:147]
	v_mul_f64_e32 v[146:147], v[178:179], v[146:147]
	scratch_load_b128 v[140:143], off, off offset:928
	v_add_f64_e32 v[188:189], v[188:189], v[192:193]
	s_wait_loadcnt_dscnt 0xb00
	v_mul_f64_e32 v[192:193], v[4:5], v[150:151]
	v_add_f64_e32 v[198:199], v[186:187], v[184:185]
	v_mul_f64_e32 v[150:151], v[6:7], v[150:151]
	ds_load_b128 v[184:187], v2 offset:1728
	v_fmac_f64_e32 v[194:195], v[178:179], v[144:145]
	v_fma_f64 v[144:145], v[176:177], v[144:145], -v[146:147]
	s_wait_loadcnt_dscnt 0xa00
	v_mul_f64_e32 v[178:179], v[184:185], v[154:155]
	v_mul_f64_e32 v[154:155], v[186:187], v[154:155]
	v_add_f64_e32 v[176:177], v[188:189], v[190:191]
	v_fmac_f64_e32 v[192:193], v[6:7], v[148:149]
	v_add_f64_e32 v[146:147], v[198:199], v[196:197]
	v_fma_f64 v[148:149], v[4:5], v[148:149], -v[150:151]
	v_fmac_f64_e32 v[178:179], v[186:187], v[152:153]
	v_fma_f64 v[152:153], v[184:185], v[152:153], -v[154:155]
	v_add_f64_e32 v[176:177], v[176:177], v[194:195]
	v_add_f64_e32 v[150:151], v[146:147], v[144:145]
	ds_load_b128 v[4:7], v2 offset:1744
	ds_load_b128 v[144:147], v2 offset:1760
	s_wait_loadcnt_dscnt 0x901
	v_mul_f64_e32 v[188:189], v[4:5], v[158:159]
	v_mul_f64_e32 v[158:159], v[6:7], v[158:159]
	s_wait_loadcnt_dscnt 0x800
	v_mul_f64_e32 v[154:155], v[144:145], v[162:163]
	v_mul_f64_e32 v[162:163], v[146:147], v[162:163]
	v_add_f64_e32 v[148:149], v[150:151], v[148:149]
	v_add_f64_e32 v[150:151], v[176:177], v[192:193]
	v_fmac_f64_e32 v[188:189], v[6:7], v[156:157]
	v_fma_f64 v[156:157], v[4:5], v[156:157], -v[158:159]
	v_fmac_f64_e32 v[154:155], v[146:147], v[160:161]
	v_fma_f64 v[144:145], v[144:145], v[160:161], -v[162:163]
	v_add_f64_e32 v[152:153], v[148:149], v[152:153]
	v_add_f64_e32 v[158:159], v[150:151], v[178:179]
	ds_load_b128 v[4:7], v2 offset:1776
	ds_load_b128 v[148:151], v2 offset:1792
	s_wait_loadcnt_dscnt 0x701
	v_mul_f64_e32 v[176:177], v[4:5], v[170:171]
	v_mul_f64_e32 v[170:171], v[6:7], v[170:171]
	v_add_f64_e32 v[146:147], v[152:153], v[156:157]
	v_add_f64_e32 v[152:153], v[158:159], v[188:189]
	s_wait_loadcnt_dscnt 0x500
	v_mul_f64_e32 v[156:157], v[148:149], v[182:183]
	v_mul_f64_e32 v[158:159], v[150:151], v[182:183]
	v_fmac_f64_e32 v[176:177], v[6:7], v[168:169]
	v_fma_f64 v[160:161], v[4:5], v[168:169], -v[170:171]
	v_add_f64_e32 v[162:163], v[146:147], v[144:145]
	v_add_f64_e32 v[152:153], v[152:153], v[154:155]
	ds_load_b128 v[4:7], v2 offset:1808
	ds_load_b128 v[144:147], v2 offset:1824
	v_fmac_f64_e32 v[156:157], v[150:151], v[180:181]
	v_fma_f64 v[148:149], v[148:149], v[180:181], -v[158:159]
	s_wait_loadcnt_dscnt 0x401
	v_mul_f64_e32 v[154:155], v[4:5], v[166:167]
	v_mul_f64_e32 v[166:167], v[6:7], v[166:167]
	v_add_f64_e32 v[150:151], v[162:163], v[160:161]
	v_add_f64_e32 v[152:153], v[152:153], v[176:177]
	s_wait_loadcnt_dscnt 0x300
	v_mul_f64_e32 v[158:159], v[144:145], v[12:13]
	v_mul_f64_e32 v[12:13], v[146:147], v[12:13]
	v_fmac_f64_e32 v[154:155], v[6:7], v[164:165]
	v_fma_f64 v[160:161], v[4:5], v[164:165], -v[166:167]
	v_add_f64_e32 v[162:163], v[150:151], v[148:149]
	v_add_f64_e32 v[152:153], v[152:153], v[156:157]
	ds_load_b128 v[4:7], v2 offset:1840
	ds_load_b128 v[148:151], v2 offset:1856
	v_fmac_f64_e32 v[158:159], v[146:147], v[10:11]
	v_fma_f64 v[10:11], v[144:145], v[10:11], -v[12:13]
	s_wait_loadcnt_dscnt 0x201
	v_mul_f64_e32 v[156:157], v[4:5], v[134:135]
	v_mul_f64_e32 v[134:135], v[6:7], v[134:135]
	s_wait_loadcnt_dscnt 0x100
	v_mul_f64_e32 v[146:147], v[148:149], v[138:139]
	v_mul_f64_e32 v[138:139], v[150:151], v[138:139]
	v_add_f64_e32 v[12:13], v[162:163], v[160:161]
	v_add_f64_e32 v[144:145], v[152:153], v[154:155]
	v_fmac_f64_e32 v[156:157], v[6:7], v[132:133]
	v_fma_f64 v[132:133], v[4:5], v[132:133], -v[134:135]
	ds_load_b128 v[4:7], v2 offset:1872
	v_fmac_f64_e32 v[146:147], v[150:151], v[136:137]
	v_fma_f64 v[136:137], v[148:149], v[136:137], -v[138:139]
	v_add_f64_e32 v[10:11], v[12:13], v[10:11]
	v_add_f64_e32 v[12:13], v[144:145], v[158:159]
	s_wait_loadcnt_dscnt 0x0
	v_mul_f64_e32 v[134:135], v[4:5], v[142:143]
	v_mul_f64_e32 v[142:143], v[6:7], v[142:143]
	s_delay_alu instid0(VALU_DEP_4) | instskip(NEXT) | instid1(VALU_DEP_4)
	v_add_f64_e32 v[10:11], v[10:11], v[132:133]
	v_add_f64_e32 v[12:13], v[12:13], v[156:157]
	s_delay_alu instid0(VALU_DEP_4) | instskip(NEXT) | instid1(VALU_DEP_4)
	v_fmac_f64_e32 v[134:135], v[6:7], v[140:141]
	v_fma_f64 v[4:5], v[4:5], v[140:141], -v[142:143]
	s_delay_alu instid0(VALU_DEP_4) | instskip(NEXT) | instid1(VALU_DEP_4)
	v_add_f64_e32 v[6:7], v[10:11], v[136:137]
	v_add_f64_e32 v[10:11], v[12:13], v[146:147]
	s_delay_alu instid0(VALU_DEP_2) | instskip(NEXT) | instid1(VALU_DEP_2)
	v_add_f64_e32 v[4:5], v[6:7], v[4:5]
	v_add_f64_e32 v[6:7], v[10:11], v[134:135]
	s_delay_alu instid0(VALU_DEP_2) | instskip(NEXT) | instid1(VALU_DEP_2)
	v_add_f64_e64 v[4:5], v[172:173], -v[4:5]
	v_add_f64_e64 v[6:7], v[174:175], -v[6:7]
	scratch_store_b128 off, v[4:7], off offset:656
	s_wait_xcnt 0x0
	v_cmpx_lt_u32_e32 40, v1
	s_cbranch_execz .LBB58_287
; %bb.286:
	scratch_load_b128 v[10:13], off, s31
	v_dual_mov_b32 v3, v2 :: v_dual_mov_b32 v4, v2
	v_mov_b32_e32 v5, v2
	scratch_store_b128 off, v[2:5], off offset:640
	s_wait_loadcnt 0x0
	ds_store_b128 v8, v[10:13]
.LBB58_287:
	s_wait_xcnt 0x0
	s_or_b32 exec_lo, exec_lo, s2
	s_wait_storecnt_dscnt 0x0
	s_barrier_signal -1
	s_barrier_wait -1
	s_clause 0x9
	scratch_load_b128 v[4:7], off, off offset:656
	scratch_load_b128 v[10:13], off, off offset:672
	;; [unrolled: 1-line block ×10, first 2 shown]
	ds_load_b128 v[164:167], v2 offset:1600
	ds_load_b128 v[172:175], v2 offset:1616
	s_clause 0x2
	scratch_load_b128 v[168:171], off, off offset:816
	scratch_load_b128 v[176:179], off, off offset:640
	;; [unrolled: 1-line block ×3, first 2 shown]
	s_mov_b32 s2, exec_lo
	s_wait_loadcnt_dscnt 0xc01
	v_mul_f64_e32 v[184:185], v[166:167], v[6:7]
	v_mul_f64_e32 v[188:189], v[164:165], v[6:7]
	s_wait_loadcnt_dscnt 0xb00
	v_mul_f64_e32 v[190:191], v[172:173], v[12:13]
	v_mul_f64_e32 v[12:13], v[174:175], v[12:13]
	s_delay_alu instid0(VALU_DEP_4) | instskip(NEXT) | instid1(VALU_DEP_4)
	v_fma_f64 v[192:193], v[164:165], v[4:5], -v[184:185]
	v_fmac_f64_e32 v[188:189], v[166:167], v[4:5]
	ds_load_b128 v[4:7], v2 offset:1632
	ds_load_b128 v[164:167], v2 offset:1648
	scratch_load_b128 v[184:187], off, off offset:848
	v_fmac_f64_e32 v[190:191], v[174:175], v[10:11]
	v_fma_f64 v[172:173], v[172:173], v[10:11], -v[12:13]
	scratch_load_b128 v[10:13], off, off offset:864
	s_wait_loadcnt_dscnt 0xc01
	v_mul_f64_e32 v[194:195], v[4:5], v[134:135]
	v_mul_f64_e32 v[134:135], v[6:7], v[134:135]
	v_add_f64_e32 v[174:175], 0, v[192:193]
	v_add_f64_e32 v[188:189], 0, v[188:189]
	s_wait_loadcnt_dscnt 0xb00
	v_mul_f64_e32 v[192:193], v[164:165], v[138:139]
	v_mul_f64_e32 v[138:139], v[166:167], v[138:139]
	v_fmac_f64_e32 v[194:195], v[6:7], v[132:133]
	v_fma_f64 v[196:197], v[4:5], v[132:133], -v[134:135]
	ds_load_b128 v[4:7], v2 offset:1664
	ds_load_b128 v[132:135], v2 offset:1680
	v_add_f64_e32 v[198:199], v[174:175], v[172:173]
	v_add_f64_e32 v[188:189], v[188:189], v[190:191]
	scratch_load_b128 v[172:175], off, off offset:880
	v_fmac_f64_e32 v[192:193], v[166:167], v[136:137]
	v_fma_f64 v[164:165], v[164:165], v[136:137], -v[138:139]
	scratch_load_b128 v[136:139], off, off offset:896
	s_wait_loadcnt_dscnt 0xc01
	v_mul_f64_e32 v[190:191], v[4:5], v[142:143]
	v_mul_f64_e32 v[142:143], v[6:7], v[142:143]
	v_add_f64_e32 v[166:167], v[198:199], v[196:197]
	v_add_f64_e32 v[188:189], v[188:189], v[194:195]
	s_wait_loadcnt_dscnt 0xb00
	v_mul_f64_e32 v[194:195], v[132:133], v[146:147]
	v_mul_f64_e32 v[146:147], v[134:135], v[146:147]
	v_fmac_f64_e32 v[190:191], v[6:7], v[140:141]
	v_fma_f64 v[196:197], v[4:5], v[140:141], -v[142:143]
	ds_load_b128 v[4:7], v2 offset:1696
	ds_load_b128 v[140:143], v2 offset:1712
	v_add_f64_e32 v[198:199], v[166:167], v[164:165]
	v_add_f64_e32 v[188:189], v[188:189], v[192:193]
	scratch_load_b128 v[164:167], off, off offset:912
	s_wait_loadcnt_dscnt 0xb01
	v_mul_f64_e32 v[192:193], v[4:5], v[150:151]
	v_mul_f64_e32 v[150:151], v[6:7], v[150:151]
	v_fmac_f64_e32 v[194:195], v[134:135], v[144:145]
	v_fma_f64 v[144:145], v[132:133], v[144:145], -v[146:147]
	scratch_load_b128 v[132:135], off, off offset:928
	v_add_f64_e32 v[146:147], v[198:199], v[196:197]
	v_add_f64_e32 v[188:189], v[188:189], v[190:191]
	s_wait_loadcnt_dscnt 0xb00
	v_mul_f64_e32 v[190:191], v[140:141], v[154:155]
	v_mul_f64_e32 v[154:155], v[142:143], v[154:155]
	v_fmac_f64_e32 v[192:193], v[6:7], v[148:149]
	v_fma_f64 v[148:149], v[4:5], v[148:149], -v[150:151]
	v_add_f64_e32 v[150:151], v[146:147], v[144:145]
	v_add_f64_e32 v[188:189], v[188:189], v[194:195]
	ds_load_b128 v[4:7], v2 offset:1728
	ds_load_b128 v[144:147], v2 offset:1744
	v_fmac_f64_e32 v[190:191], v[142:143], v[152:153]
	v_fma_f64 v[140:141], v[140:141], v[152:153], -v[154:155]
	s_wait_loadcnt_dscnt 0xa01
	v_mul_f64_e32 v[194:195], v[4:5], v[158:159]
	v_mul_f64_e32 v[158:159], v[6:7], v[158:159]
	s_wait_loadcnt_dscnt 0x900
	v_mul_f64_e32 v[152:153], v[146:147], v[162:163]
	v_add_f64_e32 v[142:143], v[150:151], v[148:149]
	v_add_f64_e32 v[148:149], v[188:189], v[192:193]
	v_mul_f64_e32 v[150:151], v[144:145], v[162:163]
	v_fmac_f64_e32 v[194:195], v[6:7], v[156:157]
	v_fma_f64 v[154:155], v[4:5], v[156:157], -v[158:159]
	v_fma_f64 v[144:145], v[144:145], v[160:161], -v[152:153]
	v_add_f64_e32 v[156:157], v[142:143], v[140:141]
	v_add_f64_e32 v[148:149], v[148:149], v[190:191]
	ds_load_b128 v[4:7], v2 offset:1760
	ds_load_b128 v[140:143], v2 offset:1776
	v_fmac_f64_e32 v[150:151], v[146:147], v[160:161]
	s_wait_loadcnt_dscnt 0x801
	v_mul_f64_e32 v[158:159], v[4:5], v[170:171]
	v_mul_f64_e32 v[162:163], v[6:7], v[170:171]
	s_wait_loadcnt_dscnt 0x600
	v_mul_f64_e32 v[152:153], v[140:141], v[182:183]
	v_add_f64_e32 v[146:147], v[156:157], v[154:155]
	v_add_f64_e32 v[148:149], v[148:149], v[194:195]
	v_mul_f64_e32 v[154:155], v[142:143], v[182:183]
	v_fmac_f64_e32 v[158:159], v[6:7], v[168:169]
	v_fma_f64 v[156:157], v[4:5], v[168:169], -v[162:163]
	v_fmac_f64_e32 v[152:153], v[142:143], v[180:181]
	v_add_f64_e32 v[160:161], v[146:147], v[144:145]
	v_add_f64_e32 v[148:149], v[148:149], v[150:151]
	ds_load_b128 v[4:7], v2 offset:1792
	ds_load_b128 v[144:147], v2 offset:1808
	v_fma_f64 v[140:141], v[140:141], v[180:181], -v[154:155]
	s_wait_loadcnt_dscnt 0x501
	v_mul_f64_e32 v[150:151], v[4:5], v[186:187]
	v_mul_f64_e32 v[162:163], v[6:7], v[186:187]
	s_wait_loadcnt_dscnt 0x400
	v_mul_f64_e32 v[154:155], v[144:145], v[12:13]
	v_mul_f64_e32 v[12:13], v[146:147], v[12:13]
	v_add_f64_e32 v[142:143], v[160:161], v[156:157]
	v_add_f64_e32 v[148:149], v[148:149], v[158:159]
	v_fmac_f64_e32 v[150:151], v[6:7], v[184:185]
	v_fma_f64 v[156:157], v[4:5], v[184:185], -v[162:163]
	v_fmac_f64_e32 v[154:155], v[146:147], v[10:11]
	v_fma_f64 v[10:11], v[144:145], v[10:11], -v[12:13]
	v_add_f64_e32 v[158:159], v[142:143], v[140:141]
	v_add_f64_e32 v[148:149], v[148:149], v[152:153]
	ds_load_b128 v[4:7], v2 offset:1824
	ds_load_b128 v[140:143], v2 offset:1840
	s_wait_loadcnt_dscnt 0x301
	v_mul_f64_e32 v[152:153], v[4:5], v[174:175]
	v_mul_f64_e32 v[160:161], v[6:7], v[174:175]
	s_wait_loadcnt_dscnt 0x200
	v_mul_f64_e32 v[146:147], v[140:141], v[138:139]
	v_mul_f64_e32 v[138:139], v[142:143], v[138:139]
	v_add_f64_e32 v[12:13], v[158:159], v[156:157]
	v_add_f64_e32 v[144:145], v[148:149], v[150:151]
	v_fmac_f64_e32 v[152:153], v[6:7], v[172:173]
	v_fma_f64 v[148:149], v[4:5], v[172:173], -v[160:161]
	v_fmac_f64_e32 v[146:147], v[142:143], v[136:137]
	v_fma_f64 v[136:137], v[140:141], v[136:137], -v[138:139]
	v_add_f64_e32 v[150:151], v[12:13], v[10:11]
	v_add_f64_e32 v[144:145], v[144:145], v[154:155]
	ds_load_b128 v[4:7], v2 offset:1856
	ds_load_b128 v[10:13], v2 offset:1872
	s_wait_loadcnt_dscnt 0x101
	v_mul_f64_e32 v[2:3], v[4:5], v[166:167]
	v_mul_f64_e32 v[154:155], v[6:7], v[166:167]
	s_wait_loadcnt_dscnt 0x0
	v_mul_f64_e32 v[142:143], v[10:11], v[134:135]
	v_mul_f64_e32 v[134:135], v[12:13], v[134:135]
	v_add_f64_e32 v[138:139], v[150:151], v[148:149]
	v_add_f64_e32 v[140:141], v[144:145], v[152:153]
	v_fmac_f64_e32 v[2:3], v[6:7], v[164:165]
	v_fma_f64 v[4:5], v[4:5], v[164:165], -v[154:155]
	v_fmac_f64_e32 v[142:143], v[12:13], v[132:133]
	v_fma_f64 v[10:11], v[10:11], v[132:133], -v[134:135]
	v_add_f64_e32 v[6:7], v[138:139], v[136:137]
	v_add_f64_e32 v[136:137], v[140:141], v[146:147]
	s_delay_alu instid0(VALU_DEP_2) | instskip(NEXT) | instid1(VALU_DEP_2)
	v_add_f64_e32 v[4:5], v[6:7], v[4:5]
	v_add_f64_e32 v[2:3], v[136:137], v[2:3]
	s_delay_alu instid0(VALU_DEP_2) | instskip(NEXT) | instid1(VALU_DEP_2)
	v_add_f64_e32 v[4:5], v[4:5], v[10:11]
	v_add_f64_e32 v[6:7], v[2:3], v[142:143]
	s_delay_alu instid0(VALU_DEP_2) | instskip(NEXT) | instid1(VALU_DEP_2)
	v_add_f64_e64 v[2:3], v[176:177], -v[4:5]
	v_add_f64_e64 v[4:5], v[178:179], -v[6:7]
	scratch_store_b128 off, v[2:5], off offset:640
	s_wait_xcnt 0x0
	v_cmpx_lt_u32_e32 39, v1
	s_cbranch_execz .LBB58_289
; %bb.288:
	scratch_load_b128 v[2:5], off, s30
	v_mov_b32_e32 v10, 0
	s_delay_alu instid0(VALU_DEP_1)
	v_dual_mov_b32 v11, v10 :: v_dual_mov_b32 v12, v10
	v_mov_b32_e32 v13, v10
	scratch_store_b128 off, v[10:13], off offset:624
	s_wait_loadcnt 0x0
	ds_store_b128 v8, v[2:5]
.LBB58_289:
	s_wait_xcnt 0x0
	s_or_b32 exec_lo, exec_lo, s2
	s_wait_storecnt_dscnt 0x0
	s_barrier_signal -1
	s_barrier_wait -1
	s_clause 0x9
	scratch_load_b128 v[4:7], off, off offset:640
	scratch_load_b128 v[10:13], off, off offset:656
	;; [unrolled: 1-line block ×10, first 2 shown]
	v_mov_b32_e32 v2, 0
	s_mov_b32 s2, exec_lo
	ds_load_b128 v[164:167], v2 offset:1584
	s_clause 0x2
	scratch_load_b128 v[168:171], off, off offset:800
	scratch_load_b128 v[172:175], off, off offset:624
	;; [unrolled: 1-line block ×3, first 2 shown]
	s_wait_loadcnt_dscnt 0xc00
	v_mul_f64_e32 v[184:185], v[166:167], v[6:7]
	v_mul_f64_e32 v[188:189], v[164:165], v[6:7]
	ds_load_b128 v[176:179], v2 offset:1600
	v_fma_f64 v[192:193], v[164:165], v[4:5], -v[184:185]
	v_fmac_f64_e32 v[188:189], v[166:167], v[4:5]
	ds_load_b128 v[4:7], v2 offset:1616
	s_wait_loadcnt_dscnt 0xb01
	v_mul_f64_e32 v[190:191], v[176:177], v[12:13]
	v_mul_f64_e32 v[12:13], v[178:179], v[12:13]
	scratch_load_b128 v[164:167], off, off offset:832
	ds_load_b128 v[184:187], v2 offset:1632
	s_wait_loadcnt_dscnt 0xb01
	v_mul_f64_e32 v[194:195], v[4:5], v[134:135]
	v_mul_f64_e32 v[134:135], v[6:7], v[134:135]
	v_add_f64_e32 v[188:189], 0, v[188:189]
	v_fmac_f64_e32 v[190:191], v[178:179], v[10:11]
	v_fma_f64 v[176:177], v[176:177], v[10:11], -v[12:13]
	v_add_f64_e32 v[178:179], 0, v[192:193]
	scratch_load_b128 v[10:13], off, off offset:848
	v_fmac_f64_e32 v[194:195], v[6:7], v[132:133]
	v_fma_f64 v[196:197], v[4:5], v[132:133], -v[134:135]
	ds_load_b128 v[4:7], v2 offset:1648
	s_wait_loadcnt_dscnt 0xb01
	v_mul_f64_e32 v[192:193], v[184:185], v[138:139]
	v_mul_f64_e32 v[138:139], v[186:187], v[138:139]
	scratch_load_b128 v[132:135], off, off offset:864
	v_add_f64_e32 v[188:189], v[188:189], v[190:191]
	v_add_f64_e32 v[198:199], v[178:179], v[176:177]
	ds_load_b128 v[176:179], v2 offset:1664
	s_wait_loadcnt_dscnt 0xb01
	v_mul_f64_e32 v[190:191], v[4:5], v[142:143]
	v_mul_f64_e32 v[142:143], v[6:7], v[142:143]
	v_fmac_f64_e32 v[192:193], v[186:187], v[136:137]
	v_fma_f64 v[184:185], v[184:185], v[136:137], -v[138:139]
	scratch_load_b128 v[136:139], off, off offset:880
	v_add_f64_e32 v[188:189], v[188:189], v[194:195]
	v_add_f64_e32 v[186:187], v[198:199], v[196:197]
	v_fmac_f64_e32 v[190:191], v[6:7], v[140:141]
	v_fma_f64 v[196:197], v[4:5], v[140:141], -v[142:143]
	ds_load_b128 v[4:7], v2 offset:1680
	s_wait_loadcnt_dscnt 0xb01
	v_mul_f64_e32 v[194:195], v[176:177], v[146:147]
	v_mul_f64_e32 v[146:147], v[178:179], v[146:147]
	scratch_load_b128 v[140:143], off, off offset:896
	v_add_f64_e32 v[188:189], v[188:189], v[192:193]
	s_wait_loadcnt_dscnt 0xb00
	v_mul_f64_e32 v[192:193], v[4:5], v[150:151]
	v_add_f64_e32 v[198:199], v[186:187], v[184:185]
	v_mul_f64_e32 v[150:151], v[6:7], v[150:151]
	ds_load_b128 v[184:187], v2 offset:1696
	v_fmac_f64_e32 v[194:195], v[178:179], v[144:145]
	v_fma_f64 v[176:177], v[176:177], v[144:145], -v[146:147]
	scratch_load_b128 v[144:147], off, off offset:912
	v_add_f64_e32 v[188:189], v[188:189], v[190:191]
	v_fmac_f64_e32 v[192:193], v[6:7], v[148:149]
	v_add_f64_e32 v[178:179], v[198:199], v[196:197]
	v_fma_f64 v[196:197], v[4:5], v[148:149], -v[150:151]
	ds_load_b128 v[4:7], v2 offset:1712
	s_wait_loadcnt_dscnt 0xb01
	v_mul_f64_e32 v[190:191], v[184:185], v[154:155]
	v_mul_f64_e32 v[154:155], v[186:187], v[154:155]
	scratch_load_b128 v[148:151], off, off offset:928
	v_add_f64_e32 v[188:189], v[188:189], v[194:195]
	s_wait_loadcnt_dscnt 0xb00
	v_mul_f64_e32 v[194:195], v[4:5], v[158:159]
	v_add_f64_e32 v[198:199], v[178:179], v[176:177]
	v_mul_f64_e32 v[158:159], v[6:7], v[158:159]
	ds_load_b128 v[176:179], v2 offset:1728
	v_fmac_f64_e32 v[190:191], v[186:187], v[152:153]
	v_fma_f64 v[152:153], v[184:185], v[152:153], -v[154:155]
	s_wait_loadcnt_dscnt 0xa00
	v_mul_f64_e32 v[186:187], v[176:177], v[162:163]
	v_mul_f64_e32 v[162:163], v[178:179], v[162:163]
	v_add_f64_e32 v[184:185], v[188:189], v[192:193]
	v_fmac_f64_e32 v[194:195], v[6:7], v[156:157]
	v_add_f64_e32 v[154:155], v[198:199], v[196:197]
	v_fma_f64 v[156:157], v[4:5], v[156:157], -v[158:159]
	v_fmac_f64_e32 v[186:187], v[178:179], v[160:161]
	v_fma_f64 v[160:161], v[176:177], v[160:161], -v[162:163]
	v_add_f64_e32 v[184:185], v[184:185], v[190:191]
	v_add_f64_e32 v[158:159], v[154:155], v[152:153]
	ds_load_b128 v[4:7], v2 offset:1744
	ds_load_b128 v[152:155], v2 offset:1760
	s_wait_loadcnt_dscnt 0x901
	v_mul_f64_e32 v[188:189], v[4:5], v[170:171]
	v_mul_f64_e32 v[170:171], v[6:7], v[170:171]
	s_wait_loadcnt_dscnt 0x700
	v_mul_f64_e32 v[162:163], v[152:153], v[182:183]
	v_mul_f64_e32 v[176:177], v[154:155], v[182:183]
	v_add_f64_e32 v[156:157], v[158:159], v[156:157]
	v_add_f64_e32 v[158:159], v[184:185], v[194:195]
	v_fmac_f64_e32 v[188:189], v[6:7], v[168:169]
	v_fma_f64 v[168:169], v[4:5], v[168:169], -v[170:171]
	v_fmac_f64_e32 v[162:163], v[154:155], v[180:181]
	v_fma_f64 v[152:153], v[152:153], v[180:181], -v[176:177]
	v_add_f64_e32 v[160:161], v[156:157], v[160:161]
	v_add_f64_e32 v[170:171], v[158:159], v[186:187]
	ds_load_b128 v[4:7], v2 offset:1776
	ds_load_b128 v[156:159], v2 offset:1792
	s_wait_loadcnt_dscnt 0x601
	v_mul_f64_e32 v[178:179], v[4:5], v[166:167]
	v_mul_f64_e32 v[166:167], v[6:7], v[166:167]
	v_add_f64_e32 v[154:155], v[160:161], v[168:169]
	v_add_f64_e32 v[160:161], v[170:171], v[188:189]
	s_wait_loadcnt_dscnt 0x500
	v_mul_f64_e32 v[168:169], v[156:157], v[12:13]
	v_mul_f64_e32 v[12:13], v[158:159], v[12:13]
	v_fmac_f64_e32 v[178:179], v[6:7], v[164:165]
	v_fma_f64 v[164:165], v[4:5], v[164:165], -v[166:167]
	v_add_f64_e32 v[166:167], v[154:155], v[152:153]
	v_add_f64_e32 v[160:161], v[160:161], v[162:163]
	ds_load_b128 v[4:7], v2 offset:1808
	ds_load_b128 v[152:155], v2 offset:1824
	v_fmac_f64_e32 v[168:169], v[158:159], v[10:11]
	v_fma_f64 v[10:11], v[156:157], v[10:11], -v[12:13]
	s_wait_loadcnt_dscnt 0x401
	v_mul_f64_e32 v[162:163], v[4:5], v[134:135]
	v_mul_f64_e32 v[134:135], v[6:7], v[134:135]
	s_wait_loadcnt_dscnt 0x300
	v_mul_f64_e32 v[158:159], v[152:153], v[138:139]
	v_mul_f64_e32 v[138:139], v[154:155], v[138:139]
	v_add_f64_e32 v[12:13], v[166:167], v[164:165]
	v_add_f64_e32 v[156:157], v[160:161], v[178:179]
	v_fmac_f64_e32 v[162:163], v[6:7], v[132:133]
	v_fma_f64 v[132:133], v[4:5], v[132:133], -v[134:135]
	v_fmac_f64_e32 v[158:159], v[154:155], v[136:137]
	v_fma_f64 v[136:137], v[152:153], v[136:137], -v[138:139]
	v_add_f64_e32 v[134:135], v[12:13], v[10:11]
	v_add_f64_e32 v[156:157], v[156:157], v[168:169]
	ds_load_b128 v[4:7], v2 offset:1840
	ds_load_b128 v[10:13], v2 offset:1856
	s_wait_loadcnt_dscnt 0x201
	v_mul_f64_e32 v[160:161], v[4:5], v[142:143]
	v_mul_f64_e32 v[142:143], v[6:7], v[142:143]
	s_wait_loadcnt_dscnt 0x100
	v_mul_f64_e32 v[138:139], v[10:11], v[146:147]
	v_mul_f64_e32 v[146:147], v[12:13], v[146:147]
	v_add_f64_e32 v[132:133], v[134:135], v[132:133]
	v_add_f64_e32 v[134:135], v[156:157], v[162:163]
	v_fmac_f64_e32 v[160:161], v[6:7], v[140:141]
	v_fma_f64 v[140:141], v[4:5], v[140:141], -v[142:143]
	ds_load_b128 v[4:7], v2 offset:1872
	v_fmac_f64_e32 v[138:139], v[12:13], v[144:145]
	v_fma_f64 v[10:11], v[10:11], v[144:145], -v[146:147]
	v_add_f64_e32 v[132:133], v[132:133], v[136:137]
	v_add_f64_e32 v[134:135], v[134:135], v[158:159]
	s_wait_loadcnt_dscnt 0x0
	v_mul_f64_e32 v[136:137], v[4:5], v[150:151]
	v_mul_f64_e32 v[142:143], v[6:7], v[150:151]
	s_delay_alu instid0(VALU_DEP_4) | instskip(NEXT) | instid1(VALU_DEP_4)
	v_add_f64_e32 v[12:13], v[132:133], v[140:141]
	v_add_f64_e32 v[132:133], v[134:135], v[160:161]
	s_delay_alu instid0(VALU_DEP_4) | instskip(NEXT) | instid1(VALU_DEP_4)
	v_fmac_f64_e32 v[136:137], v[6:7], v[148:149]
	v_fma_f64 v[4:5], v[4:5], v[148:149], -v[142:143]
	s_delay_alu instid0(VALU_DEP_4) | instskip(NEXT) | instid1(VALU_DEP_4)
	v_add_f64_e32 v[6:7], v[12:13], v[10:11]
	v_add_f64_e32 v[10:11], v[132:133], v[138:139]
	s_delay_alu instid0(VALU_DEP_2) | instskip(NEXT) | instid1(VALU_DEP_2)
	v_add_f64_e32 v[4:5], v[6:7], v[4:5]
	v_add_f64_e32 v[6:7], v[10:11], v[136:137]
	s_delay_alu instid0(VALU_DEP_2) | instskip(NEXT) | instid1(VALU_DEP_2)
	v_add_f64_e64 v[4:5], v[172:173], -v[4:5]
	v_add_f64_e64 v[6:7], v[174:175], -v[6:7]
	scratch_store_b128 off, v[4:7], off offset:624
	s_wait_xcnt 0x0
	v_cmpx_lt_u32_e32 38, v1
	s_cbranch_execz .LBB58_291
; %bb.290:
	scratch_load_b128 v[10:13], off, s34
	v_dual_mov_b32 v3, v2 :: v_dual_mov_b32 v4, v2
	v_mov_b32_e32 v5, v2
	scratch_store_b128 off, v[2:5], off offset:608
	s_wait_loadcnt 0x0
	ds_store_b128 v8, v[10:13]
.LBB58_291:
	s_wait_xcnt 0x0
	s_or_b32 exec_lo, exec_lo, s2
	s_wait_storecnt_dscnt 0x0
	s_barrier_signal -1
	s_barrier_wait -1
	s_clause 0x9
	scratch_load_b128 v[4:7], off, off offset:624
	scratch_load_b128 v[10:13], off, off offset:640
	;; [unrolled: 1-line block ×10, first 2 shown]
	ds_load_b128 v[164:167], v2 offset:1568
	ds_load_b128 v[172:175], v2 offset:1584
	s_clause 0x2
	scratch_load_b128 v[168:171], off, off offset:784
	scratch_load_b128 v[176:179], off, off offset:608
	;; [unrolled: 1-line block ×3, first 2 shown]
	s_mov_b32 s2, exec_lo
	s_wait_loadcnt_dscnt 0xc01
	v_mul_f64_e32 v[184:185], v[166:167], v[6:7]
	v_mul_f64_e32 v[188:189], v[164:165], v[6:7]
	s_wait_loadcnt_dscnt 0xb00
	v_mul_f64_e32 v[190:191], v[172:173], v[12:13]
	v_mul_f64_e32 v[12:13], v[174:175], v[12:13]
	s_delay_alu instid0(VALU_DEP_4) | instskip(NEXT) | instid1(VALU_DEP_4)
	v_fma_f64 v[192:193], v[164:165], v[4:5], -v[184:185]
	v_fmac_f64_e32 v[188:189], v[166:167], v[4:5]
	ds_load_b128 v[4:7], v2 offset:1600
	ds_load_b128 v[164:167], v2 offset:1616
	scratch_load_b128 v[184:187], off, off offset:816
	v_fmac_f64_e32 v[190:191], v[174:175], v[10:11]
	v_fma_f64 v[172:173], v[172:173], v[10:11], -v[12:13]
	scratch_load_b128 v[10:13], off, off offset:832
	s_wait_loadcnt_dscnt 0xc01
	v_mul_f64_e32 v[194:195], v[4:5], v[134:135]
	v_mul_f64_e32 v[134:135], v[6:7], v[134:135]
	v_add_f64_e32 v[174:175], 0, v[192:193]
	v_add_f64_e32 v[188:189], 0, v[188:189]
	s_wait_loadcnt_dscnt 0xb00
	v_mul_f64_e32 v[192:193], v[164:165], v[138:139]
	v_mul_f64_e32 v[138:139], v[166:167], v[138:139]
	v_fmac_f64_e32 v[194:195], v[6:7], v[132:133]
	v_fma_f64 v[196:197], v[4:5], v[132:133], -v[134:135]
	ds_load_b128 v[4:7], v2 offset:1632
	ds_load_b128 v[132:135], v2 offset:1648
	v_add_f64_e32 v[198:199], v[174:175], v[172:173]
	v_add_f64_e32 v[188:189], v[188:189], v[190:191]
	scratch_load_b128 v[172:175], off, off offset:848
	v_fmac_f64_e32 v[192:193], v[166:167], v[136:137]
	v_fma_f64 v[164:165], v[164:165], v[136:137], -v[138:139]
	scratch_load_b128 v[136:139], off, off offset:864
	s_wait_loadcnt_dscnt 0xc01
	v_mul_f64_e32 v[190:191], v[4:5], v[142:143]
	v_mul_f64_e32 v[142:143], v[6:7], v[142:143]
	v_add_f64_e32 v[166:167], v[198:199], v[196:197]
	v_add_f64_e32 v[188:189], v[188:189], v[194:195]
	s_wait_loadcnt_dscnt 0xb00
	v_mul_f64_e32 v[194:195], v[132:133], v[146:147]
	v_mul_f64_e32 v[146:147], v[134:135], v[146:147]
	v_fmac_f64_e32 v[190:191], v[6:7], v[140:141]
	v_fma_f64 v[196:197], v[4:5], v[140:141], -v[142:143]
	ds_load_b128 v[4:7], v2 offset:1664
	ds_load_b128 v[140:143], v2 offset:1680
	v_add_f64_e32 v[198:199], v[166:167], v[164:165]
	v_add_f64_e32 v[188:189], v[188:189], v[192:193]
	scratch_load_b128 v[164:167], off, off offset:880
	s_wait_loadcnt_dscnt 0xb01
	v_mul_f64_e32 v[192:193], v[4:5], v[150:151]
	v_mul_f64_e32 v[150:151], v[6:7], v[150:151]
	v_fmac_f64_e32 v[194:195], v[134:135], v[144:145]
	v_fma_f64 v[144:145], v[132:133], v[144:145], -v[146:147]
	scratch_load_b128 v[132:135], off, off offset:896
	v_add_f64_e32 v[146:147], v[198:199], v[196:197]
	v_add_f64_e32 v[188:189], v[188:189], v[190:191]
	s_wait_loadcnt_dscnt 0xb00
	v_mul_f64_e32 v[190:191], v[140:141], v[154:155]
	v_mul_f64_e32 v[154:155], v[142:143], v[154:155]
	v_fmac_f64_e32 v[192:193], v[6:7], v[148:149]
	v_fma_f64 v[196:197], v[4:5], v[148:149], -v[150:151]
	v_add_f64_e32 v[198:199], v[146:147], v[144:145]
	v_add_f64_e32 v[188:189], v[188:189], v[194:195]
	ds_load_b128 v[4:7], v2 offset:1696
	ds_load_b128 v[144:147], v2 offset:1712
	scratch_load_b128 v[148:151], off, off offset:912
	v_fmac_f64_e32 v[190:191], v[142:143], v[152:153]
	v_fma_f64 v[152:153], v[140:141], v[152:153], -v[154:155]
	scratch_load_b128 v[140:143], off, off offset:928
	s_wait_loadcnt_dscnt 0xc01
	v_mul_f64_e32 v[194:195], v[4:5], v[158:159]
	v_mul_f64_e32 v[158:159], v[6:7], v[158:159]
	v_add_f64_e32 v[154:155], v[198:199], v[196:197]
	v_add_f64_e32 v[188:189], v[188:189], v[192:193]
	s_wait_loadcnt_dscnt 0xb00
	v_mul_f64_e32 v[192:193], v[144:145], v[162:163]
	v_mul_f64_e32 v[162:163], v[146:147], v[162:163]
	v_fmac_f64_e32 v[194:195], v[6:7], v[156:157]
	v_fma_f64 v[156:157], v[4:5], v[156:157], -v[158:159]
	v_add_f64_e32 v[158:159], v[154:155], v[152:153]
	v_add_f64_e32 v[188:189], v[188:189], v[190:191]
	ds_load_b128 v[4:7], v2 offset:1728
	ds_load_b128 v[152:155], v2 offset:1744
	v_fmac_f64_e32 v[192:193], v[146:147], v[160:161]
	v_fma_f64 v[144:145], v[144:145], v[160:161], -v[162:163]
	s_wait_loadcnt_dscnt 0xa01
	v_mul_f64_e32 v[190:191], v[4:5], v[170:171]
	v_mul_f64_e32 v[170:171], v[6:7], v[170:171]
	s_wait_loadcnt_dscnt 0x800
	v_mul_f64_e32 v[160:161], v[154:155], v[182:183]
	v_add_f64_e32 v[146:147], v[158:159], v[156:157]
	v_add_f64_e32 v[156:157], v[188:189], v[194:195]
	v_mul_f64_e32 v[158:159], v[152:153], v[182:183]
	v_fmac_f64_e32 v[190:191], v[6:7], v[168:169]
	v_fma_f64 v[162:163], v[4:5], v[168:169], -v[170:171]
	v_fma_f64 v[152:153], v[152:153], v[180:181], -v[160:161]
	v_add_f64_e32 v[168:169], v[146:147], v[144:145]
	v_add_f64_e32 v[156:157], v[156:157], v[192:193]
	ds_load_b128 v[4:7], v2 offset:1760
	ds_load_b128 v[144:147], v2 offset:1776
	v_fmac_f64_e32 v[158:159], v[154:155], v[180:181]
	s_wait_loadcnt_dscnt 0x701
	v_mul_f64_e32 v[170:171], v[4:5], v[186:187]
	v_mul_f64_e32 v[182:183], v[6:7], v[186:187]
	s_wait_loadcnt_dscnt 0x600
	v_mul_f64_e32 v[160:161], v[144:145], v[12:13]
	v_mul_f64_e32 v[12:13], v[146:147], v[12:13]
	v_add_f64_e32 v[154:155], v[168:169], v[162:163]
	v_add_f64_e32 v[156:157], v[156:157], v[190:191]
	v_fmac_f64_e32 v[170:171], v[6:7], v[184:185]
	v_fma_f64 v[162:163], v[4:5], v[184:185], -v[182:183]
	v_fmac_f64_e32 v[160:161], v[146:147], v[10:11]
	v_fma_f64 v[10:11], v[144:145], v[10:11], -v[12:13]
	v_add_f64_e32 v[168:169], v[154:155], v[152:153]
	v_add_f64_e32 v[156:157], v[156:157], v[158:159]
	ds_load_b128 v[4:7], v2 offset:1792
	ds_load_b128 v[152:155], v2 offset:1808
	s_wait_loadcnt_dscnt 0x501
	v_mul_f64_e32 v[158:159], v[4:5], v[174:175]
	v_mul_f64_e32 v[174:175], v[6:7], v[174:175]
	s_wait_loadcnt_dscnt 0x400
	v_mul_f64_e32 v[146:147], v[152:153], v[138:139]
	v_mul_f64_e32 v[138:139], v[154:155], v[138:139]
	v_add_f64_e32 v[12:13], v[168:169], v[162:163]
	v_add_f64_e32 v[144:145], v[156:157], v[170:171]
	v_fmac_f64_e32 v[158:159], v[6:7], v[172:173]
	v_fma_f64 v[156:157], v[4:5], v[172:173], -v[174:175]
	v_fmac_f64_e32 v[146:147], v[154:155], v[136:137]
	v_fma_f64 v[136:137], v[152:153], v[136:137], -v[138:139]
	v_add_f64_e32 v[162:163], v[12:13], v[10:11]
	v_add_f64_e32 v[144:145], v[144:145], v[160:161]
	ds_load_b128 v[4:7], v2 offset:1824
	ds_load_b128 v[10:13], v2 offset:1840
	;; [unrolled: 16-line block ×3, first 2 shown]
	s_wait_loadcnt_dscnt 0x101
	v_mul_f64_e32 v[2:3], v[4:5], v[150:151]
	v_mul_f64_e32 v[146:147], v[6:7], v[150:151]
	v_add_f64_e32 v[12:13], v[138:139], v[156:157]
	v_add_f64_e32 v[132:133], v[144:145], v[160:161]
	s_wait_loadcnt_dscnt 0x0
	v_mul_f64_e32 v[138:139], v[134:135], v[142:143]
	v_mul_f64_e32 v[142:143], v[136:137], v[142:143]
	v_fmac_f64_e32 v[2:3], v[6:7], v[148:149]
	v_fma_f64 v[4:5], v[4:5], v[148:149], -v[146:147]
	v_add_f64_e32 v[6:7], v[12:13], v[10:11]
	v_add_f64_e32 v[10:11], v[132:133], v[152:153]
	v_fmac_f64_e32 v[138:139], v[136:137], v[140:141]
	v_fma_f64 v[12:13], v[134:135], v[140:141], -v[142:143]
	s_delay_alu instid0(VALU_DEP_4) | instskip(NEXT) | instid1(VALU_DEP_4)
	v_add_f64_e32 v[4:5], v[6:7], v[4:5]
	v_add_f64_e32 v[2:3], v[10:11], v[2:3]
	s_delay_alu instid0(VALU_DEP_2) | instskip(NEXT) | instid1(VALU_DEP_2)
	v_add_f64_e32 v[4:5], v[4:5], v[12:13]
	v_add_f64_e32 v[6:7], v[2:3], v[138:139]
	s_delay_alu instid0(VALU_DEP_2) | instskip(NEXT) | instid1(VALU_DEP_2)
	v_add_f64_e64 v[2:3], v[176:177], -v[4:5]
	v_add_f64_e64 v[4:5], v[178:179], -v[6:7]
	scratch_store_b128 off, v[2:5], off offset:608
	s_wait_xcnt 0x0
	v_cmpx_lt_u32_e32 37, v1
	s_cbranch_execz .LBB58_293
; %bb.292:
	scratch_load_b128 v[2:5], off, s33
	v_mov_b32_e32 v10, 0
	s_delay_alu instid0(VALU_DEP_1)
	v_dual_mov_b32 v11, v10 :: v_dual_mov_b32 v12, v10
	v_mov_b32_e32 v13, v10
	scratch_store_b128 off, v[10:13], off offset:592
	s_wait_loadcnt 0x0
	ds_store_b128 v8, v[2:5]
.LBB58_293:
	s_wait_xcnt 0x0
	s_or_b32 exec_lo, exec_lo, s2
	s_wait_storecnt_dscnt 0x0
	s_barrier_signal -1
	s_barrier_wait -1
	s_clause 0x9
	scratch_load_b128 v[4:7], off, off offset:608
	scratch_load_b128 v[10:13], off, off offset:624
	;; [unrolled: 1-line block ×10, first 2 shown]
	v_mov_b32_e32 v2, 0
	s_mov_b32 s2, exec_lo
	ds_load_b128 v[164:167], v2 offset:1552
	s_clause 0x2
	scratch_load_b128 v[168:171], off, off offset:768
	scratch_load_b128 v[172:175], off, off offset:592
	;; [unrolled: 1-line block ×3, first 2 shown]
	s_wait_loadcnt_dscnt 0xc00
	v_mul_f64_e32 v[184:185], v[166:167], v[6:7]
	v_mul_f64_e32 v[188:189], v[164:165], v[6:7]
	ds_load_b128 v[176:179], v2 offset:1568
	v_fma_f64 v[192:193], v[164:165], v[4:5], -v[184:185]
	v_fmac_f64_e32 v[188:189], v[166:167], v[4:5]
	ds_load_b128 v[4:7], v2 offset:1584
	s_wait_loadcnt_dscnt 0xb01
	v_mul_f64_e32 v[190:191], v[176:177], v[12:13]
	v_mul_f64_e32 v[12:13], v[178:179], v[12:13]
	scratch_load_b128 v[164:167], off, off offset:800
	ds_load_b128 v[184:187], v2 offset:1600
	s_wait_loadcnt_dscnt 0xb01
	v_mul_f64_e32 v[194:195], v[4:5], v[134:135]
	v_mul_f64_e32 v[134:135], v[6:7], v[134:135]
	v_add_f64_e32 v[188:189], 0, v[188:189]
	v_fmac_f64_e32 v[190:191], v[178:179], v[10:11]
	v_fma_f64 v[176:177], v[176:177], v[10:11], -v[12:13]
	v_add_f64_e32 v[178:179], 0, v[192:193]
	scratch_load_b128 v[10:13], off, off offset:816
	v_fmac_f64_e32 v[194:195], v[6:7], v[132:133]
	v_fma_f64 v[196:197], v[4:5], v[132:133], -v[134:135]
	ds_load_b128 v[4:7], v2 offset:1616
	s_wait_loadcnt_dscnt 0xb01
	v_mul_f64_e32 v[192:193], v[184:185], v[138:139]
	v_mul_f64_e32 v[138:139], v[186:187], v[138:139]
	scratch_load_b128 v[132:135], off, off offset:832
	v_add_f64_e32 v[188:189], v[188:189], v[190:191]
	v_add_f64_e32 v[198:199], v[178:179], v[176:177]
	ds_load_b128 v[176:179], v2 offset:1632
	s_wait_loadcnt_dscnt 0xb01
	v_mul_f64_e32 v[190:191], v[4:5], v[142:143]
	v_mul_f64_e32 v[142:143], v[6:7], v[142:143]
	v_fmac_f64_e32 v[192:193], v[186:187], v[136:137]
	v_fma_f64 v[184:185], v[184:185], v[136:137], -v[138:139]
	scratch_load_b128 v[136:139], off, off offset:848
	v_add_f64_e32 v[188:189], v[188:189], v[194:195]
	v_add_f64_e32 v[186:187], v[198:199], v[196:197]
	v_fmac_f64_e32 v[190:191], v[6:7], v[140:141]
	v_fma_f64 v[196:197], v[4:5], v[140:141], -v[142:143]
	ds_load_b128 v[4:7], v2 offset:1648
	s_wait_loadcnt_dscnt 0xb01
	v_mul_f64_e32 v[194:195], v[176:177], v[146:147]
	v_mul_f64_e32 v[146:147], v[178:179], v[146:147]
	scratch_load_b128 v[140:143], off, off offset:864
	v_add_f64_e32 v[188:189], v[188:189], v[192:193]
	s_wait_loadcnt_dscnt 0xb00
	v_mul_f64_e32 v[192:193], v[4:5], v[150:151]
	v_add_f64_e32 v[198:199], v[186:187], v[184:185]
	v_mul_f64_e32 v[150:151], v[6:7], v[150:151]
	ds_load_b128 v[184:187], v2 offset:1664
	v_fmac_f64_e32 v[194:195], v[178:179], v[144:145]
	v_fma_f64 v[176:177], v[176:177], v[144:145], -v[146:147]
	scratch_load_b128 v[144:147], off, off offset:880
	v_add_f64_e32 v[188:189], v[188:189], v[190:191]
	v_fmac_f64_e32 v[192:193], v[6:7], v[148:149]
	v_add_f64_e32 v[178:179], v[198:199], v[196:197]
	v_fma_f64 v[196:197], v[4:5], v[148:149], -v[150:151]
	ds_load_b128 v[4:7], v2 offset:1680
	s_wait_loadcnt_dscnt 0xb01
	v_mul_f64_e32 v[190:191], v[184:185], v[154:155]
	v_mul_f64_e32 v[154:155], v[186:187], v[154:155]
	scratch_load_b128 v[148:151], off, off offset:896
	v_add_f64_e32 v[188:189], v[188:189], v[194:195]
	s_wait_loadcnt_dscnt 0xb00
	v_mul_f64_e32 v[194:195], v[4:5], v[158:159]
	v_add_f64_e32 v[198:199], v[178:179], v[176:177]
	v_mul_f64_e32 v[158:159], v[6:7], v[158:159]
	ds_load_b128 v[176:179], v2 offset:1696
	v_fmac_f64_e32 v[190:191], v[186:187], v[152:153]
	v_fma_f64 v[184:185], v[184:185], v[152:153], -v[154:155]
	scratch_load_b128 v[152:155], off, off offset:912
	v_add_f64_e32 v[188:189], v[188:189], v[192:193]
	v_fmac_f64_e32 v[194:195], v[6:7], v[156:157]
	v_add_f64_e32 v[186:187], v[198:199], v[196:197]
	v_fma_f64 v[196:197], v[4:5], v[156:157], -v[158:159]
	ds_load_b128 v[4:7], v2 offset:1712
	s_wait_loadcnt_dscnt 0xb01
	v_mul_f64_e32 v[192:193], v[176:177], v[162:163]
	v_mul_f64_e32 v[162:163], v[178:179], v[162:163]
	scratch_load_b128 v[156:159], off, off offset:928
	v_add_f64_e32 v[188:189], v[188:189], v[190:191]
	s_wait_loadcnt_dscnt 0xb00
	v_mul_f64_e32 v[190:191], v[4:5], v[170:171]
	v_add_f64_e32 v[198:199], v[186:187], v[184:185]
	v_mul_f64_e32 v[170:171], v[6:7], v[170:171]
	ds_load_b128 v[184:187], v2 offset:1728
	v_fmac_f64_e32 v[192:193], v[178:179], v[160:161]
	v_fma_f64 v[160:161], v[176:177], v[160:161], -v[162:163]
	s_wait_loadcnt_dscnt 0x900
	v_mul_f64_e32 v[178:179], v[184:185], v[182:183]
	v_mul_f64_e32 v[182:183], v[186:187], v[182:183]
	v_add_f64_e32 v[176:177], v[188:189], v[194:195]
	v_fmac_f64_e32 v[190:191], v[6:7], v[168:169]
	v_add_f64_e32 v[162:163], v[198:199], v[196:197]
	v_fma_f64 v[168:169], v[4:5], v[168:169], -v[170:171]
	v_fmac_f64_e32 v[178:179], v[186:187], v[180:181]
	v_fma_f64 v[180:181], v[184:185], v[180:181], -v[182:183]
	v_add_f64_e32 v[176:177], v[176:177], v[192:193]
	v_add_f64_e32 v[170:171], v[162:163], v[160:161]
	ds_load_b128 v[4:7], v2 offset:1744
	ds_load_b128 v[160:163], v2 offset:1760
	s_wait_loadcnt_dscnt 0x801
	v_mul_f64_e32 v[188:189], v[4:5], v[166:167]
	v_mul_f64_e32 v[166:167], v[6:7], v[166:167]
	v_add_f64_e32 v[168:169], v[170:171], v[168:169]
	v_add_f64_e32 v[170:171], v[176:177], v[190:191]
	s_wait_loadcnt_dscnt 0x700
	v_mul_f64_e32 v[176:177], v[160:161], v[12:13]
	v_mul_f64_e32 v[12:13], v[162:163], v[12:13]
	v_fmac_f64_e32 v[188:189], v[6:7], v[164:165]
	v_fma_f64 v[182:183], v[4:5], v[164:165], -v[166:167]
	ds_load_b128 v[4:7], v2 offset:1776
	ds_load_b128 v[164:167], v2 offset:1792
	v_add_f64_e32 v[168:169], v[168:169], v[180:181]
	v_add_f64_e32 v[170:171], v[170:171], v[178:179]
	v_fmac_f64_e32 v[176:177], v[162:163], v[10:11]
	v_fma_f64 v[10:11], v[160:161], v[10:11], -v[12:13]
	s_wait_loadcnt_dscnt 0x601
	v_mul_f64_e32 v[178:179], v[4:5], v[134:135]
	v_mul_f64_e32 v[134:135], v[6:7], v[134:135]
	s_wait_loadcnt_dscnt 0x500
	v_mul_f64_e32 v[162:163], v[164:165], v[138:139]
	v_mul_f64_e32 v[138:139], v[166:167], v[138:139]
	v_add_f64_e32 v[12:13], v[168:169], v[182:183]
	v_add_f64_e32 v[160:161], v[170:171], v[188:189]
	v_fmac_f64_e32 v[178:179], v[6:7], v[132:133]
	v_fma_f64 v[132:133], v[4:5], v[132:133], -v[134:135]
	v_fmac_f64_e32 v[162:163], v[166:167], v[136:137]
	v_fma_f64 v[136:137], v[164:165], v[136:137], -v[138:139]
	v_add_f64_e32 v[134:135], v[12:13], v[10:11]
	v_add_f64_e32 v[160:161], v[160:161], v[176:177]
	ds_load_b128 v[4:7], v2 offset:1808
	ds_load_b128 v[10:13], v2 offset:1824
	s_wait_loadcnt_dscnt 0x401
	v_mul_f64_e32 v[168:169], v[4:5], v[142:143]
	v_mul_f64_e32 v[142:143], v[6:7], v[142:143]
	s_wait_loadcnt_dscnt 0x300
	v_mul_f64_e32 v[138:139], v[10:11], v[146:147]
	v_mul_f64_e32 v[146:147], v[12:13], v[146:147]
	v_add_f64_e32 v[132:133], v[134:135], v[132:133]
	v_add_f64_e32 v[134:135], v[160:161], v[178:179]
	v_fmac_f64_e32 v[168:169], v[6:7], v[140:141]
	v_fma_f64 v[140:141], v[4:5], v[140:141], -v[142:143]
	v_fmac_f64_e32 v[138:139], v[12:13], v[144:145]
	v_fma_f64 v[10:11], v[10:11], v[144:145], -v[146:147]
	v_add_f64_e32 v[136:137], v[132:133], v[136:137]
	v_add_f64_e32 v[142:143], v[134:135], v[162:163]
	ds_load_b128 v[4:7], v2 offset:1840
	ds_load_b128 v[132:135], v2 offset:1856
	s_wait_loadcnt_dscnt 0x201
	v_mul_f64_e32 v[160:161], v[4:5], v[150:151]
	v_mul_f64_e32 v[150:151], v[6:7], v[150:151]
	v_add_f64_e32 v[12:13], v[136:137], v[140:141]
	v_add_f64_e32 v[136:137], v[142:143], v[168:169]
	s_wait_loadcnt_dscnt 0x100
	v_mul_f64_e32 v[140:141], v[132:133], v[154:155]
	v_mul_f64_e32 v[142:143], v[134:135], v[154:155]
	v_fmac_f64_e32 v[160:161], v[6:7], v[148:149]
	v_fma_f64 v[144:145], v[4:5], v[148:149], -v[150:151]
	ds_load_b128 v[4:7], v2 offset:1872
	v_add_f64_e32 v[10:11], v[12:13], v[10:11]
	v_add_f64_e32 v[12:13], v[136:137], v[138:139]
	v_fmac_f64_e32 v[140:141], v[134:135], v[152:153]
	v_fma_f64 v[132:133], v[132:133], v[152:153], -v[142:143]
	s_wait_loadcnt_dscnt 0x0
	v_mul_f64_e32 v[136:137], v[4:5], v[158:159]
	v_mul_f64_e32 v[138:139], v[6:7], v[158:159]
	v_add_f64_e32 v[10:11], v[10:11], v[144:145]
	v_add_f64_e32 v[12:13], v[12:13], v[160:161]
	s_delay_alu instid0(VALU_DEP_4) | instskip(NEXT) | instid1(VALU_DEP_4)
	v_fmac_f64_e32 v[136:137], v[6:7], v[156:157]
	v_fma_f64 v[4:5], v[4:5], v[156:157], -v[138:139]
	s_delay_alu instid0(VALU_DEP_4) | instskip(NEXT) | instid1(VALU_DEP_4)
	v_add_f64_e32 v[6:7], v[10:11], v[132:133]
	v_add_f64_e32 v[10:11], v[12:13], v[140:141]
	s_delay_alu instid0(VALU_DEP_2) | instskip(NEXT) | instid1(VALU_DEP_2)
	v_add_f64_e32 v[4:5], v[6:7], v[4:5]
	v_add_f64_e32 v[6:7], v[10:11], v[136:137]
	s_delay_alu instid0(VALU_DEP_2) | instskip(NEXT) | instid1(VALU_DEP_2)
	v_add_f64_e64 v[4:5], v[172:173], -v[4:5]
	v_add_f64_e64 v[6:7], v[174:175], -v[6:7]
	scratch_store_b128 off, v[4:7], off offset:592
	s_wait_xcnt 0x0
	v_cmpx_lt_u32_e32 36, v1
	s_cbranch_execz .LBB58_295
; %bb.294:
	scratch_load_b128 v[10:13], off, s36
	v_dual_mov_b32 v3, v2 :: v_dual_mov_b32 v4, v2
	v_mov_b32_e32 v5, v2
	scratch_store_b128 off, v[2:5], off offset:576
	s_wait_loadcnt 0x0
	ds_store_b128 v8, v[10:13]
.LBB58_295:
	s_wait_xcnt 0x0
	s_or_b32 exec_lo, exec_lo, s2
	s_wait_storecnt_dscnt 0x0
	s_barrier_signal -1
	s_barrier_wait -1
	s_clause 0x9
	scratch_load_b128 v[4:7], off, off offset:592
	scratch_load_b128 v[10:13], off, off offset:608
	;; [unrolled: 1-line block ×10, first 2 shown]
	ds_load_b128 v[164:167], v2 offset:1536
	ds_load_b128 v[172:175], v2 offset:1552
	s_clause 0x2
	scratch_load_b128 v[168:171], off, off offset:752
	scratch_load_b128 v[176:179], off, off offset:576
	;; [unrolled: 1-line block ×3, first 2 shown]
	s_mov_b32 s2, exec_lo
	s_wait_loadcnt_dscnt 0xc01
	v_mul_f64_e32 v[184:185], v[166:167], v[6:7]
	v_mul_f64_e32 v[188:189], v[164:165], v[6:7]
	s_wait_loadcnt_dscnt 0xb00
	v_mul_f64_e32 v[190:191], v[172:173], v[12:13]
	v_mul_f64_e32 v[12:13], v[174:175], v[12:13]
	s_delay_alu instid0(VALU_DEP_4) | instskip(NEXT) | instid1(VALU_DEP_4)
	v_fma_f64 v[192:193], v[164:165], v[4:5], -v[184:185]
	v_fmac_f64_e32 v[188:189], v[166:167], v[4:5]
	ds_load_b128 v[4:7], v2 offset:1568
	ds_load_b128 v[164:167], v2 offset:1584
	scratch_load_b128 v[184:187], off, off offset:784
	v_fmac_f64_e32 v[190:191], v[174:175], v[10:11]
	v_fma_f64 v[172:173], v[172:173], v[10:11], -v[12:13]
	scratch_load_b128 v[10:13], off, off offset:800
	s_wait_loadcnt_dscnt 0xc01
	v_mul_f64_e32 v[194:195], v[4:5], v[134:135]
	v_mul_f64_e32 v[134:135], v[6:7], v[134:135]
	v_add_f64_e32 v[174:175], 0, v[192:193]
	v_add_f64_e32 v[188:189], 0, v[188:189]
	s_wait_loadcnt_dscnt 0xb00
	v_mul_f64_e32 v[192:193], v[164:165], v[138:139]
	v_mul_f64_e32 v[138:139], v[166:167], v[138:139]
	v_fmac_f64_e32 v[194:195], v[6:7], v[132:133]
	v_fma_f64 v[196:197], v[4:5], v[132:133], -v[134:135]
	ds_load_b128 v[4:7], v2 offset:1600
	ds_load_b128 v[132:135], v2 offset:1616
	v_add_f64_e32 v[198:199], v[174:175], v[172:173]
	v_add_f64_e32 v[188:189], v[188:189], v[190:191]
	scratch_load_b128 v[172:175], off, off offset:816
	v_fmac_f64_e32 v[192:193], v[166:167], v[136:137]
	v_fma_f64 v[164:165], v[164:165], v[136:137], -v[138:139]
	scratch_load_b128 v[136:139], off, off offset:832
	s_wait_loadcnt_dscnt 0xc01
	v_mul_f64_e32 v[190:191], v[4:5], v[142:143]
	v_mul_f64_e32 v[142:143], v[6:7], v[142:143]
	v_add_f64_e32 v[166:167], v[198:199], v[196:197]
	v_add_f64_e32 v[188:189], v[188:189], v[194:195]
	s_wait_loadcnt_dscnt 0xb00
	v_mul_f64_e32 v[194:195], v[132:133], v[146:147]
	v_mul_f64_e32 v[146:147], v[134:135], v[146:147]
	v_fmac_f64_e32 v[190:191], v[6:7], v[140:141]
	v_fma_f64 v[196:197], v[4:5], v[140:141], -v[142:143]
	ds_load_b128 v[4:7], v2 offset:1632
	ds_load_b128 v[140:143], v2 offset:1648
	v_add_f64_e32 v[198:199], v[166:167], v[164:165]
	v_add_f64_e32 v[188:189], v[188:189], v[192:193]
	scratch_load_b128 v[164:167], off, off offset:848
	s_wait_loadcnt_dscnt 0xb01
	v_mul_f64_e32 v[192:193], v[4:5], v[150:151]
	v_mul_f64_e32 v[150:151], v[6:7], v[150:151]
	v_fmac_f64_e32 v[194:195], v[134:135], v[144:145]
	v_fma_f64 v[144:145], v[132:133], v[144:145], -v[146:147]
	scratch_load_b128 v[132:135], off, off offset:864
	v_add_f64_e32 v[146:147], v[198:199], v[196:197]
	v_add_f64_e32 v[188:189], v[188:189], v[190:191]
	s_wait_loadcnt_dscnt 0xb00
	v_mul_f64_e32 v[190:191], v[140:141], v[154:155]
	v_mul_f64_e32 v[154:155], v[142:143], v[154:155]
	v_fmac_f64_e32 v[192:193], v[6:7], v[148:149]
	v_fma_f64 v[196:197], v[4:5], v[148:149], -v[150:151]
	v_add_f64_e32 v[198:199], v[146:147], v[144:145]
	v_add_f64_e32 v[188:189], v[188:189], v[194:195]
	ds_load_b128 v[4:7], v2 offset:1664
	ds_load_b128 v[144:147], v2 offset:1680
	scratch_load_b128 v[148:151], off, off offset:880
	v_fmac_f64_e32 v[190:191], v[142:143], v[152:153]
	v_fma_f64 v[152:153], v[140:141], v[152:153], -v[154:155]
	scratch_load_b128 v[140:143], off, off offset:896
	s_wait_loadcnt_dscnt 0xc01
	v_mul_f64_e32 v[194:195], v[4:5], v[158:159]
	v_mul_f64_e32 v[158:159], v[6:7], v[158:159]
	v_add_f64_e32 v[154:155], v[198:199], v[196:197]
	v_add_f64_e32 v[188:189], v[188:189], v[192:193]
	s_wait_loadcnt_dscnt 0xb00
	v_mul_f64_e32 v[192:193], v[144:145], v[162:163]
	v_mul_f64_e32 v[162:163], v[146:147], v[162:163]
	v_fmac_f64_e32 v[194:195], v[6:7], v[156:157]
	v_fma_f64 v[196:197], v[4:5], v[156:157], -v[158:159]
	v_add_f64_e32 v[198:199], v[154:155], v[152:153]
	v_add_f64_e32 v[188:189], v[188:189], v[190:191]
	ds_load_b128 v[4:7], v2 offset:1696
	ds_load_b128 v[152:155], v2 offset:1712
	scratch_load_b128 v[156:159], off, off offset:912
	v_fmac_f64_e32 v[192:193], v[146:147], v[160:161]
	v_fma_f64 v[160:161], v[144:145], v[160:161], -v[162:163]
	scratch_load_b128 v[144:147], off, off offset:928
	s_wait_loadcnt_dscnt 0xc01
	v_mul_f64_e32 v[190:191], v[4:5], v[170:171]
	v_mul_f64_e32 v[170:171], v[6:7], v[170:171]
	v_add_f64_e32 v[162:163], v[198:199], v[196:197]
	v_add_f64_e32 v[188:189], v[188:189], v[194:195]
	s_wait_loadcnt_dscnt 0xa00
	v_mul_f64_e32 v[194:195], v[152:153], v[182:183]
	v_mul_f64_e32 v[182:183], v[154:155], v[182:183]
	v_fmac_f64_e32 v[190:191], v[6:7], v[168:169]
	v_fma_f64 v[168:169], v[4:5], v[168:169], -v[170:171]
	v_add_f64_e32 v[170:171], v[162:163], v[160:161]
	v_add_f64_e32 v[188:189], v[188:189], v[192:193]
	ds_load_b128 v[4:7], v2 offset:1728
	ds_load_b128 v[160:163], v2 offset:1744
	v_fmac_f64_e32 v[194:195], v[154:155], v[180:181]
	v_fma_f64 v[152:153], v[152:153], v[180:181], -v[182:183]
	s_wait_loadcnt_dscnt 0x901
	v_mul_f64_e32 v[192:193], v[4:5], v[186:187]
	v_mul_f64_e32 v[186:187], v[6:7], v[186:187]
	v_add_f64_e32 v[154:155], v[170:171], v[168:169]
	v_add_f64_e32 v[168:169], v[188:189], v[190:191]
	s_wait_loadcnt_dscnt 0x800
	v_mul_f64_e32 v[170:171], v[160:161], v[12:13]
	v_mul_f64_e32 v[12:13], v[162:163], v[12:13]
	v_fmac_f64_e32 v[192:193], v[6:7], v[184:185]
	v_fma_f64 v[180:181], v[4:5], v[184:185], -v[186:187]
	v_add_f64_e32 v[182:183], v[154:155], v[152:153]
	v_add_f64_e32 v[168:169], v[168:169], v[194:195]
	ds_load_b128 v[4:7], v2 offset:1760
	ds_load_b128 v[152:155], v2 offset:1776
	v_fmac_f64_e32 v[170:171], v[162:163], v[10:11]
	v_fma_f64 v[10:11], v[160:161], v[10:11], -v[12:13]
	s_wait_loadcnt_dscnt 0x701
	v_mul_f64_e32 v[184:185], v[4:5], v[174:175]
	v_mul_f64_e32 v[174:175], v[6:7], v[174:175]
	s_wait_loadcnt_dscnt 0x600
	v_mul_f64_e32 v[162:163], v[152:153], v[138:139]
	v_mul_f64_e32 v[138:139], v[154:155], v[138:139]
	v_add_f64_e32 v[12:13], v[182:183], v[180:181]
	v_add_f64_e32 v[160:161], v[168:169], v[192:193]
	v_fmac_f64_e32 v[184:185], v[6:7], v[172:173]
	v_fma_f64 v[168:169], v[4:5], v[172:173], -v[174:175]
	v_fmac_f64_e32 v[162:163], v[154:155], v[136:137]
	v_fma_f64 v[136:137], v[152:153], v[136:137], -v[138:139]
	v_add_f64_e32 v[172:173], v[12:13], v[10:11]
	v_add_f64_e32 v[160:161], v[160:161], v[170:171]
	ds_load_b128 v[4:7], v2 offset:1792
	ds_load_b128 v[10:13], v2 offset:1808
	s_wait_loadcnt_dscnt 0x501
	v_mul_f64_e32 v[170:171], v[4:5], v[166:167]
	v_mul_f64_e32 v[166:167], v[6:7], v[166:167]
	s_wait_loadcnt_dscnt 0x400
	v_mul_f64_e32 v[154:155], v[10:11], v[134:135]
	v_add_f64_e32 v[138:139], v[172:173], v[168:169]
	v_add_f64_e32 v[152:153], v[160:161], v[184:185]
	v_mul_f64_e32 v[160:161], v[12:13], v[134:135]
	v_fmac_f64_e32 v[170:171], v[6:7], v[164:165]
	v_fma_f64 v[164:165], v[4:5], v[164:165], -v[166:167]
	v_fmac_f64_e32 v[154:155], v[12:13], v[132:133]
	v_add_f64_e32 v[138:139], v[138:139], v[136:137]
	v_add_f64_e32 v[152:153], v[152:153], v[162:163]
	ds_load_b128 v[4:7], v2 offset:1824
	ds_load_b128 v[134:137], v2 offset:1840
	v_fma_f64 v[10:11], v[10:11], v[132:133], -v[160:161]
	s_wait_loadcnt_dscnt 0x301
	v_mul_f64_e32 v[162:163], v[4:5], v[150:151]
	v_mul_f64_e32 v[150:151], v[6:7], v[150:151]
	v_add_f64_e32 v[12:13], v[138:139], v[164:165]
	v_add_f64_e32 v[132:133], v[152:153], v[170:171]
	s_wait_loadcnt_dscnt 0x200
	v_mul_f64_e32 v[138:139], v[134:135], v[142:143]
	v_mul_f64_e32 v[142:143], v[136:137], v[142:143]
	v_fmac_f64_e32 v[162:163], v[6:7], v[148:149]
	v_fma_f64 v[148:149], v[4:5], v[148:149], -v[150:151]
	v_add_f64_e32 v[150:151], v[12:13], v[10:11]
	v_add_f64_e32 v[132:133], v[132:133], v[154:155]
	ds_load_b128 v[4:7], v2 offset:1856
	ds_load_b128 v[10:13], v2 offset:1872
	v_fmac_f64_e32 v[138:139], v[136:137], v[140:141]
	v_fma_f64 v[134:135], v[134:135], v[140:141], -v[142:143]
	s_wait_loadcnt_dscnt 0x101
	v_mul_f64_e32 v[2:3], v[4:5], v[158:159]
	v_mul_f64_e32 v[152:153], v[6:7], v[158:159]
	s_wait_loadcnt_dscnt 0x0
	v_mul_f64_e32 v[140:141], v[10:11], v[146:147]
	v_mul_f64_e32 v[142:143], v[12:13], v[146:147]
	v_add_f64_e32 v[136:137], v[150:151], v[148:149]
	v_add_f64_e32 v[132:133], v[132:133], v[162:163]
	v_fmac_f64_e32 v[2:3], v[6:7], v[156:157]
	v_fma_f64 v[4:5], v[4:5], v[156:157], -v[152:153]
	v_fmac_f64_e32 v[140:141], v[12:13], v[144:145]
	v_fma_f64 v[10:11], v[10:11], v[144:145], -v[142:143]
	v_add_f64_e32 v[6:7], v[136:137], v[134:135]
	v_add_f64_e32 v[132:133], v[132:133], v[138:139]
	s_delay_alu instid0(VALU_DEP_2) | instskip(NEXT) | instid1(VALU_DEP_2)
	v_add_f64_e32 v[4:5], v[6:7], v[4:5]
	v_add_f64_e32 v[2:3], v[132:133], v[2:3]
	s_delay_alu instid0(VALU_DEP_2) | instskip(NEXT) | instid1(VALU_DEP_2)
	;; [unrolled: 3-line block ×3, first 2 shown]
	v_add_f64_e64 v[2:3], v[176:177], -v[4:5]
	v_add_f64_e64 v[4:5], v[178:179], -v[6:7]
	scratch_store_b128 off, v[2:5], off offset:576
	s_wait_xcnt 0x0
	v_cmpx_lt_u32_e32 35, v1
	s_cbranch_execz .LBB58_297
; %bb.296:
	scratch_load_b128 v[2:5], off, s35
	v_mov_b32_e32 v10, 0
	s_delay_alu instid0(VALU_DEP_1)
	v_dual_mov_b32 v11, v10 :: v_dual_mov_b32 v12, v10
	v_mov_b32_e32 v13, v10
	scratch_store_b128 off, v[10:13], off offset:560
	s_wait_loadcnt 0x0
	ds_store_b128 v8, v[2:5]
.LBB58_297:
	s_wait_xcnt 0x0
	s_or_b32 exec_lo, exec_lo, s2
	s_wait_storecnt_dscnt 0x0
	s_barrier_signal -1
	s_barrier_wait -1
	s_clause 0x9
	scratch_load_b128 v[4:7], off, off offset:576
	scratch_load_b128 v[10:13], off, off offset:592
	scratch_load_b128 v[132:135], off, off offset:608
	scratch_load_b128 v[136:139], off, off offset:624
	scratch_load_b128 v[140:143], off, off offset:640
	scratch_load_b128 v[144:147], off, off offset:656
	scratch_load_b128 v[148:151], off, off offset:672
	scratch_load_b128 v[152:155], off, off offset:688
	scratch_load_b128 v[156:159], off, off offset:704
	scratch_load_b128 v[160:163], off, off offset:720
	v_mov_b32_e32 v2, 0
	s_mov_b32 s2, exec_lo
	ds_load_b128 v[164:167], v2 offset:1520
	s_clause 0x2
	scratch_load_b128 v[168:171], off, off offset:736
	scratch_load_b128 v[172:175], off, off offset:560
	;; [unrolled: 1-line block ×3, first 2 shown]
	s_wait_loadcnt_dscnt 0xc00
	v_mul_f64_e32 v[184:185], v[166:167], v[6:7]
	v_mul_f64_e32 v[188:189], v[164:165], v[6:7]
	ds_load_b128 v[176:179], v2 offset:1536
	v_fma_f64 v[192:193], v[164:165], v[4:5], -v[184:185]
	v_fmac_f64_e32 v[188:189], v[166:167], v[4:5]
	ds_load_b128 v[4:7], v2 offset:1552
	s_wait_loadcnt_dscnt 0xb01
	v_mul_f64_e32 v[190:191], v[176:177], v[12:13]
	v_mul_f64_e32 v[12:13], v[178:179], v[12:13]
	scratch_load_b128 v[164:167], off, off offset:768
	ds_load_b128 v[184:187], v2 offset:1568
	s_wait_loadcnt_dscnt 0xb01
	v_mul_f64_e32 v[194:195], v[4:5], v[134:135]
	v_mul_f64_e32 v[134:135], v[6:7], v[134:135]
	v_add_f64_e32 v[188:189], 0, v[188:189]
	v_fmac_f64_e32 v[190:191], v[178:179], v[10:11]
	v_fma_f64 v[176:177], v[176:177], v[10:11], -v[12:13]
	v_add_f64_e32 v[178:179], 0, v[192:193]
	scratch_load_b128 v[10:13], off, off offset:784
	v_fmac_f64_e32 v[194:195], v[6:7], v[132:133]
	v_fma_f64 v[196:197], v[4:5], v[132:133], -v[134:135]
	ds_load_b128 v[4:7], v2 offset:1584
	s_wait_loadcnt_dscnt 0xb01
	v_mul_f64_e32 v[192:193], v[184:185], v[138:139]
	v_mul_f64_e32 v[138:139], v[186:187], v[138:139]
	scratch_load_b128 v[132:135], off, off offset:800
	v_add_f64_e32 v[188:189], v[188:189], v[190:191]
	v_add_f64_e32 v[198:199], v[178:179], v[176:177]
	ds_load_b128 v[176:179], v2 offset:1600
	s_wait_loadcnt_dscnt 0xb01
	v_mul_f64_e32 v[190:191], v[4:5], v[142:143]
	v_mul_f64_e32 v[142:143], v[6:7], v[142:143]
	v_fmac_f64_e32 v[192:193], v[186:187], v[136:137]
	v_fma_f64 v[184:185], v[184:185], v[136:137], -v[138:139]
	scratch_load_b128 v[136:139], off, off offset:816
	v_add_f64_e32 v[188:189], v[188:189], v[194:195]
	v_add_f64_e32 v[186:187], v[198:199], v[196:197]
	v_fmac_f64_e32 v[190:191], v[6:7], v[140:141]
	v_fma_f64 v[196:197], v[4:5], v[140:141], -v[142:143]
	ds_load_b128 v[4:7], v2 offset:1616
	s_wait_loadcnt_dscnt 0xb01
	v_mul_f64_e32 v[194:195], v[176:177], v[146:147]
	v_mul_f64_e32 v[146:147], v[178:179], v[146:147]
	scratch_load_b128 v[140:143], off, off offset:832
	v_add_f64_e32 v[188:189], v[188:189], v[192:193]
	s_wait_loadcnt_dscnt 0xb00
	v_mul_f64_e32 v[192:193], v[4:5], v[150:151]
	v_add_f64_e32 v[198:199], v[186:187], v[184:185]
	v_mul_f64_e32 v[150:151], v[6:7], v[150:151]
	ds_load_b128 v[184:187], v2 offset:1632
	v_fmac_f64_e32 v[194:195], v[178:179], v[144:145]
	v_fma_f64 v[176:177], v[176:177], v[144:145], -v[146:147]
	scratch_load_b128 v[144:147], off, off offset:848
	v_add_f64_e32 v[188:189], v[188:189], v[190:191]
	v_fmac_f64_e32 v[192:193], v[6:7], v[148:149]
	v_add_f64_e32 v[178:179], v[198:199], v[196:197]
	v_fma_f64 v[196:197], v[4:5], v[148:149], -v[150:151]
	ds_load_b128 v[4:7], v2 offset:1648
	s_wait_loadcnt_dscnt 0xb01
	v_mul_f64_e32 v[190:191], v[184:185], v[154:155]
	v_mul_f64_e32 v[154:155], v[186:187], v[154:155]
	scratch_load_b128 v[148:151], off, off offset:864
	v_add_f64_e32 v[188:189], v[188:189], v[194:195]
	s_wait_loadcnt_dscnt 0xb00
	v_mul_f64_e32 v[194:195], v[4:5], v[158:159]
	v_add_f64_e32 v[198:199], v[178:179], v[176:177]
	v_mul_f64_e32 v[158:159], v[6:7], v[158:159]
	ds_load_b128 v[176:179], v2 offset:1664
	v_fmac_f64_e32 v[190:191], v[186:187], v[152:153]
	v_fma_f64 v[184:185], v[184:185], v[152:153], -v[154:155]
	scratch_load_b128 v[152:155], off, off offset:880
	v_add_f64_e32 v[188:189], v[188:189], v[192:193]
	v_fmac_f64_e32 v[194:195], v[6:7], v[156:157]
	v_add_f64_e32 v[186:187], v[198:199], v[196:197]
	;; [unrolled: 18-line block ×3, first 2 shown]
	v_fma_f64 v[196:197], v[4:5], v[168:169], -v[170:171]
	ds_load_b128 v[4:7], v2 offset:1712
	s_wait_loadcnt_dscnt 0xa01
	v_mul_f64_e32 v[194:195], v[184:185], v[182:183]
	v_mul_f64_e32 v[182:183], v[186:187], v[182:183]
	scratch_load_b128 v[168:171], off, off offset:928
	v_add_f64_e32 v[188:189], v[188:189], v[192:193]
	v_add_f64_e32 v[198:199], v[178:179], v[176:177]
	s_wait_loadcnt_dscnt 0xa00
	v_mul_f64_e32 v[192:193], v[4:5], v[166:167]
	v_mul_f64_e32 v[166:167], v[6:7], v[166:167]
	v_fmac_f64_e32 v[194:195], v[186:187], v[180:181]
	v_fma_f64 v[180:181], v[184:185], v[180:181], -v[182:183]
	ds_load_b128 v[176:179], v2 offset:1728
	v_add_f64_e32 v[184:185], v[188:189], v[190:191]
	v_add_f64_e32 v[182:183], v[198:199], v[196:197]
	s_wait_loadcnt_dscnt 0x900
	v_mul_f64_e32 v[186:187], v[176:177], v[12:13]
	v_mul_f64_e32 v[12:13], v[178:179], v[12:13]
	v_fmac_f64_e32 v[192:193], v[6:7], v[164:165]
	v_fma_f64 v[188:189], v[4:5], v[164:165], -v[166:167]
	ds_load_b128 v[4:7], v2 offset:1744
	ds_load_b128 v[164:167], v2 offset:1760
	v_add_f64_e32 v[180:181], v[182:183], v[180:181]
	v_add_f64_e32 v[182:183], v[184:185], v[194:195]
	s_wait_loadcnt_dscnt 0x801
	v_mul_f64_e32 v[184:185], v[4:5], v[134:135]
	v_mul_f64_e32 v[134:135], v[6:7], v[134:135]
	v_fmac_f64_e32 v[186:187], v[178:179], v[10:11]
	v_fma_f64 v[10:11], v[176:177], v[10:11], -v[12:13]
	s_wait_loadcnt_dscnt 0x700
	v_mul_f64_e32 v[178:179], v[164:165], v[138:139]
	v_mul_f64_e32 v[138:139], v[166:167], v[138:139]
	v_add_f64_e32 v[12:13], v[180:181], v[188:189]
	v_add_f64_e32 v[176:177], v[182:183], v[192:193]
	v_fmac_f64_e32 v[184:185], v[6:7], v[132:133]
	v_fma_f64 v[132:133], v[4:5], v[132:133], -v[134:135]
	v_fmac_f64_e32 v[178:179], v[166:167], v[136:137]
	v_fma_f64 v[136:137], v[164:165], v[136:137], -v[138:139]
	v_add_f64_e32 v[134:135], v[12:13], v[10:11]
	v_add_f64_e32 v[176:177], v[176:177], v[186:187]
	ds_load_b128 v[4:7], v2 offset:1776
	ds_load_b128 v[10:13], v2 offset:1792
	s_wait_loadcnt_dscnt 0x601
	v_mul_f64_e32 v[180:181], v[4:5], v[142:143]
	v_mul_f64_e32 v[142:143], v[6:7], v[142:143]
	s_wait_loadcnt_dscnt 0x500
	v_mul_f64_e32 v[138:139], v[10:11], v[146:147]
	v_mul_f64_e32 v[146:147], v[12:13], v[146:147]
	v_add_f64_e32 v[132:133], v[134:135], v[132:133]
	v_add_f64_e32 v[134:135], v[176:177], v[184:185]
	v_fmac_f64_e32 v[180:181], v[6:7], v[140:141]
	v_fma_f64 v[140:141], v[4:5], v[140:141], -v[142:143]
	v_fmac_f64_e32 v[138:139], v[12:13], v[144:145]
	v_fma_f64 v[10:11], v[10:11], v[144:145], -v[146:147]
	v_add_f64_e32 v[136:137], v[132:133], v[136:137]
	v_add_f64_e32 v[142:143], v[134:135], v[178:179]
	ds_load_b128 v[4:7], v2 offset:1808
	ds_load_b128 v[132:135], v2 offset:1824
	s_wait_loadcnt_dscnt 0x401
	v_mul_f64_e32 v[164:165], v[4:5], v[150:151]
	v_mul_f64_e32 v[150:151], v[6:7], v[150:151]
	v_add_f64_e32 v[12:13], v[136:137], v[140:141]
	v_add_f64_e32 v[136:137], v[142:143], v[180:181]
	s_wait_loadcnt_dscnt 0x300
	v_mul_f64_e32 v[140:141], v[132:133], v[154:155]
	v_mul_f64_e32 v[142:143], v[134:135], v[154:155]
	v_fmac_f64_e32 v[164:165], v[6:7], v[148:149]
	v_fma_f64 v[144:145], v[4:5], v[148:149], -v[150:151]
	v_add_f64_e32 v[146:147], v[12:13], v[10:11]
	v_add_f64_e32 v[136:137], v[136:137], v[138:139]
	ds_load_b128 v[4:7], v2 offset:1840
	ds_load_b128 v[10:13], v2 offset:1856
	v_fmac_f64_e32 v[140:141], v[134:135], v[152:153]
	v_fma_f64 v[132:133], v[132:133], v[152:153], -v[142:143]
	s_wait_loadcnt_dscnt 0x201
	v_mul_f64_e32 v[138:139], v[4:5], v[158:159]
	v_mul_f64_e32 v[148:149], v[6:7], v[158:159]
	s_wait_loadcnt_dscnt 0x100
	v_mul_f64_e32 v[142:143], v[10:11], v[162:163]
	v_add_f64_e32 v[134:135], v[146:147], v[144:145]
	v_add_f64_e32 v[136:137], v[136:137], v[164:165]
	v_mul_f64_e32 v[144:145], v[12:13], v[162:163]
	v_fmac_f64_e32 v[138:139], v[6:7], v[156:157]
	v_fma_f64 v[146:147], v[4:5], v[156:157], -v[148:149]
	ds_load_b128 v[4:7], v2 offset:1872
	v_fmac_f64_e32 v[142:143], v[12:13], v[160:161]
	v_add_f64_e32 v[132:133], v[134:135], v[132:133]
	v_add_f64_e32 v[134:135], v[136:137], v[140:141]
	v_fma_f64 v[10:11], v[10:11], v[160:161], -v[144:145]
	s_wait_loadcnt_dscnt 0x0
	v_mul_f64_e32 v[136:137], v[4:5], v[170:171]
	v_mul_f64_e32 v[140:141], v[6:7], v[170:171]
	v_add_f64_e32 v[12:13], v[132:133], v[146:147]
	v_add_f64_e32 v[132:133], v[134:135], v[138:139]
	s_delay_alu instid0(VALU_DEP_4) | instskip(NEXT) | instid1(VALU_DEP_4)
	v_fmac_f64_e32 v[136:137], v[6:7], v[168:169]
	v_fma_f64 v[4:5], v[4:5], v[168:169], -v[140:141]
	s_delay_alu instid0(VALU_DEP_4) | instskip(NEXT) | instid1(VALU_DEP_4)
	v_add_f64_e32 v[6:7], v[12:13], v[10:11]
	v_add_f64_e32 v[10:11], v[132:133], v[142:143]
	s_delay_alu instid0(VALU_DEP_2) | instskip(NEXT) | instid1(VALU_DEP_2)
	v_add_f64_e32 v[4:5], v[6:7], v[4:5]
	v_add_f64_e32 v[6:7], v[10:11], v[136:137]
	s_delay_alu instid0(VALU_DEP_2) | instskip(NEXT) | instid1(VALU_DEP_2)
	v_add_f64_e64 v[4:5], v[172:173], -v[4:5]
	v_add_f64_e64 v[6:7], v[174:175], -v[6:7]
	scratch_store_b128 off, v[4:7], off offset:560
	s_wait_xcnt 0x0
	v_cmpx_lt_u32_e32 34, v1
	s_cbranch_execz .LBB58_299
; %bb.298:
	scratch_load_b128 v[10:13], off, s38
	v_dual_mov_b32 v3, v2 :: v_dual_mov_b32 v4, v2
	v_mov_b32_e32 v5, v2
	scratch_store_b128 off, v[2:5], off offset:544
	s_wait_loadcnt 0x0
	ds_store_b128 v8, v[10:13]
.LBB58_299:
	s_wait_xcnt 0x0
	s_or_b32 exec_lo, exec_lo, s2
	s_wait_storecnt_dscnt 0x0
	s_barrier_signal -1
	s_barrier_wait -1
	s_clause 0x9
	scratch_load_b128 v[4:7], off, off offset:560
	scratch_load_b128 v[10:13], off, off offset:576
	scratch_load_b128 v[132:135], off, off offset:592
	scratch_load_b128 v[136:139], off, off offset:608
	scratch_load_b128 v[140:143], off, off offset:624
	scratch_load_b128 v[144:147], off, off offset:640
	scratch_load_b128 v[148:151], off, off offset:656
	scratch_load_b128 v[152:155], off, off offset:672
	scratch_load_b128 v[156:159], off, off offset:688
	scratch_load_b128 v[160:163], off, off offset:704
	ds_load_b128 v[164:167], v2 offset:1504
	ds_load_b128 v[172:175], v2 offset:1520
	s_clause 0x2
	scratch_load_b128 v[168:171], off, off offset:720
	scratch_load_b128 v[176:179], off, off offset:544
	;; [unrolled: 1-line block ×3, first 2 shown]
	s_mov_b32 s2, exec_lo
	s_wait_loadcnt_dscnt 0xc01
	v_mul_f64_e32 v[184:185], v[166:167], v[6:7]
	v_mul_f64_e32 v[188:189], v[164:165], v[6:7]
	s_wait_loadcnt_dscnt 0xb00
	v_mul_f64_e32 v[190:191], v[172:173], v[12:13]
	v_mul_f64_e32 v[12:13], v[174:175], v[12:13]
	s_delay_alu instid0(VALU_DEP_4) | instskip(NEXT) | instid1(VALU_DEP_4)
	v_fma_f64 v[192:193], v[164:165], v[4:5], -v[184:185]
	v_fmac_f64_e32 v[188:189], v[166:167], v[4:5]
	ds_load_b128 v[4:7], v2 offset:1536
	ds_load_b128 v[164:167], v2 offset:1552
	scratch_load_b128 v[184:187], off, off offset:752
	v_fmac_f64_e32 v[190:191], v[174:175], v[10:11]
	v_fma_f64 v[172:173], v[172:173], v[10:11], -v[12:13]
	scratch_load_b128 v[10:13], off, off offset:768
	s_wait_loadcnt_dscnt 0xc01
	v_mul_f64_e32 v[194:195], v[4:5], v[134:135]
	v_mul_f64_e32 v[134:135], v[6:7], v[134:135]
	v_add_f64_e32 v[174:175], 0, v[192:193]
	v_add_f64_e32 v[188:189], 0, v[188:189]
	s_wait_loadcnt_dscnt 0xb00
	v_mul_f64_e32 v[192:193], v[164:165], v[138:139]
	v_mul_f64_e32 v[138:139], v[166:167], v[138:139]
	v_fmac_f64_e32 v[194:195], v[6:7], v[132:133]
	v_fma_f64 v[196:197], v[4:5], v[132:133], -v[134:135]
	ds_load_b128 v[4:7], v2 offset:1568
	ds_load_b128 v[132:135], v2 offset:1584
	v_add_f64_e32 v[198:199], v[174:175], v[172:173]
	v_add_f64_e32 v[188:189], v[188:189], v[190:191]
	scratch_load_b128 v[172:175], off, off offset:784
	v_fmac_f64_e32 v[192:193], v[166:167], v[136:137]
	v_fma_f64 v[164:165], v[164:165], v[136:137], -v[138:139]
	scratch_load_b128 v[136:139], off, off offset:800
	s_wait_loadcnt_dscnt 0xc01
	v_mul_f64_e32 v[190:191], v[4:5], v[142:143]
	v_mul_f64_e32 v[142:143], v[6:7], v[142:143]
	v_add_f64_e32 v[166:167], v[198:199], v[196:197]
	v_add_f64_e32 v[188:189], v[188:189], v[194:195]
	s_wait_loadcnt_dscnt 0xb00
	v_mul_f64_e32 v[194:195], v[132:133], v[146:147]
	v_mul_f64_e32 v[146:147], v[134:135], v[146:147]
	v_fmac_f64_e32 v[190:191], v[6:7], v[140:141]
	v_fma_f64 v[196:197], v[4:5], v[140:141], -v[142:143]
	ds_load_b128 v[4:7], v2 offset:1600
	ds_load_b128 v[140:143], v2 offset:1616
	v_add_f64_e32 v[198:199], v[166:167], v[164:165]
	v_add_f64_e32 v[188:189], v[188:189], v[192:193]
	scratch_load_b128 v[164:167], off, off offset:816
	s_wait_loadcnt_dscnt 0xb01
	v_mul_f64_e32 v[192:193], v[4:5], v[150:151]
	v_mul_f64_e32 v[150:151], v[6:7], v[150:151]
	v_fmac_f64_e32 v[194:195], v[134:135], v[144:145]
	v_fma_f64 v[144:145], v[132:133], v[144:145], -v[146:147]
	scratch_load_b128 v[132:135], off, off offset:832
	v_add_f64_e32 v[146:147], v[198:199], v[196:197]
	v_add_f64_e32 v[188:189], v[188:189], v[190:191]
	s_wait_loadcnt_dscnt 0xb00
	v_mul_f64_e32 v[190:191], v[140:141], v[154:155]
	v_mul_f64_e32 v[154:155], v[142:143], v[154:155]
	v_fmac_f64_e32 v[192:193], v[6:7], v[148:149]
	v_fma_f64 v[196:197], v[4:5], v[148:149], -v[150:151]
	v_add_f64_e32 v[198:199], v[146:147], v[144:145]
	v_add_f64_e32 v[188:189], v[188:189], v[194:195]
	ds_load_b128 v[4:7], v2 offset:1632
	ds_load_b128 v[144:147], v2 offset:1648
	scratch_load_b128 v[148:151], off, off offset:848
	v_fmac_f64_e32 v[190:191], v[142:143], v[152:153]
	v_fma_f64 v[152:153], v[140:141], v[152:153], -v[154:155]
	scratch_load_b128 v[140:143], off, off offset:864
	s_wait_loadcnt_dscnt 0xc01
	v_mul_f64_e32 v[194:195], v[4:5], v[158:159]
	v_mul_f64_e32 v[158:159], v[6:7], v[158:159]
	v_add_f64_e32 v[154:155], v[198:199], v[196:197]
	v_add_f64_e32 v[188:189], v[188:189], v[192:193]
	s_wait_loadcnt_dscnt 0xb00
	v_mul_f64_e32 v[192:193], v[144:145], v[162:163]
	v_mul_f64_e32 v[162:163], v[146:147], v[162:163]
	v_fmac_f64_e32 v[194:195], v[6:7], v[156:157]
	v_fma_f64 v[196:197], v[4:5], v[156:157], -v[158:159]
	v_add_f64_e32 v[198:199], v[154:155], v[152:153]
	v_add_f64_e32 v[188:189], v[188:189], v[190:191]
	ds_load_b128 v[4:7], v2 offset:1664
	ds_load_b128 v[152:155], v2 offset:1680
	scratch_load_b128 v[156:159], off, off offset:880
	v_fmac_f64_e32 v[192:193], v[146:147], v[160:161]
	v_fma_f64 v[160:161], v[144:145], v[160:161], -v[162:163]
	scratch_load_b128 v[144:147], off, off offset:896
	s_wait_loadcnt_dscnt 0xc01
	v_mul_f64_e32 v[190:191], v[4:5], v[170:171]
	v_mul_f64_e32 v[170:171], v[6:7], v[170:171]
	;; [unrolled: 18-line block ×3, first 2 shown]
	v_add_f64_e32 v[182:183], v[198:199], v[196:197]
	v_add_f64_e32 v[188:189], v[188:189], v[190:191]
	s_wait_loadcnt_dscnt 0xa00
	v_mul_f64_e32 v[190:191], v[160:161], v[12:13]
	v_mul_f64_e32 v[12:13], v[162:163], v[12:13]
	v_fmac_f64_e32 v[192:193], v[6:7], v[184:185]
	v_fma_f64 v[184:185], v[4:5], v[184:185], -v[186:187]
	v_add_f64_e32 v[186:187], v[182:183], v[180:181]
	v_add_f64_e32 v[188:189], v[188:189], v[194:195]
	ds_load_b128 v[4:7], v2 offset:1728
	ds_load_b128 v[180:183], v2 offset:1744
	v_fmac_f64_e32 v[190:191], v[162:163], v[10:11]
	v_fma_f64 v[10:11], v[160:161], v[10:11], -v[12:13]
	s_wait_loadcnt_dscnt 0x901
	v_mul_f64_e32 v[194:195], v[4:5], v[174:175]
	v_mul_f64_e32 v[174:175], v[6:7], v[174:175]
	s_wait_loadcnt_dscnt 0x800
	v_mul_f64_e32 v[162:163], v[180:181], v[138:139]
	v_mul_f64_e32 v[138:139], v[182:183], v[138:139]
	v_add_f64_e32 v[12:13], v[186:187], v[184:185]
	v_add_f64_e32 v[160:161], v[188:189], v[192:193]
	v_fmac_f64_e32 v[194:195], v[6:7], v[172:173]
	v_fma_f64 v[172:173], v[4:5], v[172:173], -v[174:175]
	v_fmac_f64_e32 v[162:163], v[182:183], v[136:137]
	v_fma_f64 v[136:137], v[180:181], v[136:137], -v[138:139]
	v_add_f64_e32 v[174:175], v[12:13], v[10:11]
	v_add_f64_e32 v[160:161], v[160:161], v[190:191]
	ds_load_b128 v[4:7], v2 offset:1760
	ds_load_b128 v[10:13], v2 offset:1776
	s_wait_loadcnt_dscnt 0x701
	v_mul_f64_e32 v[184:185], v[4:5], v[166:167]
	v_mul_f64_e32 v[166:167], v[6:7], v[166:167]
	v_add_f64_e32 v[138:139], v[174:175], v[172:173]
	v_add_f64_e32 v[160:161], v[160:161], v[194:195]
	s_wait_loadcnt_dscnt 0x600
	v_mul_f64_e32 v[172:173], v[10:11], v[134:135]
	v_mul_f64_e32 v[174:175], v[12:13], v[134:135]
	v_fmac_f64_e32 v[184:185], v[6:7], v[164:165]
	v_fma_f64 v[164:165], v[4:5], v[164:165], -v[166:167]
	v_add_f64_e32 v[138:139], v[138:139], v[136:137]
	v_add_f64_e32 v[160:161], v[160:161], v[162:163]
	ds_load_b128 v[4:7], v2 offset:1792
	ds_load_b128 v[134:137], v2 offset:1808
	v_fmac_f64_e32 v[172:173], v[12:13], v[132:133]
	v_fma_f64 v[10:11], v[10:11], v[132:133], -v[174:175]
	s_wait_loadcnt_dscnt 0x501
	v_mul_f64_e32 v[162:163], v[4:5], v[150:151]
	v_mul_f64_e32 v[150:151], v[6:7], v[150:151]
	v_add_f64_e32 v[12:13], v[138:139], v[164:165]
	v_add_f64_e32 v[132:133], v[160:161], v[184:185]
	s_wait_loadcnt_dscnt 0x400
	v_mul_f64_e32 v[138:139], v[134:135], v[142:143]
	v_mul_f64_e32 v[142:143], v[136:137], v[142:143]
	v_fmac_f64_e32 v[162:163], v[6:7], v[148:149]
	v_fma_f64 v[148:149], v[4:5], v[148:149], -v[150:151]
	v_add_f64_e32 v[150:151], v[12:13], v[10:11]
	v_add_f64_e32 v[132:133], v[132:133], v[172:173]
	ds_load_b128 v[4:7], v2 offset:1824
	ds_load_b128 v[10:13], v2 offset:1840
	v_fmac_f64_e32 v[138:139], v[136:137], v[140:141]
	v_fma_f64 v[134:135], v[134:135], v[140:141], -v[142:143]
	s_wait_loadcnt_dscnt 0x301
	v_mul_f64_e32 v[160:161], v[4:5], v[158:159]
	v_mul_f64_e32 v[158:159], v[6:7], v[158:159]
	s_wait_loadcnt_dscnt 0x200
	v_mul_f64_e32 v[140:141], v[10:11], v[146:147]
	v_mul_f64_e32 v[142:143], v[12:13], v[146:147]
	v_add_f64_e32 v[136:137], v[150:151], v[148:149]
	v_add_f64_e32 v[132:133], v[132:133], v[162:163]
	v_fmac_f64_e32 v[160:161], v[6:7], v[156:157]
	v_fma_f64 v[146:147], v[4:5], v[156:157], -v[158:159]
	v_fmac_f64_e32 v[140:141], v[12:13], v[144:145]
	v_fma_f64 v[10:11], v[10:11], v[144:145], -v[142:143]
	v_add_f64_e32 v[136:137], v[136:137], v[134:135]
	v_add_f64_e32 v[138:139], v[132:133], v[138:139]
	ds_load_b128 v[4:7], v2 offset:1856
	ds_load_b128 v[132:135], v2 offset:1872
	s_wait_loadcnt_dscnt 0x101
	v_mul_f64_e32 v[2:3], v[4:5], v[170:171]
	v_mul_f64_e32 v[148:149], v[6:7], v[170:171]
	s_wait_loadcnt_dscnt 0x0
	v_mul_f64_e32 v[142:143], v[134:135], v[154:155]
	v_add_f64_e32 v[12:13], v[136:137], v[146:147]
	v_add_f64_e32 v[136:137], v[138:139], v[160:161]
	v_mul_f64_e32 v[138:139], v[132:133], v[154:155]
	v_fmac_f64_e32 v[2:3], v[6:7], v[168:169]
	v_fma_f64 v[4:5], v[4:5], v[168:169], -v[148:149]
	v_add_f64_e32 v[6:7], v[12:13], v[10:11]
	v_add_f64_e32 v[10:11], v[136:137], v[140:141]
	v_fmac_f64_e32 v[138:139], v[134:135], v[152:153]
	v_fma_f64 v[12:13], v[132:133], v[152:153], -v[142:143]
	s_delay_alu instid0(VALU_DEP_4) | instskip(NEXT) | instid1(VALU_DEP_4)
	v_add_f64_e32 v[4:5], v[6:7], v[4:5]
	v_add_f64_e32 v[2:3], v[10:11], v[2:3]
	s_delay_alu instid0(VALU_DEP_2) | instskip(NEXT) | instid1(VALU_DEP_2)
	v_add_f64_e32 v[4:5], v[4:5], v[12:13]
	v_add_f64_e32 v[6:7], v[2:3], v[138:139]
	s_delay_alu instid0(VALU_DEP_2) | instskip(NEXT) | instid1(VALU_DEP_2)
	v_add_f64_e64 v[2:3], v[176:177], -v[4:5]
	v_add_f64_e64 v[4:5], v[178:179], -v[6:7]
	scratch_store_b128 off, v[2:5], off offset:544
	s_wait_xcnt 0x0
	v_cmpx_lt_u32_e32 33, v1
	s_cbranch_execz .LBB58_301
; %bb.300:
	scratch_load_b128 v[2:5], off, s37
	v_mov_b32_e32 v10, 0
	s_delay_alu instid0(VALU_DEP_1)
	v_dual_mov_b32 v11, v10 :: v_dual_mov_b32 v12, v10
	v_mov_b32_e32 v13, v10
	scratch_store_b128 off, v[10:13], off offset:528
	s_wait_loadcnt 0x0
	ds_store_b128 v8, v[2:5]
.LBB58_301:
	s_wait_xcnt 0x0
	s_or_b32 exec_lo, exec_lo, s2
	s_wait_storecnt_dscnt 0x0
	s_barrier_signal -1
	s_barrier_wait -1
	s_clause 0x9
	scratch_load_b128 v[4:7], off, off offset:544
	scratch_load_b128 v[10:13], off, off offset:560
	;; [unrolled: 1-line block ×10, first 2 shown]
	v_mov_b32_e32 v2, 0
	s_mov_b32 s2, exec_lo
	ds_load_b128 v[164:167], v2 offset:1488
	s_clause 0x2
	scratch_load_b128 v[168:171], off, off offset:704
	scratch_load_b128 v[172:175], off, off offset:528
	;; [unrolled: 1-line block ×3, first 2 shown]
	s_wait_loadcnt_dscnt 0xc00
	v_mul_f64_e32 v[184:185], v[166:167], v[6:7]
	v_mul_f64_e32 v[188:189], v[164:165], v[6:7]
	ds_load_b128 v[176:179], v2 offset:1504
	v_fma_f64 v[192:193], v[164:165], v[4:5], -v[184:185]
	v_fmac_f64_e32 v[188:189], v[166:167], v[4:5]
	ds_load_b128 v[4:7], v2 offset:1520
	s_wait_loadcnt_dscnt 0xb01
	v_mul_f64_e32 v[190:191], v[176:177], v[12:13]
	v_mul_f64_e32 v[12:13], v[178:179], v[12:13]
	scratch_load_b128 v[164:167], off, off offset:736
	ds_load_b128 v[184:187], v2 offset:1536
	s_wait_loadcnt_dscnt 0xb01
	v_mul_f64_e32 v[194:195], v[4:5], v[134:135]
	v_mul_f64_e32 v[134:135], v[6:7], v[134:135]
	v_add_f64_e32 v[188:189], 0, v[188:189]
	v_fmac_f64_e32 v[190:191], v[178:179], v[10:11]
	v_fma_f64 v[176:177], v[176:177], v[10:11], -v[12:13]
	v_add_f64_e32 v[178:179], 0, v[192:193]
	scratch_load_b128 v[10:13], off, off offset:752
	v_fmac_f64_e32 v[194:195], v[6:7], v[132:133]
	v_fma_f64 v[196:197], v[4:5], v[132:133], -v[134:135]
	ds_load_b128 v[4:7], v2 offset:1552
	s_wait_loadcnt_dscnt 0xb01
	v_mul_f64_e32 v[192:193], v[184:185], v[138:139]
	v_mul_f64_e32 v[138:139], v[186:187], v[138:139]
	scratch_load_b128 v[132:135], off, off offset:768
	v_add_f64_e32 v[188:189], v[188:189], v[190:191]
	v_add_f64_e32 v[198:199], v[178:179], v[176:177]
	ds_load_b128 v[176:179], v2 offset:1568
	s_wait_loadcnt_dscnt 0xb01
	v_mul_f64_e32 v[190:191], v[4:5], v[142:143]
	v_mul_f64_e32 v[142:143], v[6:7], v[142:143]
	v_fmac_f64_e32 v[192:193], v[186:187], v[136:137]
	v_fma_f64 v[184:185], v[184:185], v[136:137], -v[138:139]
	scratch_load_b128 v[136:139], off, off offset:784
	v_add_f64_e32 v[188:189], v[188:189], v[194:195]
	v_add_f64_e32 v[186:187], v[198:199], v[196:197]
	v_fmac_f64_e32 v[190:191], v[6:7], v[140:141]
	v_fma_f64 v[196:197], v[4:5], v[140:141], -v[142:143]
	ds_load_b128 v[4:7], v2 offset:1584
	s_wait_loadcnt_dscnt 0xb01
	v_mul_f64_e32 v[194:195], v[176:177], v[146:147]
	v_mul_f64_e32 v[146:147], v[178:179], v[146:147]
	scratch_load_b128 v[140:143], off, off offset:800
	v_add_f64_e32 v[188:189], v[188:189], v[192:193]
	s_wait_loadcnt_dscnt 0xb00
	v_mul_f64_e32 v[192:193], v[4:5], v[150:151]
	v_add_f64_e32 v[198:199], v[186:187], v[184:185]
	v_mul_f64_e32 v[150:151], v[6:7], v[150:151]
	ds_load_b128 v[184:187], v2 offset:1600
	v_fmac_f64_e32 v[194:195], v[178:179], v[144:145]
	v_fma_f64 v[176:177], v[176:177], v[144:145], -v[146:147]
	scratch_load_b128 v[144:147], off, off offset:816
	v_add_f64_e32 v[188:189], v[188:189], v[190:191]
	v_fmac_f64_e32 v[192:193], v[6:7], v[148:149]
	v_add_f64_e32 v[178:179], v[198:199], v[196:197]
	v_fma_f64 v[196:197], v[4:5], v[148:149], -v[150:151]
	ds_load_b128 v[4:7], v2 offset:1616
	s_wait_loadcnt_dscnt 0xb01
	v_mul_f64_e32 v[190:191], v[184:185], v[154:155]
	v_mul_f64_e32 v[154:155], v[186:187], v[154:155]
	scratch_load_b128 v[148:151], off, off offset:832
	v_add_f64_e32 v[188:189], v[188:189], v[194:195]
	s_wait_loadcnt_dscnt 0xb00
	v_mul_f64_e32 v[194:195], v[4:5], v[158:159]
	v_add_f64_e32 v[198:199], v[178:179], v[176:177]
	v_mul_f64_e32 v[158:159], v[6:7], v[158:159]
	ds_load_b128 v[176:179], v2 offset:1632
	v_fmac_f64_e32 v[190:191], v[186:187], v[152:153]
	v_fma_f64 v[184:185], v[184:185], v[152:153], -v[154:155]
	scratch_load_b128 v[152:155], off, off offset:848
	v_add_f64_e32 v[188:189], v[188:189], v[192:193]
	v_fmac_f64_e32 v[194:195], v[6:7], v[156:157]
	v_add_f64_e32 v[186:187], v[198:199], v[196:197]
	v_fma_f64 v[196:197], v[4:5], v[156:157], -v[158:159]
	ds_load_b128 v[4:7], v2 offset:1648
	s_wait_loadcnt_dscnt 0xb01
	v_mul_f64_e32 v[192:193], v[176:177], v[162:163]
	v_mul_f64_e32 v[162:163], v[178:179], v[162:163]
	scratch_load_b128 v[156:159], off, off offset:864
	v_add_f64_e32 v[188:189], v[188:189], v[190:191]
	s_wait_loadcnt_dscnt 0xb00
	v_mul_f64_e32 v[190:191], v[4:5], v[170:171]
	v_add_f64_e32 v[198:199], v[186:187], v[184:185]
	v_mul_f64_e32 v[170:171], v[6:7], v[170:171]
	ds_load_b128 v[184:187], v2 offset:1664
	v_fmac_f64_e32 v[192:193], v[178:179], v[160:161]
	v_fma_f64 v[176:177], v[176:177], v[160:161], -v[162:163]
	scratch_load_b128 v[160:163], off, off offset:880
	v_add_f64_e32 v[188:189], v[188:189], v[194:195]
	v_fmac_f64_e32 v[190:191], v[6:7], v[168:169]
	v_add_f64_e32 v[178:179], v[198:199], v[196:197]
	v_fma_f64 v[196:197], v[4:5], v[168:169], -v[170:171]
	ds_load_b128 v[4:7], v2 offset:1680
	s_wait_loadcnt_dscnt 0xa01
	v_mul_f64_e32 v[194:195], v[184:185], v[182:183]
	v_mul_f64_e32 v[182:183], v[186:187], v[182:183]
	scratch_load_b128 v[168:171], off, off offset:896
	v_add_f64_e32 v[188:189], v[188:189], v[192:193]
	v_add_f64_e32 v[198:199], v[178:179], v[176:177]
	s_wait_loadcnt_dscnt 0xa00
	v_mul_f64_e32 v[192:193], v[4:5], v[166:167]
	v_mul_f64_e32 v[166:167], v[6:7], v[166:167]
	v_fmac_f64_e32 v[194:195], v[186:187], v[180:181]
	v_fma_f64 v[184:185], v[184:185], v[180:181], -v[182:183]
	ds_load_b128 v[176:179], v2 offset:1696
	scratch_load_b128 v[180:183], off, off offset:912
	v_add_f64_e32 v[188:189], v[188:189], v[190:191]
	v_add_f64_e32 v[186:187], v[198:199], v[196:197]
	v_fmac_f64_e32 v[192:193], v[6:7], v[164:165]
	v_fma_f64 v[196:197], v[4:5], v[164:165], -v[166:167]
	ds_load_b128 v[4:7], v2 offset:1712
	s_wait_loadcnt_dscnt 0xa01
	v_mul_f64_e32 v[190:191], v[176:177], v[12:13]
	v_mul_f64_e32 v[12:13], v[178:179], v[12:13]
	scratch_load_b128 v[164:167], off, off offset:928
	v_add_f64_e32 v[188:189], v[188:189], v[194:195]
	s_wait_loadcnt_dscnt 0xa00
	v_mul_f64_e32 v[194:195], v[4:5], v[134:135]
	v_add_f64_e32 v[198:199], v[186:187], v[184:185]
	v_mul_f64_e32 v[134:135], v[6:7], v[134:135]
	ds_load_b128 v[184:187], v2 offset:1728
	v_fmac_f64_e32 v[190:191], v[178:179], v[10:11]
	v_fma_f64 v[10:11], v[176:177], v[10:11], -v[12:13]
	s_wait_loadcnt_dscnt 0x900
	v_mul_f64_e32 v[178:179], v[184:185], v[138:139]
	v_mul_f64_e32 v[138:139], v[186:187], v[138:139]
	v_add_f64_e32 v[176:177], v[188:189], v[192:193]
	v_fmac_f64_e32 v[194:195], v[6:7], v[132:133]
	v_add_f64_e32 v[12:13], v[198:199], v[196:197]
	v_fma_f64 v[132:133], v[4:5], v[132:133], -v[134:135]
	v_fmac_f64_e32 v[178:179], v[186:187], v[136:137]
	v_fma_f64 v[136:137], v[184:185], v[136:137], -v[138:139]
	v_add_f64_e32 v[176:177], v[176:177], v[190:191]
	v_add_f64_e32 v[134:135], v[12:13], v[10:11]
	ds_load_b128 v[4:7], v2 offset:1744
	ds_load_b128 v[10:13], v2 offset:1760
	s_wait_loadcnt_dscnt 0x801
	v_mul_f64_e32 v[188:189], v[4:5], v[142:143]
	v_mul_f64_e32 v[142:143], v[6:7], v[142:143]
	s_wait_loadcnt_dscnt 0x700
	v_mul_f64_e32 v[138:139], v[10:11], v[146:147]
	v_mul_f64_e32 v[146:147], v[12:13], v[146:147]
	v_add_f64_e32 v[132:133], v[134:135], v[132:133]
	v_add_f64_e32 v[134:135], v[176:177], v[194:195]
	v_fmac_f64_e32 v[188:189], v[6:7], v[140:141]
	v_fma_f64 v[140:141], v[4:5], v[140:141], -v[142:143]
	v_fmac_f64_e32 v[138:139], v[12:13], v[144:145]
	v_fma_f64 v[10:11], v[10:11], v[144:145], -v[146:147]
	v_add_f64_e32 v[136:137], v[132:133], v[136:137]
	v_add_f64_e32 v[142:143], v[134:135], v[178:179]
	ds_load_b128 v[4:7], v2 offset:1776
	ds_load_b128 v[132:135], v2 offset:1792
	s_wait_loadcnt_dscnt 0x601
	v_mul_f64_e32 v[176:177], v[4:5], v[150:151]
	v_mul_f64_e32 v[150:151], v[6:7], v[150:151]
	v_add_f64_e32 v[12:13], v[136:137], v[140:141]
	v_add_f64_e32 v[136:137], v[142:143], v[188:189]
	s_wait_loadcnt_dscnt 0x500
	v_mul_f64_e32 v[140:141], v[132:133], v[154:155]
	v_mul_f64_e32 v[142:143], v[134:135], v[154:155]
	v_fmac_f64_e32 v[176:177], v[6:7], v[148:149]
	v_fma_f64 v[144:145], v[4:5], v[148:149], -v[150:151]
	v_add_f64_e32 v[146:147], v[12:13], v[10:11]
	v_add_f64_e32 v[136:137], v[136:137], v[138:139]
	ds_load_b128 v[4:7], v2 offset:1808
	ds_load_b128 v[10:13], v2 offset:1824
	v_fmac_f64_e32 v[140:141], v[134:135], v[152:153]
	v_fma_f64 v[132:133], v[132:133], v[152:153], -v[142:143]
	s_wait_loadcnt_dscnt 0x401
	v_mul_f64_e32 v[138:139], v[4:5], v[158:159]
	v_mul_f64_e32 v[148:149], v[6:7], v[158:159]
	s_wait_loadcnt_dscnt 0x300
	v_mul_f64_e32 v[142:143], v[10:11], v[162:163]
	v_add_f64_e32 v[134:135], v[146:147], v[144:145]
	v_add_f64_e32 v[136:137], v[136:137], v[176:177]
	v_mul_f64_e32 v[144:145], v[12:13], v[162:163]
	v_fmac_f64_e32 v[138:139], v[6:7], v[156:157]
	v_fma_f64 v[146:147], v[4:5], v[156:157], -v[148:149]
	v_fmac_f64_e32 v[142:143], v[12:13], v[160:161]
	v_add_f64_e32 v[148:149], v[134:135], v[132:133]
	v_add_f64_e32 v[136:137], v[136:137], v[140:141]
	ds_load_b128 v[4:7], v2 offset:1840
	ds_load_b128 v[132:135], v2 offset:1856
	v_fma_f64 v[10:11], v[10:11], v[160:161], -v[144:145]
	s_wait_loadcnt_dscnt 0x201
	v_mul_f64_e32 v[140:141], v[4:5], v[170:171]
	v_mul_f64_e32 v[150:151], v[6:7], v[170:171]
	s_wait_loadcnt_dscnt 0x100
	v_mul_f64_e32 v[144:145], v[134:135], v[182:183]
	v_add_f64_e32 v[12:13], v[148:149], v[146:147]
	v_add_f64_e32 v[136:137], v[136:137], v[138:139]
	v_mul_f64_e32 v[138:139], v[132:133], v[182:183]
	v_fmac_f64_e32 v[140:141], v[6:7], v[168:169]
	v_fma_f64 v[146:147], v[4:5], v[168:169], -v[150:151]
	ds_load_b128 v[4:7], v2 offset:1872
	v_fma_f64 v[132:133], v[132:133], v[180:181], -v[144:145]
	v_add_f64_e32 v[10:11], v[12:13], v[10:11]
	v_add_f64_e32 v[12:13], v[136:137], v[142:143]
	v_fmac_f64_e32 v[138:139], v[134:135], v[180:181]
	s_wait_loadcnt_dscnt 0x0
	v_mul_f64_e32 v[136:137], v[4:5], v[166:167]
	v_mul_f64_e32 v[142:143], v[6:7], v[166:167]
	v_add_f64_e32 v[10:11], v[10:11], v[146:147]
	v_add_f64_e32 v[12:13], v[12:13], v[140:141]
	s_delay_alu instid0(VALU_DEP_4) | instskip(NEXT) | instid1(VALU_DEP_4)
	v_fmac_f64_e32 v[136:137], v[6:7], v[164:165]
	v_fma_f64 v[4:5], v[4:5], v[164:165], -v[142:143]
	s_delay_alu instid0(VALU_DEP_4) | instskip(NEXT) | instid1(VALU_DEP_4)
	v_add_f64_e32 v[6:7], v[10:11], v[132:133]
	v_add_f64_e32 v[10:11], v[12:13], v[138:139]
	s_delay_alu instid0(VALU_DEP_2) | instskip(NEXT) | instid1(VALU_DEP_2)
	v_add_f64_e32 v[4:5], v[6:7], v[4:5]
	v_add_f64_e32 v[6:7], v[10:11], v[136:137]
	s_delay_alu instid0(VALU_DEP_2) | instskip(NEXT) | instid1(VALU_DEP_2)
	v_add_f64_e64 v[4:5], v[172:173], -v[4:5]
	v_add_f64_e64 v[6:7], v[174:175], -v[6:7]
	scratch_store_b128 off, v[4:7], off offset:528
	s_wait_xcnt 0x0
	v_cmpx_lt_u32_e32 32, v1
	s_cbranch_execz .LBB58_303
; %bb.302:
	scratch_load_b128 v[10:13], off, s48
	v_dual_mov_b32 v3, v2 :: v_dual_mov_b32 v4, v2
	v_mov_b32_e32 v5, v2
	scratch_store_b128 off, v[2:5], off offset:512
	s_wait_loadcnt 0x0
	ds_store_b128 v8, v[10:13]
.LBB58_303:
	s_wait_xcnt 0x0
	s_or_b32 exec_lo, exec_lo, s2
	s_wait_storecnt_dscnt 0x0
	s_barrier_signal -1
	s_barrier_wait -1
	s_clause 0x9
	scratch_load_b128 v[4:7], off, off offset:528
	scratch_load_b128 v[10:13], off, off offset:544
	;; [unrolled: 1-line block ×10, first 2 shown]
	ds_load_b128 v[164:167], v2 offset:1472
	ds_load_b128 v[172:175], v2 offset:1488
	s_clause 0x2
	scratch_load_b128 v[168:171], off, off offset:688
	scratch_load_b128 v[176:179], off, off offset:512
	;; [unrolled: 1-line block ×3, first 2 shown]
	s_mov_b32 s2, exec_lo
	s_wait_loadcnt_dscnt 0xc01
	v_mul_f64_e32 v[184:185], v[166:167], v[6:7]
	v_mul_f64_e32 v[188:189], v[164:165], v[6:7]
	s_wait_loadcnt_dscnt 0xb00
	v_mul_f64_e32 v[190:191], v[172:173], v[12:13]
	v_mul_f64_e32 v[12:13], v[174:175], v[12:13]
	s_delay_alu instid0(VALU_DEP_4) | instskip(NEXT) | instid1(VALU_DEP_4)
	v_fma_f64 v[192:193], v[164:165], v[4:5], -v[184:185]
	v_fmac_f64_e32 v[188:189], v[166:167], v[4:5]
	ds_load_b128 v[4:7], v2 offset:1504
	ds_load_b128 v[164:167], v2 offset:1520
	scratch_load_b128 v[184:187], off, off offset:720
	v_fmac_f64_e32 v[190:191], v[174:175], v[10:11]
	v_fma_f64 v[172:173], v[172:173], v[10:11], -v[12:13]
	scratch_load_b128 v[10:13], off, off offset:736
	s_wait_loadcnt_dscnt 0xc01
	v_mul_f64_e32 v[194:195], v[4:5], v[134:135]
	v_mul_f64_e32 v[134:135], v[6:7], v[134:135]
	v_add_f64_e32 v[174:175], 0, v[192:193]
	v_add_f64_e32 v[188:189], 0, v[188:189]
	s_wait_loadcnt_dscnt 0xb00
	v_mul_f64_e32 v[192:193], v[164:165], v[138:139]
	v_mul_f64_e32 v[138:139], v[166:167], v[138:139]
	v_fmac_f64_e32 v[194:195], v[6:7], v[132:133]
	v_fma_f64 v[196:197], v[4:5], v[132:133], -v[134:135]
	ds_load_b128 v[4:7], v2 offset:1536
	ds_load_b128 v[132:135], v2 offset:1552
	v_add_f64_e32 v[198:199], v[174:175], v[172:173]
	v_add_f64_e32 v[188:189], v[188:189], v[190:191]
	scratch_load_b128 v[172:175], off, off offset:752
	v_fmac_f64_e32 v[192:193], v[166:167], v[136:137]
	v_fma_f64 v[164:165], v[164:165], v[136:137], -v[138:139]
	scratch_load_b128 v[136:139], off, off offset:768
	s_wait_loadcnt_dscnt 0xc01
	v_mul_f64_e32 v[190:191], v[4:5], v[142:143]
	v_mul_f64_e32 v[142:143], v[6:7], v[142:143]
	v_add_f64_e32 v[166:167], v[198:199], v[196:197]
	v_add_f64_e32 v[188:189], v[188:189], v[194:195]
	s_wait_loadcnt_dscnt 0xb00
	v_mul_f64_e32 v[194:195], v[132:133], v[146:147]
	v_mul_f64_e32 v[146:147], v[134:135], v[146:147]
	v_fmac_f64_e32 v[190:191], v[6:7], v[140:141]
	v_fma_f64 v[196:197], v[4:5], v[140:141], -v[142:143]
	ds_load_b128 v[4:7], v2 offset:1568
	ds_load_b128 v[140:143], v2 offset:1584
	v_add_f64_e32 v[198:199], v[166:167], v[164:165]
	v_add_f64_e32 v[188:189], v[188:189], v[192:193]
	scratch_load_b128 v[164:167], off, off offset:784
	s_wait_loadcnt_dscnt 0xb01
	v_mul_f64_e32 v[192:193], v[4:5], v[150:151]
	v_mul_f64_e32 v[150:151], v[6:7], v[150:151]
	v_fmac_f64_e32 v[194:195], v[134:135], v[144:145]
	v_fma_f64 v[144:145], v[132:133], v[144:145], -v[146:147]
	scratch_load_b128 v[132:135], off, off offset:800
	v_add_f64_e32 v[146:147], v[198:199], v[196:197]
	v_add_f64_e32 v[188:189], v[188:189], v[190:191]
	s_wait_loadcnt_dscnt 0xb00
	v_mul_f64_e32 v[190:191], v[140:141], v[154:155]
	v_mul_f64_e32 v[154:155], v[142:143], v[154:155]
	v_fmac_f64_e32 v[192:193], v[6:7], v[148:149]
	v_fma_f64 v[196:197], v[4:5], v[148:149], -v[150:151]
	v_add_f64_e32 v[198:199], v[146:147], v[144:145]
	v_add_f64_e32 v[188:189], v[188:189], v[194:195]
	ds_load_b128 v[4:7], v2 offset:1600
	ds_load_b128 v[144:147], v2 offset:1616
	scratch_load_b128 v[148:151], off, off offset:816
	v_fmac_f64_e32 v[190:191], v[142:143], v[152:153]
	v_fma_f64 v[152:153], v[140:141], v[152:153], -v[154:155]
	scratch_load_b128 v[140:143], off, off offset:832
	s_wait_loadcnt_dscnt 0xc01
	v_mul_f64_e32 v[194:195], v[4:5], v[158:159]
	v_mul_f64_e32 v[158:159], v[6:7], v[158:159]
	v_add_f64_e32 v[154:155], v[198:199], v[196:197]
	v_add_f64_e32 v[188:189], v[188:189], v[192:193]
	s_wait_loadcnt_dscnt 0xb00
	v_mul_f64_e32 v[192:193], v[144:145], v[162:163]
	v_mul_f64_e32 v[162:163], v[146:147], v[162:163]
	v_fmac_f64_e32 v[194:195], v[6:7], v[156:157]
	v_fma_f64 v[196:197], v[4:5], v[156:157], -v[158:159]
	v_add_f64_e32 v[198:199], v[154:155], v[152:153]
	v_add_f64_e32 v[188:189], v[188:189], v[190:191]
	ds_load_b128 v[4:7], v2 offset:1632
	ds_load_b128 v[152:155], v2 offset:1648
	scratch_load_b128 v[156:159], off, off offset:848
	v_fmac_f64_e32 v[192:193], v[146:147], v[160:161]
	v_fma_f64 v[160:161], v[144:145], v[160:161], -v[162:163]
	scratch_load_b128 v[144:147], off, off offset:864
	s_wait_loadcnt_dscnt 0xc01
	v_mul_f64_e32 v[190:191], v[4:5], v[170:171]
	v_mul_f64_e32 v[170:171], v[6:7], v[170:171]
	;; [unrolled: 18-line block ×4, first 2 shown]
	v_add_f64_e32 v[162:163], v[198:199], v[196:197]
	v_add_f64_e32 v[188:189], v[188:189], v[192:193]
	s_wait_loadcnt_dscnt 0xa00
	v_mul_f64_e32 v[192:193], v[180:181], v[138:139]
	v_mul_f64_e32 v[138:139], v[182:183], v[138:139]
	v_fmac_f64_e32 v[194:195], v[6:7], v[172:173]
	v_fma_f64 v[172:173], v[4:5], v[172:173], -v[174:175]
	v_add_f64_e32 v[174:175], v[162:163], v[160:161]
	v_add_f64_e32 v[188:189], v[188:189], v[190:191]
	ds_load_b128 v[4:7], v2 offset:1728
	ds_load_b128 v[160:163], v2 offset:1744
	v_fmac_f64_e32 v[192:193], v[182:183], v[136:137]
	v_fma_f64 v[136:137], v[180:181], v[136:137], -v[138:139]
	s_wait_loadcnt_dscnt 0x901
	v_mul_f64_e32 v[190:191], v[4:5], v[166:167]
	v_mul_f64_e32 v[166:167], v[6:7], v[166:167]
	s_wait_loadcnt_dscnt 0x800
	v_mul_f64_e32 v[180:181], v[162:163], v[134:135]
	v_add_f64_e32 v[138:139], v[174:175], v[172:173]
	v_add_f64_e32 v[172:173], v[188:189], v[194:195]
	v_mul_f64_e32 v[174:175], v[160:161], v[134:135]
	v_fmac_f64_e32 v[190:191], v[6:7], v[164:165]
	v_fma_f64 v[164:165], v[4:5], v[164:165], -v[166:167]
	v_add_f64_e32 v[138:139], v[138:139], v[136:137]
	v_add_f64_e32 v[166:167], v[172:173], v[192:193]
	ds_load_b128 v[4:7], v2 offset:1760
	ds_load_b128 v[134:137], v2 offset:1776
	v_fmac_f64_e32 v[174:175], v[162:163], v[132:133]
	v_fma_f64 v[132:133], v[160:161], v[132:133], -v[180:181]
	s_wait_loadcnt_dscnt 0x701
	v_mul_f64_e32 v[172:173], v[4:5], v[150:151]
	v_mul_f64_e32 v[150:151], v[6:7], v[150:151]
	s_wait_loadcnt_dscnt 0x600
	v_mul_f64_e32 v[162:163], v[134:135], v[142:143]
	v_mul_f64_e32 v[142:143], v[136:137], v[142:143]
	v_add_f64_e32 v[138:139], v[138:139], v[164:165]
	v_add_f64_e32 v[160:161], v[166:167], v[190:191]
	v_fmac_f64_e32 v[172:173], v[6:7], v[148:149]
	v_fma_f64 v[164:165], v[4:5], v[148:149], -v[150:151]
	ds_load_b128 v[4:7], v2 offset:1792
	ds_load_b128 v[148:151], v2 offset:1808
	v_fmac_f64_e32 v[162:163], v[136:137], v[140:141]
	v_fma_f64 v[134:135], v[134:135], v[140:141], -v[142:143]
	v_add_f64_e32 v[132:133], v[138:139], v[132:133]
	v_add_f64_e32 v[138:139], v[160:161], v[174:175]
	s_wait_loadcnt_dscnt 0x501
	v_mul_f64_e32 v[160:161], v[4:5], v[158:159]
	v_mul_f64_e32 v[158:159], v[6:7], v[158:159]
	s_wait_loadcnt_dscnt 0x400
	v_mul_f64_e32 v[140:141], v[150:151], v[146:147]
	v_add_f64_e32 v[132:133], v[132:133], v[164:165]
	v_add_f64_e32 v[136:137], v[138:139], v[172:173]
	v_mul_f64_e32 v[138:139], v[148:149], v[146:147]
	v_fmac_f64_e32 v[160:161], v[6:7], v[156:157]
	v_fma_f64 v[142:143], v[4:5], v[156:157], -v[158:159]
	v_fma_f64 v[140:141], v[148:149], v[144:145], -v[140:141]
	v_add_f64_e32 v[146:147], v[132:133], v[134:135]
	v_add_f64_e32 v[136:137], v[136:137], v[162:163]
	ds_load_b128 v[4:7], v2 offset:1824
	ds_load_b128 v[132:135], v2 offset:1840
	v_fmac_f64_e32 v[138:139], v[150:151], v[144:145]
	s_wait_loadcnt_dscnt 0x301
	v_mul_f64_e32 v[156:157], v[4:5], v[170:171]
	v_mul_f64_e32 v[158:159], v[6:7], v[170:171]
	s_wait_loadcnt_dscnt 0x200
	v_mul_f64_e32 v[144:145], v[132:133], v[154:155]
	v_add_f64_e32 v[142:143], v[146:147], v[142:143]
	v_add_f64_e32 v[136:137], v[136:137], v[160:161]
	v_mul_f64_e32 v[146:147], v[134:135], v[154:155]
	v_fmac_f64_e32 v[156:157], v[6:7], v[168:169]
	v_fma_f64 v[148:149], v[4:5], v[168:169], -v[158:159]
	v_fmac_f64_e32 v[144:145], v[134:135], v[152:153]
	v_add_f64_e32 v[140:141], v[142:143], v[140:141]
	v_add_f64_e32 v[142:143], v[136:137], v[138:139]
	ds_load_b128 v[4:7], v2 offset:1856
	ds_load_b128 v[136:139], v2 offset:1872
	v_fma_f64 v[132:133], v[132:133], v[152:153], -v[146:147]
	s_wait_loadcnt_dscnt 0x101
	v_mul_f64_e32 v[2:3], v[4:5], v[186:187]
	v_mul_f64_e32 v[150:151], v[6:7], v[186:187]
	v_add_f64_e32 v[134:135], v[140:141], v[148:149]
	v_add_f64_e32 v[140:141], v[142:143], v[156:157]
	s_wait_loadcnt_dscnt 0x0
	v_mul_f64_e32 v[142:143], v[136:137], v[12:13]
	v_mul_f64_e32 v[12:13], v[138:139], v[12:13]
	v_fmac_f64_e32 v[2:3], v[6:7], v[184:185]
	v_fma_f64 v[4:5], v[4:5], v[184:185], -v[150:151]
	v_add_f64_e32 v[6:7], v[134:135], v[132:133]
	v_add_f64_e32 v[132:133], v[140:141], v[144:145]
	v_fmac_f64_e32 v[142:143], v[138:139], v[10:11]
	v_fma_f64 v[10:11], v[136:137], v[10:11], -v[12:13]
	s_delay_alu instid0(VALU_DEP_4) | instskip(NEXT) | instid1(VALU_DEP_4)
	v_add_f64_e32 v[4:5], v[6:7], v[4:5]
	v_add_f64_e32 v[2:3], v[132:133], v[2:3]
	s_delay_alu instid0(VALU_DEP_2) | instskip(NEXT) | instid1(VALU_DEP_2)
	v_add_f64_e32 v[4:5], v[4:5], v[10:11]
	v_add_f64_e32 v[6:7], v[2:3], v[142:143]
	s_delay_alu instid0(VALU_DEP_2) | instskip(NEXT) | instid1(VALU_DEP_2)
	v_add_f64_e64 v[2:3], v[176:177], -v[4:5]
	v_add_f64_e64 v[4:5], v[178:179], -v[6:7]
	scratch_store_b128 off, v[2:5], off offset:512
	s_wait_xcnt 0x0
	v_cmpx_lt_u32_e32 31, v1
	s_cbranch_execz .LBB58_305
; %bb.304:
	scratch_load_b128 v[2:5], off, s47
	v_mov_b32_e32 v10, 0
	s_delay_alu instid0(VALU_DEP_1)
	v_dual_mov_b32 v11, v10 :: v_dual_mov_b32 v12, v10
	v_mov_b32_e32 v13, v10
	scratch_store_b128 off, v[10:13], off offset:496
	s_wait_loadcnt 0x0
	ds_store_b128 v8, v[2:5]
.LBB58_305:
	s_wait_xcnt 0x0
	s_or_b32 exec_lo, exec_lo, s2
	s_wait_storecnt_dscnt 0x0
	s_barrier_signal -1
	s_barrier_wait -1
	s_clause 0x9
	scratch_load_b128 v[4:7], off, off offset:512
	scratch_load_b128 v[10:13], off, off offset:528
	;; [unrolled: 1-line block ×10, first 2 shown]
	v_mov_b32_e32 v2, 0
	s_mov_b32 s2, exec_lo
	ds_load_b128 v[164:167], v2 offset:1456
	s_clause 0x2
	scratch_load_b128 v[168:171], off, off offset:672
	scratch_load_b128 v[172:175], off, off offset:496
	;; [unrolled: 1-line block ×3, first 2 shown]
	s_wait_loadcnt_dscnt 0xc00
	v_mul_f64_e32 v[184:185], v[166:167], v[6:7]
	v_mul_f64_e32 v[188:189], v[164:165], v[6:7]
	ds_load_b128 v[176:179], v2 offset:1472
	v_fma_f64 v[192:193], v[164:165], v[4:5], -v[184:185]
	v_fmac_f64_e32 v[188:189], v[166:167], v[4:5]
	ds_load_b128 v[4:7], v2 offset:1488
	s_wait_loadcnt_dscnt 0xb01
	v_mul_f64_e32 v[190:191], v[176:177], v[12:13]
	v_mul_f64_e32 v[12:13], v[178:179], v[12:13]
	scratch_load_b128 v[164:167], off, off offset:704
	ds_load_b128 v[184:187], v2 offset:1504
	s_wait_loadcnt_dscnt 0xb01
	v_mul_f64_e32 v[194:195], v[4:5], v[134:135]
	v_mul_f64_e32 v[134:135], v[6:7], v[134:135]
	v_add_f64_e32 v[188:189], 0, v[188:189]
	v_fmac_f64_e32 v[190:191], v[178:179], v[10:11]
	v_fma_f64 v[176:177], v[176:177], v[10:11], -v[12:13]
	v_add_f64_e32 v[178:179], 0, v[192:193]
	scratch_load_b128 v[10:13], off, off offset:720
	v_fmac_f64_e32 v[194:195], v[6:7], v[132:133]
	v_fma_f64 v[196:197], v[4:5], v[132:133], -v[134:135]
	ds_load_b128 v[4:7], v2 offset:1520
	s_wait_loadcnt_dscnt 0xb01
	v_mul_f64_e32 v[192:193], v[184:185], v[138:139]
	v_mul_f64_e32 v[138:139], v[186:187], v[138:139]
	scratch_load_b128 v[132:135], off, off offset:736
	v_add_f64_e32 v[188:189], v[188:189], v[190:191]
	v_add_f64_e32 v[198:199], v[178:179], v[176:177]
	ds_load_b128 v[176:179], v2 offset:1536
	s_wait_loadcnt_dscnt 0xb01
	v_mul_f64_e32 v[190:191], v[4:5], v[142:143]
	v_mul_f64_e32 v[142:143], v[6:7], v[142:143]
	v_fmac_f64_e32 v[192:193], v[186:187], v[136:137]
	v_fma_f64 v[184:185], v[184:185], v[136:137], -v[138:139]
	scratch_load_b128 v[136:139], off, off offset:752
	v_add_f64_e32 v[188:189], v[188:189], v[194:195]
	v_add_f64_e32 v[186:187], v[198:199], v[196:197]
	v_fmac_f64_e32 v[190:191], v[6:7], v[140:141]
	v_fma_f64 v[196:197], v[4:5], v[140:141], -v[142:143]
	ds_load_b128 v[4:7], v2 offset:1552
	s_wait_loadcnt_dscnt 0xb01
	v_mul_f64_e32 v[194:195], v[176:177], v[146:147]
	v_mul_f64_e32 v[146:147], v[178:179], v[146:147]
	scratch_load_b128 v[140:143], off, off offset:768
	v_add_f64_e32 v[188:189], v[188:189], v[192:193]
	s_wait_loadcnt_dscnt 0xb00
	v_mul_f64_e32 v[192:193], v[4:5], v[150:151]
	v_add_f64_e32 v[198:199], v[186:187], v[184:185]
	v_mul_f64_e32 v[150:151], v[6:7], v[150:151]
	ds_load_b128 v[184:187], v2 offset:1568
	v_fmac_f64_e32 v[194:195], v[178:179], v[144:145]
	v_fma_f64 v[176:177], v[176:177], v[144:145], -v[146:147]
	scratch_load_b128 v[144:147], off, off offset:784
	v_add_f64_e32 v[188:189], v[188:189], v[190:191]
	v_fmac_f64_e32 v[192:193], v[6:7], v[148:149]
	v_add_f64_e32 v[178:179], v[198:199], v[196:197]
	v_fma_f64 v[196:197], v[4:5], v[148:149], -v[150:151]
	ds_load_b128 v[4:7], v2 offset:1584
	s_wait_loadcnt_dscnt 0xb01
	v_mul_f64_e32 v[190:191], v[184:185], v[154:155]
	v_mul_f64_e32 v[154:155], v[186:187], v[154:155]
	scratch_load_b128 v[148:151], off, off offset:800
	v_add_f64_e32 v[188:189], v[188:189], v[194:195]
	s_wait_loadcnt_dscnt 0xb00
	v_mul_f64_e32 v[194:195], v[4:5], v[158:159]
	v_add_f64_e32 v[198:199], v[178:179], v[176:177]
	v_mul_f64_e32 v[158:159], v[6:7], v[158:159]
	ds_load_b128 v[176:179], v2 offset:1600
	v_fmac_f64_e32 v[190:191], v[186:187], v[152:153]
	v_fma_f64 v[184:185], v[184:185], v[152:153], -v[154:155]
	scratch_load_b128 v[152:155], off, off offset:816
	v_add_f64_e32 v[188:189], v[188:189], v[192:193]
	v_fmac_f64_e32 v[194:195], v[6:7], v[156:157]
	v_add_f64_e32 v[186:187], v[198:199], v[196:197]
	;; [unrolled: 18-line block ×3, first 2 shown]
	v_fma_f64 v[196:197], v[4:5], v[168:169], -v[170:171]
	ds_load_b128 v[4:7], v2 offset:1648
	s_wait_loadcnt_dscnt 0xa01
	v_mul_f64_e32 v[194:195], v[184:185], v[182:183]
	v_mul_f64_e32 v[182:183], v[186:187], v[182:183]
	scratch_load_b128 v[168:171], off, off offset:864
	v_add_f64_e32 v[188:189], v[188:189], v[192:193]
	v_add_f64_e32 v[198:199], v[178:179], v[176:177]
	s_wait_loadcnt_dscnt 0xa00
	v_mul_f64_e32 v[192:193], v[4:5], v[166:167]
	v_mul_f64_e32 v[166:167], v[6:7], v[166:167]
	v_fmac_f64_e32 v[194:195], v[186:187], v[180:181]
	v_fma_f64 v[184:185], v[184:185], v[180:181], -v[182:183]
	ds_load_b128 v[176:179], v2 offset:1664
	scratch_load_b128 v[180:183], off, off offset:880
	v_add_f64_e32 v[188:189], v[188:189], v[190:191]
	v_add_f64_e32 v[186:187], v[198:199], v[196:197]
	v_fmac_f64_e32 v[192:193], v[6:7], v[164:165]
	v_fma_f64 v[196:197], v[4:5], v[164:165], -v[166:167]
	ds_load_b128 v[4:7], v2 offset:1680
	s_wait_loadcnt_dscnt 0xa01
	v_mul_f64_e32 v[190:191], v[176:177], v[12:13]
	v_mul_f64_e32 v[12:13], v[178:179], v[12:13]
	scratch_load_b128 v[164:167], off, off offset:896
	v_add_f64_e32 v[188:189], v[188:189], v[194:195]
	s_wait_loadcnt_dscnt 0xa00
	v_mul_f64_e32 v[194:195], v[4:5], v[134:135]
	v_add_f64_e32 v[198:199], v[186:187], v[184:185]
	v_mul_f64_e32 v[134:135], v[6:7], v[134:135]
	ds_load_b128 v[184:187], v2 offset:1696
	v_fmac_f64_e32 v[190:191], v[178:179], v[10:11]
	v_fma_f64 v[176:177], v[176:177], v[10:11], -v[12:13]
	scratch_load_b128 v[10:13], off, off offset:912
	v_add_f64_e32 v[188:189], v[188:189], v[192:193]
	v_fmac_f64_e32 v[194:195], v[6:7], v[132:133]
	v_add_f64_e32 v[178:179], v[198:199], v[196:197]
	v_fma_f64 v[196:197], v[4:5], v[132:133], -v[134:135]
	ds_load_b128 v[4:7], v2 offset:1712
	s_wait_loadcnt_dscnt 0xa01
	v_mul_f64_e32 v[192:193], v[184:185], v[138:139]
	v_mul_f64_e32 v[138:139], v[186:187], v[138:139]
	scratch_load_b128 v[132:135], off, off offset:928
	v_add_f64_e32 v[188:189], v[188:189], v[190:191]
	s_wait_loadcnt_dscnt 0xa00
	v_mul_f64_e32 v[190:191], v[4:5], v[142:143]
	v_add_f64_e32 v[198:199], v[178:179], v[176:177]
	v_mul_f64_e32 v[142:143], v[6:7], v[142:143]
	ds_load_b128 v[176:179], v2 offset:1728
	v_fmac_f64_e32 v[192:193], v[186:187], v[136:137]
	v_fma_f64 v[136:137], v[184:185], v[136:137], -v[138:139]
	s_wait_loadcnt_dscnt 0x900
	v_mul_f64_e32 v[186:187], v[176:177], v[146:147]
	v_mul_f64_e32 v[146:147], v[178:179], v[146:147]
	v_add_f64_e32 v[184:185], v[188:189], v[194:195]
	v_fmac_f64_e32 v[190:191], v[6:7], v[140:141]
	v_add_f64_e32 v[138:139], v[198:199], v[196:197]
	v_fma_f64 v[140:141], v[4:5], v[140:141], -v[142:143]
	v_fmac_f64_e32 v[186:187], v[178:179], v[144:145]
	v_fma_f64 v[144:145], v[176:177], v[144:145], -v[146:147]
	v_add_f64_e32 v[184:185], v[184:185], v[192:193]
	v_add_f64_e32 v[142:143], v[138:139], v[136:137]
	ds_load_b128 v[4:7], v2 offset:1744
	ds_load_b128 v[136:139], v2 offset:1760
	s_wait_loadcnt_dscnt 0x801
	v_mul_f64_e32 v[188:189], v[4:5], v[150:151]
	v_mul_f64_e32 v[150:151], v[6:7], v[150:151]
	s_wait_loadcnt_dscnt 0x700
	v_mul_f64_e32 v[146:147], v[136:137], v[154:155]
	v_mul_f64_e32 v[154:155], v[138:139], v[154:155]
	v_add_f64_e32 v[140:141], v[142:143], v[140:141]
	v_add_f64_e32 v[142:143], v[184:185], v[190:191]
	v_fmac_f64_e32 v[188:189], v[6:7], v[148:149]
	v_fma_f64 v[148:149], v[4:5], v[148:149], -v[150:151]
	v_fmac_f64_e32 v[146:147], v[138:139], v[152:153]
	v_fma_f64 v[136:137], v[136:137], v[152:153], -v[154:155]
	v_add_f64_e32 v[144:145], v[140:141], v[144:145]
	v_add_f64_e32 v[150:151], v[142:143], v[186:187]
	ds_load_b128 v[4:7], v2 offset:1776
	ds_load_b128 v[140:143], v2 offset:1792
	s_wait_loadcnt_dscnt 0x601
	v_mul_f64_e32 v[176:177], v[4:5], v[158:159]
	v_mul_f64_e32 v[158:159], v[6:7], v[158:159]
	v_add_f64_e32 v[138:139], v[144:145], v[148:149]
	v_add_f64_e32 v[144:145], v[150:151], v[188:189]
	s_wait_loadcnt_dscnt 0x500
	v_mul_f64_e32 v[148:149], v[140:141], v[162:163]
	v_mul_f64_e32 v[150:151], v[142:143], v[162:163]
	v_fmac_f64_e32 v[176:177], v[6:7], v[156:157]
	v_fma_f64 v[152:153], v[4:5], v[156:157], -v[158:159]
	v_add_f64_e32 v[154:155], v[138:139], v[136:137]
	v_add_f64_e32 v[144:145], v[144:145], v[146:147]
	ds_load_b128 v[4:7], v2 offset:1808
	ds_load_b128 v[136:139], v2 offset:1824
	v_fmac_f64_e32 v[148:149], v[142:143], v[160:161]
	v_fma_f64 v[140:141], v[140:141], v[160:161], -v[150:151]
	s_wait_loadcnt_dscnt 0x401
	v_mul_f64_e32 v[146:147], v[4:5], v[170:171]
	v_mul_f64_e32 v[156:157], v[6:7], v[170:171]
	s_wait_loadcnt_dscnt 0x300
	v_mul_f64_e32 v[150:151], v[136:137], v[182:183]
	v_add_f64_e32 v[142:143], v[154:155], v[152:153]
	v_add_f64_e32 v[144:145], v[144:145], v[176:177]
	v_mul_f64_e32 v[152:153], v[138:139], v[182:183]
	v_fmac_f64_e32 v[146:147], v[6:7], v[168:169]
	v_fma_f64 v[154:155], v[4:5], v[168:169], -v[156:157]
	v_fmac_f64_e32 v[150:151], v[138:139], v[180:181]
	v_add_f64_e32 v[156:157], v[142:143], v[140:141]
	v_add_f64_e32 v[144:145], v[144:145], v[148:149]
	ds_load_b128 v[4:7], v2 offset:1840
	ds_load_b128 v[140:143], v2 offset:1856
	v_fma_f64 v[136:137], v[136:137], v[180:181], -v[152:153]
	s_wait_loadcnt_dscnt 0x201
	v_mul_f64_e32 v[148:149], v[4:5], v[166:167]
	v_mul_f64_e32 v[158:159], v[6:7], v[166:167]
	v_add_f64_e32 v[138:139], v[156:157], v[154:155]
	v_add_f64_e32 v[144:145], v[144:145], v[146:147]
	s_wait_loadcnt_dscnt 0x100
	v_mul_f64_e32 v[146:147], v[140:141], v[12:13]
	v_mul_f64_e32 v[12:13], v[142:143], v[12:13]
	v_fmac_f64_e32 v[148:149], v[6:7], v[164:165]
	v_fma_f64 v[152:153], v[4:5], v[164:165], -v[158:159]
	ds_load_b128 v[4:7], v2 offset:1872
	v_add_f64_e32 v[136:137], v[138:139], v[136:137]
	v_add_f64_e32 v[138:139], v[144:145], v[150:151]
	v_fmac_f64_e32 v[146:147], v[142:143], v[10:11]
	v_fma_f64 v[10:11], v[140:141], v[10:11], -v[12:13]
	s_wait_loadcnt_dscnt 0x0
	v_mul_f64_e32 v[144:145], v[4:5], v[134:135]
	v_mul_f64_e32 v[134:135], v[6:7], v[134:135]
	v_add_f64_e32 v[12:13], v[136:137], v[152:153]
	v_add_f64_e32 v[136:137], v[138:139], v[148:149]
	s_delay_alu instid0(VALU_DEP_4) | instskip(NEXT) | instid1(VALU_DEP_4)
	v_fmac_f64_e32 v[144:145], v[6:7], v[132:133]
	v_fma_f64 v[4:5], v[4:5], v[132:133], -v[134:135]
	s_delay_alu instid0(VALU_DEP_4) | instskip(NEXT) | instid1(VALU_DEP_4)
	v_add_f64_e32 v[6:7], v[12:13], v[10:11]
	v_add_f64_e32 v[10:11], v[136:137], v[146:147]
	s_delay_alu instid0(VALU_DEP_2) | instskip(NEXT) | instid1(VALU_DEP_2)
	v_add_f64_e32 v[4:5], v[6:7], v[4:5]
	v_add_f64_e32 v[6:7], v[10:11], v[144:145]
	s_delay_alu instid0(VALU_DEP_2) | instskip(NEXT) | instid1(VALU_DEP_2)
	v_add_f64_e64 v[4:5], v[172:173], -v[4:5]
	v_add_f64_e64 v[6:7], v[174:175], -v[6:7]
	scratch_store_b128 off, v[4:7], off offset:496
	s_wait_xcnt 0x0
	v_cmpx_lt_u32_e32 30, v1
	s_cbranch_execz .LBB58_307
; %bb.306:
	scratch_load_b128 v[10:13], off, s45
	v_dual_mov_b32 v3, v2 :: v_dual_mov_b32 v4, v2
	v_mov_b32_e32 v5, v2
	scratch_store_b128 off, v[2:5], off offset:480
	s_wait_loadcnt 0x0
	ds_store_b128 v8, v[10:13]
.LBB58_307:
	s_wait_xcnt 0x0
	s_or_b32 exec_lo, exec_lo, s2
	s_wait_storecnt_dscnt 0x0
	s_barrier_signal -1
	s_barrier_wait -1
	s_clause 0x9
	scratch_load_b128 v[4:7], off, off offset:496
	scratch_load_b128 v[10:13], off, off offset:512
	;; [unrolled: 1-line block ×10, first 2 shown]
	ds_load_b128 v[164:167], v2 offset:1440
	ds_load_b128 v[172:175], v2 offset:1456
	s_clause 0x2
	scratch_load_b128 v[168:171], off, off offset:656
	scratch_load_b128 v[176:179], off, off offset:480
	;; [unrolled: 1-line block ×3, first 2 shown]
	s_mov_b32 s2, exec_lo
	s_wait_loadcnt_dscnt 0xc01
	v_mul_f64_e32 v[184:185], v[166:167], v[6:7]
	v_mul_f64_e32 v[188:189], v[164:165], v[6:7]
	s_wait_loadcnt_dscnt 0xb00
	v_mul_f64_e32 v[190:191], v[172:173], v[12:13]
	v_mul_f64_e32 v[12:13], v[174:175], v[12:13]
	s_delay_alu instid0(VALU_DEP_4) | instskip(NEXT) | instid1(VALU_DEP_4)
	v_fma_f64 v[192:193], v[164:165], v[4:5], -v[184:185]
	v_fmac_f64_e32 v[188:189], v[166:167], v[4:5]
	ds_load_b128 v[4:7], v2 offset:1472
	ds_load_b128 v[164:167], v2 offset:1488
	scratch_load_b128 v[184:187], off, off offset:688
	v_fmac_f64_e32 v[190:191], v[174:175], v[10:11]
	v_fma_f64 v[172:173], v[172:173], v[10:11], -v[12:13]
	scratch_load_b128 v[10:13], off, off offset:704
	s_wait_loadcnt_dscnt 0xc01
	v_mul_f64_e32 v[194:195], v[4:5], v[134:135]
	v_mul_f64_e32 v[134:135], v[6:7], v[134:135]
	v_add_f64_e32 v[174:175], 0, v[192:193]
	v_add_f64_e32 v[188:189], 0, v[188:189]
	s_wait_loadcnt_dscnt 0xb00
	v_mul_f64_e32 v[192:193], v[164:165], v[138:139]
	v_mul_f64_e32 v[138:139], v[166:167], v[138:139]
	v_fmac_f64_e32 v[194:195], v[6:7], v[132:133]
	v_fma_f64 v[196:197], v[4:5], v[132:133], -v[134:135]
	ds_load_b128 v[4:7], v2 offset:1504
	ds_load_b128 v[132:135], v2 offset:1520
	v_add_f64_e32 v[198:199], v[174:175], v[172:173]
	v_add_f64_e32 v[188:189], v[188:189], v[190:191]
	scratch_load_b128 v[172:175], off, off offset:720
	v_fmac_f64_e32 v[192:193], v[166:167], v[136:137]
	v_fma_f64 v[164:165], v[164:165], v[136:137], -v[138:139]
	scratch_load_b128 v[136:139], off, off offset:736
	s_wait_loadcnt_dscnt 0xc01
	v_mul_f64_e32 v[190:191], v[4:5], v[142:143]
	v_mul_f64_e32 v[142:143], v[6:7], v[142:143]
	v_add_f64_e32 v[166:167], v[198:199], v[196:197]
	v_add_f64_e32 v[188:189], v[188:189], v[194:195]
	s_wait_loadcnt_dscnt 0xb00
	v_mul_f64_e32 v[194:195], v[132:133], v[146:147]
	v_mul_f64_e32 v[146:147], v[134:135], v[146:147]
	v_fmac_f64_e32 v[190:191], v[6:7], v[140:141]
	v_fma_f64 v[196:197], v[4:5], v[140:141], -v[142:143]
	ds_load_b128 v[4:7], v2 offset:1536
	ds_load_b128 v[140:143], v2 offset:1552
	v_add_f64_e32 v[198:199], v[166:167], v[164:165]
	v_add_f64_e32 v[188:189], v[188:189], v[192:193]
	scratch_load_b128 v[164:167], off, off offset:752
	s_wait_loadcnt_dscnt 0xb01
	v_mul_f64_e32 v[192:193], v[4:5], v[150:151]
	v_mul_f64_e32 v[150:151], v[6:7], v[150:151]
	v_fmac_f64_e32 v[194:195], v[134:135], v[144:145]
	v_fma_f64 v[144:145], v[132:133], v[144:145], -v[146:147]
	scratch_load_b128 v[132:135], off, off offset:768
	v_add_f64_e32 v[146:147], v[198:199], v[196:197]
	v_add_f64_e32 v[188:189], v[188:189], v[190:191]
	s_wait_loadcnt_dscnt 0xb00
	v_mul_f64_e32 v[190:191], v[140:141], v[154:155]
	v_mul_f64_e32 v[154:155], v[142:143], v[154:155]
	v_fmac_f64_e32 v[192:193], v[6:7], v[148:149]
	v_fma_f64 v[196:197], v[4:5], v[148:149], -v[150:151]
	v_add_f64_e32 v[198:199], v[146:147], v[144:145]
	v_add_f64_e32 v[188:189], v[188:189], v[194:195]
	ds_load_b128 v[4:7], v2 offset:1568
	ds_load_b128 v[144:147], v2 offset:1584
	scratch_load_b128 v[148:151], off, off offset:784
	v_fmac_f64_e32 v[190:191], v[142:143], v[152:153]
	v_fma_f64 v[152:153], v[140:141], v[152:153], -v[154:155]
	scratch_load_b128 v[140:143], off, off offset:800
	s_wait_loadcnt_dscnt 0xc01
	v_mul_f64_e32 v[194:195], v[4:5], v[158:159]
	v_mul_f64_e32 v[158:159], v[6:7], v[158:159]
	v_add_f64_e32 v[154:155], v[198:199], v[196:197]
	v_add_f64_e32 v[188:189], v[188:189], v[192:193]
	s_wait_loadcnt_dscnt 0xb00
	v_mul_f64_e32 v[192:193], v[144:145], v[162:163]
	v_mul_f64_e32 v[162:163], v[146:147], v[162:163]
	v_fmac_f64_e32 v[194:195], v[6:7], v[156:157]
	v_fma_f64 v[196:197], v[4:5], v[156:157], -v[158:159]
	v_add_f64_e32 v[198:199], v[154:155], v[152:153]
	v_add_f64_e32 v[188:189], v[188:189], v[190:191]
	ds_load_b128 v[4:7], v2 offset:1600
	ds_load_b128 v[152:155], v2 offset:1616
	scratch_load_b128 v[156:159], off, off offset:816
	v_fmac_f64_e32 v[192:193], v[146:147], v[160:161]
	v_fma_f64 v[160:161], v[144:145], v[160:161], -v[162:163]
	scratch_load_b128 v[144:147], off, off offset:832
	s_wait_loadcnt_dscnt 0xc01
	v_mul_f64_e32 v[190:191], v[4:5], v[170:171]
	v_mul_f64_e32 v[170:171], v[6:7], v[170:171]
	;; [unrolled: 18-line block ×5, first 2 shown]
	v_add_f64_e32 v[182:183], v[198:199], v[196:197]
	v_add_f64_e32 v[188:189], v[188:189], v[194:195]
	s_wait_loadcnt_dscnt 0xa00
	v_mul_f64_e32 v[194:195], v[160:161], v[134:135]
	v_mul_f64_e32 v[134:135], v[162:163], v[134:135]
	v_fmac_f64_e32 v[190:191], v[6:7], v[164:165]
	v_fma_f64 v[196:197], v[4:5], v[164:165], -v[166:167]
	ds_load_b128 v[4:7], v2 offset:1728
	ds_load_b128 v[164:167], v2 offset:1744
	v_add_f64_e32 v[180:181], v[182:183], v[180:181]
	v_add_f64_e32 v[182:183], v[188:189], v[192:193]
	v_fmac_f64_e32 v[194:195], v[162:163], v[132:133]
	v_fma_f64 v[132:133], v[160:161], v[132:133], -v[134:135]
	s_wait_loadcnt_dscnt 0x901
	v_mul_f64_e32 v[188:189], v[4:5], v[150:151]
	v_mul_f64_e32 v[150:151], v[6:7], v[150:151]
	s_wait_loadcnt_dscnt 0x800
	v_mul_f64_e32 v[162:163], v[164:165], v[142:143]
	v_mul_f64_e32 v[142:143], v[166:167], v[142:143]
	v_add_f64_e32 v[134:135], v[180:181], v[196:197]
	v_add_f64_e32 v[160:161], v[182:183], v[190:191]
	v_fmac_f64_e32 v[188:189], v[6:7], v[148:149]
	v_fma_f64 v[148:149], v[4:5], v[148:149], -v[150:151]
	v_fmac_f64_e32 v[162:163], v[166:167], v[140:141]
	v_fma_f64 v[140:141], v[164:165], v[140:141], -v[142:143]
	v_add_f64_e32 v[150:151], v[134:135], v[132:133]
	v_add_f64_e32 v[160:161], v[160:161], v[194:195]
	ds_load_b128 v[4:7], v2 offset:1760
	ds_load_b128 v[132:135], v2 offset:1776
	s_wait_loadcnt_dscnt 0x701
	v_mul_f64_e32 v[180:181], v[4:5], v[158:159]
	v_mul_f64_e32 v[158:159], v[6:7], v[158:159]
	v_add_f64_e32 v[142:143], v[150:151], v[148:149]
	v_add_f64_e32 v[148:149], v[160:161], v[188:189]
	s_wait_loadcnt_dscnt 0x600
	v_mul_f64_e32 v[150:151], v[132:133], v[146:147]
	v_mul_f64_e32 v[146:147], v[134:135], v[146:147]
	v_fmac_f64_e32 v[180:181], v[6:7], v[156:157]
	v_fma_f64 v[156:157], v[4:5], v[156:157], -v[158:159]
	v_add_f64_e32 v[158:159], v[142:143], v[140:141]
	v_add_f64_e32 v[148:149], v[148:149], v[162:163]
	ds_load_b128 v[4:7], v2 offset:1792
	ds_load_b128 v[140:143], v2 offset:1808
	v_fmac_f64_e32 v[150:151], v[134:135], v[144:145]
	v_fma_f64 v[132:133], v[132:133], v[144:145], -v[146:147]
	s_wait_loadcnt_dscnt 0x501
	v_mul_f64_e32 v[160:161], v[4:5], v[170:171]
	v_mul_f64_e32 v[162:163], v[6:7], v[170:171]
	s_wait_loadcnt_dscnt 0x400
	v_mul_f64_e32 v[146:147], v[140:141], v[154:155]
	v_add_f64_e32 v[134:135], v[158:159], v[156:157]
	v_add_f64_e32 v[144:145], v[148:149], v[180:181]
	v_mul_f64_e32 v[148:149], v[142:143], v[154:155]
	v_fmac_f64_e32 v[160:161], v[6:7], v[168:169]
	v_fma_f64 v[154:155], v[4:5], v[168:169], -v[162:163]
	v_fmac_f64_e32 v[146:147], v[142:143], v[152:153]
	v_add_f64_e32 v[156:157], v[134:135], v[132:133]
	v_add_f64_e32 v[144:145], v[144:145], v[150:151]
	ds_load_b128 v[4:7], v2 offset:1824
	ds_load_b128 v[132:135], v2 offset:1840
	v_fma_f64 v[140:141], v[140:141], v[152:153], -v[148:149]
	s_wait_loadcnt_dscnt 0x301
	v_mul_f64_e32 v[150:151], v[4:5], v[186:187]
	v_mul_f64_e32 v[158:159], v[6:7], v[186:187]
	s_wait_loadcnt_dscnt 0x200
	v_mul_f64_e32 v[148:149], v[132:133], v[12:13]
	v_mul_f64_e32 v[12:13], v[134:135], v[12:13]
	v_add_f64_e32 v[142:143], v[156:157], v[154:155]
	v_add_f64_e32 v[144:145], v[144:145], v[160:161]
	v_fmac_f64_e32 v[150:151], v[6:7], v[184:185]
	v_fma_f64 v[152:153], v[4:5], v[184:185], -v[158:159]
	v_fmac_f64_e32 v[148:149], v[134:135], v[10:11]
	v_fma_f64 v[10:11], v[132:133], v[10:11], -v[12:13]
	v_add_f64_e32 v[154:155], v[142:143], v[140:141]
	v_add_f64_e32 v[144:145], v[144:145], v[146:147]
	ds_load_b128 v[4:7], v2 offset:1856
	ds_load_b128 v[140:143], v2 offset:1872
	s_wait_loadcnt_dscnt 0x101
	v_mul_f64_e32 v[2:3], v[4:5], v[174:175]
	v_mul_f64_e32 v[146:147], v[6:7], v[174:175]
	s_wait_loadcnt_dscnt 0x0
	v_mul_f64_e32 v[134:135], v[140:141], v[138:139]
	v_mul_f64_e32 v[138:139], v[142:143], v[138:139]
	v_add_f64_e32 v[12:13], v[154:155], v[152:153]
	v_add_f64_e32 v[132:133], v[144:145], v[150:151]
	v_fmac_f64_e32 v[2:3], v[6:7], v[172:173]
	v_fma_f64 v[4:5], v[4:5], v[172:173], -v[146:147]
	v_fmac_f64_e32 v[134:135], v[142:143], v[136:137]
	v_add_f64_e32 v[6:7], v[12:13], v[10:11]
	v_add_f64_e32 v[10:11], v[132:133], v[148:149]
	v_fma_f64 v[12:13], v[140:141], v[136:137], -v[138:139]
	s_delay_alu instid0(VALU_DEP_3) | instskip(NEXT) | instid1(VALU_DEP_3)
	v_add_f64_e32 v[4:5], v[6:7], v[4:5]
	v_add_f64_e32 v[2:3], v[10:11], v[2:3]
	s_delay_alu instid0(VALU_DEP_2) | instskip(NEXT) | instid1(VALU_DEP_2)
	v_add_f64_e32 v[4:5], v[4:5], v[12:13]
	v_add_f64_e32 v[6:7], v[2:3], v[134:135]
	s_delay_alu instid0(VALU_DEP_2) | instskip(NEXT) | instid1(VALU_DEP_2)
	v_add_f64_e64 v[2:3], v[176:177], -v[4:5]
	v_add_f64_e64 v[4:5], v[178:179], -v[6:7]
	scratch_store_b128 off, v[2:5], off offset:480
	s_wait_xcnt 0x0
	v_cmpx_lt_u32_e32 29, v1
	s_cbranch_execz .LBB58_309
; %bb.308:
	scratch_load_b128 v[2:5], off, s43
	v_mov_b32_e32 v10, 0
	s_delay_alu instid0(VALU_DEP_1)
	v_dual_mov_b32 v11, v10 :: v_dual_mov_b32 v12, v10
	v_mov_b32_e32 v13, v10
	scratch_store_b128 off, v[10:13], off offset:464
	s_wait_loadcnt 0x0
	ds_store_b128 v8, v[2:5]
.LBB58_309:
	s_wait_xcnt 0x0
	s_or_b32 exec_lo, exec_lo, s2
	s_wait_storecnt_dscnt 0x0
	s_barrier_signal -1
	s_barrier_wait -1
	s_clause 0x9
	scratch_load_b128 v[4:7], off, off offset:480
	scratch_load_b128 v[10:13], off, off offset:496
	;; [unrolled: 1-line block ×10, first 2 shown]
	v_mov_b32_e32 v2, 0
	s_mov_b32 s2, exec_lo
	ds_load_b128 v[164:167], v2 offset:1424
	s_clause 0x2
	scratch_load_b128 v[168:171], off, off offset:640
	scratch_load_b128 v[172:175], off, off offset:464
	;; [unrolled: 1-line block ×3, first 2 shown]
	s_wait_loadcnt_dscnt 0xc00
	v_mul_f64_e32 v[184:185], v[166:167], v[6:7]
	v_mul_f64_e32 v[188:189], v[164:165], v[6:7]
	ds_load_b128 v[176:179], v2 offset:1440
	v_fma_f64 v[192:193], v[164:165], v[4:5], -v[184:185]
	v_fmac_f64_e32 v[188:189], v[166:167], v[4:5]
	ds_load_b128 v[4:7], v2 offset:1456
	s_wait_loadcnt_dscnt 0xb01
	v_mul_f64_e32 v[190:191], v[176:177], v[12:13]
	v_mul_f64_e32 v[12:13], v[178:179], v[12:13]
	scratch_load_b128 v[164:167], off, off offset:672
	ds_load_b128 v[184:187], v2 offset:1472
	s_wait_loadcnt_dscnt 0xb01
	v_mul_f64_e32 v[194:195], v[4:5], v[134:135]
	v_mul_f64_e32 v[134:135], v[6:7], v[134:135]
	v_add_f64_e32 v[188:189], 0, v[188:189]
	v_fmac_f64_e32 v[190:191], v[178:179], v[10:11]
	v_fma_f64 v[176:177], v[176:177], v[10:11], -v[12:13]
	v_add_f64_e32 v[178:179], 0, v[192:193]
	scratch_load_b128 v[10:13], off, off offset:688
	v_fmac_f64_e32 v[194:195], v[6:7], v[132:133]
	v_fma_f64 v[196:197], v[4:5], v[132:133], -v[134:135]
	ds_load_b128 v[4:7], v2 offset:1488
	s_wait_loadcnt_dscnt 0xb01
	v_mul_f64_e32 v[192:193], v[184:185], v[138:139]
	v_mul_f64_e32 v[138:139], v[186:187], v[138:139]
	scratch_load_b128 v[132:135], off, off offset:704
	v_add_f64_e32 v[188:189], v[188:189], v[190:191]
	v_add_f64_e32 v[198:199], v[178:179], v[176:177]
	ds_load_b128 v[176:179], v2 offset:1504
	s_wait_loadcnt_dscnt 0xb01
	v_mul_f64_e32 v[190:191], v[4:5], v[142:143]
	v_mul_f64_e32 v[142:143], v[6:7], v[142:143]
	v_fmac_f64_e32 v[192:193], v[186:187], v[136:137]
	v_fma_f64 v[184:185], v[184:185], v[136:137], -v[138:139]
	scratch_load_b128 v[136:139], off, off offset:720
	v_add_f64_e32 v[188:189], v[188:189], v[194:195]
	v_add_f64_e32 v[186:187], v[198:199], v[196:197]
	v_fmac_f64_e32 v[190:191], v[6:7], v[140:141]
	v_fma_f64 v[196:197], v[4:5], v[140:141], -v[142:143]
	ds_load_b128 v[4:7], v2 offset:1520
	s_wait_loadcnt_dscnt 0xb01
	v_mul_f64_e32 v[194:195], v[176:177], v[146:147]
	v_mul_f64_e32 v[146:147], v[178:179], v[146:147]
	scratch_load_b128 v[140:143], off, off offset:736
	v_add_f64_e32 v[188:189], v[188:189], v[192:193]
	s_wait_loadcnt_dscnt 0xb00
	v_mul_f64_e32 v[192:193], v[4:5], v[150:151]
	v_add_f64_e32 v[198:199], v[186:187], v[184:185]
	v_mul_f64_e32 v[150:151], v[6:7], v[150:151]
	ds_load_b128 v[184:187], v2 offset:1536
	v_fmac_f64_e32 v[194:195], v[178:179], v[144:145]
	v_fma_f64 v[176:177], v[176:177], v[144:145], -v[146:147]
	scratch_load_b128 v[144:147], off, off offset:752
	v_add_f64_e32 v[188:189], v[188:189], v[190:191]
	v_fmac_f64_e32 v[192:193], v[6:7], v[148:149]
	v_add_f64_e32 v[178:179], v[198:199], v[196:197]
	v_fma_f64 v[196:197], v[4:5], v[148:149], -v[150:151]
	ds_load_b128 v[4:7], v2 offset:1552
	s_wait_loadcnt_dscnt 0xb01
	v_mul_f64_e32 v[190:191], v[184:185], v[154:155]
	v_mul_f64_e32 v[154:155], v[186:187], v[154:155]
	scratch_load_b128 v[148:151], off, off offset:768
	v_add_f64_e32 v[188:189], v[188:189], v[194:195]
	s_wait_loadcnt_dscnt 0xb00
	v_mul_f64_e32 v[194:195], v[4:5], v[158:159]
	v_add_f64_e32 v[198:199], v[178:179], v[176:177]
	v_mul_f64_e32 v[158:159], v[6:7], v[158:159]
	ds_load_b128 v[176:179], v2 offset:1568
	v_fmac_f64_e32 v[190:191], v[186:187], v[152:153]
	v_fma_f64 v[184:185], v[184:185], v[152:153], -v[154:155]
	scratch_load_b128 v[152:155], off, off offset:784
	v_add_f64_e32 v[188:189], v[188:189], v[192:193]
	v_fmac_f64_e32 v[194:195], v[6:7], v[156:157]
	v_add_f64_e32 v[186:187], v[198:199], v[196:197]
	;; [unrolled: 18-line block ×3, first 2 shown]
	v_fma_f64 v[196:197], v[4:5], v[168:169], -v[170:171]
	ds_load_b128 v[4:7], v2 offset:1616
	s_wait_loadcnt_dscnt 0xa01
	v_mul_f64_e32 v[194:195], v[184:185], v[182:183]
	v_mul_f64_e32 v[182:183], v[186:187], v[182:183]
	scratch_load_b128 v[168:171], off, off offset:832
	v_add_f64_e32 v[188:189], v[188:189], v[192:193]
	v_add_f64_e32 v[198:199], v[178:179], v[176:177]
	s_wait_loadcnt_dscnt 0xa00
	v_mul_f64_e32 v[192:193], v[4:5], v[166:167]
	v_mul_f64_e32 v[166:167], v[6:7], v[166:167]
	v_fmac_f64_e32 v[194:195], v[186:187], v[180:181]
	v_fma_f64 v[184:185], v[184:185], v[180:181], -v[182:183]
	ds_load_b128 v[176:179], v2 offset:1632
	scratch_load_b128 v[180:183], off, off offset:848
	v_add_f64_e32 v[188:189], v[188:189], v[190:191]
	v_add_f64_e32 v[186:187], v[198:199], v[196:197]
	v_fmac_f64_e32 v[192:193], v[6:7], v[164:165]
	v_fma_f64 v[196:197], v[4:5], v[164:165], -v[166:167]
	ds_load_b128 v[4:7], v2 offset:1648
	s_wait_loadcnt_dscnt 0xa01
	v_mul_f64_e32 v[190:191], v[176:177], v[12:13]
	v_mul_f64_e32 v[12:13], v[178:179], v[12:13]
	scratch_load_b128 v[164:167], off, off offset:864
	v_add_f64_e32 v[188:189], v[188:189], v[194:195]
	s_wait_loadcnt_dscnt 0xa00
	v_mul_f64_e32 v[194:195], v[4:5], v[134:135]
	v_add_f64_e32 v[198:199], v[186:187], v[184:185]
	v_mul_f64_e32 v[134:135], v[6:7], v[134:135]
	ds_load_b128 v[184:187], v2 offset:1664
	v_fmac_f64_e32 v[190:191], v[178:179], v[10:11]
	v_fma_f64 v[176:177], v[176:177], v[10:11], -v[12:13]
	scratch_load_b128 v[10:13], off, off offset:880
	v_add_f64_e32 v[188:189], v[188:189], v[192:193]
	v_fmac_f64_e32 v[194:195], v[6:7], v[132:133]
	v_add_f64_e32 v[178:179], v[198:199], v[196:197]
	v_fma_f64 v[196:197], v[4:5], v[132:133], -v[134:135]
	ds_load_b128 v[4:7], v2 offset:1680
	s_wait_loadcnt_dscnt 0xa01
	v_mul_f64_e32 v[192:193], v[184:185], v[138:139]
	v_mul_f64_e32 v[138:139], v[186:187], v[138:139]
	scratch_load_b128 v[132:135], off, off offset:896
	v_add_f64_e32 v[188:189], v[188:189], v[190:191]
	s_wait_loadcnt_dscnt 0xa00
	v_mul_f64_e32 v[190:191], v[4:5], v[142:143]
	v_add_f64_e32 v[198:199], v[178:179], v[176:177]
	v_mul_f64_e32 v[142:143], v[6:7], v[142:143]
	ds_load_b128 v[176:179], v2 offset:1696
	v_fmac_f64_e32 v[192:193], v[186:187], v[136:137]
	v_fma_f64 v[184:185], v[184:185], v[136:137], -v[138:139]
	scratch_load_b128 v[136:139], off, off offset:912
	v_add_f64_e32 v[188:189], v[188:189], v[194:195]
	v_fmac_f64_e32 v[190:191], v[6:7], v[140:141]
	v_add_f64_e32 v[186:187], v[198:199], v[196:197]
	v_fma_f64 v[196:197], v[4:5], v[140:141], -v[142:143]
	ds_load_b128 v[4:7], v2 offset:1712
	s_wait_loadcnt_dscnt 0xa01
	v_mul_f64_e32 v[194:195], v[176:177], v[146:147]
	v_mul_f64_e32 v[146:147], v[178:179], v[146:147]
	scratch_load_b128 v[140:143], off, off offset:928
	v_add_f64_e32 v[188:189], v[188:189], v[192:193]
	s_wait_loadcnt_dscnt 0xa00
	v_mul_f64_e32 v[192:193], v[4:5], v[150:151]
	v_add_f64_e32 v[198:199], v[186:187], v[184:185]
	v_mul_f64_e32 v[150:151], v[6:7], v[150:151]
	ds_load_b128 v[184:187], v2 offset:1728
	v_fmac_f64_e32 v[194:195], v[178:179], v[144:145]
	v_fma_f64 v[144:145], v[176:177], v[144:145], -v[146:147]
	s_wait_loadcnt_dscnt 0x900
	v_mul_f64_e32 v[178:179], v[184:185], v[154:155]
	v_mul_f64_e32 v[154:155], v[186:187], v[154:155]
	v_add_f64_e32 v[176:177], v[188:189], v[190:191]
	v_fmac_f64_e32 v[192:193], v[6:7], v[148:149]
	v_add_f64_e32 v[146:147], v[198:199], v[196:197]
	v_fma_f64 v[148:149], v[4:5], v[148:149], -v[150:151]
	v_fmac_f64_e32 v[178:179], v[186:187], v[152:153]
	v_fma_f64 v[152:153], v[184:185], v[152:153], -v[154:155]
	v_add_f64_e32 v[176:177], v[176:177], v[194:195]
	v_add_f64_e32 v[150:151], v[146:147], v[144:145]
	ds_load_b128 v[4:7], v2 offset:1744
	ds_load_b128 v[144:147], v2 offset:1760
	s_wait_loadcnt_dscnt 0x801
	v_mul_f64_e32 v[188:189], v[4:5], v[158:159]
	v_mul_f64_e32 v[158:159], v[6:7], v[158:159]
	s_wait_loadcnt_dscnt 0x700
	v_mul_f64_e32 v[154:155], v[144:145], v[162:163]
	v_mul_f64_e32 v[162:163], v[146:147], v[162:163]
	v_add_f64_e32 v[148:149], v[150:151], v[148:149]
	v_add_f64_e32 v[150:151], v[176:177], v[192:193]
	v_fmac_f64_e32 v[188:189], v[6:7], v[156:157]
	v_fma_f64 v[156:157], v[4:5], v[156:157], -v[158:159]
	v_fmac_f64_e32 v[154:155], v[146:147], v[160:161]
	v_fma_f64 v[144:145], v[144:145], v[160:161], -v[162:163]
	v_add_f64_e32 v[152:153], v[148:149], v[152:153]
	v_add_f64_e32 v[158:159], v[150:151], v[178:179]
	ds_load_b128 v[4:7], v2 offset:1776
	ds_load_b128 v[148:151], v2 offset:1792
	s_wait_loadcnt_dscnt 0x601
	v_mul_f64_e32 v[176:177], v[4:5], v[170:171]
	v_mul_f64_e32 v[170:171], v[6:7], v[170:171]
	v_add_f64_e32 v[146:147], v[152:153], v[156:157]
	v_add_f64_e32 v[152:153], v[158:159], v[188:189]
	s_wait_loadcnt_dscnt 0x500
	v_mul_f64_e32 v[156:157], v[148:149], v[182:183]
	v_mul_f64_e32 v[158:159], v[150:151], v[182:183]
	v_fmac_f64_e32 v[176:177], v[6:7], v[168:169]
	v_fma_f64 v[160:161], v[4:5], v[168:169], -v[170:171]
	v_add_f64_e32 v[162:163], v[146:147], v[144:145]
	v_add_f64_e32 v[152:153], v[152:153], v[154:155]
	ds_load_b128 v[4:7], v2 offset:1808
	ds_load_b128 v[144:147], v2 offset:1824
	v_fmac_f64_e32 v[156:157], v[150:151], v[180:181]
	v_fma_f64 v[148:149], v[148:149], v[180:181], -v[158:159]
	s_wait_loadcnt_dscnt 0x401
	v_mul_f64_e32 v[154:155], v[4:5], v[166:167]
	v_mul_f64_e32 v[166:167], v[6:7], v[166:167]
	s_wait_loadcnt_dscnt 0x300
	v_mul_f64_e32 v[158:159], v[144:145], v[12:13]
	v_mul_f64_e32 v[12:13], v[146:147], v[12:13]
	v_add_f64_e32 v[150:151], v[162:163], v[160:161]
	v_add_f64_e32 v[152:153], v[152:153], v[176:177]
	v_fmac_f64_e32 v[154:155], v[6:7], v[164:165]
	v_fma_f64 v[160:161], v[4:5], v[164:165], -v[166:167]
	v_fmac_f64_e32 v[158:159], v[146:147], v[10:11]
	v_fma_f64 v[10:11], v[144:145], v[10:11], -v[12:13]
	v_add_f64_e32 v[162:163], v[150:151], v[148:149]
	v_add_f64_e32 v[152:153], v[152:153], v[156:157]
	ds_load_b128 v[4:7], v2 offset:1840
	ds_load_b128 v[148:151], v2 offset:1856
	s_wait_loadcnt_dscnt 0x201
	v_mul_f64_e32 v[156:157], v[4:5], v[134:135]
	v_mul_f64_e32 v[134:135], v[6:7], v[134:135]
	s_wait_loadcnt_dscnt 0x100
	v_mul_f64_e32 v[146:147], v[148:149], v[138:139]
	v_mul_f64_e32 v[138:139], v[150:151], v[138:139]
	v_add_f64_e32 v[12:13], v[162:163], v[160:161]
	v_add_f64_e32 v[144:145], v[152:153], v[154:155]
	v_fmac_f64_e32 v[156:157], v[6:7], v[132:133]
	v_fma_f64 v[132:133], v[4:5], v[132:133], -v[134:135]
	ds_load_b128 v[4:7], v2 offset:1872
	v_fmac_f64_e32 v[146:147], v[150:151], v[136:137]
	v_fma_f64 v[136:137], v[148:149], v[136:137], -v[138:139]
	v_add_f64_e32 v[10:11], v[12:13], v[10:11]
	v_add_f64_e32 v[12:13], v[144:145], v[158:159]
	s_wait_loadcnt_dscnt 0x0
	v_mul_f64_e32 v[134:135], v[4:5], v[142:143]
	v_mul_f64_e32 v[142:143], v[6:7], v[142:143]
	s_delay_alu instid0(VALU_DEP_4) | instskip(NEXT) | instid1(VALU_DEP_4)
	v_add_f64_e32 v[10:11], v[10:11], v[132:133]
	v_add_f64_e32 v[12:13], v[12:13], v[156:157]
	s_delay_alu instid0(VALU_DEP_4) | instskip(NEXT) | instid1(VALU_DEP_4)
	v_fmac_f64_e32 v[134:135], v[6:7], v[140:141]
	v_fma_f64 v[4:5], v[4:5], v[140:141], -v[142:143]
	s_delay_alu instid0(VALU_DEP_4) | instskip(NEXT) | instid1(VALU_DEP_4)
	v_add_f64_e32 v[6:7], v[10:11], v[136:137]
	v_add_f64_e32 v[10:11], v[12:13], v[146:147]
	s_delay_alu instid0(VALU_DEP_2) | instskip(NEXT) | instid1(VALU_DEP_2)
	v_add_f64_e32 v[4:5], v[6:7], v[4:5]
	v_add_f64_e32 v[6:7], v[10:11], v[134:135]
	s_delay_alu instid0(VALU_DEP_2) | instskip(NEXT) | instid1(VALU_DEP_2)
	v_add_f64_e64 v[4:5], v[172:173], -v[4:5]
	v_add_f64_e64 v[6:7], v[174:175], -v[6:7]
	scratch_store_b128 off, v[4:7], off offset:464
	s_wait_xcnt 0x0
	v_cmpx_lt_u32_e32 28, v1
	s_cbranch_execz .LBB58_311
; %bb.310:
	scratch_load_b128 v[10:13], off, s42
	v_dual_mov_b32 v3, v2 :: v_dual_mov_b32 v4, v2
	v_mov_b32_e32 v5, v2
	scratch_store_b128 off, v[2:5], off offset:448
	s_wait_loadcnt 0x0
	ds_store_b128 v8, v[10:13]
.LBB58_311:
	s_wait_xcnt 0x0
	s_or_b32 exec_lo, exec_lo, s2
	s_wait_storecnt_dscnt 0x0
	s_barrier_signal -1
	s_barrier_wait -1
	s_clause 0x9
	scratch_load_b128 v[4:7], off, off offset:464
	scratch_load_b128 v[10:13], off, off offset:480
	;; [unrolled: 1-line block ×10, first 2 shown]
	ds_load_b128 v[164:167], v2 offset:1408
	ds_load_b128 v[172:175], v2 offset:1424
	s_clause 0x2
	scratch_load_b128 v[168:171], off, off offset:624
	scratch_load_b128 v[176:179], off, off offset:448
	;; [unrolled: 1-line block ×3, first 2 shown]
	s_mov_b32 s2, exec_lo
	s_wait_loadcnt_dscnt 0xc01
	v_mul_f64_e32 v[184:185], v[166:167], v[6:7]
	v_mul_f64_e32 v[188:189], v[164:165], v[6:7]
	s_wait_loadcnt_dscnt 0xb00
	v_mul_f64_e32 v[190:191], v[172:173], v[12:13]
	v_mul_f64_e32 v[12:13], v[174:175], v[12:13]
	s_delay_alu instid0(VALU_DEP_4) | instskip(NEXT) | instid1(VALU_DEP_4)
	v_fma_f64 v[192:193], v[164:165], v[4:5], -v[184:185]
	v_fmac_f64_e32 v[188:189], v[166:167], v[4:5]
	ds_load_b128 v[4:7], v2 offset:1440
	ds_load_b128 v[164:167], v2 offset:1456
	scratch_load_b128 v[184:187], off, off offset:656
	v_fmac_f64_e32 v[190:191], v[174:175], v[10:11]
	v_fma_f64 v[172:173], v[172:173], v[10:11], -v[12:13]
	scratch_load_b128 v[10:13], off, off offset:672
	s_wait_loadcnt_dscnt 0xc01
	v_mul_f64_e32 v[194:195], v[4:5], v[134:135]
	v_mul_f64_e32 v[134:135], v[6:7], v[134:135]
	v_add_f64_e32 v[174:175], 0, v[192:193]
	v_add_f64_e32 v[188:189], 0, v[188:189]
	s_wait_loadcnt_dscnt 0xb00
	v_mul_f64_e32 v[192:193], v[164:165], v[138:139]
	v_mul_f64_e32 v[138:139], v[166:167], v[138:139]
	v_fmac_f64_e32 v[194:195], v[6:7], v[132:133]
	v_fma_f64 v[196:197], v[4:5], v[132:133], -v[134:135]
	ds_load_b128 v[4:7], v2 offset:1472
	ds_load_b128 v[132:135], v2 offset:1488
	v_add_f64_e32 v[198:199], v[174:175], v[172:173]
	v_add_f64_e32 v[188:189], v[188:189], v[190:191]
	scratch_load_b128 v[172:175], off, off offset:688
	v_fmac_f64_e32 v[192:193], v[166:167], v[136:137]
	v_fma_f64 v[164:165], v[164:165], v[136:137], -v[138:139]
	scratch_load_b128 v[136:139], off, off offset:704
	s_wait_loadcnt_dscnt 0xc01
	v_mul_f64_e32 v[190:191], v[4:5], v[142:143]
	v_mul_f64_e32 v[142:143], v[6:7], v[142:143]
	v_add_f64_e32 v[166:167], v[198:199], v[196:197]
	v_add_f64_e32 v[188:189], v[188:189], v[194:195]
	s_wait_loadcnt_dscnt 0xb00
	v_mul_f64_e32 v[194:195], v[132:133], v[146:147]
	v_mul_f64_e32 v[146:147], v[134:135], v[146:147]
	v_fmac_f64_e32 v[190:191], v[6:7], v[140:141]
	v_fma_f64 v[196:197], v[4:5], v[140:141], -v[142:143]
	ds_load_b128 v[4:7], v2 offset:1504
	ds_load_b128 v[140:143], v2 offset:1520
	v_add_f64_e32 v[198:199], v[166:167], v[164:165]
	v_add_f64_e32 v[188:189], v[188:189], v[192:193]
	scratch_load_b128 v[164:167], off, off offset:720
	s_wait_loadcnt_dscnt 0xb01
	v_mul_f64_e32 v[192:193], v[4:5], v[150:151]
	v_mul_f64_e32 v[150:151], v[6:7], v[150:151]
	v_fmac_f64_e32 v[194:195], v[134:135], v[144:145]
	v_fma_f64 v[144:145], v[132:133], v[144:145], -v[146:147]
	scratch_load_b128 v[132:135], off, off offset:736
	v_add_f64_e32 v[146:147], v[198:199], v[196:197]
	v_add_f64_e32 v[188:189], v[188:189], v[190:191]
	s_wait_loadcnt_dscnt 0xb00
	v_mul_f64_e32 v[190:191], v[140:141], v[154:155]
	v_mul_f64_e32 v[154:155], v[142:143], v[154:155]
	v_fmac_f64_e32 v[192:193], v[6:7], v[148:149]
	v_fma_f64 v[196:197], v[4:5], v[148:149], -v[150:151]
	v_add_f64_e32 v[198:199], v[146:147], v[144:145]
	v_add_f64_e32 v[188:189], v[188:189], v[194:195]
	ds_load_b128 v[4:7], v2 offset:1536
	ds_load_b128 v[144:147], v2 offset:1552
	scratch_load_b128 v[148:151], off, off offset:752
	v_fmac_f64_e32 v[190:191], v[142:143], v[152:153]
	v_fma_f64 v[152:153], v[140:141], v[152:153], -v[154:155]
	scratch_load_b128 v[140:143], off, off offset:768
	s_wait_loadcnt_dscnt 0xc01
	v_mul_f64_e32 v[194:195], v[4:5], v[158:159]
	v_mul_f64_e32 v[158:159], v[6:7], v[158:159]
	v_add_f64_e32 v[154:155], v[198:199], v[196:197]
	v_add_f64_e32 v[188:189], v[188:189], v[192:193]
	s_wait_loadcnt_dscnt 0xb00
	v_mul_f64_e32 v[192:193], v[144:145], v[162:163]
	v_mul_f64_e32 v[162:163], v[146:147], v[162:163]
	v_fmac_f64_e32 v[194:195], v[6:7], v[156:157]
	v_fma_f64 v[196:197], v[4:5], v[156:157], -v[158:159]
	v_add_f64_e32 v[198:199], v[154:155], v[152:153]
	v_add_f64_e32 v[188:189], v[188:189], v[190:191]
	ds_load_b128 v[4:7], v2 offset:1568
	ds_load_b128 v[152:155], v2 offset:1584
	scratch_load_b128 v[156:159], off, off offset:784
	v_fmac_f64_e32 v[192:193], v[146:147], v[160:161]
	v_fma_f64 v[160:161], v[144:145], v[160:161], -v[162:163]
	scratch_load_b128 v[144:147], off, off offset:800
	s_wait_loadcnt_dscnt 0xc01
	v_mul_f64_e32 v[190:191], v[4:5], v[170:171]
	v_mul_f64_e32 v[170:171], v[6:7], v[170:171]
	;; [unrolled: 18-line block ×5, first 2 shown]
	v_add_f64_e32 v[182:183], v[198:199], v[196:197]
	v_add_f64_e32 v[188:189], v[188:189], v[194:195]
	s_wait_loadcnt_dscnt 0xa00
	v_mul_f64_e32 v[194:195], v[160:161], v[134:135]
	v_mul_f64_e32 v[134:135], v[162:163], v[134:135]
	v_fmac_f64_e32 v[190:191], v[6:7], v[164:165]
	v_fma_f64 v[196:197], v[4:5], v[164:165], -v[166:167]
	ds_load_b128 v[4:7], v2 offset:1696
	ds_load_b128 v[164:167], v2 offset:1712
	v_add_f64_e32 v[198:199], v[182:183], v[180:181]
	v_add_f64_e32 v[188:189], v[188:189], v[192:193]
	scratch_load_b128 v[180:183], off, off offset:912
	v_fmac_f64_e32 v[194:195], v[162:163], v[132:133]
	v_fma_f64 v[160:161], v[160:161], v[132:133], -v[134:135]
	scratch_load_b128 v[132:135], off, off offset:928
	s_wait_loadcnt_dscnt 0xb01
	v_mul_f64_e32 v[192:193], v[4:5], v[150:151]
	v_mul_f64_e32 v[150:151], v[6:7], v[150:151]
	v_add_f64_e32 v[162:163], v[198:199], v[196:197]
	v_add_f64_e32 v[188:189], v[188:189], v[190:191]
	s_wait_loadcnt_dscnt 0xa00
	v_mul_f64_e32 v[190:191], v[164:165], v[142:143]
	v_mul_f64_e32 v[142:143], v[166:167], v[142:143]
	v_fmac_f64_e32 v[192:193], v[6:7], v[148:149]
	v_fma_f64 v[196:197], v[4:5], v[148:149], -v[150:151]
	ds_load_b128 v[4:7], v2 offset:1728
	ds_load_b128 v[148:151], v2 offset:1744
	v_add_f64_e32 v[160:161], v[162:163], v[160:161]
	v_add_f64_e32 v[162:163], v[188:189], v[194:195]
	v_fmac_f64_e32 v[190:191], v[166:167], v[140:141]
	s_wait_loadcnt_dscnt 0x901
	v_mul_f64_e32 v[188:189], v[4:5], v[158:159]
	v_mul_f64_e32 v[158:159], v[6:7], v[158:159]
	v_fma_f64 v[140:141], v[164:165], v[140:141], -v[142:143]
	v_add_f64_e32 v[142:143], v[160:161], v[196:197]
	v_add_f64_e32 v[160:161], v[162:163], v[192:193]
	s_wait_loadcnt_dscnt 0x800
	v_mul_f64_e32 v[162:163], v[148:149], v[146:147]
	v_mul_f64_e32 v[146:147], v[150:151], v[146:147]
	v_fmac_f64_e32 v[188:189], v[6:7], v[156:157]
	v_fma_f64 v[156:157], v[4:5], v[156:157], -v[158:159]
	v_add_f64_e32 v[158:159], v[142:143], v[140:141]
	v_add_f64_e32 v[160:161], v[160:161], v[190:191]
	ds_load_b128 v[4:7], v2 offset:1760
	ds_load_b128 v[140:143], v2 offset:1776
	v_fmac_f64_e32 v[162:163], v[150:151], v[144:145]
	v_fma_f64 v[144:145], v[148:149], v[144:145], -v[146:147]
	s_wait_loadcnt_dscnt 0x701
	v_mul_f64_e32 v[164:165], v[4:5], v[170:171]
	v_mul_f64_e32 v[166:167], v[6:7], v[170:171]
	s_wait_loadcnt_dscnt 0x600
	v_mul_f64_e32 v[150:151], v[140:141], v[154:155]
	v_mul_f64_e32 v[154:155], v[142:143], v[154:155]
	v_add_f64_e32 v[146:147], v[158:159], v[156:157]
	v_add_f64_e32 v[148:149], v[160:161], v[188:189]
	v_fmac_f64_e32 v[164:165], v[6:7], v[168:169]
	v_fma_f64 v[156:157], v[4:5], v[168:169], -v[166:167]
	v_fmac_f64_e32 v[150:151], v[142:143], v[152:153]
	v_fma_f64 v[140:141], v[140:141], v[152:153], -v[154:155]
	v_add_f64_e32 v[158:159], v[146:147], v[144:145]
	v_add_f64_e32 v[148:149], v[148:149], v[162:163]
	ds_load_b128 v[4:7], v2 offset:1792
	ds_load_b128 v[144:147], v2 offset:1808
	s_wait_loadcnt_dscnt 0x501
	v_mul_f64_e32 v[160:161], v[4:5], v[186:187]
	v_mul_f64_e32 v[162:163], v[6:7], v[186:187]
	s_wait_loadcnt_dscnt 0x400
	v_mul_f64_e32 v[152:153], v[144:145], v[12:13]
	v_mul_f64_e32 v[12:13], v[146:147], v[12:13]
	v_add_f64_e32 v[142:143], v[158:159], v[156:157]
	v_add_f64_e32 v[148:149], v[148:149], v[164:165]
	v_fmac_f64_e32 v[160:161], v[6:7], v[184:185]
	v_fma_f64 v[154:155], v[4:5], v[184:185], -v[162:163]
	v_fmac_f64_e32 v[152:153], v[146:147], v[10:11]
	v_fma_f64 v[10:11], v[144:145], v[10:11], -v[12:13]
	v_add_f64_e32 v[156:157], v[142:143], v[140:141]
	v_add_f64_e32 v[148:149], v[148:149], v[150:151]
	ds_load_b128 v[4:7], v2 offset:1824
	ds_load_b128 v[140:143], v2 offset:1840
	;; [unrolled: 16-line block ×3, first 2 shown]
	s_wait_loadcnt_dscnt 0x101
	v_mul_f64_e32 v[2:3], v[4:5], v[182:183]
	v_mul_f64_e32 v[152:153], v[6:7], v[182:183]
	s_wait_loadcnt_dscnt 0x0
	v_mul_f64_e32 v[142:143], v[10:11], v[134:135]
	v_mul_f64_e32 v[134:135], v[12:13], v[134:135]
	v_add_f64_e32 v[138:139], v[154:155], v[148:149]
	v_add_f64_e32 v[140:141], v[144:145], v[150:151]
	v_fmac_f64_e32 v[2:3], v[6:7], v[180:181]
	v_fma_f64 v[4:5], v[4:5], v[180:181], -v[152:153]
	v_fmac_f64_e32 v[142:143], v[12:13], v[132:133]
	v_fma_f64 v[10:11], v[10:11], v[132:133], -v[134:135]
	v_add_f64_e32 v[6:7], v[138:139], v[136:137]
	v_add_f64_e32 v[136:137], v[140:141], v[146:147]
	s_delay_alu instid0(VALU_DEP_2) | instskip(NEXT) | instid1(VALU_DEP_2)
	v_add_f64_e32 v[4:5], v[6:7], v[4:5]
	v_add_f64_e32 v[2:3], v[136:137], v[2:3]
	s_delay_alu instid0(VALU_DEP_2) | instskip(NEXT) | instid1(VALU_DEP_2)
	;; [unrolled: 3-line block ×3, first 2 shown]
	v_add_f64_e64 v[2:3], v[176:177], -v[4:5]
	v_add_f64_e64 v[4:5], v[178:179], -v[6:7]
	scratch_store_b128 off, v[2:5], off offset:448
	s_wait_xcnt 0x0
	v_cmpx_lt_u32_e32 27, v1
	s_cbranch_execz .LBB58_313
; %bb.312:
	scratch_load_b128 v[2:5], off, s40
	v_mov_b32_e32 v10, 0
	s_delay_alu instid0(VALU_DEP_1)
	v_dual_mov_b32 v11, v10 :: v_dual_mov_b32 v12, v10
	v_mov_b32_e32 v13, v10
	scratch_store_b128 off, v[10:13], off offset:432
	s_wait_loadcnt 0x0
	ds_store_b128 v8, v[2:5]
.LBB58_313:
	s_wait_xcnt 0x0
	s_or_b32 exec_lo, exec_lo, s2
	s_wait_storecnt_dscnt 0x0
	s_barrier_signal -1
	s_barrier_wait -1
	s_clause 0x9
	scratch_load_b128 v[4:7], off, off offset:448
	scratch_load_b128 v[10:13], off, off offset:464
	;; [unrolled: 1-line block ×10, first 2 shown]
	v_mov_b32_e32 v2, 0
	s_mov_b32 s2, exec_lo
	ds_load_b128 v[164:167], v2 offset:1392
	s_clause 0x2
	scratch_load_b128 v[168:171], off, off offset:608
	scratch_load_b128 v[172:175], off, off offset:432
	scratch_load_b128 v[180:183], off, off offset:624
	s_wait_loadcnt_dscnt 0xc00
	v_mul_f64_e32 v[184:185], v[166:167], v[6:7]
	v_mul_f64_e32 v[188:189], v[164:165], v[6:7]
	ds_load_b128 v[176:179], v2 offset:1408
	v_fma_f64 v[192:193], v[164:165], v[4:5], -v[184:185]
	v_fmac_f64_e32 v[188:189], v[166:167], v[4:5]
	ds_load_b128 v[4:7], v2 offset:1424
	s_wait_loadcnt_dscnt 0xb01
	v_mul_f64_e32 v[190:191], v[176:177], v[12:13]
	v_mul_f64_e32 v[12:13], v[178:179], v[12:13]
	scratch_load_b128 v[164:167], off, off offset:640
	ds_load_b128 v[184:187], v2 offset:1440
	s_wait_loadcnt_dscnt 0xb01
	v_mul_f64_e32 v[194:195], v[4:5], v[134:135]
	v_mul_f64_e32 v[134:135], v[6:7], v[134:135]
	v_add_f64_e32 v[188:189], 0, v[188:189]
	v_fmac_f64_e32 v[190:191], v[178:179], v[10:11]
	v_fma_f64 v[176:177], v[176:177], v[10:11], -v[12:13]
	v_add_f64_e32 v[178:179], 0, v[192:193]
	scratch_load_b128 v[10:13], off, off offset:656
	v_fmac_f64_e32 v[194:195], v[6:7], v[132:133]
	v_fma_f64 v[196:197], v[4:5], v[132:133], -v[134:135]
	ds_load_b128 v[4:7], v2 offset:1456
	s_wait_loadcnt_dscnt 0xb01
	v_mul_f64_e32 v[192:193], v[184:185], v[138:139]
	v_mul_f64_e32 v[138:139], v[186:187], v[138:139]
	scratch_load_b128 v[132:135], off, off offset:672
	v_add_f64_e32 v[188:189], v[188:189], v[190:191]
	v_add_f64_e32 v[198:199], v[178:179], v[176:177]
	ds_load_b128 v[176:179], v2 offset:1472
	s_wait_loadcnt_dscnt 0xb01
	v_mul_f64_e32 v[190:191], v[4:5], v[142:143]
	v_mul_f64_e32 v[142:143], v[6:7], v[142:143]
	v_fmac_f64_e32 v[192:193], v[186:187], v[136:137]
	v_fma_f64 v[184:185], v[184:185], v[136:137], -v[138:139]
	scratch_load_b128 v[136:139], off, off offset:688
	v_add_f64_e32 v[188:189], v[188:189], v[194:195]
	v_add_f64_e32 v[186:187], v[198:199], v[196:197]
	v_fmac_f64_e32 v[190:191], v[6:7], v[140:141]
	v_fma_f64 v[196:197], v[4:5], v[140:141], -v[142:143]
	ds_load_b128 v[4:7], v2 offset:1488
	s_wait_loadcnt_dscnt 0xb01
	v_mul_f64_e32 v[194:195], v[176:177], v[146:147]
	v_mul_f64_e32 v[146:147], v[178:179], v[146:147]
	scratch_load_b128 v[140:143], off, off offset:704
	v_add_f64_e32 v[188:189], v[188:189], v[192:193]
	s_wait_loadcnt_dscnt 0xb00
	v_mul_f64_e32 v[192:193], v[4:5], v[150:151]
	v_add_f64_e32 v[198:199], v[186:187], v[184:185]
	v_mul_f64_e32 v[150:151], v[6:7], v[150:151]
	ds_load_b128 v[184:187], v2 offset:1504
	v_fmac_f64_e32 v[194:195], v[178:179], v[144:145]
	v_fma_f64 v[176:177], v[176:177], v[144:145], -v[146:147]
	scratch_load_b128 v[144:147], off, off offset:720
	v_add_f64_e32 v[188:189], v[188:189], v[190:191]
	v_fmac_f64_e32 v[192:193], v[6:7], v[148:149]
	v_add_f64_e32 v[178:179], v[198:199], v[196:197]
	v_fma_f64 v[196:197], v[4:5], v[148:149], -v[150:151]
	ds_load_b128 v[4:7], v2 offset:1520
	s_wait_loadcnt_dscnt 0xb01
	v_mul_f64_e32 v[190:191], v[184:185], v[154:155]
	v_mul_f64_e32 v[154:155], v[186:187], v[154:155]
	scratch_load_b128 v[148:151], off, off offset:736
	v_add_f64_e32 v[188:189], v[188:189], v[194:195]
	s_wait_loadcnt_dscnt 0xb00
	v_mul_f64_e32 v[194:195], v[4:5], v[158:159]
	v_add_f64_e32 v[198:199], v[178:179], v[176:177]
	v_mul_f64_e32 v[158:159], v[6:7], v[158:159]
	ds_load_b128 v[176:179], v2 offset:1536
	v_fmac_f64_e32 v[190:191], v[186:187], v[152:153]
	v_fma_f64 v[184:185], v[184:185], v[152:153], -v[154:155]
	scratch_load_b128 v[152:155], off, off offset:752
	v_add_f64_e32 v[188:189], v[188:189], v[192:193]
	v_fmac_f64_e32 v[194:195], v[6:7], v[156:157]
	v_add_f64_e32 v[186:187], v[198:199], v[196:197]
	;; [unrolled: 18-line block ×3, first 2 shown]
	v_fma_f64 v[196:197], v[4:5], v[168:169], -v[170:171]
	ds_load_b128 v[4:7], v2 offset:1584
	s_wait_loadcnt_dscnt 0xa01
	v_mul_f64_e32 v[194:195], v[184:185], v[182:183]
	v_mul_f64_e32 v[182:183], v[186:187], v[182:183]
	scratch_load_b128 v[168:171], off, off offset:800
	v_add_f64_e32 v[188:189], v[188:189], v[192:193]
	v_add_f64_e32 v[198:199], v[178:179], v[176:177]
	s_wait_loadcnt_dscnt 0xa00
	v_mul_f64_e32 v[192:193], v[4:5], v[166:167]
	v_mul_f64_e32 v[166:167], v[6:7], v[166:167]
	v_fmac_f64_e32 v[194:195], v[186:187], v[180:181]
	v_fma_f64 v[184:185], v[184:185], v[180:181], -v[182:183]
	ds_load_b128 v[176:179], v2 offset:1600
	scratch_load_b128 v[180:183], off, off offset:816
	v_add_f64_e32 v[188:189], v[188:189], v[190:191]
	v_add_f64_e32 v[186:187], v[198:199], v[196:197]
	v_fmac_f64_e32 v[192:193], v[6:7], v[164:165]
	v_fma_f64 v[196:197], v[4:5], v[164:165], -v[166:167]
	ds_load_b128 v[4:7], v2 offset:1616
	s_wait_loadcnt_dscnt 0xa01
	v_mul_f64_e32 v[190:191], v[176:177], v[12:13]
	v_mul_f64_e32 v[12:13], v[178:179], v[12:13]
	scratch_load_b128 v[164:167], off, off offset:832
	v_add_f64_e32 v[188:189], v[188:189], v[194:195]
	s_wait_loadcnt_dscnt 0xa00
	v_mul_f64_e32 v[194:195], v[4:5], v[134:135]
	v_add_f64_e32 v[198:199], v[186:187], v[184:185]
	v_mul_f64_e32 v[134:135], v[6:7], v[134:135]
	ds_load_b128 v[184:187], v2 offset:1632
	v_fmac_f64_e32 v[190:191], v[178:179], v[10:11]
	v_fma_f64 v[176:177], v[176:177], v[10:11], -v[12:13]
	scratch_load_b128 v[10:13], off, off offset:848
	v_add_f64_e32 v[188:189], v[188:189], v[192:193]
	v_fmac_f64_e32 v[194:195], v[6:7], v[132:133]
	v_add_f64_e32 v[178:179], v[198:199], v[196:197]
	v_fma_f64 v[196:197], v[4:5], v[132:133], -v[134:135]
	ds_load_b128 v[4:7], v2 offset:1648
	s_wait_loadcnt_dscnt 0xa01
	v_mul_f64_e32 v[192:193], v[184:185], v[138:139]
	v_mul_f64_e32 v[138:139], v[186:187], v[138:139]
	scratch_load_b128 v[132:135], off, off offset:864
	v_add_f64_e32 v[188:189], v[188:189], v[190:191]
	s_wait_loadcnt_dscnt 0xa00
	v_mul_f64_e32 v[190:191], v[4:5], v[142:143]
	v_add_f64_e32 v[198:199], v[178:179], v[176:177]
	v_mul_f64_e32 v[142:143], v[6:7], v[142:143]
	ds_load_b128 v[176:179], v2 offset:1664
	v_fmac_f64_e32 v[192:193], v[186:187], v[136:137]
	v_fma_f64 v[184:185], v[184:185], v[136:137], -v[138:139]
	scratch_load_b128 v[136:139], off, off offset:880
	v_add_f64_e32 v[188:189], v[188:189], v[194:195]
	v_fmac_f64_e32 v[190:191], v[6:7], v[140:141]
	v_add_f64_e32 v[186:187], v[198:199], v[196:197]
	;; [unrolled: 18-line block ×3, first 2 shown]
	v_fma_f64 v[196:197], v[4:5], v[148:149], -v[150:151]
	ds_load_b128 v[4:7], v2 offset:1712
	s_wait_loadcnt_dscnt 0xa01
	v_mul_f64_e32 v[190:191], v[184:185], v[154:155]
	v_mul_f64_e32 v[154:155], v[186:187], v[154:155]
	scratch_load_b128 v[148:151], off, off offset:928
	v_add_f64_e32 v[188:189], v[188:189], v[194:195]
	s_wait_loadcnt_dscnt 0xa00
	v_mul_f64_e32 v[194:195], v[4:5], v[158:159]
	v_add_f64_e32 v[198:199], v[178:179], v[176:177]
	v_mul_f64_e32 v[158:159], v[6:7], v[158:159]
	ds_load_b128 v[176:179], v2 offset:1728
	v_fmac_f64_e32 v[190:191], v[186:187], v[152:153]
	v_fma_f64 v[152:153], v[184:185], v[152:153], -v[154:155]
	s_wait_loadcnt_dscnt 0x900
	v_mul_f64_e32 v[186:187], v[176:177], v[162:163]
	v_mul_f64_e32 v[162:163], v[178:179], v[162:163]
	v_add_f64_e32 v[184:185], v[188:189], v[192:193]
	v_fmac_f64_e32 v[194:195], v[6:7], v[156:157]
	v_add_f64_e32 v[154:155], v[198:199], v[196:197]
	v_fma_f64 v[156:157], v[4:5], v[156:157], -v[158:159]
	v_fmac_f64_e32 v[186:187], v[178:179], v[160:161]
	v_fma_f64 v[160:161], v[176:177], v[160:161], -v[162:163]
	v_add_f64_e32 v[184:185], v[184:185], v[190:191]
	v_add_f64_e32 v[158:159], v[154:155], v[152:153]
	ds_load_b128 v[4:7], v2 offset:1744
	ds_load_b128 v[152:155], v2 offset:1760
	s_wait_loadcnt_dscnt 0x801
	v_mul_f64_e32 v[188:189], v[4:5], v[170:171]
	v_mul_f64_e32 v[170:171], v[6:7], v[170:171]
	s_wait_loadcnt_dscnt 0x700
	v_mul_f64_e32 v[162:163], v[152:153], v[182:183]
	v_mul_f64_e32 v[176:177], v[154:155], v[182:183]
	v_add_f64_e32 v[156:157], v[158:159], v[156:157]
	v_add_f64_e32 v[158:159], v[184:185], v[194:195]
	v_fmac_f64_e32 v[188:189], v[6:7], v[168:169]
	v_fma_f64 v[168:169], v[4:5], v[168:169], -v[170:171]
	v_fmac_f64_e32 v[162:163], v[154:155], v[180:181]
	v_fma_f64 v[152:153], v[152:153], v[180:181], -v[176:177]
	v_add_f64_e32 v[160:161], v[156:157], v[160:161]
	v_add_f64_e32 v[170:171], v[158:159], v[186:187]
	ds_load_b128 v[4:7], v2 offset:1776
	ds_load_b128 v[156:159], v2 offset:1792
	s_wait_loadcnt_dscnt 0x601
	v_mul_f64_e32 v[178:179], v[4:5], v[166:167]
	v_mul_f64_e32 v[166:167], v[6:7], v[166:167]
	v_add_f64_e32 v[154:155], v[160:161], v[168:169]
	v_add_f64_e32 v[160:161], v[170:171], v[188:189]
	s_wait_loadcnt_dscnt 0x500
	v_mul_f64_e32 v[168:169], v[156:157], v[12:13]
	v_mul_f64_e32 v[12:13], v[158:159], v[12:13]
	v_fmac_f64_e32 v[178:179], v[6:7], v[164:165]
	v_fma_f64 v[164:165], v[4:5], v[164:165], -v[166:167]
	v_add_f64_e32 v[166:167], v[154:155], v[152:153]
	v_add_f64_e32 v[160:161], v[160:161], v[162:163]
	ds_load_b128 v[4:7], v2 offset:1808
	ds_load_b128 v[152:155], v2 offset:1824
	v_fmac_f64_e32 v[168:169], v[158:159], v[10:11]
	v_fma_f64 v[10:11], v[156:157], v[10:11], -v[12:13]
	s_wait_loadcnt_dscnt 0x401
	v_mul_f64_e32 v[162:163], v[4:5], v[134:135]
	v_mul_f64_e32 v[134:135], v[6:7], v[134:135]
	s_wait_loadcnt_dscnt 0x300
	v_mul_f64_e32 v[158:159], v[152:153], v[138:139]
	v_mul_f64_e32 v[138:139], v[154:155], v[138:139]
	v_add_f64_e32 v[12:13], v[166:167], v[164:165]
	v_add_f64_e32 v[156:157], v[160:161], v[178:179]
	v_fmac_f64_e32 v[162:163], v[6:7], v[132:133]
	v_fma_f64 v[132:133], v[4:5], v[132:133], -v[134:135]
	v_fmac_f64_e32 v[158:159], v[154:155], v[136:137]
	v_fma_f64 v[136:137], v[152:153], v[136:137], -v[138:139]
	v_add_f64_e32 v[134:135], v[12:13], v[10:11]
	v_add_f64_e32 v[156:157], v[156:157], v[168:169]
	ds_load_b128 v[4:7], v2 offset:1840
	ds_load_b128 v[10:13], v2 offset:1856
	s_wait_loadcnt_dscnt 0x201
	v_mul_f64_e32 v[160:161], v[4:5], v[142:143]
	v_mul_f64_e32 v[142:143], v[6:7], v[142:143]
	s_wait_loadcnt_dscnt 0x100
	v_mul_f64_e32 v[138:139], v[10:11], v[146:147]
	v_mul_f64_e32 v[146:147], v[12:13], v[146:147]
	v_add_f64_e32 v[132:133], v[134:135], v[132:133]
	v_add_f64_e32 v[134:135], v[156:157], v[162:163]
	v_fmac_f64_e32 v[160:161], v[6:7], v[140:141]
	v_fma_f64 v[140:141], v[4:5], v[140:141], -v[142:143]
	ds_load_b128 v[4:7], v2 offset:1872
	v_fmac_f64_e32 v[138:139], v[12:13], v[144:145]
	v_fma_f64 v[10:11], v[10:11], v[144:145], -v[146:147]
	v_add_f64_e32 v[132:133], v[132:133], v[136:137]
	v_add_f64_e32 v[134:135], v[134:135], v[158:159]
	s_wait_loadcnt_dscnt 0x0
	v_mul_f64_e32 v[136:137], v[4:5], v[150:151]
	v_mul_f64_e32 v[142:143], v[6:7], v[150:151]
	s_delay_alu instid0(VALU_DEP_4) | instskip(NEXT) | instid1(VALU_DEP_4)
	v_add_f64_e32 v[12:13], v[132:133], v[140:141]
	v_add_f64_e32 v[132:133], v[134:135], v[160:161]
	s_delay_alu instid0(VALU_DEP_4) | instskip(NEXT) | instid1(VALU_DEP_4)
	v_fmac_f64_e32 v[136:137], v[6:7], v[148:149]
	v_fma_f64 v[4:5], v[4:5], v[148:149], -v[142:143]
	s_delay_alu instid0(VALU_DEP_4) | instskip(NEXT) | instid1(VALU_DEP_4)
	v_add_f64_e32 v[6:7], v[12:13], v[10:11]
	v_add_f64_e32 v[10:11], v[132:133], v[138:139]
	s_delay_alu instid0(VALU_DEP_2) | instskip(NEXT) | instid1(VALU_DEP_2)
	v_add_f64_e32 v[4:5], v[6:7], v[4:5]
	v_add_f64_e32 v[6:7], v[10:11], v[136:137]
	s_delay_alu instid0(VALU_DEP_2) | instskip(NEXT) | instid1(VALU_DEP_2)
	v_add_f64_e64 v[4:5], v[172:173], -v[4:5]
	v_add_f64_e64 v[6:7], v[174:175], -v[6:7]
	scratch_store_b128 off, v[4:7], off offset:432
	s_wait_xcnt 0x0
	v_cmpx_lt_u32_e32 26, v1
	s_cbranch_execz .LBB58_315
; %bb.314:
	scratch_load_b128 v[10:13], off, s46
	v_dual_mov_b32 v3, v2 :: v_dual_mov_b32 v4, v2
	v_mov_b32_e32 v5, v2
	scratch_store_b128 off, v[2:5], off offset:416
	s_wait_loadcnt 0x0
	ds_store_b128 v8, v[10:13]
.LBB58_315:
	s_wait_xcnt 0x0
	s_or_b32 exec_lo, exec_lo, s2
	s_wait_storecnt_dscnt 0x0
	s_barrier_signal -1
	s_barrier_wait -1
	s_clause 0x9
	scratch_load_b128 v[4:7], off, off offset:432
	scratch_load_b128 v[10:13], off, off offset:448
	;; [unrolled: 1-line block ×10, first 2 shown]
	ds_load_b128 v[164:167], v2 offset:1376
	ds_load_b128 v[172:175], v2 offset:1392
	s_clause 0x2
	scratch_load_b128 v[168:171], off, off offset:592
	scratch_load_b128 v[176:179], off, off offset:416
	;; [unrolled: 1-line block ×3, first 2 shown]
	s_mov_b32 s2, exec_lo
	s_wait_loadcnt_dscnt 0xc01
	v_mul_f64_e32 v[184:185], v[166:167], v[6:7]
	v_mul_f64_e32 v[188:189], v[164:165], v[6:7]
	s_wait_loadcnt_dscnt 0xb00
	v_mul_f64_e32 v[190:191], v[172:173], v[12:13]
	v_mul_f64_e32 v[12:13], v[174:175], v[12:13]
	s_delay_alu instid0(VALU_DEP_4) | instskip(NEXT) | instid1(VALU_DEP_4)
	v_fma_f64 v[192:193], v[164:165], v[4:5], -v[184:185]
	v_fmac_f64_e32 v[188:189], v[166:167], v[4:5]
	ds_load_b128 v[4:7], v2 offset:1408
	ds_load_b128 v[164:167], v2 offset:1424
	scratch_load_b128 v[184:187], off, off offset:624
	v_fmac_f64_e32 v[190:191], v[174:175], v[10:11]
	v_fma_f64 v[172:173], v[172:173], v[10:11], -v[12:13]
	scratch_load_b128 v[10:13], off, off offset:640
	s_wait_loadcnt_dscnt 0xc01
	v_mul_f64_e32 v[194:195], v[4:5], v[134:135]
	v_mul_f64_e32 v[134:135], v[6:7], v[134:135]
	v_add_f64_e32 v[174:175], 0, v[192:193]
	v_add_f64_e32 v[188:189], 0, v[188:189]
	s_wait_loadcnt_dscnt 0xb00
	v_mul_f64_e32 v[192:193], v[164:165], v[138:139]
	v_mul_f64_e32 v[138:139], v[166:167], v[138:139]
	v_fmac_f64_e32 v[194:195], v[6:7], v[132:133]
	v_fma_f64 v[196:197], v[4:5], v[132:133], -v[134:135]
	ds_load_b128 v[4:7], v2 offset:1440
	ds_load_b128 v[132:135], v2 offset:1456
	v_add_f64_e32 v[198:199], v[174:175], v[172:173]
	v_add_f64_e32 v[188:189], v[188:189], v[190:191]
	scratch_load_b128 v[172:175], off, off offset:656
	v_fmac_f64_e32 v[192:193], v[166:167], v[136:137]
	v_fma_f64 v[164:165], v[164:165], v[136:137], -v[138:139]
	scratch_load_b128 v[136:139], off, off offset:672
	s_wait_loadcnt_dscnt 0xc01
	v_mul_f64_e32 v[190:191], v[4:5], v[142:143]
	v_mul_f64_e32 v[142:143], v[6:7], v[142:143]
	v_add_f64_e32 v[166:167], v[198:199], v[196:197]
	v_add_f64_e32 v[188:189], v[188:189], v[194:195]
	s_wait_loadcnt_dscnt 0xb00
	v_mul_f64_e32 v[194:195], v[132:133], v[146:147]
	v_mul_f64_e32 v[146:147], v[134:135], v[146:147]
	v_fmac_f64_e32 v[190:191], v[6:7], v[140:141]
	v_fma_f64 v[196:197], v[4:5], v[140:141], -v[142:143]
	ds_load_b128 v[4:7], v2 offset:1472
	ds_load_b128 v[140:143], v2 offset:1488
	v_add_f64_e32 v[198:199], v[166:167], v[164:165]
	v_add_f64_e32 v[188:189], v[188:189], v[192:193]
	scratch_load_b128 v[164:167], off, off offset:688
	s_wait_loadcnt_dscnt 0xb01
	v_mul_f64_e32 v[192:193], v[4:5], v[150:151]
	v_mul_f64_e32 v[150:151], v[6:7], v[150:151]
	v_fmac_f64_e32 v[194:195], v[134:135], v[144:145]
	v_fma_f64 v[144:145], v[132:133], v[144:145], -v[146:147]
	scratch_load_b128 v[132:135], off, off offset:704
	v_add_f64_e32 v[146:147], v[198:199], v[196:197]
	v_add_f64_e32 v[188:189], v[188:189], v[190:191]
	s_wait_loadcnt_dscnt 0xb00
	v_mul_f64_e32 v[190:191], v[140:141], v[154:155]
	v_mul_f64_e32 v[154:155], v[142:143], v[154:155]
	v_fmac_f64_e32 v[192:193], v[6:7], v[148:149]
	v_fma_f64 v[196:197], v[4:5], v[148:149], -v[150:151]
	v_add_f64_e32 v[198:199], v[146:147], v[144:145]
	v_add_f64_e32 v[188:189], v[188:189], v[194:195]
	ds_load_b128 v[4:7], v2 offset:1504
	ds_load_b128 v[144:147], v2 offset:1520
	scratch_load_b128 v[148:151], off, off offset:720
	v_fmac_f64_e32 v[190:191], v[142:143], v[152:153]
	v_fma_f64 v[152:153], v[140:141], v[152:153], -v[154:155]
	scratch_load_b128 v[140:143], off, off offset:736
	s_wait_loadcnt_dscnt 0xc01
	v_mul_f64_e32 v[194:195], v[4:5], v[158:159]
	v_mul_f64_e32 v[158:159], v[6:7], v[158:159]
	v_add_f64_e32 v[154:155], v[198:199], v[196:197]
	v_add_f64_e32 v[188:189], v[188:189], v[192:193]
	s_wait_loadcnt_dscnt 0xb00
	v_mul_f64_e32 v[192:193], v[144:145], v[162:163]
	v_mul_f64_e32 v[162:163], v[146:147], v[162:163]
	v_fmac_f64_e32 v[194:195], v[6:7], v[156:157]
	v_fma_f64 v[196:197], v[4:5], v[156:157], -v[158:159]
	v_add_f64_e32 v[198:199], v[154:155], v[152:153]
	v_add_f64_e32 v[188:189], v[188:189], v[190:191]
	ds_load_b128 v[4:7], v2 offset:1536
	ds_load_b128 v[152:155], v2 offset:1552
	scratch_load_b128 v[156:159], off, off offset:752
	v_fmac_f64_e32 v[192:193], v[146:147], v[160:161]
	v_fma_f64 v[160:161], v[144:145], v[160:161], -v[162:163]
	scratch_load_b128 v[144:147], off, off offset:768
	s_wait_loadcnt_dscnt 0xc01
	v_mul_f64_e32 v[190:191], v[4:5], v[170:171]
	v_mul_f64_e32 v[170:171], v[6:7], v[170:171]
	;; [unrolled: 18-line block ×5, first 2 shown]
	v_add_f64_e32 v[182:183], v[198:199], v[196:197]
	v_add_f64_e32 v[188:189], v[188:189], v[194:195]
	s_wait_loadcnt_dscnt 0xa00
	v_mul_f64_e32 v[194:195], v[160:161], v[134:135]
	v_mul_f64_e32 v[134:135], v[162:163], v[134:135]
	v_fmac_f64_e32 v[190:191], v[6:7], v[164:165]
	v_fma_f64 v[196:197], v[4:5], v[164:165], -v[166:167]
	ds_load_b128 v[4:7], v2 offset:1664
	ds_load_b128 v[164:167], v2 offset:1680
	v_add_f64_e32 v[198:199], v[182:183], v[180:181]
	v_add_f64_e32 v[188:189], v[188:189], v[192:193]
	scratch_load_b128 v[180:183], off, off offset:880
	v_fmac_f64_e32 v[194:195], v[162:163], v[132:133]
	v_fma_f64 v[160:161], v[160:161], v[132:133], -v[134:135]
	scratch_load_b128 v[132:135], off, off offset:896
	s_wait_loadcnt_dscnt 0xb01
	v_mul_f64_e32 v[192:193], v[4:5], v[150:151]
	v_mul_f64_e32 v[150:151], v[6:7], v[150:151]
	v_add_f64_e32 v[162:163], v[198:199], v[196:197]
	v_add_f64_e32 v[188:189], v[188:189], v[190:191]
	s_wait_loadcnt_dscnt 0xa00
	v_mul_f64_e32 v[190:191], v[164:165], v[142:143]
	v_mul_f64_e32 v[142:143], v[166:167], v[142:143]
	v_fmac_f64_e32 v[192:193], v[6:7], v[148:149]
	v_fma_f64 v[196:197], v[4:5], v[148:149], -v[150:151]
	ds_load_b128 v[4:7], v2 offset:1696
	ds_load_b128 v[148:151], v2 offset:1712
	v_add_f64_e32 v[198:199], v[162:163], v[160:161]
	v_add_f64_e32 v[188:189], v[188:189], v[194:195]
	scratch_load_b128 v[160:163], off, off offset:912
	s_wait_loadcnt_dscnt 0xa01
	v_mul_f64_e32 v[194:195], v[4:5], v[158:159]
	v_mul_f64_e32 v[158:159], v[6:7], v[158:159]
	v_fmac_f64_e32 v[190:191], v[166:167], v[140:141]
	v_fma_f64 v[164:165], v[164:165], v[140:141], -v[142:143]
	scratch_load_b128 v[140:143], off, off offset:928
	v_add_f64_e32 v[166:167], v[198:199], v[196:197]
	v_add_f64_e32 v[188:189], v[188:189], v[192:193]
	s_wait_loadcnt_dscnt 0xa00
	v_mul_f64_e32 v[192:193], v[148:149], v[146:147]
	v_mul_f64_e32 v[146:147], v[150:151], v[146:147]
	v_fmac_f64_e32 v[194:195], v[6:7], v[156:157]
	v_fma_f64 v[196:197], v[4:5], v[156:157], -v[158:159]
	ds_load_b128 v[4:7], v2 offset:1728
	ds_load_b128 v[156:159], v2 offset:1744
	v_add_f64_e32 v[164:165], v[166:167], v[164:165]
	v_add_f64_e32 v[166:167], v[188:189], v[190:191]
	v_fmac_f64_e32 v[192:193], v[150:151], v[144:145]
	s_wait_loadcnt_dscnt 0x901
	v_mul_f64_e32 v[188:189], v[4:5], v[170:171]
	v_mul_f64_e32 v[170:171], v[6:7], v[170:171]
	v_fma_f64 v[144:145], v[148:149], v[144:145], -v[146:147]
	s_wait_loadcnt_dscnt 0x800
	v_mul_f64_e32 v[150:151], v[156:157], v[154:155]
	v_mul_f64_e32 v[154:155], v[158:159], v[154:155]
	v_add_f64_e32 v[146:147], v[164:165], v[196:197]
	v_add_f64_e32 v[148:149], v[166:167], v[194:195]
	v_fmac_f64_e32 v[188:189], v[6:7], v[168:169]
	v_fma_f64 v[164:165], v[4:5], v[168:169], -v[170:171]
	v_fmac_f64_e32 v[150:151], v[158:159], v[152:153]
	v_fma_f64 v[152:153], v[156:157], v[152:153], -v[154:155]
	v_add_f64_e32 v[166:167], v[146:147], v[144:145]
	v_add_f64_e32 v[148:149], v[148:149], v[192:193]
	ds_load_b128 v[4:7], v2 offset:1760
	ds_load_b128 v[144:147], v2 offset:1776
	s_wait_loadcnt_dscnt 0x701
	v_mul_f64_e32 v[168:169], v[4:5], v[186:187]
	v_mul_f64_e32 v[170:171], v[6:7], v[186:187]
	s_wait_loadcnt_dscnt 0x600
	v_mul_f64_e32 v[156:157], v[144:145], v[12:13]
	v_mul_f64_e32 v[12:13], v[146:147], v[12:13]
	v_add_f64_e32 v[154:155], v[166:167], v[164:165]
	v_add_f64_e32 v[148:149], v[148:149], v[188:189]
	v_fmac_f64_e32 v[168:169], v[6:7], v[184:185]
	v_fma_f64 v[158:159], v[4:5], v[184:185], -v[170:171]
	v_fmac_f64_e32 v[156:157], v[146:147], v[10:11]
	v_fma_f64 v[10:11], v[144:145], v[10:11], -v[12:13]
	v_add_f64_e32 v[152:153], v[154:155], v[152:153]
	v_add_f64_e32 v[154:155], v[148:149], v[150:151]
	ds_load_b128 v[4:7], v2 offset:1792
	ds_load_b128 v[148:151], v2 offset:1808
	s_wait_loadcnt_dscnt 0x501
	v_mul_f64_e32 v[164:165], v[4:5], v[174:175]
	v_mul_f64_e32 v[166:167], v[6:7], v[174:175]
	;; [unrolled: 16-line block ×4, first 2 shown]
	v_add_f64_e32 v[12:13], v[138:139], v[152:153]
	v_add_f64_e32 v[132:133], v[144:145], v[156:157]
	s_wait_loadcnt_dscnt 0x0
	v_mul_f64_e32 v[138:139], v[134:135], v[142:143]
	v_mul_f64_e32 v[142:143], v[136:137], v[142:143]
	v_fmac_f64_e32 v[2:3], v[6:7], v[160:161]
	v_fma_f64 v[4:5], v[4:5], v[160:161], -v[146:147]
	v_add_f64_e32 v[6:7], v[12:13], v[10:11]
	v_add_f64_e32 v[10:11], v[132:133], v[148:149]
	v_fmac_f64_e32 v[138:139], v[136:137], v[140:141]
	v_fma_f64 v[12:13], v[134:135], v[140:141], -v[142:143]
	s_delay_alu instid0(VALU_DEP_4) | instskip(NEXT) | instid1(VALU_DEP_4)
	v_add_f64_e32 v[4:5], v[6:7], v[4:5]
	v_add_f64_e32 v[2:3], v[10:11], v[2:3]
	s_delay_alu instid0(VALU_DEP_2) | instskip(NEXT) | instid1(VALU_DEP_2)
	v_add_f64_e32 v[4:5], v[4:5], v[12:13]
	v_add_f64_e32 v[6:7], v[2:3], v[138:139]
	s_delay_alu instid0(VALU_DEP_2) | instskip(NEXT) | instid1(VALU_DEP_2)
	v_add_f64_e64 v[2:3], v[176:177], -v[4:5]
	v_add_f64_e64 v[4:5], v[178:179], -v[6:7]
	scratch_store_b128 off, v[2:5], off offset:416
	s_wait_xcnt 0x0
	v_cmpx_lt_u32_e32 25, v1
	s_cbranch_execz .LBB58_317
; %bb.316:
	scratch_load_b128 v[2:5], off, s44
	v_mov_b32_e32 v10, 0
	s_delay_alu instid0(VALU_DEP_1)
	v_dual_mov_b32 v11, v10 :: v_dual_mov_b32 v12, v10
	v_mov_b32_e32 v13, v10
	scratch_store_b128 off, v[10:13], off offset:400
	s_wait_loadcnt 0x0
	ds_store_b128 v8, v[2:5]
.LBB58_317:
	s_wait_xcnt 0x0
	s_or_b32 exec_lo, exec_lo, s2
	s_wait_storecnt_dscnt 0x0
	s_barrier_signal -1
	s_barrier_wait -1
	s_clause 0x9
	scratch_load_b128 v[4:7], off, off offset:416
	scratch_load_b128 v[10:13], off, off offset:432
	;; [unrolled: 1-line block ×10, first 2 shown]
	v_mov_b32_e32 v2, 0
	s_mov_b32 s2, exec_lo
	ds_load_b128 v[164:167], v2 offset:1360
	s_clause 0x2
	scratch_load_b128 v[168:171], off, off offset:576
	scratch_load_b128 v[172:175], off, off offset:400
	;; [unrolled: 1-line block ×3, first 2 shown]
	s_wait_loadcnt_dscnt 0xc00
	v_mul_f64_e32 v[184:185], v[166:167], v[6:7]
	v_mul_f64_e32 v[188:189], v[164:165], v[6:7]
	ds_load_b128 v[176:179], v2 offset:1376
	v_fma_f64 v[192:193], v[164:165], v[4:5], -v[184:185]
	v_fmac_f64_e32 v[188:189], v[166:167], v[4:5]
	ds_load_b128 v[4:7], v2 offset:1392
	s_wait_loadcnt_dscnt 0xb01
	v_mul_f64_e32 v[190:191], v[176:177], v[12:13]
	v_mul_f64_e32 v[12:13], v[178:179], v[12:13]
	scratch_load_b128 v[164:167], off, off offset:608
	ds_load_b128 v[184:187], v2 offset:1408
	s_wait_loadcnt_dscnt 0xb01
	v_mul_f64_e32 v[194:195], v[4:5], v[134:135]
	v_mul_f64_e32 v[134:135], v[6:7], v[134:135]
	v_add_f64_e32 v[188:189], 0, v[188:189]
	v_fmac_f64_e32 v[190:191], v[178:179], v[10:11]
	v_fma_f64 v[176:177], v[176:177], v[10:11], -v[12:13]
	v_add_f64_e32 v[178:179], 0, v[192:193]
	scratch_load_b128 v[10:13], off, off offset:624
	v_fmac_f64_e32 v[194:195], v[6:7], v[132:133]
	v_fma_f64 v[196:197], v[4:5], v[132:133], -v[134:135]
	ds_load_b128 v[4:7], v2 offset:1424
	s_wait_loadcnt_dscnt 0xb01
	v_mul_f64_e32 v[192:193], v[184:185], v[138:139]
	v_mul_f64_e32 v[138:139], v[186:187], v[138:139]
	scratch_load_b128 v[132:135], off, off offset:640
	v_add_f64_e32 v[188:189], v[188:189], v[190:191]
	v_add_f64_e32 v[198:199], v[178:179], v[176:177]
	ds_load_b128 v[176:179], v2 offset:1440
	s_wait_loadcnt_dscnt 0xb01
	v_mul_f64_e32 v[190:191], v[4:5], v[142:143]
	v_mul_f64_e32 v[142:143], v[6:7], v[142:143]
	v_fmac_f64_e32 v[192:193], v[186:187], v[136:137]
	v_fma_f64 v[184:185], v[184:185], v[136:137], -v[138:139]
	scratch_load_b128 v[136:139], off, off offset:656
	v_add_f64_e32 v[188:189], v[188:189], v[194:195]
	v_add_f64_e32 v[186:187], v[198:199], v[196:197]
	v_fmac_f64_e32 v[190:191], v[6:7], v[140:141]
	v_fma_f64 v[196:197], v[4:5], v[140:141], -v[142:143]
	ds_load_b128 v[4:7], v2 offset:1456
	s_wait_loadcnt_dscnt 0xb01
	v_mul_f64_e32 v[194:195], v[176:177], v[146:147]
	v_mul_f64_e32 v[146:147], v[178:179], v[146:147]
	scratch_load_b128 v[140:143], off, off offset:672
	v_add_f64_e32 v[188:189], v[188:189], v[192:193]
	s_wait_loadcnt_dscnt 0xb00
	v_mul_f64_e32 v[192:193], v[4:5], v[150:151]
	v_add_f64_e32 v[198:199], v[186:187], v[184:185]
	v_mul_f64_e32 v[150:151], v[6:7], v[150:151]
	ds_load_b128 v[184:187], v2 offset:1472
	v_fmac_f64_e32 v[194:195], v[178:179], v[144:145]
	v_fma_f64 v[176:177], v[176:177], v[144:145], -v[146:147]
	scratch_load_b128 v[144:147], off, off offset:688
	v_add_f64_e32 v[188:189], v[188:189], v[190:191]
	v_fmac_f64_e32 v[192:193], v[6:7], v[148:149]
	v_add_f64_e32 v[178:179], v[198:199], v[196:197]
	v_fma_f64 v[196:197], v[4:5], v[148:149], -v[150:151]
	ds_load_b128 v[4:7], v2 offset:1488
	s_wait_loadcnt_dscnt 0xb01
	v_mul_f64_e32 v[190:191], v[184:185], v[154:155]
	v_mul_f64_e32 v[154:155], v[186:187], v[154:155]
	scratch_load_b128 v[148:151], off, off offset:704
	v_add_f64_e32 v[188:189], v[188:189], v[194:195]
	s_wait_loadcnt_dscnt 0xb00
	v_mul_f64_e32 v[194:195], v[4:5], v[158:159]
	v_add_f64_e32 v[198:199], v[178:179], v[176:177]
	v_mul_f64_e32 v[158:159], v[6:7], v[158:159]
	ds_load_b128 v[176:179], v2 offset:1504
	v_fmac_f64_e32 v[190:191], v[186:187], v[152:153]
	v_fma_f64 v[184:185], v[184:185], v[152:153], -v[154:155]
	scratch_load_b128 v[152:155], off, off offset:720
	v_add_f64_e32 v[188:189], v[188:189], v[192:193]
	v_fmac_f64_e32 v[194:195], v[6:7], v[156:157]
	v_add_f64_e32 v[186:187], v[198:199], v[196:197]
	;; [unrolled: 18-line block ×3, first 2 shown]
	v_fma_f64 v[196:197], v[4:5], v[168:169], -v[170:171]
	ds_load_b128 v[4:7], v2 offset:1552
	s_wait_loadcnt_dscnt 0xa01
	v_mul_f64_e32 v[194:195], v[184:185], v[182:183]
	v_mul_f64_e32 v[182:183], v[186:187], v[182:183]
	scratch_load_b128 v[168:171], off, off offset:768
	v_add_f64_e32 v[188:189], v[188:189], v[192:193]
	v_add_f64_e32 v[198:199], v[178:179], v[176:177]
	s_wait_loadcnt_dscnt 0xa00
	v_mul_f64_e32 v[192:193], v[4:5], v[166:167]
	v_mul_f64_e32 v[166:167], v[6:7], v[166:167]
	v_fmac_f64_e32 v[194:195], v[186:187], v[180:181]
	v_fma_f64 v[184:185], v[184:185], v[180:181], -v[182:183]
	ds_load_b128 v[176:179], v2 offset:1568
	scratch_load_b128 v[180:183], off, off offset:784
	v_add_f64_e32 v[188:189], v[188:189], v[190:191]
	v_add_f64_e32 v[186:187], v[198:199], v[196:197]
	v_fmac_f64_e32 v[192:193], v[6:7], v[164:165]
	v_fma_f64 v[196:197], v[4:5], v[164:165], -v[166:167]
	ds_load_b128 v[4:7], v2 offset:1584
	s_wait_loadcnt_dscnt 0xa01
	v_mul_f64_e32 v[190:191], v[176:177], v[12:13]
	v_mul_f64_e32 v[12:13], v[178:179], v[12:13]
	scratch_load_b128 v[164:167], off, off offset:800
	v_add_f64_e32 v[188:189], v[188:189], v[194:195]
	s_wait_loadcnt_dscnt 0xa00
	v_mul_f64_e32 v[194:195], v[4:5], v[134:135]
	v_add_f64_e32 v[198:199], v[186:187], v[184:185]
	v_mul_f64_e32 v[134:135], v[6:7], v[134:135]
	ds_load_b128 v[184:187], v2 offset:1600
	v_fmac_f64_e32 v[190:191], v[178:179], v[10:11]
	v_fma_f64 v[176:177], v[176:177], v[10:11], -v[12:13]
	scratch_load_b128 v[10:13], off, off offset:816
	v_add_f64_e32 v[188:189], v[188:189], v[192:193]
	v_fmac_f64_e32 v[194:195], v[6:7], v[132:133]
	v_add_f64_e32 v[178:179], v[198:199], v[196:197]
	v_fma_f64 v[196:197], v[4:5], v[132:133], -v[134:135]
	ds_load_b128 v[4:7], v2 offset:1616
	s_wait_loadcnt_dscnt 0xa01
	v_mul_f64_e32 v[192:193], v[184:185], v[138:139]
	v_mul_f64_e32 v[138:139], v[186:187], v[138:139]
	scratch_load_b128 v[132:135], off, off offset:832
	v_add_f64_e32 v[188:189], v[188:189], v[190:191]
	s_wait_loadcnt_dscnt 0xa00
	v_mul_f64_e32 v[190:191], v[4:5], v[142:143]
	v_add_f64_e32 v[198:199], v[178:179], v[176:177]
	v_mul_f64_e32 v[142:143], v[6:7], v[142:143]
	ds_load_b128 v[176:179], v2 offset:1632
	v_fmac_f64_e32 v[192:193], v[186:187], v[136:137]
	v_fma_f64 v[184:185], v[184:185], v[136:137], -v[138:139]
	scratch_load_b128 v[136:139], off, off offset:848
	v_add_f64_e32 v[188:189], v[188:189], v[194:195]
	v_fmac_f64_e32 v[190:191], v[6:7], v[140:141]
	v_add_f64_e32 v[186:187], v[198:199], v[196:197]
	;; [unrolled: 18-line block ×4, first 2 shown]
	v_fma_f64 v[196:197], v[4:5], v[156:157], -v[158:159]
	ds_load_b128 v[4:7], v2 offset:1712
	s_wait_loadcnt_dscnt 0xa01
	v_mul_f64_e32 v[192:193], v[176:177], v[162:163]
	v_mul_f64_e32 v[162:163], v[178:179], v[162:163]
	scratch_load_b128 v[156:159], off, off offset:928
	v_add_f64_e32 v[188:189], v[188:189], v[190:191]
	s_wait_loadcnt_dscnt 0xa00
	v_mul_f64_e32 v[190:191], v[4:5], v[170:171]
	v_add_f64_e32 v[198:199], v[186:187], v[184:185]
	v_mul_f64_e32 v[170:171], v[6:7], v[170:171]
	ds_load_b128 v[184:187], v2 offset:1728
	v_fmac_f64_e32 v[192:193], v[178:179], v[160:161]
	v_fma_f64 v[160:161], v[176:177], v[160:161], -v[162:163]
	s_wait_loadcnt_dscnt 0x900
	v_mul_f64_e32 v[178:179], v[184:185], v[182:183]
	v_mul_f64_e32 v[182:183], v[186:187], v[182:183]
	v_add_f64_e32 v[176:177], v[188:189], v[194:195]
	v_fmac_f64_e32 v[190:191], v[6:7], v[168:169]
	v_add_f64_e32 v[162:163], v[198:199], v[196:197]
	v_fma_f64 v[168:169], v[4:5], v[168:169], -v[170:171]
	v_fmac_f64_e32 v[178:179], v[186:187], v[180:181]
	v_fma_f64 v[180:181], v[184:185], v[180:181], -v[182:183]
	v_add_f64_e32 v[176:177], v[176:177], v[192:193]
	v_add_f64_e32 v[170:171], v[162:163], v[160:161]
	ds_load_b128 v[4:7], v2 offset:1744
	ds_load_b128 v[160:163], v2 offset:1760
	s_wait_loadcnt_dscnt 0x801
	v_mul_f64_e32 v[188:189], v[4:5], v[166:167]
	v_mul_f64_e32 v[166:167], v[6:7], v[166:167]
	v_add_f64_e32 v[168:169], v[170:171], v[168:169]
	v_add_f64_e32 v[170:171], v[176:177], v[190:191]
	s_wait_loadcnt_dscnt 0x700
	v_mul_f64_e32 v[176:177], v[160:161], v[12:13]
	v_mul_f64_e32 v[12:13], v[162:163], v[12:13]
	v_fmac_f64_e32 v[188:189], v[6:7], v[164:165]
	v_fma_f64 v[182:183], v[4:5], v[164:165], -v[166:167]
	ds_load_b128 v[4:7], v2 offset:1776
	ds_load_b128 v[164:167], v2 offset:1792
	v_add_f64_e32 v[168:169], v[168:169], v[180:181]
	v_add_f64_e32 v[170:171], v[170:171], v[178:179]
	v_fmac_f64_e32 v[176:177], v[162:163], v[10:11]
	v_fma_f64 v[10:11], v[160:161], v[10:11], -v[12:13]
	s_wait_loadcnt_dscnt 0x601
	v_mul_f64_e32 v[178:179], v[4:5], v[134:135]
	v_mul_f64_e32 v[134:135], v[6:7], v[134:135]
	s_wait_loadcnt_dscnt 0x500
	v_mul_f64_e32 v[162:163], v[164:165], v[138:139]
	v_mul_f64_e32 v[138:139], v[166:167], v[138:139]
	v_add_f64_e32 v[12:13], v[168:169], v[182:183]
	v_add_f64_e32 v[160:161], v[170:171], v[188:189]
	v_fmac_f64_e32 v[178:179], v[6:7], v[132:133]
	v_fma_f64 v[132:133], v[4:5], v[132:133], -v[134:135]
	v_fmac_f64_e32 v[162:163], v[166:167], v[136:137]
	v_fma_f64 v[136:137], v[164:165], v[136:137], -v[138:139]
	v_add_f64_e32 v[134:135], v[12:13], v[10:11]
	v_add_f64_e32 v[160:161], v[160:161], v[176:177]
	ds_load_b128 v[4:7], v2 offset:1808
	ds_load_b128 v[10:13], v2 offset:1824
	s_wait_loadcnt_dscnt 0x401
	v_mul_f64_e32 v[168:169], v[4:5], v[142:143]
	v_mul_f64_e32 v[142:143], v[6:7], v[142:143]
	s_wait_loadcnt_dscnt 0x300
	v_mul_f64_e32 v[138:139], v[10:11], v[146:147]
	v_mul_f64_e32 v[146:147], v[12:13], v[146:147]
	v_add_f64_e32 v[132:133], v[134:135], v[132:133]
	v_add_f64_e32 v[134:135], v[160:161], v[178:179]
	v_fmac_f64_e32 v[168:169], v[6:7], v[140:141]
	v_fma_f64 v[140:141], v[4:5], v[140:141], -v[142:143]
	v_fmac_f64_e32 v[138:139], v[12:13], v[144:145]
	v_fma_f64 v[10:11], v[10:11], v[144:145], -v[146:147]
	v_add_f64_e32 v[136:137], v[132:133], v[136:137]
	v_add_f64_e32 v[142:143], v[134:135], v[162:163]
	ds_load_b128 v[4:7], v2 offset:1840
	ds_load_b128 v[132:135], v2 offset:1856
	s_wait_loadcnt_dscnt 0x201
	v_mul_f64_e32 v[160:161], v[4:5], v[150:151]
	v_mul_f64_e32 v[150:151], v[6:7], v[150:151]
	v_add_f64_e32 v[12:13], v[136:137], v[140:141]
	v_add_f64_e32 v[136:137], v[142:143], v[168:169]
	s_wait_loadcnt_dscnt 0x100
	v_mul_f64_e32 v[140:141], v[132:133], v[154:155]
	v_mul_f64_e32 v[142:143], v[134:135], v[154:155]
	v_fmac_f64_e32 v[160:161], v[6:7], v[148:149]
	v_fma_f64 v[144:145], v[4:5], v[148:149], -v[150:151]
	ds_load_b128 v[4:7], v2 offset:1872
	v_add_f64_e32 v[10:11], v[12:13], v[10:11]
	v_add_f64_e32 v[12:13], v[136:137], v[138:139]
	v_fmac_f64_e32 v[140:141], v[134:135], v[152:153]
	v_fma_f64 v[132:133], v[132:133], v[152:153], -v[142:143]
	s_wait_loadcnt_dscnt 0x0
	v_mul_f64_e32 v[136:137], v[4:5], v[158:159]
	v_mul_f64_e32 v[138:139], v[6:7], v[158:159]
	v_add_f64_e32 v[10:11], v[10:11], v[144:145]
	v_add_f64_e32 v[12:13], v[12:13], v[160:161]
	s_delay_alu instid0(VALU_DEP_4) | instskip(NEXT) | instid1(VALU_DEP_4)
	v_fmac_f64_e32 v[136:137], v[6:7], v[156:157]
	v_fma_f64 v[4:5], v[4:5], v[156:157], -v[138:139]
	s_delay_alu instid0(VALU_DEP_4) | instskip(NEXT) | instid1(VALU_DEP_4)
	v_add_f64_e32 v[6:7], v[10:11], v[132:133]
	v_add_f64_e32 v[10:11], v[12:13], v[140:141]
	s_delay_alu instid0(VALU_DEP_2) | instskip(NEXT) | instid1(VALU_DEP_2)
	v_add_f64_e32 v[4:5], v[6:7], v[4:5]
	v_add_f64_e32 v[6:7], v[10:11], v[136:137]
	s_delay_alu instid0(VALU_DEP_2) | instskip(NEXT) | instid1(VALU_DEP_2)
	v_add_f64_e64 v[4:5], v[172:173], -v[4:5]
	v_add_f64_e64 v[6:7], v[174:175], -v[6:7]
	scratch_store_b128 off, v[4:7], off offset:400
	s_wait_xcnt 0x0
	v_cmpx_lt_u32_e32 24, v1
	s_cbranch_execz .LBB58_319
; %bb.318:
	scratch_load_b128 v[10:13], off, s41
	v_dual_mov_b32 v3, v2 :: v_dual_mov_b32 v4, v2
	v_mov_b32_e32 v5, v2
	scratch_store_b128 off, v[2:5], off offset:384
	s_wait_loadcnt 0x0
	ds_store_b128 v8, v[10:13]
.LBB58_319:
	s_wait_xcnt 0x0
	s_or_b32 exec_lo, exec_lo, s2
	s_wait_storecnt_dscnt 0x0
	s_barrier_signal -1
	s_barrier_wait -1
	s_clause 0x9
	scratch_load_b128 v[4:7], off, off offset:400
	scratch_load_b128 v[10:13], off, off offset:416
	scratch_load_b128 v[132:135], off, off offset:432
	scratch_load_b128 v[136:139], off, off offset:448
	scratch_load_b128 v[140:143], off, off offset:464
	scratch_load_b128 v[144:147], off, off offset:480
	scratch_load_b128 v[148:151], off, off offset:496
	scratch_load_b128 v[152:155], off, off offset:512
	scratch_load_b128 v[156:159], off, off offset:528
	scratch_load_b128 v[160:163], off, off offset:544
	ds_load_b128 v[164:167], v2 offset:1344
	ds_load_b128 v[172:175], v2 offset:1360
	s_clause 0x2
	scratch_load_b128 v[168:171], off, off offset:560
	scratch_load_b128 v[176:179], off, off offset:384
	;; [unrolled: 1-line block ×3, first 2 shown]
	s_mov_b32 s2, exec_lo
	s_wait_loadcnt_dscnt 0xc01
	v_mul_f64_e32 v[184:185], v[166:167], v[6:7]
	v_mul_f64_e32 v[188:189], v[164:165], v[6:7]
	s_wait_loadcnt_dscnt 0xb00
	v_mul_f64_e32 v[190:191], v[172:173], v[12:13]
	v_mul_f64_e32 v[12:13], v[174:175], v[12:13]
	s_delay_alu instid0(VALU_DEP_4) | instskip(NEXT) | instid1(VALU_DEP_4)
	v_fma_f64 v[192:193], v[164:165], v[4:5], -v[184:185]
	v_fmac_f64_e32 v[188:189], v[166:167], v[4:5]
	ds_load_b128 v[4:7], v2 offset:1376
	ds_load_b128 v[164:167], v2 offset:1392
	scratch_load_b128 v[184:187], off, off offset:592
	v_fmac_f64_e32 v[190:191], v[174:175], v[10:11]
	v_fma_f64 v[172:173], v[172:173], v[10:11], -v[12:13]
	scratch_load_b128 v[10:13], off, off offset:608
	s_wait_loadcnt_dscnt 0xc01
	v_mul_f64_e32 v[194:195], v[4:5], v[134:135]
	v_mul_f64_e32 v[134:135], v[6:7], v[134:135]
	v_add_f64_e32 v[174:175], 0, v[192:193]
	v_add_f64_e32 v[188:189], 0, v[188:189]
	s_wait_loadcnt_dscnt 0xb00
	v_mul_f64_e32 v[192:193], v[164:165], v[138:139]
	v_mul_f64_e32 v[138:139], v[166:167], v[138:139]
	v_fmac_f64_e32 v[194:195], v[6:7], v[132:133]
	v_fma_f64 v[196:197], v[4:5], v[132:133], -v[134:135]
	ds_load_b128 v[4:7], v2 offset:1408
	ds_load_b128 v[132:135], v2 offset:1424
	v_add_f64_e32 v[198:199], v[174:175], v[172:173]
	v_add_f64_e32 v[188:189], v[188:189], v[190:191]
	scratch_load_b128 v[172:175], off, off offset:624
	v_fmac_f64_e32 v[192:193], v[166:167], v[136:137]
	v_fma_f64 v[164:165], v[164:165], v[136:137], -v[138:139]
	scratch_load_b128 v[136:139], off, off offset:640
	s_wait_loadcnt_dscnt 0xc01
	v_mul_f64_e32 v[190:191], v[4:5], v[142:143]
	v_mul_f64_e32 v[142:143], v[6:7], v[142:143]
	v_add_f64_e32 v[166:167], v[198:199], v[196:197]
	v_add_f64_e32 v[188:189], v[188:189], v[194:195]
	s_wait_loadcnt_dscnt 0xb00
	v_mul_f64_e32 v[194:195], v[132:133], v[146:147]
	v_mul_f64_e32 v[146:147], v[134:135], v[146:147]
	v_fmac_f64_e32 v[190:191], v[6:7], v[140:141]
	v_fma_f64 v[196:197], v[4:5], v[140:141], -v[142:143]
	ds_load_b128 v[4:7], v2 offset:1440
	ds_load_b128 v[140:143], v2 offset:1456
	v_add_f64_e32 v[198:199], v[166:167], v[164:165]
	v_add_f64_e32 v[188:189], v[188:189], v[192:193]
	scratch_load_b128 v[164:167], off, off offset:656
	s_wait_loadcnt_dscnt 0xb01
	v_mul_f64_e32 v[192:193], v[4:5], v[150:151]
	v_mul_f64_e32 v[150:151], v[6:7], v[150:151]
	v_fmac_f64_e32 v[194:195], v[134:135], v[144:145]
	v_fma_f64 v[144:145], v[132:133], v[144:145], -v[146:147]
	scratch_load_b128 v[132:135], off, off offset:672
	v_add_f64_e32 v[146:147], v[198:199], v[196:197]
	v_add_f64_e32 v[188:189], v[188:189], v[190:191]
	s_wait_loadcnt_dscnt 0xb00
	v_mul_f64_e32 v[190:191], v[140:141], v[154:155]
	v_mul_f64_e32 v[154:155], v[142:143], v[154:155]
	v_fmac_f64_e32 v[192:193], v[6:7], v[148:149]
	v_fma_f64 v[196:197], v[4:5], v[148:149], -v[150:151]
	v_add_f64_e32 v[198:199], v[146:147], v[144:145]
	v_add_f64_e32 v[188:189], v[188:189], v[194:195]
	ds_load_b128 v[4:7], v2 offset:1472
	ds_load_b128 v[144:147], v2 offset:1488
	scratch_load_b128 v[148:151], off, off offset:688
	v_fmac_f64_e32 v[190:191], v[142:143], v[152:153]
	v_fma_f64 v[152:153], v[140:141], v[152:153], -v[154:155]
	scratch_load_b128 v[140:143], off, off offset:704
	s_wait_loadcnt_dscnt 0xc01
	v_mul_f64_e32 v[194:195], v[4:5], v[158:159]
	v_mul_f64_e32 v[158:159], v[6:7], v[158:159]
	v_add_f64_e32 v[154:155], v[198:199], v[196:197]
	v_add_f64_e32 v[188:189], v[188:189], v[192:193]
	s_wait_loadcnt_dscnt 0xb00
	v_mul_f64_e32 v[192:193], v[144:145], v[162:163]
	v_mul_f64_e32 v[162:163], v[146:147], v[162:163]
	v_fmac_f64_e32 v[194:195], v[6:7], v[156:157]
	v_fma_f64 v[196:197], v[4:5], v[156:157], -v[158:159]
	v_add_f64_e32 v[198:199], v[154:155], v[152:153]
	v_add_f64_e32 v[188:189], v[188:189], v[190:191]
	ds_load_b128 v[4:7], v2 offset:1504
	ds_load_b128 v[152:155], v2 offset:1520
	scratch_load_b128 v[156:159], off, off offset:720
	v_fmac_f64_e32 v[192:193], v[146:147], v[160:161]
	v_fma_f64 v[160:161], v[144:145], v[160:161], -v[162:163]
	scratch_load_b128 v[144:147], off, off offset:736
	s_wait_loadcnt_dscnt 0xc01
	v_mul_f64_e32 v[190:191], v[4:5], v[170:171]
	v_mul_f64_e32 v[170:171], v[6:7], v[170:171]
	;; [unrolled: 18-line block ×5, first 2 shown]
	v_add_f64_e32 v[182:183], v[198:199], v[196:197]
	v_add_f64_e32 v[188:189], v[188:189], v[194:195]
	s_wait_loadcnt_dscnt 0xa00
	v_mul_f64_e32 v[194:195], v[160:161], v[134:135]
	v_mul_f64_e32 v[134:135], v[162:163], v[134:135]
	v_fmac_f64_e32 v[190:191], v[6:7], v[164:165]
	v_fma_f64 v[196:197], v[4:5], v[164:165], -v[166:167]
	ds_load_b128 v[4:7], v2 offset:1632
	ds_load_b128 v[164:167], v2 offset:1648
	v_add_f64_e32 v[198:199], v[182:183], v[180:181]
	v_add_f64_e32 v[188:189], v[188:189], v[192:193]
	scratch_load_b128 v[180:183], off, off offset:848
	v_fmac_f64_e32 v[194:195], v[162:163], v[132:133]
	v_fma_f64 v[160:161], v[160:161], v[132:133], -v[134:135]
	scratch_load_b128 v[132:135], off, off offset:864
	s_wait_loadcnt_dscnt 0xb01
	v_mul_f64_e32 v[192:193], v[4:5], v[150:151]
	v_mul_f64_e32 v[150:151], v[6:7], v[150:151]
	v_add_f64_e32 v[162:163], v[198:199], v[196:197]
	v_add_f64_e32 v[188:189], v[188:189], v[190:191]
	s_wait_loadcnt_dscnt 0xa00
	v_mul_f64_e32 v[190:191], v[164:165], v[142:143]
	v_mul_f64_e32 v[142:143], v[166:167], v[142:143]
	v_fmac_f64_e32 v[192:193], v[6:7], v[148:149]
	v_fma_f64 v[196:197], v[4:5], v[148:149], -v[150:151]
	ds_load_b128 v[4:7], v2 offset:1664
	ds_load_b128 v[148:151], v2 offset:1680
	v_add_f64_e32 v[198:199], v[162:163], v[160:161]
	v_add_f64_e32 v[188:189], v[188:189], v[194:195]
	scratch_load_b128 v[160:163], off, off offset:880
	s_wait_loadcnt_dscnt 0xa01
	v_mul_f64_e32 v[194:195], v[4:5], v[158:159]
	v_mul_f64_e32 v[158:159], v[6:7], v[158:159]
	v_fmac_f64_e32 v[190:191], v[166:167], v[140:141]
	v_fma_f64 v[164:165], v[164:165], v[140:141], -v[142:143]
	scratch_load_b128 v[140:143], off, off offset:896
	v_add_f64_e32 v[166:167], v[198:199], v[196:197]
	v_add_f64_e32 v[188:189], v[188:189], v[192:193]
	s_wait_loadcnt_dscnt 0xa00
	v_mul_f64_e32 v[192:193], v[148:149], v[146:147]
	v_mul_f64_e32 v[146:147], v[150:151], v[146:147]
	v_fmac_f64_e32 v[194:195], v[6:7], v[156:157]
	v_fma_f64 v[196:197], v[4:5], v[156:157], -v[158:159]
	ds_load_b128 v[4:7], v2 offset:1696
	ds_load_b128 v[156:159], v2 offset:1712
	v_add_f64_e32 v[198:199], v[166:167], v[164:165]
	v_add_f64_e32 v[188:189], v[188:189], v[190:191]
	scratch_load_b128 v[164:167], off, off offset:912
	s_wait_loadcnt_dscnt 0xa01
	v_mul_f64_e32 v[190:191], v[4:5], v[170:171]
	v_mul_f64_e32 v[170:171], v[6:7], v[170:171]
	v_fmac_f64_e32 v[192:193], v[150:151], v[144:145]
	v_fma_f64 v[148:149], v[148:149], v[144:145], -v[146:147]
	scratch_load_b128 v[144:147], off, off offset:928
	v_add_f64_e32 v[150:151], v[198:199], v[196:197]
	v_add_f64_e32 v[188:189], v[188:189], v[194:195]
	s_wait_loadcnt_dscnt 0xa00
	v_mul_f64_e32 v[194:195], v[156:157], v[154:155]
	v_mul_f64_e32 v[154:155], v[158:159], v[154:155]
	v_fmac_f64_e32 v[190:191], v[6:7], v[168:169]
	v_fma_f64 v[168:169], v[4:5], v[168:169], -v[170:171]
	v_add_f64_e32 v[170:171], v[150:151], v[148:149]
	v_add_f64_e32 v[188:189], v[188:189], v[192:193]
	ds_load_b128 v[4:7], v2 offset:1728
	ds_load_b128 v[148:151], v2 offset:1744
	v_fmac_f64_e32 v[194:195], v[158:159], v[152:153]
	v_fma_f64 v[152:153], v[156:157], v[152:153], -v[154:155]
	s_wait_loadcnt_dscnt 0x901
	v_mul_f64_e32 v[192:193], v[4:5], v[186:187]
	v_mul_f64_e32 v[186:187], v[6:7], v[186:187]
	s_wait_loadcnt_dscnt 0x800
	v_mul_f64_e32 v[158:159], v[148:149], v[12:13]
	v_mul_f64_e32 v[12:13], v[150:151], v[12:13]
	v_add_f64_e32 v[154:155], v[170:171], v[168:169]
	v_add_f64_e32 v[156:157], v[188:189], v[190:191]
	v_fmac_f64_e32 v[192:193], v[6:7], v[184:185]
	v_fma_f64 v[168:169], v[4:5], v[184:185], -v[186:187]
	v_fmac_f64_e32 v[158:159], v[150:151], v[10:11]
	v_fma_f64 v[10:11], v[148:149], v[10:11], -v[12:13]
	v_add_f64_e32 v[170:171], v[154:155], v[152:153]
	v_add_f64_e32 v[156:157], v[156:157], v[194:195]
	ds_load_b128 v[4:7], v2 offset:1760
	ds_load_b128 v[152:155], v2 offset:1776
	s_wait_loadcnt_dscnt 0x701
	v_mul_f64_e32 v[184:185], v[4:5], v[174:175]
	v_mul_f64_e32 v[174:175], v[6:7], v[174:175]
	s_wait_loadcnt_dscnt 0x600
	v_mul_f64_e32 v[150:151], v[152:153], v[138:139]
	v_mul_f64_e32 v[138:139], v[154:155], v[138:139]
	v_add_f64_e32 v[12:13], v[170:171], v[168:169]
	v_add_f64_e32 v[148:149], v[156:157], v[192:193]
	v_fmac_f64_e32 v[184:185], v[6:7], v[172:173]
	v_fma_f64 v[156:157], v[4:5], v[172:173], -v[174:175]
	v_fmac_f64_e32 v[150:151], v[154:155], v[136:137]
	v_fma_f64 v[136:137], v[152:153], v[136:137], -v[138:139]
	v_add_f64_e32 v[168:169], v[12:13], v[10:11]
	v_add_f64_e32 v[148:149], v[148:149], v[158:159]
	ds_load_b128 v[4:7], v2 offset:1792
	ds_load_b128 v[10:13], v2 offset:1808
	;; [unrolled: 16-line block ×3, first 2 shown]
	s_wait_loadcnt_dscnt 0x301
	v_mul_f64_e32 v[150:151], v[4:5], v[162:163]
	v_mul_f64_e32 v[162:163], v[6:7], v[162:163]
	v_add_f64_e32 v[12:13], v[138:139], v[156:157]
	v_add_f64_e32 v[132:133], v[148:149], v[158:159]
	s_wait_loadcnt_dscnt 0x200
	v_mul_f64_e32 v[138:139], v[134:135], v[142:143]
	v_mul_f64_e32 v[142:143], v[136:137], v[142:143]
	v_fmac_f64_e32 v[150:151], v[6:7], v[160:161]
	v_fma_f64 v[148:149], v[4:5], v[160:161], -v[162:163]
	v_add_f64_e32 v[154:155], v[12:13], v[10:11]
	v_add_f64_e32 v[132:133], v[132:133], v[152:153]
	ds_load_b128 v[4:7], v2 offset:1856
	ds_load_b128 v[10:13], v2 offset:1872
	v_fmac_f64_e32 v[138:139], v[136:137], v[140:141]
	v_fma_f64 v[134:135], v[134:135], v[140:141], -v[142:143]
	s_wait_loadcnt_dscnt 0x101
	v_mul_f64_e32 v[2:3], v[4:5], v[166:167]
	v_mul_f64_e32 v[152:153], v[6:7], v[166:167]
	s_wait_loadcnt_dscnt 0x0
	v_mul_f64_e32 v[140:141], v[10:11], v[146:147]
	v_mul_f64_e32 v[142:143], v[12:13], v[146:147]
	v_add_f64_e32 v[136:137], v[154:155], v[148:149]
	v_add_f64_e32 v[132:133], v[132:133], v[150:151]
	v_fmac_f64_e32 v[2:3], v[6:7], v[164:165]
	v_fma_f64 v[4:5], v[4:5], v[164:165], -v[152:153]
	v_fmac_f64_e32 v[140:141], v[12:13], v[144:145]
	v_fma_f64 v[10:11], v[10:11], v[144:145], -v[142:143]
	v_add_f64_e32 v[6:7], v[136:137], v[134:135]
	v_add_f64_e32 v[132:133], v[132:133], v[138:139]
	s_delay_alu instid0(VALU_DEP_2) | instskip(NEXT) | instid1(VALU_DEP_2)
	v_add_f64_e32 v[4:5], v[6:7], v[4:5]
	v_add_f64_e32 v[2:3], v[132:133], v[2:3]
	s_delay_alu instid0(VALU_DEP_2) | instskip(NEXT) | instid1(VALU_DEP_2)
	;; [unrolled: 3-line block ×3, first 2 shown]
	v_add_f64_e64 v[2:3], v[176:177], -v[4:5]
	v_add_f64_e64 v[4:5], v[178:179], -v[6:7]
	scratch_store_b128 off, v[2:5], off offset:384
	s_wait_xcnt 0x0
	v_cmpx_lt_u32_e32 23, v1
	s_cbranch_execz .LBB58_321
; %bb.320:
	scratch_load_b128 v[2:5], off, s39
	v_mov_b32_e32 v10, 0
	s_delay_alu instid0(VALU_DEP_1)
	v_dual_mov_b32 v11, v10 :: v_dual_mov_b32 v12, v10
	v_mov_b32_e32 v13, v10
	scratch_store_b128 off, v[10:13], off offset:368
	s_wait_loadcnt 0x0
	ds_store_b128 v8, v[2:5]
.LBB58_321:
	s_wait_xcnt 0x0
	s_or_b32 exec_lo, exec_lo, s2
	s_wait_storecnt_dscnt 0x0
	s_barrier_signal -1
	s_barrier_wait -1
	s_clause 0x9
	scratch_load_b128 v[4:7], off, off offset:384
	scratch_load_b128 v[10:13], off, off offset:400
	;; [unrolled: 1-line block ×10, first 2 shown]
	v_mov_b32_e32 v2, 0
	s_mov_b32 s2, exec_lo
	ds_load_b128 v[164:167], v2 offset:1328
	s_clause 0x2
	scratch_load_b128 v[168:171], off, off offset:544
	scratch_load_b128 v[172:175], off, off offset:368
	;; [unrolled: 1-line block ×3, first 2 shown]
	s_wait_loadcnt_dscnt 0xc00
	v_mul_f64_e32 v[184:185], v[166:167], v[6:7]
	v_mul_f64_e32 v[188:189], v[164:165], v[6:7]
	ds_load_b128 v[176:179], v2 offset:1344
	v_fma_f64 v[192:193], v[164:165], v[4:5], -v[184:185]
	v_fmac_f64_e32 v[188:189], v[166:167], v[4:5]
	ds_load_b128 v[4:7], v2 offset:1360
	s_wait_loadcnt_dscnt 0xb01
	v_mul_f64_e32 v[190:191], v[176:177], v[12:13]
	v_mul_f64_e32 v[12:13], v[178:179], v[12:13]
	scratch_load_b128 v[164:167], off, off offset:576
	ds_load_b128 v[184:187], v2 offset:1376
	s_wait_loadcnt_dscnt 0xb01
	v_mul_f64_e32 v[194:195], v[4:5], v[134:135]
	v_mul_f64_e32 v[134:135], v[6:7], v[134:135]
	v_add_f64_e32 v[188:189], 0, v[188:189]
	v_fmac_f64_e32 v[190:191], v[178:179], v[10:11]
	v_fma_f64 v[176:177], v[176:177], v[10:11], -v[12:13]
	v_add_f64_e32 v[178:179], 0, v[192:193]
	scratch_load_b128 v[10:13], off, off offset:592
	v_fmac_f64_e32 v[194:195], v[6:7], v[132:133]
	v_fma_f64 v[196:197], v[4:5], v[132:133], -v[134:135]
	ds_load_b128 v[4:7], v2 offset:1392
	s_wait_loadcnt_dscnt 0xb01
	v_mul_f64_e32 v[192:193], v[184:185], v[138:139]
	v_mul_f64_e32 v[138:139], v[186:187], v[138:139]
	scratch_load_b128 v[132:135], off, off offset:608
	v_add_f64_e32 v[188:189], v[188:189], v[190:191]
	v_add_f64_e32 v[198:199], v[178:179], v[176:177]
	ds_load_b128 v[176:179], v2 offset:1408
	s_wait_loadcnt_dscnt 0xb01
	v_mul_f64_e32 v[190:191], v[4:5], v[142:143]
	v_mul_f64_e32 v[142:143], v[6:7], v[142:143]
	v_fmac_f64_e32 v[192:193], v[186:187], v[136:137]
	v_fma_f64 v[184:185], v[184:185], v[136:137], -v[138:139]
	scratch_load_b128 v[136:139], off, off offset:624
	v_add_f64_e32 v[188:189], v[188:189], v[194:195]
	v_add_f64_e32 v[186:187], v[198:199], v[196:197]
	v_fmac_f64_e32 v[190:191], v[6:7], v[140:141]
	v_fma_f64 v[196:197], v[4:5], v[140:141], -v[142:143]
	ds_load_b128 v[4:7], v2 offset:1424
	s_wait_loadcnt_dscnt 0xb01
	v_mul_f64_e32 v[194:195], v[176:177], v[146:147]
	v_mul_f64_e32 v[146:147], v[178:179], v[146:147]
	scratch_load_b128 v[140:143], off, off offset:640
	v_add_f64_e32 v[188:189], v[188:189], v[192:193]
	s_wait_loadcnt_dscnt 0xb00
	v_mul_f64_e32 v[192:193], v[4:5], v[150:151]
	v_add_f64_e32 v[198:199], v[186:187], v[184:185]
	v_mul_f64_e32 v[150:151], v[6:7], v[150:151]
	ds_load_b128 v[184:187], v2 offset:1440
	v_fmac_f64_e32 v[194:195], v[178:179], v[144:145]
	v_fma_f64 v[176:177], v[176:177], v[144:145], -v[146:147]
	scratch_load_b128 v[144:147], off, off offset:656
	v_add_f64_e32 v[188:189], v[188:189], v[190:191]
	v_fmac_f64_e32 v[192:193], v[6:7], v[148:149]
	v_add_f64_e32 v[178:179], v[198:199], v[196:197]
	v_fma_f64 v[196:197], v[4:5], v[148:149], -v[150:151]
	ds_load_b128 v[4:7], v2 offset:1456
	s_wait_loadcnt_dscnt 0xb01
	v_mul_f64_e32 v[190:191], v[184:185], v[154:155]
	v_mul_f64_e32 v[154:155], v[186:187], v[154:155]
	scratch_load_b128 v[148:151], off, off offset:672
	v_add_f64_e32 v[188:189], v[188:189], v[194:195]
	s_wait_loadcnt_dscnt 0xb00
	v_mul_f64_e32 v[194:195], v[4:5], v[158:159]
	v_add_f64_e32 v[198:199], v[178:179], v[176:177]
	v_mul_f64_e32 v[158:159], v[6:7], v[158:159]
	ds_load_b128 v[176:179], v2 offset:1472
	v_fmac_f64_e32 v[190:191], v[186:187], v[152:153]
	v_fma_f64 v[184:185], v[184:185], v[152:153], -v[154:155]
	scratch_load_b128 v[152:155], off, off offset:688
	v_add_f64_e32 v[188:189], v[188:189], v[192:193]
	v_fmac_f64_e32 v[194:195], v[6:7], v[156:157]
	v_add_f64_e32 v[186:187], v[198:199], v[196:197]
	v_fma_f64 v[196:197], v[4:5], v[156:157], -v[158:159]
	ds_load_b128 v[4:7], v2 offset:1488
	s_wait_loadcnt_dscnt 0xb01
	v_mul_f64_e32 v[192:193], v[176:177], v[162:163]
	v_mul_f64_e32 v[162:163], v[178:179], v[162:163]
	scratch_load_b128 v[156:159], off, off offset:704
	v_add_f64_e32 v[188:189], v[188:189], v[190:191]
	s_wait_loadcnt_dscnt 0xb00
	v_mul_f64_e32 v[190:191], v[4:5], v[170:171]
	v_add_f64_e32 v[198:199], v[186:187], v[184:185]
	v_mul_f64_e32 v[170:171], v[6:7], v[170:171]
	ds_load_b128 v[184:187], v2 offset:1504
	v_fmac_f64_e32 v[192:193], v[178:179], v[160:161]
	v_fma_f64 v[176:177], v[176:177], v[160:161], -v[162:163]
	scratch_load_b128 v[160:163], off, off offset:720
	v_add_f64_e32 v[188:189], v[188:189], v[194:195]
	v_fmac_f64_e32 v[190:191], v[6:7], v[168:169]
	v_add_f64_e32 v[178:179], v[198:199], v[196:197]
	v_fma_f64 v[196:197], v[4:5], v[168:169], -v[170:171]
	ds_load_b128 v[4:7], v2 offset:1520
	s_wait_loadcnt_dscnt 0xa01
	v_mul_f64_e32 v[194:195], v[184:185], v[182:183]
	v_mul_f64_e32 v[182:183], v[186:187], v[182:183]
	scratch_load_b128 v[168:171], off, off offset:736
	v_add_f64_e32 v[188:189], v[188:189], v[192:193]
	v_add_f64_e32 v[198:199], v[178:179], v[176:177]
	s_wait_loadcnt_dscnt 0xa00
	v_mul_f64_e32 v[192:193], v[4:5], v[166:167]
	v_mul_f64_e32 v[166:167], v[6:7], v[166:167]
	v_fmac_f64_e32 v[194:195], v[186:187], v[180:181]
	v_fma_f64 v[184:185], v[184:185], v[180:181], -v[182:183]
	ds_load_b128 v[176:179], v2 offset:1536
	scratch_load_b128 v[180:183], off, off offset:752
	v_add_f64_e32 v[188:189], v[188:189], v[190:191]
	v_add_f64_e32 v[186:187], v[198:199], v[196:197]
	v_fmac_f64_e32 v[192:193], v[6:7], v[164:165]
	v_fma_f64 v[196:197], v[4:5], v[164:165], -v[166:167]
	ds_load_b128 v[4:7], v2 offset:1552
	s_wait_loadcnt_dscnt 0xa01
	v_mul_f64_e32 v[190:191], v[176:177], v[12:13]
	v_mul_f64_e32 v[12:13], v[178:179], v[12:13]
	scratch_load_b128 v[164:167], off, off offset:768
	v_add_f64_e32 v[188:189], v[188:189], v[194:195]
	s_wait_loadcnt_dscnt 0xa00
	v_mul_f64_e32 v[194:195], v[4:5], v[134:135]
	v_add_f64_e32 v[198:199], v[186:187], v[184:185]
	v_mul_f64_e32 v[134:135], v[6:7], v[134:135]
	ds_load_b128 v[184:187], v2 offset:1568
	v_fmac_f64_e32 v[190:191], v[178:179], v[10:11]
	v_fma_f64 v[176:177], v[176:177], v[10:11], -v[12:13]
	scratch_load_b128 v[10:13], off, off offset:784
	v_add_f64_e32 v[188:189], v[188:189], v[192:193]
	v_fmac_f64_e32 v[194:195], v[6:7], v[132:133]
	v_add_f64_e32 v[178:179], v[198:199], v[196:197]
	v_fma_f64 v[196:197], v[4:5], v[132:133], -v[134:135]
	ds_load_b128 v[4:7], v2 offset:1584
	s_wait_loadcnt_dscnt 0xa01
	v_mul_f64_e32 v[192:193], v[184:185], v[138:139]
	v_mul_f64_e32 v[138:139], v[186:187], v[138:139]
	scratch_load_b128 v[132:135], off, off offset:800
	v_add_f64_e32 v[188:189], v[188:189], v[190:191]
	s_wait_loadcnt_dscnt 0xa00
	v_mul_f64_e32 v[190:191], v[4:5], v[142:143]
	v_add_f64_e32 v[198:199], v[178:179], v[176:177]
	v_mul_f64_e32 v[142:143], v[6:7], v[142:143]
	ds_load_b128 v[176:179], v2 offset:1600
	v_fmac_f64_e32 v[192:193], v[186:187], v[136:137]
	v_fma_f64 v[184:185], v[184:185], v[136:137], -v[138:139]
	scratch_load_b128 v[136:139], off, off offset:816
	v_add_f64_e32 v[188:189], v[188:189], v[194:195]
	v_fmac_f64_e32 v[190:191], v[6:7], v[140:141]
	v_add_f64_e32 v[186:187], v[198:199], v[196:197]
	;; [unrolled: 18-line block ×5, first 2 shown]
	v_fma_f64 v[196:197], v[4:5], v[168:169], -v[170:171]
	ds_load_b128 v[4:7], v2 offset:1712
	s_wait_loadcnt_dscnt 0xa01
	v_mul_f64_e32 v[194:195], v[184:185], v[182:183]
	v_mul_f64_e32 v[182:183], v[186:187], v[182:183]
	scratch_load_b128 v[168:171], off, off offset:928
	v_add_f64_e32 v[188:189], v[188:189], v[192:193]
	s_wait_loadcnt_dscnt 0xa00
	v_mul_f64_e32 v[192:193], v[4:5], v[166:167]
	v_add_f64_e32 v[198:199], v[178:179], v[176:177]
	v_mul_f64_e32 v[166:167], v[6:7], v[166:167]
	ds_load_b128 v[176:179], v2 offset:1728
	v_fmac_f64_e32 v[194:195], v[186:187], v[180:181]
	v_fma_f64 v[180:181], v[184:185], v[180:181], -v[182:183]
	s_wait_loadcnt_dscnt 0x900
	v_mul_f64_e32 v[186:187], v[176:177], v[12:13]
	v_mul_f64_e32 v[12:13], v[178:179], v[12:13]
	v_add_f64_e32 v[184:185], v[188:189], v[190:191]
	v_fmac_f64_e32 v[192:193], v[6:7], v[164:165]
	v_add_f64_e32 v[182:183], v[198:199], v[196:197]
	v_fma_f64 v[188:189], v[4:5], v[164:165], -v[166:167]
	ds_load_b128 v[4:7], v2 offset:1744
	ds_load_b128 v[164:167], v2 offset:1760
	v_fmac_f64_e32 v[186:187], v[178:179], v[10:11]
	v_fma_f64 v[10:11], v[176:177], v[10:11], -v[12:13]
	v_add_f64_e32 v[180:181], v[182:183], v[180:181]
	v_add_f64_e32 v[182:183], v[184:185], v[194:195]
	s_wait_loadcnt_dscnt 0x801
	v_mul_f64_e32 v[184:185], v[4:5], v[134:135]
	v_mul_f64_e32 v[134:135], v[6:7], v[134:135]
	s_wait_loadcnt_dscnt 0x700
	v_mul_f64_e32 v[178:179], v[164:165], v[138:139]
	v_mul_f64_e32 v[138:139], v[166:167], v[138:139]
	v_add_f64_e32 v[12:13], v[180:181], v[188:189]
	v_add_f64_e32 v[176:177], v[182:183], v[192:193]
	v_fmac_f64_e32 v[184:185], v[6:7], v[132:133]
	v_fma_f64 v[132:133], v[4:5], v[132:133], -v[134:135]
	v_fmac_f64_e32 v[178:179], v[166:167], v[136:137]
	v_fma_f64 v[136:137], v[164:165], v[136:137], -v[138:139]
	v_add_f64_e32 v[134:135], v[12:13], v[10:11]
	v_add_f64_e32 v[176:177], v[176:177], v[186:187]
	ds_load_b128 v[4:7], v2 offset:1776
	ds_load_b128 v[10:13], v2 offset:1792
	s_wait_loadcnt_dscnt 0x601
	v_mul_f64_e32 v[180:181], v[4:5], v[142:143]
	v_mul_f64_e32 v[142:143], v[6:7], v[142:143]
	s_wait_loadcnt_dscnt 0x500
	v_mul_f64_e32 v[138:139], v[10:11], v[146:147]
	v_mul_f64_e32 v[146:147], v[12:13], v[146:147]
	v_add_f64_e32 v[132:133], v[134:135], v[132:133]
	v_add_f64_e32 v[134:135], v[176:177], v[184:185]
	v_fmac_f64_e32 v[180:181], v[6:7], v[140:141]
	v_fma_f64 v[140:141], v[4:5], v[140:141], -v[142:143]
	v_fmac_f64_e32 v[138:139], v[12:13], v[144:145]
	v_fma_f64 v[10:11], v[10:11], v[144:145], -v[146:147]
	v_add_f64_e32 v[136:137], v[132:133], v[136:137]
	v_add_f64_e32 v[142:143], v[134:135], v[178:179]
	ds_load_b128 v[4:7], v2 offset:1808
	ds_load_b128 v[132:135], v2 offset:1824
	s_wait_loadcnt_dscnt 0x401
	v_mul_f64_e32 v[164:165], v[4:5], v[150:151]
	v_mul_f64_e32 v[150:151], v[6:7], v[150:151]
	v_add_f64_e32 v[12:13], v[136:137], v[140:141]
	v_add_f64_e32 v[136:137], v[142:143], v[180:181]
	s_wait_loadcnt_dscnt 0x300
	v_mul_f64_e32 v[140:141], v[132:133], v[154:155]
	v_mul_f64_e32 v[142:143], v[134:135], v[154:155]
	v_fmac_f64_e32 v[164:165], v[6:7], v[148:149]
	v_fma_f64 v[144:145], v[4:5], v[148:149], -v[150:151]
	v_add_f64_e32 v[146:147], v[12:13], v[10:11]
	v_add_f64_e32 v[136:137], v[136:137], v[138:139]
	ds_load_b128 v[4:7], v2 offset:1840
	ds_load_b128 v[10:13], v2 offset:1856
	v_fmac_f64_e32 v[140:141], v[134:135], v[152:153]
	v_fma_f64 v[132:133], v[132:133], v[152:153], -v[142:143]
	s_wait_loadcnt_dscnt 0x201
	v_mul_f64_e32 v[138:139], v[4:5], v[158:159]
	v_mul_f64_e32 v[148:149], v[6:7], v[158:159]
	s_wait_loadcnt_dscnt 0x100
	v_mul_f64_e32 v[142:143], v[10:11], v[162:163]
	v_add_f64_e32 v[134:135], v[146:147], v[144:145]
	v_add_f64_e32 v[136:137], v[136:137], v[164:165]
	v_mul_f64_e32 v[144:145], v[12:13], v[162:163]
	v_fmac_f64_e32 v[138:139], v[6:7], v[156:157]
	v_fma_f64 v[146:147], v[4:5], v[156:157], -v[148:149]
	ds_load_b128 v[4:7], v2 offset:1872
	v_fmac_f64_e32 v[142:143], v[12:13], v[160:161]
	v_add_f64_e32 v[132:133], v[134:135], v[132:133]
	v_add_f64_e32 v[134:135], v[136:137], v[140:141]
	v_fma_f64 v[10:11], v[10:11], v[160:161], -v[144:145]
	s_wait_loadcnt_dscnt 0x0
	v_mul_f64_e32 v[136:137], v[4:5], v[170:171]
	v_mul_f64_e32 v[140:141], v[6:7], v[170:171]
	v_add_f64_e32 v[12:13], v[132:133], v[146:147]
	v_add_f64_e32 v[132:133], v[134:135], v[138:139]
	s_delay_alu instid0(VALU_DEP_4) | instskip(NEXT) | instid1(VALU_DEP_4)
	v_fmac_f64_e32 v[136:137], v[6:7], v[168:169]
	v_fma_f64 v[4:5], v[4:5], v[168:169], -v[140:141]
	s_delay_alu instid0(VALU_DEP_4) | instskip(NEXT) | instid1(VALU_DEP_4)
	v_add_f64_e32 v[6:7], v[12:13], v[10:11]
	v_add_f64_e32 v[10:11], v[132:133], v[142:143]
	s_delay_alu instid0(VALU_DEP_2) | instskip(NEXT) | instid1(VALU_DEP_2)
	v_add_f64_e32 v[4:5], v[6:7], v[4:5]
	v_add_f64_e32 v[6:7], v[10:11], v[136:137]
	s_delay_alu instid0(VALU_DEP_2) | instskip(NEXT) | instid1(VALU_DEP_2)
	v_add_f64_e64 v[4:5], v[172:173], -v[4:5]
	v_add_f64_e64 v[6:7], v[174:175], -v[6:7]
	scratch_store_b128 off, v[4:7], off offset:368
	s_wait_xcnt 0x0
	v_cmpx_lt_u32_e32 22, v1
	s_cbranch_execz .LBB58_323
; %bb.322:
	scratch_load_b128 v[10:13], off, s63
	v_dual_mov_b32 v3, v2 :: v_dual_mov_b32 v4, v2
	v_mov_b32_e32 v5, v2
	scratch_store_b128 off, v[2:5], off offset:352
	s_wait_loadcnt 0x0
	ds_store_b128 v8, v[10:13]
.LBB58_323:
	s_wait_xcnt 0x0
	s_or_b32 exec_lo, exec_lo, s2
	s_wait_storecnt_dscnt 0x0
	s_barrier_signal -1
	s_barrier_wait -1
	s_clause 0x9
	scratch_load_b128 v[4:7], off, off offset:368
	scratch_load_b128 v[10:13], off, off offset:384
	;; [unrolled: 1-line block ×10, first 2 shown]
	ds_load_b128 v[164:167], v2 offset:1312
	ds_load_b128 v[172:175], v2 offset:1328
	s_clause 0x2
	scratch_load_b128 v[168:171], off, off offset:528
	scratch_load_b128 v[176:179], off, off offset:352
	;; [unrolled: 1-line block ×3, first 2 shown]
	s_mov_b32 s2, exec_lo
	s_wait_loadcnt_dscnt 0xc01
	v_mul_f64_e32 v[184:185], v[166:167], v[6:7]
	v_mul_f64_e32 v[188:189], v[164:165], v[6:7]
	s_wait_loadcnt_dscnt 0xb00
	v_mul_f64_e32 v[190:191], v[172:173], v[12:13]
	v_mul_f64_e32 v[12:13], v[174:175], v[12:13]
	s_delay_alu instid0(VALU_DEP_4) | instskip(NEXT) | instid1(VALU_DEP_4)
	v_fma_f64 v[192:193], v[164:165], v[4:5], -v[184:185]
	v_fmac_f64_e32 v[188:189], v[166:167], v[4:5]
	ds_load_b128 v[4:7], v2 offset:1344
	ds_load_b128 v[164:167], v2 offset:1360
	scratch_load_b128 v[184:187], off, off offset:560
	v_fmac_f64_e32 v[190:191], v[174:175], v[10:11]
	v_fma_f64 v[172:173], v[172:173], v[10:11], -v[12:13]
	scratch_load_b128 v[10:13], off, off offset:576
	s_wait_loadcnt_dscnt 0xc01
	v_mul_f64_e32 v[194:195], v[4:5], v[134:135]
	v_mul_f64_e32 v[134:135], v[6:7], v[134:135]
	v_add_f64_e32 v[174:175], 0, v[192:193]
	v_add_f64_e32 v[188:189], 0, v[188:189]
	s_wait_loadcnt_dscnt 0xb00
	v_mul_f64_e32 v[192:193], v[164:165], v[138:139]
	v_mul_f64_e32 v[138:139], v[166:167], v[138:139]
	v_fmac_f64_e32 v[194:195], v[6:7], v[132:133]
	v_fma_f64 v[196:197], v[4:5], v[132:133], -v[134:135]
	ds_load_b128 v[4:7], v2 offset:1376
	ds_load_b128 v[132:135], v2 offset:1392
	v_add_f64_e32 v[198:199], v[174:175], v[172:173]
	v_add_f64_e32 v[188:189], v[188:189], v[190:191]
	scratch_load_b128 v[172:175], off, off offset:592
	v_fmac_f64_e32 v[192:193], v[166:167], v[136:137]
	v_fma_f64 v[164:165], v[164:165], v[136:137], -v[138:139]
	scratch_load_b128 v[136:139], off, off offset:608
	s_wait_loadcnt_dscnt 0xc01
	v_mul_f64_e32 v[190:191], v[4:5], v[142:143]
	v_mul_f64_e32 v[142:143], v[6:7], v[142:143]
	v_add_f64_e32 v[166:167], v[198:199], v[196:197]
	v_add_f64_e32 v[188:189], v[188:189], v[194:195]
	s_wait_loadcnt_dscnt 0xb00
	v_mul_f64_e32 v[194:195], v[132:133], v[146:147]
	v_mul_f64_e32 v[146:147], v[134:135], v[146:147]
	v_fmac_f64_e32 v[190:191], v[6:7], v[140:141]
	v_fma_f64 v[196:197], v[4:5], v[140:141], -v[142:143]
	ds_load_b128 v[4:7], v2 offset:1408
	ds_load_b128 v[140:143], v2 offset:1424
	v_add_f64_e32 v[198:199], v[166:167], v[164:165]
	v_add_f64_e32 v[188:189], v[188:189], v[192:193]
	scratch_load_b128 v[164:167], off, off offset:624
	s_wait_loadcnt_dscnt 0xb01
	v_mul_f64_e32 v[192:193], v[4:5], v[150:151]
	v_mul_f64_e32 v[150:151], v[6:7], v[150:151]
	v_fmac_f64_e32 v[194:195], v[134:135], v[144:145]
	v_fma_f64 v[144:145], v[132:133], v[144:145], -v[146:147]
	scratch_load_b128 v[132:135], off, off offset:640
	v_add_f64_e32 v[146:147], v[198:199], v[196:197]
	v_add_f64_e32 v[188:189], v[188:189], v[190:191]
	s_wait_loadcnt_dscnt 0xb00
	v_mul_f64_e32 v[190:191], v[140:141], v[154:155]
	v_mul_f64_e32 v[154:155], v[142:143], v[154:155]
	v_fmac_f64_e32 v[192:193], v[6:7], v[148:149]
	v_fma_f64 v[196:197], v[4:5], v[148:149], -v[150:151]
	v_add_f64_e32 v[198:199], v[146:147], v[144:145]
	v_add_f64_e32 v[188:189], v[188:189], v[194:195]
	ds_load_b128 v[4:7], v2 offset:1440
	ds_load_b128 v[144:147], v2 offset:1456
	scratch_load_b128 v[148:151], off, off offset:656
	v_fmac_f64_e32 v[190:191], v[142:143], v[152:153]
	v_fma_f64 v[152:153], v[140:141], v[152:153], -v[154:155]
	scratch_load_b128 v[140:143], off, off offset:672
	s_wait_loadcnt_dscnt 0xc01
	v_mul_f64_e32 v[194:195], v[4:5], v[158:159]
	v_mul_f64_e32 v[158:159], v[6:7], v[158:159]
	v_add_f64_e32 v[154:155], v[198:199], v[196:197]
	v_add_f64_e32 v[188:189], v[188:189], v[192:193]
	s_wait_loadcnt_dscnt 0xb00
	v_mul_f64_e32 v[192:193], v[144:145], v[162:163]
	v_mul_f64_e32 v[162:163], v[146:147], v[162:163]
	v_fmac_f64_e32 v[194:195], v[6:7], v[156:157]
	v_fma_f64 v[196:197], v[4:5], v[156:157], -v[158:159]
	v_add_f64_e32 v[198:199], v[154:155], v[152:153]
	v_add_f64_e32 v[188:189], v[188:189], v[190:191]
	ds_load_b128 v[4:7], v2 offset:1472
	ds_load_b128 v[152:155], v2 offset:1488
	scratch_load_b128 v[156:159], off, off offset:688
	v_fmac_f64_e32 v[192:193], v[146:147], v[160:161]
	v_fma_f64 v[160:161], v[144:145], v[160:161], -v[162:163]
	scratch_load_b128 v[144:147], off, off offset:704
	s_wait_loadcnt_dscnt 0xc01
	v_mul_f64_e32 v[190:191], v[4:5], v[170:171]
	v_mul_f64_e32 v[170:171], v[6:7], v[170:171]
	v_add_f64_e32 v[162:163], v[198:199], v[196:197]
	v_add_f64_e32 v[188:189], v[188:189], v[194:195]
	s_wait_loadcnt_dscnt 0xa00
	v_mul_f64_e32 v[194:195], v[152:153], v[182:183]
	v_mul_f64_e32 v[182:183], v[154:155], v[182:183]
	v_fmac_f64_e32 v[190:191], v[6:7], v[168:169]
	v_fma_f64 v[196:197], v[4:5], v[168:169], -v[170:171]
	v_add_f64_e32 v[198:199], v[162:163], v[160:161]
	v_add_f64_e32 v[188:189], v[188:189], v[192:193]
	ds_load_b128 v[4:7], v2 offset:1504
	ds_load_b128 v[160:163], v2 offset:1520
	scratch_load_b128 v[168:171], off, off offset:720
	v_fmac_f64_e32 v[194:195], v[154:155], v[180:181]
	v_fma_f64 v[180:181], v[152:153], v[180:181], -v[182:183]
	scratch_load_b128 v[152:155], off, off offset:736
	s_wait_loadcnt_dscnt 0xb01
	v_mul_f64_e32 v[192:193], v[4:5], v[186:187]
	v_mul_f64_e32 v[186:187], v[6:7], v[186:187]
	v_add_f64_e32 v[182:183], v[198:199], v[196:197]
	v_add_f64_e32 v[188:189], v[188:189], v[190:191]
	s_wait_loadcnt_dscnt 0xa00
	v_mul_f64_e32 v[190:191], v[160:161], v[12:13]
	v_mul_f64_e32 v[12:13], v[162:163], v[12:13]
	v_fmac_f64_e32 v[192:193], v[6:7], v[184:185]
	v_fma_f64 v[196:197], v[4:5], v[184:185], -v[186:187]
	v_add_f64_e32 v[198:199], v[182:183], v[180:181]
	v_add_f64_e32 v[188:189], v[188:189], v[194:195]
	ds_load_b128 v[4:7], v2 offset:1536
	ds_load_b128 v[180:183], v2 offset:1552
	scratch_load_b128 v[184:187], off, off offset:752
	v_fmac_f64_e32 v[190:191], v[162:163], v[10:11]
	v_fma_f64 v[160:161], v[160:161], v[10:11], -v[12:13]
	scratch_load_b128 v[10:13], off, off offset:768
	s_wait_loadcnt_dscnt 0xb01
	v_mul_f64_e32 v[194:195], v[4:5], v[174:175]
	v_mul_f64_e32 v[174:175], v[6:7], v[174:175]
	v_add_f64_e32 v[162:163], v[198:199], v[196:197]
	v_add_f64_e32 v[188:189], v[188:189], v[192:193]
	s_wait_loadcnt_dscnt 0xa00
	v_mul_f64_e32 v[192:193], v[180:181], v[138:139]
	v_mul_f64_e32 v[138:139], v[182:183], v[138:139]
	v_fmac_f64_e32 v[194:195], v[6:7], v[172:173]
	v_fma_f64 v[196:197], v[4:5], v[172:173], -v[174:175]
	v_add_f64_e32 v[198:199], v[162:163], v[160:161]
	v_add_f64_e32 v[188:189], v[188:189], v[190:191]
	ds_load_b128 v[4:7], v2 offset:1568
	ds_load_b128 v[160:163], v2 offset:1584
	scratch_load_b128 v[172:175], off, off offset:784
	v_fmac_f64_e32 v[192:193], v[182:183], v[136:137]
	v_fma_f64 v[180:181], v[180:181], v[136:137], -v[138:139]
	scratch_load_b128 v[136:139], off, off offset:800
	s_wait_loadcnt_dscnt 0xb01
	v_mul_f64_e32 v[190:191], v[4:5], v[166:167]
	v_mul_f64_e32 v[166:167], v[6:7], v[166:167]
	v_add_f64_e32 v[182:183], v[198:199], v[196:197]
	v_add_f64_e32 v[188:189], v[188:189], v[194:195]
	s_wait_loadcnt_dscnt 0xa00
	v_mul_f64_e32 v[194:195], v[160:161], v[134:135]
	v_mul_f64_e32 v[134:135], v[162:163], v[134:135]
	v_fmac_f64_e32 v[190:191], v[6:7], v[164:165]
	v_fma_f64 v[196:197], v[4:5], v[164:165], -v[166:167]
	ds_load_b128 v[4:7], v2 offset:1600
	ds_load_b128 v[164:167], v2 offset:1616
	v_add_f64_e32 v[198:199], v[182:183], v[180:181]
	v_add_f64_e32 v[188:189], v[188:189], v[192:193]
	scratch_load_b128 v[180:183], off, off offset:816
	v_fmac_f64_e32 v[194:195], v[162:163], v[132:133]
	v_fma_f64 v[160:161], v[160:161], v[132:133], -v[134:135]
	scratch_load_b128 v[132:135], off, off offset:832
	s_wait_loadcnt_dscnt 0xb01
	v_mul_f64_e32 v[192:193], v[4:5], v[150:151]
	v_mul_f64_e32 v[150:151], v[6:7], v[150:151]
	v_add_f64_e32 v[162:163], v[198:199], v[196:197]
	v_add_f64_e32 v[188:189], v[188:189], v[190:191]
	s_wait_loadcnt_dscnt 0xa00
	v_mul_f64_e32 v[190:191], v[164:165], v[142:143]
	v_mul_f64_e32 v[142:143], v[166:167], v[142:143]
	v_fmac_f64_e32 v[192:193], v[6:7], v[148:149]
	v_fma_f64 v[196:197], v[4:5], v[148:149], -v[150:151]
	ds_load_b128 v[4:7], v2 offset:1632
	ds_load_b128 v[148:151], v2 offset:1648
	v_add_f64_e32 v[198:199], v[162:163], v[160:161]
	v_add_f64_e32 v[188:189], v[188:189], v[194:195]
	scratch_load_b128 v[160:163], off, off offset:848
	s_wait_loadcnt_dscnt 0xa01
	v_mul_f64_e32 v[194:195], v[4:5], v[158:159]
	v_mul_f64_e32 v[158:159], v[6:7], v[158:159]
	v_fmac_f64_e32 v[190:191], v[166:167], v[140:141]
	v_fma_f64 v[164:165], v[164:165], v[140:141], -v[142:143]
	scratch_load_b128 v[140:143], off, off offset:864
	v_add_f64_e32 v[166:167], v[198:199], v[196:197]
	v_add_f64_e32 v[188:189], v[188:189], v[192:193]
	s_wait_loadcnt_dscnt 0xa00
	v_mul_f64_e32 v[192:193], v[148:149], v[146:147]
	v_mul_f64_e32 v[146:147], v[150:151], v[146:147]
	v_fmac_f64_e32 v[194:195], v[6:7], v[156:157]
	v_fma_f64 v[196:197], v[4:5], v[156:157], -v[158:159]
	ds_load_b128 v[4:7], v2 offset:1664
	ds_load_b128 v[156:159], v2 offset:1680
	v_add_f64_e32 v[198:199], v[166:167], v[164:165]
	v_add_f64_e32 v[188:189], v[188:189], v[190:191]
	scratch_load_b128 v[164:167], off, off offset:880
	s_wait_loadcnt_dscnt 0xa01
	v_mul_f64_e32 v[190:191], v[4:5], v[170:171]
	v_mul_f64_e32 v[170:171], v[6:7], v[170:171]
	v_fmac_f64_e32 v[192:193], v[150:151], v[144:145]
	v_fma_f64 v[148:149], v[148:149], v[144:145], -v[146:147]
	scratch_load_b128 v[144:147], off, off offset:896
	v_add_f64_e32 v[150:151], v[198:199], v[196:197]
	v_add_f64_e32 v[188:189], v[188:189], v[194:195]
	s_wait_loadcnt_dscnt 0xa00
	v_mul_f64_e32 v[194:195], v[156:157], v[154:155]
	v_mul_f64_e32 v[154:155], v[158:159], v[154:155]
	v_fmac_f64_e32 v[190:191], v[6:7], v[168:169]
	v_fma_f64 v[196:197], v[4:5], v[168:169], -v[170:171]
	v_add_f64_e32 v[198:199], v[150:151], v[148:149]
	v_add_f64_e32 v[188:189], v[188:189], v[192:193]
	ds_load_b128 v[4:7], v2 offset:1696
	ds_load_b128 v[148:151], v2 offset:1712
	scratch_load_b128 v[168:171], off, off offset:912
	v_fmac_f64_e32 v[194:195], v[158:159], v[152:153]
	v_fma_f64 v[156:157], v[156:157], v[152:153], -v[154:155]
	scratch_load_b128 v[152:155], off, off offset:928
	s_wait_loadcnt_dscnt 0xb01
	v_mul_f64_e32 v[192:193], v[4:5], v[186:187]
	v_mul_f64_e32 v[186:187], v[6:7], v[186:187]
	v_add_f64_e32 v[158:159], v[198:199], v[196:197]
	v_add_f64_e32 v[188:189], v[188:189], v[190:191]
	s_wait_loadcnt_dscnt 0xa00
	v_mul_f64_e32 v[190:191], v[148:149], v[12:13]
	v_mul_f64_e32 v[12:13], v[150:151], v[12:13]
	v_fmac_f64_e32 v[192:193], v[6:7], v[184:185]
	v_fma_f64 v[184:185], v[4:5], v[184:185], -v[186:187]
	v_add_f64_e32 v[186:187], v[158:159], v[156:157]
	v_add_f64_e32 v[188:189], v[188:189], v[194:195]
	ds_load_b128 v[4:7], v2 offset:1728
	ds_load_b128 v[156:159], v2 offset:1744
	v_fmac_f64_e32 v[190:191], v[150:151], v[10:11]
	v_fma_f64 v[10:11], v[148:149], v[10:11], -v[12:13]
	s_wait_loadcnt_dscnt 0x901
	v_mul_f64_e32 v[194:195], v[4:5], v[174:175]
	v_mul_f64_e32 v[174:175], v[6:7], v[174:175]
	s_wait_loadcnt_dscnt 0x800
	v_mul_f64_e32 v[150:151], v[156:157], v[138:139]
	v_mul_f64_e32 v[138:139], v[158:159], v[138:139]
	v_add_f64_e32 v[12:13], v[186:187], v[184:185]
	v_add_f64_e32 v[148:149], v[188:189], v[192:193]
	v_fmac_f64_e32 v[194:195], v[6:7], v[172:173]
	v_fma_f64 v[172:173], v[4:5], v[172:173], -v[174:175]
	v_fmac_f64_e32 v[150:151], v[158:159], v[136:137]
	v_fma_f64 v[136:137], v[156:157], v[136:137], -v[138:139]
	v_add_f64_e32 v[174:175], v[12:13], v[10:11]
	v_add_f64_e32 v[148:149], v[148:149], v[190:191]
	ds_load_b128 v[4:7], v2 offset:1760
	ds_load_b128 v[10:13], v2 offset:1776
	s_wait_loadcnt_dscnt 0x701
	v_mul_f64_e32 v[184:185], v[4:5], v[182:183]
	v_mul_f64_e32 v[182:183], v[6:7], v[182:183]
	s_wait_loadcnt_dscnt 0x600
	v_mul_f64_e32 v[156:157], v[10:11], v[134:135]
	v_mul_f64_e32 v[158:159], v[12:13], v[134:135]
	v_add_f64_e32 v[138:139], v[174:175], v[172:173]
	v_add_f64_e32 v[148:149], v[148:149], v[194:195]
	v_fmac_f64_e32 v[184:185], v[6:7], v[180:181]
	v_fma_f64 v[172:173], v[4:5], v[180:181], -v[182:183]
	v_fmac_f64_e32 v[156:157], v[12:13], v[132:133]
	v_fma_f64 v[10:11], v[10:11], v[132:133], -v[158:159]
	v_add_f64_e32 v[138:139], v[138:139], v[136:137]
	v_add_f64_e32 v[148:149], v[148:149], v[150:151]
	ds_load_b128 v[4:7], v2 offset:1792
	ds_load_b128 v[134:137], v2 offset:1808
	s_wait_loadcnt_dscnt 0x501
	v_mul_f64_e32 v[150:151], v[4:5], v[162:163]
	v_mul_f64_e32 v[162:163], v[6:7], v[162:163]
	v_add_f64_e32 v[12:13], v[138:139], v[172:173]
	v_add_f64_e32 v[132:133], v[148:149], v[184:185]
	s_wait_loadcnt_dscnt 0x400
	v_mul_f64_e32 v[138:139], v[134:135], v[142:143]
	v_mul_f64_e32 v[142:143], v[136:137], v[142:143]
	v_fmac_f64_e32 v[150:151], v[6:7], v[160:161]
	v_fma_f64 v[148:149], v[4:5], v[160:161], -v[162:163]
	v_add_f64_e32 v[158:159], v[12:13], v[10:11]
	v_add_f64_e32 v[132:133], v[132:133], v[156:157]
	ds_load_b128 v[4:7], v2 offset:1824
	ds_load_b128 v[10:13], v2 offset:1840
	v_fmac_f64_e32 v[138:139], v[136:137], v[140:141]
	v_fma_f64 v[134:135], v[134:135], v[140:141], -v[142:143]
	s_wait_loadcnt_dscnt 0x301
	v_mul_f64_e32 v[156:157], v[4:5], v[166:167]
	v_mul_f64_e32 v[160:161], v[6:7], v[166:167]
	s_wait_loadcnt_dscnt 0x200
	v_mul_f64_e32 v[140:141], v[10:11], v[146:147]
	v_mul_f64_e32 v[142:143], v[12:13], v[146:147]
	v_add_f64_e32 v[136:137], v[158:159], v[148:149]
	v_add_f64_e32 v[132:133], v[132:133], v[150:151]
	v_fmac_f64_e32 v[156:157], v[6:7], v[164:165]
	v_fma_f64 v[146:147], v[4:5], v[164:165], -v[160:161]
	v_fmac_f64_e32 v[140:141], v[12:13], v[144:145]
	v_fma_f64 v[10:11], v[10:11], v[144:145], -v[142:143]
	v_add_f64_e32 v[136:137], v[136:137], v[134:135]
	v_add_f64_e32 v[138:139], v[132:133], v[138:139]
	ds_load_b128 v[4:7], v2 offset:1856
	ds_load_b128 v[132:135], v2 offset:1872
	s_wait_loadcnt_dscnt 0x101
	v_mul_f64_e32 v[2:3], v[4:5], v[170:171]
	v_mul_f64_e32 v[148:149], v[6:7], v[170:171]
	s_wait_loadcnt_dscnt 0x0
	v_mul_f64_e32 v[142:143], v[134:135], v[154:155]
	v_add_f64_e32 v[12:13], v[136:137], v[146:147]
	v_add_f64_e32 v[136:137], v[138:139], v[156:157]
	v_mul_f64_e32 v[138:139], v[132:133], v[154:155]
	v_fmac_f64_e32 v[2:3], v[6:7], v[168:169]
	v_fma_f64 v[4:5], v[4:5], v[168:169], -v[148:149]
	v_add_f64_e32 v[6:7], v[12:13], v[10:11]
	v_add_f64_e32 v[10:11], v[136:137], v[140:141]
	v_fmac_f64_e32 v[138:139], v[134:135], v[152:153]
	v_fma_f64 v[12:13], v[132:133], v[152:153], -v[142:143]
	s_delay_alu instid0(VALU_DEP_4) | instskip(NEXT) | instid1(VALU_DEP_4)
	v_add_f64_e32 v[4:5], v[6:7], v[4:5]
	v_add_f64_e32 v[2:3], v[10:11], v[2:3]
	s_delay_alu instid0(VALU_DEP_2) | instskip(NEXT) | instid1(VALU_DEP_2)
	v_add_f64_e32 v[4:5], v[4:5], v[12:13]
	v_add_f64_e32 v[6:7], v[2:3], v[138:139]
	s_delay_alu instid0(VALU_DEP_2) | instskip(NEXT) | instid1(VALU_DEP_2)
	v_add_f64_e64 v[2:3], v[176:177], -v[4:5]
	v_add_f64_e64 v[4:5], v[178:179], -v[6:7]
	scratch_store_b128 off, v[2:5], off offset:352
	s_wait_xcnt 0x0
	v_cmpx_lt_u32_e32 21, v1
	s_cbranch_execz .LBB58_325
; %bb.324:
	scratch_load_b128 v[2:5], off, s60
	v_mov_b32_e32 v10, 0
	s_delay_alu instid0(VALU_DEP_1)
	v_dual_mov_b32 v11, v10 :: v_dual_mov_b32 v12, v10
	v_mov_b32_e32 v13, v10
	scratch_store_b128 off, v[10:13], off offset:336
	s_wait_loadcnt 0x0
	ds_store_b128 v8, v[2:5]
.LBB58_325:
	s_wait_xcnt 0x0
	s_or_b32 exec_lo, exec_lo, s2
	s_wait_storecnt_dscnt 0x0
	s_barrier_signal -1
	s_barrier_wait -1
	s_clause 0x9
	scratch_load_b128 v[4:7], off, off offset:352
	scratch_load_b128 v[10:13], off, off offset:368
	;; [unrolled: 1-line block ×10, first 2 shown]
	v_mov_b32_e32 v2, 0
	s_mov_b32 s2, exec_lo
	ds_load_b128 v[164:167], v2 offset:1296
	s_clause 0x2
	scratch_load_b128 v[168:171], off, off offset:512
	scratch_load_b128 v[172:175], off, off offset:336
	;; [unrolled: 1-line block ×3, first 2 shown]
	s_wait_loadcnt_dscnt 0xc00
	v_mul_f64_e32 v[184:185], v[166:167], v[6:7]
	v_mul_f64_e32 v[188:189], v[164:165], v[6:7]
	ds_load_b128 v[176:179], v2 offset:1312
	v_fma_f64 v[192:193], v[164:165], v[4:5], -v[184:185]
	v_fmac_f64_e32 v[188:189], v[166:167], v[4:5]
	ds_load_b128 v[4:7], v2 offset:1328
	s_wait_loadcnt_dscnt 0xb01
	v_mul_f64_e32 v[190:191], v[176:177], v[12:13]
	v_mul_f64_e32 v[12:13], v[178:179], v[12:13]
	scratch_load_b128 v[164:167], off, off offset:544
	ds_load_b128 v[184:187], v2 offset:1344
	s_wait_loadcnt_dscnt 0xb01
	v_mul_f64_e32 v[194:195], v[4:5], v[134:135]
	v_mul_f64_e32 v[134:135], v[6:7], v[134:135]
	v_add_f64_e32 v[188:189], 0, v[188:189]
	v_fmac_f64_e32 v[190:191], v[178:179], v[10:11]
	v_fma_f64 v[176:177], v[176:177], v[10:11], -v[12:13]
	v_add_f64_e32 v[178:179], 0, v[192:193]
	scratch_load_b128 v[10:13], off, off offset:560
	v_fmac_f64_e32 v[194:195], v[6:7], v[132:133]
	v_fma_f64 v[196:197], v[4:5], v[132:133], -v[134:135]
	ds_load_b128 v[4:7], v2 offset:1360
	s_wait_loadcnt_dscnt 0xb01
	v_mul_f64_e32 v[192:193], v[184:185], v[138:139]
	v_mul_f64_e32 v[138:139], v[186:187], v[138:139]
	scratch_load_b128 v[132:135], off, off offset:576
	v_add_f64_e32 v[188:189], v[188:189], v[190:191]
	v_add_f64_e32 v[198:199], v[178:179], v[176:177]
	ds_load_b128 v[176:179], v2 offset:1376
	s_wait_loadcnt_dscnt 0xb01
	v_mul_f64_e32 v[190:191], v[4:5], v[142:143]
	v_mul_f64_e32 v[142:143], v[6:7], v[142:143]
	v_fmac_f64_e32 v[192:193], v[186:187], v[136:137]
	v_fma_f64 v[184:185], v[184:185], v[136:137], -v[138:139]
	scratch_load_b128 v[136:139], off, off offset:592
	v_add_f64_e32 v[188:189], v[188:189], v[194:195]
	v_add_f64_e32 v[186:187], v[198:199], v[196:197]
	v_fmac_f64_e32 v[190:191], v[6:7], v[140:141]
	v_fma_f64 v[196:197], v[4:5], v[140:141], -v[142:143]
	ds_load_b128 v[4:7], v2 offset:1392
	s_wait_loadcnt_dscnt 0xb01
	v_mul_f64_e32 v[194:195], v[176:177], v[146:147]
	v_mul_f64_e32 v[146:147], v[178:179], v[146:147]
	scratch_load_b128 v[140:143], off, off offset:608
	v_add_f64_e32 v[188:189], v[188:189], v[192:193]
	s_wait_loadcnt_dscnt 0xb00
	v_mul_f64_e32 v[192:193], v[4:5], v[150:151]
	v_add_f64_e32 v[198:199], v[186:187], v[184:185]
	v_mul_f64_e32 v[150:151], v[6:7], v[150:151]
	ds_load_b128 v[184:187], v2 offset:1408
	v_fmac_f64_e32 v[194:195], v[178:179], v[144:145]
	v_fma_f64 v[176:177], v[176:177], v[144:145], -v[146:147]
	scratch_load_b128 v[144:147], off, off offset:624
	v_add_f64_e32 v[188:189], v[188:189], v[190:191]
	v_fmac_f64_e32 v[192:193], v[6:7], v[148:149]
	v_add_f64_e32 v[178:179], v[198:199], v[196:197]
	v_fma_f64 v[196:197], v[4:5], v[148:149], -v[150:151]
	ds_load_b128 v[4:7], v2 offset:1424
	s_wait_loadcnt_dscnt 0xb01
	v_mul_f64_e32 v[190:191], v[184:185], v[154:155]
	v_mul_f64_e32 v[154:155], v[186:187], v[154:155]
	scratch_load_b128 v[148:151], off, off offset:640
	v_add_f64_e32 v[188:189], v[188:189], v[194:195]
	s_wait_loadcnt_dscnt 0xb00
	v_mul_f64_e32 v[194:195], v[4:5], v[158:159]
	v_add_f64_e32 v[198:199], v[178:179], v[176:177]
	v_mul_f64_e32 v[158:159], v[6:7], v[158:159]
	ds_load_b128 v[176:179], v2 offset:1440
	v_fmac_f64_e32 v[190:191], v[186:187], v[152:153]
	v_fma_f64 v[184:185], v[184:185], v[152:153], -v[154:155]
	scratch_load_b128 v[152:155], off, off offset:656
	v_add_f64_e32 v[188:189], v[188:189], v[192:193]
	v_fmac_f64_e32 v[194:195], v[6:7], v[156:157]
	v_add_f64_e32 v[186:187], v[198:199], v[196:197]
	;; [unrolled: 18-line block ×3, first 2 shown]
	v_fma_f64 v[196:197], v[4:5], v[168:169], -v[170:171]
	ds_load_b128 v[4:7], v2 offset:1488
	s_wait_loadcnt_dscnt 0xa01
	v_mul_f64_e32 v[194:195], v[184:185], v[182:183]
	v_mul_f64_e32 v[182:183], v[186:187], v[182:183]
	scratch_load_b128 v[168:171], off, off offset:704
	v_add_f64_e32 v[188:189], v[188:189], v[192:193]
	v_add_f64_e32 v[198:199], v[178:179], v[176:177]
	s_wait_loadcnt_dscnt 0xa00
	v_mul_f64_e32 v[192:193], v[4:5], v[166:167]
	v_mul_f64_e32 v[166:167], v[6:7], v[166:167]
	v_fmac_f64_e32 v[194:195], v[186:187], v[180:181]
	v_fma_f64 v[184:185], v[184:185], v[180:181], -v[182:183]
	ds_load_b128 v[176:179], v2 offset:1504
	scratch_load_b128 v[180:183], off, off offset:720
	v_add_f64_e32 v[188:189], v[188:189], v[190:191]
	v_add_f64_e32 v[186:187], v[198:199], v[196:197]
	v_fmac_f64_e32 v[192:193], v[6:7], v[164:165]
	v_fma_f64 v[196:197], v[4:5], v[164:165], -v[166:167]
	ds_load_b128 v[4:7], v2 offset:1520
	s_wait_loadcnt_dscnt 0xa01
	v_mul_f64_e32 v[190:191], v[176:177], v[12:13]
	v_mul_f64_e32 v[12:13], v[178:179], v[12:13]
	scratch_load_b128 v[164:167], off, off offset:736
	v_add_f64_e32 v[188:189], v[188:189], v[194:195]
	s_wait_loadcnt_dscnt 0xa00
	v_mul_f64_e32 v[194:195], v[4:5], v[134:135]
	v_add_f64_e32 v[198:199], v[186:187], v[184:185]
	v_mul_f64_e32 v[134:135], v[6:7], v[134:135]
	ds_load_b128 v[184:187], v2 offset:1536
	v_fmac_f64_e32 v[190:191], v[178:179], v[10:11]
	v_fma_f64 v[176:177], v[176:177], v[10:11], -v[12:13]
	scratch_load_b128 v[10:13], off, off offset:752
	v_add_f64_e32 v[188:189], v[188:189], v[192:193]
	v_fmac_f64_e32 v[194:195], v[6:7], v[132:133]
	v_add_f64_e32 v[178:179], v[198:199], v[196:197]
	v_fma_f64 v[196:197], v[4:5], v[132:133], -v[134:135]
	ds_load_b128 v[4:7], v2 offset:1552
	s_wait_loadcnt_dscnt 0xa01
	v_mul_f64_e32 v[192:193], v[184:185], v[138:139]
	v_mul_f64_e32 v[138:139], v[186:187], v[138:139]
	scratch_load_b128 v[132:135], off, off offset:768
	v_add_f64_e32 v[188:189], v[188:189], v[190:191]
	s_wait_loadcnt_dscnt 0xa00
	v_mul_f64_e32 v[190:191], v[4:5], v[142:143]
	v_add_f64_e32 v[198:199], v[178:179], v[176:177]
	v_mul_f64_e32 v[142:143], v[6:7], v[142:143]
	ds_load_b128 v[176:179], v2 offset:1568
	v_fmac_f64_e32 v[192:193], v[186:187], v[136:137]
	v_fma_f64 v[184:185], v[184:185], v[136:137], -v[138:139]
	scratch_load_b128 v[136:139], off, off offset:784
	v_add_f64_e32 v[188:189], v[188:189], v[194:195]
	v_fmac_f64_e32 v[190:191], v[6:7], v[140:141]
	v_add_f64_e32 v[186:187], v[198:199], v[196:197]
	;; [unrolled: 18-line block ×6, first 2 shown]
	v_fma_f64 v[196:197], v[4:5], v[164:165], -v[166:167]
	ds_load_b128 v[4:7], v2 offset:1712
	s_wait_loadcnt_dscnt 0xa01
	v_mul_f64_e32 v[190:191], v[176:177], v[12:13]
	v_mul_f64_e32 v[12:13], v[178:179], v[12:13]
	scratch_load_b128 v[164:167], off, off offset:928
	v_add_f64_e32 v[188:189], v[188:189], v[194:195]
	s_wait_loadcnt_dscnt 0xa00
	v_mul_f64_e32 v[194:195], v[4:5], v[134:135]
	v_add_f64_e32 v[198:199], v[186:187], v[184:185]
	v_mul_f64_e32 v[134:135], v[6:7], v[134:135]
	ds_load_b128 v[184:187], v2 offset:1728
	v_fmac_f64_e32 v[190:191], v[178:179], v[10:11]
	v_fma_f64 v[10:11], v[176:177], v[10:11], -v[12:13]
	s_wait_loadcnt_dscnt 0x900
	v_mul_f64_e32 v[178:179], v[184:185], v[138:139]
	v_mul_f64_e32 v[138:139], v[186:187], v[138:139]
	v_add_f64_e32 v[176:177], v[188:189], v[192:193]
	v_fmac_f64_e32 v[194:195], v[6:7], v[132:133]
	v_add_f64_e32 v[12:13], v[198:199], v[196:197]
	v_fma_f64 v[132:133], v[4:5], v[132:133], -v[134:135]
	v_fmac_f64_e32 v[178:179], v[186:187], v[136:137]
	v_fma_f64 v[136:137], v[184:185], v[136:137], -v[138:139]
	v_add_f64_e32 v[176:177], v[176:177], v[190:191]
	v_add_f64_e32 v[134:135], v[12:13], v[10:11]
	ds_load_b128 v[4:7], v2 offset:1744
	ds_load_b128 v[10:13], v2 offset:1760
	s_wait_loadcnt_dscnt 0x801
	v_mul_f64_e32 v[188:189], v[4:5], v[142:143]
	v_mul_f64_e32 v[142:143], v[6:7], v[142:143]
	s_wait_loadcnt_dscnt 0x700
	v_mul_f64_e32 v[138:139], v[10:11], v[146:147]
	v_mul_f64_e32 v[146:147], v[12:13], v[146:147]
	v_add_f64_e32 v[132:133], v[134:135], v[132:133]
	v_add_f64_e32 v[134:135], v[176:177], v[194:195]
	v_fmac_f64_e32 v[188:189], v[6:7], v[140:141]
	v_fma_f64 v[140:141], v[4:5], v[140:141], -v[142:143]
	v_fmac_f64_e32 v[138:139], v[12:13], v[144:145]
	v_fma_f64 v[10:11], v[10:11], v[144:145], -v[146:147]
	v_add_f64_e32 v[136:137], v[132:133], v[136:137]
	v_add_f64_e32 v[142:143], v[134:135], v[178:179]
	ds_load_b128 v[4:7], v2 offset:1776
	ds_load_b128 v[132:135], v2 offset:1792
	s_wait_loadcnt_dscnt 0x601
	v_mul_f64_e32 v[176:177], v[4:5], v[150:151]
	v_mul_f64_e32 v[150:151], v[6:7], v[150:151]
	v_add_f64_e32 v[12:13], v[136:137], v[140:141]
	v_add_f64_e32 v[136:137], v[142:143], v[188:189]
	s_wait_loadcnt_dscnt 0x500
	v_mul_f64_e32 v[140:141], v[132:133], v[154:155]
	v_mul_f64_e32 v[142:143], v[134:135], v[154:155]
	v_fmac_f64_e32 v[176:177], v[6:7], v[148:149]
	v_fma_f64 v[144:145], v[4:5], v[148:149], -v[150:151]
	v_add_f64_e32 v[146:147], v[12:13], v[10:11]
	v_add_f64_e32 v[136:137], v[136:137], v[138:139]
	ds_load_b128 v[4:7], v2 offset:1808
	ds_load_b128 v[10:13], v2 offset:1824
	v_fmac_f64_e32 v[140:141], v[134:135], v[152:153]
	v_fma_f64 v[132:133], v[132:133], v[152:153], -v[142:143]
	s_wait_loadcnt_dscnt 0x401
	v_mul_f64_e32 v[138:139], v[4:5], v[158:159]
	v_mul_f64_e32 v[148:149], v[6:7], v[158:159]
	s_wait_loadcnt_dscnt 0x300
	v_mul_f64_e32 v[142:143], v[10:11], v[162:163]
	v_add_f64_e32 v[134:135], v[146:147], v[144:145]
	v_add_f64_e32 v[136:137], v[136:137], v[176:177]
	v_mul_f64_e32 v[144:145], v[12:13], v[162:163]
	v_fmac_f64_e32 v[138:139], v[6:7], v[156:157]
	v_fma_f64 v[146:147], v[4:5], v[156:157], -v[148:149]
	v_fmac_f64_e32 v[142:143], v[12:13], v[160:161]
	v_add_f64_e32 v[148:149], v[134:135], v[132:133]
	v_add_f64_e32 v[136:137], v[136:137], v[140:141]
	ds_load_b128 v[4:7], v2 offset:1840
	ds_load_b128 v[132:135], v2 offset:1856
	v_fma_f64 v[10:11], v[10:11], v[160:161], -v[144:145]
	s_wait_loadcnt_dscnt 0x201
	v_mul_f64_e32 v[140:141], v[4:5], v[170:171]
	v_mul_f64_e32 v[150:151], v[6:7], v[170:171]
	s_wait_loadcnt_dscnt 0x100
	v_mul_f64_e32 v[144:145], v[134:135], v[182:183]
	v_add_f64_e32 v[12:13], v[148:149], v[146:147]
	v_add_f64_e32 v[136:137], v[136:137], v[138:139]
	v_mul_f64_e32 v[138:139], v[132:133], v[182:183]
	v_fmac_f64_e32 v[140:141], v[6:7], v[168:169]
	v_fma_f64 v[146:147], v[4:5], v[168:169], -v[150:151]
	ds_load_b128 v[4:7], v2 offset:1872
	v_fma_f64 v[132:133], v[132:133], v[180:181], -v[144:145]
	v_add_f64_e32 v[10:11], v[12:13], v[10:11]
	v_add_f64_e32 v[12:13], v[136:137], v[142:143]
	v_fmac_f64_e32 v[138:139], v[134:135], v[180:181]
	s_wait_loadcnt_dscnt 0x0
	v_mul_f64_e32 v[136:137], v[4:5], v[166:167]
	v_mul_f64_e32 v[142:143], v[6:7], v[166:167]
	v_add_f64_e32 v[10:11], v[10:11], v[146:147]
	v_add_f64_e32 v[12:13], v[12:13], v[140:141]
	s_delay_alu instid0(VALU_DEP_4) | instskip(NEXT) | instid1(VALU_DEP_4)
	v_fmac_f64_e32 v[136:137], v[6:7], v[164:165]
	v_fma_f64 v[4:5], v[4:5], v[164:165], -v[142:143]
	s_delay_alu instid0(VALU_DEP_4) | instskip(NEXT) | instid1(VALU_DEP_4)
	v_add_f64_e32 v[6:7], v[10:11], v[132:133]
	v_add_f64_e32 v[10:11], v[12:13], v[138:139]
	s_delay_alu instid0(VALU_DEP_2) | instskip(NEXT) | instid1(VALU_DEP_2)
	v_add_f64_e32 v[4:5], v[6:7], v[4:5]
	v_add_f64_e32 v[6:7], v[10:11], v[136:137]
	s_delay_alu instid0(VALU_DEP_2) | instskip(NEXT) | instid1(VALU_DEP_2)
	v_add_f64_e64 v[4:5], v[172:173], -v[4:5]
	v_add_f64_e64 v[6:7], v[174:175], -v[6:7]
	scratch_store_b128 off, v[4:7], off offset:336
	s_wait_xcnt 0x0
	v_cmpx_lt_u32_e32 20, v1
	s_cbranch_execz .LBB58_327
; %bb.326:
	scratch_load_b128 v[10:13], off, s67
	v_dual_mov_b32 v3, v2 :: v_dual_mov_b32 v4, v2
	v_mov_b32_e32 v5, v2
	scratch_store_b128 off, v[2:5], off offset:320
	s_wait_loadcnt 0x0
	ds_store_b128 v8, v[10:13]
.LBB58_327:
	s_wait_xcnt 0x0
	s_or_b32 exec_lo, exec_lo, s2
	s_wait_storecnt_dscnt 0x0
	s_barrier_signal -1
	s_barrier_wait -1
	s_clause 0x9
	scratch_load_b128 v[4:7], off, off offset:336
	scratch_load_b128 v[10:13], off, off offset:352
	;; [unrolled: 1-line block ×10, first 2 shown]
	ds_load_b128 v[164:167], v2 offset:1280
	ds_load_b128 v[172:175], v2 offset:1296
	s_clause 0x2
	scratch_load_b128 v[168:171], off, off offset:496
	scratch_load_b128 v[176:179], off, off offset:320
	;; [unrolled: 1-line block ×3, first 2 shown]
	s_mov_b32 s2, exec_lo
	s_wait_loadcnt_dscnt 0xc01
	v_mul_f64_e32 v[184:185], v[166:167], v[6:7]
	v_mul_f64_e32 v[188:189], v[164:165], v[6:7]
	s_wait_loadcnt_dscnt 0xb00
	v_mul_f64_e32 v[190:191], v[172:173], v[12:13]
	v_mul_f64_e32 v[12:13], v[174:175], v[12:13]
	s_delay_alu instid0(VALU_DEP_4) | instskip(NEXT) | instid1(VALU_DEP_4)
	v_fma_f64 v[192:193], v[164:165], v[4:5], -v[184:185]
	v_fmac_f64_e32 v[188:189], v[166:167], v[4:5]
	ds_load_b128 v[4:7], v2 offset:1312
	ds_load_b128 v[164:167], v2 offset:1328
	scratch_load_b128 v[184:187], off, off offset:528
	v_fmac_f64_e32 v[190:191], v[174:175], v[10:11]
	v_fma_f64 v[172:173], v[172:173], v[10:11], -v[12:13]
	scratch_load_b128 v[10:13], off, off offset:544
	s_wait_loadcnt_dscnt 0xc01
	v_mul_f64_e32 v[194:195], v[4:5], v[134:135]
	v_mul_f64_e32 v[134:135], v[6:7], v[134:135]
	v_add_f64_e32 v[174:175], 0, v[192:193]
	v_add_f64_e32 v[188:189], 0, v[188:189]
	s_wait_loadcnt_dscnt 0xb00
	v_mul_f64_e32 v[192:193], v[164:165], v[138:139]
	v_mul_f64_e32 v[138:139], v[166:167], v[138:139]
	v_fmac_f64_e32 v[194:195], v[6:7], v[132:133]
	v_fma_f64 v[196:197], v[4:5], v[132:133], -v[134:135]
	ds_load_b128 v[4:7], v2 offset:1344
	ds_load_b128 v[132:135], v2 offset:1360
	v_add_f64_e32 v[198:199], v[174:175], v[172:173]
	v_add_f64_e32 v[188:189], v[188:189], v[190:191]
	scratch_load_b128 v[172:175], off, off offset:560
	v_fmac_f64_e32 v[192:193], v[166:167], v[136:137]
	v_fma_f64 v[164:165], v[164:165], v[136:137], -v[138:139]
	scratch_load_b128 v[136:139], off, off offset:576
	s_wait_loadcnt_dscnt 0xc01
	v_mul_f64_e32 v[190:191], v[4:5], v[142:143]
	v_mul_f64_e32 v[142:143], v[6:7], v[142:143]
	v_add_f64_e32 v[166:167], v[198:199], v[196:197]
	v_add_f64_e32 v[188:189], v[188:189], v[194:195]
	s_wait_loadcnt_dscnt 0xb00
	v_mul_f64_e32 v[194:195], v[132:133], v[146:147]
	v_mul_f64_e32 v[146:147], v[134:135], v[146:147]
	v_fmac_f64_e32 v[190:191], v[6:7], v[140:141]
	v_fma_f64 v[196:197], v[4:5], v[140:141], -v[142:143]
	ds_load_b128 v[4:7], v2 offset:1376
	ds_load_b128 v[140:143], v2 offset:1392
	v_add_f64_e32 v[198:199], v[166:167], v[164:165]
	v_add_f64_e32 v[188:189], v[188:189], v[192:193]
	scratch_load_b128 v[164:167], off, off offset:592
	s_wait_loadcnt_dscnt 0xb01
	v_mul_f64_e32 v[192:193], v[4:5], v[150:151]
	v_mul_f64_e32 v[150:151], v[6:7], v[150:151]
	v_fmac_f64_e32 v[194:195], v[134:135], v[144:145]
	v_fma_f64 v[144:145], v[132:133], v[144:145], -v[146:147]
	scratch_load_b128 v[132:135], off, off offset:608
	v_add_f64_e32 v[146:147], v[198:199], v[196:197]
	v_add_f64_e32 v[188:189], v[188:189], v[190:191]
	s_wait_loadcnt_dscnt 0xb00
	v_mul_f64_e32 v[190:191], v[140:141], v[154:155]
	v_mul_f64_e32 v[154:155], v[142:143], v[154:155]
	v_fmac_f64_e32 v[192:193], v[6:7], v[148:149]
	v_fma_f64 v[196:197], v[4:5], v[148:149], -v[150:151]
	v_add_f64_e32 v[198:199], v[146:147], v[144:145]
	v_add_f64_e32 v[188:189], v[188:189], v[194:195]
	ds_load_b128 v[4:7], v2 offset:1408
	ds_load_b128 v[144:147], v2 offset:1424
	scratch_load_b128 v[148:151], off, off offset:624
	v_fmac_f64_e32 v[190:191], v[142:143], v[152:153]
	v_fma_f64 v[152:153], v[140:141], v[152:153], -v[154:155]
	scratch_load_b128 v[140:143], off, off offset:640
	s_wait_loadcnt_dscnt 0xc01
	v_mul_f64_e32 v[194:195], v[4:5], v[158:159]
	v_mul_f64_e32 v[158:159], v[6:7], v[158:159]
	v_add_f64_e32 v[154:155], v[198:199], v[196:197]
	v_add_f64_e32 v[188:189], v[188:189], v[192:193]
	s_wait_loadcnt_dscnt 0xb00
	v_mul_f64_e32 v[192:193], v[144:145], v[162:163]
	v_mul_f64_e32 v[162:163], v[146:147], v[162:163]
	v_fmac_f64_e32 v[194:195], v[6:7], v[156:157]
	v_fma_f64 v[196:197], v[4:5], v[156:157], -v[158:159]
	v_add_f64_e32 v[198:199], v[154:155], v[152:153]
	v_add_f64_e32 v[188:189], v[188:189], v[190:191]
	ds_load_b128 v[4:7], v2 offset:1440
	ds_load_b128 v[152:155], v2 offset:1456
	scratch_load_b128 v[156:159], off, off offset:656
	v_fmac_f64_e32 v[192:193], v[146:147], v[160:161]
	v_fma_f64 v[160:161], v[144:145], v[160:161], -v[162:163]
	scratch_load_b128 v[144:147], off, off offset:672
	s_wait_loadcnt_dscnt 0xc01
	v_mul_f64_e32 v[190:191], v[4:5], v[170:171]
	v_mul_f64_e32 v[170:171], v[6:7], v[170:171]
	;; [unrolled: 18-line block ×5, first 2 shown]
	v_add_f64_e32 v[182:183], v[198:199], v[196:197]
	v_add_f64_e32 v[188:189], v[188:189], v[194:195]
	s_wait_loadcnt_dscnt 0xa00
	v_mul_f64_e32 v[194:195], v[160:161], v[134:135]
	v_mul_f64_e32 v[134:135], v[162:163], v[134:135]
	v_fmac_f64_e32 v[190:191], v[6:7], v[164:165]
	v_fma_f64 v[196:197], v[4:5], v[164:165], -v[166:167]
	ds_load_b128 v[4:7], v2 offset:1568
	ds_load_b128 v[164:167], v2 offset:1584
	v_add_f64_e32 v[198:199], v[182:183], v[180:181]
	v_add_f64_e32 v[188:189], v[188:189], v[192:193]
	scratch_load_b128 v[180:183], off, off offset:784
	v_fmac_f64_e32 v[194:195], v[162:163], v[132:133]
	v_fma_f64 v[160:161], v[160:161], v[132:133], -v[134:135]
	scratch_load_b128 v[132:135], off, off offset:800
	s_wait_loadcnt_dscnt 0xb01
	v_mul_f64_e32 v[192:193], v[4:5], v[150:151]
	v_mul_f64_e32 v[150:151], v[6:7], v[150:151]
	v_add_f64_e32 v[162:163], v[198:199], v[196:197]
	v_add_f64_e32 v[188:189], v[188:189], v[190:191]
	s_wait_loadcnt_dscnt 0xa00
	v_mul_f64_e32 v[190:191], v[164:165], v[142:143]
	v_mul_f64_e32 v[142:143], v[166:167], v[142:143]
	v_fmac_f64_e32 v[192:193], v[6:7], v[148:149]
	v_fma_f64 v[196:197], v[4:5], v[148:149], -v[150:151]
	ds_load_b128 v[4:7], v2 offset:1600
	ds_load_b128 v[148:151], v2 offset:1616
	v_add_f64_e32 v[198:199], v[162:163], v[160:161]
	v_add_f64_e32 v[188:189], v[188:189], v[194:195]
	scratch_load_b128 v[160:163], off, off offset:816
	s_wait_loadcnt_dscnt 0xa01
	v_mul_f64_e32 v[194:195], v[4:5], v[158:159]
	v_mul_f64_e32 v[158:159], v[6:7], v[158:159]
	v_fmac_f64_e32 v[190:191], v[166:167], v[140:141]
	v_fma_f64 v[164:165], v[164:165], v[140:141], -v[142:143]
	scratch_load_b128 v[140:143], off, off offset:832
	v_add_f64_e32 v[166:167], v[198:199], v[196:197]
	v_add_f64_e32 v[188:189], v[188:189], v[192:193]
	s_wait_loadcnt_dscnt 0xa00
	v_mul_f64_e32 v[192:193], v[148:149], v[146:147]
	v_mul_f64_e32 v[146:147], v[150:151], v[146:147]
	v_fmac_f64_e32 v[194:195], v[6:7], v[156:157]
	v_fma_f64 v[196:197], v[4:5], v[156:157], -v[158:159]
	ds_load_b128 v[4:7], v2 offset:1632
	ds_load_b128 v[156:159], v2 offset:1648
	v_add_f64_e32 v[198:199], v[166:167], v[164:165]
	v_add_f64_e32 v[188:189], v[188:189], v[190:191]
	scratch_load_b128 v[164:167], off, off offset:848
	s_wait_loadcnt_dscnt 0xa01
	v_mul_f64_e32 v[190:191], v[4:5], v[170:171]
	v_mul_f64_e32 v[170:171], v[6:7], v[170:171]
	v_fmac_f64_e32 v[192:193], v[150:151], v[144:145]
	v_fma_f64 v[148:149], v[148:149], v[144:145], -v[146:147]
	scratch_load_b128 v[144:147], off, off offset:864
	v_add_f64_e32 v[150:151], v[198:199], v[196:197]
	v_add_f64_e32 v[188:189], v[188:189], v[194:195]
	s_wait_loadcnt_dscnt 0xa00
	v_mul_f64_e32 v[194:195], v[156:157], v[154:155]
	v_mul_f64_e32 v[154:155], v[158:159], v[154:155]
	v_fmac_f64_e32 v[190:191], v[6:7], v[168:169]
	v_fma_f64 v[196:197], v[4:5], v[168:169], -v[170:171]
	v_add_f64_e32 v[198:199], v[150:151], v[148:149]
	v_add_f64_e32 v[188:189], v[188:189], v[192:193]
	ds_load_b128 v[4:7], v2 offset:1664
	ds_load_b128 v[148:151], v2 offset:1680
	scratch_load_b128 v[168:171], off, off offset:880
	v_fmac_f64_e32 v[194:195], v[158:159], v[152:153]
	v_fma_f64 v[156:157], v[156:157], v[152:153], -v[154:155]
	scratch_load_b128 v[152:155], off, off offset:896
	s_wait_loadcnt_dscnt 0xb01
	v_mul_f64_e32 v[192:193], v[4:5], v[186:187]
	v_mul_f64_e32 v[186:187], v[6:7], v[186:187]
	v_add_f64_e32 v[158:159], v[198:199], v[196:197]
	v_add_f64_e32 v[188:189], v[188:189], v[190:191]
	s_wait_loadcnt_dscnt 0xa00
	v_mul_f64_e32 v[190:191], v[148:149], v[12:13]
	v_mul_f64_e32 v[12:13], v[150:151], v[12:13]
	v_fmac_f64_e32 v[192:193], v[6:7], v[184:185]
	v_fma_f64 v[196:197], v[4:5], v[184:185], -v[186:187]
	v_add_f64_e32 v[198:199], v[158:159], v[156:157]
	v_add_f64_e32 v[188:189], v[188:189], v[194:195]
	ds_load_b128 v[4:7], v2 offset:1696
	ds_load_b128 v[156:159], v2 offset:1712
	scratch_load_b128 v[184:187], off, off offset:912
	v_fmac_f64_e32 v[190:191], v[150:151], v[10:11]
	v_fma_f64 v[148:149], v[148:149], v[10:11], -v[12:13]
	scratch_load_b128 v[10:13], off, off offset:928
	s_wait_loadcnt_dscnt 0xb01
	v_mul_f64_e32 v[194:195], v[4:5], v[174:175]
	v_mul_f64_e32 v[174:175], v[6:7], v[174:175]
	v_add_f64_e32 v[150:151], v[198:199], v[196:197]
	v_add_f64_e32 v[188:189], v[188:189], v[192:193]
	s_wait_loadcnt_dscnt 0xa00
	v_mul_f64_e32 v[192:193], v[156:157], v[138:139]
	v_mul_f64_e32 v[138:139], v[158:159], v[138:139]
	v_fmac_f64_e32 v[194:195], v[6:7], v[172:173]
	v_fma_f64 v[172:173], v[4:5], v[172:173], -v[174:175]
	v_add_f64_e32 v[174:175], v[150:151], v[148:149]
	v_add_f64_e32 v[188:189], v[188:189], v[190:191]
	ds_load_b128 v[4:7], v2 offset:1728
	ds_load_b128 v[148:151], v2 offset:1744
	v_fmac_f64_e32 v[192:193], v[158:159], v[136:137]
	v_fma_f64 v[136:137], v[156:157], v[136:137], -v[138:139]
	s_wait_loadcnt_dscnt 0x901
	v_mul_f64_e32 v[190:191], v[4:5], v[182:183]
	v_mul_f64_e32 v[182:183], v[6:7], v[182:183]
	s_wait_loadcnt_dscnt 0x800
	v_mul_f64_e32 v[158:159], v[148:149], v[134:135]
	v_add_f64_e32 v[138:139], v[174:175], v[172:173]
	v_add_f64_e32 v[156:157], v[188:189], v[194:195]
	v_mul_f64_e32 v[172:173], v[150:151], v[134:135]
	v_fmac_f64_e32 v[190:191], v[6:7], v[180:181]
	v_fma_f64 v[174:175], v[4:5], v[180:181], -v[182:183]
	v_fmac_f64_e32 v[158:159], v[150:151], v[132:133]
	v_add_f64_e32 v[138:139], v[138:139], v[136:137]
	v_add_f64_e32 v[156:157], v[156:157], v[192:193]
	ds_load_b128 v[4:7], v2 offset:1760
	ds_load_b128 v[134:137], v2 offset:1776
	v_fma_f64 v[132:133], v[148:149], v[132:133], -v[172:173]
	s_wait_loadcnt_dscnt 0x701
	v_mul_f64_e32 v[180:181], v[4:5], v[162:163]
	v_mul_f64_e32 v[162:163], v[6:7], v[162:163]
	v_add_f64_e32 v[138:139], v[138:139], v[174:175]
	v_add_f64_e32 v[148:149], v[156:157], v[190:191]
	s_wait_loadcnt_dscnt 0x600
	v_mul_f64_e32 v[156:157], v[134:135], v[142:143]
	v_mul_f64_e32 v[142:143], v[136:137], v[142:143]
	v_fmac_f64_e32 v[180:181], v[6:7], v[160:161]
	v_fma_f64 v[160:161], v[4:5], v[160:161], -v[162:163]
	v_add_f64_e32 v[132:133], v[138:139], v[132:133]
	v_add_f64_e32 v[138:139], v[148:149], v[158:159]
	ds_load_b128 v[4:7], v2 offset:1792
	ds_load_b128 v[148:151], v2 offset:1808
	v_fmac_f64_e32 v[156:157], v[136:137], v[140:141]
	v_fma_f64 v[134:135], v[134:135], v[140:141], -v[142:143]
	s_wait_loadcnt_dscnt 0x501
	v_mul_f64_e32 v[158:159], v[4:5], v[166:167]
	v_mul_f64_e32 v[162:163], v[6:7], v[166:167]
	s_wait_loadcnt_dscnt 0x400
	v_mul_f64_e32 v[140:141], v[150:151], v[146:147]
	v_add_f64_e32 v[132:133], v[132:133], v[160:161]
	v_add_f64_e32 v[136:137], v[138:139], v[180:181]
	v_mul_f64_e32 v[138:139], v[148:149], v[146:147]
	v_fmac_f64_e32 v[158:159], v[6:7], v[164:165]
	v_fma_f64 v[142:143], v[4:5], v[164:165], -v[162:163]
	v_fma_f64 v[140:141], v[148:149], v[144:145], -v[140:141]
	v_add_f64_e32 v[146:147], v[132:133], v[134:135]
	v_add_f64_e32 v[136:137], v[136:137], v[156:157]
	ds_load_b128 v[4:7], v2 offset:1824
	ds_load_b128 v[132:135], v2 offset:1840
	v_fmac_f64_e32 v[138:139], v[150:151], v[144:145]
	s_wait_loadcnt_dscnt 0x301
	v_mul_f64_e32 v[156:157], v[4:5], v[170:171]
	v_mul_f64_e32 v[160:161], v[6:7], v[170:171]
	s_wait_loadcnt_dscnt 0x200
	v_mul_f64_e32 v[144:145], v[132:133], v[154:155]
	v_add_f64_e32 v[142:143], v[146:147], v[142:143]
	v_add_f64_e32 v[136:137], v[136:137], v[158:159]
	v_mul_f64_e32 v[146:147], v[134:135], v[154:155]
	v_fmac_f64_e32 v[156:157], v[6:7], v[168:169]
	v_fma_f64 v[148:149], v[4:5], v[168:169], -v[160:161]
	v_fmac_f64_e32 v[144:145], v[134:135], v[152:153]
	v_add_f64_e32 v[140:141], v[142:143], v[140:141]
	v_add_f64_e32 v[142:143], v[136:137], v[138:139]
	ds_load_b128 v[4:7], v2 offset:1856
	ds_load_b128 v[136:139], v2 offset:1872
	v_fma_f64 v[132:133], v[132:133], v[152:153], -v[146:147]
	s_wait_loadcnt_dscnt 0x101
	v_mul_f64_e32 v[2:3], v[4:5], v[186:187]
	v_mul_f64_e32 v[150:151], v[6:7], v[186:187]
	v_add_f64_e32 v[134:135], v[140:141], v[148:149]
	v_add_f64_e32 v[140:141], v[142:143], v[156:157]
	s_wait_loadcnt_dscnt 0x0
	v_mul_f64_e32 v[142:143], v[136:137], v[12:13]
	v_mul_f64_e32 v[12:13], v[138:139], v[12:13]
	v_fmac_f64_e32 v[2:3], v[6:7], v[184:185]
	v_fma_f64 v[4:5], v[4:5], v[184:185], -v[150:151]
	v_add_f64_e32 v[6:7], v[134:135], v[132:133]
	v_add_f64_e32 v[132:133], v[140:141], v[144:145]
	v_fmac_f64_e32 v[142:143], v[138:139], v[10:11]
	v_fma_f64 v[10:11], v[136:137], v[10:11], -v[12:13]
	s_delay_alu instid0(VALU_DEP_4) | instskip(NEXT) | instid1(VALU_DEP_4)
	v_add_f64_e32 v[4:5], v[6:7], v[4:5]
	v_add_f64_e32 v[2:3], v[132:133], v[2:3]
	s_delay_alu instid0(VALU_DEP_2) | instskip(NEXT) | instid1(VALU_DEP_2)
	v_add_f64_e32 v[4:5], v[4:5], v[10:11]
	v_add_f64_e32 v[6:7], v[2:3], v[142:143]
	s_delay_alu instid0(VALU_DEP_2) | instskip(NEXT) | instid1(VALU_DEP_2)
	v_add_f64_e64 v[2:3], v[176:177], -v[4:5]
	v_add_f64_e64 v[4:5], v[178:179], -v[6:7]
	scratch_store_b128 off, v[2:5], off offset:320
	s_wait_xcnt 0x0
	v_cmpx_lt_u32_e32 19, v1
	s_cbranch_execz .LBB58_329
; %bb.328:
	scratch_load_b128 v[2:5], off, s66
	v_mov_b32_e32 v10, 0
	s_delay_alu instid0(VALU_DEP_1)
	v_dual_mov_b32 v11, v10 :: v_dual_mov_b32 v12, v10
	v_mov_b32_e32 v13, v10
	scratch_store_b128 off, v[10:13], off offset:304
	s_wait_loadcnt 0x0
	ds_store_b128 v8, v[2:5]
.LBB58_329:
	s_wait_xcnt 0x0
	s_or_b32 exec_lo, exec_lo, s2
	s_wait_storecnt_dscnt 0x0
	s_barrier_signal -1
	s_barrier_wait -1
	s_clause 0x9
	scratch_load_b128 v[4:7], off, off offset:320
	scratch_load_b128 v[10:13], off, off offset:336
	;; [unrolled: 1-line block ×10, first 2 shown]
	v_mov_b32_e32 v2, 0
	s_mov_b32 s2, exec_lo
	ds_load_b128 v[164:167], v2 offset:1264
	s_clause 0x2
	scratch_load_b128 v[168:171], off, off offset:480
	scratch_load_b128 v[172:175], off, off offset:304
	scratch_load_b128 v[180:183], off, off offset:496
	s_wait_loadcnt_dscnt 0xc00
	v_mul_f64_e32 v[184:185], v[166:167], v[6:7]
	v_mul_f64_e32 v[188:189], v[164:165], v[6:7]
	ds_load_b128 v[176:179], v2 offset:1280
	v_fma_f64 v[192:193], v[164:165], v[4:5], -v[184:185]
	v_fmac_f64_e32 v[188:189], v[166:167], v[4:5]
	ds_load_b128 v[4:7], v2 offset:1296
	s_wait_loadcnt_dscnt 0xb01
	v_mul_f64_e32 v[190:191], v[176:177], v[12:13]
	v_mul_f64_e32 v[12:13], v[178:179], v[12:13]
	scratch_load_b128 v[164:167], off, off offset:512
	ds_load_b128 v[184:187], v2 offset:1312
	s_wait_loadcnt_dscnt 0xb01
	v_mul_f64_e32 v[194:195], v[4:5], v[134:135]
	v_mul_f64_e32 v[134:135], v[6:7], v[134:135]
	v_add_f64_e32 v[188:189], 0, v[188:189]
	v_fmac_f64_e32 v[190:191], v[178:179], v[10:11]
	v_fma_f64 v[176:177], v[176:177], v[10:11], -v[12:13]
	v_add_f64_e32 v[178:179], 0, v[192:193]
	scratch_load_b128 v[10:13], off, off offset:528
	v_fmac_f64_e32 v[194:195], v[6:7], v[132:133]
	v_fma_f64 v[196:197], v[4:5], v[132:133], -v[134:135]
	ds_load_b128 v[4:7], v2 offset:1328
	s_wait_loadcnt_dscnt 0xb01
	v_mul_f64_e32 v[192:193], v[184:185], v[138:139]
	v_mul_f64_e32 v[138:139], v[186:187], v[138:139]
	scratch_load_b128 v[132:135], off, off offset:544
	v_add_f64_e32 v[188:189], v[188:189], v[190:191]
	v_add_f64_e32 v[198:199], v[178:179], v[176:177]
	ds_load_b128 v[176:179], v2 offset:1344
	s_wait_loadcnt_dscnt 0xb01
	v_mul_f64_e32 v[190:191], v[4:5], v[142:143]
	v_mul_f64_e32 v[142:143], v[6:7], v[142:143]
	v_fmac_f64_e32 v[192:193], v[186:187], v[136:137]
	v_fma_f64 v[184:185], v[184:185], v[136:137], -v[138:139]
	scratch_load_b128 v[136:139], off, off offset:560
	v_add_f64_e32 v[188:189], v[188:189], v[194:195]
	v_add_f64_e32 v[186:187], v[198:199], v[196:197]
	v_fmac_f64_e32 v[190:191], v[6:7], v[140:141]
	v_fma_f64 v[196:197], v[4:5], v[140:141], -v[142:143]
	ds_load_b128 v[4:7], v2 offset:1360
	s_wait_loadcnt_dscnt 0xb01
	v_mul_f64_e32 v[194:195], v[176:177], v[146:147]
	v_mul_f64_e32 v[146:147], v[178:179], v[146:147]
	scratch_load_b128 v[140:143], off, off offset:576
	v_add_f64_e32 v[188:189], v[188:189], v[192:193]
	s_wait_loadcnt_dscnt 0xb00
	v_mul_f64_e32 v[192:193], v[4:5], v[150:151]
	v_add_f64_e32 v[198:199], v[186:187], v[184:185]
	v_mul_f64_e32 v[150:151], v[6:7], v[150:151]
	ds_load_b128 v[184:187], v2 offset:1376
	v_fmac_f64_e32 v[194:195], v[178:179], v[144:145]
	v_fma_f64 v[176:177], v[176:177], v[144:145], -v[146:147]
	scratch_load_b128 v[144:147], off, off offset:592
	v_add_f64_e32 v[188:189], v[188:189], v[190:191]
	v_fmac_f64_e32 v[192:193], v[6:7], v[148:149]
	v_add_f64_e32 v[178:179], v[198:199], v[196:197]
	v_fma_f64 v[196:197], v[4:5], v[148:149], -v[150:151]
	ds_load_b128 v[4:7], v2 offset:1392
	s_wait_loadcnt_dscnt 0xb01
	v_mul_f64_e32 v[190:191], v[184:185], v[154:155]
	v_mul_f64_e32 v[154:155], v[186:187], v[154:155]
	scratch_load_b128 v[148:151], off, off offset:608
	v_add_f64_e32 v[188:189], v[188:189], v[194:195]
	s_wait_loadcnt_dscnt 0xb00
	v_mul_f64_e32 v[194:195], v[4:5], v[158:159]
	v_add_f64_e32 v[198:199], v[178:179], v[176:177]
	v_mul_f64_e32 v[158:159], v[6:7], v[158:159]
	ds_load_b128 v[176:179], v2 offset:1408
	v_fmac_f64_e32 v[190:191], v[186:187], v[152:153]
	v_fma_f64 v[184:185], v[184:185], v[152:153], -v[154:155]
	scratch_load_b128 v[152:155], off, off offset:624
	v_add_f64_e32 v[188:189], v[188:189], v[192:193]
	v_fmac_f64_e32 v[194:195], v[6:7], v[156:157]
	v_add_f64_e32 v[186:187], v[198:199], v[196:197]
	;; [unrolled: 18-line block ×3, first 2 shown]
	v_fma_f64 v[196:197], v[4:5], v[168:169], -v[170:171]
	ds_load_b128 v[4:7], v2 offset:1456
	s_wait_loadcnt_dscnt 0xa01
	v_mul_f64_e32 v[194:195], v[184:185], v[182:183]
	v_mul_f64_e32 v[182:183], v[186:187], v[182:183]
	scratch_load_b128 v[168:171], off, off offset:672
	v_add_f64_e32 v[188:189], v[188:189], v[192:193]
	v_add_f64_e32 v[198:199], v[178:179], v[176:177]
	s_wait_loadcnt_dscnt 0xa00
	v_mul_f64_e32 v[192:193], v[4:5], v[166:167]
	v_mul_f64_e32 v[166:167], v[6:7], v[166:167]
	v_fmac_f64_e32 v[194:195], v[186:187], v[180:181]
	v_fma_f64 v[184:185], v[184:185], v[180:181], -v[182:183]
	ds_load_b128 v[176:179], v2 offset:1472
	scratch_load_b128 v[180:183], off, off offset:688
	v_add_f64_e32 v[188:189], v[188:189], v[190:191]
	v_add_f64_e32 v[186:187], v[198:199], v[196:197]
	v_fmac_f64_e32 v[192:193], v[6:7], v[164:165]
	v_fma_f64 v[196:197], v[4:5], v[164:165], -v[166:167]
	ds_load_b128 v[4:7], v2 offset:1488
	s_wait_loadcnt_dscnt 0xa01
	v_mul_f64_e32 v[190:191], v[176:177], v[12:13]
	v_mul_f64_e32 v[12:13], v[178:179], v[12:13]
	scratch_load_b128 v[164:167], off, off offset:704
	v_add_f64_e32 v[188:189], v[188:189], v[194:195]
	s_wait_loadcnt_dscnt 0xa00
	v_mul_f64_e32 v[194:195], v[4:5], v[134:135]
	v_add_f64_e32 v[198:199], v[186:187], v[184:185]
	v_mul_f64_e32 v[134:135], v[6:7], v[134:135]
	ds_load_b128 v[184:187], v2 offset:1504
	v_fmac_f64_e32 v[190:191], v[178:179], v[10:11]
	v_fma_f64 v[176:177], v[176:177], v[10:11], -v[12:13]
	scratch_load_b128 v[10:13], off, off offset:720
	v_add_f64_e32 v[188:189], v[188:189], v[192:193]
	v_fmac_f64_e32 v[194:195], v[6:7], v[132:133]
	v_add_f64_e32 v[178:179], v[198:199], v[196:197]
	v_fma_f64 v[196:197], v[4:5], v[132:133], -v[134:135]
	ds_load_b128 v[4:7], v2 offset:1520
	s_wait_loadcnt_dscnt 0xa01
	v_mul_f64_e32 v[192:193], v[184:185], v[138:139]
	v_mul_f64_e32 v[138:139], v[186:187], v[138:139]
	scratch_load_b128 v[132:135], off, off offset:736
	v_add_f64_e32 v[188:189], v[188:189], v[190:191]
	s_wait_loadcnt_dscnt 0xa00
	v_mul_f64_e32 v[190:191], v[4:5], v[142:143]
	v_add_f64_e32 v[198:199], v[178:179], v[176:177]
	v_mul_f64_e32 v[142:143], v[6:7], v[142:143]
	ds_load_b128 v[176:179], v2 offset:1536
	v_fmac_f64_e32 v[192:193], v[186:187], v[136:137]
	v_fma_f64 v[184:185], v[184:185], v[136:137], -v[138:139]
	scratch_load_b128 v[136:139], off, off offset:752
	v_add_f64_e32 v[188:189], v[188:189], v[194:195]
	v_fmac_f64_e32 v[190:191], v[6:7], v[140:141]
	v_add_f64_e32 v[186:187], v[198:199], v[196:197]
	;; [unrolled: 18-line block ×7, first 2 shown]
	v_fma_f64 v[196:197], v[4:5], v[132:133], -v[134:135]
	ds_load_b128 v[4:7], v2 offset:1712
	s_wait_loadcnt_dscnt 0xa01
	v_mul_f64_e32 v[192:193], v[184:185], v[138:139]
	v_mul_f64_e32 v[138:139], v[186:187], v[138:139]
	scratch_load_b128 v[132:135], off, off offset:928
	v_add_f64_e32 v[188:189], v[188:189], v[190:191]
	s_wait_loadcnt_dscnt 0xa00
	v_mul_f64_e32 v[190:191], v[4:5], v[142:143]
	v_add_f64_e32 v[198:199], v[178:179], v[176:177]
	v_mul_f64_e32 v[142:143], v[6:7], v[142:143]
	ds_load_b128 v[176:179], v2 offset:1728
	v_fmac_f64_e32 v[192:193], v[186:187], v[136:137]
	v_fma_f64 v[136:137], v[184:185], v[136:137], -v[138:139]
	s_wait_loadcnt_dscnt 0x900
	v_mul_f64_e32 v[186:187], v[176:177], v[146:147]
	v_mul_f64_e32 v[146:147], v[178:179], v[146:147]
	v_add_f64_e32 v[184:185], v[188:189], v[194:195]
	v_fmac_f64_e32 v[190:191], v[6:7], v[140:141]
	v_add_f64_e32 v[138:139], v[198:199], v[196:197]
	v_fma_f64 v[140:141], v[4:5], v[140:141], -v[142:143]
	v_fmac_f64_e32 v[186:187], v[178:179], v[144:145]
	v_fma_f64 v[144:145], v[176:177], v[144:145], -v[146:147]
	v_add_f64_e32 v[184:185], v[184:185], v[192:193]
	v_add_f64_e32 v[142:143], v[138:139], v[136:137]
	ds_load_b128 v[4:7], v2 offset:1744
	ds_load_b128 v[136:139], v2 offset:1760
	s_wait_loadcnt_dscnt 0x801
	v_mul_f64_e32 v[188:189], v[4:5], v[150:151]
	v_mul_f64_e32 v[150:151], v[6:7], v[150:151]
	s_wait_loadcnt_dscnt 0x700
	v_mul_f64_e32 v[146:147], v[136:137], v[154:155]
	v_mul_f64_e32 v[154:155], v[138:139], v[154:155]
	v_add_f64_e32 v[140:141], v[142:143], v[140:141]
	v_add_f64_e32 v[142:143], v[184:185], v[190:191]
	v_fmac_f64_e32 v[188:189], v[6:7], v[148:149]
	v_fma_f64 v[148:149], v[4:5], v[148:149], -v[150:151]
	v_fmac_f64_e32 v[146:147], v[138:139], v[152:153]
	v_fma_f64 v[136:137], v[136:137], v[152:153], -v[154:155]
	v_add_f64_e32 v[144:145], v[140:141], v[144:145]
	v_add_f64_e32 v[150:151], v[142:143], v[186:187]
	ds_load_b128 v[4:7], v2 offset:1776
	ds_load_b128 v[140:143], v2 offset:1792
	s_wait_loadcnt_dscnt 0x601
	v_mul_f64_e32 v[176:177], v[4:5], v[158:159]
	v_mul_f64_e32 v[158:159], v[6:7], v[158:159]
	v_add_f64_e32 v[138:139], v[144:145], v[148:149]
	v_add_f64_e32 v[144:145], v[150:151], v[188:189]
	s_wait_loadcnt_dscnt 0x500
	v_mul_f64_e32 v[148:149], v[140:141], v[162:163]
	v_mul_f64_e32 v[150:151], v[142:143], v[162:163]
	v_fmac_f64_e32 v[176:177], v[6:7], v[156:157]
	v_fma_f64 v[152:153], v[4:5], v[156:157], -v[158:159]
	v_add_f64_e32 v[154:155], v[138:139], v[136:137]
	v_add_f64_e32 v[144:145], v[144:145], v[146:147]
	ds_load_b128 v[4:7], v2 offset:1808
	ds_load_b128 v[136:139], v2 offset:1824
	v_fmac_f64_e32 v[148:149], v[142:143], v[160:161]
	v_fma_f64 v[140:141], v[140:141], v[160:161], -v[150:151]
	s_wait_loadcnt_dscnt 0x401
	v_mul_f64_e32 v[146:147], v[4:5], v[170:171]
	v_mul_f64_e32 v[156:157], v[6:7], v[170:171]
	s_wait_loadcnt_dscnt 0x300
	v_mul_f64_e32 v[150:151], v[136:137], v[182:183]
	v_add_f64_e32 v[142:143], v[154:155], v[152:153]
	v_add_f64_e32 v[144:145], v[144:145], v[176:177]
	v_mul_f64_e32 v[152:153], v[138:139], v[182:183]
	v_fmac_f64_e32 v[146:147], v[6:7], v[168:169]
	v_fma_f64 v[154:155], v[4:5], v[168:169], -v[156:157]
	v_fmac_f64_e32 v[150:151], v[138:139], v[180:181]
	v_add_f64_e32 v[156:157], v[142:143], v[140:141]
	v_add_f64_e32 v[144:145], v[144:145], v[148:149]
	ds_load_b128 v[4:7], v2 offset:1840
	ds_load_b128 v[140:143], v2 offset:1856
	v_fma_f64 v[136:137], v[136:137], v[180:181], -v[152:153]
	s_wait_loadcnt_dscnt 0x201
	v_mul_f64_e32 v[148:149], v[4:5], v[166:167]
	v_mul_f64_e32 v[158:159], v[6:7], v[166:167]
	v_add_f64_e32 v[138:139], v[156:157], v[154:155]
	v_add_f64_e32 v[144:145], v[144:145], v[146:147]
	s_wait_loadcnt_dscnt 0x100
	v_mul_f64_e32 v[146:147], v[140:141], v[12:13]
	v_mul_f64_e32 v[12:13], v[142:143], v[12:13]
	v_fmac_f64_e32 v[148:149], v[6:7], v[164:165]
	v_fma_f64 v[152:153], v[4:5], v[164:165], -v[158:159]
	ds_load_b128 v[4:7], v2 offset:1872
	v_add_f64_e32 v[136:137], v[138:139], v[136:137]
	v_add_f64_e32 v[138:139], v[144:145], v[150:151]
	v_fmac_f64_e32 v[146:147], v[142:143], v[10:11]
	v_fma_f64 v[10:11], v[140:141], v[10:11], -v[12:13]
	s_wait_loadcnt_dscnt 0x0
	v_mul_f64_e32 v[144:145], v[4:5], v[134:135]
	v_mul_f64_e32 v[134:135], v[6:7], v[134:135]
	v_add_f64_e32 v[12:13], v[136:137], v[152:153]
	v_add_f64_e32 v[136:137], v[138:139], v[148:149]
	s_delay_alu instid0(VALU_DEP_4) | instskip(NEXT) | instid1(VALU_DEP_4)
	v_fmac_f64_e32 v[144:145], v[6:7], v[132:133]
	v_fma_f64 v[4:5], v[4:5], v[132:133], -v[134:135]
	s_delay_alu instid0(VALU_DEP_4) | instskip(NEXT) | instid1(VALU_DEP_4)
	v_add_f64_e32 v[6:7], v[12:13], v[10:11]
	v_add_f64_e32 v[10:11], v[136:137], v[146:147]
	s_delay_alu instid0(VALU_DEP_2) | instskip(NEXT) | instid1(VALU_DEP_2)
	v_add_f64_e32 v[4:5], v[6:7], v[4:5]
	v_add_f64_e32 v[6:7], v[10:11], v[144:145]
	s_delay_alu instid0(VALU_DEP_2) | instskip(NEXT) | instid1(VALU_DEP_2)
	v_add_f64_e64 v[4:5], v[172:173], -v[4:5]
	v_add_f64_e64 v[6:7], v[174:175], -v[6:7]
	scratch_store_b128 off, v[4:7], off offset:304
	s_wait_xcnt 0x0
	v_cmpx_lt_u32_e32 18, v1
	s_cbranch_execz .LBB58_331
; %bb.330:
	scratch_load_b128 v[10:13], off, s64
	v_dual_mov_b32 v3, v2 :: v_dual_mov_b32 v4, v2
	v_mov_b32_e32 v5, v2
	scratch_store_b128 off, v[2:5], off offset:288
	s_wait_loadcnt 0x0
	ds_store_b128 v8, v[10:13]
.LBB58_331:
	s_wait_xcnt 0x0
	s_or_b32 exec_lo, exec_lo, s2
	s_wait_storecnt_dscnt 0x0
	s_barrier_signal -1
	s_barrier_wait -1
	s_clause 0x9
	scratch_load_b128 v[4:7], off, off offset:304
	scratch_load_b128 v[10:13], off, off offset:320
	;; [unrolled: 1-line block ×10, first 2 shown]
	ds_load_b128 v[164:167], v2 offset:1248
	ds_load_b128 v[172:175], v2 offset:1264
	s_clause 0x2
	scratch_load_b128 v[168:171], off, off offset:464
	scratch_load_b128 v[176:179], off, off offset:288
	;; [unrolled: 1-line block ×3, first 2 shown]
	s_mov_b32 s2, exec_lo
	s_wait_loadcnt_dscnt 0xc01
	v_mul_f64_e32 v[184:185], v[166:167], v[6:7]
	v_mul_f64_e32 v[188:189], v[164:165], v[6:7]
	s_wait_loadcnt_dscnt 0xb00
	v_mul_f64_e32 v[190:191], v[172:173], v[12:13]
	v_mul_f64_e32 v[12:13], v[174:175], v[12:13]
	s_delay_alu instid0(VALU_DEP_4) | instskip(NEXT) | instid1(VALU_DEP_4)
	v_fma_f64 v[192:193], v[164:165], v[4:5], -v[184:185]
	v_fmac_f64_e32 v[188:189], v[166:167], v[4:5]
	ds_load_b128 v[4:7], v2 offset:1280
	ds_load_b128 v[164:167], v2 offset:1296
	scratch_load_b128 v[184:187], off, off offset:496
	v_fmac_f64_e32 v[190:191], v[174:175], v[10:11]
	v_fma_f64 v[172:173], v[172:173], v[10:11], -v[12:13]
	scratch_load_b128 v[10:13], off, off offset:512
	s_wait_loadcnt_dscnt 0xc01
	v_mul_f64_e32 v[194:195], v[4:5], v[134:135]
	v_mul_f64_e32 v[134:135], v[6:7], v[134:135]
	v_add_f64_e32 v[174:175], 0, v[192:193]
	v_add_f64_e32 v[188:189], 0, v[188:189]
	s_wait_loadcnt_dscnt 0xb00
	v_mul_f64_e32 v[192:193], v[164:165], v[138:139]
	v_mul_f64_e32 v[138:139], v[166:167], v[138:139]
	v_fmac_f64_e32 v[194:195], v[6:7], v[132:133]
	v_fma_f64 v[196:197], v[4:5], v[132:133], -v[134:135]
	ds_load_b128 v[4:7], v2 offset:1312
	ds_load_b128 v[132:135], v2 offset:1328
	v_add_f64_e32 v[198:199], v[174:175], v[172:173]
	v_add_f64_e32 v[188:189], v[188:189], v[190:191]
	scratch_load_b128 v[172:175], off, off offset:528
	v_fmac_f64_e32 v[192:193], v[166:167], v[136:137]
	v_fma_f64 v[164:165], v[164:165], v[136:137], -v[138:139]
	scratch_load_b128 v[136:139], off, off offset:544
	s_wait_loadcnt_dscnt 0xc01
	v_mul_f64_e32 v[190:191], v[4:5], v[142:143]
	v_mul_f64_e32 v[142:143], v[6:7], v[142:143]
	v_add_f64_e32 v[166:167], v[198:199], v[196:197]
	v_add_f64_e32 v[188:189], v[188:189], v[194:195]
	s_wait_loadcnt_dscnt 0xb00
	v_mul_f64_e32 v[194:195], v[132:133], v[146:147]
	v_mul_f64_e32 v[146:147], v[134:135], v[146:147]
	v_fmac_f64_e32 v[190:191], v[6:7], v[140:141]
	v_fma_f64 v[196:197], v[4:5], v[140:141], -v[142:143]
	ds_load_b128 v[4:7], v2 offset:1344
	ds_load_b128 v[140:143], v2 offset:1360
	v_add_f64_e32 v[198:199], v[166:167], v[164:165]
	v_add_f64_e32 v[188:189], v[188:189], v[192:193]
	scratch_load_b128 v[164:167], off, off offset:560
	s_wait_loadcnt_dscnt 0xb01
	v_mul_f64_e32 v[192:193], v[4:5], v[150:151]
	v_mul_f64_e32 v[150:151], v[6:7], v[150:151]
	v_fmac_f64_e32 v[194:195], v[134:135], v[144:145]
	v_fma_f64 v[144:145], v[132:133], v[144:145], -v[146:147]
	scratch_load_b128 v[132:135], off, off offset:576
	v_add_f64_e32 v[146:147], v[198:199], v[196:197]
	v_add_f64_e32 v[188:189], v[188:189], v[190:191]
	s_wait_loadcnt_dscnt 0xb00
	v_mul_f64_e32 v[190:191], v[140:141], v[154:155]
	v_mul_f64_e32 v[154:155], v[142:143], v[154:155]
	v_fmac_f64_e32 v[192:193], v[6:7], v[148:149]
	v_fma_f64 v[196:197], v[4:5], v[148:149], -v[150:151]
	v_add_f64_e32 v[198:199], v[146:147], v[144:145]
	v_add_f64_e32 v[188:189], v[188:189], v[194:195]
	ds_load_b128 v[4:7], v2 offset:1376
	ds_load_b128 v[144:147], v2 offset:1392
	scratch_load_b128 v[148:151], off, off offset:592
	v_fmac_f64_e32 v[190:191], v[142:143], v[152:153]
	v_fma_f64 v[152:153], v[140:141], v[152:153], -v[154:155]
	scratch_load_b128 v[140:143], off, off offset:608
	s_wait_loadcnt_dscnt 0xc01
	v_mul_f64_e32 v[194:195], v[4:5], v[158:159]
	v_mul_f64_e32 v[158:159], v[6:7], v[158:159]
	v_add_f64_e32 v[154:155], v[198:199], v[196:197]
	v_add_f64_e32 v[188:189], v[188:189], v[192:193]
	s_wait_loadcnt_dscnt 0xb00
	v_mul_f64_e32 v[192:193], v[144:145], v[162:163]
	v_mul_f64_e32 v[162:163], v[146:147], v[162:163]
	v_fmac_f64_e32 v[194:195], v[6:7], v[156:157]
	v_fma_f64 v[196:197], v[4:5], v[156:157], -v[158:159]
	v_add_f64_e32 v[198:199], v[154:155], v[152:153]
	v_add_f64_e32 v[188:189], v[188:189], v[190:191]
	ds_load_b128 v[4:7], v2 offset:1408
	ds_load_b128 v[152:155], v2 offset:1424
	scratch_load_b128 v[156:159], off, off offset:624
	v_fmac_f64_e32 v[192:193], v[146:147], v[160:161]
	v_fma_f64 v[160:161], v[144:145], v[160:161], -v[162:163]
	scratch_load_b128 v[144:147], off, off offset:640
	s_wait_loadcnt_dscnt 0xc01
	v_mul_f64_e32 v[190:191], v[4:5], v[170:171]
	v_mul_f64_e32 v[170:171], v[6:7], v[170:171]
	;; [unrolled: 18-line block ×5, first 2 shown]
	v_add_f64_e32 v[182:183], v[198:199], v[196:197]
	v_add_f64_e32 v[188:189], v[188:189], v[194:195]
	s_wait_loadcnt_dscnt 0xa00
	v_mul_f64_e32 v[194:195], v[160:161], v[134:135]
	v_mul_f64_e32 v[134:135], v[162:163], v[134:135]
	v_fmac_f64_e32 v[190:191], v[6:7], v[164:165]
	v_fma_f64 v[196:197], v[4:5], v[164:165], -v[166:167]
	ds_load_b128 v[4:7], v2 offset:1536
	ds_load_b128 v[164:167], v2 offset:1552
	v_add_f64_e32 v[198:199], v[182:183], v[180:181]
	v_add_f64_e32 v[188:189], v[188:189], v[192:193]
	scratch_load_b128 v[180:183], off, off offset:752
	v_fmac_f64_e32 v[194:195], v[162:163], v[132:133]
	v_fma_f64 v[160:161], v[160:161], v[132:133], -v[134:135]
	scratch_load_b128 v[132:135], off, off offset:768
	s_wait_loadcnt_dscnt 0xb01
	v_mul_f64_e32 v[192:193], v[4:5], v[150:151]
	v_mul_f64_e32 v[150:151], v[6:7], v[150:151]
	v_add_f64_e32 v[162:163], v[198:199], v[196:197]
	v_add_f64_e32 v[188:189], v[188:189], v[190:191]
	s_wait_loadcnt_dscnt 0xa00
	v_mul_f64_e32 v[190:191], v[164:165], v[142:143]
	v_mul_f64_e32 v[142:143], v[166:167], v[142:143]
	v_fmac_f64_e32 v[192:193], v[6:7], v[148:149]
	v_fma_f64 v[196:197], v[4:5], v[148:149], -v[150:151]
	ds_load_b128 v[4:7], v2 offset:1568
	ds_load_b128 v[148:151], v2 offset:1584
	v_add_f64_e32 v[198:199], v[162:163], v[160:161]
	v_add_f64_e32 v[188:189], v[188:189], v[194:195]
	scratch_load_b128 v[160:163], off, off offset:784
	s_wait_loadcnt_dscnt 0xa01
	v_mul_f64_e32 v[194:195], v[4:5], v[158:159]
	v_mul_f64_e32 v[158:159], v[6:7], v[158:159]
	v_fmac_f64_e32 v[190:191], v[166:167], v[140:141]
	v_fma_f64 v[164:165], v[164:165], v[140:141], -v[142:143]
	scratch_load_b128 v[140:143], off, off offset:800
	v_add_f64_e32 v[166:167], v[198:199], v[196:197]
	v_add_f64_e32 v[188:189], v[188:189], v[192:193]
	s_wait_loadcnt_dscnt 0xa00
	v_mul_f64_e32 v[192:193], v[148:149], v[146:147]
	v_mul_f64_e32 v[146:147], v[150:151], v[146:147]
	v_fmac_f64_e32 v[194:195], v[6:7], v[156:157]
	v_fma_f64 v[196:197], v[4:5], v[156:157], -v[158:159]
	ds_load_b128 v[4:7], v2 offset:1600
	ds_load_b128 v[156:159], v2 offset:1616
	v_add_f64_e32 v[198:199], v[166:167], v[164:165]
	v_add_f64_e32 v[188:189], v[188:189], v[190:191]
	scratch_load_b128 v[164:167], off, off offset:816
	s_wait_loadcnt_dscnt 0xa01
	v_mul_f64_e32 v[190:191], v[4:5], v[170:171]
	v_mul_f64_e32 v[170:171], v[6:7], v[170:171]
	v_fmac_f64_e32 v[192:193], v[150:151], v[144:145]
	v_fma_f64 v[148:149], v[148:149], v[144:145], -v[146:147]
	scratch_load_b128 v[144:147], off, off offset:832
	v_add_f64_e32 v[150:151], v[198:199], v[196:197]
	v_add_f64_e32 v[188:189], v[188:189], v[194:195]
	s_wait_loadcnt_dscnt 0xa00
	v_mul_f64_e32 v[194:195], v[156:157], v[154:155]
	v_mul_f64_e32 v[154:155], v[158:159], v[154:155]
	v_fmac_f64_e32 v[190:191], v[6:7], v[168:169]
	v_fma_f64 v[196:197], v[4:5], v[168:169], -v[170:171]
	v_add_f64_e32 v[198:199], v[150:151], v[148:149]
	v_add_f64_e32 v[188:189], v[188:189], v[192:193]
	ds_load_b128 v[4:7], v2 offset:1632
	ds_load_b128 v[148:151], v2 offset:1648
	scratch_load_b128 v[168:171], off, off offset:848
	v_fmac_f64_e32 v[194:195], v[158:159], v[152:153]
	v_fma_f64 v[156:157], v[156:157], v[152:153], -v[154:155]
	scratch_load_b128 v[152:155], off, off offset:864
	s_wait_loadcnt_dscnt 0xb01
	v_mul_f64_e32 v[192:193], v[4:5], v[186:187]
	v_mul_f64_e32 v[186:187], v[6:7], v[186:187]
	v_add_f64_e32 v[158:159], v[198:199], v[196:197]
	v_add_f64_e32 v[188:189], v[188:189], v[190:191]
	s_wait_loadcnt_dscnt 0xa00
	v_mul_f64_e32 v[190:191], v[148:149], v[12:13]
	v_mul_f64_e32 v[12:13], v[150:151], v[12:13]
	v_fmac_f64_e32 v[192:193], v[6:7], v[184:185]
	v_fma_f64 v[196:197], v[4:5], v[184:185], -v[186:187]
	v_add_f64_e32 v[198:199], v[158:159], v[156:157]
	v_add_f64_e32 v[188:189], v[188:189], v[194:195]
	ds_load_b128 v[4:7], v2 offset:1664
	ds_load_b128 v[156:159], v2 offset:1680
	scratch_load_b128 v[184:187], off, off offset:880
	v_fmac_f64_e32 v[190:191], v[150:151], v[10:11]
	v_fma_f64 v[148:149], v[148:149], v[10:11], -v[12:13]
	scratch_load_b128 v[10:13], off, off offset:896
	s_wait_loadcnt_dscnt 0xb01
	v_mul_f64_e32 v[194:195], v[4:5], v[174:175]
	v_mul_f64_e32 v[174:175], v[6:7], v[174:175]
	;; [unrolled: 18-line block ×3, first 2 shown]
	v_add_f64_e32 v[158:159], v[198:199], v[196:197]
	v_add_f64_e32 v[188:189], v[188:189], v[194:195]
	s_wait_loadcnt_dscnt 0xa00
	v_mul_f64_e32 v[194:195], v[148:149], v[134:135]
	v_mul_f64_e32 v[134:135], v[150:151], v[134:135]
	v_fmac_f64_e32 v[190:191], v[6:7], v[180:181]
	v_fma_f64 v[180:181], v[4:5], v[180:181], -v[182:183]
	v_add_f64_e32 v[182:183], v[158:159], v[156:157]
	v_add_f64_e32 v[188:189], v[188:189], v[192:193]
	ds_load_b128 v[4:7], v2 offset:1728
	ds_load_b128 v[156:159], v2 offset:1744
	v_fmac_f64_e32 v[194:195], v[150:151], v[132:133]
	v_fma_f64 v[132:133], v[148:149], v[132:133], -v[134:135]
	s_wait_loadcnt_dscnt 0x901
	v_mul_f64_e32 v[192:193], v[4:5], v[162:163]
	v_mul_f64_e32 v[162:163], v[6:7], v[162:163]
	s_wait_loadcnt_dscnt 0x800
	v_mul_f64_e32 v[150:151], v[156:157], v[142:143]
	v_mul_f64_e32 v[142:143], v[158:159], v[142:143]
	v_add_f64_e32 v[134:135], v[182:183], v[180:181]
	v_add_f64_e32 v[148:149], v[188:189], v[190:191]
	v_fmac_f64_e32 v[192:193], v[6:7], v[160:161]
	v_fma_f64 v[160:161], v[4:5], v[160:161], -v[162:163]
	v_fmac_f64_e32 v[150:151], v[158:159], v[140:141]
	v_fma_f64 v[140:141], v[156:157], v[140:141], -v[142:143]
	v_add_f64_e32 v[162:163], v[134:135], v[132:133]
	v_add_f64_e32 v[148:149], v[148:149], v[194:195]
	ds_load_b128 v[4:7], v2 offset:1760
	ds_load_b128 v[132:135], v2 offset:1776
	s_wait_loadcnt_dscnt 0x701
	v_mul_f64_e32 v[180:181], v[4:5], v[166:167]
	v_mul_f64_e32 v[166:167], v[6:7], v[166:167]
	s_wait_loadcnt_dscnt 0x600
	v_mul_f64_e32 v[156:157], v[132:133], v[146:147]
	v_mul_f64_e32 v[146:147], v[134:135], v[146:147]
	v_add_f64_e32 v[142:143], v[162:163], v[160:161]
	v_add_f64_e32 v[148:149], v[148:149], v[192:193]
	v_fmac_f64_e32 v[180:181], v[6:7], v[164:165]
	v_fma_f64 v[158:159], v[4:5], v[164:165], -v[166:167]
	v_fmac_f64_e32 v[156:157], v[134:135], v[144:145]
	v_fma_f64 v[132:133], v[132:133], v[144:145], -v[146:147]
	v_add_f64_e32 v[160:161], v[142:143], v[140:141]
	v_add_f64_e32 v[148:149], v[148:149], v[150:151]
	ds_load_b128 v[4:7], v2 offset:1792
	ds_load_b128 v[140:143], v2 offset:1808
	s_wait_loadcnt_dscnt 0x501
	v_mul_f64_e32 v[150:151], v[4:5], v[170:171]
	v_mul_f64_e32 v[162:163], v[6:7], v[170:171]
	s_wait_loadcnt_dscnt 0x400
	v_mul_f64_e32 v[146:147], v[140:141], v[154:155]
	v_add_f64_e32 v[134:135], v[160:161], v[158:159]
	v_add_f64_e32 v[144:145], v[148:149], v[180:181]
	v_mul_f64_e32 v[148:149], v[142:143], v[154:155]
	v_fmac_f64_e32 v[150:151], v[6:7], v[168:169]
	v_fma_f64 v[154:155], v[4:5], v[168:169], -v[162:163]
	v_fmac_f64_e32 v[146:147], v[142:143], v[152:153]
	v_add_f64_e32 v[158:159], v[134:135], v[132:133]
	v_add_f64_e32 v[144:145], v[144:145], v[156:157]
	ds_load_b128 v[4:7], v2 offset:1824
	ds_load_b128 v[132:135], v2 offset:1840
	v_fma_f64 v[140:141], v[140:141], v[152:153], -v[148:149]
	s_wait_loadcnt_dscnt 0x301
	v_mul_f64_e32 v[156:157], v[4:5], v[186:187]
	v_mul_f64_e32 v[160:161], v[6:7], v[186:187]
	s_wait_loadcnt_dscnt 0x200
	v_mul_f64_e32 v[148:149], v[132:133], v[12:13]
	v_mul_f64_e32 v[12:13], v[134:135], v[12:13]
	v_add_f64_e32 v[142:143], v[158:159], v[154:155]
	v_add_f64_e32 v[144:145], v[144:145], v[150:151]
	v_fmac_f64_e32 v[156:157], v[6:7], v[184:185]
	v_fma_f64 v[150:151], v[4:5], v[184:185], -v[160:161]
	v_fmac_f64_e32 v[148:149], v[134:135], v[10:11]
	v_fma_f64 v[10:11], v[132:133], v[10:11], -v[12:13]
	v_add_f64_e32 v[152:153], v[142:143], v[140:141]
	v_add_f64_e32 v[144:145], v[144:145], v[146:147]
	ds_load_b128 v[4:7], v2 offset:1856
	ds_load_b128 v[140:143], v2 offset:1872
	s_wait_loadcnt_dscnt 0x101
	v_mul_f64_e32 v[2:3], v[4:5], v[174:175]
	v_mul_f64_e32 v[146:147], v[6:7], v[174:175]
	s_wait_loadcnt_dscnt 0x0
	v_mul_f64_e32 v[134:135], v[140:141], v[138:139]
	v_mul_f64_e32 v[138:139], v[142:143], v[138:139]
	v_add_f64_e32 v[12:13], v[152:153], v[150:151]
	v_add_f64_e32 v[132:133], v[144:145], v[156:157]
	v_fmac_f64_e32 v[2:3], v[6:7], v[172:173]
	v_fma_f64 v[4:5], v[4:5], v[172:173], -v[146:147]
	v_fmac_f64_e32 v[134:135], v[142:143], v[136:137]
	v_add_f64_e32 v[6:7], v[12:13], v[10:11]
	v_add_f64_e32 v[10:11], v[132:133], v[148:149]
	v_fma_f64 v[12:13], v[140:141], v[136:137], -v[138:139]
	s_delay_alu instid0(VALU_DEP_3) | instskip(NEXT) | instid1(VALU_DEP_3)
	v_add_f64_e32 v[4:5], v[6:7], v[4:5]
	v_add_f64_e32 v[2:3], v[10:11], v[2:3]
	s_delay_alu instid0(VALU_DEP_2) | instskip(NEXT) | instid1(VALU_DEP_2)
	v_add_f64_e32 v[4:5], v[4:5], v[12:13]
	v_add_f64_e32 v[6:7], v[2:3], v[134:135]
	s_delay_alu instid0(VALU_DEP_2) | instskip(NEXT) | instid1(VALU_DEP_2)
	v_add_f64_e64 v[2:3], v[176:177], -v[4:5]
	v_add_f64_e64 v[4:5], v[178:179], -v[6:7]
	scratch_store_b128 off, v[2:5], off offset:288
	s_wait_xcnt 0x0
	v_cmpx_lt_u32_e32 17, v1
	s_cbranch_execz .LBB58_333
; %bb.332:
	scratch_load_b128 v[2:5], off, s61
	v_mov_b32_e32 v10, 0
	s_delay_alu instid0(VALU_DEP_1)
	v_dual_mov_b32 v11, v10 :: v_dual_mov_b32 v12, v10
	v_mov_b32_e32 v13, v10
	scratch_store_b128 off, v[10:13], off offset:272
	s_wait_loadcnt 0x0
	ds_store_b128 v8, v[2:5]
.LBB58_333:
	s_wait_xcnt 0x0
	s_or_b32 exec_lo, exec_lo, s2
	s_wait_storecnt_dscnt 0x0
	s_barrier_signal -1
	s_barrier_wait -1
	s_clause 0x9
	scratch_load_b128 v[4:7], off, off offset:288
	scratch_load_b128 v[10:13], off, off offset:304
	scratch_load_b128 v[132:135], off, off offset:320
	scratch_load_b128 v[136:139], off, off offset:336
	scratch_load_b128 v[140:143], off, off offset:352
	scratch_load_b128 v[144:147], off, off offset:368
	scratch_load_b128 v[148:151], off, off offset:384
	scratch_load_b128 v[152:155], off, off offset:400
	scratch_load_b128 v[156:159], off, off offset:416
	scratch_load_b128 v[160:163], off, off offset:432
	v_mov_b32_e32 v2, 0
	s_mov_b32 s2, exec_lo
	ds_load_b128 v[164:167], v2 offset:1232
	s_clause 0x2
	scratch_load_b128 v[168:171], off, off offset:448
	scratch_load_b128 v[172:175], off, off offset:272
	;; [unrolled: 1-line block ×3, first 2 shown]
	s_wait_loadcnt_dscnt 0xc00
	v_mul_f64_e32 v[184:185], v[166:167], v[6:7]
	v_mul_f64_e32 v[188:189], v[164:165], v[6:7]
	ds_load_b128 v[176:179], v2 offset:1248
	v_fma_f64 v[192:193], v[164:165], v[4:5], -v[184:185]
	v_fmac_f64_e32 v[188:189], v[166:167], v[4:5]
	ds_load_b128 v[4:7], v2 offset:1264
	s_wait_loadcnt_dscnt 0xb01
	v_mul_f64_e32 v[190:191], v[176:177], v[12:13]
	v_mul_f64_e32 v[12:13], v[178:179], v[12:13]
	scratch_load_b128 v[164:167], off, off offset:480
	ds_load_b128 v[184:187], v2 offset:1280
	s_wait_loadcnt_dscnt 0xb01
	v_mul_f64_e32 v[194:195], v[4:5], v[134:135]
	v_mul_f64_e32 v[134:135], v[6:7], v[134:135]
	v_add_f64_e32 v[188:189], 0, v[188:189]
	v_fmac_f64_e32 v[190:191], v[178:179], v[10:11]
	v_fma_f64 v[176:177], v[176:177], v[10:11], -v[12:13]
	v_add_f64_e32 v[178:179], 0, v[192:193]
	scratch_load_b128 v[10:13], off, off offset:496
	v_fmac_f64_e32 v[194:195], v[6:7], v[132:133]
	v_fma_f64 v[196:197], v[4:5], v[132:133], -v[134:135]
	ds_load_b128 v[4:7], v2 offset:1296
	s_wait_loadcnt_dscnt 0xb01
	v_mul_f64_e32 v[192:193], v[184:185], v[138:139]
	v_mul_f64_e32 v[138:139], v[186:187], v[138:139]
	scratch_load_b128 v[132:135], off, off offset:512
	v_add_f64_e32 v[188:189], v[188:189], v[190:191]
	v_add_f64_e32 v[198:199], v[178:179], v[176:177]
	ds_load_b128 v[176:179], v2 offset:1312
	s_wait_loadcnt_dscnt 0xb01
	v_mul_f64_e32 v[190:191], v[4:5], v[142:143]
	v_mul_f64_e32 v[142:143], v[6:7], v[142:143]
	v_fmac_f64_e32 v[192:193], v[186:187], v[136:137]
	v_fma_f64 v[184:185], v[184:185], v[136:137], -v[138:139]
	scratch_load_b128 v[136:139], off, off offset:528
	v_add_f64_e32 v[188:189], v[188:189], v[194:195]
	v_add_f64_e32 v[186:187], v[198:199], v[196:197]
	v_fmac_f64_e32 v[190:191], v[6:7], v[140:141]
	v_fma_f64 v[196:197], v[4:5], v[140:141], -v[142:143]
	ds_load_b128 v[4:7], v2 offset:1328
	s_wait_loadcnt_dscnt 0xb01
	v_mul_f64_e32 v[194:195], v[176:177], v[146:147]
	v_mul_f64_e32 v[146:147], v[178:179], v[146:147]
	scratch_load_b128 v[140:143], off, off offset:544
	v_add_f64_e32 v[188:189], v[188:189], v[192:193]
	s_wait_loadcnt_dscnt 0xb00
	v_mul_f64_e32 v[192:193], v[4:5], v[150:151]
	v_add_f64_e32 v[198:199], v[186:187], v[184:185]
	v_mul_f64_e32 v[150:151], v[6:7], v[150:151]
	ds_load_b128 v[184:187], v2 offset:1344
	v_fmac_f64_e32 v[194:195], v[178:179], v[144:145]
	v_fma_f64 v[176:177], v[176:177], v[144:145], -v[146:147]
	scratch_load_b128 v[144:147], off, off offset:560
	v_add_f64_e32 v[188:189], v[188:189], v[190:191]
	v_fmac_f64_e32 v[192:193], v[6:7], v[148:149]
	v_add_f64_e32 v[178:179], v[198:199], v[196:197]
	v_fma_f64 v[196:197], v[4:5], v[148:149], -v[150:151]
	ds_load_b128 v[4:7], v2 offset:1360
	s_wait_loadcnt_dscnt 0xb01
	v_mul_f64_e32 v[190:191], v[184:185], v[154:155]
	v_mul_f64_e32 v[154:155], v[186:187], v[154:155]
	scratch_load_b128 v[148:151], off, off offset:576
	v_add_f64_e32 v[188:189], v[188:189], v[194:195]
	s_wait_loadcnt_dscnt 0xb00
	v_mul_f64_e32 v[194:195], v[4:5], v[158:159]
	v_add_f64_e32 v[198:199], v[178:179], v[176:177]
	v_mul_f64_e32 v[158:159], v[6:7], v[158:159]
	ds_load_b128 v[176:179], v2 offset:1376
	v_fmac_f64_e32 v[190:191], v[186:187], v[152:153]
	v_fma_f64 v[184:185], v[184:185], v[152:153], -v[154:155]
	scratch_load_b128 v[152:155], off, off offset:592
	v_add_f64_e32 v[188:189], v[188:189], v[192:193]
	v_fmac_f64_e32 v[194:195], v[6:7], v[156:157]
	v_add_f64_e32 v[186:187], v[198:199], v[196:197]
	;; [unrolled: 18-line block ×3, first 2 shown]
	v_fma_f64 v[196:197], v[4:5], v[168:169], -v[170:171]
	ds_load_b128 v[4:7], v2 offset:1424
	s_wait_loadcnt_dscnt 0xa01
	v_mul_f64_e32 v[194:195], v[184:185], v[182:183]
	v_mul_f64_e32 v[182:183], v[186:187], v[182:183]
	scratch_load_b128 v[168:171], off, off offset:640
	v_add_f64_e32 v[188:189], v[188:189], v[192:193]
	v_add_f64_e32 v[198:199], v[178:179], v[176:177]
	s_wait_loadcnt_dscnt 0xa00
	v_mul_f64_e32 v[192:193], v[4:5], v[166:167]
	v_mul_f64_e32 v[166:167], v[6:7], v[166:167]
	v_fmac_f64_e32 v[194:195], v[186:187], v[180:181]
	v_fma_f64 v[184:185], v[184:185], v[180:181], -v[182:183]
	ds_load_b128 v[176:179], v2 offset:1440
	scratch_load_b128 v[180:183], off, off offset:656
	v_add_f64_e32 v[188:189], v[188:189], v[190:191]
	v_add_f64_e32 v[186:187], v[198:199], v[196:197]
	v_fmac_f64_e32 v[192:193], v[6:7], v[164:165]
	v_fma_f64 v[196:197], v[4:5], v[164:165], -v[166:167]
	ds_load_b128 v[4:7], v2 offset:1456
	s_wait_loadcnt_dscnt 0xa01
	v_mul_f64_e32 v[190:191], v[176:177], v[12:13]
	v_mul_f64_e32 v[12:13], v[178:179], v[12:13]
	scratch_load_b128 v[164:167], off, off offset:672
	v_add_f64_e32 v[188:189], v[188:189], v[194:195]
	s_wait_loadcnt_dscnt 0xa00
	v_mul_f64_e32 v[194:195], v[4:5], v[134:135]
	v_add_f64_e32 v[198:199], v[186:187], v[184:185]
	v_mul_f64_e32 v[134:135], v[6:7], v[134:135]
	ds_load_b128 v[184:187], v2 offset:1472
	v_fmac_f64_e32 v[190:191], v[178:179], v[10:11]
	v_fma_f64 v[176:177], v[176:177], v[10:11], -v[12:13]
	scratch_load_b128 v[10:13], off, off offset:688
	v_add_f64_e32 v[188:189], v[188:189], v[192:193]
	v_fmac_f64_e32 v[194:195], v[6:7], v[132:133]
	v_add_f64_e32 v[178:179], v[198:199], v[196:197]
	v_fma_f64 v[196:197], v[4:5], v[132:133], -v[134:135]
	ds_load_b128 v[4:7], v2 offset:1488
	s_wait_loadcnt_dscnt 0xa01
	v_mul_f64_e32 v[192:193], v[184:185], v[138:139]
	v_mul_f64_e32 v[138:139], v[186:187], v[138:139]
	scratch_load_b128 v[132:135], off, off offset:704
	v_add_f64_e32 v[188:189], v[188:189], v[190:191]
	s_wait_loadcnt_dscnt 0xa00
	v_mul_f64_e32 v[190:191], v[4:5], v[142:143]
	v_add_f64_e32 v[198:199], v[178:179], v[176:177]
	v_mul_f64_e32 v[142:143], v[6:7], v[142:143]
	ds_load_b128 v[176:179], v2 offset:1504
	v_fmac_f64_e32 v[192:193], v[186:187], v[136:137]
	v_fma_f64 v[184:185], v[184:185], v[136:137], -v[138:139]
	scratch_load_b128 v[136:139], off, off offset:720
	v_add_f64_e32 v[188:189], v[188:189], v[194:195]
	v_fmac_f64_e32 v[190:191], v[6:7], v[140:141]
	v_add_f64_e32 v[186:187], v[198:199], v[196:197]
	;; [unrolled: 18-line block ×8, first 2 shown]
	v_fma_f64 v[196:197], v[4:5], v[140:141], -v[142:143]
	ds_load_b128 v[4:7], v2 offset:1712
	s_wait_loadcnt_dscnt 0xa01
	v_mul_f64_e32 v[194:195], v[176:177], v[146:147]
	v_mul_f64_e32 v[146:147], v[178:179], v[146:147]
	scratch_load_b128 v[140:143], off, off offset:928
	v_add_f64_e32 v[188:189], v[188:189], v[192:193]
	s_wait_loadcnt_dscnt 0xa00
	v_mul_f64_e32 v[192:193], v[4:5], v[150:151]
	v_add_f64_e32 v[198:199], v[186:187], v[184:185]
	v_mul_f64_e32 v[150:151], v[6:7], v[150:151]
	ds_load_b128 v[184:187], v2 offset:1728
	v_fmac_f64_e32 v[194:195], v[178:179], v[144:145]
	v_fma_f64 v[144:145], v[176:177], v[144:145], -v[146:147]
	s_wait_loadcnt_dscnt 0x900
	v_mul_f64_e32 v[178:179], v[184:185], v[154:155]
	v_mul_f64_e32 v[154:155], v[186:187], v[154:155]
	v_add_f64_e32 v[176:177], v[188:189], v[190:191]
	v_fmac_f64_e32 v[192:193], v[6:7], v[148:149]
	v_add_f64_e32 v[146:147], v[198:199], v[196:197]
	v_fma_f64 v[148:149], v[4:5], v[148:149], -v[150:151]
	v_fmac_f64_e32 v[178:179], v[186:187], v[152:153]
	v_fma_f64 v[152:153], v[184:185], v[152:153], -v[154:155]
	v_add_f64_e32 v[176:177], v[176:177], v[194:195]
	v_add_f64_e32 v[150:151], v[146:147], v[144:145]
	ds_load_b128 v[4:7], v2 offset:1744
	ds_load_b128 v[144:147], v2 offset:1760
	s_wait_loadcnt_dscnt 0x801
	v_mul_f64_e32 v[188:189], v[4:5], v[158:159]
	v_mul_f64_e32 v[158:159], v[6:7], v[158:159]
	s_wait_loadcnt_dscnt 0x700
	v_mul_f64_e32 v[154:155], v[144:145], v[162:163]
	v_mul_f64_e32 v[162:163], v[146:147], v[162:163]
	v_add_f64_e32 v[148:149], v[150:151], v[148:149]
	v_add_f64_e32 v[150:151], v[176:177], v[192:193]
	v_fmac_f64_e32 v[188:189], v[6:7], v[156:157]
	v_fma_f64 v[156:157], v[4:5], v[156:157], -v[158:159]
	v_fmac_f64_e32 v[154:155], v[146:147], v[160:161]
	v_fma_f64 v[144:145], v[144:145], v[160:161], -v[162:163]
	v_add_f64_e32 v[152:153], v[148:149], v[152:153]
	v_add_f64_e32 v[158:159], v[150:151], v[178:179]
	ds_load_b128 v[4:7], v2 offset:1776
	ds_load_b128 v[148:151], v2 offset:1792
	s_wait_loadcnt_dscnt 0x601
	v_mul_f64_e32 v[176:177], v[4:5], v[170:171]
	v_mul_f64_e32 v[170:171], v[6:7], v[170:171]
	v_add_f64_e32 v[146:147], v[152:153], v[156:157]
	v_add_f64_e32 v[152:153], v[158:159], v[188:189]
	s_wait_loadcnt_dscnt 0x500
	v_mul_f64_e32 v[156:157], v[148:149], v[182:183]
	v_mul_f64_e32 v[158:159], v[150:151], v[182:183]
	v_fmac_f64_e32 v[176:177], v[6:7], v[168:169]
	v_fma_f64 v[160:161], v[4:5], v[168:169], -v[170:171]
	v_add_f64_e32 v[162:163], v[146:147], v[144:145]
	v_add_f64_e32 v[152:153], v[152:153], v[154:155]
	ds_load_b128 v[4:7], v2 offset:1808
	ds_load_b128 v[144:147], v2 offset:1824
	v_fmac_f64_e32 v[156:157], v[150:151], v[180:181]
	v_fma_f64 v[148:149], v[148:149], v[180:181], -v[158:159]
	s_wait_loadcnt_dscnt 0x401
	v_mul_f64_e32 v[154:155], v[4:5], v[166:167]
	v_mul_f64_e32 v[166:167], v[6:7], v[166:167]
	s_wait_loadcnt_dscnt 0x300
	v_mul_f64_e32 v[158:159], v[144:145], v[12:13]
	v_mul_f64_e32 v[12:13], v[146:147], v[12:13]
	v_add_f64_e32 v[150:151], v[162:163], v[160:161]
	v_add_f64_e32 v[152:153], v[152:153], v[176:177]
	v_fmac_f64_e32 v[154:155], v[6:7], v[164:165]
	v_fma_f64 v[160:161], v[4:5], v[164:165], -v[166:167]
	v_fmac_f64_e32 v[158:159], v[146:147], v[10:11]
	v_fma_f64 v[10:11], v[144:145], v[10:11], -v[12:13]
	v_add_f64_e32 v[162:163], v[150:151], v[148:149]
	v_add_f64_e32 v[152:153], v[152:153], v[156:157]
	ds_load_b128 v[4:7], v2 offset:1840
	ds_load_b128 v[148:151], v2 offset:1856
	s_wait_loadcnt_dscnt 0x201
	v_mul_f64_e32 v[156:157], v[4:5], v[134:135]
	v_mul_f64_e32 v[134:135], v[6:7], v[134:135]
	s_wait_loadcnt_dscnt 0x100
	v_mul_f64_e32 v[146:147], v[148:149], v[138:139]
	v_mul_f64_e32 v[138:139], v[150:151], v[138:139]
	v_add_f64_e32 v[12:13], v[162:163], v[160:161]
	v_add_f64_e32 v[144:145], v[152:153], v[154:155]
	v_fmac_f64_e32 v[156:157], v[6:7], v[132:133]
	v_fma_f64 v[132:133], v[4:5], v[132:133], -v[134:135]
	ds_load_b128 v[4:7], v2 offset:1872
	v_fmac_f64_e32 v[146:147], v[150:151], v[136:137]
	v_fma_f64 v[136:137], v[148:149], v[136:137], -v[138:139]
	v_add_f64_e32 v[10:11], v[12:13], v[10:11]
	v_add_f64_e32 v[12:13], v[144:145], v[158:159]
	s_wait_loadcnt_dscnt 0x0
	v_mul_f64_e32 v[134:135], v[4:5], v[142:143]
	v_mul_f64_e32 v[142:143], v[6:7], v[142:143]
	s_delay_alu instid0(VALU_DEP_4) | instskip(NEXT) | instid1(VALU_DEP_4)
	v_add_f64_e32 v[10:11], v[10:11], v[132:133]
	v_add_f64_e32 v[12:13], v[12:13], v[156:157]
	s_delay_alu instid0(VALU_DEP_4) | instskip(NEXT) | instid1(VALU_DEP_4)
	v_fmac_f64_e32 v[134:135], v[6:7], v[140:141]
	v_fma_f64 v[4:5], v[4:5], v[140:141], -v[142:143]
	s_delay_alu instid0(VALU_DEP_4) | instskip(NEXT) | instid1(VALU_DEP_4)
	v_add_f64_e32 v[6:7], v[10:11], v[136:137]
	v_add_f64_e32 v[10:11], v[12:13], v[146:147]
	s_delay_alu instid0(VALU_DEP_2) | instskip(NEXT) | instid1(VALU_DEP_2)
	v_add_f64_e32 v[4:5], v[6:7], v[4:5]
	v_add_f64_e32 v[6:7], v[10:11], v[134:135]
	s_delay_alu instid0(VALU_DEP_2) | instskip(NEXT) | instid1(VALU_DEP_2)
	v_add_f64_e64 v[4:5], v[172:173], -v[4:5]
	v_add_f64_e64 v[6:7], v[174:175], -v[6:7]
	scratch_store_b128 off, v[4:7], off offset:272
	s_wait_xcnt 0x0
	v_cmpx_lt_u32_e32 16, v1
	s_cbranch_execz .LBB58_335
; %bb.334:
	scratch_load_b128 v[10:13], off, s58
	v_dual_mov_b32 v3, v2 :: v_dual_mov_b32 v4, v2
	v_mov_b32_e32 v5, v2
	scratch_store_b128 off, v[2:5], off offset:256
	s_wait_loadcnt 0x0
	ds_store_b128 v8, v[10:13]
.LBB58_335:
	s_wait_xcnt 0x0
	s_or_b32 exec_lo, exec_lo, s2
	s_wait_storecnt_dscnt 0x0
	s_barrier_signal -1
	s_barrier_wait -1
	s_clause 0x9
	scratch_load_b128 v[4:7], off, off offset:272
	scratch_load_b128 v[10:13], off, off offset:288
	;; [unrolled: 1-line block ×10, first 2 shown]
	ds_load_b128 v[164:167], v2 offset:1216
	ds_load_b128 v[172:175], v2 offset:1232
	s_clause 0x2
	scratch_load_b128 v[168:171], off, off offset:432
	scratch_load_b128 v[176:179], off, off offset:256
	;; [unrolled: 1-line block ×3, first 2 shown]
	s_mov_b32 s2, exec_lo
	s_wait_loadcnt_dscnt 0xc01
	v_mul_f64_e32 v[184:185], v[166:167], v[6:7]
	v_mul_f64_e32 v[188:189], v[164:165], v[6:7]
	s_wait_loadcnt_dscnt 0xb00
	v_mul_f64_e32 v[190:191], v[172:173], v[12:13]
	v_mul_f64_e32 v[12:13], v[174:175], v[12:13]
	s_delay_alu instid0(VALU_DEP_4) | instskip(NEXT) | instid1(VALU_DEP_4)
	v_fma_f64 v[192:193], v[164:165], v[4:5], -v[184:185]
	v_fmac_f64_e32 v[188:189], v[166:167], v[4:5]
	ds_load_b128 v[4:7], v2 offset:1248
	ds_load_b128 v[164:167], v2 offset:1264
	scratch_load_b128 v[184:187], off, off offset:464
	v_fmac_f64_e32 v[190:191], v[174:175], v[10:11]
	v_fma_f64 v[172:173], v[172:173], v[10:11], -v[12:13]
	scratch_load_b128 v[10:13], off, off offset:480
	s_wait_loadcnt_dscnt 0xc01
	v_mul_f64_e32 v[194:195], v[4:5], v[134:135]
	v_mul_f64_e32 v[134:135], v[6:7], v[134:135]
	v_add_f64_e32 v[174:175], 0, v[192:193]
	v_add_f64_e32 v[188:189], 0, v[188:189]
	s_wait_loadcnt_dscnt 0xb00
	v_mul_f64_e32 v[192:193], v[164:165], v[138:139]
	v_mul_f64_e32 v[138:139], v[166:167], v[138:139]
	v_fmac_f64_e32 v[194:195], v[6:7], v[132:133]
	v_fma_f64 v[196:197], v[4:5], v[132:133], -v[134:135]
	ds_load_b128 v[4:7], v2 offset:1280
	ds_load_b128 v[132:135], v2 offset:1296
	v_add_f64_e32 v[198:199], v[174:175], v[172:173]
	v_add_f64_e32 v[188:189], v[188:189], v[190:191]
	scratch_load_b128 v[172:175], off, off offset:496
	v_fmac_f64_e32 v[192:193], v[166:167], v[136:137]
	v_fma_f64 v[164:165], v[164:165], v[136:137], -v[138:139]
	scratch_load_b128 v[136:139], off, off offset:512
	s_wait_loadcnt_dscnt 0xc01
	v_mul_f64_e32 v[190:191], v[4:5], v[142:143]
	v_mul_f64_e32 v[142:143], v[6:7], v[142:143]
	v_add_f64_e32 v[166:167], v[198:199], v[196:197]
	v_add_f64_e32 v[188:189], v[188:189], v[194:195]
	s_wait_loadcnt_dscnt 0xb00
	v_mul_f64_e32 v[194:195], v[132:133], v[146:147]
	v_mul_f64_e32 v[146:147], v[134:135], v[146:147]
	v_fmac_f64_e32 v[190:191], v[6:7], v[140:141]
	v_fma_f64 v[196:197], v[4:5], v[140:141], -v[142:143]
	ds_load_b128 v[4:7], v2 offset:1312
	ds_load_b128 v[140:143], v2 offset:1328
	v_add_f64_e32 v[198:199], v[166:167], v[164:165]
	v_add_f64_e32 v[188:189], v[188:189], v[192:193]
	scratch_load_b128 v[164:167], off, off offset:528
	s_wait_loadcnt_dscnt 0xb01
	v_mul_f64_e32 v[192:193], v[4:5], v[150:151]
	v_mul_f64_e32 v[150:151], v[6:7], v[150:151]
	v_fmac_f64_e32 v[194:195], v[134:135], v[144:145]
	v_fma_f64 v[144:145], v[132:133], v[144:145], -v[146:147]
	scratch_load_b128 v[132:135], off, off offset:544
	v_add_f64_e32 v[146:147], v[198:199], v[196:197]
	v_add_f64_e32 v[188:189], v[188:189], v[190:191]
	s_wait_loadcnt_dscnt 0xb00
	v_mul_f64_e32 v[190:191], v[140:141], v[154:155]
	v_mul_f64_e32 v[154:155], v[142:143], v[154:155]
	v_fmac_f64_e32 v[192:193], v[6:7], v[148:149]
	v_fma_f64 v[196:197], v[4:5], v[148:149], -v[150:151]
	v_add_f64_e32 v[198:199], v[146:147], v[144:145]
	v_add_f64_e32 v[188:189], v[188:189], v[194:195]
	ds_load_b128 v[4:7], v2 offset:1344
	ds_load_b128 v[144:147], v2 offset:1360
	scratch_load_b128 v[148:151], off, off offset:560
	v_fmac_f64_e32 v[190:191], v[142:143], v[152:153]
	v_fma_f64 v[152:153], v[140:141], v[152:153], -v[154:155]
	scratch_load_b128 v[140:143], off, off offset:576
	s_wait_loadcnt_dscnt 0xc01
	v_mul_f64_e32 v[194:195], v[4:5], v[158:159]
	v_mul_f64_e32 v[158:159], v[6:7], v[158:159]
	v_add_f64_e32 v[154:155], v[198:199], v[196:197]
	v_add_f64_e32 v[188:189], v[188:189], v[192:193]
	s_wait_loadcnt_dscnt 0xb00
	v_mul_f64_e32 v[192:193], v[144:145], v[162:163]
	v_mul_f64_e32 v[162:163], v[146:147], v[162:163]
	v_fmac_f64_e32 v[194:195], v[6:7], v[156:157]
	v_fma_f64 v[196:197], v[4:5], v[156:157], -v[158:159]
	v_add_f64_e32 v[198:199], v[154:155], v[152:153]
	v_add_f64_e32 v[188:189], v[188:189], v[190:191]
	ds_load_b128 v[4:7], v2 offset:1376
	ds_load_b128 v[152:155], v2 offset:1392
	scratch_load_b128 v[156:159], off, off offset:592
	v_fmac_f64_e32 v[192:193], v[146:147], v[160:161]
	v_fma_f64 v[160:161], v[144:145], v[160:161], -v[162:163]
	scratch_load_b128 v[144:147], off, off offset:608
	s_wait_loadcnt_dscnt 0xc01
	v_mul_f64_e32 v[190:191], v[4:5], v[170:171]
	v_mul_f64_e32 v[170:171], v[6:7], v[170:171]
	;; [unrolled: 18-line block ×5, first 2 shown]
	v_add_f64_e32 v[182:183], v[198:199], v[196:197]
	v_add_f64_e32 v[188:189], v[188:189], v[194:195]
	s_wait_loadcnt_dscnt 0xa00
	v_mul_f64_e32 v[194:195], v[160:161], v[134:135]
	v_mul_f64_e32 v[134:135], v[162:163], v[134:135]
	v_fmac_f64_e32 v[190:191], v[6:7], v[164:165]
	v_fma_f64 v[196:197], v[4:5], v[164:165], -v[166:167]
	ds_load_b128 v[4:7], v2 offset:1504
	ds_load_b128 v[164:167], v2 offset:1520
	v_add_f64_e32 v[198:199], v[182:183], v[180:181]
	v_add_f64_e32 v[188:189], v[188:189], v[192:193]
	scratch_load_b128 v[180:183], off, off offset:720
	v_fmac_f64_e32 v[194:195], v[162:163], v[132:133]
	v_fma_f64 v[160:161], v[160:161], v[132:133], -v[134:135]
	scratch_load_b128 v[132:135], off, off offset:736
	s_wait_loadcnt_dscnt 0xb01
	v_mul_f64_e32 v[192:193], v[4:5], v[150:151]
	v_mul_f64_e32 v[150:151], v[6:7], v[150:151]
	v_add_f64_e32 v[162:163], v[198:199], v[196:197]
	v_add_f64_e32 v[188:189], v[188:189], v[190:191]
	s_wait_loadcnt_dscnt 0xa00
	v_mul_f64_e32 v[190:191], v[164:165], v[142:143]
	v_mul_f64_e32 v[142:143], v[166:167], v[142:143]
	v_fmac_f64_e32 v[192:193], v[6:7], v[148:149]
	v_fma_f64 v[196:197], v[4:5], v[148:149], -v[150:151]
	ds_load_b128 v[4:7], v2 offset:1536
	ds_load_b128 v[148:151], v2 offset:1552
	v_add_f64_e32 v[198:199], v[162:163], v[160:161]
	v_add_f64_e32 v[188:189], v[188:189], v[194:195]
	scratch_load_b128 v[160:163], off, off offset:752
	s_wait_loadcnt_dscnt 0xa01
	v_mul_f64_e32 v[194:195], v[4:5], v[158:159]
	v_mul_f64_e32 v[158:159], v[6:7], v[158:159]
	v_fmac_f64_e32 v[190:191], v[166:167], v[140:141]
	v_fma_f64 v[164:165], v[164:165], v[140:141], -v[142:143]
	scratch_load_b128 v[140:143], off, off offset:768
	v_add_f64_e32 v[166:167], v[198:199], v[196:197]
	v_add_f64_e32 v[188:189], v[188:189], v[192:193]
	s_wait_loadcnt_dscnt 0xa00
	v_mul_f64_e32 v[192:193], v[148:149], v[146:147]
	v_mul_f64_e32 v[146:147], v[150:151], v[146:147]
	v_fmac_f64_e32 v[194:195], v[6:7], v[156:157]
	v_fma_f64 v[196:197], v[4:5], v[156:157], -v[158:159]
	ds_load_b128 v[4:7], v2 offset:1568
	ds_load_b128 v[156:159], v2 offset:1584
	v_add_f64_e32 v[198:199], v[166:167], v[164:165]
	v_add_f64_e32 v[188:189], v[188:189], v[190:191]
	scratch_load_b128 v[164:167], off, off offset:784
	s_wait_loadcnt_dscnt 0xa01
	v_mul_f64_e32 v[190:191], v[4:5], v[170:171]
	v_mul_f64_e32 v[170:171], v[6:7], v[170:171]
	v_fmac_f64_e32 v[192:193], v[150:151], v[144:145]
	v_fma_f64 v[148:149], v[148:149], v[144:145], -v[146:147]
	scratch_load_b128 v[144:147], off, off offset:800
	v_add_f64_e32 v[150:151], v[198:199], v[196:197]
	v_add_f64_e32 v[188:189], v[188:189], v[194:195]
	s_wait_loadcnt_dscnt 0xa00
	v_mul_f64_e32 v[194:195], v[156:157], v[154:155]
	v_mul_f64_e32 v[154:155], v[158:159], v[154:155]
	v_fmac_f64_e32 v[190:191], v[6:7], v[168:169]
	v_fma_f64 v[196:197], v[4:5], v[168:169], -v[170:171]
	v_add_f64_e32 v[198:199], v[150:151], v[148:149]
	v_add_f64_e32 v[188:189], v[188:189], v[192:193]
	ds_load_b128 v[4:7], v2 offset:1600
	ds_load_b128 v[148:151], v2 offset:1616
	scratch_load_b128 v[168:171], off, off offset:816
	v_fmac_f64_e32 v[194:195], v[158:159], v[152:153]
	v_fma_f64 v[156:157], v[156:157], v[152:153], -v[154:155]
	scratch_load_b128 v[152:155], off, off offset:832
	s_wait_loadcnt_dscnt 0xb01
	v_mul_f64_e32 v[192:193], v[4:5], v[186:187]
	v_mul_f64_e32 v[186:187], v[6:7], v[186:187]
	v_add_f64_e32 v[158:159], v[198:199], v[196:197]
	v_add_f64_e32 v[188:189], v[188:189], v[190:191]
	s_wait_loadcnt_dscnt 0xa00
	v_mul_f64_e32 v[190:191], v[148:149], v[12:13]
	v_mul_f64_e32 v[12:13], v[150:151], v[12:13]
	v_fmac_f64_e32 v[192:193], v[6:7], v[184:185]
	v_fma_f64 v[196:197], v[4:5], v[184:185], -v[186:187]
	v_add_f64_e32 v[198:199], v[158:159], v[156:157]
	v_add_f64_e32 v[188:189], v[188:189], v[194:195]
	ds_load_b128 v[4:7], v2 offset:1632
	ds_load_b128 v[156:159], v2 offset:1648
	scratch_load_b128 v[184:187], off, off offset:848
	v_fmac_f64_e32 v[190:191], v[150:151], v[10:11]
	v_fma_f64 v[148:149], v[148:149], v[10:11], -v[12:13]
	scratch_load_b128 v[10:13], off, off offset:864
	s_wait_loadcnt_dscnt 0xb01
	v_mul_f64_e32 v[194:195], v[4:5], v[174:175]
	v_mul_f64_e32 v[174:175], v[6:7], v[174:175]
	;; [unrolled: 18-line block ×4, first 2 shown]
	v_add_f64_e32 v[150:151], v[198:199], v[196:197]
	v_add_f64_e32 v[188:189], v[188:189], v[190:191]
	s_wait_loadcnt_dscnt 0xa00
	v_mul_f64_e32 v[190:191], v[156:157], v[142:143]
	v_mul_f64_e32 v[142:143], v[158:159], v[142:143]
	v_fmac_f64_e32 v[192:193], v[6:7], v[160:161]
	v_fma_f64 v[160:161], v[4:5], v[160:161], -v[162:163]
	v_add_f64_e32 v[162:163], v[150:151], v[148:149]
	v_add_f64_e32 v[188:189], v[188:189], v[194:195]
	ds_load_b128 v[4:7], v2 offset:1728
	ds_load_b128 v[148:151], v2 offset:1744
	v_fmac_f64_e32 v[190:191], v[158:159], v[140:141]
	v_fma_f64 v[140:141], v[156:157], v[140:141], -v[142:143]
	s_wait_loadcnt_dscnt 0x901
	v_mul_f64_e32 v[194:195], v[4:5], v[166:167]
	v_mul_f64_e32 v[166:167], v[6:7], v[166:167]
	s_wait_loadcnt_dscnt 0x800
	v_mul_f64_e32 v[158:159], v[148:149], v[146:147]
	v_mul_f64_e32 v[146:147], v[150:151], v[146:147]
	v_add_f64_e32 v[142:143], v[162:163], v[160:161]
	v_add_f64_e32 v[156:157], v[188:189], v[192:193]
	v_fmac_f64_e32 v[194:195], v[6:7], v[164:165]
	v_fma_f64 v[160:161], v[4:5], v[164:165], -v[166:167]
	v_fmac_f64_e32 v[158:159], v[150:151], v[144:145]
	v_fma_f64 v[144:145], v[148:149], v[144:145], -v[146:147]
	v_add_f64_e32 v[162:163], v[142:143], v[140:141]
	v_add_f64_e32 v[156:157], v[156:157], v[190:191]
	ds_load_b128 v[4:7], v2 offset:1760
	ds_load_b128 v[140:143], v2 offset:1776
	s_wait_loadcnt_dscnt 0x701
	v_mul_f64_e32 v[164:165], v[4:5], v[170:171]
	v_mul_f64_e32 v[166:167], v[6:7], v[170:171]
	s_wait_loadcnt_dscnt 0x600
	v_mul_f64_e32 v[150:151], v[140:141], v[154:155]
	v_mul_f64_e32 v[154:155], v[142:143], v[154:155]
	v_add_f64_e32 v[146:147], v[162:163], v[160:161]
	v_add_f64_e32 v[148:149], v[156:157], v[194:195]
	v_fmac_f64_e32 v[164:165], v[6:7], v[168:169]
	v_fma_f64 v[156:157], v[4:5], v[168:169], -v[166:167]
	v_fmac_f64_e32 v[150:151], v[142:143], v[152:153]
	v_fma_f64 v[140:141], v[140:141], v[152:153], -v[154:155]
	v_add_f64_e32 v[160:161], v[146:147], v[144:145]
	v_add_f64_e32 v[148:149], v[148:149], v[158:159]
	ds_load_b128 v[4:7], v2 offset:1792
	ds_load_b128 v[144:147], v2 offset:1808
	;; [unrolled: 16-line block ×4, first 2 shown]
	s_wait_loadcnt_dscnt 0x101
	v_mul_f64_e32 v[2:3], v[4:5], v[182:183]
	v_mul_f64_e32 v[152:153], v[6:7], v[182:183]
	s_wait_loadcnt_dscnt 0x0
	v_mul_f64_e32 v[142:143], v[10:11], v[134:135]
	v_mul_f64_e32 v[134:135], v[12:13], v[134:135]
	v_add_f64_e32 v[138:139], v[154:155], v[148:149]
	v_add_f64_e32 v[140:141], v[144:145], v[150:151]
	v_fmac_f64_e32 v[2:3], v[6:7], v[180:181]
	v_fma_f64 v[4:5], v[4:5], v[180:181], -v[152:153]
	v_fmac_f64_e32 v[142:143], v[12:13], v[132:133]
	v_fma_f64 v[10:11], v[10:11], v[132:133], -v[134:135]
	v_add_f64_e32 v[6:7], v[138:139], v[136:137]
	v_add_f64_e32 v[136:137], v[140:141], v[146:147]
	s_delay_alu instid0(VALU_DEP_2) | instskip(NEXT) | instid1(VALU_DEP_2)
	v_add_f64_e32 v[4:5], v[6:7], v[4:5]
	v_add_f64_e32 v[2:3], v[136:137], v[2:3]
	s_delay_alu instid0(VALU_DEP_2) | instskip(NEXT) | instid1(VALU_DEP_2)
	;; [unrolled: 3-line block ×3, first 2 shown]
	v_add_f64_e64 v[2:3], v[176:177], -v[4:5]
	v_add_f64_e64 v[4:5], v[178:179], -v[6:7]
	scratch_store_b128 off, v[2:5], off offset:256
	s_wait_xcnt 0x0
	v_cmpx_lt_u32_e32 15, v1
	s_cbranch_execz .LBB58_337
; %bb.336:
	scratch_load_b128 v[2:5], off, s56
	v_mov_b32_e32 v10, 0
	s_delay_alu instid0(VALU_DEP_1)
	v_dual_mov_b32 v11, v10 :: v_dual_mov_b32 v12, v10
	v_mov_b32_e32 v13, v10
	scratch_store_b128 off, v[10:13], off offset:240
	s_wait_loadcnt 0x0
	ds_store_b128 v8, v[2:5]
.LBB58_337:
	s_wait_xcnt 0x0
	s_or_b32 exec_lo, exec_lo, s2
	s_wait_storecnt_dscnt 0x0
	s_barrier_signal -1
	s_barrier_wait -1
	s_clause 0x9
	scratch_load_b128 v[4:7], off, off offset:256
	scratch_load_b128 v[10:13], off, off offset:272
	;; [unrolled: 1-line block ×10, first 2 shown]
	v_mov_b32_e32 v2, 0
	s_mov_b32 s2, exec_lo
	ds_load_b128 v[164:167], v2 offset:1200
	s_clause 0x2
	scratch_load_b128 v[168:171], off, off offset:416
	scratch_load_b128 v[172:175], off, off offset:240
	;; [unrolled: 1-line block ×3, first 2 shown]
	s_wait_loadcnt_dscnt 0xc00
	v_mul_f64_e32 v[184:185], v[166:167], v[6:7]
	v_mul_f64_e32 v[188:189], v[164:165], v[6:7]
	ds_load_b128 v[176:179], v2 offset:1216
	v_fma_f64 v[192:193], v[164:165], v[4:5], -v[184:185]
	v_fmac_f64_e32 v[188:189], v[166:167], v[4:5]
	ds_load_b128 v[4:7], v2 offset:1232
	s_wait_loadcnt_dscnt 0xb01
	v_mul_f64_e32 v[190:191], v[176:177], v[12:13]
	v_mul_f64_e32 v[12:13], v[178:179], v[12:13]
	scratch_load_b128 v[164:167], off, off offset:448
	ds_load_b128 v[184:187], v2 offset:1248
	s_wait_loadcnt_dscnt 0xb01
	v_mul_f64_e32 v[194:195], v[4:5], v[134:135]
	v_mul_f64_e32 v[134:135], v[6:7], v[134:135]
	v_add_f64_e32 v[188:189], 0, v[188:189]
	v_fmac_f64_e32 v[190:191], v[178:179], v[10:11]
	v_fma_f64 v[176:177], v[176:177], v[10:11], -v[12:13]
	v_add_f64_e32 v[178:179], 0, v[192:193]
	scratch_load_b128 v[10:13], off, off offset:464
	v_fmac_f64_e32 v[194:195], v[6:7], v[132:133]
	v_fma_f64 v[196:197], v[4:5], v[132:133], -v[134:135]
	ds_load_b128 v[4:7], v2 offset:1264
	s_wait_loadcnt_dscnt 0xb01
	v_mul_f64_e32 v[192:193], v[184:185], v[138:139]
	v_mul_f64_e32 v[138:139], v[186:187], v[138:139]
	scratch_load_b128 v[132:135], off, off offset:480
	v_add_f64_e32 v[188:189], v[188:189], v[190:191]
	v_add_f64_e32 v[198:199], v[178:179], v[176:177]
	ds_load_b128 v[176:179], v2 offset:1280
	s_wait_loadcnt_dscnt 0xb01
	v_mul_f64_e32 v[190:191], v[4:5], v[142:143]
	v_mul_f64_e32 v[142:143], v[6:7], v[142:143]
	v_fmac_f64_e32 v[192:193], v[186:187], v[136:137]
	v_fma_f64 v[184:185], v[184:185], v[136:137], -v[138:139]
	scratch_load_b128 v[136:139], off, off offset:496
	v_add_f64_e32 v[188:189], v[188:189], v[194:195]
	v_add_f64_e32 v[186:187], v[198:199], v[196:197]
	v_fmac_f64_e32 v[190:191], v[6:7], v[140:141]
	v_fma_f64 v[196:197], v[4:5], v[140:141], -v[142:143]
	ds_load_b128 v[4:7], v2 offset:1296
	s_wait_loadcnt_dscnt 0xb01
	v_mul_f64_e32 v[194:195], v[176:177], v[146:147]
	v_mul_f64_e32 v[146:147], v[178:179], v[146:147]
	scratch_load_b128 v[140:143], off, off offset:512
	v_add_f64_e32 v[188:189], v[188:189], v[192:193]
	s_wait_loadcnt_dscnt 0xb00
	v_mul_f64_e32 v[192:193], v[4:5], v[150:151]
	v_add_f64_e32 v[198:199], v[186:187], v[184:185]
	v_mul_f64_e32 v[150:151], v[6:7], v[150:151]
	ds_load_b128 v[184:187], v2 offset:1312
	v_fmac_f64_e32 v[194:195], v[178:179], v[144:145]
	v_fma_f64 v[176:177], v[176:177], v[144:145], -v[146:147]
	scratch_load_b128 v[144:147], off, off offset:528
	v_add_f64_e32 v[188:189], v[188:189], v[190:191]
	v_fmac_f64_e32 v[192:193], v[6:7], v[148:149]
	v_add_f64_e32 v[178:179], v[198:199], v[196:197]
	v_fma_f64 v[196:197], v[4:5], v[148:149], -v[150:151]
	ds_load_b128 v[4:7], v2 offset:1328
	s_wait_loadcnt_dscnt 0xb01
	v_mul_f64_e32 v[190:191], v[184:185], v[154:155]
	v_mul_f64_e32 v[154:155], v[186:187], v[154:155]
	scratch_load_b128 v[148:151], off, off offset:544
	v_add_f64_e32 v[188:189], v[188:189], v[194:195]
	s_wait_loadcnt_dscnt 0xb00
	v_mul_f64_e32 v[194:195], v[4:5], v[158:159]
	v_add_f64_e32 v[198:199], v[178:179], v[176:177]
	v_mul_f64_e32 v[158:159], v[6:7], v[158:159]
	ds_load_b128 v[176:179], v2 offset:1344
	v_fmac_f64_e32 v[190:191], v[186:187], v[152:153]
	v_fma_f64 v[184:185], v[184:185], v[152:153], -v[154:155]
	scratch_load_b128 v[152:155], off, off offset:560
	v_add_f64_e32 v[188:189], v[188:189], v[192:193]
	v_fmac_f64_e32 v[194:195], v[6:7], v[156:157]
	v_add_f64_e32 v[186:187], v[198:199], v[196:197]
	;; [unrolled: 18-line block ×3, first 2 shown]
	v_fma_f64 v[196:197], v[4:5], v[168:169], -v[170:171]
	ds_load_b128 v[4:7], v2 offset:1392
	s_wait_loadcnt_dscnt 0xa01
	v_mul_f64_e32 v[194:195], v[184:185], v[182:183]
	v_mul_f64_e32 v[182:183], v[186:187], v[182:183]
	scratch_load_b128 v[168:171], off, off offset:608
	v_add_f64_e32 v[188:189], v[188:189], v[192:193]
	v_add_f64_e32 v[198:199], v[178:179], v[176:177]
	s_wait_loadcnt_dscnt 0xa00
	v_mul_f64_e32 v[192:193], v[4:5], v[166:167]
	v_mul_f64_e32 v[166:167], v[6:7], v[166:167]
	v_fmac_f64_e32 v[194:195], v[186:187], v[180:181]
	v_fma_f64 v[184:185], v[184:185], v[180:181], -v[182:183]
	ds_load_b128 v[176:179], v2 offset:1408
	scratch_load_b128 v[180:183], off, off offset:624
	v_add_f64_e32 v[188:189], v[188:189], v[190:191]
	v_add_f64_e32 v[186:187], v[198:199], v[196:197]
	v_fmac_f64_e32 v[192:193], v[6:7], v[164:165]
	v_fma_f64 v[196:197], v[4:5], v[164:165], -v[166:167]
	ds_load_b128 v[4:7], v2 offset:1424
	s_wait_loadcnt_dscnt 0xa01
	v_mul_f64_e32 v[190:191], v[176:177], v[12:13]
	v_mul_f64_e32 v[12:13], v[178:179], v[12:13]
	scratch_load_b128 v[164:167], off, off offset:640
	v_add_f64_e32 v[188:189], v[188:189], v[194:195]
	s_wait_loadcnt_dscnt 0xa00
	v_mul_f64_e32 v[194:195], v[4:5], v[134:135]
	v_add_f64_e32 v[198:199], v[186:187], v[184:185]
	v_mul_f64_e32 v[134:135], v[6:7], v[134:135]
	ds_load_b128 v[184:187], v2 offset:1440
	v_fmac_f64_e32 v[190:191], v[178:179], v[10:11]
	v_fma_f64 v[176:177], v[176:177], v[10:11], -v[12:13]
	scratch_load_b128 v[10:13], off, off offset:656
	v_add_f64_e32 v[188:189], v[188:189], v[192:193]
	v_fmac_f64_e32 v[194:195], v[6:7], v[132:133]
	v_add_f64_e32 v[178:179], v[198:199], v[196:197]
	v_fma_f64 v[196:197], v[4:5], v[132:133], -v[134:135]
	ds_load_b128 v[4:7], v2 offset:1456
	s_wait_loadcnt_dscnt 0xa01
	v_mul_f64_e32 v[192:193], v[184:185], v[138:139]
	v_mul_f64_e32 v[138:139], v[186:187], v[138:139]
	scratch_load_b128 v[132:135], off, off offset:672
	v_add_f64_e32 v[188:189], v[188:189], v[190:191]
	s_wait_loadcnt_dscnt 0xa00
	v_mul_f64_e32 v[190:191], v[4:5], v[142:143]
	v_add_f64_e32 v[198:199], v[178:179], v[176:177]
	v_mul_f64_e32 v[142:143], v[6:7], v[142:143]
	ds_load_b128 v[176:179], v2 offset:1472
	v_fmac_f64_e32 v[192:193], v[186:187], v[136:137]
	v_fma_f64 v[184:185], v[184:185], v[136:137], -v[138:139]
	scratch_load_b128 v[136:139], off, off offset:688
	v_add_f64_e32 v[188:189], v[188:189], v[194:195]
	v_fmac_f64_e32 v[190:191], v[6:7], v[140:141]
	v_add_f64_e32 v[186:187], v[198:199], v[196:197]
	;; [unrolled: 18-line block ×9, first 2 shown]
	v_fma_f64 v[196:197], v[4:5], v[148:149], -v[150:151]
	ds_load_b128 v[4:7], v2 offset:1712
	s_wait_loadcnt_dscnt 0xa01
	v_mul_f64_e32 v[190:191], v[184:185], v[154:155]
	v_mul_f64_e32 v[154:155], v[186:187], v[154:155]
	scratch_load_b128 v[148:151], off, off offset:928
	v_add_f64_e32 v[188:189], v[188:189], v[194:195]
	s_wait_loadcnt_dscnt 0xa00
	v_mul_f64_e32 v[194:195], v[4:5], v[158:159]
	v_add_f64_e32 v[198:199], v[178:179], v[176:177]
	v_mul_f64_e32 v[158:159], v[6:7], v[158:159]
	ds_load_b128 v[176:179], v2 offset:1728
	v_fmac_f64_e32 v[190:191], v[186:187], v[152:153]
	v_fma_f64 v[152:153], v[184:185], v[152:153], -v[154:155]
	s_wait_loadcnt_dscnt 0x900
	v_mul_f64_e32 v[186:187], v[176:177], v[162:163]
	v_mul_f64_e32 v[162:163], v[178:179], v[162:163]
	v_add_f64_e32 v[184:185], v[188:189], v[192:193]
	v_fmac_f64_e32 v[194:195], v[6:7], v[156:157]
	v_add_f64_e32 v[154:155], v[198:199], v[196:197]
	v_fma_f64 v[156:157], v[4:5], v[156:157], -v[158:159]
	v_fmac_f64_e32 v[186:187], v[178:179], v[160:161]
	v_fma_f64 v[160:161], v[176:177], v[160:161], -v[162:163]
	v_add_f64_e32 v[184:185], v[184:185], v[190:191]
	v_add_f64_e32 v[158:159], v[154:155], v[152:153]
	ds_load_b128 v[4:7], v2 offset:1744
	ds_load_b128 v[152:155], v2 offset:1760
	s_wait_loadcnt_dscnt 0x801
	v_mul_f64_e32 v[188:189], v[4:5], v[170:171]
	v_mul_f64_e32 v[170:171], v[6:7], v[170:171]
	s_wait_loadcnt_dscnt 0x700
	v_mul_f64_e32 v[162:163], v[152:153], v[182:183]
	v_mul_f64_e32 v[176:177], v[154:155], v[182:183]
	v_add_f64_e32 v[156:157], v[158:159], v[156:157]
	v_add_f64_e32 v[158:159], v[184:185], v[194:195]
	v_fmac_f64_e32 v[188:189], v[6:7], v[168:169]
	v_fma_f64 v[168:169], v[4:5], v[168:169], -v[170:171]
	v_fmac_f64_e32 v[162:163], v[154:155], v[180:181]
	v_fma_f64 v[152:153], v[152:153], v[180:181], -v[176:177]
	v_add_f64_e32 v[160:161], v[156:157], v[160:161]
	v_add_f64_e32 v[170:171], v[158:159], v[186:187]
	ds_load_b128 v[4:7], v2 offset:1776
	ds_load_b128 v[156:159], v2 offset:1792
	s_wait_loadcnt_dscnt 0x601
	v_mul_f64_e32 v[178:179], v[4:5], v[166:167]
	v_mul_f64_e32 v[166:167], v[6:7], v[166:167]
	v_add_f64_e32 v[154:155], v[160:161], v[168:169]
	v_add_f64_e32 v[160:161], v[170:171], v[188:189]
	s_wait_loadcnt_dscnt 0x500
	v_mul_f64_e32 v[168:169], v[156:157], v[12:13]
	v_mul_f64_e32 v[12:13], v[158:159], v[12:13]
	v_fmac_f64_e32 v[178:179], v[6:7], v[164:165]
	v_fma_f64 v[164:165], v[4:5], v[164:165], -v[166:167]
	v_add_f64_e32 v[166:167], v[154:155], v[152:153]
	v_add_f64_e32 v[160:161], v[160:161], v[162:163]
	ds_load_b128 v[4:7], v2 offset:1808
	ds_load_b128 v[152:155], v2 offset:1824
	v_fmac_f64_e32 v[168:169], v[158:159], v[10:11]
	v_fma_f64 v[10:11], v[156:157], v[10:11], -v[12:13]
	s_wait_loadcnt_dscnt 0x401
	v_mul_f64_e32 v[162:163], v[4:5], v[134:135]
	v_mul_f64_e32 v[134:135], v[6:7], v[134:135]
	s_wait_loadcnt_dscnt 0x300
	v_mul_f64_e32 v[158:159], v[152:153], v[138:139]
	v_mul_f64_e32 v[138:139], v[154:155], v[138:139]
	v_add_f64_e32 v[12:13], v[166:167], v[164:165]
	v_add_f64_e32 v[156:157], v[160:161], v[178:179]
	v_fmac_f64_e32 v[162:163], v[6:7], v[132:133]
	v_fma_f64 v[132:133], v[4:5], v[132:133], -v[134:135]
	v_fmac_f64_e32 v[158:159], v[154:155], v[136:137]
	v_fma_f64 v[136:137], v[152:153], v[136:137], -v[138:139]
	v_add_f64_e32 v[134:135], v[12:13], v[10:11]
	v_add_f64_e32 v[156:157], v[156:157], v[168:169]
	ds_load_b128 v[4:7], v2 offset:1840
	ds_load_b128 v[10:13], v2 offset:1856
	s_wait_loadcnt_dscnt 0x201
	v_mul_f64_e32 v[160:161], v[4:5], v[142:143]
	v_mul_f64_e32 v[142:143], v[6:7], v[142:143]
	s_wait_loadcnt_dscnt 0x100
	v_mul_f64_e32 v[138:139], v[10:11], v[146:147]
	v_mul_f64_e32 v[146:147], v[12:13], v[146:147]
	v_add_f64_e32 v[132:133], v[134:135], v[132:133]
	v_add_f64_e32 v[134:135], v[156:157], v[162:163]
	v_fmac_f64_e32 v[160:161], v[6:7], v[140:141]
	v_fma_f64 v[140:141], v[4:5], v[140:141], -v[142:143]
	ds_load_b128 v[4:7], v2 offset:1872
	v_fmac_f64_e32 v[138:139], v[12:13], v[144:145]
	v_fma_f64 v[10:11], v[10:11], v[144:145], -v[146:147]
	v_add_f64_e32 v[132:133], v[132:133], v[136:137]
	v_add_f64_e32 v[134:135], v[134:135], v[158:159]
	s_wait_loadcnt_dscnt 0x0
	v_mul_f64_e32 v[136:137], v[4:5], v[150:151]
	v_mul_f64_e32 v[142:143], v[6:7], v[150:151]
	s_delay_alu instid0(VALU_DEP_4) | instskip(NEXT) | instid1(VALU_DEP_4)
	v_add_f64_e32 v[12:13], v[132:133], v[140:141]
	v_add_f64_e32 v[132:133], v[134:135], v[160:161]
	s_delay_alu instid0(VALU_DEP_4) | instskip(NEXT) | instid1(VALU_DEP_4)
	v_fmac_f64_e32 v[136:137], v[6:7], v[148:149]
	v_fma_f64 v[4:5], v[4:5], v[148:149], -v[142:143]
	s_delay_alu instid0(VALU_DEP_4) | instskip(NEXT) | instid1(VALU_DEP_4)
	v_add_f64_e32 v[6:7], v[12:13], v[10:11]
	v_add_f64_e32 v[10:11], v[132:133], v[138:139]
	s_delay_alu instid0(VALU_DEP_2) | instskip(NEXT) | instid1(VALU_DEP_2)
	v_add_f64_e32 v[4:5], v[6:7], v[4:5]
	v_add_f64_e32 v[6:7], v[10:11], v[136:137]
	s_delay_alu instid0(VALU_DEP_2) | instskip(NEXT) | instid1(VALU_DEP_2)
	v_add_f64_e64 v[4:5], v[172:173], -v[4:5]
	v_add_f64_e64 v[6:7], v[174:175], -v[6:7]
	scratch_store_b128 off, v[4:7], off offset:240
	s_wait_xcnt 0x0
	v_cmpx_lt_u32_e32 14, v1
	s_cbranch_execz .LBB58_339
; %bb.338:
	scratch_load_b128 v[10:13], off, s65
	v_dual_mov_b32 v3, v2 :: v_dual_mov_b32 v4, v2
	v_mov_b32_e32 v5, v2
	scratch_store_b128 off, v[2:5], off offset:224
	s_wait_loadcnt 0x0
	ds_store_b128 v8, v[10:13]
.LBB58_339:
	s_wait_xcnt 0x0
	s_or_b32 exec_lo, exec_lo, s2
	s_wait_storecnt_dscnt 0x0
	s_barrier_signal -1
	s_barrier_wait -1
	s_clause 0x9
	scratch_load_b128 v[4:7], off, off offset:240
	scratch_load_b128 v[10:13], off, off offset:256
	;; [unrolled: 1-line block ×10, first 2 shown]
	ds_load_b128 v[164:167], v2 offset:1184
	ds_load_b128 v[172:175], v2 offset:1200
	s_clause 0x2
	scratch_load_b128 v[168:171], off, off offset:400
	scratch_load_b128 v[176:179], off, off offset:224
	;; [unrolled: 1-line block ×3, first 2 shown]
	s_mov_b32 s2, exec_lo
	s_wait_loadcnt_dscnt 0xc01
	v_mul_f64_e32 v[184:185], v[166:167], v[6:7]
	v_mul_f64_e32 v[188:189], v[164:165], v[6:7]
	s_wait_loadcnt_dscnt 0xb00
	v_mul_f64_e32 v[190:191], v[172:173], v[12:13]
	v_mul_f64_e32 v[12:13], v[174:175], v[12:13]
	s_delay_alu instid0(VALU_DEP_4) | instskip(NEXT) | instid1(VALU_DEP_4)
	v_fma_f64 v[192:193], v[164:165], v[4:5], -v[184:185]
	v_fmac_f64_e32 v[188:189], v[166:167], v[4:5]
	ds_load_b128 v[4:7], v2 offset:1216
	ds_load_b128 v[164:167], v2 offset:1232
	scratch_load_b128 v[184:187], off, off offset:432
	v_fmac_f64_e32 v[190:191], v[174:175], v[10:11]
	v_fma_f64 v[172:173], v[172:173], v[10:11], -v[12:13]
	scratch_load_b128 v[10:13], off, off offset:448
	s_wait_loadcnt_dscnt 0xc01
	v_mul_f64_e32 v[194:195], v[4:5], v[134:135]
	v_mul_f64_e32 v[134:135], v[6:7], v[134:135]
	v_add_f64_e32 v[174:175], 0, v[192:193]
	v_add_f64_e32 v[188:189], 0, v[188:189]
	s_wait_loadcnt_dscnt 0xb00
	v_mul_f64_e32 v[192:193], v[164:165], v[138:139]
	v_mul_f64_e32 v[138:139], v[166:167], v[138:139]
	v_fmac_f64_e32 v[194:195], v[6:7], v[132:133]
	v_fma_f64 v[196:197], v[4:5], v[132:133], -v[134:135]
	ds_load_b128 v[4:7], v2 offset:1248
	ds_load_b128 v[132:135], v2 offset:1264
	v_add_f64_e32 v[198:199], v[174:175], v[172:173]
	v_add_f64_e32 v[188:189], v[188:189], v[190:191]
	scratch_load_b128 v[172:175], off, off offset:464
	v_fmac_f64_e32 v[192:193], v[166:167], v[136:137]
	v_fma_f64 v[164:165], v[164:165], v[136:137], -v[138:139]
	scratch_load_b128 v[136:139], off, off offset:480
	s_wait_loadcnt_dscnt 0xc01
	v_mul_f64_e32 v[190:191], v[4:5], v[142:143]
	v_mul_f64_e32 v[142:143], v[6:7], v[142:143]
	v_add_f64_e32 v[166:167], v[198:199], v[196:197]
	v_add_f64_e32 v[188:189], v[188:189], v[194:195]
	s_wait_loadcnt_dscnt 0xb00
	v_mul_f64_e32 v[194:195], v[132:133], v[146:147]
	v_mul_f64_e32 v[146:147], v[134:135], v[146:147]
	v_fmac_f64_e32 v[190:191], v[6:7], v[140:141]
	v_fma_f64 v[196:197], v[4:5], v[140:141], -v[142:143]
	ds_load_b128 v[4:7], v2 offset:1280
	ds_load_b128 v[140:143], v2 offset:1296
	v_add_f64_e32 v[198:199], v[166:167], v[164:165]
	v_add_f64_e32 v[188:189], v[188:189], v[192:193]
	scratch_load_b128 v[164:167], off, off offset:496
	s_wait_loadcnt_dscnt 0xb01
	v_mul_f64_e32 v[192:193], v[4:5], v[150:151]
	v_mul_f64_e32 v[150:151], v[6:7], v[150:151]
	v_fmac_f64_e32 v[194:195], v[134:135], v[144:145]
	v_fma_f64 v[144:145], v[132:133], v[144:145], -v[146:147]
	scratch_load_b128 v[132:135], off, off offset:512
	v_add_f64_e32 v[146:147], v[198:199], v[196:197]
	v_add_f64_e32 v[188:189], v[188:189], v[190:191]
	s_wait_loadcnt_dscnt 0xb00
	v_mul_f64_e32 v[190:191], v[140:141], v[154:155]
	v_mul_f64_e32 v[154:155], v[142:143], v[154:155]
	v_fmac_f64_e32 v[192:193], v[6:7], v[148:149]
	v_fma_f64 v[196:197], v[4:5], v[148:149], -v[150:151]
	v_add_f64_e32 v[198:199], v[146:147], v[144:145]
	v_add_f64_e32 v[188:189], v[188:189], v[194:195]
	ds_load_b128 v[4:7], v2 offset:1312
	ds_load_b128 v[144:147], v2 offset:1328
	scratch_load_b128 v[148:151], off, off offset:528
	v_fmac_f64_e32 v[190:191], v[142:143], v[152:153]
	v_fma_f64 v[152:153], v[140:141], v[152:153], -v[154:155]
	scratch_load_b128 v[140:143], off, off offset:544
	s_wait_loadcnt_dscnt 0xc01
	v_mul_f64_e32 v[194:195], v[4:5], v[158:159]
	v_mul_f64_e32 v[158:159], v[6:7], v[158:159]
	v_add_f64_e32 v[154:155], v[198:199], v[196:197]
	v_add_f64_e32 v[188:189], v[188:189], v[192:193]
	s_wait_loadcnt_dscnt 0xb00
	v_mul_f64_e32 v[192:193], v[144:145], v[162:163]
	v_mul_f64_e32 v[162:163], v[146:147], v[162:163]
	v_fmac_f64_e32 v[194:195], v[6:7], v[156:157]
	v_fma_f64 v[196:197], v[4:5], v[156:157], -v[158:159]
	v_add_f64_e32 v[198:199], v[154:155], v[152:153]
	v_add_f64_e32 v[188:189], v[188:189], v[190:191]
	ds_load_b128 v[4:7], v2 offset:1344
	ds_load_b128 v[152:155], v2 offset:1360
	scratch_load_b128 v[156:159], off, off offset:560
	v_fmac_f64_e32 v[192:193], v[146:147], v[160:161]
	v_fma_f64 v[160:161], v[144:145], v[160:161], -v[162:163]
	scratch_load_b128 v[144:147], off, off offset:576
	s_wait_loadcnt_dscnt 0xc01
	v_mul_f64_e32 v[190:191], v[4:5], v[170:171]
	v_mul_f64_e32 v[170:171], v[6:7], v[170:171]
	;; [unrolled: 18-line block ×5, first 2 shown]
	v_add_f64_e32 v[182:183], v[198:199], v[196:197]
	v_add_f64_e32 v[188:189], v[188:189], v[194:195]
	s_wait_loadcnt_dscnt 0xa00
	v_mul_f64_e32 v[194:195], v[160:161], v[134:135]
	v_mul_f64_e32 v[134:135], v[162:163], v[134:135]
	v_fmac_f64_e32 v[190:191], v[6:7], v[164:165]
	v_fma_f64 v[196:197], v[4:5], v[164:165], -v[166:167]
	ds_load_b128 v[4:7], v2 offset:1472
	ds_load_b128 v[164:167], v2 offset:1488
	v_add_f64_e32 v[198:199], v[182:183], v[180:181]
	v_add_f64_e32 v[188:189], v[188:189], v[192:193]
	scratch_load_b128 v[180:183], off, off offset:688
	v_fmac_f64_e32 v[194:195], v[162:163], v[132:133]
	v_fma_f64 v[160:161], v[160:161], v[132:133], -v[134:135]
	scratch_load_b128 v[132:135], off, off offset:704
	s_wait_loadcnt_dscnt 0xb01
	v_mul_f64_e32 v[192:193], v[4:5], v[150:151]
	v_mul_f64_e32 v[150:151], v[6:7], v[150:151]
	v_add_f64_e32 v[162:163], v[198:199], v[196:197]
	v_add_f64_e32 v[188:189], v[188:189], v[190:191]
	s_wait_loadcnt_dscnt 0xa00
	v_mul_f64_e32 v[190:191], v[164:165], v[142:143]
	v_mul_f64_e32 v[142:143], v[166:167], v[142:143]
	v_fmac_f64_e32 v[192:193], v[6:7], v[148:149]
	v_fma_f64 v[196:197], v[4:5], v[148:149], -v[150:151]
	ds_load_b128 v[4:7], v2 offset:1504
	ds_load_b128 v[148:151], v2 offset:1520
	v_add_f64_e32 v[198:199], v[162:163], v[160:161]
	v_add_f64_e32 v[188:189], v[188:189], v[194:195]
	scratch_load_b128 v[160:163], off, off offset:720
	s_wait_loadcnt_dscnt 0xa01
	v_mul_f64_e32 v[194:195], v[4:5], v[158:159]
	v_mul_f64_e32 v[158:159], v[6:7], v[158:159]
	v_fmac_f64_e32 v[190:191], v[166:167], v[140:141]
	v_fma_f64 v[164:165], v[164:165], v[140:141], -v[142:143]
	scratch_load_b128 v[140:143], off, off offset:736
	v_add_f64_e32 v[166:167], v[198:199], v[196:197]
	v_add_f64_e32 v[188:189], v[188:189], v[192:193]
	s_wait_loadcnt_dscnt 0xa00
	v_mul_f64_e32 v[192:193], v[148:149], v[146:147]
	v_mul_f64_e32 v[146:147], v[150:151], v[146:147]
	v_fmac_f64_e32 v[194:195], v[6:7], v[156:157]
	v_fma_f64 v[196:197], v[4:5], v[156:157], -v[158:159]
	ds_load_b128 v[4:7], v2 offset:1536
	ds_load_b128 v[156:159], v2 offset:1552
	v_add_f64_e32 v[198:199], v[166:167], v[164:165]
	v_add_f64_e32 v[188:189], v[188:189], v[190:191]
	scratch_load_b128 v[164:167], off, off offset:752
	s_wait_loadcnt_dscnt 0xa01
	v_mul_f64_e32 v[190:191], v[4:5], v[170:171]
	v_mul_f64_e32 v[170:171], v[6:7], v[170:171]
	v_fmac_f64_e32 v[192:193], v[150:151], v[144:145]
	v_fma_f64 v[148:149], v[148:149], v[144:145], -v[146:147]
	scratch_load_b128 v[144:147], off, off offset:768
	v_add_f64_e32 v[150:151], v[198:199], v[196:197]
	v_add_f64_e32 v[188:189], v[188:189], v[194:195]
	s_wait_loadcnt_dscnt 0xa00
	v_mul_f64_e32 v[194:195], v[156:157], v[154:155]
	v_mul_f64_e32 v[154:155], v[158:159], v[154:155]
	v_fmac_f64_e32 v[190:191], v[6:7], v[168:169]
	v_fma_f64 v[196:197], v[4:5], v[168:169], -v[170:171]
	v_add_f64_e32 v[198:199], v[150:151], v[148:149]
	v_add_f64_e32 v[188:189], v[188:189], v[192:193]
	ds_load_b128 v[4:7], v2 offset:1568
	ds_load_b128 v[148:151], v2 offset:1584
	scratch_load_b128 v[168:171], off, off offset:784
	v_fmac_f64_e32 v[194:195], v[158:159], v[152:153]
	v_fma_f64 v[156:157], v[156:157], v[152:153], -v[154:155]
	scratch_load_b128 v[152:155], off, off offset:800
	s_wait_loadcnt_dscnt 0xb01
	v_mul_f64_e32 v[192:193], v[4:5], v[186:187]
	v_mul_f64_e32 v[186:187], v[6:7], v[186:187]
	v_add_f64_e32 v[158:159], v[198:199], v[196:197]
	v_add_f64_e32 v[188:189], v[188:189], v[190:191]
	s_wait_loadcnt_dscnt 0xa00
	v_mul_f64_e32 v[190:191], v[148:149], v[12:13]
	v_mul_f64_e32 v[12:13], v[150:151], v[12:13]
	v_fmac_f64_e32 v[192:193], v[6:7], v[184:185]
	v_fma_f64 v[196:197], v[4:5], v[184:185], -v[186:187]
	v_add_f64_e32 v[198:199], v[158:159], v[156:157]
	v_add_f64_e32 v[188:189], v[188:189], v[194:195]
	ds_load_b128 v[4:7], v2 offset:1600
	ds_load_b128 v[156:159], v2 offset:1616
	scratch_load_b128 v[184:187], off, off offset:816
	v_fmac_f64_e32 v[190:191], v[150:151], v[10:11]
	v_fma_f64 v[148:149], v[148:149], v[10:11], -v[12:13]
	scratch_load_b128 v[10:13], off, off offset:832
	s_wait_loadcnt_dscnt 0xb01
	v_mul_f64_e32 v[194:195], v[4:5], v[174:175]
	v_mul_f64_e32 v[174:175], v[6:7], v[174:175]
	;; [unrolled: 18-line block ×5, first 2 shown]
	v_add_f64_e32 v[158:159], v[198:199], v[196:197]
	v_add_f64_e32 v[188:189], v[188:189], v[192:193]
	s_wait_loadcnt_dscnt 0xa00
	v_mul_f64_e32 v[192:193], v[148:149], v[146:147]
	v_mul_f64_e32 v[146:147], v[150:151], v[146:147]
	v_fmac_f64_e32 v[194:195], v[6:7], v[164:165]
	v_fma_f64 v[164:165], v[4:5], v[164:165], -v[166:167]
	v_add_f64_e32 v[166:167], v[158:159], v[156:157]
	v_add_f64_e32 v[188:189], v[188:189], v[190:191]
	ds_load_b128 v[4:7], v2 offset:1728
	ds_load_b128 v[156:159], v2 offset:1744
	v_fmac_f64_e32 v[192:193], v[150:151], v[144:145]
	v_fma_f64 v[144:145], v[148:149], v[144:145], -v[146:147]
	s_wait_loadcnt_dscnt 0x901
	v_mul_f64_e32 v[190:191], v[4:5], v[170:171]
	v_mul_f64_e32 v[170:171], v[6:7], v[170:171]
	s_wait_loadcnt_dscnt 0x800
	v_mul_f64_e32 v[150:151], v[156:157], v[154:155]
	v_mul_f64_e32 v[154:155], v[158:159], v[154:155]
	v_add_f64_e32 v[146:147], v[166:167], v[164:165]
	v_add_f64_e32 v[148:149], v[188:189], v[194:195]
	v_fmac_f64_e32 v[190:191], v[6:7], v[168:169]
	v_fma_f64 v[164:165], v[4:5], v[168:169], -v[170:171]
	v_fmac_f64_e32 v[150:151], v[158:159], v[152:153]
	v_fma_f64 v[152:153], v[156:157], v[152:153], -v[154:155]
	v_add_f64_e32 v[166:167], v[146:147], v[144:145]
	v_add_f64_e32 v[148:149], v[148:149], v[192:193]
	ds_load_b128 v[4:7], v2 offset:1760
	ds_load_b128 v[144:147], v2 offset:1776
	s_wait_loadcnt_dscnt 0x701
	v_mul_f64_e32 v[168:169], v[4:5], v[186:187]
	v_mul_f64_e32 v[170:171], v[6:7], v[186:187]
	s_wait_loadcnt_dscnt 0x600
	v_mul_f64_e32 v[156:157], v[144:145], v[12:13]
	v_mul_f64_e32 v[12:13], v[146:147], v[12:13]
	v_add_f64_e32 v[154:155], v[166:167], v[164:165]
	v_add_f64_e32 v[148:149], v[148:149], v[190:191]
	v_fmac_f64_e32 v[168:169], v[6:7], v[184:185]
	v_fma_f64 v[158:159], v[4:5], v[184:185], -v[170:171]
	v_fmac_f64_e32 v[156:157], v[146:147], v[10:11]
	v_fma_f64 v[10:11], v[144:145], v[10:11], -v[12:13]
	v_add_f64_e32 v[152:153], v[154:155], v[152:153]
	v_add_f64_e32 v[154:155], v[148:149], v[150:151]
	ds_load_b128 v[4:7], v2 offset:1792
	ds_load_b128 v[148:151], v2 offset:1808
	;; [unrolled: 16-line block ×4, first 2 shown]
	s_wait_loadcnt_dscnt 0x101
	v_mul_f64_e32 v[2:3], v[4:5], v[162:163]
	v_mul_f64_e32 v[146:147], v[6:7], v[162:163]
	v_add_f64_e32 v[12:13], v[138:139], v[152:153]
	v_add_f64_e32 v[132:133], v[144:145], v[156:157]
	s_wait_loadcnt_dscnt 0x0
	v_mul_f64_e32 v[138:139], v[134:135], v[142:143]
	v_mul_f64_e32 v[142:143], v[136:137], v[142:143]
	v_fmac_f64_e32 v[2:3], v[6:7], v[160:161]
	v_fma_f64 v[4:5], v[4:5], v[160:161], -v[146:147]
	v_add_f64_e32 v[6:7], v[12:13], v[10:11]
	v_add_f64_e32 v[10:11], v[132:133], v[148:149]
	v_fmac_f64_e32 v[138:139], v[136:137], v[140:141]
	v_fma_f64 v[12:13], v[134:135], v[140:141], -v[142:143]
	s_delay_alu instid0(VALU_DEP_4) | instskip(NEXT) | instid1(VALU_DEP_4)
	v_add_f64_e32 v[4:5], v[6:7], v[4:5]
	v_add_f64_e32 v[2:3], v[10:11], v[2:3]
	s_delay_alu instid0(VALU_DEP_2) | instskip(NEXT) | instid1(VALU_DEP_2)
	v_add_f64_e32 v[4:5], v[4:5], v[12:13]
	v_add_f64_e32 v[6:7], v[2:3], v[138:139]
	s_delay_alu instid0(VALU_DEP_2) | instskip(NEXT) | instid1(VALU_DEP_2)
	v_add_f64_e64 v[2:3], v[176:177], -v[4:5]
	v_add_f64_e64 v[4:5], v[178:179], -v[6:7]
	scratch_store_b128 off, v[2:5], off offset:224
	s_wait_xcnt 0x0
	v_cmpx_lt_u32_e32 13, v1
	s_cbranch_execz .LBB58_341
; %bb.340:
	scratch_load_b128 v[2:5], off, s62
	v_mov_b32_e32 v10, 0
	s_delay_alu instid0(VALU_DEP_1)
	v_dual_mov_b32 v11, v10 :: v_dual_mov_b32 v12, v10
	v_mov_b32_e32 v13, v10
	scratch_store_b128 off, v[10:13], off offset:208
	s_wait_loadcnt 0x0
	ds_store_b128 v8, v[2:5]
.LBB58_341:
	s_wait_xcnt 0x0
	s_or_b32 exec_lo, exec_lo, s2
	s_wait_storecnt_dscnt 0x0
	s_barrier_signal -1
	s_barrier_wait -1
	s_clause 0x9
	scratch_load_b128 v[4:7], off, off offset:224
	scratch_load_b128 v[10:13], off, off offset:240
	;; [unrolled: 1-line block ×10, first 2 shown]
	v_mov_b32_e32 v2, 0
	s_mov_b32 s2, exec_lo
	ds_load_b128 v[164:167], v2 offset:1168
	s_clause 0x2
	scratch_load_b128 v[168:171], off, off offset:384
	scratch_load_b128 v[172:175], off, off offset:208
	;; [unrolled: 1-line block ×3, first 2 shown]
	s_wait_loadcnt_dscnt 0xc00
	v_mul_f64_e32 v[184:185], v[166:167], v[6:7]
	v_mul_f64_e32 v[188:189], v[164:165], v[6:7]
	ds_load_b128 v[176:179], v2 offset:1184
	v_fma_f64 v[192:193], v[164:165], v[4:5], -v[184:185]
	v_fmac_f64_e32 v[188:189], v[166:167], v[4:5]
	ds_load_b128 v[4:7], v2 offset:1200
	s_wait_loadcnt_dscnt 0xb01
	v_mul_f64_e32 v[190:191], v[176:177], v[12:13]
	v_mul_f64_e32 v[12:13], v[178:179], v[12:13]
	scratch_load_b128 v[164:167], off, off offset:416
	ds_load_b128 v[184:187], v2 offset:1216
	s_wait_loadcnt_dscnt 0xb01
	v_mul_f64_e32 v[194:195], v[4:5], v[134:135]
	v_mul_f64_e32 v[134:135], v[6:7], v[134:135]
	v_add_f64_e32 v[188:189], 0, v[188:189]
	v_fmac_f64_e32 v[190:191], v[178:179], v[10:11]
	v_fma_f64 v[176:177], v[176:177], v[10:11], -v[12:13]
	v_add_f64_e32 v[178:179], 0, v[192:193]
	scratch_load_b128 v[10:13], off, off offset:432
	v_fmac_f64_e32 v[194:195], v[6:7], v[132:133]
	v_fma_f64 v[196:197], v[4:5], v[132:133], -v[134:135]
	ds_load_b128 v[4:7], v2 offset:1232
	s_wait_loadcnt_dscnt 0xb01
	v_mul_f64_e32 v[192:193], v[184:185], v[138:139]
	v_mul_f64_e32 v[138:139], v[186:187], v[138:139]
	scratch_load_b128 v[132:135], off, off offset:448
	v_add_f64_e32 v[188:189], v[188:189], v[190:191]
	v_add_f64_e32 v[198:199], v[178:179], v[176:177]
	ds_load_b128 v[176:179], v2 offset:1248
	s_wait_loadcnt_dscnt 0xb01
	v_mul_f64_e32 v[190:191], v[4:5], v[142:143]
	v_mul_f64_e32 v[142:143], v[6:7], v[142:143]
	v_fmac_f64_e32 v[192:193], v[186:187], v[136:137]
	v_fma_f64 v[184:185], v[184:185], v[136:137], -v[138:139]
	scratch_load_b128 v[136:139], off, off offset:464
	v_add_f64_e32 v[188:189], v[188:189], v[194:195]
	v_add_f64_e32 v[186:187], v[198:199], v[196:197]
	v_fmac_f64_e32 v[190:191], v[6:7], v[140:141]
	v_fma_f64 v[196:197], v[4:5], v[140:141], -v[142:143]
	ds_load_b128 v[4:7], v2 offset:1264
	s_wait_loadcnt_dscnt 0xb01
	v_mul_f64_e32 v[194:195], v[176:177], v[146:147]
	v_mul_f64_e32 v[146:147], v[178:179], v[146:147]
	scratch_load_b128 v[140:143], off, off offset:480
	v_add_f64_e32 v[188:189], v[188:189], v[192:193]
	s_wait_loadcnt_dscnt 0xb00
	v_mul_f64_e32 v[192:193], v[4:5], v[150:151]
	v_add_f64_e32 v[198:199], v[186:187], v[184:185]
	v_mul_f64_e32 v[150:151], v[6:7], v[150:151]
	ds_load_b128 v[184:187], v2 offset:1280
	v_fmac_f64_e32 v[194:195], v[178:179], v[144:145]
	v_fma_f64 v[176:177], v[176:177], v[144:145], -v[146:147]
	scratch_load_b128 v[144:147], off, off offset:496
	v_add_f64_e32 v[188:189], v[188:189], v[190:191]
	v_fmac_f64_e32 v[192:193], v[6:7], v[148:149]
	v_add_f64_e32 v[178:179], v[198:199], v[196:197]
	v_fma_f64 v[196:197], v[4:5], v[148:149], -v[150:151]
	ds_load_b128 v[4:7], v2 offset:1296
	s_wait_loadcnt_dscnt 0xb01
	v_mul_f64_e32 v[190:191], v[184:185], v[154:155]
	v_mul_f64_e32 v[154:155], v[186:187], v[154:155]
	scratch_load_b128 v[148:151], off, off offset:512
	v_add_f64_e32 v[188:189], v[188:189], v[194:195]
	s_wait_loadcnt_dscnt 0xb00
	v_mul_f64_e32 v[194:195], v[4:5], v[158:159]
	v_add_f64_e32 v[198:199], v[178:179], v[176:177]
	v_mul_f64_e32 v[158:159], v[6:7], v[158:159]
	ds_load_b128 v[176:179], v2 offset:1312
	v_fmac_f64_e32 v[190:191], v[186:187], v[152:153]
	v_fma_f64 v[184:185], v[184:185], v[152:153], -v[154:155]
	scratch_load_b128 v[152:155], off, off offset:528
	v_add_f64_e32 v[188:189], v[188:189], v[192:193]
	v_fmac_f64_e32 v[194:195], v[6:7], v[156:157]
	v_add_f64_e32 v[186:187], v[198:199], v[196:197]
	;; [unrolled: 18-line block ×3, first 2 shown]
	v_fma_f64 v[196:197], v[4:5], v[168:169], -v[170:171]
	ds_load_b128 v[4:7], v2 offset:1360
	s_wait_loadcnt_dscnt 0xa01
	v_mul_f64_e32 v[194:195], v[184:185], v[182:183]
	v_mul_f64_e32 v[182:183], v[186:187], v[182:183]
	scratch_load_b128 v[168:171], off, off offset:576
	v_add_f64_e32 v[188:189], v[188:189], v[192:193]
	v_add_f64_e32 v[198:199], v[178:179], v[176:177]
	s_wait_loadcnt_dscnt 0xa00
	v_mul_f64_e32 v[192:193], v[4:5], v[166:167]
	v_mul_f64_e32 v[166:167], v[6:7], v[166:167]
	v_fmac_f64_e32 v[194:195], v[186:187], v[180:181]
	v_fma_f64 v[184:185], v[184:185], v[180:181], -v[182:183]
	ds_load_b128 v[176:179], v2 offset:1376
	scratch_load_b128 v[180:183], off, off offset:592
	v_add_f64_e32 v[188:189], v[188:189], v[190:191]
	v_add_f64_e32 v[186:187], v[198:199], v[196:197]
	v_fmac_f64_e32 v[192:193], v[6:7], v[164:165]
	v_fma_f64 v[196:197], v[4:5], v[164:165], -v[166:167]
	ds_load_b128 v[4:7], v2 offset:1392
	s_wait_loadcnt_dscnt 0xa01
	v_mul_f64_e32 v[190:191], v[176:177], v[12:13]
	v_mul_f64_e32 v[12:13], v[178:179], v[12:13]
	scratch_load_b128 v[164:167], off, off offset:608
	v_add_f64_e32 v[188:189], v[188:189], v[194:195]
	s_wait_loadcnt_dscnt 0xa00
	v_mul_f64_e32 v[194:195], v[4:5], v[134:135]
	v_add_f64_e32 v[198:199], v[186:187], v[184:185]
	v_mul_f64_e32 v[134:135], v[6:7], v[134:135]
	ds_load_b128 v[184:187], v2 offset:1408
	v_fmac_f64_e32 v[190:191], v[178:179], v[10:11]
	v_fma_f64 v[176:177], v[176:177], v[10:11], -v[12:13]
	scratch_load_b128 v[10:13], off, off offset:624
	v_add_f64_e32 v[188:189], v[188:189], v[192:193]
	v_fmac_f64_e32 v[194:195], v[6:7], v[132:133]
	v_add_f64_e32 v[178:179], v[198:199], v[196:197]
	v_fma_f64 v[196:197], v[4:5], v[132:133], -v[134:135]
	ds_load_b128 v[4:7], v2 offset:1424
	s_wait_loadcnt_dscnt 0xa01
	v_mul_f64_e32 v[192:193], v[184:185], v[138:139]
	v_mul_f64_e32 v[138:139], v[186:187], v[138:139]
	scratch_load_b128 v[132:135], off, off offset:640
	v_add_f64_e32 v[188:189], v[188:189], v[190:191]
	s_wait_loadcnt_dscnt 0xa00
	v_mul_f64_e32 v[190:191], v[4:5], v[142:143]
	v_add_f64_e32 v[198:199], v[178:179], v[176:177]
	v_mul_f64_e32 v[142:143], v[6:7], v[142:143]
	ds_load_b128 v[176:179], v2 offset:1440
	v_fmac_f64_e32 v[192:193], v[186:187], v[136:137]
	v_fma_f64 v[184:185], v[184:185], v[136:137], -v[138:139]
	scratch_load_b128 v[136:139], off, off offset:656
	v_add_f64_e32 v[188:189], v[188:189], v[194:195]
	v_fmac_f64_e32 v[190:191], v[6:7], v[140:141]
	v_add_f64_e32 v[186:187], v[198:199], v[196:197]
	;; [unrolled: 18-line block ×10, first 2 shown]
	v_fma_f64 v[196:197], v[4:5], v[156:157], -v[158:159]
	ds_load_b128 v[4:7], v2 offset:1712
	s_wait_loadcnt_dscnt 0xa01
	v_mul_f64_e32 v[192:193], v[176:177], v[162:163]
	v_mul_f64_e32 v[162:163], v[178:179], v[162:163]
	scratch_load_b128 v[156:159], off, off offset:928
	v_add_f64_e32 v[188:189], v[188:189], v[190:191]
	s_wait_loadcnt_dscnt 0xa00
	v_mul_f64_e32 v[190:191], v[4:5], v[170:171]
	v_add_f64_e32 v[198:199], v[186:187], v[184:185]
	v_mul_f64_e32 v[170:171], v[6:7], v[170:171]
	ds_load_b128 v[184:187], v2 offset:1728
	v_fmac_f64_e32 v[192:193], v[178:179], v[160:161]
	v_fma_f64 v[160:161], v[176:177], v[160:161], -v[162:163]
	s_wait_loadcnt_dscnt 0x900
	v_mul_f64_e32 v[178:179], v[184:185], v[182:183]
	v_mul_f64_e32 v[182:183], v[186:187], v[182:183]
	v_add_f64_e32 v[176:177], v[188:189], v[194:195]
	v_fmac_f64_e32 v[190:191], v[6:7], v[168:169]
	v_add_f64_e32 v[162:163], v[198:199], v[196:197]
	v_fma_f64 v[168:169], v[4:5], v[168:169], -v[170:171]
	v_fmac_f64_e32 v[178:179], v[186:187], v[180:181]
	v_fma_f64 v[180:181], v[184:185], v[180:181], -v[182:183]
	v_add_f64_e32 v[176:177], v[176:177], v[192:193]
	v_add_f64_e32 v[170:171], v[162:163], v[160:161]
	ds_load_b128 v[4:7], v2 offset:1744
	ds_load_b128 v[160:163], v2 offset:1760
	s_wait_loadcnt_dscnt 0x801
	v_mul_f64_e32 v[188:189], v[4:5], v[166:167]
	v_mul_f64_e32 v[166:167], v[6:7], v[166:167]
	v_add_f64_e32 v[168:169], v[170:171], v[168:169]
	v_add_f64_e32 v[170:171], v[176:177], v[190:191]
	s_wait_loadcnt_dscnt 0x700
	v_mul_f64_e32 v[176:177], v[160:161], v[12:13]
	v_mul_f64_e32 v[12:13], v[162:163], v[12:13]
	v_fmac_f64_e32 v[188:189], v[6:7], v[164:165]
	v_fma_f64 v[182:183], v[4:5], v[164:165], -v[166:167]
	ds_load_b128 v[4:7], v2 offset:1776
	ds_load_b128 v[164:167], v2 offset:1792
	v_add_f64_e32 v[168:169], v[168:169], v[180:181]
	v_add_f64_e32 v[170:171], v[170:171], v[178:179]
	v_fmac_f64_e32 v[176:177], v[162:163], v[10:11]
	v_fma_f64 v[10:11], v[160:161], v[10:11], -v[12:13]
	s_wait_loadcnt_dscnt 0x601
	v_mul_f64_e32 v[178:179], v[4:5], v[134:135]
	v_mul_f64_e32 v[134:135], v[6:7], v[134:135]
	s_wait_loadcnt_dscnt 0x500
	v_mul_f64_e32 v[162:163], v[164:165], v[138:139]
	v_mul_f64_e32 v[138:139], v[166:167], v[138:139]
	v_add_f64_e32 v[12:13], v[168:169], v[182:183]
	v_add_f64_e32 v[160:161], v[170:171], v[188:189]
	v_fmac_f64_e32 v[178:179], v[6:7], v[132:133]
	v_fma_f64 v[132:133], v[4:5], v[132:133], -v[134:135]
	v_fmac_f64_e32 v[162:163], v[166:167], v[136:137]
	v_fma_f64 v[136:137], v[164:165], v[136:137], -v[138:139]
	v_add_f64_e32 v[134:135], v[12:13], v[10:11]
	v_add_f64_e32 v[160:161], v[160:161], v[176:177]
	ds_load_b128 v[4:7], v2 offset:1808
	ds_load_b128 v[10:13], v2 offset:1824
	s_wait_loadcnt_dscnt 0x401
	v_mul_f64_e32 v[168:169], v[4:5], v[142:143]
	v_mul_f64_e32 v[142:143], v[6:7], v[142:143]
	s_wait_loadcnt_dscnt 0x300
	v_mul_f64_e32 v[138:139], v[10:11], v[146:147]
	v_mul_f64_e32 v[146:147], v[12:13], v[146:147]
	v_add_f64_e32 v[132:133], v[134:135], v[132:133]
	v_add_f64_e32 v[134:135], v[160:161], v[178:179]
	v_fmac_f64_e32 v[168:169], v[6:7], v[140:141]
	v_fma_f64 v[140:141], v[4:5], v[140:141], -v[142:143]
	v_fmac_f64_e32 v[138:139], v[12:13], v[144:145]
	v_fma_f64 v[10:11], v[10:11], v[144:145], -v[146:147]
	v_add_f64_e32 v[136:137], v[132:133], v[136:137]
	v_add_f64_e32 v[142:143], v[134:135], v[162:163]
	ds_load_b128 v[4:7], v2 offset:1840
	ds_load_b128 v[132:135], v2 offset:1856
	s_wait_loadcnt_dscnt 0x201
	v_mul_f64_e32 v[160:161], v[4:5], v[150:151]
	v_mul_f64_e32 v[150:151], v[6:7], v[150:151]
	v_add_f64_e32 v[12:13], v[136:137], v[140:141]
	v_add_f64_e32 v[136:137], v[142:143], v[168:169]
	s_wait_loadcnt_dscnt 0x100
	v_mul_f64_e32 v[140:141], v[132:133], v[154:155]
	v_mul_f64_e32 v[142:143], v[134:135], v[154:155]
	v_fmac_f64_e32 v[160:161], v[6:7], v[148:149]
	v_fma_f64 v[144:145], v[4:5], v[148:149], -v[150:151]
	ds_load_b128 v[4:7], v2 offset:1872
	v_add_f64_e32 v[10:11], v[12:13], v[10:11]
	v_add_f64_e32 v[12:13], v[136:137], v[138:139]
	v_fmac_f64_e32 v[140:141], v[134:135], v[152:153]
	v_fma_f64 v[132:133], v[132:133], v[152:153], -v[142:143]
	s_wait_loadcnt_dscnt 0x0
	v_mul_f64_e32 v[136:137], v[4:5], v[158:159]
	v_mul_f64_e32 v[138:139], v[6:7], v[158:159]
	v_add_f64_e32 v[10:11], v[10:11], v[144:145]
	v_add_f64_e32 v[12:13], v[12:13], v[160:161]
	s_delay_alu instid0(VALU_DEP_4) | instskip(NEXT) | instid1(VALU_DEP_4)
	v_fmac_f64_e32 v[136:137], v[6:7], v[156:157]
	v_fma_f64 v[4:5], v[4:5], v[156:157], -v[138:139]
	s_delay_alu instid0(VALU_DEP_4) | instskip(NEXT) | instid1(VALU_DEP_4)
	v_add_f64_e32 v[6:7], v[10:11], v[132:133]
	v_add_f64_e32 v[10:11], v[12:13], v[140:141]
	s_delay_alu instid0(VALU_DEP_2) | instskip(NEXT) | instid1(VALU_DEP_2)
	v_add_f64_e32 v[4:5], v[6:7], v[4:5]
	v_add_f64_e32 v[6:7], v[10:11], v[136:137]
	s_delay_alu instid0(VALU_DEP_2) | instskip(NEXT) | instid1(VALU_DEP_2)
	v_add_f64_e64 v[4:5], v[172:173], -v[4:5]
	v_add_f64_e64 v[6:7], v[174:175], -v[6:7]
	scratch_store_b128 off, v[4:7], off offset:208
	s_wait_xcnt 0x0
	v_cmpx_lt_u32_e32 12, v1
	s_cbranch_execz .LBB58_343
; %bb.342:
	scratch_load_b128 v[10:13], off, s59
	v_dual_mov_b32 v3, v2 :: v_dual_mov_b32 v4, v2
	v_mov_b32_e32 v5, v2
	scratch_store_b128 off, v[2:5], off offset:192
	s_wait_loadcnt 0x0
	ds_store_b128 v8, v[10:13]
.LBB58_343:
	s_wait_xcnt 0x0
	s_or_b32 exec_lo, exec_lo, s2
	s_wait_storecnt_dscnt 0x0
	s_barrier_signal -1
	s_barrier_wait -1
	s_clause 0x9
	scratch_load_b128 v[4:7], off, off offset:208
	scratch_load_b128 v[10:13], off, off offset:224
	;; [unrolled: 1-line block ×10, first 2 shown]
	ds_load_b128 v[164:167], v2 offset:1152
	ds_load_b128 v[172:175], v2 offset:1168
	s_clause 0x2
	scratch_load_b128 v[168:171], off, off offset:368
	scratch_load_b128 v[176:179], off, off offset:192
	;; [unrolled: 1-line block ×3, first 2 shown]
	s_mov_b32 s2, exec_lo
	s_wait_loadcnt_dscnt 0xc01
	v_mul_f64_e32 v[184:185], v[166:167], v[6:7]
	v_mul_f64_e32 v[188:189], v[164:165], v[6:7]
	s_wait_loadcnt_dscnt 0xb00
	v_mul_f64_e32 v[190:191], v[172:173], v[12:13]
	v_mul_f64_e32 v[12:13], v[174:175], v[12:13]
	s_delay_alu instid0(VALU_DEP_4) | instskip(NEXT) | instid1(VALU_DEP_4)
	v_fma_f64 v[192:193], v[164:165], v[4:5], -v[184:185]
	v_fmac_f64_e32 v[188:189], v[166:167], v[4:5]
	ds_load_b128 v[4:7], v2 offset:1184
	ds_load_b128 v[164:167], v2 offset:1200
	scratch_load_b128 v[184:187], off, off offset:400
	v_fmac_f64_e32 v[190:191], v[174:175], v[10:11]
	v_fma_f64 v[172:173], v[172:173], v[10:11], -v[12:13]
	scratch_load_b128 v[10:13], off, off offset:416
	s_wait_loadcnt_dscnt 0xc01
	v_mul_f64_e32 v[194:195], v[4:5], v[134:135]
	v_mul_f64_e32 v[134:135], v[6:7], v[134:135]
	v_add_f64_e32 v[174:175], 0, v[192:193]
	v_add_f64_e32 v[188:189], 0, v[188:189]
	s_wait_loadcnt_dscnt 0xb00
	v_mul_f64_e32 v[192:193], v[164:165], v[138:139]
	v_mul_f64_e32 v[138:139], v[166:167], v[138:139]
	v_fmac_f64_e32 v[194:195], v[6:7], v[132:133]
	v_fma_f64 v[196:197], v[4:5], v[132:133], -v[134:135]
	ds_load_b128 v[4:7], v2 offset:1216
	ds_load_b128 v[132:135], v2 offset:1232
	v_add_f64_e32 v[198:199], v[174:175], v[172:173]
	v_add_f64_e32 v[188:189], v[188:189], v[190:191]
	scratch_load_b128 v[172:175], off, off offset:432
	v_fmac_f64_e32 v[192:193], v[166:167], v[136:137]
	v_fma_f64 v[164:165], v[164:165], v[136:137], -v[138:139]
	scratch_load_b128 v[136:139], off, off offset:448
	s_wait_loadcnt_dscnt 0xc01
	v_mul_f64_e32 v[190:191], v[4:5], v[142:143]
	v_mul_f64_e32 v[142:143], v[6:7], v[142:143]
	v_add_f64_e32 v[166:167], v[198:199], v[196:197]
	v_add_f64_e32 v[188:189], v[188:189], v[194:195]
	s_wait_loadcnt_dscnt 0xb00
	v_mul_f64_e32 v[194:195], v[132:133], v[146:147]
	v_mul_f64_e32 v[146:147], v[134:135], v[146:147]
	v_fmac_f64_e32 v[190:191], v[6:7], v[140:141]
	v_fma_f64 v[196:197], v[4:5], v[140:141], -v[142:143]
	ds_load_b128 v[4:7], v2 offset:1248
	ds_load_b128 v[140:143], v2 offset:1264
	v_add_f64_e32 v[198:199], v[166:167], v[164:165]
	v_add_f64_e32 v[188:189], v[188:189], v[192:193]
	scratch_load_b128 v[164:167], off, off offset:464
	s_wait_loadcnt_dscnt 0xb01
	v_mul_f64_e32 v[192:193], v[4:5], v[150:151]
	v_mul_f64_e32 v[150:151], v[6:7], v[150:151]
	v_fmac_f64_e32 v[194:195], v[134:135], v[144:145]
	v_fma_f64 v[144:145], v[132:133], v[144:145], -v[146:147]
	scratch_load_b128 v[132:135], off, off offset:480
	v_add_f64_e32 v[146:147], v[198:199], v[196:197]
	v_add_f64_e32 v[188:189], v[188:189], v[190:191]
	s_wait_loadcnt_dscnt 0xb00
	v_mul_f64_e32 v[190:191], v[140:141], v[154:155]
	v_mul_f64_e32 v[154:155], v[142:143], v[154:155]
	v_fmac_f64_e32 v[192:193], v[6:7], v[148:149]
	v_fma_f64 v[196:197], v[4:5], v[148:149], -v[150:151]
	v_add_f64_e32 v[198:199], v[146:147], v[144:145]
	v_add_f64_e32 v[188:189], v[188:189], v[194:195]
	ds_load_b128 v[4:7], v2 offset:1280
	ds_load_b128 v[144:147], v2 offset:1296
	scratch_load_b128 v[148:151], off, off offset:496
	v_fmac_f64_e32 v[190:191], v[142:143], v[152:153]
	v_fma_f64 v[152:153], v[140:141], v[152:153], -v[154:155]
	scratch_load_b128 v[140:143], off, off offset:512
	s_wait_loadcnt_dscnt 0xc01
	v_mul_f64_e32 v[194:195], v[4:5], v[158:159]
	v_mul_f64_e32 v[158:159], v[6:7], v[158:159]
	v_add_f64_e32 v[154:155], v[198:199], v[196:197]
	v_add_f64_e32 v[188:189], v[188:189], v[192:193]
	s_wait_loadcnt_dscnt 0xb00
	v_mul_f64_e32 v[192:193], v[144:145], v[162:163]
	v_mul_f64_e32 v[162:163], v[146:147], v[162:163]
	v_fmac_f64_e32 v[194:195], v[6:7], v[156:157]
	v_fma_f64 v[196:197], v[4:5], v[156:157], -v[158:159]
	v_add_f64_e32 v[198:199], v[154:155], v[152:153]
	v_add_f64_e32 v[188:189], v[188:189], v[190:191]
	ds_load_b128 v[4:7], v2 offset:1312
	ds_load_b128 v[152:155], v2 offset:1328
	scratch_load_b128 v[156:159], off, off offset:528
	v_fmac_f64_e32 v[192:193], v[146:147], v[160:161]
	v_fma_f64 v[160:161], v[144:145], v[160:161], -v[162:163]
	scratch_load_b128 v[144:147], off, off offset:544
	s_wait_loadcnt_dscnt 0xc01
	v_mul_f64_e32 v[190:191], v[4:5], v[170:171]
	v_mul_f64_e32 v[170:171], v[6:7], v[170:171]
	;; [unrolled: 18-line block ×5, first 2 shown]
	v_add_f64_e32 v[182:183], v[198:199], v[196:197]
	v_add_f64_e32 v[188:189], v[188:189], v[194:195]
	s_wait_loadcnt_dscnt 0xa00
	v_mul_f64_e32 v[194:195], v[160:161], v[134:135]
	v_mul_f64_e32 v[134:135], v[162:163], v[134:135]
	v_fmac_f64_e32 v[190:191], v[6:7], v[164:165]
	v_fma_f64 v[196:197], v[4:5], v[164:165], -v[166:167]
	ds_load_b128 v[4:7], v2 offset:1440
	ds_load_b128 v[164:167], v2 offset:1456
	v_add_f64_e32 v[198:199], v[182:183], v[180:181]
	v_add_f64_e32 v[188:189], v[188:189], v[192:193]
	scratch_load_b128 v[180:183], off, off offset:656
	v_fmac_f64_e32 v[194:195], v[162:163], v[132:133]
	v_fma_f64 v[160:161], v[160:161], v[132:133], -v[134:135]
	scratch_load_b128 v[132:135], off, off offset:672
	s_wait_loadcnt_dscnt 0xb01
	v_mul_f64_e32 v[192:193], v[4:5], v[150:151]
	v_mul_f64_e32 v[150:151], v[6:7], v[150:151]
	v_add_f64_e32 v[162:163], v[198:199], v[196:197]
	v_add_f64_e32 v[188:189], v[188:189], v[190:191]
	s_wait_loadcnt_dscnt 0xa00
	v_mul_f64_e32 v[190:191], v[164:165], v[142:143]
	v_mul_f64_e32 v[142:143], v[166:167], v[142:143]
	v_fmac_f64_e32 v[192:193], v[6:7], v[148:149]
	v_fma_f64 v[196:197], v[4:5], v[148:149], -v[150:151]
	ds_load_b128 v[4:7], v2 offset:1472
	ds_load_b128 v[148:151], v2 offset:1488
	v_add_f64_e32 v[198:199], v[162:163], v[160:161]
	v_add_f64_e32 v[188:189], v[188:189], v[194:195]
	scratch_load_b128 v[160:163], off, off offset:688
	s_wait_loadcnt_dscnt 0xa01
	v_mul_f64_e32 v[194:195], v[4:5], v[158:159]
	v_mul_f64_e32 v[158:159], v[6:7], v[158:159]
	v_fmac_f64_e32 v[190:191], v[166:167], v[140:141]
	v_fma_f64 v[164:165], v[164:165], v[140:141], -v[142:143]
	scratch_load_b128 v[140:143], off, off offset:704
	v_add_f64_e32 v[166:167], v[198:199], v[196:197]
	v_add_f64_e32 v[188:189], v[188:189], v[192:193]
	s_wait_loadcnt_dscnt 0xa00
	v_mul_f64_e32 v[192:193], v[148:149], v[146:147]
	v_mul_f64_e32 v[146:147], v[150:151], v[146:147]
	v_fmac_f64_e32 v[194:195], v[6:7], v[156:157]
	v_fma_f64 v[196:197], v[4:5], v[156:157], -v[158:159]
	ds_load_b128 v[4:7], v2 offset:1504
	ds_load_b128 v[156:159], v2 offset:1520
	v_add_f64_e32 v[198:199], v[166:167], v[164:165]
	v_add_f64_e32 v[188:189], v[188:189], v[190:191]
	scratch_load_b128 v[164:167], off, off offset:720
	s_wait_loadcnt_dscnt 0xa01
	v_mul_f64_e32 v[190:191], v[4:5], v[170:171]
	v_mul_f64_e32 v[170:171], v[6:7], v[170:171]
	v_fmac_f64_e32 v[192:193], v[150:151], v[144:145]
	v_fma_f64 v[148:149], v[148:149], v[144:145], -v[146:147]
	scratch_load_b128 v[144:147], off, off offset:736
	v_add_f64_e32 v[150:151], v[198:199], v[196:197]
	v_add_f64_e32 v[188:189], v[188:189], v[194:195]
	s_wait_loadcnt_dscnt 0xa00
	v_mul_f64_e32 v[194:195], v[156:157], v[154:155]
	v_mul_f64_e32 v[154:155], v[158:159], v[154:155]
	v_fmac_f64_e32 v[190:191], v[6:7], v[168:169]
	v_fma_f64 v[196:197], v[4:5], v[168:169], -v[170:171]
	v_add_f64_e32 v[198:199], v[150:151], v[148:149]
	v_add_f64_e32 v[188:189], v[188:189], v[192:193]
	ds_load_b128 v[4:7], v2 offset:1536
	ds_load_b128 v[148:151], v2 offset:1552
	scratch_load_b128 v[168:171], off, off offset:752
	v_fmac_f64_e32 v[194:195], v[158:159], v[152:153]
	v_fma_f64 v[156:157], v[156:157], v[152:153], -v[154:155]
	scratch_load_b128 v[152:155], off, off offset:768
	s_wait_loadcnt_dscnt 0xb01
	v_mul_f64_e32 v[192:193], v[4:5], v[186:187]
	v_mul_f64_e32 v[186:187], v[6:7], v[186:187]
	v_add_f64_e32 v[158:159], v[198:199], v[196:197]
	v_add_f64_e32 v[188:189], v[188:189], v[190:191]
	s_wait_loadcnt_dscnt 0xa00
	v_mul_f64_e32 v[190:191], v[148:149], v[12:13]
	v_mul_f64_e32 v[12:13], v[150:151], v[12:13]
	v_fmac_f64_e32 v[192:193], v[6:7], v[184:185]
	v_fma_f64 v[196:197], v[4:5], v[184:185], -v[186:187]
	v_add_f64_e32 v[198:199], v[158:159], v[156:157]
	v_add_f64_e32 v[188:189], v[188:189], v[194:195]
	ds_load_b128 v[4:7], v2 offset:1568
	ds_load_b128 v[156:159], v2 offset:1584
	scratch_load_b128 v[184:187], off, off offset:784
	v_fmac_f64_e32 v[190:191], v[150:151], v[10:11]
	v_fma_f64 v[148:149], v[148:149], v[10:11], -v[12:13]
	scratch_load_b128 v[10:13], off, off offset:800
	s_wait_loadcnt_dscnt 0xb01
	v_mul_f64_e32 v[194:195], v[4:5], v[174:175]
	v_mul_f64_e32 v[174:175], v[6:7], v[174:175]
	;; [unrolled: 18-line block ×6, first 2 shown]
	v_add_f64_e32 v[150:151], v[198:199], v[196:197]
	v_add_f64_e32 v[188:189], v[188:189], v[194:195]
	s_wait_loadcnt_dscnt 0xa00
	v_mul_f64_e32 v[194:195], v[156:157], v[154:155]
	v_mul_f64_e32 v[154:155], v[158:159], v[154:155]
	v_fmac_f64_e32 v[190:191], v[6:7], v[168:169]
	v_fma_f64 v[168:169], v[4:5], v[168:169], -v[170:171]
	v_add_f64_e32 v[170:171], v[150:151], v[148:149]
	v_add_f64_e32 v[188:189], v[188:189], v[192:193]
	ds_load_b128 v[4:7], v2 offset:1728
	ds_load_b128 v[148:151], v2 offset:1744
	v_fmac_f64_e32 v[194:195], v[158:159], v[152:153]
	v_fma_f64 v[152:153], v[156:157], v[152:153], -v[154:155]
	s_wait_loadcnt_dscnt 0x901
	v_mul_f64_e32 v[192:193], v[4:5], v[186:187]
	v_mul_f64_e32 v[186:187], v[6:7], v[186:187]
	s_wait_loadcnt_dscnt 0x800
	v_mul_f64_e32 v[158:159], v[148:149], v[12:13]
	v_mul_f64_e32 v[12:13], v[150:151], v[12:13]
	v_add_f64_e32 v[154:155], v[170:171], v[168:169]
	v_add_f64_e32 v[156:157], v[188:189], v[190:191]
	v_fmac_f64_e32 v[192:193], v[6:7], v[184:185]
	v_fma_f64 v[168:169], v[4:5], v[184:185], -v[186:187]
	v_fmac_f64_e32 v[158:159], v[150:151], v[10:11]
	v_fma_f64 v[10:11], v[148:149], v[10:11], -v[12:13]
	v_add_f64_e32 v[170:171], v[154:155], v[152:153]
	v_add_f64_e32 v[156:157], v[156:157], v[194:195]
	ds_load_b128 v[4:7], v2 offset:1760
	ds_load_b128 v[152:155], v2 offset:1776
	s_wait_loadcnt_dscnt 0x701
	v_mul_f64_e32 v[184:185], v[4:5], v[174:175]
	v_mul_f64_e32 v[174:175], v[6:7], v[174:175]
	s_wait_loadcnt_dscnt 0x600
	v_mul_f64_e32 v[150:151], v[152:153], v[138:139]
	v_mul_f64_e32 v[138:139], v[154:155], v[138:139]
	v_add_f64_e32 v[12:13], v[170:171], v[168:169]
	v_add_f64_e32 v[148:149], v[156:157], v[192:193]
	v_fmac_f64_e32 v[184:185], v[6:7], v[172:173]
	v_fma_f64 v[156:157], v[4:5], v[172:173], -v[174:175]
	v_fmac_f64_e32 v[150:151], v[154:155], v[136:137]
	v_fma_f64 v[136:137], v[152:153], v[136:137], -v[138:139]
	v_add_f64_e32 v[168:169], v[12:13], v[10:11]
	v_add_f64_e32 v[148:149], v[148:149], v[158:159]
	ds_load_b128 v[4:7], v2 offset:1792
	ds_load_b128 v[10:13], v2 offset:1808
	;; [unrolled: 16-line block ×3, first 2 shown]
	s_wait_loadcnt_dscnt 0x301
	v_mul_f64_e32 v[150:151], v[4:5], v[162:163]
	v_mul_f64_e32 v[162:163], v[6:7], v[162:163]
	v_add_f64_e32 v[12:13], v[138:139], v[156:157]
	v_add_f64_e32 v[132:133], v[148:149], v[158:159]
	s_wait_loadcnt_dscnt 0x200
	v_mul_f64_e32 v[138:139], v[134:135], v[142:143]
	v_mul_f64_e32 v[142:143], v[136:137], v[142:143]
	v_fmac_f64_e32 v[150:151], v[6:7], v[160:161]
	v_fma_f64 v[148:149], v[4:5], v[160:161], -v[162:163]
	v_add_f64_e32 v[154:155], v[12:13], v[10:11]
	v_add_f64_e32 v[132:133], v[132:133], v[152:153]
	ds_load_b128 v[4:7], v2 offset:1856
	ds_load_b128 v[10:13], v2 offset:1872
	v_fmac_f64_e32 v[138:139], v[136:137], v[140:141]
	v_fma_f64 v[134:135], v[134:135], v[140:141], -v[142:143]
	s_wait_loadcnt_dscnt 0x101
	v_mul_f64_e32 v[2:3], v[4:5], v[166:167]
	v_mul_f64_e32 v[152:153], v[6:7], v[166:167]
	s_wait_loadcnt_dscnt 0x0
	v_mul_f64_e32 v[140:141], v[10:11], v[146:147]
	v_mul_f64_e32 v[142:143], v[12:13], v[146:147]
	v_add_f64_e32 v[136:137], v[154:155], v[148:149]
	v_add_f64_e32 v[132:133], v[132:133], v[150:151]
	v_fmac_f64_e32 v[2:3], v[6:7], v[164:165]
	v_fma_f64 v[4:5], v[4:5], v[164:165], -v[152:153]
	v_fmac_f64_e32 v[140:141], v[12:13], v[144:145]
	v_fma_f64 v[10:11], v[10:11], v[144:145], -v[142:143]
	v_add_f64_e32 v[6:7], v[136:137], v[134:135]
	v_add_f64_e32 v[132:133], v[132:133], v[138:139]
	s_delay_alu instid0(VALU_DEP_2) | instskip(NEXT) | instid1(VALU_DEP_2)
	v_add_f64_e32 v[4:5], v[6:7], v[4:5]
	v_add_f64_e32 v[2:3], v[132:133], v[2:3]
	s_delay_alu instid0(VALU_DEP_2) | instskip(NEXT) | instid1(VALU_DEP_2)
	;; [unrolled: 3-line block ×3, first 2 shown]
	v_add_f64_e64 v[2:3], v[176:177], -v[4:5]
	v_add_f64_e64 v[4:5], v[178:179], -v[6:7]
	scratch_store_b128 off, v[2:5], off offset:192
	s_wait_xcnt 0x0
	v_cmpx_lt_u32_e32 11, v1
	s_cbranch_execz .LBB58_345
; %bb.344:
	scratch_load_b128 v[2:5], off, s57
	v_mov_b32_e32 v10, 0
	s_delay_alu instid0(VALU_DEP_1)
	v_dual_mov_b32 v11, v10 :: v_dual_mov_b32 v12, v10
	v_mov_b32_e32 v13, v10
	scratch_store_b128 off, v[10:13], off offset:176
	s_wait_loadcnt 0x0
	ds_store_b128 v8, v[2:5]
.LBB58_345:
	s_wait_xcnt 0x0
	s_or_b32 exec_lo, exec_lo, s2
	s_wait_storecnt_dscnt 0x0
	s_barrier_signal -1
	s_barrier_wait -1
	s_clause 0x9
	scratch_load_b128 v[4:7], off, off offset:192
	scratch_load_b128 v[10:13], off, off offset:208
	;; [unrolled: 1-line block ×10, first 2 shown]
	v_mov_b32_e32 v2, 0
	s_mov_b32 s2, exec_lo
	ds_load_b128 v[164:167], v2 offset:1136
	s_clause 0x2
	scratch_load_b128 v[168:171], off, off offset:352
	scratch_load_b128 v[172:175], off, off offset:176
	;; [unrolled: 1-line block ×3, first 2 shown]
	s_wait_loadcnt_dscnt 0xc00
	v_mul_f64_e32 v[184:185], v[166:167], v[6:7]
	v_mul_f64_e32 v[188:189], v[164:165], v[6:7]
	ds_load_b128 v[176:179], v2 offset:1152
	v_fma_f64 v[192:193], v[164:165], v[4:5], -v[184:185]
	v_fmac_f64_e32 v[188:189], v[166:167], v[4:5]
	ds_load_b128 v[4:7], v2 offset:1168
	s_wait_loadcnt_dscnt 0xb01
	v_mul_f64_e32 v[190:191], v[176:177], v[12:13]
	v_mul_f64_e32 v[12:13], v[178:179], v[12:13]
	scratch_load_b128 v[164:167], off, off offset:384
	ds_load_b128 v[184:187], v2 offset:1184
	s_wait_loadcnt_dscnt 0xb01
	v_mul_f64_e32 v[194:195], v[4:5], v[134:135]
	v_mul_f64_e32 v[134:135], v[6:7], v[134:135]
	v_add_f64_e32 v[188:189], 0, v[188:189]
	v_fmac_f64_e32 v[190:191], v[178:179], v[10:11]
	v_fma_f64 v[176:177], v[176:177], v[10:11], -v[12:13]
	v_add_f64_e32 v[178:179], 0, v[192:193]
	scratch_load_b128 v[10:13], off, off offset:400
	v_fmac_f64_e32 v[194:195], v[6:7], v[132:133]
	v_fma_f64 v[196:197], v[4:5], v[132:133], -v[134:135]
	ds_load_b128 v[4:7], v2 offset:1200
	s_wait_loadcnt_dscnt 0xb01
	v_mul_f64_e32 v[192:193], v[184:185], v[138:139]
	v_mul_f64_e32 v[138:139], v[186:187], v[138:139]
	scratch_load_b128 v[132:135], off, off offset:416
	v_add_f64_e32 v[188:189], v[188:189], v[190:191]
	v_add_f64_e32 v[198:199], v[178:179], v[176:177]
	ds_load_b128 v[176:179], v2 offset:1216
	s_wait_loadcnt_dscnt 0xb01
	v_mul_f64_e32 v[190:191], v[4:5], v[142:143]
	v_mul_f64_e32 v[142:143], v[6:7], v[142:143]
	v_fmac_f64_e32 v[192:193], v[186:187], v[136:137]
	v_fma_f64 v[184:185], v[184:185], v[136:137], -v[138:139]
	scratch_load_b128 v[136:139], off, off offset:432
	v_add_f64_e32 v[188:189], v[188:189], v[194:195]
	v_add_f64_e32 v[186:187], v[198:199], v[196:197]
	v_fmac_f64_e32 v[190:191], v[6:7], v[140:141]
	v_fma_f64 v[196:197], v[4:5], v[140:141], -v[142:143]
	ds_load_b128 v[4:7], v2 offset:1232
	s_wait_loadcnt_dscnt 0xb01
	v_mul_f64_e32 v[194:195], v[176:177], v[146:147]
	v_mul_f64_e32 v[146:147], v[178:179], v[146:147]
	scratch_load_b128 v[140:143], off, off offset:448
	v_add_f64_e32 v[188:189], v[188:189], v[192:193]
	s_wait_loadcnt_dscnt 0xb00
	v_mul_f64_e32 v[192:193], v[4:5], v[150:151]
	v_add_f64_e32 v[198:199], v[186:187], v[184:185]
	v_mul_f64_e32 v[150:151], v[6:7], v[150:151]
	ds_load_b128 v[184:187], v2 offset:1248
	v_fmac_f64_e32 v[194:195], v[178:179], v[144:145]
	v_fma_f64 v[176:177], v[176:177], v[144:145], -v[146:147]
	scratch_load_b128 v[144:147], off, off offset:464
	v_add_f64_e32 v[188:189], v[188:189], v[190:191]
	v_fmac_f64_e32 v[192:193], v[6:7], v[148:149]
	v_add_f64_e32 v[178:179], v[198:199], v[196:197]
	v_fma_f64 v[196:197], v[4:5], v[148:149], -v[150:151]
	ds_load_b128 v[4:7], v2 offset:1264
	s_wait_loadcnt_dscnt 0xb01
	v_mul_f64_e32 v[190:191], v[184:185], v[154:155]
	v_mul_f64_e32 v[154:155], v[186:187], v[154:155]
	scratch_load_b128 v[148:151], off, off offset:480
	v_add_f64_e32 v[188:189], v[188:189], v[194:195]
	s_wait_loadcnt_dscnt 0xb00
	v_mul_f64_e32 v[194:195], v[4:5], v[158:159]
	v_add_f64_e32 v[198:199], v[178:179], v[176:177]
	v_mul_f64_e32 v[158:159], v[6:7], v[158:159]
	ds_load_b128 v[176:179], v2 offset:1280
	v_fmac_f64_e32 v[190:191], v[186:187], v[152:153]
	v_fma_f64 v[184:185], v[184:185], v[152:153], -v[154:155]
	scratch_load_b128 v[152:155], off, off offset:496
	v_add_f64_e32 v[188:189], v[188:189], v[192:193]
	v_fmac_f64_e32 v[194:195], v[6:7], v[156:157]
	v_add_f64_e32 v[186:187], v[198:199], v[196:197]
	;; [unrolled: 18-line block ×3, first 2 shown]
	v_fma_f64 v[196:197], v[4:5], v[168:169], -v[170:171]
	ds_load_b128 v[4:7], v2 offset:1328
	s_wait_loadcnt_dscnt 0xa01
	v_mul_f64_e32 v[194:195], v[184:185], v[182:183]
	v_mul_f64_e32 v[182:183], v[186:187], v[182:183]
	scratch_load_b128 v[168:171], off, off offset:544
	v_add_f64_e32 v[188:189], v[188:189], v[192:193]
	v_add_f64_e32 v[198:199], v[178:179], v[176:177]
	s_wait_loadcnt_dscnt 0xa00
	v_mul_f64_e32 v[192:193], v[4:5], v[166:167]
	v_mul_f64_e32 v[166:167], v[6:7], v[166:167]
	v_fmac_f64_e32 v[194:195], v[186:187], v[180:181]
	v_fma_f64 v[184:185], v[184:185], v[180:181], -v[182:183]
	ds_load_b128 v[176:179], v2 offset:1344
	scratch_load_b128 v[180:183], off, off offset:560
	v_add_f64_e32 v[188:189], v[188:189], v[190:191]
	v_add_f64_e32 v[186:187], v[198:199], v[196:197]
	v_fmac_f64_e32 v[192:193], v[6:7], v[164:165]
	v_fma_f64 v[196:197], v[4:5], v[164:165], -v[166:167]
	ds_load_b128 v[4:7], v2 offset:1360
	s_wait_loadcnt_dscnt 0xa01
	v_mul_f64_e32 v[190:191], v[176:177], v[12:13]
	v_mul_f64_e32 v[12:13], v[178:179], v[12:13]
	scratch_load_b128 v[164:167], off, off offset:576
	v_add_f64_e32 v[188:189], v[188:189], v[194:195]
	s_wait_loadcnt_dscnt 0xa00
	v_mul_f64_e32 v[194:195], v[4:5], v[134:135]
	v_add_f64_e32 v[198:199], v[186:187], v[184:185]
	v_mul_f64_e32 v[134:135], v[6:7], v[134:135]
	ds_load_b128 v[184:187], v2 offset:1376
	v_fmac_f64_e32 v[190:191], v[178:179], v[10:11]
	v_fma_f64 v[176:177], v[176:177], v[10:11], -v[12:13]
	scratch_load_b128 v[10:13], off, off offset:592
	v_add_f64_e32 v[188:189], v[188:189], v[192:193]
	v_fmac_f64_e32 v[194:195], v[6:7], v[132:133]
	v_add_f64_e32 v[178:179], v[198:199], v[196:197]
	v_fma_f64 v[196:197], v[4:5], v[132:133], -v[134:135]
	ds_load_b128 v[4:7], v2 offset:1392
	s_wait_loadcnt_dscnt 0xa01
	v_mul_f64_e32 v[192:193], v[184:185], v[138:139]
	v_mul_f64_e32 v[138:139], v[186:187], v[138:139]
	scratch_load_b128 v[132:135], off, off offset:608
	v_add_f64_e32 v[188:189], v[188:189], v[190:191]
	s_wait_loadcnt_dscnt 0xa00
	v_mul_f64_e32 v[190:191], v[4:5], v[142:143]
	v_add_f64_e32 v[198:199], v[178:179], v[176:177]
	v_mul_f64_e32 v[142:143], v[6:7], v[142:143]
	ds_load_b128 v[176:179], v2 offset:1408
	v_fmac_f64_e32 v[192:193], v[186:187], v[136:137]
	v_fma_f64 v[184:185], v[184:185], v[136:137], -v[138:139]
	scratch_load_b128 v[136:139], off, off offset:624
	v_add_f64_e32 v[188:189], v[188:189], v[194:195]
	v_fmac_f64_e32 v[190:191], v[6:7], v[140:141]
	v_add_f64_e32 v[186:187], v[198:199], v[196:197]
	;; [unrolled: 18-line block ×11, first 2 shown]
	v_fma_f64 v[196:197], v[4:5], v[168:169], -v[170:171]
	ds_load_b128 v[4:7], v2 offset:1712
	s_wait_loadcnt_dscnt 0xa01
	v_mul_f64_e32 v[194:195], v[184:185], v[182:183]
	v_mul_f64_e32 v[182:183], v[186:187], v[182:183]
	scratch_load_b128 v[168:171], off, off offset:928
	v_add_f64_e32 v[188:189], v[188:189], v[192:193]
	s_wait_loadcnt_dscnt 0xa00
	v_mul_f64_e32 v[192:193], v[4:5], v[166:167]
	v_add_f64_e32 v[198:199], v[178:179], v[176:177]
	v_mul_f64_e32 v[166:167], v[6:7], v[166:167]
	ds_load_b128 v[176:179], v2 offset:1728
	v_fmac_f64_e32 v[194:195], v[186:187], v[180:181]
	v_fma_f64 v[180:181], v[184:185], v[180:181], -v[182:183]
	s_wait_loadcnt_dscnt 0x900
	v_mul_f64_e32 v[186:187], v[176:177], v[12:13]
	v_mul_f64_e32 v[12:13], v[178:179], v[12:13]
	v_add_f64_e32 v[184:185], v[188:189], v[190:191]
	v_fmac_f64_e32 v[192:193], v[6:7], v[164:165]
	v_add_f64_e32 v[182:183], v[198:199], v[196:197]
	v_fma_f64 v[188:189], v[4:5], v[164:165], -v[166:167]
	ds_load_b128 v[4:7], v2 offset:1744
	ds_load_b128 v[164:167], v2 offset:1760
	v_fmac_f64_e32 v[186:187], v[178:179], v[10:11]
	v_fma_f64 v[10:11], v[176:177], v[10:11], -v[12:13]
	v_add_f64_e32 v[180:181], v[182:183], v[180:181]
	v_add_f64_e32 v[182:183], v[184:185], v[194:195]
	s_wait_loadcnt_dscnt 0x801
	v_mul_f64_e32 v[184:185], v[4:5], v[134:135]
	v_mul_f64_e32 v[134:135], v[6:7], v[134:135]
	s_wait_loadcnt_dscnt 0x700
	v_mul_f64_e32 v[178:179], v[164:165], v[138:139]
	v_mul_f64_e32 v[138:139], v[166:167], v[138:139]
	v_add_f64_e32 v[12:13], v[180:181], v[188:189]
	v_add_f64_e32 v[176:177], v[182:183], v[192:193]
	v_fmac_f64_e32 v[184:185], v[6:7], v[132:133]
	v_fma_f64 v[132:133], v[4:5], v[132:133], -v[134:135]
	v_fmac_f64_e32 v[178:179], v[166:167], v[136:137]
	v_fma_f64 v[136:137], v[164:165], v[136:137], -v[138:139]
	v_add_f64_e32 v[134:135], v[12:13], v[10:11]
	v_add_f64_e32 v[176:177], v[176:177], v[186:187]
	ds_load_b128 v[4:7], v2 offset:1776
	ds_load_b128 v[10:13], v2 offset:1792
	s_wait_loadcnt_dscnt 0x601
	v_mul_f64_e32 v[180:181], v[4:5], v[142:143]
	v_mul_f64_e32 v[142:143], v[6:7], v[142:143]
	s_wait_loadcnt_dscnt 0x500
	v_mul_f64_e32 v[138:139], v[10:11], v[146:147]
	v_mul_f64_e32 v[146:147], v[12:13], v[146:147]
	v_add_f64_e32 v[132:133], v[134:135], v[132:133]
	v_add_f64_e32 v[134:135], v[176:177], v[184:185]
	v_fmac_f64_e32 v[180:181], v[6:7], v[140:141]
	v_fma_f64 v[140:141], v[4:5], v[140:141], -v[142:143]
	v_fmac_f64_e32 v[138:139], v[12:13], v[144:145]
	v_fma_f64 v[10:11], v[10:11], v[144:145], -v[146:147]
	v_add_f64_e32 v[136:137], v[132:133], v[136:137]
	v_add_f64_e32 v[142:143], v[134:135], v[178:179]
	ds_load_b128 v[4:7], v2 offset:1808
	ds_load_b128 v[132:135], v2 offset:1824
	s_wait_loadcnt_dscnt 0x401
	v_mul_f64_e32 v[164:165], v[4:5], v[150:151]
	v_mul_f64_e32 v[150:151], v[6:7], v[150:151]
	v_add_f64_e32 v[12:13], v[136:137], v[140:141]
	v_add_f64_e32 v[136:137], v[142:143], v[180:181]
	s_wait_loadcnt_dscnt 0x300
	v_mul_f64_e32 v[140:141], v[132:133], v[154:155]
	v_mul_f64_e32 v[142:143], v[134:135], v[154:155]
	v_fmac_f64_e32 v[164:165], v[6:7], v[148:149]
	v_fma_f64 v[144:145], v[4:5], v[148:149], -v[150:151]
	v_add_f64_e32 v[146:147], v[12:13], v[10:11]
	v_add_f64_e32 v[136:137], v[136:137], v[138:139]
	ds_load_b128 v[4:7], v2 offset:1840
	ds_load_b128 v[10:13], v2 offset:1856
	v_fmac_f64_e32 v[140:141], v[134:135], v[152:153]
	v_fma_f64 v[132:133], v[132:133], v[152:153], -v[142:143]
	s_wait_loadcnt_dscnt 0x201
	v_mul_f64_e32 v[138:139], v[4:5], v[158:159]
	v_mul_f64_e32 v[148:149], v[6:7], v[158:159]
	s_wait_loadcnt_dscnt 0x100
	v_mul_f64_e32 v[142:143], v[10:11], v[162:163]
	v_add_f64_e32 v[134:135], v[146:147], v[144:145]
	v_add_f64_e32 v[136:137], v[136:137], v[164:165]
	v_mul_f64_e32 v[144:145], v[12:13], v[162:163]
	v_fmac_f64_e32 v[138:139], v[6:7], v[156:157]
	v_fma_f64 v[146:147], v[4:5], v[156:157], -v[148:149]
	ds_load_b128 v[4:7], v2 offset:1872
	v_fmac_f64_e32 v[142:143], v[12:13], v[160:161]
	v_add_f64_e32 v[132:133], v[134:135], v[132:133]
	v_add_f64_e32 v[134:135], v[136:137], v[140:141]
	v_fma_f64 v[10:11], v[10:11], v[160:161], -v[144:145]
	s_wait_loadcnt_dscnt 0x0
	v_mul_f64_e32 v[136:137], v[4:5], v[170:171]
	v_mul_f64_e32 v[140:141], v[6:7], v[170:171]
	v_add_f64_e32 v[12:13], v[132:133], v[146:147]
	v_add_f64_e32 v[132:133], v[134:135], v[138:139]
	s_delay_alu instid0(VALU_DEP_4) | instskip(NEXT) | instid1(VALU_DEP_4)
	v_fmac_f64_e32 v[136:137], v[6:7], v[168:169]
	v_fma_f64 v[4:5], v[4:5], v[168:169], -v[140:141]
	s_delay_alu instid0(VALU_DEP_4) | instskip(NEXT) | instid1(VALU_DEP_4)
	v_add_f64_e32 v[6:7], v[12:13], v[10:11]
	v_add_f64_e32 v[10:11], v[132:133], v[142:143]
	s_delay_alu instid0(VALU_DEP_2) | instskip(NEXT) | instid1(VALU_DEP_2)
	v_add_f64_e32 v[4:5], v[6:7], v[4:5]
	v_add_f64_e32 v[6:7], v[10:11], v[136:137]
	s_delay_alu instid0(VALU_DEP_2) | instskip(NEXT) | instid1(VALU_DEP_2)
	v_add_f64_e64 v[4:5], v[172:173], -v[4:5]
	v_add_f64_e64 v[6:7], v[174:175], -v[6:7]
	scratch_store_b128 off, v[4:7], off offset:176
	s_wait_xcnt 0x0
	v_cmpx_lt_u32_e32 10, v1
	s_cbranch_execz .LBB58_347
; %bb.346:
	scratch_load_b128 v[10:13], off, s55
	v_dual_mov_b32 v3, v2 :: v_dual_mov_b32 v4, v2
	v_mov_b32_e32 v5, v2
	scratch_store_b128 off, v[2:5], off offset:160
	s_wait_loadcnt 0x0
	ds_store_b128 v8, v[10:13]
.LBB58_347:
	s_wait_xcnt 0x0
	s_or_b32 exec_lo, exec_lo, s2
	s_wait_storecnt_dscnt 0x0
	s_barrier_signal -1
	s_barrier_wait -1
	s_clause 0x9
	scratch_load_b128 v[4:7], off, off offset:176
	scratch_load_b128 v[10:13], off, off offset:192
	;; [unrolled: 1-line block ×10, first 2 shown]
	ds_load_b128 v[164:167], v2 offset:1120
	ds_load_b128 v[172:175], v2 offset:1136
	s_clause 0x2
	scratch_load_b128 v[168:171], off, off offset:336
	scratch_load_b128 v[176:179], off, off offset:160
	;; [unrolled: 1-line block ×3, first 2 shown]
	s_mov_b32 s2, exec_lo
	s_wait_loadcnt_dscnt 0xc01
	v_mul_f64_e32 v[184:185], v[166:167], v[6:7]
	v_mul_f64_e32 v[188:189], v[164:165], v[6:7]
	s_wait_loadcnt_dscnt 0xb00
	v_mul_f64_e32 v[190:191], v[172:173], v[12:13]
	v_mul_f64_e32 v[12:13], v[174:175], v[12:13]
	s_delay_alu instid0(VALU_DEP_4) | instskip(NEXT) | instid1(VALU_DEP_4)
	v_fma_f64 v[192:193], v[164:165], v[4:5], -v[184:185]
	v_fmac_f64_e32 v[188:189], v[166:167], v[4:5]
	ds_load_b128 v[4:7], v2 offset:1152
	ds_load_b128 v[164:167], v2 offset:1168
	scratch_load_b128 v[184:187], off, off offset:368
	v_fmac_f64_e32 v[190:191], v[174:175], v[10:11]
	v_fma_f64 v[172:173], v[172:173], v[10:11], -v[12:13]
	scratch_load_b128 v[10:13], off, off offset:384
	s_wait_loadcnt_dscnt 0xc01
	v_mul_f64_e32 v[194:195], v[4:5], v[134:135]
	v_mul_f64_e32 v[134:135], v[6:7], v[134:135]
	v_add_f64_e32 v[174:175], 0, v[192:193]
	v_add_f64_e32 v[188:189], 0, v[188:189]
	s_wait_loadcnt_dscnt 0xb00
	v_mul_f64_e32 v[192:193], v[164:165], v[138:139]
	v_mul_f64_e32 v[138:139], v[166:167], v[138:139]
	v_fmac_f64_e32 v[194:195], v[6:7], v[132:133]
	v_fma_f64 v[196:197], v[4:5], v[132:133], -v[134:135]
	ds_load_b128 v[4:7], v2 offset:1184
	ds_load_b128 v[132:135], v2 offset:1200
	v_add_f64_e32 v[198:199], v[174:175], v[172:173]
	v_add_f64_e32 v[188:189], v[188:189], v[190:191]
	scratch_load_b128 v[172:175], off, off offset:400
	v_fmac_f64_e32 v[192:193], v[166:167], v[136:137]
	v_fma_f64 v[164:165], v[164:165], v[136:137], -v[138:139]
	scratch_load_b128 v[136:139], off, off offset:416
	s_wait_loadcnt_dscnt 0xc01
	v_mul_f64_e32 v[190:191], v[4:5], v[142:143]
	v_mul_f64_e32 v[142:143], v[6:7], v[142:143]
	v_add_f64_e32 v[166:167], v[198:199], v[196:197]
	v_add_f64_e32 v[188:189], v[188:189], v[194:195]
	s_wait_loadcnt_dscnt 0xb00
	v_mul_f64_e32 v[194:195], v[132:133], v[146:147]
	v_mul_f64_e32 v[146:147], v[134:135], v[146:147]
	v_fmac_f64_e32 v[190:191], v[6:7], v[140:141]
	v_fma_f64 v[196:197], v[4:5], v[140:141], -v[142:143]
	ds_load_b128 v[4:7], v2 offset:1216
	ds_load_b128 v[140:143], v2 offset:1232
	v_add_f64_e32 v[198:199], v[166:167], v[164:165]
	v_add_f64_e32 v[188:189], v[188:189], v[192:193]
	scratch_load_b128 v[164:167], off, off offset:432
	s_wait_loadcnt_dscnt 0xb01
	v_mul_f64_e32 v[192:193], v[4:5], v[150:151]
	v_mul_f64_e32 v[150:151], v[6:7], v[150:151]
	v_fmac_f64_e32 v[194:195], v[134:135], v[144:145]
	v_fma_f64 v[144:145], v[132:133], v[144:145], -v[146:147]
	scratch_load_b128 v[132:135], off, off offset:448
	v_add_f64_e32 v[146:147], v[198:199], v[196:197]
	v_add_f64_e32 v[188:189], v[188:189], v[190:191]
	s_wait_loadcnt_dscnt 0xb00
	v_mul_f64_e32 v[190:191], v[140:141], v[154:155]
	v_mul_f64_e32 v[154:155], v[142:143], v[154:155]
	v_fmac_f64_e32 v[192:193], v[6:7], v[148:149]
	v_fma_f64 v[196:197], v[4:5], v[148:149], -v[150:151]
	v_add_f64_e32 v[198:199], v[146:147], v[144:145]
	v_add_f64_e32 v[188:189], v[188:189], v[194:195]
	ds_load_b128 v[4:7], v2 offset:1248
	ds_load_b128 v[144:147], v2 offset:1264
	scratch_load_b128 v[148:151], off, off offset:464
	v_fmac_f64_e32 v[190:191], v[142:143], v[152:153]
	v_fma_f64 v[152:153], v[140:141], v[152:153], -v[154:155]
	scratch_load_b128 v[140:143], off, off offset:480
	s_wait_loadcnt_dscnt 0xc01
	v_mul_f64_e32 v[194:195], v[4:5], v[158:159]
	v_mul_f64_e32 v[158:159], v[6:7], v[158:159]
	v_add_f64_e32 v[154:155], v[198:199], v[196:197]
	v_add_f64_e32 v[188:189], v[188:189], v[192:193]
	s_wait_loadcnt_dscnt 0xb00
	v_mul_f64_e32 v[192:193], v[144:145], v[162:163]
	v_mul_f64_e32 v[162:163], v[146:147], v[162:163]
	v_fmac_f64_e32 v[194:195], v[6:7], v[156:157]
	v_fma_f64 v[196:197], v[4:5], v[156:157], -v[158:159]
	v_add_f64_e32 v[198:199], v[154:155], v[152:153]
	v_add_f64_e32 v[188:189], v[188:189], v[190:191]
	ds_load_b128 v[4:7], v2 offset:1280
	ds_load_b128 v[152:155], v2 offset:1296
	scratch_load_b128 v[156:159], off, off offset:496
	v_fmac_f64_e32 v[192:193], v[146:147], v[160:161]
	v_fma_f64 v[160:161], v[144:145], v[160:161], -v[162:163]
	scratch_load_b128 v[144:147], off, off offset:512
	s_wait_loadcnt_dscnt 0xc01
	v_mul_f64_e32 v[190:191], v[4:5], v[170:171]
	v_mul_f64_e32 v[170:171], v[6:7], v[170:171]
	;; [unrolled: 18-line block ×5, first 2 shown]
	v_add_f64_e32 v[182:183], v[198:199], v[196:197]
	v_add_f64_e32 v[188:189], v[188:189], v[194:195]
	s_wait_loadcnt_dscnt 0xa00
	v_mul_f64_e32 v[194:195], v[160:161], v[134:135]
	v_mul_f64_e32 v[134:135], v[162:163], v[134:135]
	v_fmac_f64_e32 v[190:191], v[6:7], v[164:165]
	v_fma_f64 v[196:197], v[4:5], v[164:165], -v[166:167]
	ds_load_b128 v[4:7], v2 offset:1408
	ds_load_b128 v[164:167], v2 offset:1424
	v_add_f64_e32 v[198:199], v[182:183], v[180:181]
	v_add_f64_e32 v[188:189], v[188:189], v[192:193]
	scratch_load_b128 v[180:183], off, off offset:624
	v_fmac_f64_e32 v[194:195], v[162:163], v[132:133]
	v_fma_f64 v[160:161], v[160:161], v[132:133], -v[134:135]
	scratch_load_b128 v[132:135], off, off offset:640
	s_wait_loadcnt_dscnt 0xb01
	v_mul_f64_e32 v[192:193], v[4:5], v[150:151]
	v_mul_f64_e32 v[150:151], v[6:7], v[150:151]
	v_add_f64_e32 v[162:163], v[198:199], v[196:197]
	v_add_f64_e32 v[188:189], v[188:189], v[190:191]
	s_wait_loadcnt_dscnt 0xa00
	v_mul_f64_e32 v[190:191], v[164:165], v[142:143]
	v_mul_f64_e32 v[142:143], v[166:167], v[142:143]
	v_fmac_f64_e32 v[192:193], v[6:7], v[148:149]
	v_fma_f64 v[196:197], v[4:5], v[148:149], -v[150:151]
	ds_load_b128 v[4:7], v2 offset:1440
	ds_load_b128 v[148:151], v2 offset:1456
	v_add_f64_e32 v[198:199], v[162:163], v[160:161]
	v_add_f64_e32 v[188:189], v[188:189], v[194:195]
	scratch_load_b128 v[160:163], off, off offset:656
	s_wait_loadcnt_dscnt 0xa01
	v_mul_f64_e32 v[194:195], v[4:5], v[158:159]
	v_mul_f64_e32 v[158:159], v[6:7], v[158:159]
	v_fmac_f64_e32 v[190:191], v[166:167], v[140:141]
	v_fma_f64 v[164:165], v[164:165], v[140:141], -v[142:143]
	scratch_load_b128 v[140:143], off, off offset:672
	v_add_f64_e32 v[166:167], v[198:199], v[196:197]
	v_add_f64_e32 v[188:189], v[188:189], v[192:193]
	s_wait_loadcnt_dscnt 0xa00
	v_mul_f64_e32 v[192:193], v[148:149], v[146:147]
	v_mul_f64_e32 v[146:147], v[150:151], v[146:147]
	v_fmac_f64_e32 v[194:195], v[6:7], v[156:157]
	v_fma_f64 v[196:197], v[4:5], v[156:157], -v[158:159]
	ds_load_b128 v[4:7], v2 offset:1472
	ds_load_b128 v[156:159], v2 offset:1488
	v_add_f64_e32 v[198:199], v[166:167], v[164:165]
	v_add_f64_e32 v[188:189], v[188:189], v[190:191]
	scratch_load_b128 v[164:167], off, off offset:688
	s_wait_loadcnt_dscnt 0xa01
	v_mul_f64_e32 v[190:191], v[4:5], v[170:171]
	v_mul_f64_e32 v[170:171], v[6:7], v[170:171]
	v_fmac_f64_e32 v[192:193], v[150:151], v[144:145]
	v_fma_f64 v[148:149], v[148:149], v[144:145], -v[146:147]
	scratch_load_b128 v[144:147], off, off offset:704
	v_add_f64_e32 v[150:151], v[198:199], v[196:197]
	v_add_f64_e32 v[188:189], v[188:189], v[194:195]
	s_wait_loadcnt_dscnt 0xa00
	v_mul_f64_e32 v[194:195], v[156:157], v[154:155]
	v_mul_f64_e32 v[154:155], v[158:159], v[154:155]
	v_fmac_f64_e32 v[190:191], v[6:7], v[168:169]
	v_fma_f64 v[196:197], v[4:5], v[168:169], -v[170:171]
	v_add_f64_e32 v[198:199], v[150:151], v[148:149]
	v_add_f64_e32 v[188:189], v[188:189], v[192:193]
	ds_load_b128 v[4:7], v2 offset:1504
	ds_load_b128 v[148:151], v2 offset:1520
	scratch_load_b128 v[168:171], off, off offset:720
	v_fmac_f64_e32 v[194:195], v[158:159], v[152:153]
	v_fma_f64 v[156:157], v[156:157], v[152:153], -v[154:155]
	scratch_load_b128 v[152:155], off, off offset:736
	s_wait_loadcnt_dscnt 0xb01
	v_mul_f64_e32 v[192:193], v[4:5], v[186:187]
	v_mul_f64_e32 v[186:187], v[6:7], v[186:187]
	v_add_f64_e32 v[158:159], v[198:199], v[196:197]
	v_add_f64_e32 v[188:189], v[188:189], v[190:191]
	s_wait_loadcnt_dscnt 0xa00
	v_mul_f64_e32 v[190:191], v[148:149], v[12:13]
	v_mul_f64_e32 v[12:13], v[150:151], v[12:13]
	v_fmac_f64_e32 v[192:193], v[6:7], v[184:185]
	v_fma_f64 v[196:197], v[4:5], v[184:185], -v[186:187]
	v_add_f64_e32 v[198:199], v[158:159], v[156:157]
	v_add_f64_e32 v[188:189], v[188:189], v[194:195]
	ds_load_b128 v[4:7], v2 offset:1536
	ds_load_b128 v[156:159], v2 offset:1552
	scratch_load_b128 v[184:187], off, off offset:752
	v_fmac_f64_e32 v[190:191], v[150:151], v[10:11]
	v_fma_f64 v[148:149], v[148:149], v[10:11], -v[12:13]
	scratch_load_b128 v[10:13], off, off offset:768
	s_wait_loadcnt_dscnt 0xb01
	v_mul_f64_e32 v[194:195], v[4:5], v[174:175]
	v_mul_f64_e32 v[174:175], v[6:7], v[174:175]
	;; [unrolled: 18-line block ×7, first 2 shown]
	v_add_f64_e32 v[158:159], v[198:199], v[196:197]
	v_add_f64_e32 v[188:189], v[188:189], v[190:191]
	s_wait_loadcnt_dscnt 0xa00
	v_mul_f64_e32 v[190:191], v[148:149], v[12:13]
	v_mul_f64_e32 v[12:13], v[150:151], v[12:13]
	v_fmac_f64_e32 v[192:193], v[6:7], v[184:185]
	v_fma_f64 v[184:185], v[4:5], v[184:185], -v[186:187]
	v_add_f64_e32 v[186:187], v[158:159], v[156:157]
	v_add_f64_e32 v[188:189], v[188:189], v[194:195]
	ds_load_b128 v[4:7], v2 offset:1728
	ds_load_b128 v[156:159], v2 offset:1744
	v_fmac_f64_e32 v[190:191], v[150:151], v[10:11]
	v_fma_f64 v[10:11], v[148:149], v[10:11], -v[12:13]
	s_wait_loadcnt_dscnt 0x901
	v_mul_f64_e32 v[194:195], v[4:5], v[174:175]
	v_mul_f64_e32 v[174:175], v[6:7], v[174:175]
	s_wait_loadcnt_dscnt 0x800
	v_mul_f64_e32 v[150:151], v[156:157], v[138:139]
	v_mul_f64_e32 v[138:139], v[158:159], v[138:139]
	v_add_f64_e32 v[12:13], v[186:187], v[184:185]
	v_add_f64_e32 v[148:149], v[188:189], v[192:193]
	v_fmac_f64_e32 v[194:195], v[6:7], v[172:173]
	v_fma_f64 v[172:173], v[4:5], v[172:173], -v[174:175]
	v_fmac_f64_e32 v[150:151], v[158:159], v[136:137]
	v_fma_f64 v[136:137], v[156:157], v[136:137], -v[138:139]
	v_add_f64_e32 v[174:175], v[12:13], v[10:11]
	v_add_f64_e32 v[148:149], v[148:149], v[190:191]
	ds_load_b128 v[4:7], v2 offset:1760
	ds_load_b128 v[10:13], v2 offset:1776
	s_wait_loadcnt_dscnt 0x701
	v_mul_f64_e32 v[184:185], v[4:5], v[182:183]
	v_mul_f64_e32 v[182:183], v[6:7], v[182:183]
	s_wait_loadcnt_dscnt 0x600
	v_mul_f64_e32 v[156:157], v[10:11], v[134:135]
	v_mul_f64_e32 v[158:159], v[12:13], v[134:135]
	v_add_f64_e32 v[138:139], v[174:175], v[172:173]
	v_add_f64_e32 v[148:149], v[148:149], v[194:195]
	v_fmac_f64_e32 v[184:185], v[6:7], v[180:181]
	v_fma_f64 v[172:173], v[4:5], v[180:181], -v[182:183]
	v_fmac_f64_e32 v[156:157], v[12:13], v[132:133]
	v_fma_f64 v[10:11], v[10:11], v[132:133], -v[158:159]
	v_add_f64_e32 v[138:139], v[138:139], v[136:137]
	v_add_f64_e32 v[148:149], v[148:149], v[150:151]
	ds_load_b128 v[4:7], v2 offset:1792
	ds_load_b128 v[134:137], v2 offset:1808
	s_wait_loadcnt_dscnt 0x501
	v_mul_f64_e32 v[150:151], v[4:5], v[162:163]
	v_mul_f64_e32 v[162:163], v[6:7], v[162:163]
	v_add_f64_e32 v[12:13], v[138:139], v[172:173]
	v_add_f64_e32 v[132:133], v[148:149], v[184:185]
	s_wait_loadcnt_dscnt 0x400
	v_mul_f64_e32 v[138:139], v[134:135], v[142:143]
	v_mul_f64_e32 v[142:143], v[136:137], v[142:143]
	v_fmac_f64_e32 v[150:151], v[6:7], v[160:161]
	v_fma_f64 v[148:149], v[4:5], v[160:161], -v[162:163]
	v_add_f64_e32 v[158:159], v[12:13], v[10:11]
	v_add_f64_e32 v[132:133], v[132:133], v[156:157]
	ds_load_b128 v[4:7], v2 offset:1824
	ds_load_b128 v[10:13], v2 offset:1840
	v_fmac_f64_e32 v[138:139], v[136:137], v[140:141]
	v_fma_f64 v[134:135], v[134:135], v[140:141], -v[142:143]
	s_wait_loadcnt_dscnt 0x301
	v_mul_f64_e32 v[156:157], v[4:5], v[166:167]
	v_mul_f64_e32 v[160:161], v[6:7], v[166:167]
	s_wait_loadcnt_dscnt 0x200
	v_mul_f64_e32 v[140:141], v[10:11], v[146:147]
	v_mul_f64_e32 v[142:143], v[12:13], v[146:147]
	v_add_f64_e32 v[136:137], v[158:159], v[148:149]
	v_add_f64_e32 v[132:133], v[132:133], v[150:151]
	v_fmac_f64_e32 v[156:157], v[6:7], v[164:165]
	v_fma_f64 v[146:147], v[4:5], v[164:165], -v[160:161]
	v_fmac_f64_e32 v[140:141], v[12:13], v[144:145]
	v_fma_f64 v[10:11], v[10:11], v[144:145], -v[142:143]
	v_add_f64_e32 v[136:137], v[136:137], v[134:135]
	v_add_f64_e32 v[138:139], v[132:133], v[138:139]
	ds_load_b128 v[4:7], v2 offset:1856
	ds_load_b128 v[132:135], v2 offset:1872
	s_wait_loadcnt_dscnt 0x101
	v_mul_f64_e32 v[2:3], v[4:5], v[170:171]
	v_mul_f64_e32 v[148:149], v[6:7], v[170:171]
	s_wait_loadcnt_dscnt 0x0
	v_mul_f64_e32 v[142:143], v[134:135], v[154:155]
	v_add_f64_e32 v[12:13], v[136:137], v[146:147]
	v_add_f64_e32 v[136:137], v[138:139], v[156:157]
	v_mul_f64_e32 v[138:139], v[132:133], v[154:155]
	v_fmac_f64_e32 v[2:3], v[6:7], v[168:169]
	v_fma_f64 v[4:5], v[4:5], v[168:169], -v[148:149]
	v_add_f64_e32 v[6:7], v[12:13], v[10:11]
	v_add_f64_e32 v[10:11], v[136:137], v[140:141]
	v_fmac_f64_e32 v[138:139], v[134:135], v[152:153]
	v_fma_f64 v[12:13], v[132:133], v[152:153], -v[142:143]
	s_delay_alu instid0(VALU_DEP_4) | instskip(NEXT) | instid1(VALU_DEP_4)
	v_add_f64_e32 v[4:5], v[6:7], v[4:5]
	v_add_f64_e32 v[2:3], v[10:11], v[2:3]
	s_delay_alu instid0(VALU_DEP_2) | instskip(NEXT) | instid1(VALU_DEP_2)
	v_add_f64_e32 v[4:5], v[4:5], v[12:13]
	v_add_f64_e32 v[6:7], v[2:3], v[138:139]
	s_delay_alu instid0(VALU_DEP_2) | instskip(NEXT) | instid1(VALU_DEP_2)
	v_add_f64_e64 v[2:3], v[176:177], -v[4:5]
	v_add_f64_e64 v[4:5], v[178:179], -v[6:7]
	scratch_store_b128 off, v[2:5], off offset:160
	s_wait_xcnt 0x0
	v_cmpx_lt_u32_e32 9, v1
	s_cbranch_execz .LBB58_349
; %bb.348:
	scratch_load_b128 v[2:5], off, s54
	v_mov_b32_e32 v10, 0
	s_delay_alu instid0(VALU_DEP_1)
	v_dual_mov_b32 v11, v10 :: v_dual_mov_b32 v12, v10
	v_mov_b32_e32 v13, v10
	scratch_store_b128 off, v[10:13], off offset:144
	s_wait_loadcnt 0x0
	ds_store_b128 v8, v[2:5]
.LBB58_349:
	s_wait_xcnt 0x0
	s_or_b32 exec_lo, exec_lo, s2
	s_wait_storecnt_dscnt 0x0
	s_barrier_signal -1
	s_barrier_wait -1
	s_clause 0x9
	scratch_load_b128 v[4:7], off, off offset:160
	scratch_load_b128 v[10:13], off, off offset:176
	scratch_load_b128 v[132:135], off, off offset:192
	scratch_load_b128 v[136:139], off, off offset:208
	scratch_load_b128 v[140:143], off, off offset:224
	scratch_load_b128 v[144:147], off, off offset:240
	scratch_load_b128 v[148:151], off, off offset:256
	scratch_load_b128 v[152:155], off, off offset:272
	scratch_load_b128 v[156:159], off, off offset:288
	scratch_load_b128 v[160:163], off, off offset:304
	v_mov_b32_e32 v2, 0
	s_mov_b32 s2, exec_lo
	ds_load_b128 v[164:167], v2 offset:1104
	s_clause 0x2
	scratch_load_b128 v[168:171], off, off offset:320
	scratch_load_b128 v[172:175], off, off offset:144
	scratch_load_b128 v[180:183], off, off offset:336
	s_wait_loadcnt_dscnt 0xc00
	v_mul_f64_e32 v[184:185], v[166:167], v[6:7]
	v_mul_f64_e32 v[188:189], v[164:165], v[6:7]
	ds_load_b128 v[176:179], v2 offset:1120
	v_fma_f64 v[192:193], v[164:165], v[4:5], -v[184:185]
	v_fmac_f64_e32 v[188:189], v[166:167], v[4:5]
	ds_load_b128 v[4:7], v2 offset:1136
	s_wait_loadcnt_dscnt 0xb01
	v_mul_f64_e32 v[190:191], v[176:177], v[12:13]
	v_mul_f64_e32 v[12:13], v[178:179], v[12:13]
	scratch_load_b128 v[164:167], off, off offset:352
	ds_load_b128 v[184:187], v2 offset:1152
	s_wait_loadcnt_dscnt 0xb01
	v_mul_f64_e32 v[194:195], v[4:5], v[134:135]
	v_mul_f64_e32 v[134:135], v[6:7], v[134:135]
	v_add_f64_e32 v[188:189], 0, v[188:189]
	v_fmac_f64_e32 v[190:191], v[178:179], v[10:11]
	v_fma_f64 v[176:177], v[176:177], v[10:11], -v[12:13]
	v_add_f64_e32 v[178:179], 0, v[192:193]
	scratch_load_b128 v[10:13], off, off offset:368
	v_fmac_f64_e32 v[194:195], v[6:7], v[132:133]
	v_fma_f64 v[196:197], v[4:5], v[132:133], -v[134:135]
	ds_load_b128 v[4:7], v2 offset:1168
	s_wait_loadcnt_dscnt 0xb01
	v_mul_f64_e32 v[192:193], v[184:185], v[138:139]
	v_mul_f64_e32 v[138:139], v[186:187], v[138:139]
	scratch_load_b128 v[132:135], off, off offset:384
	v_add_f64_e32 v[188:189], v[188:189], v[190:191]
	v_add_f64_e32 v[198:199], v[178:179], v[176:177]
	ds_load_b128 v[176:179], v2 offset:1184
	s_wait_loadcnt_dscnt 0xb01
	v_mul_f64_e32 v[190:191], v[4:5], v[142:143]
	v_mul_f64_e32 v[142:143], v[6:7], v[142:143]
	v_fmac_f64_e32 v[192:193], v[186:187], v[136:137]
	v_fma_f64 v[184:185], v[184:185], v[136:137], -v[138:139]
	scratch_load_b128 v[136:139], off, off offset:400
	v_add_f64_e32 v[188:189], v[188:189], v[194:195]
	v_add_f64_e32 v[186:187], v[198:199], v[196:197]
	v_fmac_f64_e32 v[190:191], v[6:7], v[140:141]
	v_fma_f64 v[196:197], v[4:5], v[140:141], -v[142:143]
	ds_load_b128 v[4:7], v2 offset:1200
	s_wait_loadcnt_dscnt 0xb01
	v_mul_f64_e32 v[194:195], v[176:177], v[146:147]
	v_mul_f64_e32 v[146:147], v[178:179], v[146:147]
	scratch_load_b128 v[140:143], off, off offset:416
	v_add_f64_e32 v[188:189], v[188:189], v[192:193]
	s_wait_loadcnt_dscnt 0xb00
	v_mul_f64_e32 v[192:193], v[4:5], v[150:151]
	v_add_f64_e32 v[198:199], v[186:187], v[184:185]
	v_mul_f64_e32 v[150:151], v[6:7], v[150:151]
	ds_load_b128 v[184:187], v2 offset:1216
	v_fmac_f64_e32 v[194:195], v[178:179], v[144:145]
	v_fma_f64 v[176:177], v[176:177], v[144:145], -v[146:147]
	scratch_load_b128 v[144:147], off, off offset:432
	v_add_f64_e32 v[188:189], v[188:189], v[190:191]
	v_fmac_f64_e32 v[192:193], v[6:7], v[148:149]
	v_add_f64_e32 v[178:179], v[198:199], v[196:197]
	v_fma_f64 v[196:197], v[4:5], v[148:149], -v[150:151]
	ds_load_b128 v[4:7], v2 offset:1232
	s_wait_loadcnt_dscnt 0xb01
	v_mul_f64_e32 v[190:191], v[184:185], v[154:155]
	v_mul_f64_e32 v[154:155], v[186:187], v[154:155]
	scratch_load_b128 v[148:151], off, off offset:448
	v_add_f64_e32 v[188:189], v[188:189], v[194:195]
	s_wait_loadcnt_dscnt 0xb00
	v_mul_f64_e32 v[194:195], v[4:5], v[158:159]
	v_add_f64_e32 v[198:199], v[178:179], v[176:177]
	v_mul_f64_e32 v[158:159], v[6:7], v[158:159]
	ds_load_b128 v[176:179], v2 offset:1248
	v_fmac_f64_e32 v[190:191], v[186:187], v[152:153]
	v_fma_f64 v[184:185], v[184:185], v[152:153], -v[154:155]
	scratch_load_b128 v[152:155], off, off offset:464
	v_add_f64_e32 v[188:189], v[188:189], v[192:193]
	v_fmac_f64_e32 v[194:195], v[6:7], v[156:157]
	v_add_f64_e32 v[186:187], v[198:199], v[196:197]
	;; [unrolled: 18-line block ×3, first 2 shown]
	v_fma_f64 v[196:197], v[4:5], v[168:169], -v[170:171]
	ds_load_b128 v[4:7], v2 offset:1296
	s_wait_loadcnt_dscnt 0xa01
	v_mul_f64_e32 v[194:195], v[184:185], v[182:183]
	v_mul_f64_e32 v[182:183], v[186:187], v[182:183]
	scratch_load_b128 v[168:171], off, off offset:512
	v_add_f64_e32 v[188:189], v[188:189], v[192:193]
	v_add_f64_e32 v[198:199], v[178:179], v[176:177]
	s_wait_loadcnt_dscnt 0xa00
	v_mul_f64_e32 v[192:193], v[4:5], v[166:167]
	v_mul_f64_e32 v[166:167], v[6:7], v[166:167]
	v_fmac_f64_e32 v[194:195], v[186:187], v[180:181]
	v_fma_f64 v[184:185], v[184:185], v[180:181], -v[182:183]
	ds_load_b128 v[176:179], v2 offset:1312
	scratch_load_b128 v[180:183], off, off offset:528
	v_add_f64_e32 v[188:189], v[188:189], v[190:191]
	v_add_f64_e32 v[186:187], v[198:199], v[196:197]
	v_fmac_f64_e32 v[192:193], v[6:7], v[164:165]
	v_fma_f64 v[196:197], v[4:5], v[164:165], -v[166:167]
	ds_load_b128 v[4:7], v2 offset:1328
	s_wait_loadcnt_dscnt 0xa01
	v_mul_f64_e32 v[190:191], v[176:177], v[12:13]
	v_mul_f64_e32 v[12:13], v[178:179], v[12:13]
	scratch_load_b128 v[164:167], off, off offset:544
	v_add_f64_e32 v[188:189], v[188:189], v[194:195]
	s_wait_loadcnt_dscnt 0xa00
	v_mul_f64_e32 v[194:195], v[4:5], v[134:135]
	v_add_f64_e32 v[198:199], v[186:187], v[184:185]
	v_mul_f64_e32 v[134:135], v[6:7], v[134:135]
	ds_load_b128 v[184:187], v2 offset:1344
	v_fmac_f64_e32 v[190:191], v[178:179], v[10:11]
	v_fma_f64 v[176:177], v[176:177], v[10:11], -v[12:13]
	scratch_load_b128 v[10:13], off, off offset:560
	v_add_f64_e32 v[188:189], v[188:189], v[192:193]
	v_fmac_f64_e32 v[194:195], v[6:7], v[132:133]
	v_add_f64_e32 v[178:179], v[198:199], v[196:197]
	v_fma_f64 v[196:197], v[4:5], v[132:133], -v[134:135]
	ds_load_b128 v[4:7], v2 offset:1360
	s_wait_loadcnt_dscnt 0xa01
	v_mul_f64_e32 v[192:193], v[184:185], v[138:139]
	v_mul_f64_e32 v[138:139], v[186:187], v[138:139]
	scratch_load_b128 v[132:135], off, off offset:576
	v_add_f64_e32 v[188:189], v[188:189], v[190:191]
	s_wait_loadcnt_dscnt 0xa00
	v_mul_f64_e32 v[190:191], v[4:5], v[142:143]
	v_add_f64_e32 v[198:199], v[178:179], v[176:177]
	v_mul_f64_e32 v[142:143], v[6:7], v[142:143]
	ds_load_b128 v[176:179], v2 offset:1376
	v_fmac_f64_e32 v[192:193], v[186:187], v[136:137]
	v_fma_f64 v[184:185], v[184:185], v[136:137], -v[138:139]
	scratch_load_b128 v[136:139], off, off offset:592
	v_add_f64_e32 v[188:189], v[188:189], v[194:195]
	v_fmac_f64_e32 v[190:191], v[6:7], v[140:141]
	v_add_f64_e32 v[186:187], v[198:199], v[196:197]
	;; [unrolled: 18-line block ×12, first 2 shown]
	v_fma_f64 v[196:197], v[4:5], v[164:165], -v[166:167]
	ds_load_b128 v[4:7], v2 offset:1712
	s_wait_loadcnt_dscnt 0xa01
	v_mul_f64_e32 v[190:191], v[176:177], v[12:13]
	v_mul_f64_e32 v[12:13], v[178:179], v[12:13]
	scratch_load_b128 v[164:167], off, off offset:928
	v_add_f64_e32 v[188:189], v[188:189], v[194:195]
	s_wait_loadcnt_dscnt 0xa00
	v_mul_f64_e32 v[194:195], v[4:5], v[134:135]
	v_add_f64_e32 v[198:199], v[186:187], v[184:185]
	v_mul_f64_e32 v[134:135], v[6:7], v[134:135]
	ds_load_b128 v[184:187], v2 offset:1728
	v_fmac_f64_e32 v[190:191], v[178:179], v[10:11]
	v_fma_f64 v[10:11], v[176:177], v[10:11], -v[12:13]
	s_wait_loadcnt_dscnt 0x900
	v_mul_f64_e32 v[178:179], v[184:185], v[138:139]
	v_mul_f64_e32 v[138:139], v[186:187], v[138:139]
	v_add_f64_e32 v[176:177], v[188:189], v[192:193]
	v_fmac_f64_e32 v[194:195], v[6:7], v[132:133]
	v_add_f64_e32 v[12:13], v[198:199], v[196:197]
	v_fma_f64 v[132:133], v[4:5], v[132:133], -v[134:135]
	v_fmac_f64_e32 v[178:179], v[186:187], v[136:137]
	v_fma_f64 v[136:137], v[184:185], v[136:137], -v[138:139]
	v_add_f64_e32 v[176:177], v[176:177], v[190:191]
	v_add_f64_e32 v[134:135], v[12:13], v[10:11]
	ds_load_b128 v[4:7], v2 offset:1744
	ds_load_b128 v[10:13], v2 offset:1760
	s_wait_loadcnt_dscnt 0x801
	v_mul_f64_e32 v[188:189], v[4:5], v[142:143]
	v_mul_f64_e32 v[142:143], v[6:7], v[142:143]
	s_wait_loadcnt_dscnt 0x700
	v_mul_f64_e32 v[138:139], v[10:11], v[146:147]
	v_mul_f64_e32 v[146:147], v[12:13], v[146:147]
	v_add_f64_e32 v[132:133], v[134:135], v[132:133]
	v_add_f64_e32 v[134:135], v[176:177], v[194:195]
	v_fmac_f64_e32 v[188:189], v[6:7], v[140:141]
	v_fma_f64 v[140:141], v[4:5], v[140:141], -v[142:143]
	v_fmac_f64_e32 v[138:139], v[12:13], v[144:145]
	v_fma_f64 v[10:11], v[10:11], v[144:145], -v[146:147]
	v_add_f64_e32 v[136:137], v[132:133], v[136:137]
	v_add_f64_e32 v[142:143], v[134:135], v[178:179]
	ds_load_b128 v[4:7], v2 offset:1776
	ds_load_b128 v[132:135], v2 offset:1792
	s_wait_loadcnt_dscnt 0x601
	v_mul_f64_e32 v[176:177], v[4:5], v[150:151]
	v_mul_f64_e32 v[150:151], v[6:7], v[150:151]
	v_add_f64_e32 v[12:13], v[136:137], v[140:141]
	v_add_f64_e32 v[136:137], v[142:143], v[188:189]
	s_wait_loadcnt_dscnt 0x500
	v_mul_f64_e32 v[140:141], v[132:133], v[154:155]
	v_mul_f64_e32 v[142:143], v[134:135], v[154:155]
	v_fmac_f64_e32 v[176:177], v[6:7], v[148:149]
	v_fma_f64 v[144:145], v[4:5], v[148:149], -v[150:151]
	v_add_f64_e32 v[146:147], v[12:13], v[10:11]
	v_add_f64_e32 v[136:137], v[136:137], v[138:139]
	ds_load_b128 v[4:7], v2 offset:1808
	ds_load_b128 v[10:13], v2 offset:1824
	v_fmac_f64_e32 v[140:141], v[134:135], v[152:153]
	v_fma_f64 v[132:133], v[132:133], v[152:153], -v[142:143]
	s_wait_loadcnt_dscnt 0x401
	v_mul_f64_e32 v[138:139], v[4:5], v[158:159]
	v_mul_f64_e32 v[148:149], v[6:7], v[158:159]
	s_wait_loadcnt_dscnt 0x300
	v_mul_f64_e32 v[142:143], v[10:11], v[162:163]
	v_add_f64_e32 v[134:135], v[146:147], v[144:145]
	v_add_f64_e32 v[136:137], v[136:137], v[176:177]
	v_mul_f64_e32 v[144:145], v[12:13], v[162:163]
	v_fmac_f64_e32 v[138:139], v[6:7], v[156:157]
	v_fma_f64 v[146:147], v[4:5], v[156:157], -v[148:149]
	v_fmac_f64_e32 v[142:143], v[12:13], v[160:161]
	v_add_f64_e32 v[148:149], v[134:135], v[132:133]
	v_add_f64_e32 v[136:137], v[136:137], v[140:141]
	ds_load_b128 v[4:7], v2 offset:1840
	ds_load_b128 v[132:135], v2 offset:1856
	v_fma_f64 v[10:11], v[10:11], v[160:161], -v[144:145]
	s_wait_loadcnt_dscnt 0x201
	v_mul_f64_e32 v[140:141], v[4:5], v[170:171]
	v_mul_f64_e32 v[150:151], v[6:7], v[170:171]
	s_wait_loadcnt_dscnt 0x100
	v_mul_f64_e32 v[144:145], v[134:135], v[182:183]
	v_add_f64_e32 v[12:13], v[148:149], v[146:147]
	v_add_f64_e32 v[136:137], v[136:137], v[138:139]
	v_mul_f64_e32 v[138:139], v[132:133], v[182:183]
	v_fmac_f64_e32 v[140:141], v[6:7], v[168:169]
	v_fma_f64 v[146:147], v[4:5], v[168:169], -v[150:151]
	ds_load_b128 v[4:7], v2 offset:1872
	v_fma_f64 v[132:133], v[132:133], v[180:181], -v[144:145]
	v_add_f64_e32 v[10:11], v[12:13], v[10:11]
	v_add_f64_e32 v[12:13], v[136:137], v[142:143]
	v_fmac_f64_e32 v[138:139], v[134:135], v[180:181]
	s_wait_loadcnt_dscnt 0x0
	v_mul_f64_e32 v[136:137], v[4:5], v[166:167]
	v_mul_f64_e32 v[142:143], v[6:7], v[166:167]
	v_add_f64_e32 v[10:11], v[10:11], v[146:147]
	v_add_f64_e32 v[12:13], v[12:13], v[140:141]
	s_delay_alu instid0(VALU_DEP_4) | instskip(NEXT) | instid1(VALU_DEP_4)
	v_fmac_f64_e32 v[136:137], v[6:7], v[164:165]
	v_fma_f64 v[4:5], v[4:5], v[164:165], -v[142:143]
	s_delay_alu instid0(VALU_DEP_4) | instskip(NEXT) | instid1(VALU_DEP_4)
	v_add_f64_e32 v[6:7], v[10:11], v[132:133]
	v_add_f64_e32 v[10:11], v[12:13], v[138:139]
	s_delay_alu instid0(VALU_DEP_2) | instskip(NEXT) | instid1(VALU_DEP_2)
	v_add_f64_e32 v[4:5], v[6:7], v[4:5]
	v_add_f64_e32 v[6:7], v[10:11], v[136:137]
	s_delay_alu instid0(VALU_DEP_2) | instskip(NEXT) | instid1(VALU_DEP_2)
	v_add_f64_e64 v[4:5], v[172:173], -v[4:5]
	v_add_f64_e64 v[6:7], v[174:175], -v[6:7]
	scratch_store_b128 off, v[4:7], off offset:144
	s_wait_xcnt 0x0
	v_cmpx_lt_u32_e32 8, v1
	s_cbranch_execz .LBB58_351
; %bb.350:
	scratch_load_b128 v[10:13], off, s53
	v_dual_mov_b32 v3, v2 :: v_dual_mov_b32 v4, v2
	v_mov_b32_e32 v5, v2
	scratch_store_b128 off, v[2:5], off offset:128
	s_wait_loadcnt 0x0
	ds_store_b128 v8, v[10:13]
.LBB58_351:
	s_wait_xcnt 0x0
	s_or_b32 exec_lo, exec_lo, s2
	s_wait_storecnt_dscnt 0x0
	s_barrier_signal -1
	s_barrier_wait -1
	s_clause 0x9
	scratch_load_b128 v[4:7], off, off offset:144
	scratch_load_b128 v[10:13], off, off offset:160
	;; [unrolled: 1-line block ×10, first 2 shown]
	ds_load_b128 v[164:167], v2 offset:1088
	ds_load_b128 v[172:175], v2 offset:1104
	s_clause 0x2
	scratch_load_b128 v[168:171], off, off offset:304
	scratch_load_b128 v[176:179], off, off offset:128
	;; [unrolled: 1-line block ×3, first 2 shown]
	s_mov_b32 s2, exec_lo
	s_wait_loadcnt_dscnt 0xc01
	v_mul_f64_e32 v[184:185], v[166:167], v[6:7]
	v_mul_f64_e32 v[188:189], v[164:165], v[6:7]
	s_wait_loadcnt_dscnt 0xb00
	v_mul_f64_e32 v[190:191], v[172:173], v[12:13]
	v_mul_f64_e32 v[12:13], v[174:175], v[12:13]
	s_delay_alu instid0(VALU_DEP_4) | instskip(NEXT) | instid1(VALU_DEP_4)
	v_fma_f64 v[192:193], v[164:165], v[4:5], -v[184:185]
	v_fmac_f64_e32 v[188:189], v[166:167], v[4:5]
	ds_load_b128 v[4:7], v2 offset:1120
	ds_load_b128 v[164:167], v2 offset:1136
	scratch_load_b128 v[184:187], off, off offset:336
	v_fmac_f64_e32 v[190:191], v[174:175], v[10:11]
	v_fma_f64 v[172:173], v[172:173], v[10:11], -v[12:13]
	scratch_load_b128 v[10:13], off, off offset:352
	s_wait_loadcnt_dscnt 0xc01
	v_mul_f64_e32 v[194:195], v[4:5], v[134:135]
	v_mul_f64_e32 v[134:135], v[6:7], v[134:135]
	v_add_f64_e32 v[174:175], 0, v[192:193]
	v_add_f64_e32 v[188:189], 0, v[188:189]
	s_wait_loadcnt_dscnt 0xb00
	v_mul_f64_e32 v[192:193], v[164:165], v[138:139]
	v_mul_f64_e32 v[138:139], v[166:167], v[138:139]
	v_fmac_f64_e32 v[194:195], v[6:7], v[132:133]
	v_fma_f64 v[196:197], v[4:5], v[132:133], -v[134:135]
	ds_load_b128 v[4:7], v2 offset:1152
	ds_load_b128 v[132:135], v2 offset:1168
	v_add_f64_e32 v[198:199], v[174:175], v[172:173]
	v_add_f64_e32 v[188:189], v[188:189], v[190:191]
	scratch_load_b128 v[172:175], off, off offset:368
	v_fmac_f64_e32 v[192:193], v[166:167], v[136:137]
	v_fma_f64 v[164:165], v[164:165], v[136:137], -v[138:139]
	scratch_load_b128 v[136:139], off, off offset:384
	s_wait_loadcnt_dscnt 0xc01
	v_mul_f64_e32 v[190:191], v[4:5], v[142:143]
	v_mul_f64_e32 v[142:143], v[6:7], v[142:143]
	v_add_f64_e32 v[166:167], v[198:199], v[196:197]
	v_add_f64_e32 v[188:189], v[188:189], v[194:195]
	s_wait_loadcnt_dscnt 0xb00
	v_mul_f64_e32 v[194:195], v[132:133], v[146:147]
	v_mul_f64_e32 v[146:147], v[134:135], v[146:147]
	v_fmac_f64_e32 v[190:191], v[6:7], v[140:141]
	v_fma_f64 v[196:197], v[4:5], v[140:141], -v[142:143]
	ds_load_b128 v[4:7], v2 offset:1184
	ds_load_b128 v[140:143], v2 offset:1200
	v_add_f64_e32 v[198:199], v[166:167], v[164:165]
	v_add_f64_e32 v[188:189], v[188:189], v[192:193]
	scratch_load_b128 v[164:167], off, off offset:400
	s_wait_loadcnt_dscnt 0xb01
	v_mul_f64_e32 v[192:193], v[4:5], v[150:151]
	v_mul_f64_e32 v[150:151], v[6:7], v[150:151]
	v_fmac_f64_e32 v[194:195], v[134:135], v[144:145]
	v_fma_f64 v[144:145], v[132:133], v[144:145], -v[146:147]
	scratch_load_b128 v[132:135], off, off offset:416
	v_add_f64_e32 v[146:147], v[198:199], v[196:197]
	v_add_f64_e32 v[188:189], v[188:189], v[190:191]
	s_wait_loadcnt_dscnt 0xb00
	v_mul_f64_e32 v[190:191], v[140:141], v[154:155]
	v_mul_f64_e32 v[154:155], v[142:143], v[154:155]
	v_fmac_f64_e32 v[192:193], v[6:7], v[148:149]
	v_fma_f64 v[196:197], v[4:5], v[148:149], -v[150:151]
	v_add_f64_e32 v[198:199], v[146:147], v[144:145]
	v_add_f64_e32 v[188:189], v[188:189], v[194:195]
	ds_load_b128 v[4:7], v2 offset:1216
	ds_load_b128 v[144:147], v2 offset:1232
	scratch_load_b128 v[148:151], off, off offset:432
	v_fmac_f64_e32 v[190:191], v[142:143], v[152:153]
	v_fma_f64 v[152:153], v[140:141], v[152:153], -v[154:155]
	scratch_load_b128 v[140:143], off, off offset:448
	s_wait_loadcnt_dscnt 0xc01
	v_mul_f64_e32 v[194:195], v[4:5], v[158:159]
	v_mul_f64_e32 v[158:159], v[6:7], v[158:159]
	v_add_f64_e32 v[154:155], v[198:199], v[196:197]
	v_add_f64_e32 v[188:189], v[188:189], v[192:193]
	s_wait_loadcnt_dscnt 0xb00
	v_mul_f64_e32 v[192:193], v[144:145], v[162:163]
	v_mul_f64_e32 v[162:163], v[146:147], v[162:163]
	v_fmac_f64_e32 v[194:195], v[6:7], v[156:157]
	v_fma_f64 v[196:197], v[4:5], v[156:157], -v[158:159]
	v_add_f64_e32 v[198:199], v[154:155], v[152:153]
	v_add_f64_e32 v[188:189], v[188:189], v[190:191]
	ds_load_b128 v[4:7], v2 offset:1248
	ds_load_b128 v[152:155], v2 offset:1264
	scratch_load_b128 v[156:159], off, off offset:464
	v_fmac_f64_e32 v[192:193], v[146:147], v[160:161]
	v_fma_f64 v[160:161], v[144:145], v[160:161], -v[162:163]
	scratch_load_b128 v[144:147], off, off offset:480
	s_wait_loadcnt_dscnt 0xc01
	v_mul_f64_e32 v[190:191], v[4:5], v[170:171]
	v_mul_f64_e32 v[170:171], v[6:7], v[170:171]
	;; [unrolled: 18-line block ×5, first 2 shown]
	v_add_f64_e32 v[182:183], v[198:199], v[196:197]
	v_add_f64_e32 v[188:189], v[188:189], v[194:195]
	s_wait_loadcnt_dscnt 0xa00
	v_mul_f64_e32 v[194:195], v[160:161], v[134:135]
	v_mul_f64_e32 v[134:135], v[162:163], v[134:135]
	v_fmac_f64_e32 v[190:191], v[6:7], v[164:165]
	v_fma_f64 v[196:197], v[4:5], v[164:165], -v[166:167]
	ds_load_b128 v[4:7], v2 offset:1376
	ds_load_b128 v[164:167], v2 offset:1392
	v_add_f64_e32 v[198:199], v[182:183], v[180:181]
	v_add_f64_e32 v[188:189], v[188:189], v[192:193]
	scratch_load_b128 v[180:183], off, off offset:592
	v_fmac_f64_e32 v[194:195], v[162:163], v[132:133]
	v_fma_f64 v[160:161], v[160:161], v[132:133], -v[134:135]
	scratch_load_b128 v[132:135], off, off offset:608
	s_wait_loadcnt_dscnt 0xb01
	v_mul_f64_e32 v[192:193], v[4:5], v[150:151]
	v_mul_f64_e32 v[150:151], v[6:7], v[150:151]
	v_add_f64_e32 v[162:163], v[198:199], v[196:197]
	v_add_f64_e32 v[188:189], v[188:189], v[190:191]
	s_wait_loadcnt_dscnt 0xa00
	v_mul_f64_e32 v[190:191], v[164:165], v[142:143]
	v_mul_f64_e32 v[142:143], v[166:167], v[142:143]
	v_fmac_f64_e32 v[192:193], v[6:7], v[148:149]
	v_fma_f64 v[196:197], v[4:5], v[148:149], -v[150:151]
	ds_load_b128 v[4:7], v2 offset:1408
	ds_load_b128 v[148:151], v2 offset:1424
	v_add_f64_e32 v[198:199], v[162:163], v[160:161]
	v_add_f64_e32 v[188:189], v[188:189], v[194:195]
	scratch_load_b128 v[160:163], off, off offset:624
	s_wait_loadcnt_dscnt 0xa01
	v_mul_f64_e32 v[194:195], v[4:5], v[158:159]
	v_mul_f64_e32 v[158:159], v[6:7], v[158:159]
	v_fmac_f64_e32 v[190:191], v[166:167], v[140:141]
	v_fma_f64 v[164:165], v[164:165], v[140:141], -v[142:143]
	scratch_load_b128 v[140:143], off, off offset:640
	v_add_f64_e32 v[166:167], v[198:199], v[196:197]
	v_add_f64_e32 v[188:189], v[188:189], v[192:193]
	s_wait_loadcnt_dscnt 0xa00
	v_mul_f64_e32 v[192:193], v[148:149], v[146:147]
	v_mul_f64_e32 v[146:147], v[150:151], v[146:147]
	v_fmac_f64_e32 v[194:195], v[6:7], v[156:157]
	v_fma_f64 v[196:197], v[4:5], v[156:157], -v[158:159]
	ds_load_b128 v[4:7], v2 offset:1440
	ds_load_b128 v[156:159], v2 offset:1456
	v_add_f64_e32 v[198:199], v[166:167], v[164:165]
	v_add_f64_e32 v[188:189], v[188:189], v[190:191]
	scratch_load_b128 v[164:167], off, off offset:656
	s_wait_loadcnt_dscnt 0xa01
	v_mul_f64_e32 v[190:191], v[4:5], v[170:171]
	v_mul_f64_e32 v[170:171], v[6:7], v[170:171]
	v_fmac_f64_e32 v[192:193], v[150:151], v[144:145]
	v_fma_f64 v[148:149], v[148:149], v[144:145], -v[146:147]
	scratch_load_b128 v[144:147], off, off offset:672
	v_add_f64_e32 v[150:151], v[198:199], v[196:197]
	v_add_f64_e32 v[188:189], v[188:189], v[194:195]
	s_wait_loadcnt_dscnt 0xa00
	v_mul_f64_e32 v[194:195], v[156:157], v[154:155]
	v_mul_f64_e32 v[154:155], v[158:159], v[154:155]
	v_fmac_f64_e32 v[190:191], v[6:7], v[168:169]
	v_fma_f64 v[196:197], v[4:5], v[168:169], -v[170:171]
	v_add_f64_e32 v[198:199], v[150:151], v[148:149]
	v_add_f64_e32 v[188:189], v[188:189], v[192:193]
	ds_load_b128 v[4:7], v2 offset:1472
	ds_load_b128 v[148:151], v2 offset:1488
	scratch_load_b128 v[168:171], off, off offset:688
	v_fmac_f64_e32 v[194:195], v[158:159], v[152:153]
	v_fma_f64 v[156:157], v[156:157], v[152:153], -v[154:155]
	scratch_load_b128 v[152:155], off, off offset:704
	s_wait_loadcnt_dscnt 0xb01
	v_mul_f64_e32 v[192:193], v[4:5], v[186:187]
	v_mul_f64_e32 v[186:187], v[6:7], v[186:187]
	v_add_f64_e32 v[158:159], v[198:199], v[196:197]
	v_add_f64_e32 v[188:189], v[188:189], v[190:191]
	s_wait_loadcnt_dscnt 0xa00
	v_mul_f64_e32 v[190:191], v[148:149], v[12:13]
	v_mul_f64_e32 v[12:13], v[150:151], v[12:13]
	v_fmac_f64_e32 v[192:193], v[6:7], v[184:185]
	v_fma_f64 v[196:197], v[4:5], v[184:185], -v[186:187]
	v_add_f64_e32 v[198:199], v[158:159], v[156:157]
	v_add_f64_e32 v[188:189], v[188:189], v[194:195]
	ds_load_b128 v[4:7], v2 offset:1504
	ds_load_b128 v[156:159], v2 offset:1520
	scratch_load_b128 v[184:187], off, off offset:720
	v_fmac_f64_e32 v[190:191], v[150:151], v[10:11]
	v_fma_f64 v[148:149], v[148:149], v[10:11], -v[12:13]
	scratch_load_b128 v[10:13], off, off offset:736
	s_wait_loadcnt_dscnt 0xb01
	v_mul_f64_e32 v[194:195], v[4:5], v[174:175]
	v_mul_f64_e32 v[174:175], v[6:7], v[174:175]
	;; [unrolled: 18-line block ×8, first 2 shown]
	v_add_f64_e32 v[150:151], v[198:199], v[196:197]
	v_add_f64_e32 v[188:189], v[188:189], v[192:193]
	s_wait_loadcnt_dscnt 0xa00
	v_mul_f64_e32 v[192:193], v[156:157], v[138:139]
	v_mul_f64_e32 v[138:139], v[158:159], v[138:139]
	v_fmac_f64_e32 v[194:195], v[6:7], v[172:173]
	v_fma_f64 v[172:173], v[4:5], v[172:173], -v[174:175]
	v_add_f64_e32 v[174:175], v[150:151], v[148:149]
	v_add_f64_e32 v[188:189], v[188:189], v[190:191]
	ds_load_b128 v[4:7], v2 offset:1728
	ds_load_b128 v[148:151], v2 offset:1744
	v_fmac_f64_e32 v[192:193], v[158:159], v[136:137]
	v_fma_f64 v[136:137], v[156:157], v[136:137], -v[138:139]
	s_wait_loadcnt_dscnt 0x901
	v_mul_f64_e32 v[190:191], v[4:5], v[182:183]
	v_mul_f64_e32 v[182:183], v[6:7], v[182:183]
	s_wait_loadcnt_dscnt 0x800
	v_mul_f64_e32 v[158:159], v[148:149], v[134:135]
	v_add_f64_e32 v[138:139], v[174:175], v[172:173]
	v_add_f64_e32 v[156:157], v[188:189], v[194:195]
	v_mul_f64_e32 v[172:173], v[150:151], v[134:135]
	v_fmac_f64_e32 v[190:191], v[6:7], v[180:181]
	v_fma_f64 v[174:175], v[4:5], v[180:181], -v[182:183]
	v_fmac_f64_e32 v[158:159], v[150:151], v[132:133]
	v_add_f64_e32 v[138:139], v[138:139], v[136:137]
	v_add_f64_e32 v[156:157], v[156:157], v[192:193]
	ds_load_b128 v[4:7], v2 offset:1760
	ds_load_b128 v[134:137], v2 offset:1776
	v_fma_f64 v[132:133], v[148:149], v[132:133], -v[172:173]
	s_wait_loadcnt_dscnt 0x701
	v_mul_f64_e32 v[180:181], v[4:5], v[162:163]
	v_mul_f64_e32 v[162:163], v[6:7], v[162:163]
	v_add_f64_e32 v[138:139], v[138:139], v[174:175]
	v_add_f64_e32 v[148:149], v[156:157], v[190:191]
	s_wait_loadcnt_dscnt 0x600
	v_mul_f64_e32 v[156:157], v[134:135], v[142:143]
	v_mul_f64_e32 v[142:143], v[136:137], v[142:143]
	v_fmac_f64_e32 v[180:181], v[6:7], v[160:161]
	v_fma_f64 v[160:161], v[4:5], v[160:161], -v[162:163]
	v_add_f64_e32 v[132:133], v[138:139], v[132:133]
	v_add_f64_e32 v[138:139], v[148:149], v[158:159]
	ds_load_b128 v[4:7], v2 offset:1792
	ds_load_b128 v[148:151], v2 offset:1808
	v_fmac_f64_e32 v[156:157], v[136:137], v[140:141]
	v_fma_f64 v[134:135], v[134:135], v[140:141], -v[142:143]
	s_wait_loadcnt_dscnt 0x501
	v_mul_f64_e32 v[158:159], v[4:5], v[166:167]
	v_mul_f64_e32 v[162:163], v[6:7], v[166:167]
	s_wait_loadcnt_dscnt 0x400
	v_mul_f64_e32 v[140:141], v[150:151], v[146:147]
	v_add_f64_e32 v[132:133], v[132:133], v[160:161]
	v_add_f64_e32 v[136:137], v[138:139], v[180:181]
	v_mul_f64_e32 v[138:139], v[148:149], v[146:147]
	v_fmac_f64_e32 v[158:159], v[6:7], v[164:165]
	v_fma_f64 v[142:143], v[4:5], v[164:165], -v[162:163]
	v_fma_f64 v[140:141], v[148:149], v[144:145], -v[140:141]
	v_add_f64_e32 v[146:147], v[132:133], v[134:135]
	v_add_f64_e32 v[136:137], v[136:137], v[156:157]
	ds_load_b128 v[4:7], v2 offset:1824
	ds_load_b128 v[132:135], v2 offset:1840
	v_fmac_f64_e32 v[138:139], v[150:151], v[144:145]
	s_wait_loadcnt_dscnt 0x301
	v_mul_f64_e32 v[156:157], v[4:5], v[170:171]
	v_mul_f64_e32 v[160:161], v[6:7], v[170:171]
	s_wait_loadcnt_dscnt 0x200
	v_mul_f64_e32 v[144:145], v[132:133], v[154:155]
	v_add_f64_e32 v[142:143], v[146:147], v[142:143]
	v_add_f64_e32 v[136:137], v[136:137], v[158:159]
	v_mul_f64_e32 v[146:147], v[134:135], v[154:155]
	v_fmac_f64_e32 v[156:157], v[6:7], v[168:169]
	v_fma_f64 v[148:149], v[4:5], v[168:169], -v[160:161]
	v_fmac_f64_e32 v[144:145], v[134:135], v[152:153]
	v_add_f64_e32 v[140:141], v[142:143], v[140:141]
	v_add_f64_e32 v[142:143], v[136:137], v[138:139]
	ds_load_b128 v[4:7], v2 offset:1856
	ds_load_b128 v[136:139], v2 offset:1872
	v_fma_f64 v[132:133], v[132:133], v[152:153], -v[146:147]
	s_wait_loadcnt_dscnt 0x101
	v_mul_f64_e32 v[2:3], v[4:5], v[186:187]
	v_mul_f64_e32 v[150:151], v[6:7], v[186:187]
	v_add_f64_e32 v[134:135], v[140:141], v[148:149]
	v_add_f64_e32 v[140:141], v[142:143], v[156:157]
	s_wait_loadcnt_dscnt 0x0
	v_mul_f64_e32 v[142:143], v[136:137], v[12:13]
	v_mul_f64_e32 v[12:13], v[138:139], v[12:13]
	v_fmac_f64_e32 v[2:3], v[6:7], v[184:185]
	v_fma_f64 v[4:5], v[4:5], v[184:185], -v[150:151]
	v_add_f64_e32 v[6:7], v[134:135], v[132:133]
	v_add_f64_e32 v[132:133], v[140:141], v[144:145]
	v_fmac_f64_e32 v[142:143], v[138:139], v[10:11]
	v_fma_f64 v[10:11], v[136:137], v[10:11], -v[12:13]
	s_delay_alu instid0(VALU_DEP_4) | instskip(NEXT) | instid1(VALU_DEP_4)
	v_add_f64_e32 v[4:5], v[6:7], v[4:5]
	v_add_f64_e32 v[2:3], v[132:133], v[2:3]
	s_delay_alu instid0(VALU_DEP_2) | instskip(NEXT) | instid1(VALU_DEP_2)
	v_add_f64_e32 v[4:5], v[4:5], v[10:11]
	v_add_f64_e32 v[6:7], v[2:3], v[142:143]
	s_delay_alu instid0(VALU_DEP_2) | instskip(NEXT) | instid1(VALU_DEP_2)
	v_add_f64_e64 v[2:3], v[176:177], -v[4:5]
	v_add_f64_e64 v[4:5], v[178:179], -v[6:7]
	scratch_store_b128 off, v[2:5], off offset:128
	s_wait_xcnt 0x0
	v_cmpx_lt_u32_e32 7, v1
	s_cbranch_execz .LBB58_353
; %bb.352:
	scratch_load_b128 v[2:5], off, s68
	v_mov_b32_e32 v10, 0
	s_delay_alu instid0(VALU_DEP_1)
	v_dual_mov_b32 v11, v10 :: v_dual_mov_b32 v12, v10
	v_mov_b32_e32 v13, v10
	scratch_store_b128 off, v[10:13], off offset:112
	s_wait_loadcnt 0x0
	ds_store_b128 v8, v[2:5]
.LBB58_353:
	s_wait_xcnt 0x0
	s_or_b32 exec_lo, exec_lo, s2
	s_wait_storecnt_dscnt 0x0
	s_barrier_signal -1
	s_barrier_wait -1
	s_clause 0x9
	scratch_load_b128 v[4:7], off, off offset:128
	scratch_load_b128 v[10:13], off, off offset:144
	;; [unrolled: 1-line block ×10, first 2 shown]
	v_mov_b32_e32 v2, 0
	s_mov_b32 s2, exec_lo
	ds_load_b128 v[164:167], v2 offset:1072
	s_clause 0x2
	scratch_load_b128 v[168:171], off, off offset:288
	scratch_load_b128 v[172:175], off, off offset:112
	;; [unrolled: 1-line block ×3, first 2 shown]
	s_wait_loadcnt_dscnt 0xc00
	v_mul_f64_e32 v[184:185], v[166:167], v[6:7]
	v_mul_f64_e32 v[188:189], v[164:165], v[6:7]
	ds_load_b128 v[176:179], v2 offset:1088
	v_fma_f64 v[192:193], v[164:165], v[4:5], -v[184:185]
	v_fmac_f64_e32 v[188:189], v[166:167], v[4:5]
	ds_load_b128 v[4:7], v2 offset:1104
	s_wait_loadcnt_dscnt 0xb01
	v_mul_f64_e32 v[190:191], v[176:177], v[12:13]
	v_mul_f64_e32 v[12:13], v[178:179], v[12:13]
	scratch_load_b128 v[164:167], off, off offset:320
	ds_load_b128 v[184:187], v2 offset:1120
	s_wait_loadcnt_dscnt 0xb01
	v_mul_f64_e32 v[194:195], v[4:5], v[134:135]
	v_mul_f64_e32 v[134:135], v[6:7], v[134:135]
	v_add_f64_e32 v[188:189], 0, v[188:189]
	v_fmac_f64_e32 v[190:191], v[178:179], v[10:11]
	v_fma_f64 v[176:177], v[176:177], v[10:11], -v[12:13]
	v_add_f64_e32 v[178:179], 0, v[192:193]
	scratch_load_b128 v[10:13], off, off offset:336
	v_fmac_f64_e32 v[194:195], v[6:7], v[132:133]
	v_fma_f64 v[196:197], v[4:5], v[132:133], -v[134:135]
	ds_load_b128 v[4:7], v2 offset:1136
	s_wait_loadcnt_dscnt 0xb01
	v_mul_f64_e32 v[192:193], v[184:185], v[138:139]
	v_mul_f64_e32 v[138:139], v[186:187], v[138:139]
	scratch_load_b128 v[132:135], off, off offset:352
	v_add_f64_e32 v[188:189], v[188:189], v[190:191]
	v_add_f64_e32 v[198:199], v[178:179], v[176:177]
	ds_load_b128 v[176:179], v2 offset:1152
	s_wait_loadcnt_dscnt 0xb01
	v_mul_f64_e32 v[190:191], v[4:5], v[142:143]
	v_mul_f64_e32 v[142:143], v[6:7], v[142:143]
	v_fmac_f64_e32 v[192:193], v[186:187], v[136:137]
	v_fma_f64 v[184:185], v[184:185], v[136:137], -v[138:139]
	scratch_load_b128 v[136:139], off, off offset:368
	v_add_f64_e32 v[188:189], v[188:189], v[194:195]
	v_add_f64_e32 v[186:187], v[198:199], v[196:197]
	v_fmac_f64_e32 v[190:191], v[6:7], v[140:141]
	v_fma_f64 v[196:197], v[4:5], v[140:141], -v[142:143]
	ds_load_b128 v[4:7], v2 offset:1168
	s_wait_loadcnt_dscnt 0xb01
	v_mul_f64_e32 v[194:195], v[176:177], v[146:147]
	v_mul_f64_e32 v[146:147], v[178:179], v[146:147]
	scratch_load_b128 v[140:143], off, off offset:384
	v_add_f64_e32 v[188:189], v[188:189], v[192:193]
	s_wait_loadcnt_dscnt 0xb00
	v_mul_f64_e32 v[192:193], v[4:5], v[150:151]
	v_add_f64_e32 v[198:199], v[186:187], v[184:185]
	v_mul_f64_e32 v[150:151], v[6:7], v[150:151]
	ds_load_b128 v[184:187], v2 offset:1184
	v_fmac_f64_e32 v[194:195], v[178:179], v[144:145]
	v_fma_f64 v[176:177], v[176:177], v[144:145], -v[146:147]
	scratch_load_b128 v[144:147], off, off offset:400
	v_add_f64_e32 v[188:189], v[188:189], v[190:191]
	v_fmac_f64_e32 v[192:193], v[6:7], v[148:149]
	v_add_f64_e32 v[178:179], v[198:199], v[196:197]
	v_fma_f64 v[196:197], v[4:5], v[148:149], -v[150:151]
	ds_load_b128 v[4:7], v2 offset:1200
	s_wait_loadcnt_dscnt 0xb01
	v_mul_f64_e32 v[190:191], v[184:185], v[154:155]
	v_mul_f64_e32 v[154:155], v[186:187], v[154:155]
	scratch_load_b128 v[148:151], off, off offset:416
	v_add_f64_e32 v[188:189], v[188:189], v[194:195]
	s_wait_loadcnt_dscnt 0xb00
	v_mul_f64_e32 v[194:195], v[4:5], v[158:159]
	v_add_f64_e32 v[198:199], v[178:179], v[176:177]
	v_mul_f64_e32 v[158:159], v[6:7], v[158:159]
	ds_load_b128 v[176:179], v2 offset:1216
	v_fmac_f64_e32 v[190:191], v[186:187], v[152:153]
	v_fma_f64 v[184:185], v[184:185], v[152:153], -v[154:155]
	scratch_load_b128 v[152:155], off, off offset:432
	v_add_f64_e32 v[188:189], v[188:189], v[192:193]
	v_fmac_f64_e32 v[194:195], v[6:7], v[156:157]
	v_add_f64_e32 v[186:187], v[198:199], v[196:197]
	;; [unrolled: 18-line block ×3, first 2 shown]
	v_fma_f64 v[196:197], v[4:5], v[168:169], -v[170:171]
	ds_load_b128 v[4:7], v2 offset:1264
	s_wait_loadcnt_dscnt 0xa01
	v_mul_f64_e32 v[194:195], v[184:185], v[182:183]
	v_mul_f64_e32 v[182:183], v[186:187], v[182:183]
	scratch_load_b128 v[168:171], off, off offset:480
	v_add_f64_e32 v[188:189], v[188:189], v[192:193]
	v_add_f64_e32 v[198:199], v[178:179], v[176:177]
	s_wait_loadcnt_dscnt 0xa00
	v_mul_f64_e32 v[192:193], v[4:5], v[166:167]
	v_mul_f64_e32 v[166:167], v[6:7], v[166:167]
	v_fmac_f64_e32 v[194:195], v[186:187], v[180:181]
	v_fma_f64 v[184:185], v[184:185], v[180:181], -v[182:183]
	ds_load_b128 v[176:179], v2 offset:1280
	scratch_load_b128 v[180:183], off, off offset:496
	v_add_f64_e32 v[188:189], v[188:189], v[190:191]
	v_add_f64_e32 v[186:187], v[198:199], v[196:197]
	v_fmac_f64_e32 v[192:193], v[6:7], v[164:165]
	v_fma_f64 v[196:197], v[4:5], v[164:165], -v[166:167]
	ds_load_b128 v[4:7], v2 offset:1296
	s_wait_loadcnt_dscnt 0xa01
	v_mul_f64_e32 v[190:191], v[176:177], v[12:13]
	v_mul_f64_e32 v[12:13], v[178:179], v[12:13]
	scratch_load_b128 v[164:167], off, off offset:512
	v_add_f64_e32 v[188:189], v[188:189], v[194:195]
	s_wait_loadcnt_dscnt 0xa00
	v_mul_f64_e32 v[194:195], v[4:5], v[134:135]
	v_add_f64_e32 v[198:199], v[186:187], v[184:185]
	v_mul_f64_e32 v[134:135], v[6:7], v[134:135]
	ds_load_b128 v[184:187], v2 offset:1312
	v_fmac_f64_e32 v[190:191], v[178:179], v[10:11]
	v_fma_f64 v[176:177], v[176:177], v[10:11], -v[12:13]
	scratch_load_b128 v[10:13], off, off offset:528
	v_add_f64_e32 v[188:189], v[188:189], v[192:193]
	v_fmac_f64_e32 v[194:195], v[6:7], v[132:133]
	v_add_f64_e32 v[178:179], v[198:199], v[196:197]
	v_fma_f64 v[196:197], v[4:5], v[132:133], -v[134:135]
	ds_load_b128 v[4:7], v2 offset:1328
	s_wait_loadcnt_dscnt 0xa01
	v_mul_f64_e32 v[192:193], v[184:185], v[138:139]
	v_mul_f64_e32 v[138:139], v[186:187], v[138:139]
	scratch_load_b128 v[132:135], off, off offset:544
	v_add_f64_e32 v[188:189], v[188:189], v[190:191]
	s_wait_loadcnt_dscnt 0xa00
	v_mul_f64_e32 v[190:191], v[4:5], v[142:143]
	v_add_f64_e32 v[198:199], v[178:179], v[176:177]
	v_mul_f64_e32 v[142:143], v[6:7], v[142:143]
	ds_load_b128 v[176:179], v2 offset:1344
	v_fmac_f64_e32 v[192:193], v[186:187], v[136:137]
	v_fma_f64 v[184:185], v[184:185], v[136:137], -v[138:139]
	scratch_load_b128 v[136:139], off, off offset:560
	v_add_f64_e32 v[188:189], v[188:189], v[194:195]
	v_fmac_f64_e32 v[190:191], v[6:7], v[140:141]
	v_add_f64_e32 v[186:187], v[198:199], v[196:197]
	;; [unrolled: 18-line block ×13, first 2 shown]
	v_fma_f64 v[196:197], v[4:5], v[132:133], -v[134:135]
	ds_load_b128 v[4:7], v2 offset:1712
	s_wait_loadcnt_dscnt 0xa01
	v_mul_f64_e32 v[192:193], v[184:185], v[138:139]
	v_mul_f64_e32 v[138:139], v[186:187], v[138:139]
	scratch_load_b128 v[132:135], off, off offset:928
	v_add_f64_e32 v[188:189], v[188:189], v[190:191]
	s_wait_loadcnt_dscnt 0xa00
	v_mul_f64_e32 v[190:191], v[4:5], v[142:143]
	v_add_f64_e32 v[198:199], v[178:179], v[176:177]
	v_mul_f64_e32 v[142:143], v[6:7], v[142:143]
	ds_load_b128 v[176:179], v2 offset:1728
	v_fmac_f64_e32 v[192:193], v[186:187], v[136:137]
	v_fma_f64 v[136:137], v[184:185], v[136:137], -v[138:139]
	s_wait_loadcnt_dscnt 0x900
	v_mul_f64_e32 v[186:187], v[176:177], v[146:147]
	v_mul_f64_e32 v[146:147], v[178:179], v[146:147]
	v_add_f64_e32 v[184:185], v[188:189], v[194:195]
	v_fmac_f64_e32 v[190:191], v[6:7], v[140:141]
	v_add_f64_e32 v[138:139], v[198:199], v[196:197]
	v_fma_f64 v[140:141], v[4:5], v[140:141], -v[142:143]
	v_fmac_f64_e32 v[186:187], v[178:179], v[144:145]
	v_fma_f64 v[144:145], v[176:177], v[144:145], -v[146:147]
	v_add_f64_e32 v[184:185], v[184:185], v[192:193]
	v_add_f64_e32 v[142:143], v[138:139], v[136:137]
	ds_load_b128 v[4:7], v2 offset:1744
	ds_load_b128 v[136:139], v2 offset:1760
	s_wait_loadcnt_dscnt 0x801
	v_mul_f64_e32 v[188:189], v[4:5], v[150:151]
	v_mul_f64_e32 v[150:151], v[6:7], v[150:151]
	s_wait_loadcnt_dscnt 0x700
	v_mul_f64_e32 v[146:147], v[136:137], v[154:155]
	v_mul_f64_e32 v[154:155], v[138:139], v[154:155]
	v_add_f64_e32 v[140:141], v[142:143], v[140:141]
	v_add_f64_e32 v[142:143], v[184:185], v[190:191]
	v_fmac_f64_e32 v[188:189], v[6:7], v[148:149]
	v_fma_f64 v[148:149], v[4:5], v[148:149], -v[150:151]
	v_fmac_f64_e32 v[146:147], v[138:139], v[152:153]
	v_fma_f64 v[136:137], v[136:137], v[152:153], -v[154:155]
	v_add_f64_e32 v[144:145], v[140:141], v[144:145]
	v_add_f64_e32 v[150:151], v[142:143], v[186:187]
	ds_load_b128 v[4:7], v2 offset:1776
	ds_load_b128 v[140:143], v2 offset:1792
	s_wait_loadcnt_dscnt 0x601
	v_mul_f64_e32 v[176:177], v[4:5], v[158:159]
	v_mul_f64_e32 v[158:159], v[6:7], v[158:159]
	v_add_f64_e32 v[138:139], v[144:145], v[148:149]
	v_add_f64_e32 v[144:145], v[150:151], v[188:189]
	s_wait_loadcnt_dscnt 0x500
	v_mul_f64_e32 v[148:149], v[140:141], v[162:163]
	v_mul_f64_e32 v[150:151], v[142:143], v[162:163]
	v_fmac_f64_e32 v[176:177], v[6:7], v[156:157]
	v_fma_f64 v[152:153], v[4:5], v[156:157], -v[158:159]
	v_add_f64_e32 v[154:155], v[138:139], v[136:137]
	v_add_f64_e32 v[144:145], v[144:145], v[146:147]
	ds_load_b128 v[4:7], v2 offset:1808
	ds_load_b128 v[136:139], v2 offset:1824
	v_fmac_f64_e32 v[148:149], v[142:143], v[160:161]
	v_fma_f64 v[140:141], v[140:141], v[160:161], -v[150:151]
	s_wait_loadcnt_dscnt 0x401
	v_mul_f64_e32 v[146:147], v[4:5], v[170:171]
	v_mul_f64_e32 v[156:157], v[6:7], v[170:171]
	s_wait_loadcnt_dscnt 0x300
	v_mul_f64_e32 v[150:151], v[136:137], v[182:183]
	v_add_f64_e32 v[142:143], v[154:155], v[152:153]
	v_add_f64_e32 v[144:145], v[144:145], v[176:177]
	v_mul_f64_e32 v[152:153], v[138:139], v[182:183]
	v_fmac_f64_e32 v[146:147], v[6:7], v[168:169]
	v_fma_f64 v[154:155], v[4:5], v[168:169], -v[156:157]
	v_fmac_f64_e32 v[150:151], v[138:139], v[180:181]
	v_add_f64_e32 v[156:157], v[142:143], v[140:141]
	v_add_f64_e32 v[144:145], v[144:145], v[148:149]
	ds_load_b128 v[4:7], v2 offset:1840
	ds_load_b128 v[140:143], v2 offset:1856
	v_fma_f64 v[136:137], v[136:137], v[180:181], -v[152:153]
	s_wait_loadcnt_dscnt 0x201
	v_mul_f64_e32 v[148:149], v[4:5], v[166:167]
	v_mul_f64_e32 v[158:159], v[6:7], v[166:167]
	v_add_f64_e32 v[138:139], v[156:157], v[154:155]
	v_add_f64_e32 v[144:145], v[144:145], v[146:147]
	s_wait_loadcnt_dscnt 0x100
	v_mul_f64_e32 v[146:147], v[140:141], v[12:13]
	v_mul_f64_e32 v[12:13], v[142:143], v[12:13]
	v_fmac_f64_e32 v[148:149], v[6:7], v[164:165]
	v_fma_f64 v[152:153], v[4:5], v[164:165], -v[158:159]
	ds_load_b128 v[4:7], v2 offset:1872
	v_add_f64_e32 v[136:137], v[138:139], v[136:137]
	v_add_f64_e32 v[138:139], v[144:145], v[150:151]
	v_fmac_f64_e32 v[146:147], v[142:143], v[10:11]
	v_fma_f64 v[10:11], v[140:141], v[10:11], -v[12:13]
	s_wait_loadcnt_dscnt 0x0
	v_mul_f64_e32 v[144:145], v[4:5], v[134:135]
	v_mul_f64_e32 v[134:135], v[6:7], v[134:135]
	v_add_f64_e32 v[12:13], v[136:137], v[152:153]
	v_add_f64_e32 v[136:137], v[138:139], v[148:149]
	s_delay_alu instid0(VALU_DEP_4) | instskip(NEXT) | instid1(VALU_DEP_4)
	v_fmac_f64_e32 v[144:145], v[6:7], v[132:133]
	v_fma_f64 v[4:5], v[4:5], v[132:133], -v[134:135]
	s_delay_alu instid0(VALU_DEP_4) | instskip(NEXT) | instid1(VALU_DEP_4)
	v_add_f64_e32 v[6:7], v[12:13], v[10:11]
	v_add_f64_e32 v[10:11], v[136:137], v[146:147]
	s_delay_alu instid0(VALU_DEP_2) | instskip(NEXT) | instid1(VALU_DEP_2)
	v_add_f64_e32 v[4:5], v[6:7], v[4:5]
	v_add_f64_e32 v[6:7], v[10:11], v[144:145]
	s_delay_alu instid0(VALU_DEP_2) | instskip(NEXT) | instid1(VALU_DEP_2)
	v_add_f64_e64 v[4:5], v[172:173], -v[4:5]
	v_add_f64_e64 v[6:7], v[174:175], -v[6:7]
	scratch_store_b128 off, v[4:7], off offset:112
	s_wait_xcnt 0x0
	v_cmpx_lt_u32_e32 6, v1
	s_cbranch_execz .LBB58_355
; %bb.354:
	scratch_load_b128 v[10:13], off, s69
	v_dual_mov_b32 v3, v2 :: v_dual_mov_b32 v4, v2
	v_mov_b32_e32 v5, v2
	scratch_store_b128 off, v[2:5], off offset:96
	s_wait_loadcnt 0x0
	ds_store_b128 v8, v[10:13]
.LBB58_355:
	s_wait_xcnt 0x0
	s_or_b32 exec_lo, exec_lo, s2
	s_wait_storecnt_dscnt 0x0
	s_barrier_signal -1
	s_barrier_wait -1
	s_clause 0x9
	scratch_load_b128 v[4:7], off, off offset:112
	scratch_load_b128 v[10:13], off, off offset:128
	;; [unrolled: 1-line block ×10, first 2 shown]
	ds_load_b128 v[164:167], v2 offset:1056
	ds_load_b128 v[172:175], v2 offset:1072
	s_clause 0x2
	scratch_load_b128 v[168:171], off, off offset:272
	scratch_load_b128 v[176:179], off, off offset:96
	;; [unrolled: 1-line block ×3, first 2 shown]
	s_mov_b32 s2, exec_lo
	s_wait_loadcnt_dscnt 0xc01
	v_mul_f64_e32 v[184:185], v[166:167], v[6:7]
	v_mul_f64_e32 v[188:189], v[164:165], v[6:7]
	s_wait_loadcnt_dscnt 0xb00
	v_mul_f64_e32 v[190:191], v[172:173], v[12:13]
	v_mul_f64_e32 v[12:13], v[174:175], v[12:13]
	s_delay_alu instid0(VALU_DEP_4) | instskip(NEXT) | instid1(VALU_DEP_4)
	v_fma_f64 v[192:193], v[164:165], v[4:5], -v[184:185]
	v_fmac_f64_e32 v[188:189], v[166:167], v[4:5]
	ds_load_b128 v[4:7], v2 offset:1088
	ds_load_b128 v[164:167], v2 offset:1104
	scratch_load_b128 v[184:187], off, off offset:304
	v_fmac_f64_e32 v[190:191], v[174:175], v[10:11]
	v_fma_f64 v[172:173], v[172:173], v[10:11], -v[12:13]
	scratch_load_b128 v[10:13], off, off offset:320
	s_wait_loadcnt_dscnt 0xc01
	v_mul_f64_e32 v[194:195], v[4:5], v[134:135]
	v_mul_f64_e32 v[134:135], v[6:7], v[134:135]
	v_add_f64_e32 v[174:175], 0, v[192:193]
	v_add_f64_e32 v[188:189], 0, v[188:189]
	s_wait_loadcnt_dscnt 0xb00
	v_mul_f64_e32 v[192:193], v[164:165], v[138:139]
	v_mul_f64_e32 v[138:139], v[166:167], v[138:139]
	v_fmac_f64_e32 v[194:195], v[6:7], v[132:133]
	v_fma_f64 v[196:197], v[4:5], v[132:133], -v[134:135]
	ds_load_b128 v[4:7], v2 offset:1120
	ds_load_b128 v[132:135], v2 offset:1136
	v_add_f64_e32 v[198:199], v[174:175], v[172:173]
	v_add_f64_e32 v[188:189], v[188:189], v[190:191]
	scratch_load_b128 v[172:175], off, off offset:336
	v_fmac_f64_e32 v[192:193], v[166:167], v[136:137]
	v_fma_f64 v[164:165], v[164:165], v[136:137], -v[138:139]
	scratch_load_b128 v[136:139], off, off offset:352
	s_wait_loadcnt_dscnt 0xc01
	v_mul_f64_e32 v[190:191], v[4:5], v[142:143]
	v_mul_f64_e32 v[142:143], v[6:7], v[142:143]
	v_add_f64_e32 v[166:167], v[198:199], v[196:197]
	v_add_f64_e32 v[188:189], v[188:189], v[194:195]
	s_wait_loadcnt_dscnt 0xb00
	v_mul_f64_e32 v[194:195], v[132:133], v[146:147]
	v_mul_f64_e32 v[146:147], v[134:135], v[146:147]
	v_fmac_f64_e32 v[190:191], v[6:7], v[140:141]
	v_fma_f64 v[196:197], v[4:5], v[140:141], -v[142:143]
	ds_load_b128 v[4:7], v2 offset:1152
	ds_load_b128 v[140:143], v2 offset:1168
	v_add_f64_e32 v[198:199], v[166:167], v[164:165]
	v_add_f64_e32 v[188:189], v[188:189], v[192:193]
	scratch_load_b128 v[164:167], off, off offset:368
	s_wait_loadcnt_dscnt 0xb01
	v_mul_f64_e32 v[192:193], v[4:5], v[150:151]
	v_mul_f64_e32 v[150:151], v[6:7], v[150:151]
	v_fmac_f64_e32 v[194:195], v[134:135], v[144:145]
	v_fma_f64 v[144:145], v[132:133], v[144:145], -v[146:147]
	scratch_load_b128 v[132:135], off, off offset:384
	v_add_f64_e32 v[146:147], v[198:199], v[196:197]
	v_add_f64_e32 v[188:189], v[188:189], v[190:191]
	s_wait_loadcnt_dscnt 0xb00
	v_mul_f64_e32 v[190:191], v[140:141], v[154:155]
	v_mul_f64_e32 v[154:155], v[142:143], v[154:155]
	v_fmac_f64_e32 v[192:193], v[6:7], v[148:149]
	v_fma_f64 v[196:197], v[4:5], v[148:149], -v[150:151]
	v_add_f64_e32 v[198:199], v[146:147], v[144:145]
	v_add_f64_e32 v[188:189], v[188:189], v[194:195]
	ds_load_b128 v[4:7], v2 offset:1184
	ds_load_b128 v[144:147], v2 offset:1200
	scratch_load_b128 v[148:151], off, off offset:400
	v_fmac_f64_e32 v[190:191], v[142:143], v[152:153]
	v_fma_f64 v[152:153], v[140:141], v[152:153], -v[154:155]
	scratch_load_b128 v[140:143], off, off offset:416
	s_wait_loadcnt_dscnt 0xc01
	v_mul_f64_e32 v[194:195], v[4:5], v[158:159]
	v_mul_f64_e32 v[158:159], v[6:7], v[158:159]
	v_add_f64_e32 v[154:155], v[198:199], v[196:197]
	v_add_f64_e32 v[188:189], v[188:189], v[192:193]
	s_wait_loadcnt_dscnt 0xb00
	v_mul_f64_e32 v[192:193], v[144:145], v[162:163]
	v_mul_f64_e32 v[162:163], v[146:147], v[162:163]
	v_fmac_f64_e32 v[194:195], v[6:7], v[156:157]
	v_fma_f64 v[196:197], v[4:5], v[156:157], -v[158:159]
	v_add_f64_e32 v[198:199], v[154:155], v[152:153]
	v_add_f64_e32 v[188:189], v[188:189], v[190:191]
	ds_load_b128 v[4:7], v2 offset:1216
	ds_load_b128 v[152:155], v2 offset:1232
	scratch_load_b128 v[156:159], off, off offset:432
	v_fmac_f64_e32 v[192:193], v[146:147], v[160:161]
	v_fma_f64 v[160:161], v[144:145], v[160:161], -v[162:163]
	scratch_load_b128 v[144:147], off, off offset:448
	s_wait_loadcnt_dscnt 0xc01
	v_mul_f64_e32 v[190:191], v[4:5], v[170:171]
	v_mul_f64_e32 v[170:171], v[6:7], v[170:171]
	;; [unrolled: 18-line block ×5, first 2 shown]
	v_add_f64_e32 v[182:183], v[198:199], v[196:197]
	v_add_f64_e32 v[188:189], v[188:189], v[194:195]
	s_wait_loadcnt_dscnt 0xa00
	v_mul_f64_e32 v[194:195], v[160:161], v[134:135]
	v_mul_f64_e32 v[134:135], v[162:163], v[134:135]
	v_fmac_f64_e32 v[190:191], v[6:7], v[164:165]
	v_fma_f64 v[196:197], v[4:5], v[164:165], -v[166:167]
	ds_load_b128 v[4:7], v2 offset:1344
	ds_load_b128 v[164:167], v2 offset:1360
	v_add_f64_e32 v[198:199], v[182:183], v[180:181]
	v_add_f64_e32 v[188:189], v[188:189], v[192:193]
	scratch_load_b128 v[180:183], off, off offset:560
	v_fmac_f64_e32 v[194:195], v[162:163], v[132:133]
	v_fma_f64 v[160:161], v[160:161], v[132:133], -v[134:135]
	scratch_load_b128 v[132:135], off, off offset:576
	s_wait_loadcnt_dscnt 0xb01
	v_mul_f64_e32 v[192:193], v[4:5], v[150:151]
	v_mul_f64_e32 v[150:151], v[6:7], v[150:151]
	v_add_f64_e32 v[162:163], v[198:199], v[196:197]
	v_add_f64_e32 v[188:189], v[188:189], v[190:191]
	s_wait_loadcnt_dscnt 0xa00
	v_mul_f64_e32 v[190:191], v[164:165], v[142:143]
	v_mul_f64_e32 v[142:143], v[166:167], v[142:143]
	v_fmac_f64_e32 v[192:193], v[6:7], v[148:149]
	v_fma_f64 v[196:197], v[4:5], v[148:149], -v[150:151]
	ds_load_b128 v[4:7], v2 offset:1376
	ds_load_b128 v[148:151], v2 offset:1392
	v_add_f64_e32 v[198:199], v[162:163], v[160:161]
	v_add_f64_e32 v[188:189], v[188:189], v[194:195]
	scratch_load_b128 v[160:163], off, off offset:592
	s_wait_loadcnt_dscnt 0xa01
	v_mul_f64_e32 v[194:195], v[4:5], v[158:159]
	v_mul_f64_e32 v[158:159], v[6:7], v[158:159]
	v_fmac_f64_e32 v[190:191], v[166:167], v[140:141]
	v_fma_f64 v[164:165], v[164:165], v[140:141], -v[142:143]
	scratch_load_b128 v[140:143], off, off offset:608
	v_add_f64_e32 v[166:167], v[198:199], v[196:197]
	v_add_f64_e32 v[188:189], v[188:189], v[192:193]
	s_wait_loadcnt_dscnt 0xa00
	v_mul_f64_e32 v[192:193], v[148:149], v[146:147]
	v_mul_f64_e32 v[146:147], v[150:151], v[146:147]
	v_fmac_f64_e32 v[194:195], v[6:7], v[156:157]
	v_fma_f64 v[196:197], v[4:5], v[156:157], -v[158:159]
	ds_load_b128 v[4:7], v2 offset:1408
	ds_load_b128 v[156:159], v2 offset:1424
	v_add_f64_e32 v[198:199], v[166:167], v[164:165]
	v_add_f64_e32 v[188:189], v[188:189], v[190:191]
	scratch_load_b128 v[164:167], off, off offset:624
	s_wait_loadcnt_dscnt 0xa01
	v_mul_f64_e32 v[190:191], v[4:5], v[170:171]
	v_mul_f64_e32 v[170:171], v[6:7], v[170:171]
	v_fmac_f64_e32 v[192:193], v[150:151], v[144:145]
	v_fma_f64 v[148:149], v[148:149], v[144:145], -v[146:147]
	scratch_load_b128 v[144:147], off, off offset:640
	v_add_f64_e32 v[150:151], v[198:199], v[196:197]
	v_add_f64_e32 v[188:189], v[188:189], v[194:195]
	s_wait_loadcnt_dscnt 0xa00
	v_mul_f64_e32 v[194:195], v[156:157], v[154:155]
	v_mul_f64_e32 v[154:155], v[158:159], v[154:155]
	v_fmac_f64_e32 v[190:191], v[6:7], v[168:169]
	v_fma_f64 v[196:197], v[4:5], v[168:169], -v[170:171]
	v_add_f64_e32 v[198:199], v[150:151], v[148:149]
	v_add_f64_e32 v[188:189], v[188:189], v[192:193]
	ds_load_b128 v[4:7], v2 offset:1440
	ds_load_b128 v[148:151], v2 offset:1456
	scratch_load_b128 v[168:171], off, off offset:656
	v_fmac_f64_e32 v[194:195], v[158:159], v[152:153]
	v_fma_f64 v[156:157], v[156:157], v[152:153], -v[154:155]
	scratch_load_b128 v[152:155], off, off offset:672
	s_wait_loadcnt_dscnt 0xb01
	v_mul_f64_e32 v[192:193], v[4:5], v[186:187]
	v_mul_f64_e32 v[186:187], v[6:7], v[186:187]
	v_add_f64_e32 v[158:159], v[198:199], v[196:197]
	v_add_f64_e32 v[188:189], v[188:189], v[190:191]
	s_wait_loadcnt_dscnt 0xa00
	v_mul_f64_e32 v[190:191], v[148:149], v[12:13]
	v_mul_f64_e32 v[12:13], v[150:151], v[12:13]
	v_fmac_f64_e32 v[192:193], v[6:7], v[184:185]
	v_fma_f64 v[196:197], v[4:5], v[184:185], -v[186:187]
	v_add_f64_e32 v[198:199], v[158:159], v[156:157]
	v_add_f64_e32 v[188:189], v[188:189], v[194:195]
	ds_load_b128 v[4:7], v2 offset:1472
	ds_load_b128 v[156:159], v2 offset:1488
	scratch_load_b128 v[184:187], off, off offset:688
	v_fmac_f64_e32 v[190:191], v[150:151], v[10:11]
	v_fma_f64 v[148:149], v[148:149], v[10:11], -v[12:13]
	scratch_load_b128 v[10:13], off, off offset:704
	s_wait_loadcnt_dscnt 0xb01
	v_mul_f64_e32 v[194:195], v[4:5], v[174:175]
	v_mul_f64_e32 v[174:175], v[6:7], v[174:175]
	v_add_f64_e32 v[150:151], v[198:199], v[196:197]
	v_add_f64_e32 v[188:189], v[188:189], v[192:193]
	s_wait_loadcnt_dscnt 0xa00
	v_mul_f64_e32 v[192:193], v[156:157], v[138:139]
	v_mul_f64_e32 v[138:139], v[158:159], v[138:139]
	v_fmac_f64_e32 v[194:195], v[6:7], v[172:173]
	v_fma_f64 v[196:197], v[4:5], v[172:173], -v[174:175]
	v_add_f64_e32 v[198:199], v[150:151], v[148:149]
	v_add_f64_e32 v[188:189], v[188:189], v[190:191]
	ds_load_b128 v[4:7], v2 offset:1504
	ds_load_b128 v[148:151], v2 offset:1520
	scratch_load_b128 v[172:175], off, off offset:720
	v_fmac_f64_e32 v[192:193], v[158:159], v[136:137]
	v_fma_f64 v[156:157], v[156:157], v[136:137], -v[138:139]
	scratch_load_b128 v[136:139], off, off offset:736
	s_wait_loadcnt_dscnt 0xb01
	v_mul_f64_e32 v[190:191], v[4:5], v[182:183]
	v_mul_f64_e32 v[182:183], v[6:7], v[182:183]
	v_add_f64_e32 v[158:159], v[198:199], v[196:197]
	v_add_f64_e32 v[188:189], v[188:189], v[194:195]
	s_wait_loadcnt_dscnt 0xa00
	v_mul_f64_e32 v[194:195], v[148:149], v[134:135]
	v_mul_f64_e32 v[134:135], v[150:151], v[134:135]
	v_fmac_f64_e32 v[190:191], v[6:7], v[180:181]
	v_fma_f64 v[196:197], v[4:5], v[180:181], -v[182:183]
	v_add_f64_e32 v[198:199], v[158:159], v[156:157]
	v_add_f64_e32 v[188:189], v[188:189], v[192:193]
	ds_load_b128 v[4:7], v2 offset:1536
	ds_load_b128 v[156:159], v2 offset:1552
	scratch_load_b128 v[180:183], off, off offset:752
	v_fmac_f64_e32 v[194:195], v[150:151], v[132:133]
	v_fma_f64 v[148:149], v[148:149], v[132:133], -v[134:135]
	scratch_load_b128 v[132:135], off, off offset:768
	s_wait_loadcnt_dscnt 0xb01
	v_mul_f64_e32 v[192:193], v[4:5], v[162:163]
	v_mul_f64_e32 v[162:163], v[6:7], v[162:163]
	v_add_f64_e32 v[150:151], v[198:199], v[196:197]
	v_add_f64_e32 v[188:189], v[188:189], v[190:191]
	s_wait_loadcnt_dscnt 0xa00
	v_mul_f64_e32 v[190:191], v[156:157], v[142:143]
	v_mul_f64_e32 v[142:143], v[158:159], v[142:143]
	v_fmac_f64_e32 v[192:193], v[6:7], v[160:161]
	v_fma_f64 v[196:197], v[4:5], v[160:161], -v[162:163]
	v_add_f64_e32 v[198:199], v[150:151], v[148:149]
	v_add_f64_e32 v[188:189], v[188:189], v[194:195]
	ds_load_b128 v[4:7], v2 offset:1568
	ds_load_b128 v[148:151], v2 offset:1584
	scratch_load_b128 v[160:163], off, off offset:784
	v_fmac_f64_e32 v[190:191], v[158:159], v[140:141]
	v_fma_f64 v[156:157], v[156:157], v[140:141], -v[142:143]
	scratch_load_b128 v[140:143], off, off offset:800
	s_wait_loadcnt_dscnt 0xb01
	v_mul_f64_e32 v[194:195], v[4:5], v[166:167]
	v_mul_f64_e32 v[166:167], v[6:7], v[166:167]
	v_add_f64_e32 v[158:159], v[198:199], v[196:197]
	v_add_f64_e32 v[188:189], v[188:189], v[192:193]
	s_wait_loadcnt_dscnt 0xa00
	v_mul_f64_e32 v[192:193], v[148:149], v[146:147]
	v_mul_f64_e32 v[146:147], v[150:151], v[146:147]
	v_fmac_f64_e32 v[194:195], v[6:7], v[164:165]
	v_fma_f64 v[196:197], v[4:5], v[164:165], -v[166:167]
	v_add_f64_e32 v[198:199], v[158:159], v[156:157]
	v_add_f64_e32 v[188:189], v[188:189], v[190:191]
	ds_load_b128 v[4:7], v2 offset:1600
	ds_load_b128 v[156:159], v2 offset:1616
	scratch_load_b128 v[164:167], off, off offset:816
	v_fmac_f64_e32 v[192:193], v[150:151], v[144:145]
	v_fma_f64 v[148:149], v[148:149], v[144:145], -v[146:147]
	scratch_load_b128 v[144:147], off, off offset:832
	s_wait_loadcnt_dscnt 0xb01
	v_mul_f64_e32 v[190:191], v[4:5], v[170:171]
	v_mul_f64_e32 v[170:171], v[6:7], v[170:171]
	v_add_f64_e32 v[150:151], v[198:199], v[196:197]
	v_add_f64_e32 v[188:189], v[188:189], v[194:195]
	s_wait_loadcnt_dscnt 0xa00
	v_mul_f64_e32 v[194:195], v[156:157], v[154:155]
	v_mul_f64_e32 v[154:155], v[158:159], v[154:155]
	v_fmac_f64_e32 v[190:191], v[6:7], v[168:169]
	v_fma_f64 v[196:197], v[4:5], v[168:169], -v[170:171]
	v_add_f64_e32 v[198:199], v[150:151], v[148:149]
	v_add_f64_e32 v[188:189], v[188:189], v[192:193]
	ds_load_b128 v[4:7], v2 offset:1632
	ds_load_b128 v[148:151], v2 offset:1648
	scratch_load_b128 v[168:171], off, off offset:848
	v_fmac_f64_e32 v[194:195], v[158:159], v[152:153]
	v_fma_f64 v[156:157], v[156:157], v[152:153], -v[154:155]
	scratch_load_b128 v[152:155], off, off offset:864
	s_wait_loadcnt_dscnt 0xb01
	v_mul_f64_e32 v[192:193], v[4:5], v[186:187]
	v_mul_f64_e32 v[186:187], v[6:7], v[186:187]
	v_add_f64_e32 v[158:159], v[198:199], v[196:197]
	v_add_f64_e32 v[188:189], v[188:189], v[190:191]
	s_wait_loadcnt_dscnt 0xa00
	v_mul_f64_e32 v[190:191], v[148:149], v[12:13]
	v_mul_f64_e32 v[12:13], v[150:151], v[12:13]
	v_fmac_f64_e32 v[192:193], v[6:7], v[184:185]
	v_fma_f64 v[196:197], v[4:5], v[184:185], -v[186:187]
	v_add_f64_e32 v[198:199], v[158:159], v[156:157]
	v_add_f64_e32 v[188:189], v[188:189], v[194:195]
	ds_load_b128 v[4:7], v2 offset:1664
	ds_load_b128 v[156:159], v2 offset:1680
	scratch_load_b128 v[184:187], off, off offset:880
	v_fmac_f64_e32 v[190:191], v[150:151], v[10:11]
	v_fma_f64 v[148:149], v[148:149], v[10:11], -v[12:13]
	scratch_load_b128 v[10:13], off, off offset:896
	s_wait_loadcnt_dscnt 0xb01
	v_mul_f64_e32 v[194:195], v[4:5], v[174:175]
	v_mul_f64_e32 v[174:175], v[6:7], v[174:175]
	v_add_f64_e32 v[150:151], v[198:199], v[196:197]
	v_add_f64_e32 v[188:189], v[188:189], v[192:193]
	s_wait_loadcnt_dscnt 0xa00
	v_mul_f64_e32 v[192:193], v[156:157], v[138:139]
	v_mul_f64_e32 v[138:139], v[158:159], v[138:139]
	v_fmac_f64_e32 v[194:195], v[6:7], v[172:173]
	v_fma_f64 v[196:197], v[4:5], v[172:173], -v[174:175]
	v_add_f64_e32 v[198:199], v[150:151], v[148:149]
	v_add_f64_e32 v[188:189], v[188:189], v[190:191]
	ds_load_b128 v[4:7], v2 offset:1696
	ds_load_b128 v[148:151], v2 offset:1712
	scratch_load_b128 v[172:175], off, off offset:912
	v_fmac_f64_e32 v[192:193], v[158:159], v[136:137]
	v_fma_f64 v[156:157], v[156:157], v[136:137], -v[138:139]
	scratch_load_b128 v[136:139], off, off offset:928
	s_wait_loadcnt_dscnt 0xb01
	v_mul_f64_e32 v[190:191], v[4:5], v[182:183]
	v_mul_f64_e32 v[182:183], v[6:7], v[182:183]
	v_add_f64_e32 v[158:159], v[198:199], v[196:197]
	v_add_f64_e32 v[188:189], v[188:189], v[194:195]
	s_wait_loadcnt_dscnt 0xa00
	v_mul_f64_e32 v[194:195], v[148:149], v[134:135]
	v_mul_f64_e32 v[134:135], v[150:151], v[134:135]
	v_fmac_f64_e32 v[190:191], v[6:7], v[180:181]
	v_fma_f64 v[180:181], v[4:5], v[180:181], -v[182:183]
	v_add_f64_e32 v[182:183], v[158:159], v[156:157]
	v_add_f64_e32 v[188:189], v[188:189], v[192:193]
	ds_load_b128 v[4:7], v2 offset:1728
	ds_load_b128 v[156:159], v2 offset:1744
	v_fmac_f64_e32 v[194:195], v[150:151], v[132:133]
	v_fma_f64 v[132:133], v[148:149], v[132:133], -v[134:135]
	s_wait_loadcnt_dscnt 0x901
	v_mul_f64_e32 v[192:193], v[4:5], v[162:163]
	v_mul_f64_e32 v[162:163], v[6:7], v[162:163]
	s_wait_loadcnt_dscnt 0x800
	v_mul_f64_e32 v[150:151], v[156:157], v[142:143]
	v_mul_f64_e32 v[142:143], v[158:159], v[142:143]
	v_add_f64_e32 v[134:135], v[182:183], v[180:181]
	v_add_f64_e32 v[148:149], v[188:189], v[190:191]
	v_fmac_f64_e32 v[192:193], v[6:7], v[160:161]
	v_fma_f64 v[160:161], v[4:5], v[160:161], -v[162:163]
	v_fmac_f64_e32 v[150:151], v[158:159], v[140:141]
	v_fma_f64 v[140:141], v[156:157], v[140:141], -v[142:143]
	v_add_f64_e32 v[162:163], v[134:135], v[132:133]
	v_add_f64_e32 v[148:149], v[148:149], v[194:195]
	ds_load_b128 v[4:7], v2 offset:1760
	ds_load_b128 v[132:135], v2 offset:1776
	s_wait_loadcnt_dscnt 0x701
	v_mul_f64_e32 v[180:181], v[4:5], v[166:167]
	v_mul_f64_e32 v[166:167], v[6:7], v[166:167]
	s_wait_loadcnt_dscnt 0x600
	v_mul_f64_e32 v[156:157], v[132:133], v[146:147]
	v_mul_f64_e32 v[146:147], v[134:135], v[146:147]
	v_add_f64_e32 v[142:143], v[162:163], v[160:161]
	v_add_f64_e32 v[148:149], v[148:149], v[192:193]
	v_fmac_f64_e32 v[180:181], v[6:7], v[164:165]
	v_fma_f64 v[158:159], v[4:5], v[164:165], -v[166:167]
	v_fmac_f64_e32 v[156:157], v[134:135], v[144:145]
	v_fma_f64 v[132:133], v[132:133], v[144:145], -v[146:147]
	v_add_f64_e32 v[160:161], v[142:143], v[140:141]
	v_add_f64_e32 v[148:149], v[148:149], v[150:151]
	ds_load_b128 v[4:7], v2 offset:1792
	ds_load_b128 v[140:143], v2 offset:1808
	s_wait_loadcnt_dscnt 0x501
	v_mul_f64_e32 v[150:151], v[4:5], v[170:171]
	v_mul_f64_e32 v[162:163], v[6:7], v[170:171]
	s_wait_loadcnt_dscnt 0x400
	v_mul_f64_e32 v[146:147], v[140:141], v[154:155]
	v_add_f64_e32 v[134:135], v[160:161], v[158:159]
	v_add_f64_e32 v[144:145], v[148:149], v[180:181]
	v_mul_f64_e32 v[148:149], v[142:143], v[154:155]
	v_fmac_f64_e32 v[150:151], v[6:7], v[168:169]
	v_fma_f64 v[154:155], v[4:5], v[168:169], -v[162:163]
	v_fmac_f64_e32 v[146:147], v[142:143], v[152:153]
	v_add_f64_e32 v[158:159], v[134:135], v[132:133]
	v_add_f64_e32 v[144:145], v[144:145], v[156:157]
	ds_load_b128 v[4:7], v2 offset:1824
	ds_load_b128 v[132:135], v2 offset:1840
	v_fma_f64 v[140:141], v[140:141], v[152:153], -v[148:149]
	s_wait_loadcnt_dscnt 0x301
	v_mul_f64_e32 v[156:157], v[4:5], v[186:187]
	v_mul_f64_e32 v[160:161], v[6:7], v[186:187]
	s_wait_loadcnt_dscnt 0x200
	v_mul_f64_e32 v[148:149], v[132:133], v[12:13]
	v_mul_f64_e32 v[12:13], v[134:135], v[12:13]
	v_add_f64_e32 v[142:143], v[158:159], v[154:155]
	v_add_f64_e32 v[144:145], v[144:145], v[150:151]
	v_fmac_f64_e32 v[156:157], v[6:7], v[184:185]
	v_fma_f64 v[150:151], v[4:5], v[184:185], -v[160:161]
	v_fmac_f64_e32 v[148:149], v[134:135], v[10:11]
	v_fma_f64 v[10:11], v[132:133], v[10:11], -v[12:13]
	v_add_f64_e32 v[152:153], v[142:143], v[140:141]
	v_add_f64_e32 v[144:145], v[144:145], v[146:147]
	ds_load_b128 v[4:7], v2 offset:1856
	ds_load_b128 v[140:143], v2 offset:1872
	s_wait_loadcnt_dscnt 0x101
	v_mul_f64_e32 v[2:3], v[4:5], v[174:175]
	v_mul_f64_e32 v[146:147], v[6:7], v[174:175]
	s_wait_loadcnt_dscnt 0x0
	v_mul_f64_e32 v[134:135], v[140:141], v[138:139]
	v_mul_f64_e32 v[138:139], v[142:143], v[138:139]
	v_add_f64_e32 v[12:13], v[152:153], v[150:151]
	v_add_f64_e32 v[132:133], v[144:145], v[156:157]
	v_fmac_f64_e32 v[2:3], v[6:7], v[172:173]
	v_fma_f64 v[4:5], v[4:5], v[172:173], -v[146:147]
	v_fmac_f64_e32 v[134:135], v[142:143], v[136:137]
	v_add_f64_e32 v[6:7], v[12:13], v[10:11]
	v_add_f64_e32 v[10:11], v[132:133], v[148:149]
	v_fma_f64 v[12:13], v[140:141], v[136:137], -v[138:139]
	s_delay_alu instid0(VALU_DEP_3) | instskip(NEXT) | instid1(VALU_DEP_3)
	v_add_f64_e32 v[4:5], v[6:7], v[4:5]
	v_add_f64_e32 v[2:3], v[10:11], v[2:3]
	s_delay_alu instid0(VALU_DEP_2) | instskip(NEXT) | instid1(VALU_DEP_2)
	v_add_f64_e32 v[4:5], v[4:5], v[12:13]
	v_add_f64_e32 v[6:7], v[2:3], v[134:135]
	s_delay_alu instid0(VALU_DEP_2) | instskip(NEXT) | instid1(VALU_DEP_2)
	v_add_f64_e64 v[2:3], v[176:177], -v[4:5]
	v_add_f64_e64 v[4:5], v[178:179], -v[6:7]
	scratch_store_b128 off, v[2:5], off offset:96
	s_wait_xcnt 0x0
	v_cmpx_lt_u32_e32 5, v1
	s_cbranch_execz .LBB58_357
; %bb.356:
	scratch_load_b128 v[2:5], off, s70
	v_mov_b32_e32 v10, 0
	s_delay_alu instid0(VALU_DEP_1)
	v_dual_mov_b32 v11, v10 :: v_dual_mov_b32 v12, v10
	v_mov_b32_e32 v13, v10
	scratch_store_b128 off, v[10:13], off offset:80
	s_wait_loadcnt 0x0
	ds_store_b128 v8, v[2:5]
.LBB58_357:
	s_wait_xcnt 0x0
	s_or_b32 exec_lo, exec_lo, s2
	s_wait_storecnt_dscnt 0x0
	s_barrier_signal -1
	s_barrier_wait -1
	s_clause 0x9
	scratch_load_b128 v[4:7], off, off offset:96
	scratch_load_b128 v[10:13], off, off offset:112
	;; [unrolled: 1-line block ×10, first 2 shown]
	v_mov_b32_e32 v2, 0
	s_mov_b32 s2, exec_lo
	ds_load_b128 v[164:167], v2 offset:1040
	s_clause 0x2
	scratch_load_b128 v[168:171], off, off offset:256
	scratch_load_b128 v[172:175], off, off offset:80
	scratch_load_b128 v[180:183], off, off offset:272
	s_wait_loadcnt_dscnt 0xc00
	v_mul_f64_e32 v[184:185], v[166:167], v[6:7]
	v_mul_f64_e32 v[188:189], v[164:165], v[6:7]
	ds_load_b128 v[176:179], v2 offset:1056
	v_fma_f64 v[192:193], v[164:165], v[4:5], -v[184:185]
	v_fmac_f64_e32 v[188:189], v[166:167], v[4:5]
	ds_load_b128 v[4:7], v2 offset:1072
	s_wait_loadcnt_dscnt 0xb01
	v_mul_f64_e32 v[190:191], v[176:177], v[12:13]
	v_mul_f64_e32 v[12:13], v[178:179], v[12:13]
	scratch_load_b128 v[164:167], off, off offset:288
	ds_load_b128 v[184:187], v2 offset:1088
	s_wait_loadcnt_dscnt 0xb01
	v_mul_f64_e32 v[194:195], v[4:5], v[134:135]
	v_mul_f64_e32 v[134:135], v[6:7], v[134:135]
	v_add_f64_e32 v[188:189], 0, v[188:189]
	v_fmac_f64_e32 v[190:191], v[178:179], v[10:11]
	v_fma_f64 v[176:177], v[176:177], v[10:11], -v[12:13]
	v_add_f64_e32 v[178:179], 0, v[192:193]
	scratch_load_b128 v[10:13], off, off offset:304
	v_fmac_f64_e32 v[194:195], v[6:7], v[132:133]
	v_fma_f64 v[196:197], v[4:5], v[132:133], -v[134:135]
	ds_load_b128 v[4:7], v2 offset:1104
	s_wait_loadcnt_dscnt 0xb01
	v_mul_f64_e32 v[192:193], v[184:185], v[138:139]
	v_mul_f64_e32 v[138:139], v[186:187], v[138:139]
	scratch_load_b128 v[132:135], off, off offset:320
	v_add_f64_e32 v[188:189], v[188:189], v[190:191]
	v_add_f64_e32 v[198:199], v[178:179], v[176:177]
	ds_load_b128 v[176:179], v2 offset:1120
	s_wait_loadcnt_dscnt 0xb01
	v_mul_f64_e32 v[190:191], v[4:5], v[142:143]
	v_mul_f64_e32 v[142:143], v[6:7], v[142:143]
	v_fmac_f64_e32 v[192:193], v[186:187], v[136:137]
	v_fma_f64 v[184:185], v[184:185], v[136:137], -v[138:139]
	scratch_load_b128 v[136:139], off, off offset:336
	v_add_f64_e32 v[188:189], v[188:189], v[194:195]
	v_add_f64_e32 v[186:187], v[198:199], v[196:197]
	v_fmac_f64_e32 v[190:191], v[6:7], v[140:141]
	v_fma_f64 v[196:197], v[4:5], v[140:141], -v[142:143]
	ds_load_b128 v[4:7], v2 offset:1136
	s_wait_loadcnt_dscnt 0xb01
	v_mul_f64_e32 v[194:195], v[176:177], v[146:147]
	v_mul_f64_e32 v[146:147], v[178:179], v[146:147]
	scratch_load_b128 v[140:143], off, off offset:352
	v_add_f64_e32 v[188:189], v[188:189], v[192:193]
	s_wait_loadcnt_dscnt 0xb00
	v_mul_f64_e32 v[192:193], v[4:5], v[150:151]
	v_add_f64_e32 v[198:199], v[186:187], v[184:185]
	v_mul_f64_e32 v[150:151], v[6:7], v[150:151]
	ds_load_b128 v[184:187], v2 offset:1152
	v_fmac_f64_e32 v[194:195], v[178:179], v[144:145]
	v_fma_f64 v[176:177], v[176:177], v[144:145], -v[146:147]
	scratch_load_b128 v[144:147], off, off offset:368
	v_add_f64_e32 v[188:189], v[188:189], v[190:191]
	v_fmac_f64_e32 v[192:193], v[6:7], v[148:149]
	v_add_f64_e32 v[178:179], v[198:199], v[196:197]
	v_fma_f64 v[196:197], v[4:5], v[148:149], -v[150:151]
	ds_load_b128 v[4:7], v2 offset:1168
	s_wait_loadcnt_dscnt 0xb01
	v_mul_f64_e32 v[190:191], v[184:185], v[154:155]
	v_mul_f64_e32 v[154:155], v[186:187], v[154:155]
	scratch_load_b128 v[148:151], off, off offset:384
	v_add_f64_e32 v[188:189], v[188:189], v[194:195]
	s_wait_loadcnt_dscnt 0xb00
	v_mul_f64_e32 v[194:195], v[4:5], v[158:159]
	v_add_f64_e32 v[198:199], v[178:179], v[176:177]
	v_mul_f64_e32 v[158:159], v[6:7], v[158:159]
	ds_load_b128 v[176:179], v2 offset:1184
	v_fmac_f64_e32 v[190:191], v[186:187], v[152:153]
	v_fma_f64 v[184:185], v[184:185], v[152:153], -v[154:155]
	scratch_load_b128 v[152:155], off, off offset:400
	v_add_f64_e32 v[188:189], v[188:189], v[192:193]
	v_fmac_f64_e32 v[194:195], v[6:7], v[156:157]
	v_add_f64_e32 v[186:187], v[198:199], v[196:197]
	v_fma_f64 v[196:197], v[4:5], v[156:157], -v[158:159]
	ds_load_b128 v[4:7], v2 offset:1200
	s_wait_loadcnt_dscnt 0xb01
	v_mul_f64_e32 v[192:193], v[176:177], v[162:163]
	v_mul_f64_e32 v[162:163], v[178:179], v[162:163]
	scratch_load_b128 v[156:159], off, off offset:416
	v_add_f64_e32 v[188:189], v[188:189], v[190:191]
	s_wait_loadcnt_dscnt 0xb00
	v_mul_f64_e32 v[190:191], v[4:5], v[170:171]
	v_add_f64_e32 v[198:199], v[186:187], v[184:185]
	v_mul_f64_e32 v[170:171], v[6:7], v[170:171]
	ds_load_b128 v[184:187], v2 offset:1216
	v_fmac_f64_e32 v[192:193], v[178:179], v[160:161]
	v_fma_f64 v[176:177], v[176:177], v[160:161], -v[162:163]
	scratch_load_b128 v[160:163], off, off offset:432
	v_add_f64_e32 v[188:189], v[188:189], v[194:195]
	v_fmac_f64_e32 v[190:191], v[6:7], v[168:169]
	v_add_f64_e32 v[178:179], v[198:199], v[196:197]
	v_fma_f64 v[196:197], v[4:5], v[168:169], -v[170:171]
	ds_load_b128 v[4:7], v2 offset:1232
	s_wait_loadcnt_dscnt 0xa01
	v_mul_f64_e32 v[194:195], v[184:185], v[182:183]
	v_mul_f64_e32 v[182:183], v[186:187], v[182:183]
	scratch_load_b128 v[168:171], off, off offset:448
	v_add_f64_e32 v[188:189], v[188:189], v[192:193]
	v_add_f64_e32 v[198:199], v[178:179], v[176:177]
	s_wait_loadcnt_dscnt 0xa00
	v_mul_f64_e32 v[192:193], v[4:5], v[166:167]
	v_mul_f64_e32 v[166:167], v[6:7], v[166:167]
	v_fmac_f64_e32 v[194:195], v[186:187], v[180:181]
	v_fma_f64 v[184:185], v[184:185], v[180:181], -v[182:183]
	ds_load_b128 v[176:179], v2 offset:1248
	scratch_load_b128 v[180:183], off, off offset:464
	v_add_f64_e32 v[188:189], v[188:189], v[190:191]
	v_add_f64_e32 v[186:187], v[198:199], v[196:197]
	v_fmac_f64_e32 v[192:193], v[6:7], v[164:165]
	v_fma_f64 v[196:197], v[4:5], v[164:165], -v[166:167]
	ds_load_b128 v[4:7], v2 offset:1264
	s_wait_loadcnt_dscnt 0xa01
	v_mul_f64_e32 v[190:191], v[176:177], v[12:13]
	v_mul_f64_e32 v[12:13], v[178:179], v[12:13]
	scratch_load_b128 v[164:167], off, off offset:480
	v_add_f64_e32 v[188:189], v[188:189], v[194:195]
	s_wait_loadcnt_dscnt 0xa00
	v_mul_f64_e32 v[194:195], v[4:5], v[134:135]
	v_add_f64_e32 v[198:199], v[186:187], v[184:185]
	v_mul_f64_e32 v[134:135], v[6:7], v[134:135]
	ds_load_b128 v[184:187], v2 offset:1280
	v_fmac_f64_e32 v[190:191], v[178:179], v[10:11]
	v_fma_f64 v[176:177], v[176:177], v[10:11], -v[12:13]
	scratch_load_b128 v[10:13], off, off offset:496
	v_add_f64_e32 v[188:189], v[188:189], v[192:193]
	v_fmac_f64_e32 v[194:195], v[6:7], v[132:133]
	v_add_f64_e32 v[178:179], v[198:199], v[196:197]
	v_fma_f64 v[196:197], v[4:5], v[132:133], -v[134:135]
	ds_load_b128 v[4:7], v2 offset:1296
	s_wait_loadcnt_dscnt 0xa01
	v_mul_f64_e32 v[192:193], v[184:185], v[138:139]
	v_mul_f64_e32 v[138:139], v[186:187], v[138:139]
	scratch_load_b128 v[132:135], off, off offset:512
	v_add_f64_e32 v[188:189], v[188:189], v[190:191]
	s_wait_loadcnt_dscnt 0xa00
	v_mul_f64_e32 v[190:191], v[4:5], v[142:143]
	v_add_f64_e32 v[198:199], v[178:179], v[176:177]
	v_mul_f64_e32 v[142:143], v[6:7], v[142:143]
	ds_load_b128 v[176:179], v2 offset:1312
	v_fmac_f64_e32 v[192:193], v[186:187], v[136:137]
	v_fma_f64 v[184:185], v[184:185], v[136:137], -v[138:139]
	scratch_load_b128 v[136:139], off, off offset:528
	v_add_f64_e32 v[188:189], v[188:189], v[194:195]
	v_fmac_f64_e32 v[190:191], v[6:7], v[140:141]
	v_add_f64_e32 v[186:187], v[198:199], v[196:197]
	v_fma_f64 v[196:197], v[4:5], v[140:141], -v[142:143]
	ds_load_b128 v[4:7], v2 offset:1328
	s_wait_loadcnt_dscnt 0xa01
	v_mul_f64_e32 v[194:195], v[176:177], v[146:147]
	v_mul_f64_e32 v[146:147], v[178:179], v[146:147]
	scratch_load_b128 v[140:143], off, off offset:544
	v_add_f64_e32 v[188:189], v[188:189], v[192:193]
	s_wait_loadcnt_dscnt 0xa00
	v_mul_f64_e32 v[192:193], v[4:5], v[150:151]
	v_add_f64_e32 v[198:199], v[186:187], v[184:185]
	v_mul_f64_e32 v[150:151], v[6:7], v[150:151]
	ds_load_b128 v[184:187], v2 offset:1344
	v_fmac_f64_e32 v[194:195], v[178:179], v[144:145]
	v_fma_f64 v[176:177], v[176:177], v[144:145], -v[146:147]
	scratch_load_b128 v[144:147], off, off offset:560
	v_add_f64_e32 v[188:189], v[188:189], v[190:191]
	v_fmac_f64_e32 v[192:193], v[6:7], v[148:149]
	v_add_f64_e32 v[178:179], v[198:199], v[196:197]
	v_fma_f64 v[196:197], v[4:5], v[148:149], -v[150:151]
	ds_load_b128 v[4:7], v2 offset:1360
	s_wait_loadcnt_dscnt 0xa01
	v_mul_f64_e32 v[190:191], v[184:185], v[154:155]
	v_mul_f64_e32 v[154:155], v[186:187], v[154:155]
	scratch_load_b128 v[148:151], off, off offset:576
	v_add_f64_e32 v[188:189], v[188:189], v[194:195]
	s_wait_loadcnt_dscnt 0xa00
	v_mul_f64_e32 v[194:195], v[4:5], v[158:159]
	v_add_f64_e32 v[198:199], v[178:179], v[176:177]
	v_mul_f64_e32 v[158:159], v[6:7], v[158:159]
	ds_load_b128 v[176:179], v2 offset:1376
	v_fmac_f64_e32 v[190:191], v[186:187], v[152:153]
	v_fma_f64 v[184:185], v[184:185], v[152:153], -v[154:155]
	scratch_load_b128 v[152:155], off, off offset:592
	v_add_f64_e32 v[188:189], v[188:189], v[192:193]
	v_fmac_f64_e32 v[194:195], v[6:7], v[156:157]
	v_add_f64_e32 v[186:187], v[198:199], v[196:197]
	v_fma_f64 v[196:197], v[4:5], v[156:157], -v[158:159]
	ds_load_b128 v[4:7], v2 offset:1392
	s_wait_loadcnt_dscnt 0xa01
	v_mul_f64_e32 v[192:193], v[176:177], v[162:163]
	v_mul_f64_e32 v[162:163], v[178:179], v[162:163]
	scratch_load_b128 v[156:159], off, off offset:608
	v_add_f64_e32 v[188:189], v[188:189], v[190:191]
	s_wait_loadcnt_dscnt 0xa00
	v_mul_f64_e32 v[190:191], v[4:5], v[170:171]
	v_add_f64_e32 v[198:199], v[186:187], v[184:185]
	v_mul_f64_e32 v[170:171], v[6:7], v[170:171]
	ds_load_b128 v[184:187], v2 offset:1408
	v_fmac_f64_e32 v[192:193], v[178:179], v[160:161]
	v_fma_f64 v[176:177], v[176:177], v[160:161], -v[162:163]
	scratch_load_b128 v[160:163], off, off offset:624
	v_add_f64_e32 v[188:189], v[188:189], v[194:195]
	v_fmac_f64_e32 v[190:191], v[6:7], v[168:169]
	v_add_f64_e32 v[178:179], v[198:199], v[196:197]
	v_fma_f64 v[196:197], v[4:5], v[168:169], -v[170:171]
	ds_load_b128 v[4:7], v2 offset:1424
	s_wait_loadcnt_dscnt 0xa01
	v_mul_f64_e32 v[194:195], v[184:185], v[182:183]
	v_mul_f64_e32 v[182:183], v[186:187], v[182:183]
	scratch_load_b128 v[168:171], off, off offset:640
	v_add_f64_e32 v[188:189], v[188:189], v[192:193]
	s_wait_loadcnt_dscnt 0xa00
	v_mul_f64_e32 v[192:193], v[4:5], v[166:167]
	v_add_f64_e32 v[198:199], v[178:179], v[176:177]
	v_mul_f64_e32 v[166:167], v[6:7], v[166:167]
	ds_load_b128 v[176:179], v2 offset:1440
	v_fmac_f64_e32 v[194:195], v[186:187], v[180:181]
	v_fma_f64 v[184:185], v[184:185], v[180:181], -v[182:183]
	scratch_load_b128 v[180:183], off, off offset:656
	v_add_f64_e32 v[188:189], v[188:189], v[190:191]
	v_fmac_f64_e32 v[192:193], v[6:7], v[164:165]
	v_add_f64_e32 v[186:187], v[198:199], v[196:197]
	v_fma_f64 v[196:197], v[4:5], v[164:165], -v[166:167]
	ds_load_b128 v[4:7], v2 offset:1456
	s_wait_loadcnt_dscnt 0xa01
	v_mul_f64_e32 v[190:191], v[176:177], v[12:13]
	v_mul_f64_e32 v[12:13], v[178:179], v[12:13]
	scratch_load_b128 v[164:167], off, off offset:672
	v_add_f64_e32 v[188:189], v[188:189], v[194:195]
	s_wait_loadcnt_dscnt 0xa00
	v_mul_f64_e32 v[194:195], v[4:5], v[134:135]
	v_add_f64_e32 v[198:199], v[186:187], v[184:185]
	v_mul_f64_e32 v[134:135], v[6:7], v[134:135]
	ds_load_b128 v[184:187], v2 offset:1472
	v_fmac_f64_e32 v[190:191], v[178:179], v[10:11]
	v_fma_f64 v[176:177], v[176:177], v[10:11], -v[12:13]
	scratch_load_b128 v[10:13], off, off offset:688
	v_add_f64_e32 v[188:189], v[188:189], v[192:193]
	v_fmac_f64_e32 v[194:195], v[6:7], v[132:133]
	v_add_f64_e32 v[178:179], v[198:199], v[196:197]
	v_fma_f64 v[196:197], v[4:5], v[132:133], -v[134:135]
	ds_load_b128 v[4:7], v2 offset:1488
	s_wait_loadcnt_dscnt 0xa01
	v_mul_f64_e32 v[192:193], v[184:185], v[138:139]
	v_mul_f64_e32 v[138:139], v[186:187], v[138:139]
	scratch_load_b128 v[132:135], off, off offset:704
	v_add_f64_e32 v[188:189], v[188:189], v[190:191]
	s_wait_loadcnt_dscnt 0xa00
	v_mul_f64_e32 v[190:191], v[4:5], v[142:143]
	v_add_f64_e32 v[198:199], v[178:179], v[176:177]
	v_mul_f64_e32 v[142:143], v[6:7], v[142:143]
	ds_load_b128 v[176:179], v2 offset:1504
	v_fmac_f64_e32 v[192:193], v[186:187], v[136:137]
	v_fma_f64 v[184:185], v[184:185], v[136:137], -v[138:139]
	scratch_load_b128 v[136:139], off, off offset:720
	v_add_f64_e32 v[188:189], v[188:189], v[194:195]
	v_fmac_f64_e32 v[190:191], v[6:7], v[140:141]
	v_add_f64_e32 v[186:187], v[198:199], v[196:197]
	v_fma_f64 v[196:197], v[4:5], v[140:141], -v[142:143]
	ds_load_b128 v[4:7], v2 offset:1520
	s_wait_loadcnt_dscnt 0xa01
	v_mul_f64_e32 v[194:195], v[176:177], v[146:147]
	v_mul_f64_e32 v[146:147], v[178:179], v[146:147]
	scratch_load_b128 v[140:143], off, off offset:736
	v_add_f64_e32 v[188:189], v[188:189], v[192:193]
	s_wait_loadcnt_dscnt 0xa00
	v_mul_f64_e32 v[192:193], v[4:5], v[150:151]
	v_add_f64_e32 v[198:199], v[186:187], v[184:185]
	v_mul_f64_e32 v[150:151], v[6:7], v[150:151]
	ds_load_b128 v[184:187], v2 offset:1536
	v_fmac_f64_e32 v[194:195], v[178:179], v[144:145]
	v_fma_f64 v[176:177], v[176:177], v[144:145], -v[146:147]
	scratch_load_b128 v[144:147], off, off offset:752
	v_add_f64_e32 v[188:189], v[188:189], v[190:191]
	v_fmac_f64_e32 v[192:193], v[6:7], v[148:149]
	v_add_f64_e32 v[178:179], v[198:199], v[196:197]
	v_fma_f64 v[196:197], v[4:5], v[148:149], -v[150:151]
	ds_load_b128 v[4:7], v2 offset:1552
	s_wait_loadcnt_dscnt 0xa01
	v_mul_f64_e32 v[190:191], v[184:185], v[154:155]
	v_mul_f64_e32 v[154:155], v[186:187], v[154:155]
	scratch_load_b128 v[148:151], off, off offset:768
	v_add_f64_e32 v[188:189], v[188:189], v[194:195]
	s_wait_loadcnt_dscnt 0xa00
	v_mul_f64_e32 v[194:195], v[4:5], v[158:159]
	v_add_f64_e32 v[198:199], v[178:179], v[176:177]
	v_mul_f64_e32 v[158:159], v[6:7], v[158:159]
	ds_load_b128 v[176:179], v2 offset:1568
	v_fmac_f64_e32 v[190:191], v[186:187], v[152:153]
	v_fma_f64 v[184:185], v[184:185], v[152:153], -v[154:155]
	scratch_load_b128 v[152:155], off, off offset:784
	v_add_f64_e32 v[188:189], v[188:189], v[192:193]
	v_fmac_f64_e32 v[194:195], v[6:7], v[156:157]
	v_add_f64_e32 v[186:187], v[198:199], v[196:197]
	v_fma_f64 v[196:197], v[4:5], v[156:157], -v[158:159]
	ds_load_b128 v[4:7], v2 offset:1584
	s_wait_loadcnt_dscnt 0xa01
	v_mul_f64_e32 v[192:193], v[176:177], v[162:163]
	v_mul_f64_e32 v[162:163], v[178:179], v[162:163]
	scratch_load_b128 v[156:159], off, off offset:800
	v_add_f64_e32 v[188:189], v[188:189], v[190:191]
	s_wait_loadcnt_dscnt 0xa00
	v_mul_f64_e32 v[190:191], v[4:5], v[170:171]
	v_add_f64_e32 v[198:199], v[186:187], v[184:185]
	v_mul_f64_e32 v[170:171], v[6:7], v[170:171]
	ds_load_b128 v[184:187], v2 offset:1600
	v_fmac_f64_e32 v[192:193], v[178:179], v[160:161]
	v_fma_f64 v[176:177], v[176:177], v[160:161], -v[162:163]
	scratch_load_b128 v[160:163], off, off offset:816
	v_add_f64_e32 v[188:189], v[188:189], v[194:195]
	v_fmac_f64_e32 v[190:191], v[6:7], v[168:169]
	v_add_f64_e32 v[178:179], v[198:199], v[196:197]
	v_fma_f64 v[196:197], v[4:5], v[168:169], -v[170:171]
	ds_load_b128 v[4:7], v2 offset:1616
	s_wait_loadcnt_dscnt 0xa01
	v_mul_f64_e32 v[194:195], v[184:185], v[182:183]
	v_mul_f64_e32 v[182:183], v[186:187], v[182:183]
	scratch_load_b128 v[168:171], off, off offset:832
	v_add_f64_e32 v[188:189], v[188:189], v[192:193]
	s_wait_loadcnt_dscnt 0xa00
	v_mul_f64_e32 v[192:193], v[4:5], v[166:167]
	v_add_f64_e32 v[198:199], v[178:179], v[176:177]
	v_mul_f64_e32 v[166:167], v[6:7], v[166:167]
	ds_load_b128 v[176:179], v2 offset:1632
	v_fmac_f64_e32 v[194:195], v[186:187], v[180:181]
	v_fma_f64 v[184:185], v[184:185], v[180:181], -v[182:183]
	scratch_load_b128 v[180:183], off, off offset:848
	v_add_f64_e32 v[188:189], v[188:189], v[190:191]
	v_fmac_f64_e32 v[192:193], v[6:7], v[164:165]
	v_add_f64_e32 v[186:187], v[198:199], v[196:197]
	v_fma_f64 v[196:197], v[4:5], v[164:165], -v[166:167]
	ds_load_b128 v[4:7], v2 offset:1648
	s_wait_loadcnt_dscnt 0xa01
	v_mul_f64_e32 v[190:191], v[176:177], v[12:13]
	v_mul_f64_e32 v[12:13], v[178:179], v[12:13]
	scratch_load_b128 v[164:167], off, off offset:864
	v_add_f64_e32 v[188:189], v[188:189], v[194:195]
	s_wait_loadcnt_dscnt 0xa00
	v_mul_f64_e32 v[194:195], v[4:5], v[134:135]
	v_add_f64_e32 v[198:199], v[186:187], v[184:185]
	v_mul_f64_e32 v[134:135], v[6:7], v[134:135]
	ds_load_b128 v[184:187], v2 offset:1664
	v_fmac_f64_e32 v[190:191], v[178:179], v[10:11]
	v_fma_f64 v[176:177], v[176:177], v[10:11], -v[12:13]
	scratch_load_b128 v[10:13], off, off offset:880
	v_add_f64_e32 v[188:189], v[188:189], v[192:193]
	v_fmac_f64_e32 v[194:195], v[6:7], v[132:133]
	v_add_f64_e32 v[178:179], v[198:199], v[196:197]
	v_fma_f64 v[196:197], v[4:5], v[132:133], -v[134:135]
	ds_load_b128 v[4:7], v2 offset:1680
	s_wait_loadcnt_dscnt 0xa01
	v_mul_f64_e32 v[192:193], v[184:185], v[138:139]
	v_mul_f64_e32 v[138:139], v[186:187], v[138:139]
	scratch_load_b128 v[132:135], off, off offset:896
	v_add_f64_e32 v[188:189], v[188:189], v[190:191]
	s_wait_loadcnt_dscnt 0xa00
	v_mul_f64_e32 v[190:191], v[4:5], v[142:143]
	v_add_f64_e32 v[198:199], v[178:179], v[176:177]
	v_mul_f64_e32 v[142:143], v[6:7], v[142:143]
	ds_load_b128 v[176:179], v2 offset:1696
	v_fmac_f64_e32 v[192:193], v[186:187], v[136:137]
	v_fma_f64 v[184:185], v[184:185], v[136:137], -v[138:139]
	scratch_load_b128 v[136:139], off, off offset:912
	v_add_f64_e32 v[188:189], v[188:189], v[194:195]
	v_fmac_f64_e32 v[190:191], v[6:7], v[140:141]
	v_add_f64_e32 v[186:187], v[198:199], v[196:197]
	v_fma_f64 v[196:197], v[4:5], v[140:141], -v[142:143]
	ds_load_b128 v[4:7], v2 offset:1712
	s_wait_loadcnt_dscnt 0xa01
	v_mul_f64_e32 v[194:195], v[176:177], v[146:147]
	v_mul_f64_e32 v[146:147], v[178:179], v[146:147]
	scratch_load_b128 v[140:143], off, off offset:928
	v_add_f64_e32 v[188:189], v[188:189], v[192:193]
	s_wait_loadcnt_dscnt 0xa00
	v_mul_f64_e32 v[192:193], v[4:5], v[150:151]
	v_add_f64_e32 v[198:199], v[186:187], v[184:185]
	v_mul_f64_e32 v[150:151], v[6:7], v[150:151]
	ds_load_b128 v[184:187], v2 offset:1728
	v_fmac_f64_e32 v[194:195], v[178:179], v[144:145]
	v_fma_f64 v[144:145], v[176:177], v[144:145], -v[146:147]
	s_wait_loadcnt_dscnt 0x900
	v_mul_f64_e32 v[178:179], v[184:185], v[154:155]
	v_mul_f64_e32 v[154:155], v[186:187], v[154:155]
	v_add_f64_e32 v[176:177], v[188:189], v[190:191]
	v_fmac_f64_e32 v[192:193], v[6:7], v[148:149]
	v_add_f64_e32 v[146:147], v[198:199], v[196:197]
	v_fma_f64 v[148:149], v[4:5], v[148:149], -v[150:151]
	v_fmac_f64_e32 v[178:179], v[186:187], v[152:153]
	v_fma_f64 v[152:153], v[184:185], v[152:153], -v[154:155]
	v_add_f64_e32 v[176:177], v[176:177], v[194:195]
	v_add_f64_e32 v[150:151], v[146:147], v[144:145]
	ds_load_b128 v[4:7], v2 offset:1744
	ds_load_b128 v[144:147], v2 offset:1760
	s_wait_loadcnt_dscnt 0x801
	v_mul_f64_e32 v[188:189], v[4:5], v[158:159]
	v_mul_f64_e32 v[158:159], v[6:7], v[158:159]
	s_wait_loadcnt_dscnt 0x700
	v_mul_f64_e32 v[154:155], v[144:145], v[162:163]
	v_mul_f64_e32 v[162:163], v[146:147], v[162:163]
	v_add_f64_e32 v[148:149], v[150:151], v[148:149]
	v_add_f64_e32 v[150:151], v[176:177], v[192:193]
	v_fmac_f64_e32 v[188:189], v[6:7], v[156:157]
	v_fma_f64 v[156:157], v[4:5], v[156:157], -v[158:159]
	v_fmac_f64_e32 v[154:155], v[146:147], v[160:161]
	v_fma_f64 v[144:145], v[144:145], v[160:161], -v[162:163]
	v_add_f64_e32 v[152:153], v[148:149], v[152:153]
	v_add_f64_e32 v[158:159], v[150:151], v[178:179]
	ds_load_b128 v[4:7], v2 offset:1776
	ds_load_b128 v[148:151], v2 offset:1792
	s_wait_loadcnt_dscnt 0x601
	v_mul_f64_e32 v[176:177], v[4:5], v[170:171]
	v_mul_f64_e32 v[170:171], v[6:7], v[170:171]
	v_add_f64_e32 v[146:147], v[152:153], v[156:157]
	v_add_f64_e32 v[152:153], v[158:159], v[188:189]
	s_wait_loadcnt_dscnt 0x500
	v_mul_f64_e32 v[156:157], v[148:149], v[182:183]
	v_mul_f64_e32 v[158:159], v[150:151], v[182:183]
	v_fmac_f64_e32 v[176:177], v[6:7], v[168:169]
	v_fma_f64 v[160:161], v[4:5], v[168:169], -v[170:171]
	v_add_f64_e32 v[162:163], v[146:147], v[144:145]
	v_add_f64_e32 v[152:153], v[152:153], v[154:155]
	ds_load_b128 v[4:7], v2 offset:1808
	ds_load_b128 v[144:147], v2 offset:1824
	v_fmac_f64_e32 v[156:157], v[150:151], v[180:181]
	v_fma_f64 v[148:149], v[148:149], v[180:181], -v[158:159]
	s_wait_loadcnt_dscnt 0x401
	v_mul_f64_e32 v[154:155], v[4:5], v[166:167]
	v_mul_f64_e32 v[166:167], v[6:7], v[166:167]
	s_wait_loadcnt_dscnt 0x300
	v_mul_f64_e32 v[158:159], v[144:145], v[12:13]
	v_mul_f64_e32 v[12:13], v[146:147], v[12:13]
	v_add_f64_e32 v[150:151], v[162:163], v[160:161]
	v_add_f64_e32 v[152:153], v[152:153], v[176:177]
	v_fmac_f64_e32 v[154:155], v[6:7], v[164:165]
	v_fma_f64 v[160:161], v[4:5], v[164:165], -v[166:167]
	v_fmac_f64_e32 v[158:159], v[146:147], v[10:11]
	v_fma_f64 v[10:11], v[144:145], v[10:11], -v[12:13]
	v_add_f64_e32 v[162:163], v[150:151], v[148:149]
	v_add_f64_e32 v[152:153], v[152:153], v[156:157]
	ds_load_b128 v[4:7], v2 offset:1840
	ds_load_b128 v[148:151], v2 offset:1856
	s_wait_loadcnt_dscnt 0x201
	v_mul_f64_e32 v[156:157], v[4:5], v[134:135]
	v_mul_f64_e32 v[134:135], v[6:7], v[134:135]
	s_wait_loadcnt_dscnt 0x100
	v_mul_f64_e32 v[146:147], v[148:149], v[138:139]
	v_mul_f64_e32 v[138:139], v[150:151], v[138:139]
	v_add_f64_e32 v[12:13], v[162:163], v[160:161]
	v_add_f64_e32 v[144:145], v[152:153], v[154:155]
	v_fmac_f64_e32 v[156:157], v[6:7], v[132:133]
	v_fma_f64 v[132:133], v[4:5], v[132:133], -v[134:135]
	ds_load_b128 v[4:7], v2 offset:1872
	v_fmac_f64_e32 v[146:147], v[150:151], v[136:137]
	v_fma_f64 v[136:137], v[148:149], v[136:137], -v[138:139]
	v_add_f64_e32 v[10:11], v[12:13], v[10:11]
	v_add_f64_e32 v[12:13], v[144:145], v[158:159]
	s_wait_loadcnt_dscnt 0x0
	v_mul_f64_e32 v[134:135], v[4:5], v[142:143]
	v_mul_f64_e32 v[142:143], v[6:7], v[142:143]
	s_delay_alu instid0(VALU_DEP_4) | instskip(NEXT) | instid1(VALU_DEP_4)
	v_add_f64_e32 v[10:11], v[10:11], v[132:133]
	v_add_f64_e32 v[12:13], v[12:13], v[156:157]
	s_delay_alu instid0(VALU_DEP_4) | instskip(NEXT) | instid1(VALU_DEP_4)
	v_fmac_f64_e32 v[134:135], v[6:7], v[140:141]
	v_fma_f64 v[4:5], v[4:5], v[140:141], -v[142:143]
	s_delay_alu instid0(VALU_DEP_4) | instskip(NEXT) | instid1(VALU_DEP_4)
	v_add_f64_e32 v[6:7], v[10:11], v[136:137]
	v_add_f64_e32 v[10:11], v[12:13], v[146:147]
	s_delay_alu instid0(VALU_DEP_2) | instskip(NEXT) | instid1(VALU_DEP_2)
	v_add_f64_e32 v[4:5], v[6:7], v[4:5]
	v_add_f64_e32 v[6:7], v[10:11], v[134:135]
	s_delay_alu instid0(VALU_DEP_2) | instskip(NEXT) | instid1(VALU_DEP_2)
	v_add_f64_e64 v[4:5], v[172:173], -v[4:5]
	v_add_f64_e64 v[6:7], v[174:175], -v[6:7]
	scratch_store_b128 off, v[4:7], off offset:80
	s_wait_xcnt 0x0
	v_cmpx_lt_u32_e32 4, v1
	s_cbranch_execz .LBB58_359
; %bb.358:
	scratch_load_b128 v[10:13], off, s49
	v_dual_mov_b32 v3, v2 :: v_dual_mov_b32 v4, v2
	v_mov_b32_e32 v5, v2
	scratch_store_b128 off, v[2:5], off offset:64
	s_wait_loadcnt 0x0
	ds_store_b128 v8, v[10:13]
.LBB58_359:
	s_wait_xcnt 0x0
	s_or_b32 exec_lo, exec_lo, s2
	s_wait_storecnt_dscnt 0x0
	s_barrier_signal -1
	s_barrier_wait -1
	s_clause 0x9
	scratch_load_b128 v[4:7], off, off offset:80
	scratch_load_b128 v[10:13], off, off offset:96
	;; [unrolled: 1-line block ×10, first 2 shown]
	ds_load_b128 v[164:167], v2 offset:1024
	ds_load_b128 v[172:175], v2 offset:1040
	s_clause 0x2
	scratch_load_b128 v[168:171], off, off offset:240
	scratch_load_b128 v[176:179], off, off offset:64
	;; [unrolled: 1-line block ×3, first 2 shown]
	s_mov_b32 s2, exec_lo
	s_wait_loadcnt_dscnt 0xc01
	v_mul_f64_e32 v[184:185], v[166:167], v[6:7]
	v_mul_f64_e32 v[188:189], v[164:165], v[6:7]
	s_wait_loadcnt_dscnt 0xb00
	v_mul_f64_e32 v[190:191], v[172:173], v[12:13]
	v_mul_f64_e32 v[12:13], v[174:175], v[12:13]
	s_delay_alu instid0(VALU_DEP_4) | instskip(NEXT) | instid1(VALU_DEP_4)
	v_fma_f64 v[192:193], v[164:165], v[4:5], -v[184:185]
	v_fmac_f64_e32 v[188:189], v[166:167], v[4:5]
	ds_load_b128 v[4:7], v2 offset:1056
	ds_load_b128 v[164:167], v2 offset:1072
	scratch_load_b128 v[184:187], off, off offset:272
	v_fmac_f64_e32 v[190:191], v[174:175], v[10:11]
	v_fma_f64 v[172:173], v[172:173], v[10:11], -v[12:13]
	scratch_load_b128 v[10:13], off, off offset:288
	s_wait_loadcnt_dscnt 0xc01
	v_mul_f64_e32 v[194:195], v[4:5], v[134:135]
	v_mul_f64_e32 v[134:135], v[6:7], v[134:135]
	v_add_f64_e32 v[174:175], 0, v[192:193]
	v_add_f64_e32 v[188:189], 0, v[188:189]
	s_wait_loadcnt_dscnt 0xb00
	v_mul_f64_e32 v[192:193], v[164:165], v[138:139]
	v_mul_f64_e32 v[138:139], v[166:167], v[138:139]
	v_fmac_f64_e32 v[194:195], v[6:7], v[132:133]
	v_fma_f64 v[196:197], v[4:5], v[132:133], -v[134:135]
	ds_load_b128 v[4:7], v2 offset:1088
	ds_load_b128 v[132:135], v2 offset:1104
	v_add_f64_e32 v[198:199], v[174:175], v[172:173]
	v_add_f64_e32 v[188:189], v[188:189], v[190:191]
	scratch_load_b128 v[172:175], off, off offset:304
	v_fmac_f64_e32 v[192:193], v[166:167], v[136:137]
	v_fma_f64 v[164:165], v[164:165], v[136:137], -v[138:139]
	scratch_load_b128 v[136:139], off, off offset:320
	s_wait_loadcnt_dscnt 0xc01
	v_mul_f64_e32 v[190:191], v[4:5], v[142:143]
	v_mul_f64_e32 v[142:143], v[6:7], v[142:143]
	v_add_f64_e32 v[166:167], v[198:199], v[196:197]
	v_add_f64_e32 v[188:189], v[188:189], v[194:195]
	s_wait_loadcnt_dscnt 0xb00
	v_mul_f64_e32 v[194:195], v[132:133], v[146:147]
	v_mul_f64_e32 v[146:147], v[134:135], v[146:147]
	v_fmac_f64_e32 v[190:191], v[6:7], v[140:141]
	v_fma_f64 v[196:197], v[4:5], v[140:141], -v[142:143]
	ds_load_b128 v[4:7], v2 offset:1120
	ds_load_b128 v[140:143], v2 offset:1136
	v_add_f64_e32 v[198:199], v[166:167], v[164:165]
	v_add_f64_e32 v[188:189], v[188:189], v[192:193]
	scratch_load_b128 v[164:167], off, off offset:336
	s_wait_loadcnt_dscnt 0xb01
	v_mul_f64_e32 v[192:193], v[4:5], v[150:151]
	v_mul_f64_e32 v[150:151], v[6:7], v[150:151]
	v_fmac_f64_e32 v[194:195], v[134:135], v[144:145]
	v_fma_f64 v[144:145], v[132:133], v[144:145], -v[146:147]
	scratch_load_b128 v[132:135], off, off offset:352
	v_add_f64_e32 v[146:147], v[198:199], v[196:197]
	v_add_f64_e32 v[188:189], v[188:189], v[190:191]
	s_wait_loadcnt_dscnt 0xb00
	v_mul_f64_e32 v[190:191], v[140:141], v[154:155]
	v_mul_f64_e32 v[154:155], v[142:143], v[154:155]
	v_fmac_f64_e32 v[192:193], v[6:7], v[148:149]
	v_fma_f64 v[196:197], v[4:5], v[148:149], -v[150:151]
	v_add_f64_e32 v[198:199], v[146:147], v[144:145]
	v_add_f64_e32 v[188:189], v[188:189], v[194:195]
	ds_load_b128 v[4:7], v2 offset:1152
	ds_load_b128 v[144:147], v2 offset:1168
	scratch_load_b128 v[148:151], off, off offset:368
	v_fmac_f64_e32 v[190:191], v[142:143], v[152:153]
	v_fma_f64 v[152:153], v[140:141], v[152:153], -v[154:155]
	scratch_load_b128 v[140:143], off, off offset:384
	s_wait_loadcnt_dscnt 0xc01
	v_mul_f64_e32 v[194:195], v[4:5], v[158:159]
	v_mul_f64_e32 v[158:159], v[6:7], v[158:159]
	v_add_f64_e32 v[154:155], v[198:199], v[196:197]
	v_add_f64_e32 v[188:189], v[188:189], v[192:193]
	s_wait_loadcnt_dscnt 0xb00
	v_mul_f64_e32 v[192:193], v[144:145], v[162:163]
	v_mul_f64_e32 v[162:163], v[146:147], v[162:163]
	v_fmac_f64_e32 v[194:195], v[6:7], v[156:157]
	v_fma_f64 v[196:197], v[4:5], v[156:157], -v[158:159]
	v_add_f64_e32 v[198:199], v[154:155], v[152:153]
	v_add_f64_e32 v[188:189], v[188:189], v[190:191]
	ds_load_b128 v[4:7], v2 offset:1184
	ds_load_b128 v[152:155], v2 offset:1200
	scratch_load_b128 v[156:159], off, off offset:400
	v_fmac_f64_e32 v[192:193], v[146:147], v[160:161]
	v_fma_f64 v[160:161], v[144:145], v[160:161], -v[162:163]
	scratch_load_b128 v[144:147], off, off offset:416
	s_wait_loadcnt_dscnt 0xc01
	v_mul_f64_e32 v[190:191], v[4:5], v[170:171]
	v_mul_f64_e32 v[170:171], v[6:7], v[170:171]
	;; [unrolled: 18-line block ×5, first 2 shown]
	v_add_f64_e32 v[182:183], v[198:199], v[196:197]
	v_add_f64_e32 v[188:189], v[188:189], v[194:195]
	s_wait_loadcnt_dscnt 0xa00
	v_mul_f64_e32 v[194:195], v[160:161], v[134:135]
	v_mul_f64_e32 v[134:135], v[162:163], v[134:135]
	v_fmac_f64_e32 v[190:191], v[6:7], v[164:165]
	v_fma_f64 v[196:197], v[4:5], v[164:165], -v[166:167]
	ds_load_b128 v[4:7], v2 offset:1312
	ds_load_b128 v[164:167], v2 offset:1328
	v_add_f64_e32 v[198:199], v[182:183], v[180:181]
	v_add_f64_e32 v[188:189], v[188:189], v[192:193]
	scratch_load_b128 v[180:183], off, off offset:528
	v_fmac_f64_e32 v[194:195], v[162:163], v[132:133]
	v_fma_f64 v[160:161], v[160:161], v[132:133], -v[134:135]
	scratch_load_b128 v[132:135], off, off offset:544
	s_wait_loadcnt_dscnt 0xb01
	v_mul_f64_e32 v[192:193], v[4:5], v[150:151]
	v_mul_f64_e32 v[150:151], v[6:7], v[150:151]
	v_add_f64_e32 v[162:163], v[198:199], v[196:197]
	v_add_f64_e32 v[188:189], v[188:189], v[190:191]
	s_wait_loadcnt_dscnt 0xa00
	v_mul_f64_e32 v[190:191], v[164:165], v[142:143]
	v_mul_f64_e32 v[142:143], v[166:167], v[142:143]
	v_fmac_f64_e32 v[192:193], v[6:7], v[148:149]
	v_fma_f64 v[196:197], v[4:5], v[148:149], -v[150:151]
	ds_load_b128 v[4:7], v2 offset:1344
	ds_load_b128 v[148:151], v2 offset:1360
	v_add_f64_e32 v[198:199], v[162:163], v[160:161]
	v_add_f64_e32 v[188:189], v[188:189], v[194:195]
	scratch_load_b128 v[160:163], off, off offset:560
	s_wait_loadcnt_dscnt 0xa01
	v_mul_f64_e32 v[194:195], v[4:5], v[158:159]
	v_mul_f64_e32 v[158:159], v[6:7], v[158:159]
	v_fmac_f64_e32 v[190:191], v[166:167], v[140:141]
	v_fma_f64 v[164:165], v[164:165], v[140:141], -v[142:143]
	scratch_load_b128 v[140:143], off, off offset:576
	v_add_f64_e32 v[166:167], v[198:199], v[196:197]
	v_add_f64_e32 v[188:189], v[188:189], v[192:193]
	s_wait_loadcnt_dscnt 0xa00
	v_mul_f64_e32 v[192:193], v[148:149], v[146:147]
	v_mul_f64_e32 v[146:147], v[150:151], v[146:147]
	v_fmac_f64_e32 v[194:195], v[6:7], v[156:157]
	v_fma_f64 v[196:197], v[4:5], v[156:157], -v[158:159]
	ds_load_b128 v[4:7], v2 offset:1376
	ds_load_b128 v[156:159], v2 offset:1392
	v_add_f64_e32 v[198:199], v[166:167], v[164:165]
	v_add_f64_e32 v[188:189], v[188:189], v[190:191]
	scratch_load_b128 v[164:167], off, off offset:592
	s_wait_loadcnt_dscnt 0xa01
	v_mul_f64_e32 v[190:191], v[4:5], v[170:171]
	v_mul_f64_e32 v[170:171], v[6:7], v[170:171]
	v_fmac_f64_e32 v[192:193], v[150:151], v[144:145]
	v_fma_f64 v[148:149], v[148:149], v[144:145], -v[146:147]
	scratch_load_b128 v[144:147], off, off offset:608
	v_add_f64_e32 v[150:151], v[198:199], v[196:197]
	v_add_f64_e32 v[188:189], v[188:189], v[194:195]
	s_wait_loadcnt_dscnt 0xa00
	v_mul_f64_e32 v[194:195], v[156:157], v[154:155]
	v_mul_f64_e32 v[154:155], v[158:159], v[154:155]
	v_fmac_f64_e32 v[190:191], v[6:7], v[168:169]
	v_fma_f64 v[196:197], v[4:5], v[168:169], -v[170:171]
	v_add_f64_e32 v[198:199], v[150:151], v[148:149]
	v_add_f64_e32 v[188:189], v[188:189], v[192:193]
	ds_load_b128 v[4:7], v2 offset:1408
	ds_load_b128 v[148:151], v2 offset:1424
	scratch_load_b128 v[168:171], off, off offset:624
	v_fmac_f64_e32 v[194:195], v[158:159], v[152:153]
	v_fma_f64 v[156:157], v[156:157], v[152:153], -v[154:155]
	scratch_load_b128 v[152:155], off, off offset:640
	s_wait_loadcnt_dscnt 0xb01
	v_mul_f64_e32 v[192:193], v[4:5], v[186:187]
	v_mul_f64_e32 v[186:187], v[6:7], v[186:187]
	v_add_f64_e32 v[158:159], v[198:199], v[196:197]
	v_add_f64_e32 v[188:189], v[188:189], v[190:191]
	s_wait_loadcnt_dscnt 0xa00
	v_mul_f64_e32 v[190:191], v[148:149], v[12:13]
	v_mul_f64_e32 v[12:13], v[150:151], v[12:13]
	v_fmac_f64_e32 v[192:193], v[6:7], v[184:185]
	v_fma_f64 v[196:197], v[4:5], v[184:185], -v[186:187]
	v_add_f64_e32 v[198:199], v[158:159], v[156:157]
	v_add_f64_e32 v[188:189], v[188:189], v[194:195]
	ds_load_b128 v[4:7], v2 offset:1440
	ds_load_b128 v[156:159], v2 offset:1456
	scratch_load_b128 v[184:187], off, off offset:656
	v_fmac_f64_e32 v[190:191], v[150:151], v[10:11]
	v_fma_f64 v[148:149], v[148:149], v[10:11], -v[12:13]
	scratch_load_b128 v[10:13], off, off offset:672
	s_wait_loadcnt_dscnt 0xb01
	v_mul_f64_e32 v[194:195], v[4:5], v[174:175]
	v_mul_f64_e32 v[174:175], v[6:7], v[174:175]
	;; [unrolled: 18-line block ×10, first 2 shown]
	v_add_f64_e32 v[150:151], v[198:199], v[196:197]
	v_add_f64_e32 v[188:189], v[188:189], v[190:191]
	s_wait_loadcnt_dscnt 0xa00
	v_mul_f64_e32 v[190:191], v[156:157], v[142:143]
	v_mul_f64_e32 v[142:143], v[158:159], v[142:143]
	v_fmac_f64_e32 v[192:193], v[6:7], v[160:161]
	v_fma_f64 v[160:161], v[4:5], v[160:161], -v[162:163]
	v_add_f64_e32 v[162:163], v[150:151], v[148:149]
	v_add_f64_e32 v[188:189], v[188:189], v[194:195]
	ds_load_b128 v[4:7], v2 offset:1728
	ds_load_b128 v[148:151], v2 offset:1744
	v_fmac_f64_e32 v[190:191], v[158:159], v[140:141]
	v_fma_f64 v[140:141], v[156:157], v[140:141], -v[142:143]
	s_wait_loadcnt_dscnt 0x901
	v_mul_f64_e32 v[194:195], v[4:5], v[166:167]
	v_mul_f64_e32 v[166:167], v[6:7], v[166:167]
	s_wait_loadcnt_dscnt 0x800
	v_mul_f64_e32 v[158:159], v[148:149], v[146:147]
	v_mul_f64_e32 v[146:147], v[150:151], v[146:147]
	v_add_f64_e32 v[142:143], v[162:163], v[160:161]
	v_add_f64_e32 v[156:157], v[188:189], v[192:193]
	v_fmac_f64_e32 v[194:195], v[6:7], v[164:165]
	v_fma_f64 v[160:161], v[4:5], v[164:165], -v[166:167]
	v_fmac_f64_e32 v[158:159], v[150:151], v[144:145]
	v_fma_f64 v[144:145], v[148:149], v[144:145], -v[146:147]
	v_add_f64_e32 v[162:163], v[142:143], v[140:141]
	v_add_f64_e32 v[156:157], v[156:157], v[190:191]
	ds_load_b128 v[4:7], v2 offset:1760
	ds_load_b128 v[140:143], v2 offset:1776
	s_wait_loadcnt_dscnt 0x701
	v_mul_f64_e32 v[164:165], v[4:5], v[170:171]
	v_mul_f64_e32 v[166:167], v[6:7], v[170:171]
	s_wait_loadcnt_dscnt 0x600
	v_mul_f64_e32 v[150:151], v[140:141], v[154:155]
	v_mul_f64_e32 v[154:155], v[142:143], v[154:155]
	v_add_f64_e32 v[146:147], v[162:163], v[160:161]
	v_add_f64_e32 v[148:149], v[156:157], v[194:195]
	v_fmac_f64_e32 v[164:165], v[6:7], v[168:169]
	v_fma_f64 v[156:157], v[4:5], v[168:169], -v[166:167]
	v_fmac_f64_e32 v[150:151], v[142:143], v[152:153]
	v_fma_f64 v[140:141], v[140:141], v[152:153], -v[154:155]
	v_add_f64_e32 v[160:161], v[146:147], v[144:145]
	v_add_f64_e32 v[148:149], v[148:149], v[158:159]
	ds_load_b128 v[4:7], v2 offset:1792
	ds_load_b128 v[144:147], v2 offset:1808
	;; [unrolled: 16-line block ×4, first 2 shown]
	s_wait_loadcnt_dscnt 0x101
	v_mul_f64_e32 v[2:3], v[4:5], v[182:183]
	v_mul_f64_e32 v[152:153], v[6:7], v[182:183]
	s_wait_loadcnt_dscnt 0x0
	v_mul_f64_e32 v[142:143], v[10:11], v[134:135]
	v_mul_f64_e32 v[134:135], v[12:13], v[134:135]
	v_add_f64_e32 v[138:139], v[154:155], v[148:149]
	v_add_f64_e32 v[140:141], v[144:145], v[150:151]
	v_fmac_f64_e32 v[2:3], v[6:7], v[180:181]
	v_fma_f64 v[4:5], v[4:5], v[180:181], -v[152:153]
	v_fmac_f64_e32 v[142:143], v[12:13], v[132:133]
	v_fma_f64 v[10:11], v[10:11], v[132:133], -v[134:135]
	v_add_f64_e32 v[6:7], v[138:139], v[136:137]
	v_add_f64_e32 v[136:137], v[140:141], v[146:147]
	s_delay_alu instid0(VALU_DEP_2) | instskip(NEXT) | instid1(VALU_DEP_2)
	v_add_f64_e32 v[4:5], v[6:7], v[4:5]
	v_add_f64_e32 v[2:3], v[136:137], v[2:3]
	s_delay_alu instid0(VALU_DEP_2) | instskip(NEXT) | instid1(VALU_DEP_2)
	;; [unrolled: 3-line block ×3, first 2 shown]
	v_add_f64_e64 v[2:3], v[176:177], -v[4:5]
	v_add_f64_e64 v[4:5], v[178:179], -v[6:7]
	scratch_store_b128 off, v[2:5], off offset:64
	s_wait_xcnt 0x0
	v_cmpx_lt_u32_e32 3, v1
	s_cbranch_execz .LBB58_361
; %bb.360:
	scratch_load_b128 v[2:5], off, s50
	v_mov_b32_e32 v10, 0
	s_delay_alu instid0(VALU_DEP_1)
	v_dual_mov_b32 v11, v10 :: v_dual_mov_b32 v12, v10
	v_mov_b32_e32 v13, v10
	scratch_store_b128 off, v[10:13], off offset:48
	s_wait_loadcnt 0x0
	ds_store_b128 v8, v[2:5]
.LBB58_361:
	s_wait_xcnt 0x0
	s_or_b32 exec_lo, exec_lo, s2
	s_wait_storecnt_dscnt 0x0
	s_barrier_signal -1
	s_barrier_wait -1
	s_clause 0x9
	scratch_load_b128 v[4:7], off, off offset:64
	scratch_load_b128 v[10:13], off, off offset:80
	scratch_load_b128 v[132:135], off, off offset:96
	scratch_load_b128 v[136:139], off, off offset:112
	scratch_load_b128 v[140:143], off, off offset:128
	scratch_load_b128 v[144:147], off, off offset:144
	scratch_load_b128 v[148:151], off, off offset:160
	scratch_load_b128 v[152:155], off, off offset:176
	scratch_load_b128 v[156:159], off, off offset:192
	scratch_load_b128 v[160:163], off, off offset:208
	v_mov_b32_e32 v2, 0
	s_mov_b32 s2, exec_lo
	ds_load_b128 v[164:167], v2 offset:1008
	s_clause 0x2
	scratch_load_b128 v[168:171], off, off offset:224
	scratch_load_b128 v[172:175], off, off offset:48
	;; [unrolled: 1-line block ×3, first 2 shown]
	s_wait_loadcnt_dscnt 0xc00
	v_mul_f64_e32 v[184:185], v[166:167], v[6:7]
	v_mul_f64_e32 v[188:189], v[164:165], v[6:7]
	ds_load_b128 v[176:179], v2 offset:1024
	v_fma_f64 v[192:193], v[164:165], v[4:5], -v[184:185]
	v_fmac_f64_e32 v[188:189], v[166:167], v[4:5]
	ds_load_b128 v[4:7], v2 offset:1040
	s_wait_loadcnt_dscnt 0xb01
	v_mul_f64_e32 v[190:191], v[176:177], v[12:13]
	v_mul_f64_e32 v[12:13], v[178:179], v[12:13]
	scratch_load_b128 v[164:167], off, off offset:256
	ds_load_b128 v[184:187], v2 offset:1056
	s_wait_loadcnt_dscnt 0xb01
	v_mul_f64_e32 v[194:195], v[4:5], v[134:135]
	v_mul_f64_e32 v[134:135], v[6:7], v[134:135]
	v_add_f64_e32 v[188:189], 0, v[188:189]
	v_fmac_f64_e32 v[190:191], v[178:179], v[10:11]
	v_fma_f64 v[176:177], v[176:177], v[10:11], -v[12:13]
	v_add_f64_e32 v[178:179], 0, v[192:193]
	scratch_load_b128 v[10:13], off, off offset:272
	v_fmac_f64_e32 v[194:195], v[6:7], v[132:133]
	v_fma_f64 v[196:197], v[4:5], v[132:133], -v[134:135]
	ds_load_b128 v[4:7], v2 offset:1072
	s_wait_loadcnt_dscnt 0xb01
	v_mul_f64_e32 v[192:193], v[184:185], v[138:139]
	v_mul_f64_e32 v[138:139], v[186:187], v[138:139]
	scratch_load_b128 v[132:135], off, off offset:288
	v_add_f64_e32 v[188:189], v[188:189], v[190:191]
	v_add_f64_e32 v[198:199], v[178:179], v[176:177]
	ds_load_b128 v[176:179], v2 offset:1088
	s_wait_loadcnt_dscnt 0xb01
	v_mul_f64_e32 v[190:191], v[4:5], v[142:143]
	v_mul_f64_e32 v[142:143], v[6:7], v[142:143]
	v_fmac_f64_e32 v[192:193], v[186:187], v[136:137]
	v_fma_f64 v[184:185], v[184:185], v[136:137], -v[138:139]
	scratch_load_b128 v[136:139], off, off offset:304
	v_add_f64_e32 v[188:189], v[188:189], v[194:195]
	v_add_f64_e32 v[186:187], v[198:199], v[196:197]
	v_fmac_f64_e32 v[190:191], v[6:7], v[140:141]
	v_fma_f64 v[196:197], v[4:5], v[140:141], -v[142:143]
	ds_load_b128 v[4:7], v2 offset:1104
	s_wait_loadcnt_dscnt 0xb01
	v_mul_f64_e32 v[194:195], v[176:177], v[146:147]
	v_mul_f64_e32 v[146:147], v[178:179], v[146:147]
	scratch_load_b128 v[140:143], off, off offset:320
	v_add_f64_e32 v[188:189], v[188:189], v[192:193]
	s_wait_loadcnt_dscnt 0xb00
	v_mul_f64_e32 v[192:193], v[4:5], v[150:151]
	v_add_f64_e32 v[198:199], v[186:187], v[184:185]
	v_mul_f64_e32 v[150:151], v[6:7], v[150:151]
	ds_load_b128 v[184:187], v2 offset:1120
	v_fmac_f64_e32 v[194:195], v[178:179], v[144:145]
	v_fma_f64 v[176:177], v[176:177], v[144:145], -v[146:147]
	scratch_load_b128 v[144:147], off, off offset:336
	v_add_f64_e32 v[188:189], v[188:189], v[190:191]
	v_fmac_f64_e32 v[192:193], v[6:7], v[148:149]
	v_add_f64_e32 v[178:179], v[198:199], v[196:197]
	v_fma_f64 v[196:197], v[4:5], v[148:149], -v[150:151]
	ds_load_b128 v[4:7], v2 offset:1136
	s_wait_loadcnt_dscnt 0xb01
	v_mul_f64_e32 v[190:191], v[184:185], v[154:155]
	v_mul_f64_e32 v[154:155], v[186:187], v[154:155]
	scratch_load_b128 v[148:151], off, off offset:352
	v_add_f64_e32 v[188:189], v[188:189], v[194:195]
	s_wait_loadcnt_dscnt 0xb00
	v_mul_f64_e32 v[194:195], v[4:5], v[158:159]
	v_add_f64_e32 v[198:199], v[178:179], v[176:177]
	v_mul_f64_e32 v[158:159], v[6:7], v[158:159]
	ds_load_b128 v[176:179], v2 offset:1152
	v_fmac_f64_e32 v[190:191], v[186:187], v[152:153]
	v_fma_f64 v[184:185], v[184:185], v[152:153], -v[154:155]
	scratch_load_b128 v[152:155], off, off offset:368
	v_add_f64_e32 v[188:189], v[188:189], v[192:193]
	v_fmac_f64_e32 v[194:195], v[6:7], v[156:157]
	v_add_f64_e32 v[186:187], v[198:199], v[196:197]
	v_fma_f64 v[196:197], v[4:5], v[156:157], -v[158:159]
	ds_load_b128 v[4:7], v2 offset:1168
	s_wait_loadcnt_dscnt 0xb01
	v_mul_f64_e32 v[192:193], v[176:177], v[162:163]
	v_mul_f64_e32 v[162:163], v[178:179], v[162:163]
	scratch_load_b128 v[156:159], off, off offset:384
	v_add_f64_e32 v[188:189], v[188:189], v[190:191]
	s_wait_loadcnt_dscnt 0xb00
	v_mul_f64_e32 v[190:191], v[4:5], v[170:171]
	v_add_f64_e32 v[198:199], v[186:187], v[184:185]
	v_mul_f64_e32 v[170:171], v[6:7], v[170:171]
	ds_load_b128 v[184:187], v2 offset:1184
	v_fmac_f64_e32 v[192:193], v[178:179], v[160:161]
	v_fma_f64 v[176:177], v[176:177], v[160:161], -v[162:163]
	scratch_load_b128 v[160:163], off, off offset:400
	v_add_f64_e32 v[188:189], v[188:189], v[194:195]
	v_fmac_f64_e32 v[190:191], v[6:7], v[168:169]
	v_add_f64_e32 v[178:179], v[198:199], v[196:197]
	v_fma_f64 v[196:197], v[4:5], v[168:169], -v[170:171]
	ds_load_b128 v[4:7], v2 offset:1200
	s_wait_loadcnt_dscnt 0xa01
	v_mul_f64_e32 v[194:195], v[184:185], v[182:183]
	v_mul_f64_e32 v[182:183], v[186:187], v[182:183]
	scratch_load_b128 v[168:171], off, off offset:416
	v_add_f64_e32 v[188:189], v[188:189], v[192:193]
	v_add_f64_e32 v[198:199], v[178:179], v[176:177]
	s_wait_loadcnt_dscnt 0xa00
	v_mul_f64_e32 v[192:193], v[4:5], v[166:167]
	v_mul_f64_e32 v[166:167], v[6:7], v[166:167]
	v_fmac_f64_e32 v[194:195], v[186:187], v[180:181]
	v_fma_f64 v[184:185], v[184:185], v[180:181], -v[182:183]
	ds_load_b128 v[176:179], v2 offset:1216
	scratch_load_b128 v[180:183], off, off offset:432
	v_add_f64_e32 v[188:189], v[188:189], v[190:191]
	v_add_f64_e32 v[186:187], v[198:199], v[196:197]
	v_fmac_f64_e32 v[192:193], v[6:7], v[164:165]
	v_fma_f64 v[196:197], v[4:5], v[164:165], -v[166:167]
	ds_load_b128 v[4:7], v2 offset:1232
	s_wait_loadcnt_dscnt 0xa01
	v_mul_f64_e32 v[190:191], v[176:177], v[12:13]
	v_mul_f64_e32 v[12:13], v[178:179], v[12:13]
	scratch_load_b128 v[164:167], off, off offset:448
	v_add_f64_e32 v[188:189], v[188:189], v[194:195]
	s_wait_loadcnt_dscnt 0xa00
	v_mul_f64_e32 v[194:195], v[4:5], v[134:135]
	v_add_f64_e32 v[198:199], v[186:187], v[184:185]
	v_mul_f64_e32 v[134:135], v[6:7], v[134:135]
	ds_load_b128 v[184:187], v2 offset:1248
	v_fmac_f64_e32 v[190:191], v[178:179], v[10:11]
	v_fma_f64 v[176:177], v[176:177], v[10:11], -v[12:13]
	scratch_load_b128 v[10:13], off, off offset:464
	v_add_f64_e32 v[188:189], v[188:189], v[192:193]
	v_fmac_f64_e32 v[194:195], v[6:7], v[132:133]
	v_add_f64_e32 v[178:179], v[198:199], v[196:197]
	v_fma_f64 v[196:197], v[4:5], v[132:133], -v[134:135]
	ds_load_b128 v[4:7], v2 offset:1264
	s_wait_loadcnt_dscnt 0xa01
	v_mul_f64_e32 v[192:193], v[184:185], v[138:139]
	v_mul_f64_e32 v[138:139], v[186:187], v[138:139]
	scratch_load_b128 v[132:135], off, off offset:480
	v_add_f64_e32 v[188:189], v[188:189], v[190:191]
	s_wait_loadcnt_dscnt 0xa00
	v_mul_f64_e32 v[190:191], v[4:5], v[142:143]
	v_add_f64_e32 v[198:199], v[178:179], v[176:177]
	v_mul_f64_e32 v[142:143], v[6:7], v[142:143]
	ds_load_b128 v[176:179], v2 offset:1280
	v_fmac_f64_e32 v[192:193], v[186:187], v[136:137]
	v_fma_f64 v[184:185], v[184:185], v[136:137], -v[138:139]
	scratch_load_b128 v[136:139], off, off offset:496
	v_add_f64_e32 v[188:189], v[188:189], v[194:195]
	v_fmac_f64_e32 v[190:191], v[6:7], v[140:141]
	v_add_f64_e32 v[186:187], v[198:199], v[196:197]
	;; [unrolled: 18-line block ×15, first 2 shown]
	v_fma_f64 v[196:197], v[4:5], v[148:149], -v[150:151]
	ds_load_b128 v[4:7], v2 offset:1712
	s_wait_loadcnt_dscnt 0xa01
	v_mul_f64_e32 v[190:191], v[184:185], v[154:155]
	v_mul_f64_e32 v[154:155], v[186:187], v[154:155]
	scratch_load_b128 v[148:151], off, off offset:928
	v_add_f64_e32 v[188:189], v[188:189], v[194:195]
	s_wait_loadcnt_dscnt 0xa00
	v_mul_f64_e32 v[194:195], v[4:5], v[158:159]
	v_add_f64_e32 v[198:199], v[178:179], v[176:177]
	v_mul_f64_e32 v[158:159], v[6:7], v[158:159]
	ds_load_b128 v[176:179], v2 offset:1728
	v_fmac_f64_e32 v[190:191], v[186:187], v[152:153]
	v_fma_f64 v[152:153], v[184:185], v[152:153], -v[154:155]
	s_wait_loadcnt_dscnt 0x900
	v_mul_f64_e32 v[186:187], v[176:177], v[162:163]
	v_mul_f64_e32 v[162:163], v[178:179], v[162:163]
	v_add_f64_e32 v[184:185], v[188:189], v[192:193]
	v_fmac_f64_e32 v[194:195], v[6:7], v[156:157]
	v_add_f64_e32 v[154:155], v[198:199], v[196:197]
	v_fma_f64 v[156:157], v[4:5], v[156:157], -v[158:159]
	v_fmac_f64_e32 v[186:187], v[178:179], v[160:161]
	v_fma_f64 v[160:161], v[176:177], v[160:161], -v[162:163]
	v_add_f64_e32 v[184:185], v[184:185], v[190:191]
	v_add_f64_e32 v[158:159], v[154:155], v[152:153]
	ds_load_b128 v[4:7], v2 offset:1744
	ds_load_b128 v[152:155], v2 offset:1760
	s_wait_loadcnt_dscnt 0x801
	v_mul_f64_e32 v[188:189], v[4:5], v[170:171]
	v_mul_f64_e32 v[170:171], v[6:7], v[170:171]
	s_wait_loadcnt_dscnt 0x700
	v_mul_f64_e32 v[162:163], v[152:153], v[182:183]
	v_mul_f64_e32 v[176:177], v[154:155], v[182:183]
	v_add_f64_e32 v[156:157], v[158:159], v[156:157]
	v_add_f64_e32 v[158:159], v[184:185], v[194:195]
	v_fmac_f64_e32 v[188:189], v[6:7], v[168:169]
	v_fma_f64 v[168:169], v[4:5], v[168:169], -v[170:171]
	v_fmac_f64_e32 v[162:163], v[154:155], v[180:181]
	v_fma_f64 v[152:153], v[152:153], v[180:181], -v[176:177]
	v_add_f64_e32 v[160:161], v[156:157], v[160:161]
	v_add_f64_e32 v[170:171], v[158:159], v[186:187]
	ds_load_b128 v[4:7], v2 offset:1776
	ds_load_b128 v[156:159], v2 offset:1792
	s_wait_loadcnt_dscnt 0x601
	v_mul_f64_e32 v[178:179], v[4:5], v[166:167]
	v_mul_f64_e32 v[166:167], v[6:7], v[166:167]
	v_add_f64_e32 v[154:155], v[160:161], v[168:169]
	v_add_f64_e32 v[160:161], v[170:171], v[188:189]
	s_wait_loadcnt_dscnt 0x500
	v_mul_f64_e32 v[168:169], v[156:157], v[12:13]
	v_mul_f64_e32 v[12:13], v[158:159], v[12:13]
	v_fmac_f64_e32 v[178:179], v[6:7], v[164:165]
	v_fma_f64 v[164:165], v[4:5], v[164:165], -v[166:167]
	v_add_f64_e32 v[166:167], v[154:155], v[152:153]
	v_add_f64_e32 v[160:161], v[160:161], v[162:163]
	ds_load_b128 v[4:7], v2 offset:1808
	ds_load_b128 v[152:155], v2 offset:1824
	v_fmac_f64_e32 v[168:169], v[158:159], v[10:11]
	v_fma_f64 v[10:11], v[156:157], v[10:11], -v[12:13]
	s_wait_loadcnt_dscnt 0x401
	v_mul_f64_e32 v[162:163], v[4:5], v[134:135]
	v_mul_f64_e32 v[134:135], v[6:7], v[134:135]
	s_wait_loadcnt_dscnt 0x300
	v_mul_f64_e32 v[158:159], v[152:153], v[138:139]
	v_mul_f64_e32 v[138:139], v[154:155], v[138:139]
	v_add_f64_e32 v[12:13], v[166:167], v[164:165]
	v_add_f64_e32 v[156:157], v[160:161], v[178:179]
	v_fmac_f64_e32 v[162:163], v[6:7], v[132:133]
	v_fma_f64 v[132:133], v[4:5], v[132:133], -v[134:135]
	v_fmac_f64_e32 v[158:159], v[154:155], v[136:137]
	v_fma_f64 v[136:137], v[152:153], v[136:137], -v[138:139]
	v_add_f64_e32 v[134:135], v[12:13], v[10:11]
	v_add_f64_e32 v[156:157], v[156:157], v[168:169]
	ds_load_b128 v[4:7], v2 offset:1840
	ds_load_b128 v[10:13], v2 offset:1856
	s_wait_loadcnt_dscnt 0x201
	v_mul_f64_e32 v[160:161], v[4:5], v[142:143]
	v_mul_f64_e32 v[142:143], v[6:7], v[142:143]
	s_wait_loadcnt_dscnt 0x100
	v_mul_f64_e32 v[138:139], v[10:11], v[146:147]
	v_mul_f64_e32 v[146:147], v[12:13], v[146:147]
	v_add_f64_e32 v[132:133], v[134:135], v[132:133]
	v_add_f64_e32 v[134:135], v[156:157], v[162:163]
	v_fmac_f64_e32 v[160:161], v[6:7], v[140:141]
	v_fma_f64 v[140:141], v[4:5], v[140:141], -v[142:143]
	ds_load_b128 v[4:7], v2 offset:1872
	v_fmac_f64_e32 v[138:139], v[12:13], v[144:145]
	v_fma_f64 v[10:11], v[10:11], v[144:145], -v[146:147]
	v_add_f64_e32 v[132:133], v[132:133], v[136:137]
	v_add_f64_e32 v[134:135], v[134:135], v[158:159]
	s_wait_loadcnt_dscnt 0x0
	v_mul_f64_e32 v[136:137], v[4:5], v[150:151]
	v_mul_f64_e32 v[142:143], v[6:7], v[150:151]
	s_delay_alu instid0(VALU_DEP_4) | instskip(NEXT) | instid1(VALU_DEP_4)
	v_add_f64_e32 v[12:13], v[132:133], v[140:141]
	v_add_f64_e32 v[132:133], v[134:135], v[160:161]
	s_delay_alu instid0(VALU_DEP_4) | instskip(NEXT) | instid1(VALU_DEP_4)
	v_fmac_f64_e32 v[136:137], v[6:7], v[148:149]
	v_fma_f64 v[4:5], v[4:5], v[148:149], -v[142:143]
	s_delay_alu instid0(VALU_DEP_4) | instskip(NEXT) | instid1(VALU_DEP_4)
	v_add_f64_e32 v[6:7], v[12:13], v[10:11]
	v_add_f64_e32 v[10:11], v[132:133], v[138:139]
	s_delay_alu instid0(VALU_DEP_2) | instskip(NEXT) | instid1(VALU_DEP_2)
	v_add_f64_e32 v[4:5], v[6:7], v[4:5]
	v_add_f64_e32 v[6:7], v[10:11], v[136:137]
	s_delay_alu instid0(VALU_DEP_2) | instskip(NEXT) | instid1(VALU_DEP_2)
	v_add_f64_e64 v[4:5], v[172:173], -v[4:5]
	v_add_f64_e64 v[6:7], v[174:175], -v[6:7]
	scratch_store_b128 off, v[4:7], off offset:48
	s_wait_xcnt 0x0
	v_cmpx_lt_u32_e32 2, v1
	s_cbranch_execz .LBB58_363
; %bb.362:
	scratch_load_b128 v[10:13], off, s51
	v_dual_mov_b32 v3, v2 :: v_dual_mov_b32 v4, v2
	v_mov_b32_e32 v5, v2
	scratch_store_b128 off, v[2:5], off offset:32
	s_wait_loadcnt 0x0
	ds_store_b128 v8, v[10:13]
.LBB58_363:
	s_wait_xcnt 0x0
	s_or_b32 exec_lo, exec_lo, s2
	s_wait_storecnt_dscnt 0x0
	s_barrier_signal -1
	s_barrier_wait -1
	s_clause 0x9
	scratch_load_b128 v[4:7], off, off offset:48
	scratch_load_b128 v[10:13], off, off offset:64
	scratch_load_b128 v[132:135], off, off offset:80
	scratch_load_b128 v[136:139], off, off offset:96
	scratch_load_b128 v[140:143], off, off offset:112
	scratch_load_b128 v[144:147], off, off offset:128
	scratch_load_b128 v[148:151], off, off offset:144
	scratch_load_b128 v[152:155], off, off offset:160
	scratch_load_b128 v[156:159], off, off offset:176
	scratch_load_b128 v[160:163], off, off offset:192
	ds_load_b128 v[164:167], v2 offset:992
	ds_load_b128 v[172:175], v2 offset:1008
	s_clause 0x2
	scratch_load_b128 v[168:171], off, off offset:208
	scratch_load_b128 v[176:179], off, off offset:32
	;; [unrolled: 1-line block ×3, first 2 shown]
	s_mov_b32 s2, exec_lo
	v_ashrrev_i32_e32 v21, 31, v20
	v_dual_ashrrev_i32 v25, 31, v24 :: v_dual_ashrrev_i32 v19, 31, v18
	v_ashrrev_i32_e32 v23, 31, v22
	v_dual_ashrrev_i32 v27, 31, v26 :: v_dual_ashrrev_i32 v37, 31, v36
	;; [unrolled: 2-line block ×3, first 2 shown]
	v_dual_ashrrev_i32 v35, 31, v34 :: v_dual_ashrrev_i32 v41, 31, v40
	v_dual_ashrrev_i32 v45, 31, v44 :: v_dual_ashrrev_i32 v39, 31, v38
	;; [unrolled: 1-line block ×5, first 2 shown]
	v_ashrrev_i32_e32 v61, 31, v60
	v_ashrrev_i32_e32 v65, 31, v64
	v_dual_ashrrev_i32 v69, 31, v68 :: v_dual_ashrrev_i32 v55, 31, v54
	v_ashrrev_i32_e32 v59, 31, v58
	v_ashrrev_i32_e32 v63, 31, v62
	v_dual_ashrrev_i32 v67, 31, v66 :: v_dual_ashrrev_i32 v73, 31, v72
	v_dual_ashrrev_i32 v77, 31, v76 :: v_dual_ashrrev_i32 v71, 31, v70
	;; [unrolled: 1-line block ×3, first 2 shown]
	v_ashrrev_i32_e32 v85, 31, v84
	v_dual_ashrrev_i32 v89, 31, v88 :: v_dual_ashrrev_i32 v79, 31, v78
	v_dual_ashrrev_i32 v93, 31, v92 :: v_dual_ashrrev_i32 v83, 31, v82
	v_ashrrev_i32_e32 v97, 31, v96
	v_dual_ashrrev_i32 v101, 31, v100 :: v_dual_ashrrev_i32 v87, 31, v86
	v_ashrrev_i32_e32 v91, 31, v90
	v_dual_ashrrev_i32 v95, 31, v94 :: v_dual_ashrrev_i32 v105, 31, v104
	v_dual_ashrrev_i32 v109, 31, v108 :: v_dual_ashrrev_i32 v99, 31, v98
	;; [unrolled: 1-line block ×3, first 2 shown]
	v_ashrrev_i32_e32 v117, 31, v116
	v_dual_ashrrev_i32 v121, 31, v120 :: v_dual_ashrrev_i32 v107, 31, v106
	v_dual_ashrrev_i32 v125, 31, v124 :: v_dual_ashrrev_i32 v111, 31, v110
	;; [unrolled: 1-line block ×3, first 2 shown]
	v_ashrrev_i32_e32 v119, 31, v118
	v_ashrrev_i32_e32 v123, 31, v122
	;; [unrolled: 1-line block ×4, first 2 shown]
	s_wait_loadcnt_dscnt 0xc01
	v_mul_f64_e32 v[184:185], v[166:167], v[6:7]
	v_mul_f64_e32 v[188:189], v[164:165], v[6:7]
	s_wait_loadcnt_dscnt 0xb00
	v_mul_f64_e32 v[190:191], v[172:173], v[12:13]
	v_mul_f64_e32 v[12:13], v[174:175], v[12:13]
	s_delay_alu instid0(VALU_DEP_4) | instskip(NEXT) | instid1(VALU_DEP_4)
	v_fma_f64 v[192:193], v[164:165], v[4:5], -v[184:185]
	v_fmac_f64_e32 v[188:189], v[166:167], v[4:5]
	ds_load_b128 v[4:7], v2 offset:1024
	ds_load_b128 v[184:187], v2 offset:1040
	scratch_load_b128 v[164:167], off, off offset:240
	v_fmac_f64_e32 v[190:191], v[174:175], v[10:11]
	v_fma_f64 v[172:173], v[172:173], v[10:11], -v[12:13]
	scratch_load_b128 v[10:13], off, off offset:256
	s_wait_loadcnt_dscnt 0xc01
	v_mul_f64_e32 v[194:195], v[4:5], v[134:135]
	v_mul_f64_e32 v[134:135], v[6:7], v[134:135]
	v_add_f64_e32 v[174:175], 0, v[192:193]
	v_add_f64_e32 v[188:189], 0, v[188:189]
	s_wait_loadcnt_dscnt 0xb00
	v_mul_f64_e32 v[192:193], v[184:185], v[138:139]
	v_mul_f64_e32 v[138:139], v[186:187], v[138:139]
	v_fmac_f64_e32 v[194:195], v[6:7], v[132:133]
	v_fma_f64 v[196:197], v[4:5], v[132:133], -v[134:135]
	ds_load_b128 v[4:7], v2 offset:1056
	scratch_load_b128 v[132:135], off, off offset:272
	v_add_f64_e32 v[198:199], v[174:175], v[172:173]
	v_add_f64_e32 v[188:189], v[188:189], v[190:191]
	ds_load_b128 v[172:175], v2 offset:1072
	v_fmac_f64_e32 v[192:193], v[186:187], v[136:137]
	v_fma_f64 v[184:185], v[184:185], v[136:137], -v[138:139]
	scratch_load_b128 v[136:139], off, off offset:288
	s_wait_loadcnt_dscnt 0xc01
	v_mul_f64_e32 v[190:191], v[4:5], v[142:143]
	v_mul_f64_e32 v[142:143], v[6:7], v[142:143]
	v_add_f64_e32 v[186:187], v[198:199], v[196:197]
	v_add_f64_e32 v[188:189], v[188:189], v[194:195]
	s_wait_loadcnt_dscnt 0xb00
	v_mul_f64_e32 v[194:195], v[172:173], v[146:147]
	v_mul_f64_e32 v[146:147], v[174:175], v[146:147]
	v_fmac_f64_e32 v[190:191], v[6:7], v[140:141]
	v_fma_f64 v[196:197], v[4:5], v[140:141], -v[142:143]
	ds_load_b128 v[4:7], v2 offset:1088
	scratch_load_b128 v[140:143], off, off offset:304
	v_add_f64_e32 v[198:199], v[186:187], v[184:185]
	v_add_f64_e32 v[188:189], v[188:189], v[192:193]
	ds_load_b128 v[184:187], v2 offset:1104
	s_wait_loadcnt_dscnt 0xb01
	v_mul_f64_e32 v[192:193], v[4:5], v[150:151]
	v_mul_f64_e32 v[150:151], v[6:7], v[150:151]
	v_fmac_f64_e32 v[194:195], v[174:175], v[144:145]
	v_fma_f64 v[172:173], v[172:173], v[144:145], -v[146:147]
	scratch_load_b128 v[144:147], off, off offset:320
	v_add_f64_e32 v[174:175], v[198:199], v[196:197]
	v_add_f64_e32 v[188:189], v[188:189], v[190:191]
	s_wait_loadcnt_dscnt 0xb00
	v_mul_f64_e32 v[190:191], v[184:185], v[154:155]
	v_mul_f64_e32 v[154:155], v[186:187], v[154:155]
	v_fmac_f64_e32 v[192:193], v[6:7], v[148:149]
	v_fma_f64 v[196:197], v[4:5], v[148:149], -v[150:151]
	ds_load_b128 v[4:7], v2 offset:1120
	scratch_load_b128 v[148:151], off, off offset:336
	v_add_f64_e32 v[198:199], v[174:175], v[172:173]
	v_add_f64_e32 v[188:189], v[188:189], v[194:195]
	ds_load_b128 v[172:175], v2 offset:1136
	s_wait_loadcnt_dscnt 0xb01
	v_mul_f64_e32 v[194:195], v[4:5], v[158:159]
	v_mul_f64_e32 v[158:159], v[6:7], v[158:159]
	v_fmac_f64_e32 v[190:191], v[186:187], v[152:153]
	v_fma_f64 v[184:185], v[184:185], v[152:153], -v[154:155]
	scratch_load_b128 v[152:155], off, off offset:352
	;; [unrolled: 18-line block ×3, first 2 shown]
	v_add_f64_e32 v[174:175], v[198:199], v[196:197]
	v_add_f64_e32 v[188:189], v[188:189], v[194:195]
	s_wait_loadcnt_dscnt 0xa00
	v_mul_f64_e32 v[194:195], v[184:185], v[182:183]
	v_mul_f64_e32 v[182:183], v[186:187], v[182:183]
	v_fmac_f64_e32 v[190:191], v[6:7], v[168:169]
	v_fma_f64 v[196:197], v[4:5], v[168:169], -v[170:171]
	ds_load_b128 v[4:7], v2 offset:1184
	scratch_load_b128 v[168:171], off, off offset:400
	v_add_f64_e32 v[198:199], v[174:175], v[172:173]
	v_add_f64_e32 v[188:189], v[188:189], v[192:193]
	ds_load_b128 v[172:175], v2 offset:1200
	v_fmac_f64_e32 v[194:195], v[186:187], v[180:181]
	s_wait_loadcnt_dscnt 0xa01
	v_mul_f64_e32 v[192:193], v[4:5], v[166:167]
	v_mul_f64_e32 v[166:167], v[6:7], v[166:167]
	v_fma_f64 v[184:185], v[184:185], v[180:181], -v[182:183]
	scratch_load_b128 v[180:183], off, off offset:416
	v_add_f64_e32 v[186:187], v[198:199], v[196:197]
	v_add_f64_e32 v[188:189], v[188:189], v[190:191]
	s_wait_loadcnt_dscnt 0xa00
	v_mul_f64_e32 v[190:191], v[172:173], v[12:13]
	v_mul_f64_e32 v[12:13], v[174:175], v[12:13]
	v_fmac_f64_e32 v[192:193], v[6:7], v[164:165]
	v_fma_f64 v[196:197], v[4:5], v[164:165], -v[166:167]
	ds_load_b128 v[4:7], v2 offset:1216
	scratch_load_b128 v[164:167], off, off offset:432
	v_add_f64_e32 v[198:199], v[186:187], v[184:185]
	v_add_f64_e32 v[188:189], v[188:189], v[194:195]
	ds_load_b128 v[184:187], v2 offset:1232
	s_wait_loadcnt_dscnt 0xa01
	v_mul_f64_e32 v[194:195], v[4:5], v[134:135]
	v_mul_f64_e32 v[134:135], v[6:7], v[134:135]
	v_fmac_f64_e32 v[190:191], v[174:175], v[10:11]
	v_fma_f64 v[172:173], v[172:173], v[10:11], -v[12:13]
	scratch_load_b128 v[10:13], off, off offset:448
	v_add_f64_e32 v[174:175], v[198:199], v[196:197]
	v_add_f64_e32 v[188:189], v[188:189], v[192:193]
	s_wait_loadcnt_dscnt 0xa00
	v_mul_f64_e32 v[192:193], v[184:185], v[138:139]
	v_mul_f64_e32 v[138:139], v[186:187], v[138:139]
	v_fmac_f64_e32 v[194:195], v[6:7], v[132:133]
	v_fma_f64 v[196:197], v[4:5], v[132:133], -v[134:135]
	ds_load_b128 v[4:7], v2 offset:1248
	scratch_load_b128 v[132:135], off, off offset:464
	v_add_f64_e32 v[198:199], v[174:175], v[172:173]
	v_add_f64_e32 v[188:189], v[188:189], v[190:191]
	ds_load_b128 v[172:175], v2 offset:1264
	s_wait_loadcnt_dscnt 0xa01
	v_mul_f64_e32 v[190:191], v[4:5], v[142:143]
	v_mul_f64_e32 v[142:143], v[6:7], v[142:143]
	v_fmac_f64_e32 v[192:193], v[186:187], v[136:137]
	v_fma_f64 v[184:185], v[184:185], v[136:137], -v[138:139]
	scratch_load_b128 v[136:139], off, off offset:480
	v_add_f64_e32 v[186:187], v[198:199], v[196:197]
	v_add_f64_e32 v[188:189], v[188:189], v[194:195]
	s_wait_loadcnt_dscnt 0xa00
	v_mul_f64_e32 v[194:195], v[172:173], v[146:147]
	v_mul_f64_e32 v[146:147], v[174:175], v[146:147]
	v_fmac_f64_e32 v[190:191], v[6:7], v[140:141]
	v_fma_f64 v[196:197], v[4:5], v[140:141], -v[142:143]
	ds_load_b128 v[4:7], v2 offset:1280
	scratch_load_b128 v[140:143], off, off offset:496
	v_add_f64_e32 v[198:199], v[186:187], v[184:185]
	v_add_f64_e32 v[188:189], v[188:189], v[192:193]
	ds_load_b128 v[184:187], v2 offset:1296
	s_wait_loadcnt_dscnt 0xa01
	v_mul_f64_e32 v[192:193], v[4:5], v[150:151]
	v_mul_f64_e32 v[150:151], v[6:7], v[150:151]
	v_fmac_f64_e32 v[194:195], v[174:175], v[144:145]
	v_fma_f64 v[172:173], v[172:173], v[144:145], -v[146:147]
	scratch_load_b128 v[144:147], off, off offset:512
	v_add_f64_e32 v[174:175], v[198:199], v[196:197]
	v_add_f64_e32 v[188:189], v[188:189], v[190:191]
	s_wait_loadcnt_dscnt 0xa00
	v_mul_f64_e32 v[190:191], v[184:185], v[154:155]
	v_mul_f64_e32 v[154:155], v[186:187], v[154:155]
	v_fmac_f64_e32 v[192:193], v[6:7], v[148:149]
	v_fma_f64 v[196:197], v[4:5], v[148:149], -v[150:151]
	ds_load_b128 v[4:7], v2 offset:1312
	scratch_load_b128 v[148:151], off, off offset:528
	v_add_f64_e32 v[198:199], v[174:175], v[172:173]
	v_add_f64_e32 v[188:189], v[188:189], v[194:195]
	ds_load_b128 v[172:175], v2 offset:1328
	s_wait_loadcnt_dscnt 0xa01
	v_mul_f64_e32 v[194:195], v[4:5], v[158:159]
	v_mul_f64_e32 v[158:159], v[6:7], v[158:159]
	v_fmac_f64_e32 v[190:191], v[186:187], v[152:153]
	v_fma_f64 v[184:185], v[184:185], v[152:153], -v[154:155]
	scratch_load_b128 v[152:155], off, off offset:544
	v_add_f64_e32 v[186:187], v[198:199], v[196:197]
	v_add_f64_e32 v[188:189], v[188:189], v[192:193]
	s_wait_loadcnt_dscnt 0xa00
	v_mul_f64_e32 v[192:193], v[172:173], v[162:163]
	v_mul_f64_e32 v[162:163], v[174:175], v[162:163]
	v_fmac_f64_e32 v[194:195], v[6:7], v[156:157]
	v_fma_f64 v[196:197], v[4:5], v[156:157], -v[158:159]
	ds_load_b128 v[4:7], v2 offset:1344
	scratch_load_b128 v[156:159], off, off offset:560
	v_add_f64_e32 v[198:199], v[186:187], v[184:185]
	v_add_f64_e32 v[188:189], v[188:189], v[190:191]
	ds_load_b128 v[184:187], v2 offset:1360
	s_wait_loadcnt_dscnt 0xa01
	v_mul_f64_e32 v[190:191], v[4:5], v[170:171]
	v_mul_f64_e32 v[170:171], v[6:7], v[170:171]
	v_fmac_f64_e32 v[192:193], v[174:175], v[160:161]
	v_fma_f64 v[172:173], v[172:173], v[160:161], -v[162:163]
	scratch_load_b128 v[160:163], off, off offset:576
	v_add_f64_e32 v[174:175], v[198:199], v[196:197]
	v_add_f64_e32 v[188:189], v[188:189], v[194:195]
	s_wait_loadcnt_dscnt 0xa00
	v_mul_f64_e32 v[194:195], v[184:185], v[182:183]
	v_mul_f64_e32 v[182:183], v[186:187], v[182:183]
	v_fmac_f64_e32 v[190:191], v[6:7], v[168:169]
	v_fma_f64 v[196:197], v[4:5], v[168:169], -v[170:171]
	ds_load_b128 v[4:7], v2 offset:1376
	scratch_load_b128 v[168:171], off, off offset:592
	v_add_f64_e32 v[198:199], v[174:175], v[172:173]
	v_add_f64_e32 v[188:189], v[188:189], v[192:193]
	ds_load_b128 v[172:175], v2 offset:1392
	s_wait_loadcnt_dscnt 0xa01
	v_mul_f64_e32 v[192:193], v[4:5], v[166:167]
	v_mul_f64_e32 v[166:167], v[6:7], v[166:167]
	v_fmac_f64_e32 v[194:195], v[186:187], v[180:181]
	v_fma_f64 v[184:185], v[184:185], v[180:181], -v[182:183]
	scratch_load_b128 v[180:183], off, off offset:608
	v_add_f64_e32 v[186:187], v[198:199], v[196:197]
	v_add_f64_e32 v[188:189], v[188:189], v[190:191]
	s_wait_loadcnt_dscnt 0xa00
	v_mul_f64_e32 v[190:191], v[172:173], v[12:13]
	v_mul_f64_e32 v[12:13], v[174:175], v[12:13]
	v_fmac_f64_e32 v[192:193], v[6:7], v[164:165]
	v_fma_f64 v[196:197], v[4:5], v[164:165], -v[166:167]
	ds_load_b128 v[4:7], v2 offset:1408
	scratch_load_b128 v[164:167], off, off offset:624
	v_add_f64_e32 v[198:199], v[186:187], v[184:185]
	v_add_f64_e32 v[188:189], v[188:189], v[194:195]
	ds_load_b128 v[184:187], v2 offset:1424
	s_wait_loadcnt_dscnt 0xa01
	v_mul_f64_e32 v[194:195], v[4:5], v[134:135]
	v_mul_f64_e32 v[134:135], v[6:7], v[134:135]
	v_fmac_f64_e32 v[190:191], v[174:175], v[10:11]
	v_fma_f64 v[172:173], v[172:173], v[10:11], -v[12:13]
	scratch_load_b128 v[10:13], off, off offset:640
	v_add_f64_e32 v[174:175], v[198:199], v[196:197]
	v_add_f64_e32 v[188:189], v[188:189], v[192:193]
	s_wait_loadcnt_dscnt 0xa00
	v_mul_f64_e32 v[192:193], v[184:185], v[138:139]
	v_mul_f64_e32 v[138:139], v[186:187], v[138:139]
	v_fmac_f64_e32 v[194:195], v[6:7], v[132:133]
	v_fma_f64 v[196:197], v[4:5], v[132:133], -v[134:135]
	ds_load_b128 v[4:7], v2 offset:1440
	scratch_load_b128 v[132:135], off, off offset:656
	v_add_f64_e32 v[198:199], v[174:175], v[172:173]
	v_add_f64_e32 v[188:189], v[188:189], v[190:191]
	ds_load_b128 v[172:175], v2 offset:1456
	s_wait_loadcnt_dscnt 0xa01
	v_mul_f64_e32 v[190:191], v[4:5], v[142:143]
	v_mul_f64_e32 v[142:143], v[6:7], v[142:143]
	v_fmac_f64_e32 v[192:193], v[186:187], v[136:137]
	v_fma_f64 v[184:185], v[184:185], v[136:137], -v[138:139]
	scratch_load_b128 v[136:139], off, off offset:672
	v_add_f64_e32 v[186:187], v[198:199], v[196:197]
	v_add_f64_e32 v[188:189], v[188:189], v[194:195]
	s_wait_loadcnt_dscnt 0xa00
	v_mul_f64_e32 v[194:195], v[172:173], v[146:147]
	v_mul_f64_e32 v[146:147], v[174:175], v[146:147]
	v_fmac_f64_e32 v[190:191], v[6:7], v[140:141]
	v_fma_f64 v[196:197], v[4:5], v[140:141], -v[142:143]
	ds_load_b128 v[4:7], v2 offset:1472
	scratch_load_b128 v[140:143], off, off offset:688
	v_add_f64_e32 v[198:199], v[186:187], v[184:185]
	v_add_f64_e32 v[188:189], v[188:189], v[192:193]
	ds_load_b128 v[184:187], v2 offset:1488
	s_wait_loadcnt_dscnt 0xa01
	v_mul_f64_e32 v[192:193], v[4:5], v[150:151]
	v_mul_f64_e32 v[150:151], v[6:7], v[150:151]
	v_fmac_f64_e32 v[194:195], v[174:175], v[144:145]
	v_fma_f64 v[172:173], v[172:173], v[144:145], -v[146:147]
	scratch_load_b128 v[144:147], off, off offset:704
	v_add_f64_e32 v[174:175], v[198:199], v[196:197]
	v_add_f64_e32 v[188:189], v[188:189], v[190:191]
	s_wait_loadcnt_dscnt 0xa00
	v_mul_f64_e32 v[190:191], v[184:185], v[154:155]
	v_mul_f64_e32 v[154:155], v[186:187], v[154:155]
	v_fmac_f64_e32 v[192:193], v[6:7], v[148:149]
	v_fma_f64 v[196:197], v[4:5], v[148:149], -v[150:151]
	ds_load_b128 v[4:7], v2 offset:1504
	scratch_load_b128 v[148:151], off, off offset:720
	v_add_f64_e32 v[198:199], v[174:175], v[172:173]
	v_add_f64_e32 v[188:189], v[188:189], v[194:195]
	ds_load_b128 v[172:175], v2 offset:1520
	s_wait_loadcnt_dscnt 0xa01
	v_mul_f64_e32 v[194:195], v[4:5], v[158:159]
	v_mul_f64_e32 v[158:159], v[6:7], v[158:159]
	v_fmac_f64_e32 v[190:191], v[186:187], v[152:153]
	v_fma_f64 v[184:185], v[184:185], v[152:153], -v[154:155]
	scratch_load_b128 v[152:155], off, off offset:736
	v_add_f64_e32 v[186:187], v[198:199], v[196:197]
	v_add_f64_e32 v[188:189], v[188:189], v[192:193]
	s_wait_loadcnt_dscnt 0xa00
	v_mul_f64_e32 v[192:193], v[172:173], v[162:163]
	v_mul_f64_e32 v[162:163], v[174:175], v[162:163]
	v_fmac_f64_e32 v[194:195], v[6:7], v[156:157]
	v_fma_f64 v[196:197], v[4:5], v[156:157], -v[158:159]
	ds_load_b128 v[4:7], v2 offset:1536
	scratch_load_b128 v[156:159], off, off offset:752
	v_add_f64_e32 v[198:199], v[186:187], v[184:185]
	v_add_f64_e32 v[188:189], v[188:189], v[190:191]
	ds_load_b128 v[184:187], v2 offset:1552
	s_wait_loadcnt_dscnt 0xa01
	v_mul_f64_e32 v[190:191], v[4:5], v[170:171]
	v_mul_f64_e32 v[170:171], v[6:7], v[170:171]
	v_fmac_f64_e32 v[192:193], v[174:175], v[160:161]
	v_fma_f64 v[172:173], v[172:173], v[160:161], -v[162:163]
	scratch_load_b128 v[160:163], off, off offset:768
	v_add_f64_e32 v[174:175], v[198:199], v[196:197]
	v_add_f64_e32 v[188:189], v[188:189], v[194:195]
	s_wait_loadcnt_dscnt 0xa00
	v_mul_f64_e32 v[194:195], v[184:185], v[182:183]
	v_mul_f64_e32 v[182:183], v[186:187], v[182:183]
	v_fmac_f64_e32 v[190:191], v[6:7], v[168:169]
	v_fma_f64 v[196:197], v[4:5], v[168:169], -v[170:171]
	ds_load_b128 v[4:7], v2 offset:1568
	scratch_load_b128 v[168:171], off, off offset:784
	v_add_f64_e32 v[198:199], v[174:175], v[172:173]
	v_add_f64_e32 v[188:189], v[188:189], v[192:193]
	ds_load_b128 v[172:175], v2 offset:1584
	s_wait_loadcnt_dscnt 0xa01
	v_mul_f64_e32 v[192:193], v[4:5], v[166:167]
	v_mul_f64_e32 v[166:167], v[6:7], v[166:167]
	v_fmac_f64_e32 v[194:195], v[186:187], v[180:181]
	v_fma_f64 v[184:185], v[184:185], v[180:181], -v[182:183]
	scratch_load_b128 v[180:183], off, off offset:800
	v_add_f64_e32 v[186:187], v[198:199], v[196:197]
	v_add_f64_e32 v[188:189], v[188:189], v[190:191]
	s_wait_loadcnt_dscnt 0xa00
	v_mul_f64_e32 v[190:191], v[172:173], v[12:13]
	v_mul_f64_e32 v[12:13], v[174:175], v[12:13]
	v_fmac_f64_e32 v[192:193], v[6:7], v[164:165]
	v_fma_f64 v[196:197], v[4:5], v[164:165], -v[166:167]
	ds_load_b128 v[4:7], v2 offset:1600
	scratch_load_b128 v[164:167], off, off offset:816
	v_add_f64_e32 v[198:199], v[186:187], v[184:185]
	v_add_f64_e32 v[188:189], v[188:189], v[194:195]
	ds_load_b128 v[184:187], v2 offset:1616
	s_wait_loadcnt_dscnt 0xa01
	v_mul_f64_e32 v[194:195], v[4:5], v[134:135]
	v_mul_f64_e32 v[134:135], v[6:7], v[134:135]
	v_fmac_f64_e32 v[190:191], v[174:175], v[10:11]
	v_fma_f64 v[172:173], v[172:173], v[10:11], -v[12:13]
	scratch_load_b128 v[10:13], off, off offset:832
	v_add_f64_e32 v[174:175], v[198:199], v[196:197]
	v_add_f64_e32 v[188:189], v[188:189], v[192:193]
	s_wait_loadcnt_dscnt 0xa00
	v_mul_f64_e32 v[192:193], v[184:185], v[138:139]
	v_mul_f64_e32 v[138:139], v[186:187], v[138:139]
	v_fmac_f64_e32 v[194:195], v[6:7], v[132:133]
	v_fma_f64 v[196:197], v[4:5], v[132:133], -v[134:135]
	ds_load_b128 v[4:7], v2 offset:1632
	scratch_load_b128 v[132:135], off, off offset:848
	v_add_f64_e32 v[198:199], v[174:175], v[172:173]
	v_add_f64_e32 v[188:189], v[188:189], v[190:191]
	ds_load_b128 v[172:175], v2 offset:1648
	s_wait_loadcnt_dscnt 0xa01
	v_mul_f64_e32 v[190:191], v[4:5], v[142:143]
	v_mul_f64_e32 v[142:143], v[6:7], v[142:143]
	v_fmac_f64_e32 v[192:193], v[186:187], v[136:137]
	v_fma_f64 v[184:185], v[184:185], v[136:137], -v[138:139]
	scratch_load_b128 v[136:139], off, off offset:864
	v_add_f64_e32 v[186:187], v[198:199], v[196:197]
	v_add_f64_e32 v[188:189], v[188:189], v[194:195]
	s_wait_loadcnt_dscnt 0xa00
	v_mul_f64_e32 v[194:195], v[172:173], v[146:147]
	v_mul_f64_e32 v[146:147], v[174:175], v[146:147]
	v_fmac_f64_e32 v[190:191], v[6:7], v[140:141]
	v_fma_f64 v[196:197], v[4:5], v[140:141], -v[142:143]
	ds_load_b128 v[4:7], v2 offset:1664
	scratch_load_b128 v[140:143], off, off offset:880
	v_add_f64_e32 v[198:199], v[186:187], v[184:185]
	v_add_f64_e32 v[188:189], v[188:189], v[192:193]
	ds_load_b128 v[184:187], v2 offset:1680
	s_wait_loadcnt_dscnt 0xa01
	v_mul_f64_e32 v[192:193], v[4:5], v[150:151]
	v_mul_f64_e32 v[150:151], v[6:7], v[150:151]
	v_fmac_f64_e32 v[194:195], v[174:175], v[144:145]
	v_fma_f64 v[172:173], v[172:173], v[144:145], -v[146:147]
	scratch_load_b128 v[144:147], off, off offset:896
	v_add_f64_e32 v[174:175], v[198:199], v[196:197]
	v_add_f64_e32 v[188:189], v[188:189], v[190:191]
	s_wait_loadcnt_dscnt 0xa00
	v_mul_f64_e32 v[190:191], v[184:185], v[154:155]
	v_mul_f64_e32 v[154:155], v[186:187], v[154:155]
	v_fmac_f64_e32 v[192:193], v[6:7], v[148:149]
	v_fma_f64 v[196:197], v[4:5], v[148:149], -v[150:151]
	ds_load_b128 v[4:7], v2 offset:1696
	scratch_load_b128 v[148:151], off, off offset:912
	v_add_f64_e32 v[198:199], v[174:175], v[172:173]
	v_add_f64_e32 v[188:189], v[188:189], v[194:195]
	ds_load_b128 v[172:175], v2 offset:1712
	s_wait_loadcnt_dscnt 0xa01
	v_mul_f64_e32 v[194:195], v[4:5], v[158:159]
	v_mul_f64_e32 v[158:159], v[6:7], v[158:159]
	v_fmac_f64_e32 v[190:191], v[186:187], v[152:153]
	v_fma_f64 v[184:185], v[184:185], v[152:153], -v[154:155]
	scratch_load_b128 v[152:155], off, off offset:928
	v_add_f64_e32 v[186:187], v[198:199], v[196:197]
	v_add_f64_e32 v[188:189], v[188:189], v[192:193]
	s_wait_loadcnt_dscnt 0xa00
	v_mul_f64_e32 v[192:193], v[172:173], v[162:163]
	v_mul_f64_e32 v[162:163], v[174:175], v[162:163]
	v_fmac_f64_e32 v[194:195], v[6:7], v[156:157]
	v_fma_f64 v[196:197], v[4:5], v[156:157], -v[158:159]
	ds_load_b128 v[4:7], v2 offset:1728
	ds_load_b128 v[156:159], v2 offset:1744
	v_add_f64_e32 v[184:185], v[186:187], v[184:185]
	v_add_f64_e32 v[186:187], v[188:189], v[190:191]
	s_wait_loadcnt_dscnt 0x901
	v_mul_f64_e32 v[188:189], v[4:5], v[170:171]
	v_mul_f64_e32 v[170:171], v[6:7], v[170:171]
	v_fmac_f64_e32 v[192:193], v[174:175], v[160:161]
	v_fma_f64 v[160:161], v[172:173], v[160:161], -v[162:163]
	s_wait_loadcnt_dscnt 0x800
	v_mul_f64_e32 v[174:175], v[156:157], v[182:183]
	v_mul_f64_e32 v[182:183], v[158:159], v[182:183]
	v_add_f64_e32 v[162:163], v[184:185], v[196:197]
	v_add_f64_e32 v[172:173], v[186:187], v[194:195]
	v_fmac_f64_e32 v[188:189], v[6:7], v[168:169]
	v_fma_f64 v[168:169], v[4:5], v[168:169], -v[170:171]
	v_fmac_f64_e32 v[174:175], v[158:159], v[180:181]
	v_fma_f64 v[156:157], v[156:157], v[180:181], -v[182:183]
	v_add_f64_e32 v[170:171], v[162:163], v[160:161]
	v_add_f64_e32 v[172:173], v[172:173], v[192:193]
	ds_load_b128 v[4:7], v2 offset:1760
	ds_load_b128 v[160:163], v2 offset:1776
	s_wait_loadcnt_dscnt 0x701
	v_mul_f64_e32 v[184:185], v[4:5], v[166:167]
	v_mul_f64_e32 v[166:167], v[6:7], v[166:167]
	v_add_f64_e32 v[158:159], v[170:171], v[168:169]
	v_add_f64_e32 v[168:169], v[172:173], v[188:189]
	s_wait_loadcnt_dscnt 0x600
	v_mul_f64_e32 v[170:171], v[160:161], v[12:13]
	v_mul_f64_e32 v[12:13], v[162:163], v[12:13]
	v_fmac_f64_e32 v[184:185], v[6:7], v[164:165]
	v_fma_f64 v[164:165], v[4:5], v[164:165], -v[166:167]
	v_add_f64_e32 v[166:167], v[158:159], v[156:157]
	v_add_f64_e32 v[168:169], v[168:169], v[174:175]
	ds_load_b128 v[4:7], v2 offset:1792
	ds_load_b128 v[156:159], v2 offset:1808
	v_fmac_f64_e32 v[170:171], v[162:163], v[10:11]
	v_fma_f64 v[10:11], v[160:161], v[10:11], -v[12:13]
	s_wait_loadcnt_dscnt 0x501
	v_mul_f64_e32 v[172:173], v[4:5], v[134:135]
	v_mul_f64_e32 v[134:135], v[6:7], v[134:135]
	s_wait_loadcnt_dscnt 0x400
	v_mul_f64_e32 v[162:163], v[156:157], v[138:139]
	v_mul_f64_e32 v[138:139], v[158:159], v[138:139]
	v_add_f64_e32 v[12:13], v[166:167], v[164:165]
	v_add_f64_e32 v[160:161], v[168:169], v[184:185]
	v_fmac_f64_e32 v[172:173], v[6:7], v[132:133]
	v_fma_f64 v[132:133], v[4:5], v[132:133], -v[134:135]
	v_fmac_f64_e32 v[162:163], v[158:159], v[136:137]
	v_fma_f64 v[136:137], v[156:157], v[136:137], -v[138:139]
	v_add_f64_e32 v[134:135], v[12:13], v[10:11]
	v_add_f64_e32 v[160:161], v[160:161], v[170:171]
	ds_load_b128 v[4:7], v2 offset:1824
	ds_load_b128 v[10:13], v2 offset:1840
	s_wait_loadcnt_dscnt 0x301
	v_mul_f64_e32 v[164:165], v[4:5], v[142:143]
	v_mul_f64_e32 v[142:143], v[6:7], v[142:143]
	s_wait_loadcnt_dscnt 0x200
	v_mul_f64_e32 v[138:139], v[10:11], v[146:147]
	v_mul_f64_e32 v[146:147], v[12:13], v[146:147]
	v_add_f64_e32 v[132:133], v[134:135], v[132:133]
	v_add_f64_e32 v[134:135], v[160:161], v[172:173]
	v_fmac_f64_e32 v[164:165], v[6:7], v[140:141]
	v_fma_f64 v[140:141], v[4:5], v[140:141], -v[142:143]
	v_fmac_f64_e32 v[138:139], v[12:13], v[144:145]
	v_fma_f64 v[10:11], v[10:11], v[144:145], -v[146:147]
	v_add_f64_e32 v[136:137], v[132:133], v[136:137]
	v_add_f64_e32 v[142:143], v[134:135], v[162:163]
	ds_load_b128 v[4:7], v2 offset:1856
	ds_load_b128 v[132:135], v2 offset:1872
	s_wait_loadcnt_dscnt 0x101
	v_mul_f64_e32 v[2:3], v[4:5], v[150:151]
	v_mul_f64_e32 v[150:151], v[6:7], v[150:151]
	v_add_f64_e32 v[12:13], v[136:137], v[140:141]
	v_add_f64_e32 v[136:137], v[142:143], v[164:165]
	s_wait_loadcnt_dscnt 0x0
	v_mul_f64_e32 v[140:141], v[132:133], v[154:155]
	v_mul_f64_e32 v[142:143], v[134:135], v[154:155]
	v_fmac_f64_e32 v[2:3], v[6:7], v[148:149]
	v_fma_f64 v[4:5], v[4:5], v[148:149], -v[150:151]
	v_add_f64_e32 v[6:7], v[12:13], v[10:11]
	v_add_f64_e32 v[10:11], v[136:137], v[138:139]
	v_fmac_f64_e32 v[140:141], v[134:135], v[152:153]
	v_fma_f64 v[12:13], v[132:133], v[152:153], -v[142:143]
	s_delay_alu instid0(VALU_DEP_4) | instskip(NEXT) | instid1(VALU_DEP_4)
	v_add_f64_e32 v[4:5], v[6:7], v[4:5]
	v_add_f64_e32 v[2:3], v[10:11], v[2:3]
	s_delay_alu instid0(VALU_DEP_2) | instskip(NEXT) | instid1(VALU_DEP_2)
	v_add_f64_e32 v[4:5], v[4:5], v[12:13]
	v_add_f64_e32 v[6:7], v[2:3], v[140:141]
	s_delay_alu instid0(VALU_DEP_2) | instskip(NEXT) | instid1(VALU_DEP_2)
	v_add_f64_e64 v[2:3], v[176:177], -v[4:5]
	v_add_f64_e64 v[4:5], v[178:179], -v[6:7]
	scratch_store_b128 off, v[2:5], off offset:32
	s_wait_xcnt 0x0
	v_cmpx_lt_u32_e32 1, v1
	s_cbranch_execz .LBB58_365
; %bb.364:
	scratch_load_b128 v[2:5], off, s52
	v_mov_b32_e32 v10, 0
	s_delay_alu instid0(VALU_DEP_1)
	v_dual_mov_b32 v11, v10 :: v_dual_mov_b32 v12, v10
	v_mov_b32_e32 v13, v10
	scratch_store_b128 off, v[10:13], off offset:16
	s_wait_loadcnt 0x0
	ds_store_b128 v8, v[2:5]
.LBB58_365:
	s_wait_xcnt 0x0
	s_or_b32 exec_lo, exec_lo, s2
	s_wait_storecnt_dscnt 0x0
	s_barrier_signal -1
	s_barrier_wait -1
	s_clause 0x9
	scratch_load_b128 v[4:7], off, off offset:32
	scratch_load_b128 v[10:13], off, off offset:48
	;; [unrolled: 1-line block ×10, first 2 shown]
	v_mov_b32_e32 v2, 0
	s_mov_b32 s2, exec_lo
	ds_load_b128 v[164:167], v2 offset:976
	s_clause 0x2
	scratch_load_b128 v[168:171], off, off offset:192
	scratch_load_b128 v[172:175], off, off offset:16
	;; [unrolled: 1-line block ×3, first 2 shown]
	s_wait_loadcnt_dscnt 0xc00
	v_mul_f64_e32 v[184:185], v[166:167], v[6:7]
	v_mul_f64_e32 v[188:189], v[164:165], v[6:7]
	ds_load_b128 v[176:179], v2 offset:992
	v_fma_f64 v[192:193], v[164:165], v[4:5], -v[184:185]
	v_fmac_f64_e32 v[188:189], v[166:167], v[4:5]
	ds_load_b128 v[4:7], v2 offset:1008
	s_wait_loadcnt_dscnt 0xb01
	v_mul_f64_e32 v[190:191], v[176:177], v[12:13]
	v_mul_f64_e32 v[12:13], v[178:179], v[12:13]
	scratch_load_b128 v[164:167], off, off offset:224
	ds_load_b128 v[184:187], v2 offset:1024
	s_wait_loadcnt_dscnt 0xb01
	v_mul_f64_e32 v[194:195], v[4:5], v[134:135]
	v_mul_f64_e32 v[134:135], v[6:7], v[134:135]
	v_add_f64_e32 v[188:189], 0, v[188:189]
	v_fmac_f64_e32 v[190:191], v[178:179], v[10:11]
	v_fma_f64 v[176:177], v[176:177], v[10:11], -v[12:13]
	v_add_f64_e32 v[178:179], 0, v[192:193]
	scratch_load_b128 v[10:13], off, off offset:240
	v_fmac_f64_e32 v[194:195], v[6:7], v[132:133]
	v_fma_f64 v[196:197], v[4:5], v[132:133], -v[134:135]
	ds_load_b128 v[4:7], v2 offset:1040
	s_wait_loadcnt_dscnt 0xb01
	v_mul_f64_e32 v[192:193], v[184:185], v[138:139]
	v_mul_f64_e32 v[138:139], v[186:187], v[138:139]
	scratch_load_b128 v[132:135], off, off offset:256
	v_add_f64_e32 v[188:189], v[188:189], v[190:191]
	v_add_f64_e32 v[198:199], v[178:179], v[176:177]
	ds_load_b128 v[176:179], v2 offset:1056
	s_wait_loadcnt_dscnt 0xb01
	v_mul_f64_e32 v[190:191], v[4:5], v[142:143]
	v_mul_f64_e32 v[142:143], v[6:7], v[142:143]
	v_fmac_f64_e32 v[192:193], v[186:187], v[136:137]
	v_fma_f64 v[184:185], v[184:185], v[136:137], -v[138:139]
	scratch_load_b128 v[136:139], off, off offset:272
	v_add_f64_e32 v[188:189], v[188:189], v[194:195]
	v_add_f64_e32 v[186:187], v[198:199], v[196:197]
	v_fmac_f64_e32 v[190:191], v[6:7], v[140:141]
	v_fma_f64 v[196:197], v[4:5], v[140:141], -v[142:143]
	ds_load_b128 v[4:7], v2 offset:1072
	s_wait_loadcnt_dscnt 0xb01
	v_mul_f64_e32 v[194:195], v[176:177], v[146:147]
	v_mul_f64_e32 v[146:147], v[178:179], v[146:147]
	scratch_load_b128 v[140:143], off, off offset:288
	v_add_f64_e32 v[188:189], v[188:189], v[192:193]
	s_wait_loadcnt_dscnt 0xb00
	v_mul_f64_e32 v[192:193], v[4:5], v[150:151]
	v_add_f64_e32 v[198:199], v[186:187], v[184:185]
	v_mul_f64_e32 v[150:151], v[6:7], v[150:151]
	ds_load_b128 v[184:187], v2 offset:1088
	v_fmac_f64_e32 v[194:195], v[178:179], v[144:145]
	v_fma_f64 v[176:177], v[176:177], v[144:145], -v[146:147]
	scratch_load_b128 v[144:147], off, off offset:304
	v_add_f64_e32 v[188:189], v[188:189], v[190:191]
	v_fmac_f64_e32 v[192:193], v[6:7], v[148:149]
	v_add_f64_e32 v[178:179], v[198:199], v[196:197]
	v_fma_f64 v[196:197], v[4:5], v[148:149], -v[150:151]
	ds_load_b128 v[4:7], v2 offset:1104
	s_wait_loadcnt_dscnt 0xb01
	v_mul_f64_e32 v[190:191], v[184:185], v[154:155]
	v_mul_f64_e32 v[154:155], v[186:187], v[154:155]
	scratch_load_b128 v[148:151], off, off offset:320
	v_add_f64_e32 v[188:189], v[188:189], v[194:195]
	s_wait_loadcnt_dscnt 0xb00
	v_mul_f64_e32 v[194:195], v[4:5], v[158:159]
	v_add_f64_e32 v[198:199], v[178:179], v[176:177]
	v_mul_f64_e32 v[158:159], v[6:7], v[158:159]
	ds_load_b128 v[176:179], v2 offset:1120
	v_fmac_f64_e32 v[190:191], v[186:187], v[152:153]
	v_fma_f64 v[184:185], v[184:185], v[152:153], -v[154:155]
	scratch_load_b128 v[152:155], off, off offset:336
	v_add_f64_e32 v[188:189], v[188:189], v[192:193]
	v_fmac_f64_e32 v[194:195], v[6:7], v[156:157]
	v_add_f64_e32 v[186:187], v[198:199], v[196:197]
	;; [unrolled: 18-line block ×3, first 2 shown]
	v_fma_f64 v[196:197], v[4:5], v[168:169], -v[170:171]
	ds_load_b128 v[4:7], v2 offset:1168
	s_wait_loadcnt_dscnt 0xa01
	v_mul_f64_e32 v[194:195], v[184:185], v[182:183]
	v_mul_f64_e32 v[182:183], v[186:187], v[182:183]
	scratch_load_b128 v[168:171], off, off offset:384
	v_add_f64_e32 v[188:189], v[188:189], v[192:193]
	v_add_f64_e32 v[198:199], v[178:179], v[176:177]
	s_wait_loadcnt_dscnt 0xa00
	v_mul_f64_e32 v[192:193], v[4:5], v[166:167]
	v_mul_f64_e32 v[166:167], v[6:7], v[166:167]
	v_fmac_f64_e32 v[194:195], v[186:187], v[180:181]
	v_fma_f64 v[184:185], v[184:185], v[180:181], -v[182:183]
	ds_load_b128 v[176:179], v2 offset:1184
	scratch_load_b128 v[180:183], off, off offset:400
	v_add_f64_e32 v[188:189], v[188:189], v[190:191]
	v_add_f64_e32 v[186:187], v[198:199], v[196:197]
	v_fmac_f64_e32 v[192:193], v[6:7], v[164:165]
	v_fma_f64 v[196:197], v[4:5], v[164:165], -v[166:167]
	ds_load_b128 v[4:7], v2 offset:1200
	s_wait_loadcnt_dscnt 0xa01
	v_mul_f64_e32 v[190:191], v[176:177], v[12:13]
	v_mul_f64_e32 v[12:13], v[178:179], v[12:13]
	scratch_load_b128 v[164:167], off, off offset:416
	v_add_f64_e32 v[188:189], v[188:189], v[194:195]
	s_wait_loadcnt_dscnt 0xa00
	v_mul_f64_e32 v[194:195], v[4:5], v[134:135]
	v_add_f64_e32 v[198:199], v[186:187], v[184:185]
	v_mul_f64_e32 v[134:135], v[6:7], v[134:135]
	ds_load_b128 v[184:187], v2 offset:1216
	v_fmac_f64_e32 v[190:191], v[178:179], v[10:11]
	v_fma_f64 v[176:177], v[176:177], v[10:11], -v[12:13]
	scratch_load_b128 v[10:13], off, off offset:432
	v_add_f64_e32 v[188:189], v[188:189], v[192:193]
	v_fmac_f64_e32 v[194:195], v[6:7], v[132:133]
	v_add_f64_e32 v[178:179], v[198:199], v[196:197]
	v_fma_f64 v[196:197], v[4:5], v[132:133], -v[134:135]
	ds_load_b128 v[4:7], v2 offset:1232
	s_wait_loadcnt_dscnt 0xa01
	v_mul_f64_e32 v[192:193], v[184:185], v[138:139]
	v_mul_f64_e32 v[138:139], v[186:187], v[138:139]
	scratch_load_b128 v[132:135], off, off offset:448
	v_add_f64_e32 v[188:189], v[188:189], v[190:191]
	s_wait_loadcnt_dscnt 0xa00
	v_mul_f64_e32 v[190:191], v[4:5], v[142:143]
	v_add_f64_e32 v[198:199], v[178:179], v[176:177]
	v_mul_f64_e32 v[142:143], v[6:7], v[142:143]
	ds_load_b128 v[176:179], v2 offset:1248
	v_fmac_f64_e32 v[192:193], v[186:187], v[136:137]
	v_fma_f64 v[184:185], v[184:185], v[136:137], -v[138:139]
	scratch_load_b128 v[136:139], off, off offset:464
	v_add_f64_e32 v[188:189], v[188:189], v[194:195]
	v_fmac_f64_e32 v[190:191], v[6:7], v[140:141]
	v_add_f64_e32 v[186:187], v[198:199], v[196:197]
	;; [unrolled: 18-line block ×16, first 2 shown]
	v_fma_f64 v[196:197], v[4:5], v[156:157], -v[158:159]
	ds_load_b128 v[4:7], v2 offset:1712
	s_wait_loadcnt_dscnt 0xa01
	v_mul_f64_e32 v[192:193], v[176:177], v[162:163]
	v_mul_f64_e32 v[162:163], v[178:179], v[162:163]
	scratch_load_b128 v[156:159], off, off offset:928
	v_add_f64_e32 v[188:189], v[188:189], v[190:191]
	s_wait_loadcnt_dscnt 0xa00
	v_mul_f64_e32 v[190:191], v[4:5], v[170:171]
	v_add_f64_e32 v[198:199], v[186:187], v[184:185]
	v_mul_f64_e32 v[170:171], v[6:7], v[170:171]
	ds_load_b128 v[184:187], v2 offset:1728
	v_fmac_f64_e32 v[192:193], v[178:179], v[160:161]
	v_fma_f64 v[160:161], v[176:177], v[160:161], -v[162:163]
	s_wait_loadcnt_dscnt 0x900
	v_mul_f64_e32 v[178:179], v[184:185], v[182:183]
	v_mul_f64_e32 v[182:183], v[186:187], v[182:183]
	v_add_f64_e32 v[176:177], v[188:189], v[194:195]
	v_fmac_f64_e32 v[190:191], v[6:7], v[168:169]
	v_add_f64_e32 v[162:163], v[198:199], v[196:197]
	v_fma_f64 v[168:169], v[4:5], v[168:169], -v[170:171]
	v_fmac_f64_e32 v[178:179], v[186:187], v[180:181]
	v_fma_f64 v[180:181], v[184:185], v[180:181], -v[182:183]
	v_add_f64_e32 v[176:177], v[176:177], v[192:193]
	v_add_f64_e32 v[170:171], v[162:163], v[160:161]
	ds_load_b128 v[4:7], v2 offset:1744
	ds_load_b128 v[160:163], v2 offset:1760
	s_wait_loadcnt_dscnt 0x801
	v_mul_f64_e32 v[188:189], v[4:5], v[166:167]
	v_mul_f64_e32 v[166:167], v[6:7], v[166:167]
	v_add_f64_e32 v[168:169], v[170:171], v[168:169]
	v_add_f64_e32 v[170:171], v[176:177], v[190:191]
	s_wait_loadcnt_dscnt 0x700
	v_mul_f64_e32 v[176:177], v[160:161], v[12:13]
	v_mul_f64_e32 v[12:13], v[162:163], v[12:13]
	v_fmac_f64_e32 v[188:189], v[6:7], v[164:165]
	v_fma_f64 v[182:183], v[4:5], v[164:165], -v[166:167]
	ds_load_b128 v[4:7], v2 offset:1776
	ds_load_b128 v[164:167], v2 offset:1792
	v_add_f64_e32 v[168:169], v[168:169], v[180:181]
	v_add_f64_e32 v[170:171], v[170:171], v[178:179]
	v_fmac_f64_e32 v[176:177], v[162:163], v[10:11]
	v_fma_f64 v[10:11], v[160:161], v[10:11], -v[12:13]
	s_wait_loadcnt_dscnt 0x601
	v_mul_f64_e32 v[178:179], v[4:5], v[134:135]
	v_mul_f64_e32 v[134:135], v[6:7], v[134:135]
	s_wait_loadcnt_dscnt 0x500
	v_mul_f64_e32 v[162:163], v[164:165], v[138:139]
	v_mul_f64_e32 v[138:139], v[166:167], v[138:139]
	v_add_f64_e32 v[12:13], v[168:169], v[182:183]
	v_add_f64_e32 v[160:161], v[170:171], v[188:189]
	v_fmac_f64_e32 v[178:179], v[6:7], v[132:133]
	v_fma_f64 v[132:133], v[4:5], v[132:133], -v[134:135]
	v_fmac_f64_e32 v[162:163], v[166:167], v[136:137]
	v_fma_f64 v[136:137], v[164:165], v[136:137], -v[138:139]
	v_add_f64_e32 v[134:135], v[12:13], v[10:11]
	v_add_f64_e32 v[160:161], v[160:161], v[176:177]
	ds_load_b128 v[4:7], v2 offset:1808
	ds_load_b128 v[10:13], v2 offset:1824
	s_wait_loadcnt_dscnt 0x401
	v_mul_f64_e32 v[168:169], v[4:5], v[142:143]
	v_mul_f64_e32 v[142:143], v[6:7], v[142:143]
	s_wait_loadcnt_dscnt 0x300
	v_mul_f64_e32 v[138:139], v[10:11], v[146:147]
	v_mul_f64_e32 v[146:147], v[12:13], v[146:147]
	v_add_f64_e32 v[132:133], v[134:135], v[132:133]
	v_add_f64_e32 v[134:135], v[160:161], v[178:179]
	v_fmac_f64_e32 v[168:169], v[6:7], v[140:141]
	v_fma_f64 v[140:141], v[4:5], v[140:141], -v[142:143]
	v_fmac_f64_e32 v[138:139], v[12:13], v[144:145]
	v_fma_f64 v[10:11], v[10:11], v[144:145], -v[146:147]
	v_add_f64_e32 v[136:137], v[132:133], v[136:137]
	v_add_f64_e32 v[142:143], v[134:135], v[162:163]
	ds_load_b128 v[4:7], v2 offset:1840
	ds_load_b128 v[132:135], v2 offset:1856
	s_wait_loadcnt_dscnt 0x201
	v_mul_f64_e32 v[160:161], v[4:5], v[150:151]
	v_mul_f64_e32 v[150:151], v[6:7], v[150:151]
	v_add_f64_e32 v[12:13], v[136:137], v[140:141]
	v_add_f64_e32 v[136:137], v[142:143], v[168:169]
	s_wait_loadcnt_dscnt 0x100
	v_mul_f64_e32 v[140:141], v[132:133], v[154:155]
	v_mul_f64_e32 v[142:143], v[134:135], v[154:155]
	v_fmac_f64_e32 v[160:161], v[6:7], v[148:149]
	v_fma_f64 v[144:145], v[4:5], v[148:149], -v[150:151]
	ds_load_b128 v[4:7], v2 offset:1872
	v_add_f64_e32 v[10:11], v[12:13], v[10:11]
	v_add_f64_e32 v[12:13], v[136:137], v[138:139]
	v_fmac_f64_e32 v[140:141], v[134:135], v[152:153]
	v_fma_f64 v[132:133], v[132:133], v[152:153], -v[142:143]
	s_wait_loadcnt_dscnt 0x0
	v_mul_f64_e32 v[136:137], v[4:5], v[158:159]
	v_mul_f64_e32 v[138:139], v[6:7], v[158:159]
	v_add_f64_e32 v[10:11], v[10:11], v[144:145]
	v_add_f64_e32 v[12:13], v[12:13], v[160:161]
	s_delay_alu instid0(VALU_DEP_4) | instskip(NEXT) | instid1(VALU_DEP_4)
	v_fmac_f64_e32 v[136:137], v[6:7], v[156:157]
	v_fma_f64 v[4:5], v[4:5], v[156:157], -v[138:139]
	s_delay_alu instid0(VALU_DEP_4) | instskip(NEXT) | instid1(VALU_DEP_4)
	v_add_f64_e32 v[6:7], v[10:11], v[132:133]
	v_add_f64_e32 v[10:11], v[12:13], v[140:141]
	s_delay_alu instid0(VALU_DEP_2) | instskip(NEXT) | instid1(VALU_DEP_2)
	v_add_f64_e32 v[4:5], v[6:7], v[4:5]
	v_add_f64_e32 v[6:7], v[10:11], v[136:137]
	s_delay_alu instid0(VALU_DEP_2) | instskip(NEXT) | instid1(VALU_DEP_2)
	v_add_f64_e64 v[4:5], v[172:173], -v[4:5]
	v_add_f64_e64 v[6:7], v[174:175], -v[6:7]
	scratch_store_b128 off, v[4:7], off offset:16
	s_wait_xcnt 0x0
	v_cmpx_ne_u32_e32 0, v1
	s_cbranch_execz .LBB58_367
; %bb.366:
	scratch_load_b128 v[10:13], off, off
	v_dual_mov_b32 v3, v2 :: v_dual_mov_b32 v4, v2
	v_mov_b32_e32 v5, v2
	scratch_store_b128 off, v[2:5], off
	s_wait_loadcnt 0x0
	ds_store_b128 v8, v[10:13]
.LBB58_367:
	s_wait_xcnt 0x0
	s_or_b32 exec_lo, exec_lo, s2
	s_wait_storecnt_dscnt 0x0
	s_barrier_signal -1
	s_barrier_wait -1
	s_clause 0x9
	scratch_load_b128 v[4:7], off, off offset:16
	scratch_load_b128 v[8:11], off, off offset:32
	;; [unrolled: 1-line block ×10, first 2 shown]
	ds_load_b128 v[164:167], v2 offset:960
	ds_load_b128 v[172:175], v2 offset:976
	s_clause 0x2
	scratch_load_b128 v[168:171], off, off offset:176
	scratch_load_b128 v[176:179], off, off
	scratch_load_b128 v[180:183], off, off offset:192
	s_and_b32 vcc_lo, exec_lo, s71
	s_wait_loadcnt_dscnt 0xc01
	v_mul_f64_e32 v[12:13], v[166:167], v[6:7]
	v_mul_f64_e32 v[184:185], v[164:165], v[6:7]
	s_wait_loadcnt_dscnt 0xb00
	v_mul_f64_e32 v[186:187], v[172:173], v[10:11]
	v_mul_f64_e32 v[188:189], v[174:175], v[10:11]
	s_delay_alu instid0(VALU_DEP_4) | instskip(NEXT) | instid1(VALU_DEP_4)
	v_fma_f64 v[190:191], v[164:165], v[4:5], -v[12:13]
	v_fmac_f64_e32 v[184:185], v[166:167], v[4:5]
	ds_load_b128 v[4:7], v2 offset:992
	ds_load_b128 v[10:13], v2 offset:1008
	scratch_load_b128 v[164:167], off, off offset:208
	v_fmac_f64_e32 v[186:187], v[174:175], v[8:9]
	v_fma_f64 v[8:9], v[172:173], v[8:9], -v[188:189]
	scratch_load_b128 v[172:175], off, off offset:224
	s_wait_loadcnt_dscnt 0xc01
	v_mul_f64_e32 v[192:193], v[4:5], v[134:135]
	v_mul_f64_e32 v[134:135], v[6:7], v[134:135]
	v_add_f64_e32 v[188:189], 0, v[190:191]
	v_add_f64_e32 v[184:185], 0, v[184:185]
	s_wait_loadcnt_dscnt 0xb00
	v_mul_f64_e32 v[190:191], v[10:11], v[138:139]
	v_mul_f64_e32 v[138:139], v[12:13], v[138:139]
	v_fmac_f64_e32 v[192:193], v[6:7], v[132:133]
	v_fma_f64 v[194:195], v[4:5], v[132:133], -v[134:135]
	ds_load_b128 v[4:7], v2 offset:1024
	ds_load_b128 v[132:135], v2 offset:1040
	v_add_f64_e32 v[8:9], v[188:189], v[8:9]
	v_add_f64_e32 v[188:189], v[184:185], v[186:187]
	scratch_load_b128 v[184:187], off, off offset:240
	v_fmac_f64_e32 v[190:191], v[12:13], v[136:137]
	v_fma_f64 v[12:13], v[10:11], v[136:137], -v[138:139]
	s_wait_loadcnt_dscnt 0xb01
	v_mul_f64_e32 v[196:197], v[4:5], v[142:143]
	v_mul_f64_e32 v[142:143], v[6:7], v[142:143]
	v_add_f64_e32 v[136:137], v[8:9], v[194:195]
	v_add_f64_e32 v[138:139], v[188:189], v[192:193]
	scratch_load_b128 v[8:11], off, off offset:256
	s_wait_loadcnt_dscnt 0xb00
	v_mul_f64_e32 v[188:189], v[132:133], v[146:147]
	v_mul_f64_e32 v[146:147], v[134:135], v[146:147]
	v_fmac_f64_e32 v[196:197], v[6:7], v[140:141]
	v_fma_f64 v[192:193], v[4:5], v[140:141], -v[142:143]
	v_add_f64_e32 v[12:13], v[136:137], v[12:13]
	v_add_f64_e32 v[190:191], v[138:139], v[190:191]
	ds_load_b128 v[4:7], v2 offset:1056
	ds_load_b128 v[136:139], v2 offset:1072
	scratch_load_b128 v[140:143], off, off offset:272
	v_fmac_f64_e32 v[188:189], v[134:135], v[144:145]
	v_fma_f64 v[144:145], v[132:133], v[144:145], -v[146:147]
	scratch_load_b128 v[132:135], off, off offset:288
	s_wait_loadcnt_dscnt 0xc01
	v_mul_f64_e32 v[194:195], v[4:5], v[150:151]
	v_mul_f64_e32 v[150:151], v[6:7], v[150:151]
	v_add_f64_e32 v[12:13], v[12:13], v[192:193]
	v_add_f64_e32 v[146:147], v[190:191], v[196:197]
	s_wait_loadcnt_dscnt 0xb00
	v_mul_f64_e32 v[190:191], v[136:137], v[154:155]
	v_mul_f64_e32 v[154:155], v[138:139], v[154:155]
	v_fmac_f64_e32 v[194:195], v[6:7], v[148:149]
	v_fma_f64 v[192:193], v[4:5], v[148:149], -v[150:151]
	v_add_f64_e32 v[12:13], v[12:13], v[144:145]
	v_add_f64_e32 v[188:189], v[146:147], v[188:189]
	ds_load_b128 v[4:7], v2 offset:1088
	ds_load_b128 v[144:147], v2 offset:1104
	scratch_load_b128 v[148:151], off, off offset:304
	v_fmac_f64_e32 v[190:191], v[138:139], v[152:153]
	v_fma_f64 v[152:153], v[136:137], v[152:153], -v[154:155]
	scratch_load_b128 v[136:139], off, off offset:320
	s_wait_loadcnt_dscnt 0xc01
	v_mul_f64_e32 v[196:197], v[4:5], v[158:159]
	v_mul_f64_e32 v[158:159], v[6:7], v[158:159]
	v_add_f64_e32 v[12:13], v[12:13], v[192:193]
	v_add_f64_e32 v[154:155], v[188:189], v[194:195]
	;; [unrolled: 18-line block ×4, first 2 shown]
	s_wait_loadcnt_dscnt 0xa00
	v_mul_f64_e32 v[188:189], v[160:161], v[174:175]
	v_mul_f64_e32 v[174:175], v[162:163], v[174:175]
	v_fmac_f64_e32 v[196:197], v[6:7], v[164:165]
	v_fma_f64 v[192:193], v[4:5], v[164:165], -v[166:167]
	ds_load_b128 v[4:7], v2 offset:1184
	ds_load_b128 v[164:167], v2 offset:1200
	v_add_f64_e32 v[12:13], v[12:13], v[180:181]
	v_add_f64_e32 v[190:191], v[182:183], v[190:191]
	scratch_load_b128 v[180:183], off, off offset:400
	v_fmac_f64_e32 v[188:189], v[162:163], v[172:173]
	v_fma_f64 v[172:173], v[160:161], v[172:173], -v[174:175]
	scratch_load_b128 v[160:163], off, off offset:416
	s_wait_loadcnt_dscnt 0xb01
	v_mul_f64_e32 v[194:195], v[4:5], v[186:187]
	v_mul_f64_e32 v[186:187], v[6:7], v[186:187]
	v_add_f64_e32 v[12:13], v[12:13], v[192:193]
	v_add_f64_e32 v[174:175], v[190:191], v[196:197]
	s_wait_loadcnt_dscnt 0xa00
	v_mul_f64_e32 v[190:191], v[164:165], v[10:11]
	v_mul_f64_e32 v[192:193], v[166:167], v[10:11]
	v_fmac_f64_e32 v[194:195], v[6:7], v[184:185]
	v_fma_f64 v[184:185], v[4:5], v[184:185], -v[186:187]
	v_add_f64_e32 v[186:187], v[12:13], v[172:173]
	v_add_f64_e32 v[188:189], v[174:175], v[188:189]
	ds_load_b128 v[4:7], v2 offset:1216
	ds_load_b128 v[10:13], v2 offset:1232
	scratch_load_b128 v[172:175], off, off offset:432
	v_fmac_f64_e32 v[190:191], v[166:167], v[8:9]
	v_fma_f64 v[8:9], v[164:165], v[8:9], -v[192:193]
	scratch_load_b128 v[164:167], off, off offset:448
	s_wait_loadcnt_dscnt 0xb01
	v_mul_f64_e32 v[196:197], v[4:5], v[142:143]
	v_mul_f64_e32 v[142:143], v[6:7], v[142:143]
	v_add_f64_e32 v[184:185], v[186:187], v[184:185]
	v_add_f64_e32 v[186:187], v[188:189], v[194:195]
	s_wait_loadcnt_dscnt 0xa00
	v_mul_f64_e32 v[188:189], v[10:11], v[134:135]
	v_mul_f64_e32 v[134:135], v[12:13], v[134:135]
	v_fmac_f64_e32 v[196:197], v[6:7], v[140:141]
	v_fma_f64 v[192:193], v[4:5], v[140:141], -v[142:143]
	ds_load_b128 v[4:7], v2 offset:1248
	ds_load_b128 v[140:143], v2 offset:1264
	v_add_f64_e32 v[8:9], v[184:185], v[8:9]
	v_add_f64_e32 v[190:191], v[186:187], v[190:191]
	scratch_load_b128 v[184:187], off, off offset:464
	v_fmac_f64_e32 v[188:189], v[12:13], v[132:133]
	v_fma_f64 v[12:13], v[10:11], v[132:133], -v[134:135]
	s_wait_loadcnt_dscnt 0xa01
	v_mul_f64_e32 v[194:195], v[4:5], v[150:151]
	v_mul_f64_e32 v[150:151], v[6:7], v[150:151]
	v_add_f64_e32 v[132:133], v[8:9], v[192:193]
	v_add_f64_e32 v[134:135], v[190:191], v[196:197]
	scratch_load_b128 v[8:11], off, off offset:480
	s_wait_loadcnt_dscnt 0xa00
	v_mul_f64_e32 v[190:191], v[140:141], v[138:139]
	v_mul_f64_e32 v[138:139], v[142:143], v[138:139]
	v_fmac_f64_e32 v[194:195], v[6:7], v[148:149]
	v_fma_f64 v[192:193], v[4:5], v[148:149], -v[150:151]
	v_add_f64_e32 v[12:13], v[132:133], v[12:13]
	v_add_f64_e32 v[188:189], v[134:135], v[188:189]
	ds_load_b128 v[4:7], v2 offset:1280
	ds_load_b128 v[132:135], v2 offset:1296
	scratch_load_b128 v[148:151], off, off offset:496
	v_fmac_f64_e32 v[190:191], v[142:143], v[136:137]
	v_fma_f64 v[140:141], v[140:141], v[136:137], -v[138:139]
	scratch_load_b128 v[136:139], off, off offset:512
	s_wait_loadcnt_dscnt 0xb01
	v_mul_f64_e32 v[196:197], v[4:5], v[158:159]
	v_mul_f64_e32 v[158:159], v[6:7], v[158:159]
	v_add_f64_e32 v[12:13], v[12:13], v[192:193]
	v_add_f64_e32 v[142:143], v[188:189], v[194:195]
	s_wait_loadcnt_dscnt 0xa00
	v_mul_f64_e32 v[188:189], v[132:133], v[146:147]
	v_mul_f64_e32 v[146:147], v[134:135], v[146:147]
	v_fmac_f64_e32 v[196:197], v[6:7], v[156:157]
	v_fma_f64 v[192:193], v[4:5], v[156:157], -v[158:159]
	v_add_f64_e32 v[12:13], v[12:13], v[140:141]
	v_add_f64_e32 v[190:191], v[142:143], v[190:191]
	ds_load_b128 v[4:7], v2 offset:1312
	ds_load_b128 v[140:143], v2 offset:1328
	scratch_load_b128 v[156:159], off, off offset:528
	v_fmac_f64_e32 v[188:189], v[134:135], v[144:145]
	v_fma_f64 v[144:145], v[132:133], v[144:145], -v[146:147]
	scratch_load_b128 v[132:135], off, off offset:544
	s_wait_loadcnt_dscnt 0xb01
	v_mul_f64_e32 v[194:195], v[4:5], v[170:171]
	v_mul_f64_e32 v[170:171], v[6:7], v[170:171]
	v_add_f64_e32 v[12:13], v[12:13], v[192:193]
	v_add_f64_e32 v[146:147], v[190:191], v[196:197]
	;; [unrolled: 18-line block ×6, first 2 shown]
	s_wait_loadcnt_dscnt 0xa00
	v_mul_f64_e32 v[190:191], v[10:11], v[138:139]
	v_mul_f64_e32 v[138:139], v[12:13], v[138:139]
	v_fmac_f64_e32 v[194:195], v[6:7], v[148:149]
	v_fma_f64 v[192:193], v[4:5], v[148:149], -v[150:151]
	ds_load_b128 v[4:7], v2 offset:1472
	ds_load_b128 v[148:151], v2 offset:1488
	v_add_f64_e32 v[8:9], v[184:185], v[8:9]
	v_add_f64_e32 v[188:189], v[186:187], v[188:189]
	scratch_load_b128 v[184:187], off, off offset:688
	v_fmac_f64_e32 v[190:191], v[12:13], v[136:137]
	v_fma_f64 v[12:13], v[10:11], v[136:137], -v[138:139]
	s_wait_loadcnt_dscnt 0xa01
	v_mul_f64_e32 v[196:197], v[4:5], v[158:159]
	v_mul_f64_e32 v[158:159], v[6:7], v[158:159]
	v_add_f64_e32 v[136:137], v[8:9], v[192:193]
	v_add_f64_e32 v[138:139], v[188:189], v[194:195]
	scratch_load_b128 v[8:11], off, off offset:704
	s_wait_loadcnt_dscnt 0xa00
	v_mul_f64_e32 v[188:189], v[148:149], v[134:135]
	v_mul_f64_e32 v[192:193], v[150:151], v[134:135]
	v_fmac_f64_e32 v[196:197], v[6:7], v[156:157]
	v_fma_f64 v[194:195], v[4:5], v[156:157], -v[158:159]
	v_add_f64_e32 v[12:13], v[136:137], v[12:13]
	v_add_f64_e32 v[138:139], v[138:139], v[190:191]
	ds_load_b128 v[4:7], v2 offset:1504
	ds_load_b128 v[134:137], v2 offset:1520
	scratch_load_b128 v[156:159], off, off offset:720
	v_fmac_f64_e32 v[188:189], v[150:151], v[132:133]
	v_fma_f64 v[132:133], v[148:149], v[132:133], -v[192:193]
	scratch_load_b128 v[148:151], off, off offset:736
	s_wait_loadcnt_dscnt 0xb01
	v_mul_f64_e32 v[198:199], v[4:5], v[170:171]
	v_mul_f64_e32 v[170:171], v[6:7], v[170:171]
	s_wait_loadcnt_dscnt 0xa00
	v_mul_f64_e32 v[192:193], v[134:135], v[142:143]
	v_mul_f64_e32 v[142:143], v[136:137], v[142:143]
	v_add_f64_e32 v[12:13], v[12:13], v[194:195]
	v_add_f64_e32 v[138:139], v[138:139], v[196:197]
	v_fmac_f64_e32 v[198:199], v[6:7], v[168:169]
	v_fma_f64 v[194:195], v[4:5], v[168:169], -v[170:171]
	ds_load_b128 v[4:7], v2 offset:1536
	ds_load_b128 v[168:171], v2 offset:1552
	v_fmac_f64_e32 v[192:193], v[136:137], v[140:141]
	v_fma_f64 v[136:137], v[134:135], v[140:141], -v[142:143]
	v_add_f64_e32 v[12:13], v[12:13], v[132:133]
	v_add_f64_e32 v[132:133], v[138:139], v[188:189]
	scratch_load_b128 v[188:191], off, off offset:752
	s_wait_loadcnt_dscnt 0xa01
	v_mul_f64_e32 v[196:197], v[4:5], v[182:183]
	v_mul_f64_e32 v[138:139], v[6:7], v[182:183]
	s_wait_loadcnt_dscnt 0x900
	v_mul_f64_e32 v[182:183], v[168:169], v[146:147]
	v_mul_f64_e32 v[146:147], v[170:171], v[146:147]
	v_add_f64_e32 v[12:13], v[12:13], v[194:195]
	v_add_f64_e32 v[140:141], v[132:133], v[198:199]
	scratch_load_b128 v[132:135], off, off offset:768
	v_fmac_f64_e32 v[196:197], v[6:7], v[180:181]
	v_fma_f64 v[180:181], v[4:5], v[180:181], -v[138:139]
	v_fmac_f64_e32 v[182:183], v[170:171], v[144:145]
	v_fma_f64 v[168:169], v[168:169], v[144:145], -v[146:147]
	v_add_f64_e32 v[12:13], v[12:13], v[136:137]
	v_add_f64_e32 v[192:193], v[140:141], v[192:193]
	ds_load_b128 v[4:7], v2 offset:1568
	ds_load_b128 v[136:139], v2 offset:1584
	s_clause 0x1
	scratch_load_b128 v[140:143], off, off offset:784
	scratch_load_b128 v[144:147], off, off offset:800
	s_wait_loadcnt_dscnt 0xb01
	v_mul_f64_e32 v[194:195], v[4:5], v[174:175]
	v_mul_f64_e32 v[174:175], v[6:7], v[174:175]
	v_add_f64_e32 v[12:13], v[12:13], v[180:181]
	v_add_f64_e32 v[170:171], v[192:193], v[196:197]
	s_wait_loadcnt_dscnt 0xa00
	v_mul_f64_e32 v[180:181], v[136:137], v[154:155]
	v_mul_f64_e32 v[154:155], v[138:139], v[154:155]
	v_fmac_f64_e32 v[194:195], v[6:7], v[172:173]
	v_fma_f64 v[192:193], v[4:5], v[172:173], -v[174:175]
	v_add_f64_e32 v[12:13], v[12:13], v[168:169]
	v_add_f64_e32 v[182:183], v[170:171], v[182:183]
	ds_load_b128 v[4:7], v2 offset:1600
	ds_load_b128 v[168:171], v2 offset:1616
	scratch_load_b128 v[172:175], off, off offset:816
	v_fmac_f64_e32 v[180:181], v[138:139], v[152:153]
	v_fma_f64 v[152:153], v[136:137], v[152:153], -v[154:155]
	scratch_load_b128 v[136:139], off, off offset:832
	s_wait_loadcnt_dscnt 0xb01
	v_mul_f64_e32 v[196:197], v[4:5], v[166:167]
	v_mul_f64_e32 v[166:167], v[6:7], v[166:167]
	v_add_f64_e32 v[12:13], v[12:13], v[192:193]
	v_add_f64_e32 v[154:155], v[182:183], v[194:195]
	s_wait_loadcnt_dscnt 0xa00
	v_mul_f64_e32 v[182:183], v[168:169], v[162:163]
	v_mul_f64_e32 v[192:193], v[170:171], v[162:163]
	v_fmac_f64_e32 v[196:197], v[6:7], v[164:165]
	v_fma_f64 v[166:167], v[4:5], v[164:165], -v[166:167]
	v_add_f64_e32 v[12:13], v[12:13], v[152:153]
	v_add_f64_e32 v[180:181], v[154:155], v[180:181]
	ds_load_b128 v[4:7], v2 offset:1632
	ds_load_b128 v[152:155], v2 offset:1648
	scratch_load_b128 v[162:165], off, off offset:848
	v_fmac_f64_e32 v[182:183], v[170:171], v[160:161]
	v_fma_f64 v[160:161], v[168:169], v[160:161], -v[192:193]
	s_wait_loadcnt_dscnt 0xa01
	v_mul_f64_e32 v[194:195], v[4:5], v[186:187]
	v_mul_f64_e32 v[186:187], v[6:7], v[186:187]
	v_add_f64_e32 v[12:13], v[12:13], v[166:167]
	v_add_f64_e32 v[170:171], v[180:181], v[196:197]
	scratch_load_b128 v[166:169], off, off offset:864
	s_wait_loadcnt_dscnt 0xa00
	v_mul_f64_e32 v[192:193], v[152:153], v[10:11]
	v_mul_f64_e32 v[196:197], v[154:155], v[10:11]
	v_fmac_f64_e32 v[194:195], v[6:7], v[184:185]
	v_fma_f64 v[184:185], v[4:5], v[184:185], -v[186:187]
	v_add_f64_e32 v[160:161], v[12:13], v[160:161]
	v_add_f64_e32 v[170:171], v[170:171], v[182:183]
	ds_load_b128 v[4:7], v2 offset:1664
	ds_load_b128 v[10:13], v2 offset:1680
	scratch_load_b128 v[180:183], off, off offset:880
	v_fmac_f64_e32 v[192:193], v[154:155], v[8:9]
	v_fma_f64 v[8:9], v[152:153], v[8:9], -v[196:197]
	scratch_load_b128 v[152:155], off, off offset:896
	s_wait_loadcnt_dscnt 0xb01
	v_mul_f64_e32 v[198:199], v[4:5], v[158:159]
	v_mul_f64_e32 v[158:159], v[6:7], v[158:159]
	v_add_f64_e32 v[160:161], v[160:161], v[184:185]
	v_add_f64_e32 v[170:171], v[170:171], v[194:195]
	s_wait_loadcnt_dscnt 0xa00
	v_mul_f64_e32 v[194:195], v[10:11], v[150:151]
	v_mul_f64_e32 v[150:151], v[12:13], v[150:151]
	v_fmac_f64_e32 v[198:199], v[6:7], v[156:157]
	v_fma_f64 v[196:197], v[4:5], v[156:157], -v[158:159]
	ds_load_b128 v[4:7], v2 offset:1696
	ds_load_b128 v[156:159], v2 offset:1712
	scratch_load_b128 v[184:187], off, off offset:912
	v_add_f64_e32 v[8:9], v[160:161], v[8:9]
	v_add_f64_e32 v[160:161], v[170:171], v[192:193]
	v_fmac_f64_e32 v[194:195], v[12:13], v[148:149]
	v_fma_f64 v[12:13], v[10:11], v[148:149], -v[150:151]
	s_wait_loadcnt_dscnt 0xa01
	v_mul_f64_e32 v[170:171], v[4:5], v[190:191]
	v_mul_f64_e32 v[190:191], v[6:7], v[190:191]
	v_add_f64_e32 v[148:149], v[8:9], v[196:197]
	v_add_f64_e32 v[150:151], v[160:161], v[198:199]
	scratch_load_b128 v[8:11], off, off offset:928
	s_wait_loadcnt_dscnt 0xa00
	v_mul_f64_e32 v[160:161], v[156:157], v[134:135]
	v_mul_f64_e32 v[134:135], v[158:159], v[134:135]
	v_fmac_f64_e32 v[170:171], v[6:7], v[188:189]
	v_fma_f64 v[188:189], v[4:5], v[188:189], -v[190:191]
	v_add_f64_e32 v[12:13], v[148:149], v[12:13]
	v_add_f64_e32 v[190:191], v[150:151], v[194:195]
	ds_load_b128 v[4:7], v2 offset:1728
	ds_load_b128 v[148:151], v2 offset:1744
	v_fmac_f64_e32 v[160:161], v[158:159], v[132:133]
	v_fma_f64 v[132:133], v[156:157], v[132:133], -v[134:135]
	s_wait_loadcnt_dscnt 0x901
	v_mul_f64_e32 v[192:193], v[4:5], v[142:143]
	v_mul_f64_e32 v[142:143], v[6:7], v[142:143]
	s_wait_loadcnt_dscnt 0x800
	v_mul_f64_e32 v[156:157], v[148:149], v[146:147]
	v_mul_f64_e32 v[146:147], v[150:151], v[146:147]
	v_add_f64_e32 v[12:13], v[12:13], v[188:189]
	v_add_f64_e32 v[134:135], v[190:191], v[170:171]
	v_fmac_f64_e32 v[192:193], v[6:7], v[140:141]
	v_fma_f64 v[140:141], v[4:5], v[140:141], -v[142:143]
	v_fmac_f64_e32 v[156:157], v[150:151], v[144:145]
	v_fma_f64 v[144:145], v[148:149], v[144:145], -v[146:147]
	v_add_f64_e32 v[12:13], v[12:13], v[132:133]
	v_add_f64_e32 v[142:143], v[134:135], v[160:161]
	ds_load_b128 v[4:7], v2 offset:1760
	ds_load_b128 v[132:135], v2 offset:1776
	s_wait_loadcnt_dscnt 0x701
	v_mul_f64_e32 v[158:159], v[4:5], v[174:175]
	v_mul_f64_e32 v[160:161], v[6:7], v[174:175]
	s_wait_loadcnt_dscnt 0x600
	v_mul_f64_e32 v[146:147], v[134:135], v[138:139]
	v_add_f64_e32 v[12:13], v[12:13], v[140:141]
	v_add_f64_e32 v[140:141], v[142:143], v[192:193]
	v_mul_f64_e32 v[142:143], v[132:133], v[138:139]
	v_fmac_f64_e32 v[158:159], v[6:7], v[172:173]
	v_fma_f64 v[148:149], v[4:5], v[172:173], -v[160:161]
	v_fma_f64 v[132:133], v[132:133], v[136:137], -v[146:147]
	v_add_f64_e32 v[12:13], v[12:13], v[144:145]
	v_add_f64_e32 v[144:145], v[140:141], v[156:157]
	ds_load_b128 v[4:7], v2 offset:1792
	ds_load_b128 v[138:141], v2 offset:1808
	v_fmac_f64_e32 v[142:143], v[134:135], v[136:137]
	s_wait_loadcnt_dscnt 0x501
	v_mul_f64_e32 v[150:151], v[4:5], v[164:165]
	v_mul_f64_e32 v[156:157], v[6:7], v[164:165]
	v_add_f64_e32 v[12:13], v[12:13], v[148:149]
	v_add_f64_e32 v[134:135], v[144:145], v[158:159]
	s_wait_loadcnt_dscnt 0x400
	v_mul_f64_e32 v[136:137], v[138:139], v[168:169]
	v_mul_f64_e32 v[144:145], v[140:141], v[168:169]
	v_lshl_add_u64 v[158:159], v[18:19], 4, s[4:5]
	v_lshl_add_u64 v[18:19], v[60:61], 4, s[4:5]
	;; [unrolled: 1-line block ×3, first 2 shown]
	v_fmac_f64_e32 v[150:151], v[6:7], v[162:163]
	v_fma_f64 v[146:147], v[4:5], v[162:163], -v[156:157]
	v_add_f64_e32 v[12:13], v[12:13], v[132:133]
	v_add_f64_e32 v[142:143], v[134:135], v[142:143]
	ds_load_b128 v[4:7], v2 offset:1824
	ds_load_b128 v[132:135], v2 offset:1840
	v_fmac_f64_e32 v[136:137], v[140:141], v[166:167]
	v_fma_f64 v[138:139], v[138:139], v[166:167], -v[144:145]
	s_wait_loadcnt_dscnt 0x301
	v_mul_f64_e32 v[148:149], v[4:5], v[182:183]
	v_mul_f64_e32 v[156:157], v[6:7], v[182:183]
	s_wait_loadcnt_dscnt 0x200
	v_mul_f64_e32 v[144:145], v[134:135], v[154:155]
	v_add_f64_e32 v[12:13], v[12:13], v[146:147]
	v_add_f64_e32 v[140:141], v[142:143], v[150:151]
	v_mul_f64_e32 v[142:143], v[132:133], v[154:155]
	v_lshl_add_u64 v[154:155], v[22:23], 4, s[4:5]
	v_lshl_add_u64 v[22:23], v[64:65], 4, s[4:5]
	;; [unrolled: 1-line block ×3, first 2 shown]
	v_fmac_f64_e32 v[148:149], v[6:7], v[180:181]
	v_fma_f64 v[146:147], v[4:5], v[180:181], -v[156:157]
	v_fma_f64 v[132:133], v[132:133], v[152:153], -v[144:145]
	v_lshl_add_u64 v[156:157], v[20:21], 4, s[4:5]
	v_lshl_add_u64 v[144:145], v[34:35], 4, s[4:5]
	;; [unrolled: 1-line block ×6, first 2 shown]
	v_add_f64_e32 v[12:13], v[12:13], v[138:139]
	v_add_f64_e32 v[140:141], v[140:141], v[136:137]
	ds_load_b128 v[4:7], v2 offset:1856
	ds_load_b128 v[136:139], v2 offset:1872
	v_fmac_f64_e32 v[142:143], v[134:135], v[152:153]
	v_lshl_add_u64 v[152:153], v[26:27], 4, s[4:5]
	v_lshl_add_u64 v[26:27], v[68:69], 4, s[4:5]
	;; [unrolled: 1-line block ×3, first 2 shown]
	s_wait_loadcnt_dscnt 0x101
	v_mul_f64_e32 v[2:3], v[4:5], v[186:187]
	v_mul_f64_e32 v[150:151], v[6:7], v[186:187]
	v_add_f64_e32 v[12:13], v[12:13], v[146:147]
	v_add_f64_e32 v[134:135], v[140:141], v[148:149]
	s_wait_loadcnt_dscnt 0x0
	v_mul_f64_e32 v[140:141], v[136:137], v[10:11]
	v_mul_f64_e32 v[10:11], v[138:139], v[10:11]
	v_lshl_add_u64 v[148:149], v[28:29], 4, s[4:5]
	v_lshl_add_u64 v[146:147], v[30:31], 4, s[4:5]
	;; [unrolled: 1-line block ×7, first 2 shown]
	v_fmac_f64_e32 v[2:3], v[6:7], v[184:185]
	v_fma_f64 v[4:5], v[4:5], v[184:185], -v[150:151]
	v_lshl_add_u64 v[150:151], v[24:25], 4, s[4:5]
	v_lshl_add_u64 v[24:25], v[66:67], 4, s[4:5]
	;; [unrolled: 1-line block ×3, first 2 shown]
	v_add_f64_e32 v[6:7], v[12:13], v[132:133]
	v_add_f64_e32 v[12:13], v[134:135], v[142:143]
	v_fmac_f64_e32 v[140:141], v[138:139], v[8:9]
	v_fma_f64 v[8:9], v[136:137], v[8:9], -v[10:11]
	v_lshl_add_u64 v[142:143], v[32:33], 4, s[4:5]
	v_lshl_add_u64 v[138:139], v[38:39], 4, s[4:5]
	;; [unrolled: 1-line block ×17, first 2 shown]
	v_add_f64_e32 v[4:5], v[6:7], v[4:5]
	v_add_f64_e32 v[2:3], v[12:13], v[2:3]
	v_lshl_add_u64 v[6:7], v[52:53], 4, s[4:5]
	v_lshl_add_u64 v[12:13], v[58:59], 4, s[4:5]
	;; [unrolled: 1-line block ×4, first 2 shown]
	v_add_f64_e32 v[160:161], v[4:5], v[8:9]
	v_add_f64_e32 v[162:163], v[2:3], v[140:141]
	v_lshl_add_u64 v[140:141], v[36:37], 4, s[4:5]
	v_lshl_add_u64 v[2:3], v[48:49], 4, s[4:5]
	;; [unrolled: 1-line block ×11, first 2 shown]
	v_add_f64_e64 v[160:161], v[176:177], -v[160:161]
	v_add_f64_e64 v[162:163], v[178:179], -v[162:163]
	scratch_store_b128 off, v[160:163], off
	s_cbranch_vccz .LBB58_484
; %bb.368:
	v_mov_b32_e32 v92, 0
	s_load_b64 s[2:3], s[0:1], 0x4
	v_bfe_u32 v94, v0, 10, 10
	v_bfe_u32 v0, v0, 20, 10
	global_load_b32 v93, v92, s[16:17] offset:228
	s_wait_kmcnt 0x0
	s_lshr_b32 s0, s2, 16
	v_mul_u32_u24_e32 v94, s3, v94
	s_mul_i32 s0, s0, s3
	s_delay_alu instid0(SALU_CYCLE_1) | instskip(NEXT) | instid1(VALU_DEP_1)
	v_mul_u32_u24_e32 v1, s0, v1
	v_add3_u32 v0, v1, v94, v0
	s_delay_alu instid0(VALU_DEP_1)
	v_lshl_add_u32 v0, v0, 4, 0x768
	s_wait_loadcnt 0x0
	v_cmp_ne_u32_e32 vcc_lo, 58, v93
	s_cbranch_vccz .LBB58_370
; %bb.369:
	v_lshlrev_b32_e32 v1, 4, v93
	s_clause 0x1
	scratch_load_b128 v[94:97], off, s23
	scratch_load_b128 v[98:101], v1, off offset:-16
	s_wait_loadcnt 0x1
	ds_store_2addr_b64 v0, v[94:95], v[96:97] offset1:1
	s_wait_loadcnt 0x0
	s_clause 0x1
	scratch_store_b128 off, v[98:101], s23
	scratch_store_b128 v1, v[94:97], off offset:-16
.LBB58_370:
	global_load_b32 v1, v92, s[16:17] offset:224
	s_wait_loadcnt 0x0
	v_cmp_eq_u32_e32 vcc_lo, 57, v1
	s_cbranch_vccnz .LBB58_372
; %bb.371:
	v_lshlrev_b32_e32 v1, 4, v1
	s_clause 0x1
	scratch_load_b128 v[92:95], off, s28
	scratch_load_b128 v[96:99], v1, off offset:-16
	s_wait_loadcnt 0x1
	ds_store_2addr_b64 v0, v[92:93], v[94:95] offset1:1
	s_wait_loadcnt 0x0
	s_clause 0x1
	scratch_store_b128 off, v[96:99], s28
	scratch_store_b128 v1, v[92:95], off offset:-16
.LBB58_372:
	s_wait_xcnt 0x0
	v_mov_b32_e32 v1, 0
	global_load_b32 v92, v1, s[16:17] offset:220
	s_wait_loadcnt 0x0
	v_cmp_eq_u32_e32 vcc_lo, 56, v92
	s_cbranch_vccnz .LBB58_374
; %bb.373:
	v_lshlrev_b32_e32 v92, 4, v92
	s_delay_alu instid0(VALU_DEP_1)
	v_mov_b32_e32 v100, v92
	s_clause 0x1
	scratch_load_b128 v[92:95], off, s8
	scratch_load_b128 v[96:99], v100, off offset:-16
	s_wait_loadcnt 0x1
	ds_store_2addr_b64 v0, v[92:93], v[94:95] offset1:1
	s_wait_loadcnt 0x0
	s_clause 0x1
	scratch_store_b128 off, v[96:99], s8
	scratch_store_b128 v100, v[92:95], off offset:-16
.LBB58_374:
	global_load_b32 v1, v1, s[16:17] offset:216
	s_wait_loadcnt 0x0
	v_cmp_eq_u32_e32 vcc_lo, 55, v1
	s_cbranch_vccnz .LBB58_376
; %bb.375:
	s_wait_xcnt 0x0
	v_lshlrev_b32_e32 v1, 4, v1
	s_clause 0x1
	scratch_load_b128 v[92:95], off, s10
	scratch_load_b128 v[96:99], v1, off offset:-16
	s_wait_loadcnt 0x1
	ds_store_2addr_b64 v0, v[92:93], v[94:95] offset1:1
	s_wait_loadcnt 0x0
	s_clause 0x1
	scratch_store_b128 off, v[96:99], s10
	scratch_store_b128 v1, v[92:95], off offset:-16
.LBB58_376:
	s_wait_xcnt 0x0
	v_mov_b32_e32 v1, 0
	global_load_b32 v92, v1, s[16:17] offset:212
	s_wait_loadcnt 0x0
	v_cmp_eq_u32_e32 vcc_lo, 54, v92
	s_cbranch_vccnz .LBB58_378
; %bb.377:
	v_lshlrev_b32_e32 v92, 4, v92
	s_delay_alu instid0(VALU_DEP_1)
	v_mov_b32_e32 v100, v92
	s_clause 0x1
	scratch_load_b128 v[92:95], off, s9
	scratch_load_b128 v[96:99], v100, off offset:-16
	s_wait_loadcnt 0x1
	ds_store_2addr_b64 v0, v[92:93], v[94:95] offset1:1
	s_wait_loadcnt 0x0
	s_clause 0x1
	scratch_store_b128 off, v[96:99], s9
	scratch_store_b128 v100, v[92:95], off offset:-16
.LBB58_378:
	global_load_b32 v1, v1, s[16:17] offset:208
	s_wait_loadcnt 0x0
	v_cmp_eq_u32_e32 vcc_lo, 53, v1
	s_cbranch_vccnz .LBB58_380
; %bb.379:
	s_wait_xcnt 0x0
	v_lshlrev_b32_e32 v1, 4, v1
	s_clause 0x1
	scratch_load_b128 v[92:95], off, s12
	scratch_load_b128 v[96:99], v1, off offset:-16
	s_wait_loadcnt 0x1
	ds_store_2addr_b64 v0, v[92:93], v[94:95] offset1:1
	s_wait_loadcnt 0x0
	s_clause 0x1
	scratch_store_b128 off, v[96:99], s12
	scratch_store_b128 v1, v[92:95], off offset:-16
.LBB58_380:
	;; [unrolled: 37-line block ×27, first 2 shown]
	s_wait_xcnt 0x0
	v_mov_b32_e32 v1, 0
	global_load_b32 v92, v1, s[16:17] offset:4
	s_wait_loadcnt 0x0
	v_cmp_eq_u32_e32 vcc_lo, 2, v92
	s_cbranch_vccnz .LBB58_482
; %bb.481:
	v_lshlrev_b32_e32 v92, 4, v92
	s_delay_alu instid0(VALU_DEP_1)
	v_mov_b32_e32 v100, v92
	s_clause 0x1
	scratch_load_b128 v[92:95], off, s52
	scratch_load_b128 v[96:99], v100, off offset:-16
	s_wait_loadcnt 0x1
	ds_store_2addr_b64 v0, v[92:93], v[94:95] offset1:1
	s_wait_loadcnt 0x0
	s_clause 0x1
	scratch_store_b128 off, v[96:99], s52
	scratch_store_b128 v100, v[92:95], off offset:-16
.LBB58_482:
	global_load_b32 v1, v1, s[16:17]
	s_wait_loadcnt 0x0
	v_cmp_eq_u32_e32 vcc_lo, 1, v1
	s_cbranch_vccnz .LBB58_484
; %bb.483:
	s_wait_xcnt 0x0
	v_lshlrev_b32_e32 v1, 4, v1
	scratch_load_b128 v[92:95], off, off
	scratch_load_b128 v[96:99], v1, off offset:-16
	s_wait_loadcnt 0x1
	ds_store_2addr_b64 v0, v[92:93], v[94:95] offset1:1
	s_wait_loadcnt 0x0
	scratch_store_b128 off, v[96:99], off
	scratch_store_b128 v1, v[92:95], off offset:-16
.LBB58_484:
	scratch_load_b128 v[92:95], off, off
	s_clause 0x1f
	scratch_load_b128 v[96:99], off, s52
	scratch_load_b128 v[100:103], off, s51
	;; [unrolled: 1-line block ×22, first 2 shown]
	; meta instruction
	; meta instruction
	;; [unrolled: 1-line block ×15, first 2 shown]
	scratch_load_b128 v[212:215], off, s39
	scratch_load_b128 v[216:219], off, s41
	;; [unrolled: 1-line block ×10, first 2 shown]
	s_wait_loadcnt 0x20
	global_store_b128 v[16:17], v[92:95], off
	s_clause 0x1
	scratch_load_b128 v[92:95], off, s37
	scratch_load_b128 v[252:255], off, s38
	s_wait_loadcnt 0x21
	global_store_b128 v[14:15], v[96:99], off
	s_wait_loadcnt 0x20
	global_store_b128 v[158:159], v[100:103], off
	s_clause 0x1
	scratch_load_b128 v[14:17], off, s35
	scratch_load_b128 v[96:99], off, s36
	s_wait_loadcnt 0x21
	global_store_b128 v[156:157], v[104:107], off
	s_clause 0x1
	scratch_load_b128 v[100:103], off, s33
	scratch_load_b128 v[104:107], off, s34
	;; [unrolled: 5-line block ×3, first 2 shown]
	s_wait_loadcnt 0x23
	global_store_b128 v[150:151], v[112:115], off
	s_wait_loadcnt 0x22
	global_store_b128 v[152:153], v[116:119], off
	s_clause 0x1
	scratch_load_b128 v[112:115], off, s27
	scratch_load_b128 v[116:119], off, s29
	s_wait_loadcnt 0x23
	global_store_b128 v[148:149], v[120:123], off
	s_clause 0x1
	scratch_load_b128 v[120:123], off, s24
	scratch_load_b128 v[148:151], off, s26
	s_wait_loadcnt 0x24
	global_store_b128 v[146:147], v[124:127], off
	s_clause 0x2
	scratch_load_b128 v[124:127], off, s21
	s_set_vgpr_msb 64                       ;  msbs: dst=1 src0=0 src1=0 src2=0
	scratch_load_b128 v[0:3] /*v[256:259]*/, off, s22
	s_wait_loadcnt 0x25
	global_store_b128 v[142:143], v[128:131], off
	s_wait_loadcnt 0x24
	global_store_b128 v[144:145], v[160:163], off
	s_set_vgpr_msb 0                        ;  msbs: dst=0 src0=0 src1=0 src2=0
	s_clause 0x1
	scratch_load_b128 v[128:131], off, s15
	scratch_load_b128 v[142:145], off, s20
	s_wait_loadcnt 0x25
	global_store_b128 v[140:141], v[164:167], off
	s_clause 0x1
	scratch_load_b128 v[158:161], off, s13
	scratch_load_b128 v[162:165], off, s14
	s_wait_loadcnt 0x26
	global_store_b128 v[138:139], v[168:171], off
	;; [unrolled: 5-line block ×3, first 2 shown]
	s_wait_loadcnt 0x26
	global_store_b128 v[136:137], v[176:179], off
	s_clause 0x1
	scratch_load_b128 v[134:137], off, s9
	scratch_load_b128 v[170:173], off, s10
	s_wait_loadcnt 0x27
	global_store_b128 v[132:133], v[180:183], off
	s_clause 0x1
	scratch_load_b128 v[174:177], off, s8
	scratch_load_b128 v[178:181], off, s28
	s_wait_loadcnt 0x28
	global_store_b128 v[30:31], v[184:187], off
	s_clause 0x2
	scratch_load_b128 v[182:185], off, s23
	s_set_vgpr_msb 64                       ;  msbs: dst=1 src0=0 src1=0 src2=0
	scratch_load_b128 v[4:7] /*v[260:263]*/, off, s25
	s_wait_loadcnt 0x29
	global_store_b128 v[2:3], v[188:191], off
	s_wait_loadcnt 0x28
	global_store_b128 v[4:5], v[192:195], off
	;; [unrolled: 2-line block ×29, first 2 shown]
	s_wait_loadcnt 0xc
	s_set_vgpr_msb 4                        ;  msbs: dst=0 src0=0 src1=1 src2=0
	global_store_b128 v[66:67], v[0:3] /*v[256:259]*/, off
	s_wait_loadcnt 0xb
	s_set_vgpr_msb 0                        ;  msbs: dst=0 src0=0 src1=0 src2=0
	global_store_b128 v[68:69], v[128:131], off
	s_wait_loadcnt 0xa
	global_store_b128 v[70:71], v[142:145], off
	s_wait_loadcnt 0x9
	;; [unrolled: 2-line block ×11, first 2 shown]
	s_set_vgpr_msb 4                        ;  msbs: dst=0 src0=0 src1=1 src2=0
	global_store_b128 v[90:91], v[4:7] /*v[260:263]*/, off
	s_sendmsg sendmsg(MSG_DEALLOC_VGPRS)
	s_endpgm
	.section	.rodata,"a",@progbits
	.p2align	6, 0x0
	.amdhsa_kernel _ZN9rocsolver6v33100L18getri_kernel_smallILi59E19rocblas_complex_numIdEPS3_EEvT1_iilPiilS6_bb
		.amdhsa_group_segment_fixed_size 2920
		.amdhsa_private_segment_fixed_size 960
		.amdhsa_kernarg_size 60
		.amdhsa_user_sgpr_count 4
		.amdhsa_user_sgpr_dispatch_ptr 1
		.amdhsa_user_sgpr_queue_ptr 0
		.amdhsa_user_sgpr_kernarg_segment_ptr 1
		.amdhsa_user_sgpr_dispatch_id 0
		.amdhsa_user_sgpr_kernarg_preload_length 0
		.amdhsa_user_sgpr_kernarg_preload_offset 0
		.amdhsa_user_sgpr_private_segment_size 0
		.amdhsa_wavefront_size32 1
		.amdhsa_uses_dynamic_stack 0
		.amdhsa_enable_private_segment 1
		.amdhsa_system_sgpr_workgroup_id_x 1
		.amdhsa_system_sgpr_workgroup_id_y 0
		.amdhsa_system_sgpr_workgroup_id_z 0
		.amdhsa_system_sgpr_workgroup_info 0
		.amdhsa_system_vgpr_workitem_id 2
		.amdhsa_next_free_vgpr 266
		.amdhsa_next_free_sgpr 99
		.amdhsa_named_barrier_count 0
		.amdhsa_reserve_vcc 1
		.amdhsa_float_round_mode_32 0
		.amdhsa_float_round_mode_16_64 0
		.amdhsa_float_denorm_mode_32 3
		.amdhsa_float_denorm_mode_16_64 3
		.amdhsa_fp16_overflow 0
		.amdhsa_memory_ordered 1
		.amdhsa_forward_progress 1
		.amdhsa_inst_pref_size 255
		.amdhsa_round_robin_scheduling 0
		.amdhsa_exception_fp_ieee_invalid_op 0
		.amdhsa_exception_fp_denorm_src 0
		.amdhsa_exception_fp_ieee_div_zero 0
		.amdhsa_exception_fp_ieee_overflow 0
		.amdhsa_exception_fp_ieee_underflow 0
		.amdhsa_exception_fp_ieee_inexact 0
		.amdhsa_exception_int_div_zero 0
	.end_amdhsa_kernel
	.section	.text._ZN9rocsolver6v33100L18getri_kernel_smallILi59E19rocblas_complex_numIdEPS3_EEvT1_iilPiilS6_bb,"axG",@progbits,_ZN9rocsolver6v33100L18getri_kernel_smallILi59E19rocblas_complex_numIdEPS3_EEvT1_iilPiilS6_bb,comdat
.Lfunc_end58:
	.size	_ZN9rocsolver6v33100L18getri_kernel_smallILi59E19rocblas_complex_numIdEPS3_EEvT1_iilPiilS6_bb, .Lfunc_end58-_ZN9rocsolver6v33100L18getri_kernel_smallILi59E19rocblas_complex_numIdEPS3_EEvT1_iilPiilS6_bb
                                        ; -- End function
	.set _ZN9rocsolver6v33100L18getri_kernel_smallILi59E19rocblas_complex_numIdEPS3_EEvT1_iilPiilS6_bb.num_vgpr, 266
	.set _ZN9rocsolver6v33100L18getri_kernel_smallILi59E19rocblas_complex_numIdEPS3_EEvT1_iilPiilS6_bb.num_agpr, 0
	.set _ZN9rocsolver6v33100L18getri_kernel_smallILi59E19rocblas_complex_numIdEPS3_EEvT1_iilPiilS6_bb.numbered_sgpr, 99
	.set _ZN9rocsolver6v33100L18getri_kernel_smallILi59E19rocblas_complex_numIdEPS3_EEvT1_iilPiilS6_bb.num_named_barrier, 0
	.set _ZN9rocsolver6v33100L18getri_kernel_smallILi59E19rocblas_complex_numIdEPS3_EEvT1_iilPiilS6_bb.private_seg_size, 960
	.set _ZN9rocsolver6v33100L18getri_kernel_smallILi59E19rocblas_complex_numIdEPS3_EEvT1_iilPiilS6_bb.uses_vcc, 1
	.set _ZN9rocsolver6v33100L18getri_kernel_smallILi59E19rocblas_complex_numIdEPS3_EEvT1_iilPiilS6_bb.uses_flat_scratch, 1
	.set _ZN9rocsolver6v33100L18getri_kernel_smallILi59E19rocblas_complex_numIdEPS3_EEvT1_iilPiilS6_bb.has_dyn_sized_stack, 0
	.set _ZN9rocsolver6v33100L18getri_kernel_smallILi59E19rocblas_complex_numIdEPS3_EEvT1_iilPiilS6_bb.has_recursion, 0
	.set _ZN9rocsolver6v33100L18getri_kernel_smallILi59E19rocblas_complex_numIdEPS3_EEvT1_iilPiilS6_bb.has_indirect_call, 0
	.section	.AMDGPU.csdata,"",@progbits
; Kernel info:
; codeLenInByte = 125692
; TotalNumSgprs: 101
; NumVgprs: 266
; ScratchSize: 960
; MemoryBound: 0
; FloatMode: 240
; IeeeMode: 1
; LDSByteSize: 2920 bytes/workgroup (compile time only)
; SGPRBlocks: 0
; VGPRBlocks: 16
; NumSGPRsForWavesPerEU: 101
; NumVGPRsForWavesPerEU: 266
; NamedBarCnt: 0
; Occupancy: 3
; WaveLimiterHint : 1
; COMPUTE_PGM_RSRC2:SCRATCH_EN: 1
; COMPUTE_PGM_RSRC2:USER_SGPR: 4
; COMPUTE_PGM_RSRC2:TRAP_HANDLER: 0
; COMPUTE_PGM_RSRC2:TGID_X_EN: 1
; COMPUTE_PGM_RSRC2:TGID_Y_EN: 0
; COMPUTE_PGM_RSRC2:TGID_Z_EN: 0
; COMPUTE_PGM_RSRC2:TIDIG_COMP_CNT: 2
	.section	.text._ZN9rocsolver6v33100L18getri_kernel_smallILi60E19rocblas_complex_numIdEPS3_EEvT1_iilPiilS6_bb,"axG",@progbits,_ZN9rocsolver6v33100L18getri_kernel_smallILi60E19rocblas_complex_numIdEPS3_EEvT1_iilPiilS6_bb,comdat
	.globl	_ZN9rocsolver6v33100L18getri_kernel_smallILi60E19rocblas_complex_numIdEPS3_EEvT1_iilPiilS6_bb ; -- Begin function _ZN9rocsolver6v33100L18getri_kernel_smallILi60E19rocblas_complex_numIdEPS3_EEvT1_iilPiilS6_bb
	.p2align	8
	.type	_ZN9rocsolver6v33100L18getri_kernel_smallILi60E19rocblas_complex_numIdEPS3_EEvT1_iilPiilS6_bb,@function
_ZN9rocsolver6v33100L18getri_kernel_smallILi60E19rocblas_complex_numIdEPS3_EEvT1_iilPiilS6_bb: ; @_ZN9rocsolver6v33100L18getri_kernel_smallILi60E19rocblas_complex_numIdEPS3_EEvT1_iilPiilS6_bb
; %bb.0:
	v_and_b32_e32 v1, 0x3ff, v0
	s_mov_b32 s4, exec_lo
	s_delay_alu instid0(VALU_DEP_1)
	v_cmpx_gt_u32_e32 60, v1
	s_cbranch_execz .LBB59_254
; %bb.1:
	s_clause 0x2
	s_load_b32 s8, s[2:3], 0x38
	s_load_b128 s[12:15], s[2:3], 0x10
	s_load_b128 s[4:7], s[2:3], 0x28
	s_getreg_b32 s11, hwreg(HW_REG_IB_STS2, 6, 4)
                                        ; implicit-def: $sgpr16_sgpr17
	s_wait_kmcnt 0x0
	s_bitcmp1_b32 s8, 8
	s_cselect_b32 s72, -1, 0
	s_bfe_u32 s9, ttmp6, 0x4000c
	s_and_b32 s10, ttmp6, 15
	s_add_co_i32 s9, s9, 1
	s_delay_alu instid0(SALU_CYCLE_1) | instskip(NEXT) | instid1(SALU_CYCLE_1)
	s_mul_i32 s9, ttmp9, s9
	s_add_co_i32 s10, s10, s9
	s_cmp_eq_u32 s11, 0
	s_cselect_b32 s18, ttmp9, s10
	s_bfe_u32 s8, s8, 0x10008
	s_ashr_i32 s19, s18, 31
	s_cmp_eq_u32 s8, 0
	s_cbranch_scc1 .LBB59_3
; %bb.2:
	s_load_b32 s8, s[2:3], 0x20
	s_mul_u64 s[4:5], s[4:5], s[18:19]
	s_delay_alu instid0(SALU_CYCLE_1) | instskip(NEXT) | instid1(SALU_CYCLE_1)
	s_lshl_b64 s[4:5], s[4:5], 2
	s_add_nc_u64 s[4:5], s[14:15], s[4:5]
	s_wait_kmcnt 0x0
	s_ashr_i32 s9, s8, 31
	s_delay_alu instid0(SALU_CYCLE_1) | instskip(NEXT) | instid1(SALU_CYCLE_1)
	s_lshl_b64 s[8:9], s[8:9], 2
	s_add_nc_u64 s[16:17], s[4:5], s[8:9]
.LBB59_3:
	s_clause 0x1
	s_load_b128 s[8:11], s[2:3], 0x0
	s_load_b32 s73, s[2:3], 0x38
	s_wait_xcnt 0x0
	s_mul_u64 s[2:3], s[12:13], s[18:19]
	s_movk_i32 s48, 0x210
	s_lshl_b64 s[2:3], s[2:3], 4
	s_movk_i32 s74, 0x220
	s_movk_i32 s75, 0x230
	;; [unrolled: 1-line block ×15, first 2 shown]
	s_wait_kmcnt 0x0
	v_add3_u32 v18, s11, s11, v1
	s_ashr_i32 s5, s10, 31
	s_mov_b32 s4, s10
	s_add_nc_u64 s[2:3], s[8:9], s[2:3]
	s_lshl_b64 s[4:5], s[4:5], 4
	v_add_nc_u32_e32 v20, s11, v18
	s_add_nc_u64 s[4:5], s[2:3], s[4:5]
	s_ashr_i32 s3, s11, 31
	s_mov_b32 s2, s11
	global_load_b128 v[2:5], v1, s[4:5] scale_offset
	v_add_nc_u32_e32 v22, s11, v20
	s_movk_i32 s89, 0x310
	s_movk_i32 s90, 0x320
	;; [unrolled: 1-line block ×4, first 2 shown]
	v_add_nc_u32_e32 v24, s11, v22
	s_movk_i32 s93, 0x350
	s_movk_i32 s94, 0x360
	;; [unrolled: 1-line block ×4, first 2 shown]
	v_add_nc_u32_e32 v26, s11, v24
	s_movk_i32 s97, 0x390
	s_movk_i32 s98, 0x3a0
	;; [unrolled: 1-line block ×3, first 2 shown]
	s_mov_b32 s52, 16
	v_add_nc_u32_e32 v28, s11, v26
	s_mov_b32 s51, 32
	s_mov_b32 s50, 48
	;; [unrolled: 1-line block ×3, first 2 shown]
	s_movk_i32 s71, 0x50
	v_add_nc_u32_e32 v30, s11, v28
	s_movk_i32 s70, 0x60
	s_movk_i32 s69, 0x70
	;; [unrolled: 1-line block ×4, first 2 shown]
	v_dual_add_nc_u32 v32, s11, v30 :: v_dual_lshlrev_b32 v134, 4, v1
	s_movk_i32 s54, 0xa0
	s_movk_i32 s56, 0xb0
	;; [unrolled: 1-line block ×3, first 2 shown]
	s_delay_alu instid0(VALU_DEP_1) | instskip(SKIP_3) | instid1(VALU_DEP_1)
	v_dual_mov_b32 v135, 0 :: v_dual_add_nc_u32 v34, s11, v32
	s_movk_i32 s61, 0xd0
	s_movk_i32 s64, 0xe0
	;; [unrolled: 1-line block ×3, first 2 shown]
	v_add_nc_u32_e32 v36, s11, v34
	v_add_nc_u64_e32 v[14:15], s[4:5], v[134:135]
	s_movk_i32 s57, 0x100
	s_movk_i32 s60, 0x110
	;; [unrolled: 1-line block ×3, first 2 shown]
	v_add_nc_u32_e32 v38, s11, v36
	s_movk_i32 s66, 0x130
	s_movk_i32 s67, 0x140
	v_lshl_add_u64 v[16:17], s[2:3], 4, v[14:15]
	s_movk_i32 s58, 0x150
	v_add_nc_u32_e32 v40, s11, v38
	s_clause 0x9
	global_load_b128 v[6:9], v18, s[4:5] scale_offset
	global_load_b128 v[10:13], v20, s[4:5] scale_offset
	global_load_b128 v[114:117], v[16:17], off
	global_load_b128 v[118:121], v22, s[4:5] scale_offset
	global_load_b128 v[122:125], v24, s[4:5] scale_offset
	;; [unrolled: 1-line block ×7, first 2 shown]
	v_add_nc_u32_e32 v42, s11, v40
	s_movk_i32 s62, 0x160
	s_movk_i32 s65, 0x170
	s_movk_i32 s42, 0x180
	s_movk_i32 s44, 0x190
	v_add_nc_u32_e32 v44, s11, v42
	s_movk_i32 s46, 0x1a0
	s_movk_i32 s40, 0x1b0
	;; [unrolled: 1-line block ×4, first 2 shown]
	v_add_nc_u32_e32 v46, s11, v44
	s_clause 0x4
	global_load_b128 v[148:151], v36, s[4:5] scale_offset
	global_load_b128 v[152:155], v38, s[4:5] scale_offset
	;; [unrolled: 1-line block ×5, first 2 shown]
	s_movk_i32 s47, 0x1e0
	s_movk_i32 s39, 0x1f0
	v_add_nc_u32_e32 v48, s11, v46
	s_movk_i32 s41, 0x200
	s_mov_b32 s37, s48
	s_mov_b32 s38, s74
	;; [unrolled: 1-line block ×3, first 2 shown]
	v_add_nc_u32_e32 v50, s11, v48
	s_mov_b32 s35, s76
	s_mov_b32 s28, s77
	;; [unrolled: 1-line block ×4, first 2 shown]
	v_add_nc_u32_e32 v52, s11, v50
	s_mov_b32 s26, s80
	s_mov_b32 s22, s81
	;; [unrolled: 1-line block ×4, first 2 shown]
	v_add_nc_u32_e32 v54, s11, v52
	s_clause 0x1
	global_load_b128 v[168:171], v46, s[4:5] scale_offset
	global_load_b128 v[172:175], v48, s[4:5] scale_offset
	s_mov_b32 s21, s84
	s_mov_b32 s14, s85
	s_mov_b32 s15, s86
	v_add_nc_u32_e32 v56, s11, v54
	s_mov_b32 s12, s87
	s_mov_b32 s13, s88
	;; [unrolled: 1-line block ×4, first 2 shown]
	v_add_nc_u32_e32 v58, s11, v56
	s_clause 0x2
	global_load_b128 v[176:179], v50, s[4:5] scale_offset
	global_load_b128 v[180:183], v52, s[4:5] scale_offset
	;; [unrolled: 1-line block ×3, first 2 shown]
	s_mov_b32 s9, s92
	s_mov_b32 s34, s93
	s_clause 0x1
	global_load_b128 v[188:191], v56, s[4:5] scale_offset
	global_load_b128 v[192:195], v58, s[4:5] scale_offset
	v_add_nc_u32_e32 v60, s11, v58
	s_mov_b32 s36, s94
	s_mov_b32 s29, s95
	;; [unrolled: 1-line block ×4, first 2 shown]
	v_add_nc_u32_e32 v62, s11, v60
	s_mov_b32 s27, s98
	s_mov_b32 s48, s99
	s_bitcmp0_b32 s73, 0
	s_mov_b32 s3, -1
	v_add_nc_u32_e32 v64, s11, v62
	s_delay_alu instid0(VALU_DEP_1) | instskip(NEXT) | instid1(VALU_DEP_1)
	v_add_nc_u32_e32 v66, s11, v64
	v_add_nc_u32_e32 v68, s11, v66
	s_clause 0x1
	global_load_b128 v[196:199], v60, s[4:5] scale_offset
	global_load_b128 v[200:203], v62, s[4:5] scale_offset
	v_add_nc_u32_e32 v70, s11, v68
	s_clause 0x2
	global_load_b128 v[204:207], v64, s[4:5] scale_offset
	global_load_b128 v[208:211], v66, s[4:5] scale_offset
	;; [unrolled: 1-line block ×3, first 2 shown]
	v_add_nc_u32_e32 v72, s11, v70
	s_delay_alu instid0(VALU_DEP_1) | instskip(NEXT) | instid1(VALU_DEP_1)
	v_add_nc_u32_e32 v74, s11, v72
	v_add_nc_u32_e32 v76, s11, v74
	s_delay_alu instid0(VALU_DEP_1) | instskip(SKIP_4) | instid1(VALU_DEP_1)
	v_add_nc_u32_e32 v78, s11, v76
	s_clause 0x1
	global_load_b128 v[216:219], v70, s[4:5] scale_offset
	global_load_b128 v[220:223], v72, s[4:5] scale_offset
	v_add_nc_u32_e32 v80, s11, v78
	v_add_nc_u32_e32 v82, s11, v80
	s_clause 0x3
	global_load_b128 v[224:227], v74, s[4:5] scale_offset
	global_load_b128 v[228:231], v76, s[4:5] scale_offset
	global_load_b128 v[232:235], v78, s[4:5] scale_offset
	global_load_b128 v[236:239], v80, s[4:5] scale_offset
	v_add_nc_u32_e32 v84, s11, v82
	s_delay_alu instid0(VALU_DEP_1) | instskip(NEXT) | instid1(VALU_DEP_1)
	v_add_nc_u32_e32 v86, s11, v84
	v_add_nc_u32_e32 v88, s11, v86
	s_delay_alu instid0(VALU_DEP_1) | instskip(SKIP_4) | instid1(VALU_DEP_1)
	v_add_nc_u32_e32 v90, s11, v88
	s_clause 0x1
	global_load_b128 v[240:243], v82, s[4:5] scale_offset
	global_load_b128 v[244:247], v84, s[4:5] scale_offset
	v_add_nc_u32_e32 v92, s11, v90
	v_add_nc_u32_e32 v94, s11, v92
	s_delay_alu instid0(VALU_DEP_1) | instskip(NEXT) | instid1(VALU_DEP_1)
	v_add_nc_u32_e32 v96, s11, v94
	v_add_nc_u32_e32 v98, s11, v96
	s_delay_alu instid0(VALU_DEP_1) | instskip(NEXT) | instid1(VALU_DEP_1)
	;; [unrolled: 3-line block ×4, first 2 shown]
	v_add_nc_u32_e32 v108, s11, v106
	v_add_nc_u32_e32 v110, s11, v108
	s_delay_alu instid0(VALU_DEP_1)
	v_add_nc_u32_e32 v112, s11, v110
	s_wait_loadcnt 0x23
	scratch_store_b128 off, v[2:5], off
	s_clause 0x1
	global_load_b128 v[2:5], v86, s[4:5] scale_offset
	global_load_b128 v[248:251], v88, s[4:5] scale_offset
	s_wait_loadcnt 0x24
	scratch_store_b128 off, v[6:9], off offset:32
	s_wait_loadcnt 0x23
	scratch_store_b128 off, v[10:13], off offset:48
	s_clause 0x1
	global_load_b128 v[6:9], v90, s[4:5] scale_offset
	global_load_b128 v[10:13], v92, s[4:5] scale_offset
	s_wait_loadcnt 0x24
	scratch_store_b128 off, v[114:117], off offset:16
	s_wait_xcnt 0x0
	v_add_nc_u32_e32 v114, s11, v112
	s_wait_loadcnt 0x23
	scratch_store_b128 off, v[118:121], off offset:64
	s_wait_loadcnt 0x22
	scratch_store_b128 off, v[122:125], off offset:80
	s_clause 0x2
	global_load_b128 v[252:255], v94, s[4:5] scale_offset
	s_set_vgpr_msb 64                       ;  msbs: dst=1 src0=0 src1=0 src2=0
	global_load_b128 v[0:3] /*v[256:259]*/, v96, s[4:5] scale_offset
	s_wait_loadcnt 0x23
	scratch_store_b128 off, v[126:129], off offset:96
	s_wait_loadcnt 0x22
	scratch_store_b128 off, v[130:133], off offset:112
	s_clause 0x1
	global_load_b128 v[4:7] /*v[260:263]*/, v98, s[4:5] scale_offset
	global_load_b128 v[8:11] /*v[264:267]*/, v100, s[4:5] scale_offset
	s_set_vgpr_msb 0                        ;  msbs: dst=0 src0=0 src1=0 src2=0
	v_add_nc_u32_e32 v116, s11, v114
	s_wait_loadcnt 0x23
	scratch_store_b128 off, v[136:139], off offset:128
	s_wait_loadcnt 0x22
	scratch_store_b128 off, v[140:143], off offset:144
	;; [unrolled: 2-line block ×3, first 2 shown]
	s_clause 0x1
	global_load_b128 v[136:139], v102, s[4:5] scale_offset
	global_load_b128 v[140:143], v104, s[4:5] scale_offset
	s_wait_loadcnt 0x22
	scratch_store_b128 off, v[148:151], off offset:176
	s_wait_loadcnt 0x21
	scratch_store_b128 off, v[152:155], off offset:192
	v_add_nc_u32_e32 v118, s11, v116
	s_clause 0x1
	global_load_b128 v[144:147], v106, s[4:5] scale_offset
	global_load_b128 v[148:151], v108, s[4:5] scale_offset
	s_wait_loadcnt 0x22
	scratch_store_b128 off, v[156:159], off offset:208
	s_wait_loadcnt 0x21
	scratch_store_b128 off, v[160:163], off offset:224
	;; [unrolled: 2-line block ×3, first 2 shown]
	s_clause 0x1
	global_load_b128 v[152:155], v110, s[4:5] scale_offset
	global_load_b128 v[156:159], v112, s[4:5] scale_offset
	v_add_nc_u32_e32 v120, s11, v118
	s_wait_loadcnt 0x21
	scratch_store_b128 off, v[168:171], off offset:256
	s_wait_loadcnt 0x20
	scratch_store_b128 off, v[172:175], off offset:272
	v_add_nc_u32_e32 v122, s11, v120
	s_clause 0x1
	global_load_b128 v[160:163], v114, s[4:5] scale_offset
	global_load_b128 v[164:167], v116, s[4:5] scale_offset
	v_add_nc_u32_e32 v124, s11, v122
	s_wait_loadcnt 0x21
	scratch_store_b128 off, v[176:179], off offset:288
	s_wait_loadcnt 0x20
	scratch_store_b128 off, v[180:183], off offset:304
	;; [unrolled: 2-line block ×3, first 2 shown]
	v_add_nc_u32_e32 v126, s11, v124
	s_clause 0x1
	global_load_b128 v[168:171], v118, s[4:5] scale_offset
	global_load_b128 v[172:175], v120, s[4:5] scale_offset
	s_wait_loadcnt 0x20
	scratch_store_b128 off, v[188:191], off offset:336
	s_wait_loadcnt 0x1f
	scratch_store_b128 off, v[192:195], off offset:352
	v_add_nc_u32_e32 v128, s11, v126
	s_delay_alu instid0(VALU_DEP_1)
	v_add_nc_u32_e32 v130, s11, v128
	s_clause 0x1
	global_load_b128 v[176:179], v122, s[4:5] scale_offset
	global_load_b128 v[180:183], v124, s[4:5] scale_offset
	s_wait_loadcnt 0x20
	scratch_store_b128 off, v[196:199], off offset:368
	s_wait_loadcnt 0x1f
	scratch_store_b128 off, v[200:203], off offset:384
	v_add_nc_u32_e32 v132, s11, v130
	s_clause 0x1
	global_load_b128 v[184:187], v126, s[4:5] scale_offset
	global_load_b128 v[188:191], v128, s[4:5] scale_offset
	s_mov_b32 s11, s90
	s_wait_loadcnt 0x20
	scratch_store_b128 off, v[204:207], off offset:400
	s_wait_loadcnt 0x1f
	scratch_store_b128 off, v[208:211], off offset:416
	;; [unrolled: 2-line block ×3, first 2 shown]
	s_clause 0x1
	global_load_b128 v[192:195], v130, s[4:5] scale_offset
	global_load_b128 v[196:199], v132, s[4:5] scale_offset
	s_wait_loadcnt 0x1f
	scratch_store_b128 off, v[216:219], off offset:448
	s_wait_loadcnt 0x1e
	scratch_store_b128 off, v[220:223], off offset:464
	;; [unrolled: 2-line block ×13, first 2 shown]
	s_wait_loadcnt 0x12
	s_set_vgpr_msb 4                        ;  msbs: dst=0 src0=0 src1=1 src2=0
	scratch_store_b128 off, v[0:3] /*v[256:259]*/, off offset:656
	s_wait_loadcnt 0x11
	scratch_store_b128 off, v[4:7] /*v[260:263]*/, off offset:672
	s_wait_loadcnt 0x10
	;; [unrolled: 2-line block ×3, first 2 shown]
	s_set_vgpr_msb 0                        ;  msbs: dst=0 src0=0 src1=0 src2=0
	scratch_store_b128 off, v[136:139], off offset:704
	s_wait_loadcnt 0xe
	scratch_store_b128 off, v[140:143], off offset:720
	s_wait_loadcnt 0xd
	;; [unrolled: 2-line block ×15, first 2 shown]
	scratch_store_b128 off, v[196:199], off offset:944
	s_cbranch_scc1 .LBB59_252
; %bb.4:
	v_cmp_eq_u32_e64 s2, 0, v1
	s_wait_xcnt 0x0
	s_and_saveexec_b32 s3, s2
; %bb.5:
	v_mov_b32_e32 v2, 0
	ds_store_b32 v2, v2 offset:1920
; %bb.6:
	s_or_b32 exec_lo, exec_lo, s3
	s_wait_storecnt_dscnt 0x0
	s_barrier_signal -1
	s_barrier_wait -1
	scratch_load_b128 v[2:5], v1, off scale_offset
	s_wait_loadcnt 0x0
	v_cmp_eq_f64_e32 vcc_lo, 0, v[2:3]
	v_cmp_eq_f64_e64 s3, 0, v[4:5]
	s_and_b32 s3, vcc_lo, s3
	s_delay_alu instid0(SALU_CYCLE_1)
	s_and_saveexec_b32 s73, s3
	s_cbranch_execz .LBB59_10
; %bb.7:
	v_mov_b32_e32 v2, 0
	s_mov_b32 s74, 0
	ds_load_b32 v3, v2 offset:1920
	s_wait_dscnt 0x0
	v_readfirstlane_b32 s3, v3
	v_add_nc_u32_e32 v3, 1, v1
	s_cmp_eq_u32 s3, 0
	s_delay_alu instid0(VALU_DEP_1) | instskip(SKIP_1) | instid1(SALU_CYCLE_1)
	v_cmp_gt_i32_e32 vcc_lo, s3, v3
	s_cselect_b32 s75, -1, 0
	s_or_b32 s75, s75, vcc_lo
	s_delay_alu instid0(SALU_CYCLE_1)
	s_and_b32 exec_lo, exec_lo, s75
	s_cbranch_execz .LBB59_10
; %bb.8:
	v_mov_b32_e32 v4, s3
.LBB59_9:                               ; =>This Inner Loop Header: Depth=1
	ds_cmpstore_rtn_b32 v4, v2, v3, v4 offset:1920
	s_wait_dscnt 0x0
	v_cmp_ne_u32_e32 vcc_lo, 0, v4
	v_cmp_le_i32_e64 s3, v4, v3
	s_and_b32 s3, vcc_lo, s3
	s_delay_alu instid0(SALU_CYCLE_1) | instskip(NEXT) | instid1(SALU_CYCLE_1)
	s_and_b32 s3, exec_lo, s3
	s_or_b32 s74, s3, s74
	s_delay_alu instid0(SALU_CYCLE_1)
	s_and_not1_b32 exec_lo, exec_lo, s74
	s_cbranch_execnz .LBB59_9
.LBB59_10:
	s_or_b32 exec_lo, exec_lo, s73
	v_mov_b32_e32 v2, 0
	s_barrier_signal -1
	s_barrier_wait -1
	ds_load_b32 v3, v2 offset:1920
	s_and_saveexec_b32 s3, s2
	s_cbranch_execz .LBB59_12
; %bb.11:
	s_lshl_b64 s[74:75], s[18:19], 2
	s_delay_alu instid0(SALU_CYCLE_1)
	s_add_nc_u64 s[74:75], s[6:7], s[74:75]
	s_wait_dscnt 0x0
	global_store_b32 v2, v3, s[74:75]
.LBB59_12:
	s_wait_xcnt 0x0
	s_or_b32 exec_lo, exec_lo, s3
	s_wait_dscnt 0x0
	v_cmp_ne_u32_e32 vcc_lo, 0, v3
	s_mov_b32 s3, 0
	s_cbranch_vccnz .LBB59_252
; %bb.13:
	v_lshl_add_u32 v19, v1, 4, 0
                                        ; implicit-def: $vgpr6_vgpr7
                                        ; implicit-def: $vgpr10_vgpr11
	scratch_load_b128 v[2:5], v19, off
	s_wait_loadcnt 0x0
	v_cmp_ngt_f64_e64 s3, |v[2:3]|, |v[4:5]|
	s_wait_xcnt 0x0
	s_and_saveexec_b32 s73, s3
	s_delay_alu instid0(SALU_CYCLE_1)
	s_xor_b32 s3, exec_lo, s73
	s_cbranch_execz .LBB59_15
; %bb.14:
	v_div_scale_f64 v[6:7], null, v[4:5], v[4:5], v[2:3]
	v_div_scale_f64 v[12:13], vcc_lo, v[2:3], v[4:5], v[2:3]
	s_delay_alu instid0(VALU_DEP_2) | instskip(SKIP_1) | instid1(TRANS32_DEP_1)
	v_rcp_f64_e32 v[8:9], v[6:7]
	v_nop
	v_fma_f64 v[10:11], -v[6:7], v[8:9], 1.0
	s_delay_alu instid0(VALU_DEP_1) | instskip(NEXT) | instid1(VALU_DEP_1)
	v_fmac_f64_e32 v[8:9], v[8:9], v[10:11]
	v_fma_f64 v[10:11], -v[6:7], v[8:9], 1.0
	s_delay_alu instid0(VALU_DEP_1) | instskip(NEXT) | instid1(VALU_DEP_1)
	v_fmac_f64_e32 v[8:9], v[8:9], v[10:11]
	v_mul_f64_e32 v[10:11], v[12:13], v[8:9]
	s_delay_alu instid0(VALU_DEP_1) | instskip(NEXT) | instid1(VALU_DEP_1)
	v_fma_f64 v[6:7], -v[6:7], v[10:11], v[12:13]
	v_div_fmas_f64 v[6:7], v[6:7], v[8:9], v[10:11]
	s_delay_alu instid0(VALU_DEP_1) | instskip(NEXT) | instid1(VALU_DEP_1)
	v_div_fixup_f64 v[6:7], v[6:7], v[4:5], v[2:3]
	v_fmac_f64_e32 v[4:5], v[2:3], v[6:7]
	s_delay_alu instid0(VALU_DEP_1) | instskip(SKIP_1) | instid1(VALU_DEP_2)
	v_div_scale_f64 v[2:3], null, v[4:5], v[4:5], 1.0
	v_div_scale_f64 v[12:13], vcc_lo, 1.0, v[4:5], 1.0
	v_rcp_f64_e32 v[8:9], v[2:3]
	v_nop
	s_delay_alu instid0(TRANS32_DEP_1) | instskip(NEXT) | instid1(VALU_DEP_1)
	v_fma_f64 v[10:11], -v[2:3], v[8:9], 1.0
	v_fmac_f64_e32 v[8:9], v[8:9], v[10:11]
	s_delay_alu instid0(VALU_DEP_1) | instskip(NEXT) | instid1(VALU_DEP_1)
	v_fma_f64 v[10:11], -v[2:3], v[8:9], 1.0
	v_fmac_f64_e32 v[8:9], v[8:9], v[10:11]
	s_delay_alu instid0(VALU_DEP_1) | instskip(NEXT) | instid1(VALU_DEP_1)
	v_mul_f64_e32 v[10:11], v[12:13], v[8:9]
	v_fma_f64 v[2:3], -v[2:3], v[10:11], v[12:13]
	s_delay_alu instid0(VALU_DEP_1) | instskip(NEXT) | instid1(VALU_DEP_1)
	v_div_fmas_f64 v[2:3], v[2:3], v[8:9], v[10:11]
	v_div_fixup_f64 v[8:9], v[2:3], v[4:5], 1.0
                                        ; implicit-def: $vgpr2_vgpr3
	s_delay_alu instid0(VALU_DEP_1) | instskip(SKIP_1) | instid1(VALU_DEP_2)
	v_mul_f64_e32 v[6:7], v[6:7], v[8:9]
	v_xor_b32_e32 v9, 0x80000000, v9
	v_xor_b32_e32 v11, 0x80000000, v7
	s_delay_alu instid0(VALU_DEP_3)
	v_mov_b32_e32 v10, v6
.LBB59_15:
	s_and_not1_saveexec_b32 s3, s3
	s_cbranch_execz .LBB59_17
; %bb.16:
	v_div_scale_f64 v[6:7], null, v[2:3], v[2:3], v[4:5]
	v_div_scale_f64 v[12:13], vcc_lo, v[4:5], v[2:3], v[4:5]
	s_delay_alu instid0(VALU_DEP_2) | instskip(SKIP_1) | instid1(TRANS32_DEP_1)
	v_rcp_f64_e32 v[8:9], v[6:7]
	v_nop
	v_fma_f64 v[10:11], -v[6:7], v[8:9], 1.0
	s_delay_alu instid0(VALU_DEP_1) | instskip(NEXT) | instid1(VALU_DEP_1)
	v_fmac_f64_e32 v[8:9], v[8:9], v[10:11]
	v_fma_f64 v[10:11], -v[6:7], v[8:9], 1.0
	s_delay_alu instid0(VALU_DEP_1) | instskip(NEXT) | instid1(VALU_DEP_1)
	v_fmac_f64_e32 v[8:9], v[8:9], v[10:11]
	v_mul_f64_e32 v[10:11], v[12:13], v[8:9]
	s_delay_alu instid0(VALU_DEP_1) | instskip(NEXT) | instid1(VALU_DEP_1)
	v_fma_f64 v[6:7], -v[6:7], v[10:11], v[12:13]
	v_div_fmas_f64 v[6:7], v[6:7], v[8:9], v[10:11]
	s_delay_alu instid0(VALU_DEP_1) | instskip(NEXT) | instid1(VALU_DEP_1)
	v_div_fixup_f64 v[8:9], v[6:7], v[2:3], v[4:5]
	v_fmac_f64_e32 v[2:3], v[4:5], v[8:9]
	s_delay_alu instid0(VALU_DEP_1) | instskip(NEXT) | instid1(VALU_DEP_1)
	v_div_scale_f64 v[4:5], null, v[2:3], v[2:3], 1.0
	v_rcp_f64_e32 v[6:7], v[4:5]
	v_nop
	s_delay_alu instid0(TRANS32_DEP_1) | instskip(NEXT) | instid1(VALU_DEP_1)
	v_fma_f64 v[10:11], -v[4:5], v[6:7], 1.0
	v_fmac_f64_e32 v[6:7], v[6:7], v[10:11]
	s_delay_alu instid0(VALU_DEP_1) | instskip(NEXT) | instid1(VALU_DEP_1)
	v_fma_f64 v[10:11], -v[4:5], v[6:7], 1.0
	v_fmac_f64_e32 v[6:7], v[6:7], v[10:11]
	v_div_scale_f64 v[10:11], vcc_lo, 1.0, v[2:3], 1.0
	s_delay_alu instid0(VALU_DEP_1) | instskip(NEXT) | instid1(VALU_DEP_1)
	v_mul_f64_e32 v[12:13], v[10:11], v[6:7]
	v_fma_f64 v[4:5], -v[4:5], v[12:13], v[10:11]
	s_delay_alu instid0(VALU_DEP_1) | instskip(NEXT) | instid1(VALU_DEP_1)
	v_div_fmas_f64 v[4:5], v[4:5], v[6:7], v[12:13]
	v_div_fixup_f64 v[6:7], v[4:5], v[2:3], 1.0
	s_delay_alu instid0(VALU_DEP_1)
	v_mul_f64_e64 v[8:9], v[8:9], -v[6:7]
	v_xor_b32_e32 v11, 0x80000000, v7
	v_mov_b32_e32 v10, v6
.LBB59_17:
	s_or_b32 exec_lo, exec_lo, s3
	s_clause 0x1
	scratch_store_b128 v19, v[6:9], off
	scratch_load_b128 v[2:5], off, s52
	v_xor_b32_e32 v13, 0x80000000, v9
	v_mov_b32_e32 v12, v8
	s_wait_xcnt 0x1
	v_add_nc_u32_e32 v6, 0x3c0, v134
	ds_store_b128 v134, v[10:13]
	s_wait_loadcnt 0x0
	ds_store_b128 v134, v[2:5] offset:960
	s_wait_storecnt_dscnt 0x0
	s_barrier_signal -1
	s_barrier_wait -1
	s_wait_xcnt 0x0
	s_and_saveexec_b32 s3, s2
	s_cbranch_execz .LBB59_19
; %bb.18:
	scratch_load_b128 v[2:5], v19, off
	ds_load_b128 v[8:11], v6
	v_mov_b32_e32 v7, 0
	ds_load_b128 v[136:139], v7 offset:16
	s_wait_loadcnt_dscnt 0x1
	v_mul_f64_e32 v[12:13], v[8:9], v[4:5]
	v_mul_f64_e32 v[4:5], v[10:11], v[4:5]
	s_delay_alu instid0(VALU_DEP_2) | instskip(NEXT) | instid1(VALU_DEP_2)
	v_fmac_f64_e32 v[12:13], v[10:11], v[2:3]
	v_fma_f64 v[2:3], v[8:9], v[2:3], -v[4:5]
	s_delay_alu instid0(VALU_DEP_2) | instskip(NEXT) | instid1(VALU_DEP_2)
	v_add_f64_e32 v[8:9], 0, v[12:13]
	v_add_f64_e32 v[2:3], 0, v[2:3]
	s_wait_dscnt 0x0
	s_delay_alu instid0(VALU_DEP_2) | instskip(NEXT) | instid1(VALU_DEP_2)
	v_mul_f64_e32 v[10:11], v[8:9], v[138:139]
	v_mul_f64_e32 v[4:5], v[2:3], v[138:139]
	s_delay_alu instid0(VALU_DEP_2) | instskip(NEXT) | instid1(VALU_DEP_2)
	v_fma_f64 v[2:3], v[2:3], v[136:137], -v[10:11]
	v_fmac_f64_e32 v[4:5], v[8:9], v[136:137]
	scratch_store_b128 off, v[2:5], off offset:16
.LBB59_19:
	s_wait_xcnt 0x0
	s_or_b32 exec_lo, exec_lo, s3
	s_wait_storecnt 0x0
	s_barrier_signal -1
	s_barrier_wait -1
	scratch_load_b128 v[2:5], off, s51
	s_mov_b32 s3, exec_lo
	s_wait_loadcnt 0x0
	ds_store_b128 v6, v[2:5]
	s_wait_dscnt 0x0
	s_barrier_signal -1
	s_barrier_wait -1
	v_cmpx_gt_u32_e32 2, v1
	s_cbranch_execz .LBB59_23
; %bb.20:
	scratch_load_b128 v[2:5], v19, off
	ds_load_b128 v[8:11], v6
	s_wait_loadcnt_dscnt 0x0
	v_mul_f64_e32 v[12:13], v[10:11], v[4:5]
	v_mul_f64_e32 v[136:137], v[8:9], v[4:5]
	s_delay_alu instid0(VALU_DEP_2) | instskip(NEXT) | instid1(VALU_DEP_2)
	v_fma_f64 v[4:5], v[8:9], v[2:3], -v[12:13]
	v_fmac_f64_e32 v[136:137], v[10:11], v[2:3]
	s_delay_alu instid0(VALU_DEP_2) | instskip(NEXT) | instid1(VALU_DEP_2)
	v_add_f64_e32 v[4:5], 0, v[4:5]
	v_add_f64_e32 v[2:3], 0, v[136:137]
	s_and_saveexec_b32 s73, s2
	s_cbranch_execz .LBB59_22
; %bb.21:
	scratch_load_b128 v[8:11], off, off offset:16
	v_mov_b32_e32 v7, 0
	ds_load_b128 v[136:139], v7 offset:976
	s_wait_loadcnt_dscnt 0x0
	v_mul_f64_e32 v[12:13], v[136:137], v[10:11]
	v_mul_f64_e32 v[10:11], v[138:139], v[10:11]
	s_delay_alu instid0(VALU_DEP_2) | instskip(NEXT) | instid1(VALU_DEP_2)
	v_fmac_f64_e32 v[12:13], v[138:139], v[8:9]
	v_fma_f64 v[8:9], v[136:137], v[8:9], -v[10:11]
	s_delay_alu instid0(VALU_DEP_2) | instskip(NEXT) | instid1(VALU_DEP_2)
	v_add_f64_e32 v[2:3], v[2:3], v[12:13]
	v_add_f64_e32 v[4:5], v[4:5], v[8:9]
.LBB59_22:
	s_or_b32 exec_lo, exec_lo, s73
	v_mov_b32_e32 v7, 0
	ds_load_b128 v[8:11], v7 offset:32
	s_wait_dscnt 0x0
	v_mul_f64_e32 v[136:137], v[2:3], v[10:11]
	v_mul_f64_e32 v[12:13], v[4:5], v[10:11]
	s_delay_alu instid0(VALU_DEP_2) | instskip(NEXT) | instid1(VALU_DEP_2)
	v_fma_f64 v[10:11], v[4:5], v[8:9], -v[136:137]
	v_fmac_f64_e32 v[12:13], v[2:3], v[8:9]
	scratch_store_b128 off, v[10:13], off offset:32
.LBB59_23:
	s_wait_xcnt 0x0
	s_or_b32 exec_lo, exec_lo, s3
	s_wait_storecnt 0x0
	s_barrier_signal -1
	s_barrier_wait -1
	scratch_load_b128 v[2:5], off, s50
	v_add_nc_u32_e32 v7, -1, v1
	s_mov_b32 s2, exec_lo
	s_wait_loadcnt 0x0
	ds_store_b128 v6, v[2:5]
	s_wait_dscnt 0x0
	s_barrier_signal -1
	s_barrier_wait -1
	v_cmpx_gt_u32_e32 3, v1
	s_cbranch_execz .LBB59_27
; %bb.24:
	v_dual_mov_b32 v10, v134 :: v_dual_add_nc_u32 v8, -1, v1
	v_mov_b64_e32 v[2:3], 0
	v_mov_b64_e32 v[4:5], 0
	v_add_nc_u32_e32 v9, 0x3c0, v134
	s_delay_alu instid0(VALU_DEP_4)
	v_or_b32_e32 v10, 8, v10
	s_mov_b32 s3, 0
.LBB59_25:                              ; =>This Inner Loop Header: Depth=1
	scratch_load_b128 v[136:139], v10, off offset:-8
	ds_load_b128 v[140:143], v9
	v_dual_add_nc_u32 v8, 1, v8 :: v_dual_add_nc_u32 v9, 16, v9
	s_wait_xcnt 0x0
	v_add_nc_u32_e32 v10, 16, v10
	s_delay_alu instid0(VALU_DEP_2) | instskip(SKIP_4) | instid1(VALU_DEP_2)
	v_cmp_lt_u32_e32 vcc_lo, 1, v8
	s_or_b32 s3, vcc_lo, s3
	s_wait_loadcnt_dscnt 0x0
	v_mul_f64_e32 v[12:13], v[142:143], v[138:139]
	v_mul_f64_e32 v[138:139], v[140:141], v[138:139]
	v_fma_f64 v[12:13], v[140:141], v[136:137], -v[12:13]
	s_delay_alu instid0(VALU_DEP_2) | instskip(NEXT) | instid1(VALU_DEP_2)
	v_fmac_f64_e32 v[138:139], v[142:143], v[136:137]
	v_add_f64_e32 v[4:5], v[4:5], v[12:13]
	s_delay_alu instid0(VALU_DEP_2)
	v_add_f64_e32 v[2:3], v[2:3], v[138:139]
	s_and_not1_b32 exec_lo, exec_lo, s3
	s_cbranch_execnz .LBB59_25
; %bb.26:
	s_or_b32 exec_lo, exec_lo, s3
	v_mov_b32_e32 v8, 0
	ds_load_b128 v[8:11], v8 offset:48
	s_wait_dscnt 0x0
	v_mul_f64_e32 v[136:137], v[2:3], v[10:11]
	v_mul_f64_e32 v[12:13], v[4:5], v[10:11]
	s_delay_alu instid0(VALU_DEP_2) | instskip(NEXT) | instid1(VALU_DEP_2)
	v_fma_f64 v[10:11], v[4:5], v[8:9], -v[136:137]
	v_fmac_f64_e32 v[12:13], v[2:3], v[8:9]
	scratch_store_b128 off, v[10:13], off offset:48
.LBB59_27:
	s_wait_xcnt 0x0
	s_or_b32 exec_lo, exec_lo, s2
	s_wait_storecnt 0x0
	s_barrier_signal -1
	s_barrier_wait -1
	scratch_load_b128 v[2:5], off, s49
	s_mov_b32 s2, exec_lo
	s_wait_loadcnt 0x0
	ds_store_b128 v6, v[2:5]
	s_wait_dscnt 0x0
	s_barrier_signal -1
	s_barrier_wait -1
	v_cmpx_gt_u32_e32 4, v1
	s_cbranch_execz .LBB59_31
; %bb.28:
	v_dual_mov_b32 v10, v134 :: v_dual_add_nc_u32 v8, -1, v1
	v_mov_b64_e32 v[2:3], 0
	v_mov_b64_e32 v[4:5], 0
	v_add_nc_u32_e32 v9, 0x3c0, v134
	s_delay_alu instid0(VALU_DEP_4)
	v_or_b32_e32 v10, 8, v10
	s_mov_b32 s3, 0
.LBB59_29:                              ; =>This Inner Loop Header: Depth=1
	scratch_load_b128 v[136:139], v10, off offset:-8
	ds_load_b128 v[140:143], v9
	v_dual_add_nc_u32 v8, 1, v8 :: v_dual_add_nc_u32 v9, 16, v9
	s_wait_xcnt 0x0
	v_add_nc_u32_e32 v10, 16, v10
	s_delay_alu instid0(VALU_DEP_2) | instskip(SKIP_4) | instid1(VALU_DEP_2)
	v_cmp_lt_u32_e32 vcc_lo, 2, v8
	s_or_b32 s3, vcc_lo, s3
	s_wait_loadcnt_dscnt 0x0
	v_mul_f64_e32 v[12:13], v[142:143], v[138:139]
	v_mul_f64_e32 v[138:139], v[140:141], v[138:139]
	v_fma_f64 v[12:13], v[140:141], v[136:137], -v[12:13]
	s_delay_alu instid0(VALU_DEP_2) | instskip(NEXT) | instid1(VALU_DEP_2)
	v_fmac_f64_e32 v[138:139], v[142:143], v[136:137]
	v_add_f64_e32 v[4:5], v[4:5], v[12:13]
	s_delay_alu instid0(VALU_DEP_2)
	v_add_f64_e32 v[2:3], v[2:3], v[138:139]
	s_and_not1_b32 exec_lo, exec_lo, s3
	s_cbranch_execnz .LBB59_29
; %bb.30:
	s_or_b32 exec_lo, exec_lo, s3
	v_mov_b32_e32 v8, 0
	ds_load_b128 v[8:11], v8 offset:64
	s_wait_dscnt 0x0
	v_mul_f64_e32 v[136:137], v[2:3], v[10:11]
	v_mul_f64_e32 v[12:13], v[4:5], v[10:11]
	s_delay_alu instid0(VALU_DEP_2) | instskip(NEXT) | instid1(VALU_DEP_2)
	v_fma_f64 v[10:11], v[4:5], v[8:9], -v[136:137]
	v_fmac_f64_e32 v[12:13], v[2:3], v[8:9]
	scratch_store_b128 off, v[10:13], off offset:64
.LBB59_31:
	s_wait_xcnt 0x0
	s_or_b32 exec_lo, exec_lo, s2
	s_wait_storecnt 0x0
	s_barrier_signal -1
	s_barrier_wait -1
	scratch_load_b128 v[2:5], off, s71
	;; [unrolled: 54-line block ×19, first 2 shown]
	s_mov_b32 s2, exec_lo
	s_wait_loadcnt 0x0
	ds_store_b128 v6, v[2:5]
	s_wait_dscnt 0x0
	s_barrier_signal -1
	s_barrier_wait -1
	v_cmpx_gt_u32_e32 22, v1
	s_cbranch_execz .LBB59_103
; %bb.100:
	v_dual_mov_b32 v10, v134 :: v_dual_add_nc_u32 v8, -1, v1
	v_mov_b64_e32 v[2:3], 0
	v_mov_b64_e32 v[4:5], 0
	v_add_nc_u32_e32 v9, 0x3c0, v134
	s_delay_alu instid0(VALU_DEP_4)
	v_or_b32_e32 v10, 8, v10
	s_mov_b32 s3, 0
.LBB59_101:                             ; =>This Inner Loop Header: Depth=1
	scratch_load_b128 v[136:139], v10, off offset:-8
	ds_load_b128 v[140:143], v9
	v_dual_add_nc_u32 v8, 1, v8 :: v_dual_add_nc_u32 v9, 16, v9
	s_wait_xcnt 0x0
	v_add_nc_u32_e32 v10, 16, v10
	s_delay_alu instid0(VALU_DEP_2) | instskip(SKIP_4) | instid1(VALU_DEP_2)
	v_cmp_lt_u32_e32 vcc_lo, 20, v8
	s_or_b32 s3, vcc_lo, s3
	s_wait_loadcnt_dscnt 0x0
	v_mul_f64_e32 v[12:13], v[142:143], v[138:139]
	v_mul_f64_e32 v[138:139], v[140:141], v[138:139]
	v_fma_f64 v[12:13], v[140:141], v[136:137], -v[12:13]
	s_delay_alu instid0(VALU_DEP_2) | instskip(NEXT) | instid1(VALU_DEP_2)
	v_fmac_f64_e32 v[138:139], v[142:143], v[136:137]
	v_add_f64_e32 v[4:5], v[4:5], v[12:13]
	s_delay_alu instid0(VALU_DEP_2)
	v_add_f64_e32 v[2:3], v[2:3], v[138:139]
	s_and_not1_b32 exec_lo, exec_lo, s3
	s_cbranch_execnz .LBB59_101
; %bb.102:
	s_or_b32 exec_lo, exec_lo, s3
	v_mov_b32_e32 v8, 0
	ds_load_b128 v[8:11], v8 offset:352
	s_wait_dscnt 0x0
	v_mul_f64_e32 v[136:137], v[2:3], v[10:11]
	v_mul_f64_e32 v[12:13], v[4:5], v[10:11]
	s_delay_alu instid0(VALU_DEP_2) | instskip(NEXT) | instid1(VALU_DEP_2)
	v_fma_f64 v[10:11], v[4:5], v[8:9], -v[136:137]
	v_fmac_f64_e32 v[12:13], v[2:3], v[8:9]
	scratch_store_b128 off, v[10:13], off offset:352
.LBB59_103:
	s_wait_xcnt 0x0
	s_or_b32 exec_lo, exec_lo, s2
	s_wait_storecnt 0x0
	s_barrier_signal -1
	s_barrier_wait -1
	scratch_load_b128 v[2:5], off, s65
	s_mov_b32 s2, exec_lo
	s_wait_loadcnt 0x0
	ds_store_b128 v6, v[2:5]
	s_wait_dscnt 0x0
	s_barrier_signal -1
	s_barrier_wait -1
	v_cmpx_gt_u32_e32 23, v1
	s_cbranch_execz .LBB59_107
; %bb.104:
	v_dual_mov_b32 v10, v134 :: v_dual_add_nc_u32 v8, -1, v1
	v_mov_b64_e32 v[2:3], 0
	v_mov_b64_e32 v[4:5], 0
	v_add_nc_u32_e32 v9, 0x3c0, v134
	s_delay_alu instid0(VALU_DEP_4)
	v_or_b32_e32 v10, 8, v10
	s_mov_b32 s3, 0
.LBB59_105:                             ; =>This Inner Loop Header: Depth=1
	scratch_load_b128 v[136:139], v10, off offset:-8
	ds_load_b128 v[140:143], v9
	v_dual_add_nc_u32 v8, 1, v8 :: v_dual_add_nc_u32 v9, 16, v9
	s_wait_xcnt 0x0
	v_add_nc_u32_e32 v10, 16, v10
	s_delay_alu instid0(VALU_DEP_2) | instskip(SKIP_4) | instid1(VALU_DEP_2)
	v_cmp_lt_u32_e32 vcc_lo, 21, v8
	s_or_b32 s3, vcc_lo, s3
	s_wait_loadcnt_dscnt 0x0
	v_mul_f64_e32 v[12:13], v[142:143], v[138:139]
	v_mul_f64_e32 v[138:139], v[140:141], v[138:139]
	v_fma_f64 v[12:13], v[140:141], v[136:137], -v[12:13]
	s_delay_alu instid0(VALU_DEP_2) | instskip(NEXT) | instid1(VALU_DEP_2)
	v_fmac_f64_e32 v[138:139], v[142:143], v[136:137]
	v_add_f64_e32 v[4:5], v[4:5], v[12:13]
	s_delay_alu instid0(VALU_DEP_2)
	v_add_f64_e32 v[2:3], v[2:3], v[138:139]
	s_and_not1_b32 exec_lo, exec_lo, s3
	s_cbranch_execnz .LBB59_105
; %bb.106:
	s_or_b32 exec_lo, exec_lo, s3
	v_mov_b32_e32 v8, 0
	ds_load_b128 v[8:11], v8 offset:368
	s_wait_dscnt 0x0
	v_mul_f64_e32 v[136:137], v[2:3], v[10:11]
	v_mul_f64_e32 v[12:13], v[4:5], v[10:11]
	s_delay_alu instid0(VALU_DEP_2) | instskip(NEXT) | instid1(VALU_DEP_2)
	v_fma_f64 v[10:11], v[4:5], v[8:9], -v[136:137]
	v_fmac_f64_e32 v[12:13], v[2:3], v[8:9]
	scratch_store_b128 off, v[10:13], off offset:368
.LBB59_107:
	s_wait_xcnt 0x0
	s_or_b32 exec_lo, exec_lo, s2
	s_wait_storecnt 0x0
	s_barrier_signal -1
	s_barrier_wait -1
	scratch_load_b128 v[2:5], off, s42
	;; [unrolled: 54-line block ×37, first 2 shown]
	s_mov_b32 s2, exec_lo
	s_wait_loadcnt 0x0
	ds_store_b128 v6, v[2:5]
	s_wait_dscnt 0x0
	s_barrier_signal -1
	s_barrier_wait -1
	v_cmpx_ne_u32_e32 59, v1
	s_cbranch_execz .LBB59_251
; %bb.248:
	v_mov_b32_e32 v8, v134
	v_mov_b64_e32 v[2:3], 0
	v_mov_b64_e32 v[4:5], 0
	s_mov_b32 s3, 0
	s_delay_alu instid0(VALU_DEP_3)
	v_or_b32_e32 v8, 8, v8
.LBB59_249:                             ; =>This Inner Loop Header: Depth=1
	scratch_load_b128 v[10:13], v8, off offset:-8
	ds_load_b128 v[134:137], v6
	v_dual_add_nc_u32 v7, 1, v7 :: v_dual_add_nc_u32 v6, 16, v6
	s_wait_xcnt 0x0
	v_add_nc_u32_e32 v8, 16, v8
	s_delay_alu instid0(VALU_DEP_2) | instskip(SKIP_4) | instid1(VALU_DEP_2)
	v_cmp_lt_u32_e32 vcc_lo, 57, v7
	s_or_b32 s3, vcc_lo, s3
	s_wait_loadcnt_dscnt 0x0
	v_mul_f64_e32 v[138:139], v[136:137], v[12:13]
	v_mul_f64_e32 v[12:13], v[134:135], v[12:13]
	v_fma_f64 v[134:135], v[134:135], v[10:11], -v[138:139]
	s_delay_alu instid0(VALU_DEP_2) | instskip(NEXT) | instid1(VALU_DEP_2)
	v_fmac_f64_e32 v[12:13], v[136:137], v[10:11]
	v_add_f64_e32 v[4:5], v[4:5], v[134:135]
	s_delay_alu instid0(VALU_DEP_2)
	v_add_f64_e32 v[2:3], v[2:3], v[12:13]
	s_and_not1_b32 exec_lo, exec_lo, s3
	s_cbranch_execnz .LBB59_249
; %bb.250:
	s_or_b32 exec_lo, exec_lo, s3
	v_mov_b32_e32 v6, 0
	ds_load_b128 v[6:9], v6 offset:944
	s_wait_dscnt 0x0
	v_mul_f64_e32 v[12:13], v[2:3], v[8:9]
	v_mul_f64_e32 v[10:11], v[4:5], v[8:9]
	s_delay_alu instid0(VALU_DEP_2) | instskip(NEXT) | instid1(VALU_DEP_2)
	v_fma_f64 v[8:9], v[4:5], v[6:7], -v[12:13]
	v_fmac_f64_e32 v[10:11], v[2:3], v[6:7]
	scratch_store_b128 off, v[8:11], off offset:944
.LBB59_251:
	s_wait_xcnt 0x0
	s_or_b32 exec_lo, exec_lo, s2
	s_mov_b32 s3, -1
	s_wait_storecnt 0x0
	s_barrier_signal -1
	s_barrier_wait -1
.LBB59_252:
	s_and_b32 vcc_lo, exec_lo, s3
	s_cbranch_vccz .LBB59_254
; %bb.253:
	s_wait_xcnt 0x17
	v_mov_b32_e32 v2, 0
	s_lshl_b64 s[2:3], s[18:19], 2
	s_delay_alu instid0(SALU_CYCLE_1)
	s_add_nc_u64 s[2:3], s[6:7], s[2:3]
	global_load_b32 v2, v2, s[2:3]
	s_wait_loadcnt 0x0
	v_cmp_ne_u32_e32 vcc_lo, 0, v2
	s_cbranch_vccz .LBB59_255
.LBB59_254:
	s_sendmsg sendmsg(MSG_DEALLOC_VGPRS)
	s_endpgm
.LBB59_255:
	s_wait_xcnt 0x16
	v_lshl_add_u32 v8, v1, 4, 0x3c0
	s_wait_xcnt 0x0
	s_mov_b32 s2, exec_lo
	v_cmpx_eq_u32_e32 59, v1
	s_cbranch_execz .LBB59_257
; %bb.256:
	scratch_load_b128 v[2:5], off, s27
	v_mov_b32_e32 v10, 0
	s_delay_alu instid0(VALU_DEP_1)
	v_dual_mov_b32 v11, v10 :: v_dual_mov_b32 v12, v10
	v_mov_b32_e32 v13, v10
	scratch_store_b128 off, v[10:13], off offset:928
	s_wait_loadcnt 0x0
	ds_store_b128 v8, v[2:5]
.LBB59_257:
	s_wait_xcnt 0x0
	s_or_b32 exec_lo, exec_lo, s2
	s_wait_storecnt_dscnt 0x0
	s_barrier_signal -1
	s_barrier_wait -1
	s_clause 0x1
	scratch_load_b128 v[4:7], off, off offset:944
	scratch_load_b128 v[10:13], off, off offset:928
	v_mov_b32_e32 v2, 0
	s_mov_b32 s2, exec_lo
	ds_load_b128 v[134:137], v2 offset:1904
	s_wait_loadcnt_dscnt 0x100
	v_mul_f64_e32 v[138:139], v[136:137], v[6:7]
	v_mul_f64_e32 v[6:7], v[134:135], v[6:7]
	s_delay_alu instid0(VALU_DEP_2) | instskip(NEXT) | instid1(VALU_DEP_2)
	v_fma_f64 v[134:135], v[134:135], v[4:5], -v[138:139]
	v_fmac_f64_e32 v[6:7], v[136:137], v[4:5]
	s_delay_alu instid0(VALU_DEP_2) | instskip(NEXT) | instid1(VALU_DEP_2)
	v_add_f64_e32 v[4:5], 0, v[134:135]
	v_add_f64_e32 v[6:7], 0, v[6:7]
	s_wait_loadcnt 0x0
	s_delay_alu instid0(VALU_DEP_2) | instskip(NEXT) | instid1(VALU_DEP_2)
	v_add_f64_e64 v[4:5], v[10:11], -v[4:5]
	v_add_f64_e64 v[6:7], v[12:13], -v[6:7]
	scratch_store_b128 off, v[4:7], off offset:928
	s_wait_xcnt 0x0
	v_cmpx_lt_u32_e32 57, v1
	s_cbranch_execz .LBB59_259
; %bb.258:
	scratch_load_b128 v[10:13], off, s24
	v_dual_mov_b32 v3, v2 :: v_dual_mov_b32 v4, v2
	v_mov_b32_e32 v5, v2
	scratch_store_b128 off, v[2:5], off offset:912
	s_wait_loadcnt 0x0
	ds_store_b128 v8, v[10:13]
.LBB59_259:
	s_wait_xcnt 0x0
	s_or_b32 exec_lo, exec_lo, s2
	s_wait_storecnt_dscnt 0x0
	s_barrier_signal -1
	s_barrier_wait -1
	s_clause 0x2
	scratch_load_b128 v[4:7], off, off offset:928
	scratch_load_b128 v[10:13], off, off offset:944
	;; [unrolled: 1-line block ×3, first 2 shown]
	ds_load_b128 v[138:141], v2 offset:1888
	ds_load_b128 v[142:145], v2 offset:1904
	s_mov_b32 s2, exec_lo
	s_wait_loadcnt_dscnt 0x201
	v_mul_f64_e32 v[2:3], v[140:141], v[6:7]
	v_mul_f64_e32 v[6:7], v[138:139], v[6:7]
	s_wait_loadcnt_dscnt 0x100
	v_mul_f64_e32 v[146:147], v[142:143], v[12:13]
	v_mul_f64_e32 v[12:13], v[144:145], v[12:13]
	s_delay_alu instid0(VALU_DEP_4) | instskip(NEXT) | instid1(VALU_DEP_4)
	v_fma_f64 v[2:3], v[138:139], v[4:5], -v[2:3]
	v_fmac_f64_e32 v[6:7], v[140:141], v[4:5]
	s_delay_alu instid0(VALU_DEP_4) | instskip(NEXT) | instid1(VALU_DEP_4)
	v_fmac_f64_e32 v[146:147], v[144:145], v[10:11]
	v_fma_f64 v[4:5], v[142:143], v[10:11], -v[12:13]
	s_delay_alu instid0(VALU_DEP_4) | instskip(NEXT) | instid1(VALU_DEP_4)
	v_add_f64_e32 v[2:3], 0, v[2:3]
	v_add_f64_e32 v[6:7], 0, v[6:7]
	s_delay_alu instid0(VALU_DEP_2) | instskip(NEXT) | instid1(VALU_DEP_2)
	v_add_f64_e32 v[2:3], v[2:3], v[4:5]
	v_add_f64_e32 v[4:5], v[6:7], v[146:147]
	s_wait_loadcnt 0x0
	s_delay_alu instid0(VALU_DEP_2) | instskip(NEXT) | instid1(VALU_DEP_2)
	v_add_f64_e64 v[2:3], v[134:135], -v[2:3]
	v_add_f64_e64 v[4:5], v[136:137], -v[4:5]
	scratch_store_b128 off, v[2:5], off offset:912
	s_wait_xcnt 0x0
	v_cmpx_lt_u32_e32 56, v1
	s_cbranch_execz .LBB59_261
; %bb.260:
	scratch_load_b128 v[2:5], off, s31
	v_mov_b32_e32 v10, 0
	s_delay_alu instid0(VALU_DEP_1)
	v_dual_mov_b32 v11, v10 :: v_dual_mov_b32 v12, v10
	v_mov_b32_e32 v13, v10
	scratch_store_b128 off, v[10:13], off offset:896
	s_wait_loadcnt 0x0
	ds_store_b128 v8, v[2:5]
.LBB59_261:
	s_wait_xcnt 0x0
	s_or_b32 exec_lo, exec_lo, s2
	s_wait_storecnt_dscnt 0x0
	s_barrier_signal -1
	s_barrier_wait -1
	s_clause 0x3
	scratch_load_b128 v[4:7], off, off offset:912
	scratch_load_b128 v[10:13], off, off offset:928
	;; [unrolled: 1-line block ×4, first 2 shown]
	v_mov_b32_e32 v2, 0
	ds_load_b128 v[142:145], v2 offset:1872
	ds_load_b128 v[146:149], v2 offset:1888
	s_mov_b32 s2, exec_lo
	s_wait_loadcnt_dscnt 0x301
	v_mul_f64_e32 v[150:151], v[144:145], v[6:7]
	v_mul_f64_e32 v[152:153], v[142:143], v[6:7]
	s_wait_loadcnt_dscnt 0x200
	v_mul_f64_e32 v[154:155], v[146:147], v[12:13]
	v_mul_f64_e32 v[12:13], v[148:149], v[12:13]
	s_delay_alu instid0(VALU_DEP_4) | instskip(NEXT) | instid1(VALU_DEP_4)
	v_fma_f64 v[142:143], v[142:143], v[4:5], -v[150:151]
	v_fmac_f64_e32 v[152:153], v[144:145], v[4:5]
	ds_load_b128 v[4:7], v2 offset:1904
	v_fmac_f64_e32 v[154:155], v[148:149], v[10:11]
	v_fma_f64 v[10:11], v[146:147], v[10:11], -v[12:13]
	s_wait_loadcnt_dscnt 0x100
	v_mul_f64_e32 v[144:145], v[4:5], v[136:137]
	v_mul_f64_e32 v[136:137], v[6:7], v[136:137]
	v_add_f64_e32 v[12:13], 0, v[142:143]
	v_add_f64_e32 v[142:143], 0, v[152:153]
	s_delay_alu instid0(VALU_DEP_4) | instskip(NEXT) | instid1(VALU_DEP_4)
	v_fmac_f64_e32 v[144:145], v[6:7], v[134:135]
	v_fma_f64 v[4:5], v[4:5], v[134:135], -v[136:137]
	s_delay_alu instid0(VALU_DEP_4) | instskip(NEXT) | instid1(VALU_DEP_4)
	v_add_f64_e32 v[6:7], v[12:13], v[10:11]
	v_add_f64_e32 v[10:11], v[142:143], v[154:155]
	s_delay_alu instid0(VALU_DEP_2) | instskip(NEXT) | instid1(VALU_DEP_2)
	v_add_f64_e32 v[4:5], v[6:7], v[4:5]
	v_add_f64_e32 v[6:7], v[10:11], v[144:145]
	s_wait_loadcnt 0x0
	s_delay_alu instid0(VALU_DEP_2) | instskip(NEXT) | instid1(VALU_DEP_2)
	v_add_f64_e64 v[4:5], v[138:139], -v[4:5]
	v_add_f64_e64 v[6:7], v[140:141], -v[6:7]
	scratch_store_b128 off, v[4:7], off offset:896
	s_wait_xcnt 0x0
	v_cmpx_lt_u32_e32 55, v1
	s_cbranch_execz .LBB59_263
; %bb.262:
	scratch_load_b128 v[10:13], off, s29
	v_dual_mov_b32 v3, v2 :: v_dual_mov_b32 v4, v2
	v_mov_b32_e32 v5, v2
	scratch_store_b128 off, v[2:5], off offset:880
	s_wait_loadcnt 0x0
	ds_store_b128 v8, v[10:13]
.LBB59_263:
	s_wait_xcnt 0x0
	s_or_b32 exec_lo, exec_lo, s2
	s_wait_storecnt_dscnt 0x0
	s_barrier_signal -1
	s_barrier_wait -1
	s_clause 0x4
	scratch_load_b128 v[4:7], off, off offset:896
	scratch_load_b128 v[10:13], off, off offset:912
	;; [unrolled: 1-line block ×5, first 2 shown]
	ds_load_b128 v[146:149], v2 offset:1856
	ds_load_b128 v[150:153], v2 offset:1872
	s_mov_b32 s2, exec_lo
	s_wait_loadcnt_dscnt 0x401
	v_mul_f64_e32 v[154:155], v[148:149], v[6:7]
	v_mul_f64_e32 v[156:157], v[146:147], v[6:7]
	s_wait_loadcnt_dscnt 0x300
	v_mul_f64_e32 v[158:159], v[150:151], v[12:13]
	v_mul_f64_e32 v[12:13], v[152:153], v[12:13]
	s_delay_alu instid0(VALU_DEP_4) | instskip(NEXT) | instid1(VALU_DEP_4)
	v_fma_f64 v[154:155], v[146:147], v[4:5], -v[154:155]
	v_fmac_f64_e32 v[156:157], v[148:149], v[4:5]
	ds_load_b128 v[4:7], v2 offset:1888
	ds_load_b128 v[146:149], v2 offset:1904
	v_fmac_f64_e32 v[158:159], v[152:153], v[10:11]
	v_fma_f64 v[10:11], v[150:151], v[10:11], -v[12:13]
	s_wait_loadcnt_dscnt 0x201
	v_mul_f64_e32 v[2:3], v[4:5], v[136:137]
	v_mul_f64_e32 v[136:137], v[6:7], v[136:137]
	s_wait_loadcnt_dscnt 0x100
	v_mul_f64_e32 v[152:153], v[146:147], v[140:141]
	v_mul_f64_e32 v[140:141], v[148:149], v[140:141]
	v_add_f64_e32 v[12:13], 0, v[154:155]
	v_add_f64_e32 v[150:151], 0, v[156:157]
	v_fmac_f64_e32 v[2:3], v[6:7], v[134:135]
	v_fma_f64 v[4:5], v[4:5], v[134:135], -v[136:137]
	v_fmac_f64_e32 v[152:153], v[148:149], v[138:139]
	v_add_f64_e32 v[6:7], v[12:13], v[10:11]
	v_add_f64_e32 v[10:11], v[150:151], v[158:159]
	v_fma_f64 v[12:13], v[146:147], v[138:139], -v[140:141]
	s_delay_alu instid0(VALU_DEP_3) | instskip(NEXT) | instid1(VALU_DEP_3)
	v_add_f64_e32 v[4:5], v[6:7], v[4:5]
	v_add_f64_e32 v[2:3], v[10:11], v[2:3]
	s_delay_alu instid0(VALU_DEP_2) | instskip(NEXT) | instid1(VALU_DEP_2)
	v_add_f64_e32 v[4:5], v[4:5], v[12:13]
	v_add_f64_e32 v[6:7], v[2:3], v[152:153]
	s_wait_loadcnt 0x0
	s_delay_alu instid0(VALU_DEP_2) | instskip(NEXT) | instid1(VALU_DEP_2)
	v_add_f64_e64 v[2:3], v[142:143], -v[4:5]
	v_add_f64_e64 v[4:5], v[144:145], -v[6:7]
	scratch_store_b128 off, v[2:5], off offset:880
	s_wait_xcnt 0x0
	v_cmpx_lt_u32_e32 54, v1
	s_cbranch_execz .LBB59_265
; %bb.264:
	scratch_load_b128 v[2:5], off, s36
	v_mov_b32_e32 v10, 0
	s_delay_alu instid0(VALU_DEP_1)
	v_dual_mov_b32 v11, v10 :: v_dual_mov_b32 v12, v10
	v_mov_b32_e32 v13, v10
	scratch_store_b128 off, v[10:13], off offset:864
	s_wait_loadcnt 0x0
	ds_store_b128 v8, v[2:5]
.LBB59_265:
	s_wait_xcnt 0x0
	s_or_b32 exec_lo, exec_lo, s2
	s_wait_storecnt_dscnt 0x0
	s_barrier_signal -1
	s_barrier_wait -1
	s_clause 0x5
	scratch_load_b128 v[4:7], off, off offset:880
	scratch_load_b128 v[10:13], off, off offset:896
	;; [unrolled: 1-line block ×6, first 2 shown]
	v_mov_b32_e32 v2, 0
	ds_load_b128 v[150:153], v2 offset:1840
	ds_load_b128 v[154:157], v2 offset:1856
	s_mov_b32 s2, exec_lo
	s_wait_loadcnt_dscnt 0x501
	v_mul_f64_e32 v[158:159], v[152:153], v[6:7]
	v_mul_f64_e32 v[160:161], v[150:151], v[6:7]
	s_wait_loadcnt_dscnt 0x400
	v_mul_f64_e32 v[162:163], v[154:155], v[12:13]
	v_mul_f64_e32 v[12:13], v[156:157], v[12:13]
	s_delay_alu instid0(VALU_DEP_4) | instskip(NEXT) | instid1(VALU_DEP_4)
	v_fma_f64 v[158:159], v[150:151], v[4:5], -v[158:159]
	v_fmac_f64_e32 v[160:161], v[152:153], v[4:5]
	ds_load_b128 v[4:7], v2 offset:1872
	ds_load_b128 v[150:153], v2 offset:1888
	v_fmac_f64_e32 v[162:163], v[156:157], v[10:11]
	v_fma_f64 v[10:11], v[154:155], v[10:11], -v[12:13]
	s_wait_loadcnt_dscnt 0x301
	v_mul_f64_e32 v[164:165], v[4:5], v[136:137]
	v_mul_f64_e32 v[136:137], v[6:7], v[136:137]
	s_wait_loadcnt_dscnt 0x200
	v_mul_f64_e32 v[156:157], v[150:151], v[140:141]
	v_mul_f64_e32 v[140:141], v[152:153], v[140:141]
	v_add_f64_e32 v[12:13], 0, v[158:159]
	v_add_f64_e32 v[154:155], 0, v[160:161]
	v_fmac_f64_e32 v[164:165], v[6:7], v[134:135]
	v_fma_f64 v[134:135], v[4:5], v[134:135], -v[136:137]
	ds_load_b128 v[4:7], v2 offset:1904
	v_fmac_f64_e32 v[156:157], v[152:153], v[138:139]
	v_fma_f64 v[138:139], v[150:151], v[138:139], -v[140:141]
	v_add_f64_e32 v[10:11], v[12:13], v[10:11]
	v_add_f64_e32 v[12:13], v[154:155], v[162:163]
	s_wait_loadcnt_dscnt 0x100
	v_mul_f64_e32 v[136:137], v[4:5], v[144:145]
	v_mul_f64_e32 v[144:145], v[6:7], v[144:145]
	s_delay_alu instid0(VALU_DEP_4) | instskip(NEXT) | instid1(VALU_DEP_4)
	v_add_f64_e32 v[10:11], v[10:11], v[134:135]
	v_add_f64_e32 v[12:13], v[12:13], v[164:165]
	s_delay_alu instid0(VALU_DEP_4) | instskip(NEXT) | instid1(VALU_DEP_4)
	v_fmac_f64_e32 v[136:137], v[6:7], v[142:143]
	v_fma_f64 v[4:5], v[4:5], v[142:143], -v[144:145]
	s_delay_alu instid0(VALU_DEP_4) | instskip(NEXT) | instid1(VALU_DEP_4)
	v_add_f64_e32 v[6:7], v[10:11], v[138:139]
	v_add_f64_e32 v[10:11], v[12:13], v[156:157]
	s_delay_alu instid0(VALU_DEP_2) | instskip(NEXT) | instid1(VALU_DEP_2)
	v_add_f64_e32 v[4:5], v[6:7], v[4:5]
	v_add_f64_e32 v[6:7], v[10:11], v[136:137]
	s_wait_loadcnt 0x0
	s_delay_alu instid0(VALU_DEP_2) | instskip(NEXT) | instid1(VALU_DEP_2)
	v_add_f64_e64 v[4:5], v[146:147], -v[4:5]
	v_add_f64_e64 v[6:7], v[148:149], -v[6:7]
	scratch_store_b128 off, v[4:7], off offset:864
	s_wait_xcnt 0x0
	v_cmpx_lt_u32_e32 53, v1
	s_cbranch_execz .LBB59_267
; %bb.266:
	scratch_load_b128 v[10:13], off, s34
	v_dual_mov_b32 v3, v2 :: v_dual_mov_b32 v4, v2
	v_mov_b32_e32 v5, v2
	scratch_store_b128 off, v[2:5], off offset:848
	s_wait_loadcnt 0x0
	ds_store_b128 v8, v[10:13]
.LBB59_267:
	s_wait_xcnt 0x0
	s_or_b32 exec_lo, exec_lo, s2
	s_wait_storecnt_dscnt 0x0
	s_barrier_signal -1
	s_barrier_wait -1
	s_clause 0x6
	scratch_load_b128 v[4:7], off, off offset:864
	scratch_load_b128 v[10:13], off, off offset:880
	;; [unrolled: 1-line block ×7, first 2 shown]
	ds_load_b128 v[154:157], v2 offset:1824
	ds_load_b128 v[158:161], v2 offset:1840
	s_mov_b32 s2, exec_lo
	s_wait_loadcnt_dscnt 0x601
	v_mul_f64_e32 v[162:163], v[156:157], v[6:7]
	v_mul_f64_e32 v[164:165], v[154:155], v[6:7]
	s_wait_loadcnt_dscnt 0x500
	v_mul_f64_e32 v[166:167], v[158:159], v[12:13]
	v_mul_f64_e32 v[12:13], v[160:161], v[12:13]
	s_delay_alu instid0(VALU_DEP_4) | instskip(NEXT) | instid1(VALU_DEP_4)
	v_fma_f64 v[162:163], v[154:155], v[4:5], -v[162:163]
	v_fmac_f64_e32 v[164:165], v[156:157], v[4:5]
	ds_load_b128 v[4:7], v2 offset:1856
	ds_load_b128 v[154:157], v2 offset:1872
	v_fmac_f64_e32 v[166:167], v[160:161], v[10:11]
	v_fma_f64 v[10:11], v[158:159], v[10:11], -v[12:13]
	s_wait_loadcnt_dscnt 0x401
	v_mul_f64_e32 v[168:169], v[4:5], v[136:137]
	v_mul_f64_e32 v[136:137], v[6:7], v[136:137]
	s_wait_loadcnt_dscnt 0x300
	v_mul_f64_e32 v[160:161], v[154:155], v[140:141]
	v_mul_f64_e32 v[140:141], v[156:157], v[140:141]
	v_add_f64_e32 v[12:13], 0, v[162:163]
	v_add_f64_e32 v[158:159], 0, v[164:165]
	v_fmac_f64_e32 v[168:169], v[6:7], v[134:135]
	v_fma_f64 v[134:135], v[4:5], v[134:135], -v[136:137]
	v_fmac_f64_e32 v[160:161], v[156:157], v[138:139]
	v_fma_f64 v[138:139], v[154:155], v[138:139], -v[140:141]
	v_add_f64_e32 v[136:137], v[12:13], v[10:11]
	v_add_f64_e32 v[158:159], v[158:159], v[166:167]
	ds_load_b128 v[4:7], v2 offset:1888
	ds_load_b128 v[10:13], v2 offset:1904
	s_wait_loadcnt_dscnt 0x201
	v_mul_f64_e32 v[2:3], v[4:5], v[144:145]
	v_mul_f64_e32 v[144:145], v[6:7], v[144:145]
	s_wait_loadcnt_dscnt 0x100
	v_mul_f64_e32 v[140:141], v[10:11], v[148:149]
	v_mul_f64_e32 v[148:149], v[12:13], v[148:149]
	v_add_f64_e32 v[134:135], v[136:137], v[134:135]
	v_add_f64_e32 v[136:137], v[158:159], v[168:169]
	v_fmac_f64_e32 v[2:3], v[6:7], v[142:143]
	v_fma_f64 v[4:5], v[4:5], v[142:143], -v[144:145]
	v_fmac_f64_e32 v[140:141], v[12:13], v[146:147]
	v_fma_f64 v[10:11], v[10:11], v[146:147], -v[148:149]
	v_add_f64_e32 v[6:7], v[134:135], v[138:139]
	v_add_f64_e32 v[134:135], v[136:137], v[160:161]
	s_delay_alu instid0(VALU_DEP_2) | instskip(NEXT) | instid1(VALU_DEP_2)
	v_add_f64_e32 v[4:5], v[6:7], v[4:5]
	v_add_f64_e32 v[2:3], v[134:135], v[2:3]
	s_delay_alu instid0(VALU_DEP_2) | instskip(NEXT) | instid1(VALU_DEP_2)
	v_add_f64_e32 v[4:5], v[4:5], v[10:11]
	v_add_f64_e32 v[6:7], v[2:3], v[140:141]
	s_wait_loadcnt 0x0
	s_delay_alu instid0(VALU_DEP_2) | instskip(NEXT) | instid1(VALU_DEP_2)
	v_add_f64_e64 v[2:3], v[150:151], -v[4:5]
	v_add_f64_e64 v[4:5], v[152:153], -v[6:7]
	scratch_store_b128 off, v[2:5], off offset:848
	s_wait_xcnt 0x0
	v_cmpx_lt_u32_e32 52, v1
	s_cbranch_execz .LBB59_269
; %bb.268:
	scratch_load_b128 v[2:5], off, s9
	v_mov_b32_e32 v10, 0
	s_delay_alu instid0(VALU_DEP_1)
	v_dual_mov_b32 v11, v10 :: v_dual_mov_b32 v12, v10
	v_mov_b32_e32 v13, v10
	scratch_store_b128 off, v[10:13], off offset:832
	s_wait_loadcnt 0x0
	ds_store_b128 v8, v[2:5]
.LBB59_269:
	s_wait_xcnt 0x0
	s_or_b32 exec_lo, exec_lo, s2
	s_wait_storecnt_dscnt 0x0
	s_barrier_signal -1
	s_barrier_wait -1
	s_clause 0x7
	scratch_load_b128 v[4:7], off, off offset:848
	scratch_load_b128 v[10:13], off, off offset:864
	scratch_load_b128 v[134:137], off, off offset:880
	scratch_load_b128 v[138:141], off, off offset:896
	scratch_load_b128 v[142:145], off, off offset:912
	scratch_load_b128 v[146:149], off, off offset:928
	scratch_load_b128 v[150:153], off, off offset:944
	scratch_load_b128 v[154:157], off, off offset:832
	v_mov_b32_e32 v2, 0
	ds_load_b128 v[158:161], v2 offset:1808
	ds_load_b128 v[162:165], v2 offset:1824
	s_mov_b32 s2, exec_lo
	s_wait_loadcnt_dscnt 0x701
	v_mul_f64_e32 v[166:167], v[160:161], v[6:7]
	v_mul_f64_e32 v[168:169], v[158:159], v[6:7]
	s_wait_loadcnt_dscnt 0x600
	v_mul_f64_e32 v[170:171], v[162:163], v[12:13]
	v_mul_f64_e32 v[12:13], v[164:165], v[12:13]
	s_delay_alu instid0(VALU_DEP_4) | instskip(NEXT) | instid1(VALU_DEP_4)
	v_fma_f64 v[166:167], v[158:159], v[4:5], -v[166:167]
	v_fmac_f64_e32 v[168:169], v[160:161], v[4:5]
	ds_load_b128 v[4:7], v2 offset:1840
	ds_load_b128 v[158:161], v2 offset:1856
	v_fmac_f64_e32 v[170:171], v[164:165], v[10:11]
	v_fma_f64 v[10:11], v[162:163], v[10:11], -v[12:13]
	s_wait_loadcnt_dscnt 0x501
	v_mul_f64_e32 v[172:173], v[4:5], v[136:137]
	v_mul_f64_e32 v[136:137], v[6:7], v[136:137]
	s_wait_loadcnt_dscnt 0x400
	v_mul_f64_e32 v[164:165], v[158:159], v[140:141]
	v_mul_f64_e32 v[140:141], v[160:161], v[140:141]
	v_add_f64_e32 v[12:13], 0, v[166:167]
	v_add_f64_e32 v[162:163], 0, v[168:169]
	v_fmac_f64_e32 v[172:173], v[6:7], v[134:135]
	v_fma_f64 v[134:135], v[4:5], v[134:135], -v[136:137]
	v_fmac_f64_e32 v[164:165], v[160:161], v[138:139]
	v_fma_f64 v[138:139], v[158:159], v[138:139], -v[140:141]
	v_add_f64_e32 v[136:137], v[12:13], v[10:11]
	v_add_f64_e32 v[162:163], v[162:163], v[170:171]
	ds_load_b128 v[4:7], v2 offset:1872
	ds_load_b128 v[10:13], v2 offset:1888
	s_wait_loadcnt_dscnt 0x301
	v_mul_f64_e32 v[166:167], v[4:5], v[144:145]
	v_mul_f64_e32 v[144:145], v[6:7], v[144:145]
	s_wait_loadcnt_dscnt 0x200
	v_mul_f64_e32 v[140:141], v[10:11], v[148:149]
	v_mul_f64_e32 v[148:149], v[12:13], v[148:149]
	v_add_f64_e32 v[134:135], v[136:137], v[134:135]
	v_add_f64_e32 v[136:137], v[162:163], v[172:173]
	v_fmac_f64_e32 v[166:167], v[6:7], v[142:143]
	v_fma_f64 v[142:143], v[4:5], v[142:143], -v[144:145]
	ds_load_b128 v[4:7], v2 offset:1904
	v_fmac_f64_e32 v[140:141], v[12:13], v[146:147]
	v_fma_f64 v[10:11], v[10:11], v[146:147], -v[148:149]
	v_add_f64_e32 v[134:135], v[134:135], v[138:139]
	v_add_f64_e32 v[136:137], v[136:137], v[164:165]
	s_wait_loadcnt_dscnt 0x100
	v_mul_f64_e32 v[138:139], v[4:5], v[152:153]
	v_mul_f64_e32 v[144:145], v[6:7], v[152:153]
	s_delay_alu instid0(VALU_DEP_4) | instskip(NEXT) | instid1(VALU_DEP_4)
	v_add_f64_e32 v[12:13], v[134:135], v[142:143]
	v_add_f64_e32 v[134:135], v[136:137], v[166:167]
	s_delay_alu instid0(VALU_DEP_4) | instskip(NEXT) | instid1(VALU_DEP_4)
	v_fmac_f64_e32 v[138:139], v[6:7], v[150:151]
	v_fma_f64 v[4:5], v[4:5], v[150:151], -v[144:145]
	s_delay_alu instid0(VALU_DEP_4) | instskip(NEXT) | instid1(VALU_DEP_4)
	v_add_f64_e32 v[6:7], v[12:13], v[10:11]
	v_add_f64_e32 v[10:11], v[134:135], v[140:141]
	s_delay_alu instid0(VALU_DEP_2) | instskip(NEXT) | instid1(VALU_DEP_2)
	v_add_f64_e32 v[4:5], v[6:7], v[4:5]
	v_add_f64_e32 v[6:7], v[10:11], v[138:139]
	s_wait_loadcnt 0x0
	s_delay_alu instid0(VALU_DEP_2) | instskip(NEXT) | instid1(VALU_DEP_2)
	v_add_f64_e64 v[4:5], v[154:155], -v[4:5]
	v_add_f64_e64 v[6:7], v[156:157], -v[6:7]
	scratch_store_b128 off, v[4:7], off offset:832
	s_wait_xcnt 0x0
	v_cmpx_lt_u32_e32 51, v1
	s_cbranch_execz .LBB59_271
; %bb.270:
	scratch_load_b128 v[10:13], off, s8
	v_dual_mov_b32 v3, v2 :: v_dual_mov_b32 v4, v2
	v_mov_b32_e32 v5, v2
	scratch_store_b128 off, v[2:5], off offset:816
	s_wait_loadcnt 0x0
	ds_store_b128 v8, v[10:13]
.LBB59_271:
	s_wait_xcnt 0x0
	s_or_b32 exec_lo, exec_lo, s2
	s_wait_storecnt_dscnt 0x0
	s_barrier_signal -1
	s_barrier_wait -1
	s_clause 0x7
	scratch_load_b128 v[4:7], off, off offset:832
	scratch_load_b128 v[10:13], off, off offset:848
	;; [unrolled: 1-line block ×8, first 2 shown]
	ds_load_b128 v[158:161], v2 offset:1792
	ds_load_b128 v[162:165], v2 offset:1808
	scratch_load_b128 v[166:169], off, off offset:816
	s_mov_b32 s2, exec_lo
	s_wait_loadcnt_dscnt 0x801
	v_mul_f64_e32 v[170:171], v[160:161], v[6:7]
	v_mul_f64_e32 v[172:173], v[158:159], v[6:7]
	s_wait_loadcnt_dscnt 0x700
	v_mul_f64_e32 v[174:175], v[162:163], v[12:13]
	v_mul_f64_e32 v[12:13], v[164:165], v[12:13]
	s_delay_alu instid0(VALU_DEP_4) | instskip(NEXT) | instid1(VALU_DEP_4)
	v_fma_f64 v[170:171], v[158:159], v[4:5], -v[170:171]
	v_fmac_f64_e32 v[172:173], v[160:161], v[4:5]
	ds_load_b128 v[4:7], v2 offset:1824
	ds_load_b128 v[158:161], v2 offset:1840
	v_fmac_f64_e32 v[174:175], v[164:165], v[10:11]
	v_fma_f64 v[10:11], v[162:163], v[10:11], -v[12:13]
	s_wait_loadcnt_dscnt 0x601
	v_mul_f64_e32 v[176:177], v[4:5], v[136:137]
	v_mul_f64_e32 v[136:137], v[6:7], v[136:137]
	s_wait_loadcnt_dscnt 0x500
	v_mul_f64_e32 v[164:165], v[158:159], v[140:141]
	v_mul_f64_e32 v[140:141], v[160:161], v[140:141]
	v_add_f64_e32 v[12:13], 0, v[170:171]
	v_add_f64_e32 v[162:163], 0, v[172:173]
	v_fmac_f64_e32 v[176:177], v[6:7], v[134:135]
	v_fma_f64 v[134:135], v[4:5], v[134:135], -v[136:137]
	v_fmac_f64_e32 v[164:165], v[160:161], v[138:139]
	v_fma_f64 v[138:139], v[158:159], v[138:139], -v[140:141]
	v_add_f64_e32 v[136:137], v[12:13], v[10:11]
	v_add_f64_e32 v[162:163], v[162:163], v[174:175]
	ds_load_b128 v[4:7], v2 offset:1856
	ds_load_b128 v[10:13], v2 offset:1872
	s_wait_loadcnt_dscnt 0x401
	v_mul_f64_e32 v[170:171], v[4:5], v[144:145]
	v_mul_f64_e32 v[144:145], v[6:7], v[144:145]
	s_wait_loadcnt_dscnt 0x300
	v_mul_f64_e32 v[140:141], v[10:11], v[148:149]
	v_mul_f64_e32 v[148:149], v[12:13], v[148:149]
	v_add_f64_e32 v[134:135], v[136:137], v[134:135]
	v_add_f64_e32 v[136:137], v[162:163], v[176:177]
	v_fmac_f64_e32 v[170:171], v[6:7], v[142:143]
	v_fma_f64 v[142:143], v[4:5], v[142:143], -v[144:145]
	v_fmac_f64_e32 v[140:141], v[12:13], v[146:147]
	v_fma_f64 v[10:11], v[10:11], v[146:147], -v[148:149]
	v_add_f64_e32 v[138:139], v[134:135], v[138:139]
	v_add_f64_e32 v[144:145], v[136:137], v[164:165]
	ds_load_b128 v[4:7], v2 offset:1888
	ds_load_b128 v[134:137], v2 offset:1904
	s_wait_loadcnt_dscnt 0x201
	v_mul_f64_e32 v[2:3], v[4:5], v[152:153]
	v_mul_f64_e32 v[152:153], v[6:7], v[152:153]
	v_add_f64_e32 v[12:13], v[138:139], v[142:143]
	v_add_f64_e32 v[138:139], v[144:145], v[170:171]
	s_wait_loadcnt_dscnt 0x100
	v_mul_f64_e32 v[142:143], v[134:135], v[156:157]
	v_mul_f64_e32 v[144:145], v[136:137], v[156:157]
	v_fmac_f64_e32 v[2:3], v[6:7], v[150:151]
	v_fma_f64 v[4:5], v[4:5], v[150:151], -v[152:153]
	v_add_f64_e32 v[6:7], v[12:13], v[10:11]
	v_add_f64_e32 v[10:11], v[138:139], v[140:141]
	v_fmac_f64_e32 v[142:143], v[136:137], v[154:155]
	v_fma_f64 v[12:13], v[134:135], v[154:155], -v[144:145]
	s_delay_alu instid0(VALU_DEP_4) | instskip(NEXT) | instid1(VALU_DEP_4)
	v_add_f64_e32 v[4:5], v[6:7], v[4:5]
	v_add_f64_e32 v[2:3], v[10:11], v[2:3]
	s_delay_alu instid0(VALU_DEP_2) | instskip(NEXT) | instid1(VALU_DEP_2)
	v_add_f64_e32 v[4:5], v[4:5], v[12:13]
	v_add_f64_e32 v[6:7], v[2:3], v[142:143]
	s_wait_loadcnt 0x0
	s_delay_alu instid0(VALU_DEP_2) | instskip(NEXT) | instid1(VALU_DEP_2)
	v_add_f64_e64 v[2:3], v[166:167], -v[4:5]
	v_add_f64_e64 v[4:5], v[168:169], -v[6:7]
	scratch_store_b128 off, v[2:5], off offset:816
	s_wait_xcnt 0x0
	v_cmpx_lt_u32_e32 50, v1
	s_cbranch_execz .LBB59_273
; %bb.272:
	scratch_load_b128 v[2:5], off, s11
	v_mov_b32_e32 v10, 0
	s_delay_alu instid0(VALU_DEP_1)
	v_dual_mov_b32 v11, v10 :: v_dual_mov_b32 v12, v10
	v_mov_b32_e32 v13, v10
	scratch_store_b128 off, v[10:13], off offset:800
	s_wait_loadcnt 0x0
	ds_store_b128 v8, v[2:5]
.LBB59_273:
	s_wait_xcnt 0x0
	s_or_b32 exec_lo, exec_lo, s2
	s_wait_storecnt_dscnt 0x0
	s_barrier_signal -1
	s_barrier_wait -1
	s_clause 0x8
	scratch_load_b128 v[4:7], off, off offset:816
	scratch_load_b128 v[10:13], off, off offset:832
	;; [unrolled: 1-line block ×9, first 2 shown]
	v_mov_b32_e32 v2, 0
	scratch_load_b128 v[166:169], off, off offset:800
	s_mov_b32 s2, exec_lo
	ds_load_b128 v[162:165], v2 offset:1776
	ds_load_b128 v[170:173], v2 offset:1792
	s_wait_loadcnt_dscnt 0x901
	v_mul_f64_e32 v[174:175], v[164:165], v[6:7]
	v_mul_f64_e32 v[176:177], v[162:163], v[6:7]
	s_wait_loadcnt_dscnt 0x800
	v_mul_f64_e32 v[178:179], v[170:171], v[12:13]
	v_mul_f64_e32 v[12:13], v[172:173], v[12:13]
	s_delay_alu instid0(VALU_DEP_4) | instskip(NEXT) | instid1(VALU_DEP_4)
	v_fma_f64 v[174:175], v[162:163], v[4:5], -v[174:175]
	v_fmac_f64_e32 v[176:177], v[164:165], v[4:5]
	ds_load_b128 v[4:7], v2 offset:1808
	ds_load_b128 v[162:165], v2 offset:1824
	v_fmac_f64_e32 v[178:179], v[172:173], v[10:11]
	v_fma_f64 v[10:11], v[170:171], v[10:11], -v[12:13]
	s_wait_loadcnt_dscnt 0x701
	v_mul_f64_e32 v[180:181], v[4:5], v[136:137]
	v_mul_f64_e32 v[136:137], v[6:7], v[136:137]
	s_wait_loadcnt_dscnt 0x600
	v_mul_f64_e32 v[172:173], v[162:163], v[140:141]
	v_mul_f64_e32 v[140:141], v[164:165], v[140:141]
	v_add_f64_e32 v[12:13], 0, v[174:175]
	v_add_f64_e32 v[170:171], 0, v[176:177]
	v_fmac_f64_e32 v[180:181], v[6:7], v[134:135]
	v_fma_f64 v[134:135], v[4:5], v[134:135], -v[136:137]
	v_fmac_f64_e32 v[172:173], v[164:165], v[138:139]
	v_fma_f64 v[138:139], v[162:163], v[138:139], -v[140:141]
	v_add_f64_e32 v[136:137], v[12:13], v[10:11]
	v_add_f64_e32 v[170:171], v[170:171], v[178:179]
	ds_load_b128 v[4:7], v2 offset:1840
	ds_load_b128 v[10:13], v2 offset:1856
	s_wait_loadcnt_dscnt 0x501
	v_mul_f64_e32 v[174:175], v[4:5], v[144:145]
	v_mul_f64_e32 v[144:145], v[6:7], v[144:145]
	s_wait_loadcnt_dscnt 0x400
	v_mul_f64_e32 v[140:141], v[10:11], v[148:149]
	v_mul_f64_e32 v[148:149], v[12:13], v[148:149]
	v_add_f64_e32 v[134:135], v[136:137], v[134:135]
	v_add_f64_e32 v[136:137], v[170:171], v[180:181]
	v_fmac_f64_e32 v[174:175], v[6:7], v[142:143]
	v_fma_f64 v[142:143], v[4:5], v[142:143], -v[144:145]
	v_fmac_f64_e32 v[140:141], v[12:13], v[146:147]
	v_fma_f64 v[10:11], v[10:11], v[146:147], -v[148:149]
	v_add_f64_e32 v[138:139], v[134:135], v[138:139]
	v_add_f64_e32 v[144:145], v[136:137], v[172:173]
	ds_load_b128 v[4:7], v2 offset:1872
	ds_load_b128 v[134:137], v2 offset:1888
	s_wait_loadcnt_dscnt 0x301
	v_mul_f64_e32 v[162:163], v[4:5], v[152:153]
	v_mul_f64_e32 v[152:153], v[6:7], v[152:153]
	v_add_f64_e32 v[12:13], v[138:139], v[142:143]
	v_add_f64_e32 v[138:139], v[144:145], v[174:175]
	s_wait_loadcnt_dscnt 0x200
	v_mul_f64_e32 v[142:143], v[134:135], v[156:157]
	v_mul_f64_e32 v[144:145], v[136:137], v[156:157]
	v_fmac_f64_e32 v[162:163], v[6:7], v[150:151]
	v_fma_f64 v[146:147], v[4:5], v[150:151], -v[152:153]
	ds_load_b128 v[4:7], v2 offset:1904
	v_add_f64_e32 v[10:11], v[12:13], v[10:11]
	v_add_f64_e32 v[12:13], v[138:139], v[140:141]
	v_fmac_f64_e32 v[142:143], v[136:137], v[154:155]
	v_fma_f64 v[134:135], v[134:135], v[154:155], -v[144:145]
	s_wait_loadcnt_dscnt 0x100
	v_mul_f64_e32 v[138:139], v[4:5], v[160:161]
	v_mul_f64_e32 v[140:141], v[6:7], v[160:161]
	v_add_f64_e32 v[10:11], v[10:11], v[146:147]
	v_add_f64_e32 v[12:13], v[12:13], v[162:163]
	s_delay_alu instid0(VALU_DEP_4) | instskip(NEXT) | instid1(VALU_DEP_4)
	v_fmac_f64_e32 v[138:139], v[6:7], v[158:159]
	v_fma_f64 v[4:5], v[4:5], v[158:159], -v[140:141]
	s_delay_alu instid0(VALU_DEP_4) | instskip(NEXT) | instid1(VALU_DEP_4)
	v_add_f64_e32 v[6:7], v[10:11], v[134:135]
	v_add_f64_e32 v[10:11], v[12:13], v[142:143]
	s_delay_alu instid0(VALU_DEP_2) | instskip(NEXT) | instid1(VALU_DEP_2)
	v_add_f64_e32 v[4:5], v[6:7], v[4:5]
	v_add_f64_e32 v[6:7], v[10:11], v[138:139]
	s_wait_loadcnt 0x0
	s_delay_alu instid0(VALU_DEP_2) | instskip(NEXT) | instid1(VALU_DEP_2)
	v_add_f64_e64 v[4:5], v[166:167], -v[4:5]
	v_add_f64_e64 v[6:7], v[168:169], -v[6:7]
	scratch_store_b128 off, v[4:7], off offset:800
	s_wait_xcnt 0x0
	v_cmpx_lt_u32_e32 49, v1
	s_cbranch_execz .LBB59_275
; %bb.274:
	scratch_load_b128 v[10:13], off, s10
	v_dual_mov_b32 v3, v2 :: v_dual_mov_b32 v4, v2
	v_mov_b32_e32 v5, v2
	scratch_store_b128 off, v[2:5], off offset:784
	s_wait_loadcnt 0x0
	ds_store_b128 v8, v[10:13]
.LBB59_275:
	s_wait_xcnt 0x0
	s_or_b32 exec_lo, exec_lo, s2
	s_wait_storecnt_dscnt 0x0
	s_barrier_signal -1
	s_barrier_wait -1
	s_clause 0x9
	scratch_load_b128 v[4:7], off, off offset:800
	scratch_load_b128 v[10:13], off, off offset:816
	;; [unrolled: 1-line block ×10, first 2 shown]
	ds_load_b128 v[166:169], v2 offset:1760
	ds_load_b128 v[170:173], v2 offset:1776
	scratch_load_b128 v[174:177], off, off offset:784
	s_mov_b32 s2, exec_lo
	s_wait_loadcnt_dscnt 0xa01
	v_mul_f64_e32 v[178:179], v[168:169], v[6:7]
	v_mul_f64_e32 v[180:181], v[166:167], v[6:7]
	s_wait_loadcnt_dscnt 0x900
	v_mul_f64_e32 v[182:183], v[170:171], v[12:13]
	v_mul_f64_e32 v[12:13], v[172:173], v[12:13]
	s_delay_alu instid0(VALU_DEP_4) | instskip(NEXT) | instid1(VALU_DEP_4)
	v_fma_f64 v[178:179], v[166:167], v[4:5], -v[178:179]
	v_fmac_f64_e32 v[180:181], v[168:169], v[4:5]
	ds_load_b128 v[4:7], v2 offset:1792
	ds_load_b128 v[166:169], v2 offset:1808
	v_fmac_f64_e32 v[182:183], v[172:173], v[10:11]
	v_fma_f64 v[10:11], v[170:171], v[10:11], -v[12:13]
	s_wait_loadcnt_dscnt 0x801
	v_mul_f64_e32 v[184:185], v[4:5], v[136:137]
	v_mul_f64_e32 v[136:137], v[6:7], v[136:137]
	s_wait_loadcnt_dscnt 0x700
	v_mul_f64_e32 v[172:173], v[166:167], v[140:141]
	v_mul_f64_e32 v[140:141], v[168:169], v[140:141]
	v_add_f64_e32 v[12:13], 0, v[178:179]
	v_add_f64_e32 v[170:171], 0, v[180:181]
	v_fmac_f64_e32 v[184:185], v[6:7], v[134:135]
	v_fma_f64 v[134:135], v[4:5], v[134:135], -v[136:137]
	v_fmac_f64_e32 v[172:173], v[168:169], v[138:139]
	v_fma_f64 v[138:139], v[166:167], v[138:139], -v[140:141]
	v_add_f64_e32 v[136:137], v[12:13], v[10:11]
	v_add_f64_e32 v[170:171], v[170:171], v[182:183]
	ds_load_b128 v[4:7], v2 offset:1824
	ds_load_b128 v[10:13], v2 offset:1840
	s_wait_loadcnt_dscnt 0x601
	v_mul_f64_e32 v[178:179], v[4:5], v[144:145]
	v_mul_f64_e32 v[144:145], v[6:7], v[144:145]
	s_wait_loadcnt_dscnt 0x500
	v_mul_f64_e32 v[140:141], v[10:11], v[148:149]
	v_mul_f64_e32 v[148:149], v[12:13], v[148:149]
	v_add_f64_e32 v[134:135], v[136:137], v[134:135]
	v_add_f64_e32 v[136:137], v[170:171], v[184:185]
	v_fmac_f64_e32 v[178:179], v[6:7], v[142:143]
	v_fma_f64 v[142:143], v[4:5], v[142:143], -v[144:145]
	v_fmac_f64_e32 v[140:141], v[12:13], v[146:147]
	v_fma_f64 v[10:11], v[10:11], v[146:147], -v[148:149]
	v_add_f64_e32 v[138:139], v[134:135], v[138:139]
	v_add_f64_e32 v[144:145], v[136:137], v[172:173]
	ds_load_b128 v[4:7], v2 offset:1856
	ds_load_b128 v[134:137], v2 offset:1872
	s_wait_loadcnt_dscnt 0x401
	v_mul_f64_e32 v[166:167], v[4:5], v[152:153]
	v_mul_f64_e32 v[152:153], v[6:7], v[152:153]
	v_add_f64_e32 v[12:13], v[138:139], v[142:143]
	v_add_f64_e32 v[138:139], v[144:145], v[178:179]
	s_wait_loadcnt_dscnt 0x300
	v_mul_f64_e32 v[142:143], v[134:135], v[156:157]
	v_mul_f64_e32 v[144:145], v[136:137], v[156:157]
	v_fmac_f64_e32 v[166:167], v[6:7], v[150:151]
	v_fma_f64 v[146:147], v[4:5], v[150:151], -v[152:153]
	v_add_f64_e32 v[148:149], v[12:13], v[10:11]
	v_add_f64_e32 v[138:139], v[138:139], v[140:141]
	ds_load_b128 v[4:7], v2 offset:1888
	ds_load_b128 v[10:13], v2 offset:1904
	v_fmac_f64_e32 v[142:143], v[136:137], v[154:155]
	v_fma_f64 v[134:135], v[134:135], v[154:155], -v[144:145]
	s_wait_loadcnt_dscnt 0x201
	v_mul_f64_e32 v[2:3], v[4:5], v[160:161]
	v_mul_f64_e32 v[140:141], v[6:7], v[160:161]
	s_wait_loadcnt_dscnt 0x100
	v_mul_f64_e32 v[144:145], v[10:11], v[164:165]
	v_add_f64_e32 v[136:137], v[148:149], v[146:147]
	v_add_f64_e32 v[138:139], v[138:139], v[166:167]
	v_mul_f64_e32 v[146:147], v[12:13], v[164:165]
	v_fmac_f64_e32 v[2:3], v[6:7], v[158:159]
	v_fma_f64 v[4:5], v[4:5], v[158:159], -v[140:141]
	v_fmac_f64_e32 v[144:145], v[12:13], v[162:163]
	v_add_f64_e32 v[6:7], v[136:137], v[134:135]
	v_add_f64_e32 v[134:135], v[138:139], v[142:143]
	v_fma_f64 v[10:11], v[10:11], v[162:163], -v[146:147]
	s_delay_alu instid0(VALU_DEP_3) | instskip(NEXT) | instid1(VALU_DEP_3)
	v_add_f64_e32 v[4:5], v[6:7], v[4:5]
	v_add_f64_e32 v[2:3], v[134:135], v[2:3]
	s_delay_alu instid0(VALU_DEP_2) | instskip(NEXT) | instid1(VALU_DEP_2)
	v_add_f64_e32 v[4:5], v[4:5], v[10:11]
	v_add_f64_e32 v[6:7], v[2:3], v[144:145]
	s_wait_loadcnt 0x0
	s_delay_alu instid0(VALU_DEP_2) | instskip(NEXT) | instid1(VALU_DEP_2)
	v_add_f64_e64 v[2:3], v[174:175], -v[4:5]
	v_add_f64_e64 v[4:5], v[176:177], -v[6:7]
	scratch_store_b128 off, v[2:5], off offset:784
	s_wait_xcnt 0x0
	v_cmpx_lt_u32_e32 48, v1
	s_cbranch_execz .LBB59_277
; %bb.276:
	scratch_load_b128 v[2:5], off, s13
	v_mov_b32_e32 v10, 0
	s_delay_alu instid0(VALU_DEP_1)
	v_dual_mov_b32 v11, v10 :: v_dual_mov_b32 v12, v10
	v_mov_b32_e32 v13, v10
	scratch_store_b128 off, v[10:13], off offset:768
	s_wait_loadcnt 0x0
	ds_store_b128 v8, v[2:5]
.LBB59_277:
	s_wait_xcnt 0x0
	s_or_b32 exec_lo, exec_lo, s2
	s_wait_storecnt_dscnt 0x0
	s_barrier_signal -1
	s_barrier_wait -1
	s_clause 0x9
	scratch_load_b128 v[4:7], off, off offset:784
	scratch_load_b128 v[10:13], off, off offset:800
	;; [unrolled: 1-line block ×10, first 2 shown]
	v_mov_b32_e32 v2, 0
	s_mov_b32 s2, exec_lo
	ds_load_b128 v[166:169], v2 offset:1744
	s_clause 0x1
	scratch_load_b128 v[170:173], off, off offset:944
	scratch_load_b128 v[174:177], off, off offset:768
	s_wait_loadcnt_dscnt 0xb00
	v_mul_f64_e32 v[182:183], v[168:169], v[6:7]
	v_mul_f64_e32 v[184:185], v[166:167], v[6:7]
	ds_load_b128 v[178:181], v2 offset:1760
	s_wait_loadcnt_dscnt 0xa00
	v_mul_f64_e32 v[186:187], v[178:179], v[12:13]
	v_mul_f64_e32 v[12:13], v[180:181], v[12:13]
	v_fma_f64 v[182:183], v[166:167], v[4:5], -v[182:183]
	v_fmac_f64_e32 v[184:185], v[168:169], v[4:5]
	ds_load_b128 v[4:7], v2 offset:1776
	ds_load_b128 v[166:169], v2 offset:1792
	s_wait_loadcnt_dscnt 0x901
	v_mul_f64_e32 v[188:189], v[4:5], v[136:137]
	v_mul_f64_e32 v[136:137], v[6:7], v[136:137]
	v_fmac_f64_e32 v[186:187], v[180:181], v[10:11]
	v_fma_f64 v[10:11], v[178:179], v[10:11], -v[12:13]
	s_wait_loadcnt_dscnt 0x800
	v_mul_f64_e32 v[180:181], v[166:167], v[140:141]
	v_mul_f64_e32 v[140:141], v[168:169], v[140:141]
	v_add_f64_e32 v[12:13], 0, v[182:183]
	v_add_f64_e32 v[178:179], 0, v[184:185]
	v_fmac_f64_e32 v[188:189], v[6:7], v[134:135]
	v_fma_f64 v[134:135], v[4:5], v[134:135], -v[136:137]
	v_fmac_f64_e32 v[180:181], v[168:169], v[138:139]
	v_fma_f64 v[138:139], v[166:167], v[138:139], -v[140:141]
	v_add_f64_e32 v[136:137], v[12:13], v[10:11]
	v_add_f64_e32 v[178:179], v[178:179], v[186:187]
	ds_load_b128 v[4:7], v2 offset:1808
	ds_load_b128 v[10:13], v2 offset:1824
	s_wait_loadcnt_dscnt 0x701
	v_mul_f64_e32 v[182:183], v[4:5], v[144:145]
	v_mul_f64_e32 v[144:145], v[6:7], v[144:145]
	s_wait_loadcnt_dscnt 0x600
	v_mul_f64_e32 v[140:141], v[10:11], v[148:149]
	v_mul_f64_e32 v[148:149], v[12:13], v[148:149]
	v_add_f64_e32 v[134:135], v[136:137], v[134:135]
	v_add_f64_e32 v[136:137], v[178:179], v[188:189]
	v_fmac_f64_e32 v[182:183], v[6:7], v[142:143]
	v_fma_f64 v[142:143], v[4:5], v[142:143], -v[144:145]
	v_fmac_f64_e32 v[140:141], v[12:13], v[146:147]
	v_fma_f64 v[10:11], v[10:11], v[146:147], -v[148:149]
	v_add_f64_e32 v[138:139], v[134:135], v[138:139]
	v_add_f64_e32 v[144:145], v[136:137], v[180:181]
	ds_load_b128 v[4:7], v2 offset:1840
	ds_load_b128 v[134:137], v2 offset:1856
	s_wait_loadcnt_dscnt 0x501
	v_mul_f64_e32 v[166:167], v[4:5], v[152:153]
	v_mul_f64_e32 v[152:153], v[6:7], v[152:153]
	v_add_f64_e32 v[12:13], v[138:139], v[142:143]
	v_add_f64_e32 v[138:139], v[144:145], v[182:183]
	s_wait_loadcnt_dscnt 0x400
	v_mul_f64_e32 v[142:143], v[134:135], v[156:157]
	v_mul_f64_e32 v[144:145], v[136:137], v[156:157]
	v_fmac_f64_e32 v[166:167], v[6:7], v[150:151]
	v_fma_f64 v[146:147], v[4:5], v[150:151], -v[152:153]
	v_add_f64_e32 v[148:149], v[12:13], v[10:11]
	v_add_f64_e32 v[138:139], v[138:139], v[140:141]
	ds_load_b128 v[4:7], v2 offset:1872
	ds_load_b128 v[10:13], v2 offset:1888
	v_fmac_f64_e32 v[142:143], v[136:137], v[154:155]
	v_fma_f64 v[134:135], v[134:135], v[154:155], -v[144:145]
	s_wait_loadcnt_dscnt 0x301
	v_mul_f64_e32 v[140:141], v[4:5], v[160:161]
	v_mul_f64_e32 v[150:151], v[6:7], v[160:161]
	s_wait_loadcnt_dscnt 0x200
	v_mul_f64_e32 v[144:145], v[10:11], v[164:165]
	v_add_f64_e32 v[136:137], v[148:149], v[146:147]
	v_add_f64_e32 v[138:139], v[138:139], v[166:167]
	v_mul_f64_e32 v[146:147], v[12:13], v[164:165]
	v_fmac_f64_e32 v[140:141], v[6:7], v[158:159]
	v_fma_f64 v[148:149], v[4:5], v[158:159], -v[150:151]
	ds_load_b128 v[4:7], v2 offset:1904
	v_fmac_f64_e32 v[144:145], v[12:13], v[162:163]
	v_add_f64_e32 v[134:135], v[136:137], v[134:135]
	v_add_f64_e32 v[136:137], v[138:139], v[142:143]
	v_fma_f64 v[10:11], v[10:11], v[162:163], -v[146:147]
	s_wait_loadcnt_dscnt 0x100
	v_mul_f64_e32 v[138:139], v[4:5], v[172:173]
	v_mul_f64_e32 v[142:143], v[6:7], v[172:173]
	v_add_f64_e32 v[12:13], v[134:135], v[148:149]
	v_add_f64_e32 v[134:135], v[136:137], v[140:141]
	s_delay_alu instid0(VALU_DEP_4) | instskip(NEXT) | instid1(VALU_DEP_4)
	v_fmac_f64_e32 v[138:139], v[6:7], v[170:171]
	v_fma_f64 v[4:5], v[4:5], v[170:171], -v[142:143]
	s_delay_alu instid0(VALU_DEP_4) | instskip(NEXT) | instid1(VALU_DEP_4)
	v_add_f64_e32 v[6:7], v[12:13], v[10:11]
	v_add_f64_e32 v[10:11], v[134:135], v[144:145]
	s_delay_alu instid0(VALU_DEP_2) | instskip(NEXT) | instid1(VALU_DEP_2)
	v_add_f64_e32 v[4:5], v[6:7], v[4:5]
	v_add_f64_e32 v[6:7], v[10:11], v[138:139]
	s_wait_loadcnt 0x0
	s_delay_alu instid0(VALU_DEP_2) | instskip(NEXT) | instid1(VALU_DEP_2)
	v_add_f64_e64 v[4:5], v[174:175], -v[4:5]
	v_add_f64_e64 v[6:7], v[176:177], -v[6:7]
	scratch_store_b128 off, v[4:7], off offset:768
	s_wait_xcnt 0x0
	v_cmpx_lt_u32_e32 47, v1
	s_cbranch_execz .LBB59_279
; %bb.278:
	scratch_load_b128 v[10:13], off, s12
	v_dual_mov_b32 v3, v2 :: v_dual_mov_b32 v4, v2
	v_mov_b32_e32 v5, v2
	scratch_store_b128 off, v[2:5], off offset:752
	s_wait_loadcnt 0x0
	ds_store_b128 v8, v[10:13]
.LBB59_279:
	s_wait_xcnt 0x0
	s_or_b32 exec_lo, exec_lo, s2
	s_wait_storecnt_dscnt 0x0
	s_barrier_signal -1
	s_barrier_wait -1
	s_clause 0x9
	scratch_load_b128 v[4:7], off, off offset:768
	scratch_load_b128 v[10:13], off, off offset:784
	;; [unrolled: 1-line block ×10, first 2 shown]
	ds_load_b128 v[166:169], v2 offset:1728
	ds_load_b128 v[174:177], v2 offset:1744
	s_clause 0x2
	scratch_load_b128 v[170:173], off, off offset:928
	scratch_load_b128 v[178:181], off, off offset:752
	;; [unrolled: 1-line block ×3, first 2 shown]
	s_mov_b32 s2, exec_lo
	s_wait_loadcnt_dscnt 0xc01
	v_mul_f64_e32 v[186:187], v[168:169], v[6:7]
	v_mul_f64_e32 v[188:189], v[166:167], v[6:7]
	s_wait_loadcnt_dscnt 0xb00
	v_mul_f64_e32 v[190:191], v[174:175], v[12:13]
	v_mul_f64_e32 v[12:13], v[176:177], v[12:13]
	s_delay_alu instid0(VALU_DEP_4) | instskip(NEXT) | instid1(VALU_DEP_4)
	v_fma_f64 v[186:187], v[166:167], v[4:5], -v[186:187]
	v_fmac_f64_e32 v[188:189], v[168:169], v[4:5]
	ds_load_b128 v[4:7], v2 offset:1760
	ds_load_b128 v[166:169], v2 offset:1776
	v_fmac_f64_e32 v[190:191], v[176:177], v[10:11]
	v_fma_f64 v[10:11], v[174:175], v[10:11], -v[12:13]
	s_wait_loadcnt_dscnt 0xa01
	v_mul_f64_e32 v[192:193], v[4:5], v[136:137]
	v_mul_f64_e32 v[136:137], v[6:7], v[136:137]
	s_wait_loadcnt_dscnt 0x900
	v_mul_f64_e32 v[176:177], v[166:167], v[140:141]
	v_mul_f64_e32 v[140:141], v[168:169], v[140:141]
	v_add_f64_e32 v[12:13], 0, v[186:187]
	v_add_f64_e32 v[174:175], 0, v[188:189]
	v_fmac_f64_e32 v[192:193], v[6:7], v[134:135]
	v_fma_f64 v[134:135], v[4:5], v[134:135], -v[136:137]
	v_fmac_f64_e32 v[176:177], v[168:169], v[138:139]
	v_fma_f64 v[138:139], v[166:167], v[138:139], -v[140:141]
	v_add_f64_e32 v[136:137], v[12:13], v[10:11]
	v_add_f64_e32 v[174:175], v[174:175], v[190:191]
	ds_load_b128 v[4:7], v2 offset:1792
	ds_load_b128 v[10:13], v2 offset:1808
	s_wait_loadcnt_dscnt 0x801
	v_mul_f64_e32 v[186:187], v[4:5], v[144:145]
	v_mul_f64_e32 v[144:145], v[6:7], v[144:145]
	s_wait_loadcnt_dscnt 0x700
	v_mul_f64_e32 v[140:141], v[10:11], v[148:149]
	v_mul_f64_e32 v[148:149], v[12:13], v[148:149]
	v_add_f64_e32 v[134:135], v[136:137], v[134:135]
	v_add_f64_e32 v[136:137], v[174:175], v[192:193]
	v_fmac_f64_e32 v[186:187], v[6:7], v[142:143]
	v_fma_f64 v[142:143], v[4:5], v[142:143], -v[144:145]
	v_fmac_f64_e32 v[140:141], v[12:13], v[146:147]
	v_fma_f64 v[10:11], v[10:11], v[146:147], -v[148:149]
	v_add_f64_e32 v[138:139], v[134:135], v[138:139]
	v_add_f64_e32 v[144:145], v[136:137], v[176:177]
	ds_load_b128 v[4:7], v2 offset:1824
	ds_load_b128 v[134:137], v2 offset:1840
	s_wait_loadcnt_dscnt 0x601
	v_mul_f64_e32 v[166:167], v[4:5], v[152:153]
	v_mul_f64_e32 v[152:153], v[6:7], v[152:153]
	v_add_f64_e32 v[12:13], v[138:139], v[142:143]
	v_add_f64_e32 v[138:139], v[144:145], v[186:187]
	s_wait_loadcnt_dscnt 0x500
	v_mul_f64_e32 v[142:143], v[134:135], v[156:157]
	v_mul_f64_e32 v[144:145], v[136:137], v[156:157]
	v_fmac_f64_e32 v[166:167], v[6:7], v[150:151]
	v_fma_f64 v[146:147], v[4:5], v[150:151], -v[152:153]
	v_add_f64_e32 v[148:149], v[12:13], v[10:11]
	v_add_f64_e32 v[138:139], v[138:139], v[140:141]
	ds_load_b128 v[4:7], v2 offset:1856
	ds_load_b128 v[10:13], v2 offset:1872
	v_fmac_f64_e32 v[142:143], v[136:137], v[154:155]
	v_fma_f64 v[134:135], v[134:135], v[154:155], -v[144:145]
	s_wait_loadcnt_dscnt 0x401
	v_mul_f64_e32 v[140:141], v[4:5], v[160:161]
	v_mul_f64_e32 v[150:151], v[6:7], v[160:161]
	s_wait_loadcnt_dscnt 0x300
	v_mul_f64_e32 v[144:145], v[10:11], v[164:165]
	v_add_f64_e32 v[136:137], v[148:149], v[146:147]
	v_add_f64_e32 v[138:139], v[138:139], v[166:167]
	v_mul_f64_e32 v[146:147], v[12:13], v[164:165]
	v_fmac_f64_e32 v[140:141], v[6:7], v[158:159]
	v_fma_f64 v[148:149], v[4:5], v[158:159], -v[150:151]
	v_fmac_f64_e32 v[144:145], v[12:13], v[162:163]
	v_add_f64_e32 v[150:151], v[136:137], v[134:135]
	v_add_f64_e32 v[138:139], v[138:139], v[142:143]
	ds_load_b128 v[4:7], v2 offset:1888
	ds_load_b128 v[134:137], v2 offset:1904
	v_fma_f64 v[10:11], v[10:11], v[162:163], -v[146:147]
	s_wait_loadcnt_dscnt 0x201
	v_mul_f64_e32 v[2:3], v[4:5], v[172:173]
	v_mul_f64_e32 v[142:143], v[6:7], v[172:173]
	s_wait_loadcnt_dscnt 0x0
	v_mul_f64_e32 v[146:147], v[136:137], v[184:185]
	v_add_f64_e32 v[12:13], v[150:151], v[148:149]
	v_add_f64_e32 v[138:139], v[138:139], v[140:141]
	v_mul_f64_e32 v[140:141], v[134:135], v[184:185]
	v_fmac_f64_e32 v[2:3], v[6:7], v[170:171]
	v_fma_f64 v[4:5], v[4:5], v[170:171], -v[142:143]
	v_add_f64_e32 v[6:7], v[12:13], v[10:11]
	v_add_f64_e32 v[10:11], v[138:139], v[144:145]
	v_fmac_f64_e32 v[140:141], v[136:137], v[182:183]
	v_fma_f64 v[12:13], v[134:135], v[182:183], -v[146:147]
	s_delay_alu instid0(VALU_DEP_4) | instskip(NEXT) | instid1(VALU_DEP_4)
	v_add_f64_e32 v[4:5], v[6:7], v[4:5]
	v_add_f64_e32 v[2:3], v[10:11], v[2:3]
	s_delay_alu instid0(VALU_DEP_2) | instskip(NEXT) | instid1(VALU_DEP_2)
	v_add_f64_e32 v[4:5], v[4:5], v[12:13]
	v_add_f64_e32 v[6:7], v[2:3], v[140:141]
	s_delay_alu instid0(VALU_DEP_2) | instskip(NEXT) | instid1(VALU_DEP_2)
	v_add_f64_e64 v[2:3], v[178:179], -v[4:5]
	v_add_f64_e64 v[4:5], v[180:181], -v[6:7]
	scratch_store_b128 off, v[2:5], off offset:752
	s_wait_xcnt 0x0
	v_cmpx_lt_u32_e32 46, v1
	s_cbranch_execz .LBB59_281
; %bb.280:
	scratch_load_b128 v[2:5], off, s15
	v_mov_b32_e32 v10, 0
	s_delay_alu instid0(VALU_DEP_1)
	v_dual_mov_b32 v11, v10 :: v_dual_mov_b32 v12, v10
	v_mov_b32_e32 v13, v10
	scratch_store_b128 off, v[10:13], off offset:736
	s_wait_loadcnt 0x0
	ds_store_b128 v8, v[2:5]
.LBB59_281:
	s_wait_xcnt 0x0
	s_or_b32 exec_lo, exec_lo, s2
	s_wait_storecnt_dscnt 0x0
	s_barrier_signal -1
	s_barrier_wait -1
	s_clause 0x9
	scratch_load_b128 v[4:7], off, off offset:752
	scratch_load_b128 v[10:13], off, off offset:768
	scratch_load_b128 v[134:137], off, off offset:784
	scratch_load_b128 v[138:141], off, off offset:800
	scratch_load_b128 v[142:145], off, off offset:816
	scratch_load_b128 v[146:149], off, off offset:832
	scratch_load_b128 v[150:153], off, off offset:848
	scratch_load_b128 v[154:157], off, off offset:864
	scratch_load_b128 v[158:161], off, off offset:880
	scratch_load_b128 v[162:165], off, off offset:896
	v_mov_b32_e32 v2, 0
	s_mov_b32 s2, exec_lo
	ds_load_b128 v[166:169], v2 offset:1712
	s_clause 0x2
	scratch_load_b128 v[170:173], off, off offset:912
	scratch_load_b128 v[174:177], off, off offset:736
	;; [unrolled: 1-line block ×3, first 2 shown]
	s_wait_loadcnt_dscnt 0xc00
	v_mul_f64_e32 v[186:187], v[168:169], v[6:7]
	v_mul_f64_e32 v[190:191], v[166:167], v[6:7]
	ds_load_b128 v[178:181], v2 offset:1728
	v_fma_f64 v[194:195], v[166:167], v[4:5], -v[186:187]
	v_fmac_f64_e32 v[190:191], v[168:169], v[4:5]
	ds_load_b128 v[4:7], v2 offset:1744
	s_wait_loadcnt_dscnt 0xb01
	v_mul_f64_e32 v[192:193], v[178:179], v[12:13]
	v_mul_f64_e32 v[12:13], v[180:181], v[12:13]
	scratch_load_b128 v[166:169], off, off offset:944
	ds_load_b128 v[186:189], v2 offset:1760
	s_wait_loadcnt_dscnt 0xb01
	v_mul_f64_e32 v[196:197], v[4:5], v[136:137]
	v_mul_f64_e32 v[136:137], v[6:7], v[136:137]
	v_fmac_f64_e32 v[192:193], v[180:181], v[10:11]
	v_fma_f64 v[10:11], v[178:179], v[10:11], -v[12:13]
	v_add_f64_e32 v[12:13], 0, v[194:195]
	v_add_f64_e32 v[178:179], 0, v[190:191]
	s_wait_loadcnt_dscnt 0xa00
	v_mul_f64_e32 v[180:181], v[186:187], v[140:141]
	v_mul_f64_e32 v[140:141], v[188:189], v[140:141]
	v_fmac_f64_e32 v[196:197], v[6:7], v[134:135]
	v_fma_f64 v[134:135], v[4:5], v[134:135], -v[136:137]
	v_add_f64_e32 v[136:137], v[12:13], v[10:11]
	v_add_f64_e32 v[178:179], v[178:179], v[192:193]
	ds_load_b128 v[4:7], v2 offset:1776
	ds_load_b128 v[10:13], v2 offset:1792
	v_fmac_f64_e32 v[180:181], v[188:189], v[138:139]
	v_fma_f64 v[138:139], v[186:187], v[138:139], -v[140:141]
	s_wait_loadcnt_dscnt 0x901
	v_mul_f64_e32 v[190:191], v[4:5], v[144:145]
	v_mul_f64_e32 v[144:145], v[6:7], v[144:145]
	s_wait_loadcnt_dscnt 0x800
	v_mul_f64_e32 v[140:141], v[10:11], v[148:149]
	v_mul_f64_e32 v[148:149], v[12:13], v[148:149]
	v_add_f64_e32 v[134:135], v[136:137], v[134:135]
	v_add_f64_e32 v[136:137], v[178:179], v[196:197]
	v_fmac_f64_e32 v[190:191], v[6:7], v[142:143]
	v_fma_f64 v[142:143], v[4:5], v[142:143], -v[144:145]
	v_fmac_f64_e32 v[140:141], v[12:13], v[146:147]
	v_fma_f64 v[10:11], v[10:11], v[146:147], -v[148:149]
	v_add_f64_e32 v[138:139], v[134:135], v[138:139]
	v_add_f64_e32 v[144:145], v[136:137], v[180:181]
	ds_load_b128 v[4:7], v2 offset:1808
	ds_load_b128 v[134:137], v2 offset:1824
	s_wait_loadcnt_dscnt 0x701
	v_mul_f64_e32 v[178:179], v[4:5], v[152:153]
	v_mul_f64_e32 v[152:153], v[6:7], v[152:153]
	v_add_f64_e32 v[12:13], v[138:139], v[142:143]
	v_add_f64_e32 v[138:139], v[144:145], v[190:191]
	s_wait_loadcnt_dscnt 0x600
	v_mul_f64_e32 v[142:143], v[134:135], v[156:157]
	v_mul_f64_e32 v[144:145], v[136:137], v[156:157]
	v_fmac_f64_e32 v[178:179], v[6:7], v[150:151]
	v_fma_f64 v[146:147], v[4:5], v[150:151], -v[152:153]
	v_add_f64_e32 v[148:149], v[12:13], v[10:11]
	v_add_f64_e32 v[138:139], v[138:139], v[140:141]
	ds_load_b128 v[4:7], v2 offset:1840
	ds_load_b128 v[10:13], v2 offset:1856
	v_fmac_f64_e32 v[142:143], v[136:137], v[154:155]
	v_fma_f64 v[134:135], v[134:135], v[154:155], -v[144:145]
	s_wait_loadcnt_dscnt 0x501
	v_mul_f64_e32 v[140:141], v[4:5], v[160:161]
	v_mul_f64_e32 v[150:151], v[6:7], v[160:161]
	s_wait_loadcnt_dscnt 0x400
	v_mul_f64_e32 v[144:145], v[10:11], v[164:165]
	v_add_f64_e32 v[136:137], v[148:149], v[146:147]
	v_add_f64_e32 v[138:139], v[138:139], v[178:179]
	v_mul_f64_e32 v[146:147], v[12:13], v[164:165]
	v_fmac_f64_e32 v[140:141], v[6:7], v[158:159]
	v_fma_f64 v[148:149], v[4:5], v[158:159], -v[150:151]
	v_fmac_f64_e32 v[144:145], v[12:13], v[162:163]
	v_add_f64_e32 v[150:151], v[136:137], v[134:135]
	v_add_f64_e32 v[138:139], v[138:139], v[142:143]
	ds_load_b128 v[4:7], v2 offset:1872
	ds_load_b128 v[134:137], v2 offset:1888
	v_fma_f64 v[10:11], v[10:11], v[162:163], -v[146:147]
	s_wait_loadcnt_dscnt 0x301
	v_mul_f64_e32 v[142:143], v[4:5], v[172:173]
	v_mul_f64_e32 v[152:153], v[6:7], v[172:173]
	s_wait_loadcnt_dscnt 0x100
	v_mul_f64_e32 v[146:147], v[136:137], v[184:185]
	v_add_f64_e32 v[12:13], v[150:151], v[148:149]
	v_add_f64_e32 v[138:139], v[138:139], v[140:141]
	v_mul_f64_e32 v[140:141], v[134:135], v[184:185]
	v_fmac_f64_e32 v[142:143], v[6:7], v[170:171]
	v_fma_f64 v[148:149], v[4:5], v[170:171], -v[152:153]
	ds_load_b128 v[4:7], v2 offset:1904
	v_fma_f64 v[134:135], v[134:135], v[182:183], -v[146:147]
	v_add_f64_e32 v[10:11], v[12:13], v[10:11]
	v_add_f64_e32 v[12:13], v[138:139], v[144:145]
	v_fmac_f64_e32 v[140:141], v[136:137], v[182:183]
	s_wait_loadcnt_dscnt 0x0
	v_mul_f64_e32 v[138:139], v[4:5], v[168:169]
	v_mul_f64_e32 v[144:145], v[6:7], v[168:169]
	v_add_f64_e32 v[10:11], v[10:11], v[148:149]
	v_add_f64_e32 v[12:13], v[12:13], v[142:143]
	s_delay_alu instid0(VALU_DEP_4) | instskip(NEXT) | instid1(VALU_DEP_4)
	v_fmac_f64_e32 v[138:139], v[6:7], v[166:167]
	v_fma_f64 v[4:5], v[4:5], v[166:167], -v[144:145]
	s_delay_alu instid0(VALU_DEP_4) | instskip(NEXT) | instid1(VALU_DEP_4)
	v_add_f64_e32 v[6:7], v[10:11], v[134:135]
	v_add_f64_e32 v[10:11], v[12:13], v[140:141]
	s_delay_alu instid0(VALU_DEP_2) | instskip(NEXT) | instid1(VALU_DEP_2)
	v_add_f64_e32 v[4:5], v[6:7], v[4:5]
	v_add_f64_e32 v[6:7], v[10:11], v[138:139]
	s_delay_alu instid0(VALU_DEP_2) | instskip(NEXT) | instid1(VALU_DEP_2)
	v_add_f64_e64 v[4:5], v[174:175], -v[4:5]
	v_add_f64_e64 v[6:7], v[176:177], -v[6:7]
	scratch_store_b128 off, v[4:7], off offset:736
	s_wait_xcnt 0x0
	v_cmpx_lt_u32_e32 45, v1
	s_cbranch_execz .LBB59_283
; %bb.282:
	scratch_load_b128 v[10:13], off, s14
	v_dual_mov_b32 v3, v2 :: v_dual_mov_b32 v4, v2
	v_mov_b32_e32 v5, v2
	scratch_store_b128 off, v[2:5], off offset:720
	s_wait_loadcnt 0x0
	ds_store_b128 v8, v[10:13]
.LBB59_283:
	s_wait_xcnt 0x0
	s_or_b32 exec_lo, exec_lo, s2
	s_wait_storecnt_dscnt 0x0
	s_barrier_signal -1
	s_barrier_wait -1
	s_clause 0x9
	scratch_load_b128 v[4:7], off, off offset:736
	scratch_load_b128 v[10:13], off, off offset:752
	;; [unrolled: 1-line block ×10, first 2 shown]
	ds_load_b128 v[166:169], v2 offset:1696
	ds_load_b128 v[174:177], v2 offset:1712
	s_clause 0x2
	scratch_load_b128 v[170:173], off, off offset:896
	scratch_load_b128 v[178:181], off, off offset:720
	;; [unrolled: 1-line block ×3, first 2 shown]
	s_mov_b32 s2, exec_lo
	s_wait_loadcnt_dscnt 0xc01
	v_mul_f64_e32 v[186:187], v[168:169], v[6:7]
	v_mul_f64_e32 v[190:191], v[166:167], v[6:7]
	s_wait_loadcnt_dscnt 0xb00
	v_mul_f64_e32 v[192:193], v[174:175], v[12:13]
	v_mul_f64_e32 v[12:13], v[176:177], v[12:13]
	s_delay_alu instid0(VALU_DEP_4) | instskip(NEXT) | instid1(VALU_DEP_4)
	v_fma_f64 v[194:195], v[166:167], v[4:5], -v[186:187]
	v_fmac_f64_e32 v[190:191], v[168:169], v[4:5]
	ds_load_b128 v[4:7], v2 offset:1728
	ds_load_b128 v[166:169], v2 offset:1744
	scratch_load_b128 v[186:189], off, off offset:928
	v_fmac_f64_e32 v[192:193], v[176:177], v[10:11]
	v_fma_f64 v[174:175], v[174:175], v[10:11], -v[12:13]
	scratch_load_b128 v[10:13], off, off offset:944
	s_wait_loadcnt_dscnt 0xc01
	v_mul_f64_e32 v[196:197], v[4:5], v[136:137]
	v_mul_f64_e32 v[136:137], v[6:7], v[136:137]
	v_add_f64_e32 v[176:177], 0, v[194:195]
	v_add_f64_e32 v[190:191], 0, v[190:191]
	s_wait_loadcnt_dscnt 0xb00
	v_mul_f64_e32 v[194:195], v[166:167], v[140:141]
	v_mul_f64_e32 v[140:141], v[168:169], v[140:141]
	v_fmac_f64_e32 v[196:197], v[6:7], v[134:135]
	v_fma_f64 v[198:199], v[4:5], v[134:135], -v[136:137]
	ds_load_b128 v[4:7], v2 offset:1760
	ds_load_b128 v[134:137], v2 offset:1776
	v_add_f64_e32 v[174:175], v[176:177], v[174:175]
	v_add_f64_e32 v[176:177], v[190:191], v[192:193]
	v_fmac_f64_e32 v[194:195], v[168:169], v[138:139]
	v_fma_f64 v[138:139], v[166:167], v[138:139], -v[140:141]
	s_wait_loadcnt_dscnt 0xa01
	v_mul_f64_e32 v[190:191], v[4:5], v[144:145]
	v_mul_f64_e32 v[144:145], v[6:7], v[144:145]
	s_wait_loadcnt_dscnt 0x900
	v_mul_f64_e32 v[168:169], v[134:135], v[148:149]
	v_mul_f64_e32 v[148:149], v[136:137], v[148:149]
	v_add_f64_e32 v[140:141], v[174:175], v[198:199]
	v_add_f64_e32 v[166:167], v[176:177], v[196:197]
	v_fmac_f64_e32 v[190:191], v[6:7], v[142:143]
	v_fma_f64 v[142:143], v[4:5], v[142:143], -v[144:145]
	v_fmac_f64_e32 v[168:169], v[136:137], v[146:147]
	v_fma_f64 v[134:135], v[134:135], v[146:147], -v[148:149]
	v_add_f64_e32 v[144:145], v[140:141], v[138:139]
	v_add_f64_e32 v[166:167], v[166:167], v[194:195]
	ds_load_b128 v[4:7], v2 offset:1792
	ds_load_b128 v[138:141], v2 offset:1808
	s_wait_loadcnt_dscnt 0x801
	v_mul_f64_e32 v[174:175], v[4:5], v[152:153]
	v_mul_f64_e32 v[152:153], v[6:7], v[152:153]
	s_wait_loadcnt_dscnt 0x700
	v_mul_f64_e32 v[146:147], v[140:141], v[156:157]
	v_add_f64_e32 v[136:137], v[144:145], v[142:143]
	v_add_f64_e32 v[142:143], v[166:167], v[190:191]
	v_mul_f64_e32 v[144:145], v[138:139], v[156:157]
	v_fmac_f64_e32 v[174:175], v[6:7], v[150:151]
	v_fma_f64 v[148:149], v[4:5], v[150:151], -v[152:153]
	v_fma_f64 v[138:139], v[138:139], v[154:155], -v[146:147]
	v_add_f64_e32 v[150:151], v[136:137], v[134:135]
	v_add_f64_e32 v[142:143], v[142:143], v[168:169]
	ds_load_b128 v[4:7], v2 offset:1824
	ds_load_b128 v[134:137], v2 offset:1840
	v_fmac_f64_e32 v[144:145], v[140:141], v[154:155]
	s_wait_loadcnt_dscnt 0x601
	v_mul_f64_e32 v[152:153], v[4:5], v[160:161]
	v_mul_f64_e32 v[156:157], v[6:7], v[160:161]
	s_wait_loadcnt_dscnt 0x500
	v_mul_f64_e32 v[146:147], v[134:135], v[164:165]
	v_add_f64_e32 v[140:141], v[150:151], v[148:149]
	v_add_f64_e32 v[142:143], v[142:143], v[174:175]
	v_mul_f64_e32 v[148:149], v[136:137], v[164:165]
	v_fmac_f64_e32 v[152:153], v[6:7], v[158:159]
	v_fma_f64 v[150:151], v[4:5], v[158:159], -v[156:157]
	v_fmac_f64_e32 v[146:147], v[136:137], v[162:163]
	v_add_f64_e32 v[154:155], v[140:141], v[138:139]
	v_add_f64_e32 v[142:143], v[142:143], v[144:145]
	ds_load_b128 v[4:7], v2 offset:1856
	ds_load_b128 v[138:141], v2 offset:1872
	v_fma_f64 v[134:135], v[134:135], v[162:163], -v[148:149]
	s_wait_loadcnt_dscnt 0x401
	v_mul_f64_e32 v[144:145], v[4:5], v[172:173]
	v_mul_f64_e32 v[156:157], v[6:7], v[172:173]
	s_wait_loadcnt_dscnt 0x200
	v_mul_f64_e32 v[148:149], v[138:139], v[184:185]
	v_add_f64_e32 v[136:137], v[154:155], v[150:151]
	v_add_f64_e32 v[142:143], v[142:143], v[152:153]
	v_mul_f64_e32 v[150:151], v[140:141], v[184:185]
	v_fmac_f64_e32 v[144:145], v[6:7], v[170:171]
	v_fma_f64 v[152:153], v[4:5], v[170:171], -v[156:157]
	v_fmac_f64_e32 v[148:149], v[140:141], v[182:183]
	v_add_f64_e32 v[154:155], v[136:137], v[134:135]
	v_add_f64_e32 v[142:143], v[142:143], v[146:147]
	ds_load_b128 v[4:7], v2 offset:1888
	ds_load_b128 v[134:137], v2 offset:1904
	v_fma_f64 v[138:139], v[138:139], v[182:183], -v[150:151]
	s_wait_loadcnt_dscnt 0x101
	v_mul_f64_e32 v[2:3], v[4:5], v[188:189]
	v_mul_f64_e32 v[146:147], v[6:7], v[188:189]
	v_add_f64_e32 v[140:141], v[154:155], v[152:153]
	v_add_f64_e32 v[142:143], v[142:143], v[144:145]
	s_wait_loadcnt_dscnt 0x0
	v_mul_f64_e32 v[144:145], v[134:135], v[12:13]
	v_mul_f64_e32 v[12:13], v[136:137], v[12:13]
	v_fmac_f64_e32 v[2:3], v[6:7], v[186:187]
	v_fma_f64 v[4:5], v[4:5], v[186:187], -v[146:147]
	v_add_f64_e32 v[6:7], v[140:141], v[138:139]
	v_add_f64_e32 v[138:139], v[142:143], v[148:149]
	v_fmac_f64_e32 v[144:145], v[136:137], v[10:11]
	v_fma_f64 v[10:11], v[134:135], v[10:11], -v[12:13]
	s_delay_alu instid0(VALU_DEP_4) | instskip(NEXT) | instid1(VALU_DEP_4)
	v_add_f64_e32 v[4:5], v[6:7], v[4:5]
	v_add_f64_e32 v[2:3], v[138:139], v[2:3]
	s_delay_alu instid0(VALU_DEP_2) | instskip(NEXT) | instid1(VALU_DEP_2)
	v_add_f64_e32 v[4:5], v[4:5], v[10:11]
	v_add_f64_e32 v[6:7], v[2:3], v[144:145]
	s_delay_alu instid0(VALU_DEP_2) | instskip(NEXT) | instid1(VALU_DEP_2)
	v_add_f64_e64 v[2:3], v[178:179], -v[4:5]
	v_add_f64_e64 v[4:5], v[180:181], -v[6:7]
	scratch_store_b128 off, v[2:5], off offset:720
	s_wait_xcnt 0x0
	v_cmpx_lt_u32_e32 44, v1
	s_cbranch_execz .LBB59_285
; %bb.284:
	scratch_load_b128 v[2:5], off, s21
	v_mov_b32_e32 v10, 0
	s_delay_alu instid0(VALU_DEP_1)
	v_dual_mov_b32 v11, v10 :: v_dual_mov_b32 v12, v10
	v_mov_b32_e32 v13, v10
	scratch_store_b128 off, v[10:13], off offset:704
	s_wait_loadcnt 0x0
	ds_store_b128 v8, v[2:5]
.LBB59_285:
	s_wait_xcnt 0x0
	s_or_b32 exec_lo, exec_lo, s2
	s_wait_storecnt_dscnt 0x0
	s_barrier_signal -1
	s_barrier_wait -1
	s_clause 0x9
	scratch_load_b128 v[4:7], off, off offset:720
	scratch_load_b128 v[10:13], off, off offset:736
	;; [unrolled: 1-line block ×10, first 2 shown]
	v_mov_b32_e32 v2, 0
	s_mov_b32 s2, exec_lo
	ds_load_b128 v[166:169], v2 offset:1680
	s_clause 0x2
	scratch_load_b128 v[170:173], off, off offset:880
	scratch_load_b128 v[174:177], off, off offset:704
	;; [unrolled: 1-line block ×3, first 2 shown]
	s_wait_loadcnt_dscnt 0xc00
	v_mul_f64_e32 v[186:187], v[168:169], v[6:7]
	v_mul_f64_e32 v[190:191], v[166:167], v[6:7]
	ds_load_b128 v[178:181], v2 offset:1696
	v_fma_f64 v[194:195], v[166:167], v[4:5], -v[186:187]
	v_fmac_f64_e32 v[190:191], v[168:169], v[4:5]
	ds_load_b128 v[4:7], v2 offset:1712
	s_wait_loadcnt_dscnt 0xb01
	v_mul_f64_e32 v[192:193], v[178:179], v[12:13]
	v_mul_f64_e32 v[12:13], v[180:181], v[12:13]
	scratch_load_b128 v[166:169], off, off offset:912
	ds_load_b128 v[186:189], v2 offset:1728
	s_wait_loadcnt_dscnt 0xb01
	v_mul_f64_e32 v[196:197], v[4:5], v[136:137]
	v_mul_f64_e32 v[136:137], v[6:7], v[136:137]
	v_add_f64_e32 v[190:191], 0, v[190:191]
	v_fmac_f64_e32 v[192:193], v[180:181], v[10:11]
	v_fma_f64 v[178:179], v[178:179], v[10:11], -v[12:13]
	v_add_f64_e32 v[180:181], 0, v[194:195]
	scratch_load_b128 v[10:13], off, off offset:928
	v_fmac_f64_e32 v[196:197], v[6:7], v[134:135]
	v_fma_f64 v[198:199], v[4:5], v[134:135], -v[136:137]
	ds_load_b128 v[4:7], v2 offset:1744
	s_wait_loadcnt_dscnt 0xb01
	v_mul_f64_e32 v[194:195], v[186:187], v[140:141]
	v_mul_f64_e32 v[140:141], v[188:189], v[140:141]
	scratch_load_b128 v[134:137], off, off offset:944
	v_add_f64_e32 v[190:191], v[190:191], v[192:193]
	v_add_f64_e32 v[200:201], v[180:181], v[178:179]
	ds_load_b128 v[178:181], v2 offset:1760
	s_wait_loadcnt_dscnt 0xb01
	v_mul_f64_e32 v[192:193], v[4:5], v[144:145]
	v_mul_f64_e32 v[144:145], v[6:7], v[144:145]
	v_fmac_f64_e32 v[194:195], v[188:189], v[138:139]
	v_fma_f64 v[138:139], v[186:187], v[138:139], -v[140:141]
	s_wait_loadcnt_dscnt 0xa00
	v_mul_f64_e32 v[188:189], v[178:179], v[148:149]
	v_mul_f64_e32 v[148:149], v[180:181], v[148:149]
	v_add_f64_e32 v[186:187], v[190:191], v[196:197]
	v_add_f64_e32 v[140:141], v[200:201], v[198:199]
	v_fmac_f64_e32 v[192:193], v[6:7], v[142:143]
	v_fma_f64 v[142:143], v[4:5], v[142:143], -v[144:145]
	v_fmac_f64_e32 v[188:189], v[180:181], v[146:147]
	v_fma_f64 v[146:147], v[178:179], v[146:147], -v[148:149]
	v_add_f64_e32 v[186:187], v[186:187], v[194:195]
	v_add_f64_e32 v[144:145], v[140:141], v[138:139]
	ds_load_b128 v[4:7], v2 offset:1776
	ds_load_b128 v[138:141], v2 offset:1792
	s_wait_loadcnt_dscnt 0x901
	v_mul_f64_e32 v[190:191], v[4:5], v[152:153]
	v_mul_f64_e32 v[152:153], v[6:7], v[152:153]
	s_wait_loadcnt_dscnt 0x800
	v_mul_f64_e32 v[148:149], v[138:139], v[156:157]
	v_mul_f64_e32 v[156:157], v[140:141], v[156:157]
	v_add_f64_e32 v[142:143], v[144:145], v[142:143]
	v_add_f64_e32 v[144:145], v[186:187], v[192:193]
	v_fmac_f64_e32 v[190:191], v[6:7], v[150:151]
	v_fma_f64 v[150:151], v[4:5], v[150:151], -v[152:153]
	v_fmac_f64_e32 v[148:149], v[140:141], v[154:155]
	v_fma_f64 v[138:139], v[138:139], v[154:155], -v[156:157]
	v_add_f64_e32 v[146:147], v[142:143], v[146:147]
	v_add_f64_e32 v[152:153], v[144:145], v[188:189]
	ds_load_b128 v[4:7], v2 offset:1808
	ds_load_b128 v[142:145], v2 offset:1824
	s_wait_loadcnt_dscnt 0x701
	v_mul_f64_e32 v[178:179], v[4:5], v[160:161]
	v_mul_f64_e32 v[160:161], v[6:7], v[160:161]
	v_add_f64_e32 v[140:141], v[146:147], v[150:151]
	v_add_f64_e32 v[146:147], v[152:153], v[190:191]
	s_wait_loadcnt_dscnt 0x600
	v_mul_f64_e32 v[150:151], v[142:143], v[164:165]
	v_mul_f64_e32 v[152:153], v[144:145], v[164:165]
	v_fmac_f64_e32 v[178:179], v[6:7], v[158:159]
	v_fma_f64 v[154:155], v[4:5], v[158:159], -v[160:161]
	v_add_f64_e32 v[156:157], v[140:141], v[138:139]
	v_add_f64_e32 v[146:147], v[146:147], v[148:149]
	ds_load_b128 v[4:7], v2 offset:1840
	ds_load_b128 v[138:141], v2 offset:1856
	v_fmac_f64_e32 v[150:151], v[144:145], v[162:163]
	v_fma_f64 v[142:143], v[142:143], v[162:163], -v[152:153]
	s_wait_loadcnt_dscnt 0x501
	v_mul_f64_e32 v[148:149], v[4:5], v[172:173]
	v_mul_f64_e32 v[158:159], v[6:7], v[172:173]
	s_wait_loadcnt_dscnt 0x300
	v_mul_f64_e32 v[152:153], v[138:139], v[184:185]
	v_add_f64_e32 v[144:145], v[156:157], v[154:155]
	v_add_f64_e32 v[146:147], v[146:147], v[178:179]
	v_mul_f64_e32 v[154:155], v[140:141], v[184:185]
	v_fmac_f64_e32 v[148:149], v[6:7], v[170:171]
	v_fma_f64 v[156:157], v[4:5], v[170:171], -v[158:159]
	v_fmac_f64_e32 v[152:153], v[140:141], v[182:183]
	v_add_f64_e32 v[158:159], v[144:145], v[142:143]
	v_add_f64_e32 v[146:147], v[146:147], v[150:151]
	ds_load_b128 v[4:7], v2 offset:1872
	ds_load_b128 v[142:145], v2 offset:1888
	v_fma_f64 v[138:139], v[138:139], v[182:183], -v[154:155]
	s_wait_loadcnt_dscnt 0x201
	v_mul_f64_e32 v[150:151], v[4:5], v[168:169]
	v_mul_f64_e32 v[160:161], v[6:7], v[168:169]
	v_add_f64_e32 v[140:141], v[158:159], v[156:157]
	v_add_f64_e32 v[146:147], v[146:147], v[148:149]
	s_wait_loadcnt_dscnt 0x100
	v_mul_f64_e32 v[148:149], v[142:143], v[12:13]
	v_mul_f64_e32 v[12:13], v[144:145], v[12:13]
	v_fmac_f64_e32 v[150:151], v[6:7], v[166:167]
	v_fma_f64 v[154:155], v[4:5], v[166:167], -v[160:161]
	ds_load_b128 v[4:7], v2 offset:1904
	v_add_f64_e32 v[138:139], v[140:141], v[138:139]
	v_add_f64_e32 v[140:141], v[146:147], v[152:153]
	v_fmac_f64_e32 v[148:149], v[144:145], v[10:11]
	v_fma_f64 v[10:11], v[142:143], v[10:11], -v[12:13]
	s_wait_loadcnt_dscnt 0x0
	v_mul_f64_e32 v[146:147], v[4:5], v[136:137]
	v_mul_f64_e32 v[136:137], v[6:7], v[136:137]
	v_add_f64_e32 v[12:13], v[138:139], v[154:155]
	v_add_f64_e32 v[138:139], v[140:141], v[150:151]
	s_delay_alu instid0(VALU_DEP_4) | instskip(NEXT) | instid1(VALU_DEP_4)
	v_fmac_f64_e32 v[146:147], v[6:7], v[134:135]
	v_fma_f64 v[4:5], v[4:5], v[134:135], -v[136:137]
	s_delay_alu instid0(VALU_DEP_4) | instskip(NEXT) | instid1(VALU_DEP_4)
	v_add_f64_e32 v[6:7], v[12:13], v[10:11]
	v_add_f64_e32 v[10:11], v[138:139], v[148:149]
	s_delay_alu instid0(VALU_DEP_2) | instskip(NEXT) | instid1(VALU_DEP_2)
	v_add_f64_e32 v[4:5], v[6:7], v[4:5]
	v_add_f64_e32 v[6:7], v[10:11], v[146:147]
	s_delay_alu instid0(VALU_DEP_2) | instskip(NEXT) | instid1(VALU_DEP_2)
	v_add_f64_e64 v[4:5], v[174:175], -v[4:5]
	v_add_f64_e64 v[6:7], v[176:177], -v[6:7]
	scratch_store_b128 off, v[4:7], off offset:704
	s_wait_xcnt 0x0
	v_cmpx_lt_u32_e32 43, v1
	s_cbranch_execz .LBB59_287
; %bb.286:
	scratch_load_b128 v[10:13], off, s20
	v_dual_mov_b32 v3, v2 :: v_dual_mov_b32 v4, v2
	v_mov_b32_e32 v5, v2
	scratch_store_b128 off, v[2:5], off offset:688
	s_wait_loadcnt 0x0
	ds_store_b128 v8, v[10:13]
.LBB59_287:
	s_wait_xcnt 0x0
	s_or_b32 exec_lo, exec_lo, s2
	s_wait_storecnt_dscnt 0x0
	s_barrier_signal -1
	s_barrier_wait -1
	s_clause 0x9
	scratch_load_b128 v[4:7], off, off offset:704
	scratch_load_b128 v[10:13], off, off offset:720
	scratch_load_b128 v[134:137], off, off offset:736
	scratch_load_b128 v[138:141], off, off offset:752
	scratch_load_b128 v[142:145], off, off offset:768
	scratch_load_b128 v[146:149], off, off offset:784
	scratch_load_b128 v[150:153], off, off offset:800
	scratch_load_b128 v[154:157], off, off offset:816
	scratch_load_b128 v[158:161], off, off offset:832
	scratch_load_b128 v[162:165], off, off offset:848
	ds_load_b128 v[166:169], v2 offset:1664
	ds_load_b128 v[174:177], v2 offset:1680
	s_clause 0x2
	scratch_load_b128 v[170:173], off, off offset:864
	scratch_load_b128 v[178:181], off, off offset:688
	;; [unrolled: 1-line block ×3, first 2 shown]
	s_mov_b32 s2, exec_lo
	s_wait_loadcnt_dscnt 0xc01
	v_mul_f64_e32 v[186:187], v[168:169], v[6:7]
	v_mul_f64_e32 v[190:191], v[166:167], v[6:7]
	s_wait_loadcnt_dscnt 0xb00
	v_mul_f64_e32 v[192:193], v[174:175], v[12:13]
	v_mul_f64_e32 v[12:13], v[176:177], v[12:13]
	s_delay_alu instid0(VALU_DEP_4) | instskip(NEXT) | instid1(VALU_DEP_4)
	v_fma_f64 v[194:195], v[166:167], v[4:5], -v[186:187]
	v_fmac_f64_e32 v[190:191], v[168:169], v[4:5]
	ds_load_b128 v[4:7], v2 offset:1696
	ds_load_b128 v[166:169], v2 offset:1712
	scratch_load_b128 v[186:189], off, off offset:896
	v_fmac_f64_e32 v[192:193], v[176:177], v[10:11]
	v_fma_f64 v[174:175], v[174:175], v[10:11], -v[12:13]
	scratch_load_b128 v[10:13], off, off offset:912
	s_wait_loadcnt_dscnt 0xc01
	v_mul_f64_e32 v[196:197], v[4:5], v[136:137]
	v_mul_f64_e32 v[136:137], v[6:7], v[136:137]
	v_add_f64_e32 v[176:177], 0, v[194:195]
	v_add_f64_e32 v[190:191], 0, v[190:191]
	s_wait_loadcnt_dscnt 0xb00
	v_mul_f64_e32 v[194:195], v[166:167], v[140:141]
	v_mul_f64_e32 v[140:141], v[168:169], v[140:141]
	v_fmac_f64_e32 v[196:197], v[6:7], v[134:135]
	v_fma_f64 v[198:199], v[4:5], v[134:135], -v[136:137]
	ds_load_b128 v[4:7], v2 offset:1728
	ds_load_b128 v[134:137], v2 offset:1744
	v_add_f64_e32 v[200:201], v[176:177], v[174:175]
	v_add_f64_e32 v[190:191], v[190:191], v[192:193]
	scratch_load_b128 v[174:177], off, off offset:928
	v_fmac_f64_e32 v[194:195], v[168:169], v[138:139]
	v_fma_f64 v[166:167], v[166:167], v[138:139], -v[140:141]
	scratch_load_b128 v[138:141], off, off offset:944
	s_wait_loadcnt_dscnt 0xc01
	v_mul_f64_e32 v[192:193], v[4:5], v[144:145]
	v_mul_f64_e32 v[144:145], v[6:7], v[144:145]
	v_add_f64_e32 v[168:169], v[200:201], v[198:199]
	v_add_f64_e32 v[190:191], v[190:191], v[196:197]
	s_wait_loadcnt_dscnt 0xb00
	v_mul_f64_e32 v[196:197], v[134:135], v[148:149]
	v_mul_f64_e32 v[148:149], v[136:137], v[148:149]
	v_fmac_f64_e32 v[192:193], v[6:7], v[142:143]
	v_fma_f64 v[198:199], v[4:5], v[142:143], -v[144:145]
	ds_load_b128 v[4:7], v2 offset:1760
	ds_load_b128 v[142:145], v2 offset:1776
	v_add_f64_e32 v[166:167], v[168:169], v[166:167]
	v_add_f64_e32 v[168:169], v[190:191], v[194:195]
	s_wait_loadcnt_dscnt 0xa01
	v_mul_f64_e32 v[190:191], v[4:5], v[152:153]
	v_mul_f64_e32 v[152:153], v[6:7], v[152:153]
	v_fmac_f64_e32 v[196:197], v[136:137], v[146:147]
	v_fma_f64 v[134:135], v[134:135], v[146:147], -v[148:149]
	s_wait_loadcnt_dscnt 0x900
	v_mul_f64_e32 v[148:149], v[142:143], v[156:157]
	v_mul_f64_e32 v[156:157], v[144:145], v[156:157]
	v_add_f64_e32 v[136:137], v[166:167], v[198:199]
	v_add_f64_e32 v[146:147], v[168:169], v[192:193]
	v_fmac_f64_e32 v[190:191], v[6:7], v[150:151]
	v_fma_f64 v[150:151], v[4:5], v[150:151], -v[152:153]
	v_fmac_f64_e32 v[148:149], v[144:145], v[154:155]
	v_fma_f64 v[142:143], v[142:143], v[154:155], -v[156:157]
	v_add_f64_e32 v[152:153], v[136:137], v[134:135]
	v_add_f64_e32 v[146:147], v[146:147], v[196:197]
	ds_load_b128 v[4:7], v2 offset:1792
	ds_load_b128 v[134:137], v2 offset:1808
	s_wait_loadcnt_dscnt 0x801
	v_mul_f64_e32 v[166:167], v[4:5], v[160:161]
	v_mul_f64_e32 v[160:161], v[6:7], v[160:161]
	v_add_f64_e32 v[144:145], v[152:153], v[150:151]
	v_add_f64_e32 v[146:147], v[146:147], v[190:191]
	s_wait_loadcnt_dscnt 0x700
	v_mul_f64_e32 v[150:151], v[134:135], v[164:165]
	v_mul_f64_e32 v[152:153], v[136:137], v[164:165]
	v_fmac_f64_e32 v[166:167], v[6:7], v[158:159]
	v_fma_f64 v[154:155], v[4:5], v[158:159], -v[160:161]
	v_add_f64_e32 v[156:157], v[144:145], v[142:143]
	v_add_f64_e32 v[146:147], v[146:147], v[148:149]
	ds_load_b128 v[4:7], v2 offset:1824
	ds_load_b128 v[142:145], v2 offset:1840
	v_fmac_f64_e32 v[150:151], v[136:137], v[162:163]
	v_fma_f64 v[134:135], v[134:135], v[162:163], -v[152:153]
	s_wait_loadcnt_dscnt 0x601
	v_mul_f64_e32 v[148:149], v[4:5], v[172:173]
	v_mul_f64_e32 v[158:159], v[6:7], v[172:173]
	s_wait_loadcnt_dscnt 0x400
	v_mul_f64_e32 v[152:153], v[142:143], v[184:185]
	v_add_f64_e32 v[136:137], v[156:157], v[154:155]
	v_add_f64_e32 v[146:147], v[146:147], v[166:167]
	v_mul_f64_e32 v[154:155], v[144:145], v[184:185]
	v_fmac_f64_e32 v[148:149], v[6:7], v[170:171]
	v_fma_f64 v[156:157], v[4:5], v[170:171], -v[158:159]
	v_fmac_f64_e32 v[152:153], v[144:145], v[182:183]
	v_add_f64_e32 v[158:159], v[136:137], v[134:135]
	v_add_f64_e32 v[146:147], v[146:147], v[150:151]
	ds_load_b128 v[4:7], v2 offset:1856
	ds_load_b128 v[134:137], v2 offset:1872
	v_fma_f64 v[142:143], v[142:143], v[182:183], -v[154:155]
	s_wait_loadcnt_dscnt 0x301
	v_mul_f64_e32 v[150:151], v[4:5], v[188:189]
	v_mul_f64_e32 v[160:161], v[6:7], v[188:189]
	v_add_f64_e32 v[144:145], v[158:159], v[156:157]
	v_add_f64_e32 v[146:147], v[146:147], v[148:149]
	s_wait_loadcnt_dscnt 0x200
	v_mul_f64_e32 v[148:149], v[134:135], v[12:13]
	v_mul_f64_e32 v[12:13], v[136:137], v[12:13]
	v_fmac_f64_e32 v[150:151], v[6:7], v[186:187]
	v_fma_f64 v[154:155], v[4:5], v[186:187], -v[160:161]
	v_add_f64_e32 v[156:157], v[144:145], v[142:143]
	v_add_f64_e32 v[146:147], v[146:147], v[152:153]
	ds_load_b128 v[4:7], v2 offset:1888
	ds_load_b128 v[142:145], v2 offset:1904
	v_fmac_f64_e32 v[148:149], v[136:137], v[10:11]
	v_fma_f64 v[10:11], v[134:135], v[10:11], -v[12:13]
	s_wait_loadcnt_dscnt 0x101
	v_mul_f64_e32 v[2:3], v[4:5], v[176:177]
	v_mul_f64_e32 v[152:153], v[6:7], v[176:177]
	s_wait_loadcnt_dscnt 0x0
	v_mul_f64_e32 v[136:137], v[142:143], v[140:141]
	v_mul_f64_e32 v[140:141], v[144:145], v[140:141]
	v_add_f64_e32 v[12:13], v[156:157], v[154:155]
	v_add_f64_e32 v[134:135], v[146:147], v[150:151]
	v_fmac_f64_e32 v[2:3], v[6:7], v[174:175]
	v_fma_f64 v[4:5], v[4:5], v[174:175], -v[152:153]
	v_fmac_f64_e32 v[136:137], v[144:145], v[138:139]
	v_add_f64_e32 v[6:7], v[12:13], v[10:11]
	v_add_f64_e32 v[10:11], v[134:135], v[148:149]
	v_fma_f64 v[12:13], v[142:143], v[138:139], -v[140:141]
	s_delay_alu instid0(VALU_DEP_3) | instskip(NEXT) | instid1(VALU_DEP_3)
	v_add_f64_e32 v[4:5], v[6:7], v[4:5]
	v_add_f64_e32 v[2:3], v[10:11], v[2:3]
	s_delay_alu instid0(VALU_DEP_2) | instskip(NEXT) | instid1(VALU_DEP_2)
	v_add_f64_e32 v[4:5], v[4:5], v[12:13]
	v_add_f64_e32 v[6:7], v[2:3], v[136:137]
	s_delay_alu instid0(VALU_DEP_2) | instskip(NEXT) | instid1(VALU_DEP_2)
	v_add_f64_e64 v[2:3], v[178:179], -v[4:5]
	v_add_f64_e64 v[4:5], v[180:181], -v[6:7]
	scratch_store_b128 off, v[2:5], off offset:688
	s_wait_xcnt 0x0
	v_cmpx_lt_u32_e32 42, v1
	s_cbranch_execz .LBB59_289
; %bb.288:
	scratch_load_b128 v[2:5], off, s23
	v_mov_b32_e32 v10, 0
	s_delay_alu instid0(VALU_DEP_1)
	v_dual_mov_b32 v11, v10 :: v_dual_mov_b32 v12, v10
	v_mov_b32_e32 v13, v10
	scratch_store_b128 off, v[10:13], off offset:672
	s_wait_loadcnt 0x0
	ds_store_b128 v8, v[2:5]
.LBB59_289:
	s_wait_xcnt 0x0
	s_or_b32 exec_lo, exec_lo, s2
	s_wait_storecnt_dscnt 0x0
	s_barrier_signal -1
	s_barrier_wait -1
	s_clause 0x9
	scratch_load_b128 v[4:7], off, off offset:688
	scratch_load_b128 v[10:13], off, off offset:704
	;; [unrolled: 1-line block ×10, first 2 shown]
	v_mov_b32_e32 v2, 0
	s_mov_b32 s2, exec_lo
	ds_load_b128 v[166:169], v2 offset:1648
	s_clause 0x2
	scratch_load_b128 v[170:173], off, off offset:848
	scratch_load_b128 v[174:177], off, off offset:672
	;; [unrolled: 1-line block ×3, first 2 shown]
	s_wait_loadcnt_dscnt 0xc00
	v_mul_f64_e32 v[186:187], v[168:169], v[6:7]
	v_mul_f64_e32 v[190:191], v[166:167], v[6:7]
	ds_load_b128 v[178:181], v2 offset:1664
	v_fma_f64 v[194:195], v[166:167], v[4:5], -v[186:187]
	v_fmac_f64_e32 v[190:191], v[168:169], v[4:5]
	ds_load_b128 v[4:7], v2 offset:1680
	s_wait_loadcnt_dscnt 0xb01
	v_mul_f64_e32 v[192:193], v[178:179], v[12:13]
	v_mul_f64_e32 v[12:13], v[180:181], v[12:13]
	scratch_load_b128 v[166:169], off, off offset:880
	ds_load_b128 v[186:189], v2 offset:1696
	s_wait_loadcnt_dscnt 0xb01
	v_mul_f64_e32 v[196:197], v[4:5], v[136:137]
	v_mul_f64_e32 v[136:137], v[6:7], v[136:137]
	v_add_f64_e32 v[190:191], 0, v[190:191]
	v_fmac_f64_e32 v[192:193], v[180:181], v[10:11]
	v_fma_f64 v[178:179], v[178:179], v[10:11], -v[12:13]
	v_add_f64_e32 v[180:181], 0, v[194:195]
	scratch_load_b128 v[10:13], off, off offset:896
	v_fmac_f64_e32 v[196:197], v[6:7], v[134:135]
	v_fma_f64 v[198:199], v[4:5], v[134:135], -v[136:137]
	ds_load_b128 v[4:7], v2 offset:1712
	s_wait_loadcnt_dscnt 0xb01
	v_mul_f64_e32 v[194:195], v[186:187], v[140:141]
	v_mul_f64_e32 v[140:141], v[188:189], v[140:141]
	scratch_load_b128 v[134:137], off, off offset:912
	v_add_f64_e32 v[190:191], v[190:191], v[192:193]
	v_add_f64_e32 v[200:201], v[180:181], v[178:179]
	ds_load_b128 v[178:181], v2 offset:1728
	s_wait_loadcnt_dscnt 0xb01
	v_mul_f64_e32 v[192:193], v[4:5], v[144:145]
	v_mul_f64_e32 v[144:145], v[6:7], v[144:145]
	v_fmac_f64_e32 v[194:195], v[188:189], v[138:139]
	v_fma_f64 v[186:187], v[186:187], v[138:139], -v[140:141]
	scratch_load_b128 v[138:141], off, off offset:928
	v_add_f64_e32 v[190:191], v[190:191], v[196:197]
	v_add_f64_e32 v[188:189], v[200:201], v[198:199]
	v_fmac_f64_e32 v[192:193], v[6:7], v[142:143]
	v_fma_f64 v[198:199], v[4:5], v[142:143], -v[144:145]
	ds_load_b128 v[4:7], v2 offset:1744
	s_wait_loadcnt_dscnt 0xb01
	v_mul_f64_e32 v[196:197], v[178:179], v[148:149]
	v_mul_f64_e32 v[148:149], v[180:181], v[148:149]
	scratch_load_b128 v[142:145], off, off offset:944
	v_add_f64_e32 v[190:191], v[190:191], v[194:195]
	s_wait_loadcnt_dscnt 0xb00
	v_mul_f64_e32 v[194:195], v[4:5], v[152:153]
	v_add_f64_e32 v[200:201], v[188:189], v[186:187]
	v_mul_f64_e32 v[152:153], v[6:7], v[152:153]
	ds_load_b128 v[186:189], v2 offset:1760
	v_fmac_f64_e32 v[196:197], v[180:181], v[146:147]
	v_fma_f64 v[146:147], v[178:179], v[146:147], -v[148:149]
	s_wait_loadcnt_dscnt 0xa00
	v_mul_f64_e32 v[180:181], v[186:187], v[156:157]
	v_mul_f64_e32 v[156:157], v[188:189], v[156:157]
	v_add_f64_e32 v[178:179], v[190:191], v[192:193]
	v_fmac_f64_e32 v[194:195], v[6:7], v[150:151]
	v_add_f64_e32 v[148:149], v[200:201], v[198:199]
	v_fma_f64 v[150:151], v[4:5], v[150:151], -v[152:153]
	v_fmac_f64_e32 v[180:181], v[188:189], v[154:155]
	v_fma_f64 v[154:155], v[186:187], v[154:155], -v[156:157]
	v_add_f64_e32 v[178:179], v[178:179], v[196:197]
	v_add_f64_e32 v[152:153], v[148:149], v[146:147]
	ds_load_b128 v[4:7], v2 offset:1776
	ds_load_b128 v[146:149], v2 offset:1792
	s_wait_loadcnt_dscnt 0x901
	v_mul_f64_e32 v[190:191], v[4:5], v[160:161]
	v_mul_f64_e32 v[160:161], v[6:7], v[160:161]
	s_wait_loadcnt_dscnt 0x800
	v_mul_f64_e32 v[156:157], v[146:147], v[164:165]
	v_mul_f64_e32 v[164:165], v[148:149], v[164:165]
	v_add_f64_e32 v[150:151], v[152:153], v[150:151]
	v_add_f64_e32 v[152:153], v[178:179], v[194:195]
	v_fmac_f64_e32 v[190:191], v[6:7], v[158:159]
	v_fma_f64 v[158:159], v[4:5], v[158:159], -v[160:161]
	v_fmac_f64_e32 v[156:157], v[148:149], v[162:163]
	v_fma_f64 v[146:147], v[146:147], v[162:163], -v[164:165]
	v_add_f64_e32 v[154:155], v[150:151], v[154:155]
	v_add_f64_e32 v[160:161], v[152:153], v[180:181]
	ds_load_b128 v[4:7], v2 offset:1808
	ds_load_b128 v[150:153], v2 offset:1824
	s_wait_loadcnt_dscnt 0x701
	v_mul_f64_e32 v[178:179], v[4:5], v[172:173]
	v_mul_f64_e32 v[172:173], v[6:7], v[172:173]
	v_add_f64_e32 v[148:149], v[154:155], v[158:159]
	v_add_f64_e32 v[154:155], v[160:161], v[190:191]
	s_wait_loadcnt_dscnt 0x500
	v_mul_f64_e32 v[158:159], v[150:151], v[184:185]
	v_mul_f64_e32 v[160:161], v[152:153], v[184:185]
	v_fmac_f64_e32 v[178:179], v[6:7], v[170:171]
	v_fma_f64 v[162:163], v[4:5], v[170:171], -v[172:173]
	v_add_f64_e32 v[164:165], v[148:149], v[146:147]
	v_add_f64_e32 v[154:155], v[154:155], v[156:157]
	ds_load_b128 v[4:7], v2 offset:1840
	ds_load_b128 v[146:149], v2 offset:1856
	v_fmac_f64_e32 v[158:159], v[152:153], v[182:183]
	v_fma_f64 v[150:151], v[150:151], v[182:183], -v[160:161]
	s_wait_loadcnt_dscnt 0x401
	v_mul_f64_e32 v[156:157], v[4:5], v[168:169]
	v_mul_f64_e32 v[168:169], v[6:7], v[168:169]
	v_add_f64_e32 v[152:153], v[164:165], v[162:163]
	v_add_f64_e32 v[154:155], v[154:155], v[178:179]
	s_wait_loadcnt_dscnt 0x300
	v_mul_f64_e32 v[160:161], v[146:147], v[12:13]
	v_mul_f64_e32 v[12:13], v[148:149], v[12:13]
	v_fmac_f64_e32 v[156:157], v[6:7], v[166:167]
	v_fma_f64 v[162:163], v[4:5], v[166:167], -v[168:169]
	v_add_f64_e32 v[164:165], v[152:153], v[150:151]
	v_add_f64_e32 v[154:155], v[154:155], v[158:159]
	ds_load_b128 v[4:7], v2 offset:1872
	ds_load_b128 v[150:153], v2 offset:1888
	v_fmac_f64_e32 v[160:161], v[148:149], v[10:11]
	v_fma_f64 v[10:11], v[146:147], v[10:11], -v[12:13]
	s_wait_loadcnt_dscnt 0x201
	v_mul_f64_e32 v[158:159], v[4:5], v[136:137]
	v_mul_f64_e32 v[136:137], v[6:7], v[136:137]
	s_wait_loadcnt_dscnt 0x100
	v_mul_f64_e32 v[148:149], v[150:151], v[140:141]
	v_mul_f64_e32 v[140:141], v[152:153], v[140:141]
	v_add_f64_e32 v[12:13], v[164:165], v[162:163]
	v_add_f64_e32 v[146:147], v[154:155], v[156:157]
	v_fmac_f64_e32 v[158:159], v[6:7], v[134:135]
	v_fma_f64 v[134:135], v[4:5], v[134:135], -v[136:137]
	ds_load_b128 v[4:7], v2 offset:1904
	v_fmac_f64_e32 v[148:149], v[152:153], v[138:139]
	v_fma_f64 v[138:139], v[150:151], v[138:139], -v[140:141]
	v_add_f64_e32 v[10:11], v[12:13], v[10:11]
	v_add_f64_e32 v[12:13], v[146:147], v[160:161]
	s_wait_loadcnt_dscnt 0x0
	v_mul_f64_e32 v[136:137], v[4:5], v[144:145]
	v_mul_f64_e32 v[144:145], v[6:7], v[144:145]
	s_delay_alu instid0(VALU_DEP_4) | instskip(NEXT) | instid1(VALU_DEP_4)
	v_add_f64_e32 v[10:11], v[10:11], v[134:135]
	v_add_f64_e32 v[12:13], v[12:13], v[158:159]
	s_delay_alu instid0(VALU_DEP_4) | instskip(NEXT) | instid1(VALU_DEP_4)
	v_fmac_f64_e32 v[136:137], v[6:7], v[142:143]
	v_fma_f64 v[4:5], v[4:5], v[142:143], -v[144:145]
	s_delay_alu instid0(VALU_DEP_4) | instskip(NEXT) | instid1(VALU_DEP_4)
	v_add_f64_e32 v[6:7], v[10:11], v[138:139]
	v_add_f64_e32 v[10:11], v[12:13], v[148:149]
	s_delay_alu instid0(VALU_DEP_2) | instskip(NEXT) | instid1(VALU_DEP_2)
	v_add_f64_e32 v[4:5], v[6:7], v[4:5]
	v_add_f64_e32 v[6:7], v[10:11], v[136:137]
	s_delay_alu instid0(VALU_DEP_2) | instskip(NEXT) | instid1(VALU_DEP_2)
	v_add_f64_e64 v[4:5], v[174:175], -v[4:5]
	v_add_f64_e64 v[6:7], v[176:177], -v[6:7]
	scratch_store_b128 off, v[4:7], off offset:672
	s_wait_xcnt 0x0
	v_cmpx_lt_u32_e32 41, v1
	s_cbranch_execz .LBB59_291
; %bb.290:
	scratch_load_b128 v[10:13], off, s22
	v_dual_mov_b32 v3, v2 :: v_dual_mov_b32 v4, v2
	v_mov_b32_e32 v5, v2
	scratch_store_b128 off, v[2:5], off offset:656
	s_wait_loadcnt 0x0
	ds_store_b128 v8, v[10:13]
.LBB59_291:
	s_wait_xcnt 0x0
	s_or_b32 exec_lo, exec_lo, s2
	s_wait_storecnt_dscnt 0x0
	s_barrier_signal -1
	s_barrier_wait -1
	s_clause 0x9
	scratch_load_b128 v[4:7], off, off offset:672
	scratch_load_b128 v[10:13], off, off offset:688
	;; [unrolled: 1-line block ×10, first 2 shown]
	ds_load_b128 v[166:169], v2 offset:1632
	ds_load_b128 v[174:177], v2 offset:1648
	s_clause 0x2
	scratch_load_b128 v[170:173], off, off offset:832
	scratch_load_b128 v[178:181], off, off offset:656
	;; [unrolled: 1-line block ×3, first 2 shown]
	s_mov_b32 s2, exec_lo
	s_wait_loadcnt_dscnt 0xc01
	v_mul_f64_e32 v[186:187], v[168:169], v[6:7]
	v_mul_f64_e32 v[190:191], v[166:167], v[6:7]
	s_wait_loadcnt_dscnt 0xb00
	v_mul_f64_e32 v[192:193], v[174:175], v[12:13]
	v_mul_f64_e32 v[12:13], v[176:177], v[12:13]
	s_delay_alu instid0(VALU_DEP_4) | instskip(NEXT) | instid1(VALU_DEP_4)
	v_fma_f64 v[194:195], v[166:167], v[4:5], -v[186:187]
	v_fmac_f64_e32 v[190:191], v[168:169], v[4:5]
	ds_load_b128 v[4:7], v2 offset:1664
	ds_load_b128 v[166:169], v2 offset:1680
	scratch_load_b128 v[186:189], off, off offset:864
	v_fmac_f64_e32 v[192:193], v[176:177], v[10:11]
	v_fma_f64 v[174:175], v[174:175], v[10:11], -v[12:13]
	scratch_load_b128 v[10:13], off, off offset:880
	s_wait_loadcnt_dscnt 0xc01
	v_mul_f64_e32 v[196:197], v[4:5], v[136:137]
	v_mul_f64_e32 v[136:137], v[6:7], v[136:137]
	v_add_f64_e32 v[176:177], 0, v[194:195]
	v_add_f64_e32 v[190:191], 0, v[190:191]
	s_wait_loadcnt_dscnt 0xb00
	v_mul_f64_e32 v[194:195], v[166:167], v[140:141]
	v_mul_f64_e32 v[140:141], v[168:169], v[140:141]
	v_fmac_f64_e32 v[196:197], v[6:7], v[134:135]
	v_fma_f64 v[198:199], v[4:5], v[134:135], -v[136:137]
	ds_load_b128 v[4:7], v2 offset:1696
	ds_load_b128 v[134:137], v2 offset:1712
	v_add_f64_e32 v[200:201], v[176:177], v[174:175]
	v_add_f64_e32 v[190:191], v[190:191], v[192:193]
	scratch_load_b128 v[174:177], off, off offset:896
	v_fmac_f64_e32 v[194:195], v[168:169], v[138:139]
	v_fma_f64 v[166:167], v[166:167], v[138:139], -v[140:141]
	scratch_load_b128 v[138:141], off, off offset:912
	s_wait_loadcnt_dscnt 0xc01
	v_mul_f64_e32 v[192:193], v[4:5], v[144:145]
	v_mul_f64_e32 v[144:145], v[6:7], v[144:145]
	v_add_f64_e32 v[168:169], v[200:201], v[198:199]
	v_add_f64_e32 v[190:191], v[190:191], v[196:197]
	s_wait_loadcnt_dscnt 0xb00
	v_mul_f64_e32 v[196:197], v[134:135], v[148:149]
	v_mul_f64_e32 v[148:149], v[136:137], v[148:149]
	v_fmac_f64_e32 v[192:193], v[6:7], v[142:143]
	v_fma_f64 v[198:199], v[4:5], v[142:143], -v[144:145]
	ds_load_b128 v[4:7], v2 offset:1728
	ds_load_b128 v[142:145], v2 offset:1744
	v_add_f64_e32 v[200:201], v[168:169], v[166:167]
	v_add_f64_e32 v[190:191], v[190:191], v[194:195]
	scratch_load_b128 v[166:169], off, off offset:928
	s_wait_loadcnt_dscnt 0xb01
	v_mul_f64_e32 v[194:195], v[4:5], v[152:153]
	v_mul_f64_e32 v[152:153], v[6:7], v[152:153]
	v_fmac_f64_e32 v[196:197], v[136:137], v[146:147]
	v_fma_f64 v[146:147], v[134:135], v[146:147], -v[148:149]
	scratch_load_b128 v[134:137], off, off offset:944
	v_add_f64_e32 v[148:149], v[200:201], v[198:199]
	v_add_f64_e32 v[190:191], v[190:191], v[192:193]
	s_wait_loadcnt_dscnt 0xb00
	v_mul_f64_e32 v[192:193], v[142:143], v[156:157]
	v_mul_f64_e32 v[156:157], v[144:145], v[156:157]
	v_fmac_f64_e32 v[194:195], v[6:7], v[150:151]
	v_fma_f64 v[150:151], v[4:5], v[150:151], -v[152:153]
	v_add_f64_e32 v[152:153], v[148:149], v[146:147]
	v_add_f64_e32 v[190:191], v[190:191], v[196:197]
	ds_load_b128 v[4:7], v2 offset:1760
	ds_load_b128 v[146:149], v2 offset:1776
	v_fmac_f64_e32 v[192:193], v[144:145], v[154:155]
	v_fma_f64 v[142:143], v[142:143], v[154:155], -v[156:157]
	s_wait_loadcnt_dscnt 0xa01
	v_mul_f64_e32 v[196:197], v[4:5], v[160:161]
	v_mul_f64_e32 v[160:161], v[6:7], v[160:161]
	s_wait_loadcnt_dscnt 0x900
	v_mul_f64_e32 v[154:155], v[148:149], v[164:165]
	v_add_f64_e32 v[144:145], v[152:153], v[150:151]
	v_add_f64_e32 v[150:151], v[190:191], v[194:195]
	v_mul_f64_e32 v[152:153], v[146:147], v[164:165]
	v_fmac_f64_e32 v[196:197], v[6:7], v[158:159]
	v_fma_f64 v[156:157], v[4:5], v[158:159], -v[160:161]
	v_fma_f64 v[146:147], v[146:147], v[162:163], -v[154:155]
	v_add_f64_e32 v[158:159], v[144:145], v[142:143]
	v_add_f64_e32 v[150:151], v[150:151], v[192:193]
	ds_load_b128 v[4:7], v2 offset:1792
	ds_load_b128 v[142:145], v2 offset:1808
	v_fmac_f64_e32 v[152:153], v[148:149], v[162:163]
	s_wait_loadcnt_dscnt 0x801
	v_mul_f64_e32 v[160:161], v[4:5], v[172:173]
	v_mul_f64_e32 v[164:165], v[6:7], v[172:173]
	s_wait_loadcnt_dscnt 0x600
	v_mul_f64_e32 v[154:155], v[142:143], v[184:185]
	v_add_f64_e32 v[148:149], v[158:159], v[156:157]
	v_add_f64_e32 v[150:151], v[150:151], v[196:197]
	v_mul_f64_e32 v[156:157], v[144:145], v[184:185]
	v_fmac_f64_e32 v[160:161], v[6:7], v[170:171]
	v_fma_f64 v[158:159], v[4:5], v[170:171], -v[164:165]
	v_fmac_f64_e32 v[154:155], v[144:145], v[182:183]
	v_add_f64_e32 v[162:163], v[148:149], v[146:147]
	v_add_f64_e32 v[150:151], v[150:151], v[152:153]
	ds_load_b128 v[4:7], v2 offset:1824
	ds_load_b128 v[146:149], v2 offset:1840
	v_fma_f64 v[142:143], v[142:143], v[182:183], -v[156:157]
	s_wait_loadcnt_dscnt 0x501
	v_mul_f64_e32 v[152:153], v[4:5], v[188:189]
	v_mul_f64_e32 v[164:165], v[6:7], v[188:189]
	s_wait_loadcnt_dscnt 0x400
	v_mul_f64_e32 v[156:157], v[146:147], v[12:13]
	v_mul_f64_e32 v[12:13], v[148:149], v[12:13]
	v_add_f64_e32 v[144:145], v[162:163], v[158:159]
	v_add_f64_e32 v[150:151], v[150:151], v[160:161]
	v_fmac_f64_e32 v[152:153], v[6:7], v[186:187]
	v_fma_f64 v[158:159], v[4:5], v[186:187], -v[164:165]
	v_fmac_f64_e32 v[156:157], v[148:149], v[10:11]
	v_fma_f64 v[10:11], v[146:147], v[10:11], -v[12:13]
	v_add_f64_e32 v[160:161], v[144:145], v[142:143]
	v_add_f64_e32 v[150:151], v[150:151], v[154:155]
	ds_load_b128 v[4:7], v2 offset:1856
	ds_load_b128 v[142:145], v2 offset:1872
	s_wait_loadcnt_dscnt 0x301
	v_mul_f64_e32 v[154:155], v[4:5], v[176:177]
	v_mul_f64_e32 v[162:163], v[6:7], v[176:177]
	s_wait_loadcnt_dscnt 0x200
	v_mul_f64_e32 v[148:149], v[142:143], v[140:141]
	v_mul_f64_e32 v[140:141], v[144:145], v[140:141]
	v_add_f64_e32 v[12:13], v[160:161], v[158:159]
	v_add_f64_e32 v[146:147], v[150:151], v[152:153]
	v_fmac_f64_e32 v[154:155], v[6:7], v[174:175]
	v_fma_f64 v[150:151], v[4:5], v[174:175], -v[162:163]
	v_fmac_f64_e32 v[148:149], v[144:145], v[138:139]
	v_fma_f64 v[138:139], v[142:143], v[138:139], -v[140:141]
	v_add_f64_e32 v[152:153], v[12:13], v[10:11]
	v_add_f64_e32 v[146:147], v[146:147], v[156:157]
	ds_load_b128 v[4:7], v2 offset:1888
	ds_load_b128 v[10:13], v2 offset:1904
	s_wait_loadcnt_dscnt 0x101
	v_mul_f64_e32 v[2:3], v[4:5], v[168:169]
	v_mul_f64_e32 v[156:157], v[6:7], v[168:169]
	s_wait_loadcnt_dscnt 0x0
	v_mul_f64_e32 v[144:145], v[10:11], v[136:137]
	v_mul_f64_e32 v[136:137], v[12:13], v[136:137]
	v_add_f64_e32 v[140:141], v[152:153], v[150:151]
	v_add_f64_e32 v[142:143], v[146:147], v[154:155]
	v_fmac_f64_e32 v[2:3], v[6:7], v[166:167]
	v_fma_f64 v[4:5], v[4:5], v[166:167], -v[156:157]
	v_fmac_f64_e32 v[144:145], v[12:13], v[134:135]
	v_fma_f64 v[10:11], v[10:11], v[134:135], -v[136:137]
	v_add_f64_e32 v[6:7], v[140:141], v[138:139]
	v_add_f64_e32 v[138:139], v[142:143], v[148:149]
	s_delay_alu instid0(VALU_DEP_2) | instskip(NEXT) | instid1(VALU_DEP_2)
	v_add_f64_e32 v[4:5], v[6:7], v[4:5]
	v_add_f64_e32 v[2:3], v[138:139], v[2:3]
	s_delay_alu instid0(VALU_DEP_2) | instskip(NEXT) | instid1(VALU_DEP_2)
	;; [unrolled: 3-line block ×3, first 2 shown]
	v_add_f64_e64 v[2:3], v[178:179], -v[4:5]
	v_add_f64_e64 v[4:5], v[180:181], -v[6:7]
	scratch_store_b128 off, v[2:5], off offset:656
	s_wait_xcnt 0x0
	v_cmpx_lt_u32_e32 40, v1
	s_cbranch_execz .LBB59_293
; %bb.292:
	scratch_load_b128 v[2:5], off, s26
	v_mov_b32_e32 v10, 0
	s_delay_alu instid0(VALU_DEP_1)
	v_dual_mov_b32 v11, v10 :: v_dual_mov_b32 v12, v10
	v_mov_b32_e32 v13, v10
	scratch_store_b128 off, v[10:13], off offset:640
	s_wait_loadcnt 0x0
	ds_store_b128 v8, v[2:5]
.LBB59_293:
	s_wait_xcnt 0x0
	s_or_b32 exec_lo, exec_lo, s2
	s_wait_storecnt_dscnt 0x0
	s_barrier_signal -1
	s_barrier_wait -1
	s_clause 0x9
	scratch_load_b128 v[4:7], off, off offset:656
	scratch_load_b128 v[10:13], off, off offset:672
	scratch_load_b128 v[134:137], off, off offset:688
	scratch_load_b128 v[138:141], off, off offset:704
	scratch_load_b128 v[142:145], off, off offset:720
	scratch_load_b128 v[146:149], off, off offset:736
	scratch_load_b128 v[150:153], off, off offset:752
	scratch_load_b128 v[154:157], off, off offset:768
	scratch_load_b128 v[158:161], off, off offset:784
	scratch_load_b128 v[162:165], off, off offset:800
	v_mov_b32_e32 v2, 0
	s_mov_b32 s2, exec_lo
	ds_load_b128 v[166:169], v2 offset:1616
	s_clause 0x2
	scratch_load_b128 v[170:173], off, off offset:816
	scratch_load_b128 v[174:177], off, off offset:640
	;; [unrolled: 1-line block ×3, first 2 shown]
	s_wait_loadcnt_dscnt 0xc00
	v_mul_f64_e32 v[186:187], v[168:169], v[6:7]
	v_mul_f64_e32 v[190:191], v[166:167], v[6:7]
	ds_load_b128 v[178:181], v2 offset:1632
	v_fma_f64 v[194:195], v[166:167], v[4:5], -v[186:187]
	v_fmac_f64_e32 v[190:191], v[168:169], v[4:5]
	ds_load_b128 v[4:7], v2 offset:1648
	s_wait_loadcnt_dscnt 0xb01
	v_mul_f64_e32 v[192:193], v[178:179], v[12:13]
	v_mul_f64_e32 v[12:13], v[180:181], v[12:13]
	scratch_load_b128 v[166:169], off, off offset:848
	ds_load_b128 v[186:189], v2 offset:1664
	s_wait_loadcnt_dscnt 0xb01
	v_mul_f64_e32 v[196:197], v[4:5], v[136:137]
	v_mul_f64_e32 v[136:137], v[6:7], v[136:137]
	v_add_f64_e32 v[190:191], 0, v[190:191]
	v_fmac_f64_e32 v[192:193], v[180:181], v[10:11]
	v_fma_f64 v[178:179], v[178:179], v[10:11], -v[12:13]
	v_add_f64_e32 v[180:181], 0, v[194:195]
	scratch_load_b128 v[10:13], off, off offset:864
	v_fmac_f64_e32 v[196:197], v[6:7], v[134:135]
	v_fma_f64 v[198:199], v[4:5], v[134:135], -v[136:137]
	ds_load_b128 v[4:7], v2 offset:1680
	s_wait_loadcnt_dscnt 0xb01
	v_mul_f64_e32 v[194:195], v[186:187], v[140:141]
	v_mul_f64_e32 v[140:141], v[188:189], v[140:141]
	scratch_load_b128 v[134:137], off, off offset:880
	v_add_f64_e32 v[190:191], v[190:191], v[192:193]
	v_add_f64_e32 v[200:201], v[180:181], v[178:179]
	ds_load_b128 v[178:181], v2 offset:1696
	s_wait_loadcnt_dscnt 0xb01
	v_mul_f64_e32 v[192:193], v[4:5], v[144:145]
	v_mul_f64_e32 v[144:145], v[6:7], v[144:145]
	v_fmac_f64_e32 v[194:195], v[188:189], v[138:139]
	v_fma_f64 v[186:187], v[186:187], v[138:139], -v[140:141]
	scratch_load_b128 v[138:141], off, off offset:896
	v_add_f64_e32 v[190:191], v[190:191], v[196:197]
	v_add_f64_e32 v[188:189], v[200:201], v[198:199]
	v_fmac_f64_e32 v[192:193], v[6:7], v[142:143]
	v_fma_f64 v[198:199], v[4:5], v[142:143], -v[144:145]
	ds_load_b128 v[4:7], v2 offset:1712
	s_wait_loadcnt_dscnt 0xb01
	v_mul_f64_e32 v[196:197], v[178:179], v[148:149]
	v_mul_f64_e32 v[148:149], v[180:181], v[148:149]
	scratch_load_b128 v[142:145], off, off offset:912
	v_add_f64_e32 v[190:191], v[190:191], v[194:195]
	s_wait_loadcnt_dscnt 0xb00
	v_mul_f64_e32 v[194:195], v[4:5], v[152:153]
	v_add_f64_e32 v[200:201], v[188:189], v[186:187]
	v_mul_f64_e32 v[152:153], v[6:7], v[152:153]
	ds_load_b128 v[186:189], v2 offset:1728
	v_fmac_f64_e32 v[196:197], v[180:181], v[146:147]
	v_fma_f64 v[178:179], v[178:179], v[146:147], -v[148:149]
	scratch_load_b128 v[146:149], off, off offset:928
	v_add_f64_e32 v[190:191], v[190:191], v[192:193]
	v_fmac_f64_e32 v[194:195], v[6:7], v[150:151]
	v_add_f64_e32 v[180:181], v[200:201], v[198:199]
	v_fma_f64 v[198:199], v[4:5], v[150:151], -v[152:153]
	ds_load_b128 v[4:7], v2 offset:1744
	s_wait_loadcnt_dscnt 0xb01
	v_mul_f64_e32 v[192:193], v[186:187], v[156:157]
	v_mul_f64_e32 v[156:157], v[188:189], v[156:157]
	scratch_load_b128 v[150:153], off, off offset:944
	v_add_f64_e32 v[190:191], v[190:191], v[196:197]
	s_wait_loadcnt_dscnt 0xb00
	v_mul_f64_e32 v[196:197], v[4:5], v[160:161]
	v_add_f64_e32 v[200:201], v[180:181], v[178:179]
	v_mul_f64_e32 v[160:161], v[6:7], v[160:161]
	ds_load_b128 v[178:181], v2 offset:1760
	v_fmac_f64_e32 v[192:193], v[188:189], v[154:155]
	v_fma_f64 v[154:155], v[186:187], v[154:155], -v[156:157]
	s_wait_loadcnt_dscnt 0xa00
	v_mul_f64_e32 v[188:189], v[178:179], v[164:165]
	v_mul_f64_e32 v[164:165], v[180:181], v[164:165]
	v_add_f64_e32 v[186:187], v[190:191], v[194:195]
	v_fmac_f64_e32 v[196:197], v[6:7], v[158:159]
	v_add_f64_e32 v[156:157], v[200:201], v[198:199]
	v_fma_f64 v[158:159], v[4:5], v[158:159], -v[160:161]
	v_fmac_f64_e32 v[188:189], v[180:181], v[162:163]
	v_fma_f64 v[162:163], v[178:179], v[162:163], -v[164:165]
	v_add_f64_e32 v[186:187], v[186:187], v[192:193]
	v_add_f64_e32 v[160:161], v[156:157], v[154:155]
	ds_load_b128 v[4:7], v2 offset:1776
	ds_load_b128 v[154:157], v2 offset:1792
	s_wait_loadcnt_dscnt 0x901
	v_mul_f64_e32 v[190:191], v[4:5], v[172:173]
	v_mul_f64_e32 v[172:173], v[6:7], v[172:173]
	s_wait_loadcnt_dscnt 0x700
	v_mul_f64_e32 v[164:165], v[154:155], v[184:185]
	v_mul_f64_e32 v[178:179], v[156:157], v[184:185]
	v_add_f64_e32 v[158:159], v[160:161], v[158:159]
	v_add_f64_e32 v[160:161], v[186:187], v[196:197]
	v_fmac_f64_e32 v[190:191], v[6:7], v[170:171]
	v_fma_f64 v[170:171], v[4:5], v[170:171], -v[172:173]
	v_fmac_f64_e32 v[164:165], v[156:157], v[182:183]
	v_fma_f64 v[154:155], v[154:155], v[182:183], -v[178:179]
	v_add_f64_e32 v[162:163], v[158:159], v[162:163]
	v_add_f64_e32 v[172:173], v[160:161], v[188:189]
	ds_load_b128 v[4:7], v2 offset:1808
	ds_load_b128 v[158:161], v2 offset:1824
	s_wait_loadcnt_dscnt 0x601
	v_mul_f64_e32 v[180:181], v[4:5], v[168:169]
	v_mul_f64_e32 v[168:169], v[6:7], v[168:169]
	v_add_f64_e32 v[156:157], v[162:163], v[170:171]
	v_add_f64_e32 v[162:163], v[172:173], v[190:191]
	s_wait_loadcnt_dscnt 0x500
	v_mul_f64_e32 v[170:171], v[158:159], v[12:13]
	v_mul_f64_e32 v[12:13], v[160:161], v[12:13]
	v_fmac_f64_e32 v[180:181], v[6:7], v[166:167]
	v_fma_f64 v[166:167], v[4:5], v[166:167], -v[168:169]
	v_add_f64_e32 v[168:169], v[156:157], v[154:155]
	v_add_f64_e32 v[162:163], v[162:163], v[164:165]
	ds_load_b128 v[4:7], v2 offset:1840
	ds_load_b128 v[154:157], v2 offset:1856
	v_fmac_f64_e32 v[170:171], v[160:161], v[10:11]
	v_fma_f64 v[10:11], v[158:159], v[10:11], -v[12:13]
	s_wait_loadcnt_dscnt 0x401
	v_mul_f64_e32 v[164:165], v[4:5], v[136:137]
	v_mul_f64_e32 v[136:137], v[6:7], v[136:137]
	s_wait_loadcnt_dscnt 0x300
	v_mul_f64_e32 v[160:161], v[154:155], v[140:141]
	v_mul_f64_e32 v[140:141], v[156:157], v[140:141]
	v_add_f64_e32 v[12:13], v[168:169], v[166:167]
	v_add_f64_e32 v[158:159], v[162:163], v[180:181]
	v_fmac_f64_e32 v[164:165], v[6:7], v[134:135]
	v_fma_f64 v[134:135], v[4:5], v[134:135], -v[136:137]
	v_fmac_f64_e32 v[160:161], v[156:157], v[138:139]
	v_fma_f64 v[138:139], v[154:155], v[138:139], -v[140:141]
	v_add_f64_e32 v[136:137], v[12:13], v[10:11]
	v_add_f64_e32 v[158:159], v[158:159], v[170:171]
	ds_load_b128 v[4:7], v2 offset:1872
	ds_load_b128 v[10:13], v2 offset:1888
	s_wait_loadcnt_dscnt 0x201
	v_mul_f64_e32 v[162:163], v[4:5], v[144:145]
	v_mul_f64_e32 v[144:145], v[6:7], v[144:145]
	s_wait_loadcnt_dscnt 0x100
	v_mul_f64_e32 v[140:141], v[10:11], v[148:149]
	v_mul_f64_e32 v[148:149], v[12:13], v[148:149]
	v_add_f64_e32 v[134:135], v[136:137], v[134:135]
	v_add_f64_e32 v[136:137], v[158:159], v[164:165]
	v_fmac_f64_e32 v[162:163], v[6:7], v[142:143]
	v_fma_f64 v[142:143], v[4:5], v[142:143], -v[144:145]
	ds_load_b128 v[4:7], v2 offset:1904
	v_fmac_f64_e32 v[140:141], v[12:13], v[146:147]
	v_fma_f64 v[10:11], v[10:11], v[146:147], -v[148:149]
	v_add_f64_e32 v[134:135], v[134:135], v[138:139]
	v_add_f64_e32 v[136:137], v[136:137], v[160:161]
	s_wait_loadcnt_dscnt 0x0
	v_mul_f64_e32 v[138:139], v[4:5], v[152:153]
	v_mul_f64_e32 v[144:145], v[6:7], v[152:153]
	s_delay_alu instid0(VALU_DEP_4) | instskip(NEXT) | instid1(VALU_DEP_4)
	v_add_f64_e32 v[12:13], v[134:135], v[142:143]
	v_add_f64_e32 v[134:135], v[136:137], v[162:163]
	s_delay_alu instid0(VALU_DEP_4) | instskip(NEXT) | instid1(VALU_DEP_4)
	v_fmac_f64_e32 v[138:139], v[6:7], v[150:151]
	v_fma_f64 v[4:5], v[4:5], v[150:151], -v[144:145]
	s_delay_alu instid0(VALU_DEP_4) | instskip(NEXT) | instid1(VALU_DEP_4)
	v_add_f64_e32 v[6:7], v[12:13], v[10:11]
	v_add_f64_e32 v[10:11], v[134:135], v[140:141]
	s_delay_alu instid0(VALU_DEP_2) | instskip(NEXT) | instid1(VALU_DEP_2)
	v_add_f64_e32 v[4:5], v[6:7], v[4:5]
	v_add_f64_e32 v[6:7], v[10:11], v[138:139]
	s_delay_alu instid0(VALU_DEP_2) | instskip(NEXT) | instid1(VALU_DEP_2)
	v_add_f64_e64 v[4:5], v[174:175], -v[4:5]
	v_add_f64_e64 v[6:7], v[176:177], -v[6:7]
	scratch_store_b128 off, v[4:7], off offset:640
	s_wait_xcnt 0x0
	v_cmpx_lt_u32_e32 39, v1
	s_cbranch_execz .LBB59_295
; %bb.294:
	scratch_load_b128 v[10:13], off, s25
	v_dual_mov_b32 v3, v2 :: v_dual_mov_b32 v4, v2
	v_mov_b32_e32 v5, v2
	scratch_store_b128 off, v[2:5], off offset:624
	s_wait_loadcnt 0x0
	ds_store_b128 v8, v[10:13]
.LBB59_295:
	s_wait_xcnt 0x0
	s_or_b32 exec_lo, exec_lo, s2
	s_wait_storecnt_dscnt 0x0
	s_barrier_signal -1
	s_barrier_wait -1
	s_clause 0x9
	scratch_load_b128 v[4:7], off, off offset:640
	scratch_load_b128 v[10:13], off, off offset:656
	;; [unrolled: 1-line block ×10, first 2 shown]
	ds_load_b128 v[166:169], v2 offset:1600
	ds_load_b128 v[174:177], v2 offset:1616
	s_clause 0x2
	scratch_load_b128 v[170:173], off, off offset:800
	scratch_load_b128 v[178:181], off, off offset:624
	;; [unrolled: 1-line block ×3, first 2 shown]
	s_mov_b32 s2, exec_lo
	s_wait_loadcnt_dscnt 0xc01
	v_mul_f64_e32 v[186:187], v[168:169], v[6:7]
	v_mul_f64_e32 v[190:191], v[166:167], v[6:7]
	s_wait_loadcnt_dscnt 0xb00
	v_mul_f64_e32 v[192:193], v[174:175], v[12:13]
	v_mul_f64_e32 v[12:13], v[176:177], v[12:13]
	s_delay_alu instid0(VALU_DEP_4) | instskip(NEXT) | instid1(VALU_DEP_4)
	v_fma_f64 v[194:195], v[166:167], v[4:5], -v[186:187]
	v_fmac_f64_e32 v[190:191], v[168:169], v[4:5]
	ds_load_b128 v[4:7], v2 offset:1632
	ds_load_b128 v[166:169], v2 offset:1648
	scratch_load_b128 v[186:189], off, off offset:832
	v_fmac_f64_e32 v[192:193], v[176:177], v[10:11]
	v_fma_f64 v[174:175], v[174:175], v[10:11], -v[12:13]
	scratch_load_b128 v[10:13], off, off offset:848
	s_wait_loadcnt_dscnt 0xc01
	v_mul_f64_e32 v[196:197], v[4:5], v[136:137]
	v_mul_f64_e32 v[136:137], v[6:7], v[136:137]
	v_add_f64_e32 v[176:177], 0, v[194:195]
	v_add_f64_e32 v[190:191], 0, v[190:191]
	s_wait_loadcnt_dscnt 0xb00
	v_mul_f64_e32 v[194:195], v[166:167], v[140:141]
	v_mul_f64_e32 v[140:141], v[168:169], v[140:141]
	v_fmac_f64_e32 v[196:197], v[6:7], v[134:135]
	v_fma_f64 v[198:199], v[4:5], v[134:135], -v[136:137]
	ds_load_b128 v[4:7], v2 offset:1664
	ds_load_b128 v[134:137], v2 offset:1680
	v_add_f64_e32 v[200:201], v[176:177], v[174:175]
	v_add_f64_e32 v[190:191], v[190:191], v[192:193]
	scratch_load_b128 v[174:177], off, off offset:864
	v_fmac_f64_e32 v[194:195], v[168:169], v[138:139]
	v_fma_f64 v[166:167], v[166:167], v[138:139], -v[140:141]
	scratch_load_b128 v[138:141], off, off offset:880
	s_wait_loadcnt_dscnt 0xc01
	v_mul_f64_e32 v[192:193], v[4:5], v[144:145]
	v_mul_f64_e32 v[144:145], v[6:7], v[144:145]
	v_add_f64_e32 v[168:169], v[200:201], v[198:199]
	v_add_f64_e32 v[190:191], v[190:191], v[196:197]
	s_wait_loadcnt_dscnt 0xb00
	v_mul_f64_e32 v[196:197], v[134:135], v[148:149]
	v_mul_f64_e32 v[148:149], v[136:137], v[148:149]
	v_fmac_f64_e32 v[192:193], v[6:7], v[142:143]
	v_fma_f64 v[198:199], v[4:5], v[142:143], -v[144:145]
	ds_load_b128 v[4:7], v2 offset:1696
	ds_load_b128 v[142:145], v2 offset:1712
	v_add_f64_e32 v[200:201], v[168:169], v[166:167]
	v_add_f64_e32 v[190:191], v[190:191], v[194:195]
	scratch_load_b128 v[166:169], off, off offset:896
	s_wait_loadcnt_dscnt 0xb01
	v_mul_f64_e32 v[194:195], v[4:5], v[152:153]
	v_mul_f64_e32 v[152:153], v[6:7], v[152:153]
	v_fmac_f64_e32 v[196:197], v[136:137], v[146:147]
	v_fma_f64 v[146:147], v[134:135], v[146:147], -v[148:149]
	scratch_load_b128 v[134:137], off, off offset:912
	v_add_f64_e32 v[148:149], v[200:201], v[198:199]
	v_add_f64_e32 v[190:191], v[190:191], v[192:193]
	s_wait_loadcnt_dscnt 0xb00
	v_mul_f64_e32 v[192:193], v[142:143], v[156:157]
	v_mul_f64_e32 v[156:157], v[144:145], v[156:157]
	v_fmac_f64_e32 v[194:195], v[6:7], v[150:151]
	v_fma_f64 v[198:199], v[4:5], v[150:151], -v[152:153]
	v_add_f64_e32 v[200:201], v[148:149], v[146:147]
	v_add_f64_e32 v[190:191], v[190:191], v[196:197]
	ds_load_b128 v[4:7], v2 offset:1728
	ds_load_b128 v[146:149], v2 offset:1744
	scratch_load_b128 v[150:153], off, off offset:928
	v_fmac_f64_e32 v[192:193], v[144:145], v[154:155]
	v_fma_f64 v[154:155], v[142:143], v[154:155], -v[156:157]
	scratch_load_b128 v[142:145], off, off offset:944
	s_wait_loadcnt_dscnt 0xc01
	v_mul_f64_e32 v[196:197], v[4:5], v[160:161]
	v_mul_f64_e32 v[160:161], v[6:7], v[160:161]
	v_add_f64_e32 v[156:157], v[200:201], v[198:199]
	v_add_f64_e32 v[190:191], v[190:191], v[194:195]
	s_wait_loadcnt_dscnt 0xb00
	v_mul_f64_e32 v[194:195], v[146:147], v[164:165]
	v_mul_f64_e32 v[164:165], v[148:149], v[164:165]
	v_fmac_f64_e32 v[196:197], v[6:7], v[158:159]
	v_fma_f64 v[158:159], v[4:5], v[158:159], -v[160:161]
	v_add_f64_e32 v[160:161], v[156:157], v[154:155]
	v_add_f64_e32 v[190:191], v[190:191], v[192:193]
	ds_load_b128 v[4:7], v2 offset:1760
	ds_load_b128 v[154:157], v2 offset:1776
	v_fmac_f64_e32 v[194:195], v[148:149], v[162:163]
	v_fma_f64 v[146:147], v[146:147], v[162:163], -v[164:165]
	s_wait_loadcnt_dscnt 0xa01
	v_mul_f64_e32 v[192:193], v[4:5], v[172:173]
	v_mul_f64_e32 v[172:173], v[6:7], v[172:173]
	s_wait_loadcnt_dscnt 0x800
	v_mul_f64_e32 v[162:163], v[156:157], v[184:185]
	v_add_f64_e32 v[148:149], v[160:161], v[158:159]
	v_add_f64_e32 v[158:159], v[190:191], v[196:197]
	v_mul_f64_e32 v[160:161], v[154:155], v[184:185]
	v_fmac_f64_e32 v[192:193], v[6:7], v[170:171]
	v_fma_f64 v[164:165], v[4:5], v[170:171], -v[172:173]
	v_fma_f64 v[154:155], v[154:155], v[182:183], -v[162:163]
	v_add_f64_e32 v[170:171], v[148:149], v[146:147]
	v_add_f64_e32 v[158:159], v[158:159], v[194:195]
	ds_load_b128 v[4:7], v2 offset:1792
	ds_load_b128 v[146:149], v2 offset:1808
	v_fmac_f64_e32 v[160:161], v[156:157], v[182:183]
	s_wait_loadcnt_dscnt 0x701
	v_mul_f64_e32 v[172:173], v[4:5], v[188:189]
	v_mul_f64_e32 v[184:185], v[6:7], v[188:189]
	s_wait_loadcnt_dscnt 0x600
	v_mul_f64_e32 v[162:163], v[146:147], v[12:13]
	v_mul_f64_e32 v[12:13], v[148:149], v[12:13]
	v_add_f64_e32 v[156:157], v[170:171], v[164:165]
	v_add_f64_e32 v[158:159], v[158:159], v[192:193]
	v_fmac_f64_e32 v[172:173], v[6:7], v[186:187]
	v_fma_f64 v[164:165], v[4:5], v[186:187], -v[184:185]
	v_fmac_f64_e32 v[162:163], v[148:149], v[10:11]
	v_fma_f64 v[10:11], v[146:147], v[10:11], -v[12:13]
	v_add_f64_e32 v[170:171], v[156:157], v[154:155]
	v_add_f64_e32 v[158:159], v[158:159], v[160:161]
	ds_load_b128 v[4:7], v2 offset:1824
	ds_load_b128 v[154:157], v2 offset:1840
	s_wait_loadcnt_dscnt 0x501
	v_mul_f64_e32 v[160:161], v[4:5], v[176:177]
	v_mul_f64_e32 v[176:177], v[6:7], v[176:177]
	s_wait_loadcnt_dscnt 0x400
	v_mul_f64_e32 v[148:149], v[154:155], v[140:141]
	v_mul_f64_e32 v[140:141], v[156:157], v[140:141]
	v_add_f64_e32 v[12:13], v[170:171], v[164:165]
	v_add_f64_e32 v[146:147], v[158:159], v[172:173]
	v_fmac_f64_e32 v[160:161], v[6:7], v[174:175]
	v_fma_f64 v[158:159], v[4:5], v[174:175], -v[176:177]
	v_fmac_f64_e32 v[148:149], v[156:157], v[138:139]
	v_fma_f64 v[138:139], v[154:155], v[138:139], -v[140:141]
	v_add_f64_e32 v[164:165], v[12:13], v[10:11]
	v_add_f64_e32 v[146:147], v[146:147], v[162:163]
	ds_load_b128 v[4:7], v2 offset:1856
	ds_load_b128 v[10:13], v2 offset:1872
	;; [unrolled: 16-line block ×3, first 2 shown]
	s_wait_loadcnt_dscnt 0x101
	v_mul_f64_e32 v[2:3], v[4:5], v[152:153]
	v_mul_f64_e32 v[148:149], v[6:7], v[152:153]
	v_add_f64_e32 v[12:13], v[140:141], v[158:159]
	v_add_f64_e32 v[134:135], v[146:147], v[162:163]
	s_wait_loadcnt_dscnt 0x0
	v_mul_f64_e32 v[140:141], v[136:137], v[144:145]
	v_mul_f64_e32 v[144:145], v[138:139], v[144:145]
	v_fmac_f64_e32 v[2:3], v[6:7], v[150:151]
	v_fma_f64 v[4:5], v[4:5], v[150:151], -v[148:149]
	v_add_f64_e32 v[6:7], v[12:13], v[10:11]
	v_add_f64_e32 v[10:11], v[134:135], v[154:155]
	v_fmac_f64_e32 v[140:141], v[138:139], v[142:143]
	v_fma_f64 v[12:13], v[136:137], v[142:143], -v[144:145]
	s_delay_alu instid0(VALU_DEP_4) | instskip(NEXT) | instid1(VALU_DEP_4)
	v_add_f64_e32 v[4:5], v[6:7], v[4:5]
	v_add_f64_e32 v[2:3], v[10:11], v[2:3]
	s_delay_alu instid0(VALU_DEP_2) | instskip(NEXT) | instid1(VALU_DEP_2)
	v_add_f64_e32 v[4:5], v[4:5], v[12:13]
	v_add_f64_e32 v[6:7], v[2:3], v[140:141]
	s_delay_alu instid0(VALU_DEP_2) | instskip(NEXT) | instid1(VALU_DEP_2)
	v_add_f64_e64 v[2:3], v[178:179], -v[4:5]
	v_add_f64_e64 v[4:5], v[180:181], -v[6:7]
	scratch_store_b128 off, v[2:5], off offset:624
	s_wait_xcnt 0x0
	v_cmpx_lt_u32_e32 38, v1
	s_cbranch_execz .LBB59_297
; %bb.296:
	scratch_load_b128 v[2:5], off, s30
	v_mov_b32_e32 v10, 0
	s_delay_alu instid0(VALU_DEP_1)
	v_dual_mov_b32 v11, v10 :: v_dual_mov_b32 v12, v10
	v_mov_b32_e32 v13, v10
	scratch_store_b128 off, v[10:13], off offset:608
	s_wait_loadcnt 0x0
	ds_store_b128 v8, v[2:5]
.LBB59_297:
	s_wait_xcnt 0x0
	s_or_b32 exec_lo, exec_lo, s2
	s_wait_storecnt_dscnt 0x0
	s_barrier_signal -1
	s_barrier_wait -1
	s_clause 0x9
	scratch_load_b128 v[4:7], off, off offset:624
	scratch_load_b128 v[10:13], off, off offset:640
	;; [unrolled: 1-line block ×10, first 2 shown]
	v_mov_b32_e32 v2, 0
	s_mov_b32 s2, exec_lo
	ds_load_b128 v[166:169], v2 offset:1584
	s_clause 0x2
	scratch_load_b128 v[170:173], off, off offset:784
	scratch_load_b128 v[174:177], off, off offset:608
	;; [unrolled: 1-line block ×3, first 2 shown]
	s_wait_loadcnt_dscnt 0xc00
	v_mul_f64_e32 v[186:187], v[168:169], v[6:7]
	v_mul_f64_e32 v[190:191], v[166:167], v[6:7]
	ds_load_b128 v[178:181], v2 offset:1600
	v_fma_f64 v[194:195], v[166:167], v[4:5], -v[186:187]
	v_fmac_f64_e32 v[190:191], v[168:169], v[4:5]
	ds_load_b128 v[4:7], v2 offset:1616
	s_wait_loadcnt_dscnt 0xb01
	v_mul_f64_e32 v[192:193], v[178:179], v[12:13]
	v_mul_f64_e32 v[12:13], v[180:181], v[12:13]
	scratch_load_b128 v[166:169], off, off offset:816
	ds_load_b128 v[186:189], v2 offset:1632
	s_wait_loadcnt_dscnt 0xb01
	v_mul_f64_e32 v[196:197], v[4:5], v[136:137]
	v_mul_f64_e32 v[136:137], v[6:7], v[136:137]
	v_add_f64_e32 v[190:191], 0, v[190:191]
	v_fmac_f64_e32 v[192:193], v[180:181], v[10:11]
	v_fma_f64 v[178:179], v[178:179], v[10:11], -v[12:13]
	v_add_f64_e32 v[180:181], 0, v[194:195]
	scratch_load_b128 v[10:13], off, off offset:832
	v_fmac_f64_e32 v[196:197], v[6:7], v[134:135]
	v_fma_f64 v[198:199], v[4:5], v[134:135], -v[136:137]
	ds_load_b128 v[4:7], v2 offset:1648
	s_wait_loadcnt_dscnt 0xb01
	v_mul_f64_e32 v[194:195], v[186:187], v[140:141]
	v_mul_f64_e32 v[140:141], v[188:189], v[140:141]
	scratch_load_b128 v[134:137], off, off offset:848
	v_add_f64_e32 v[190:191], v[190:191], v[192:193]
	v_add_f64_e32 v[200:201], v[180:181], v[178:179]
	ds_load_b128 v[178:181], v2 offset:1664
	s_wait_loadcnt_dscnt 0xb01
	v_mul_f64_e32 v[192:193], v[4:5], v[144:145]
	v_mul_f64_e32 v[144:145], v[6:7], v[144:145]
	v_fmac_f64_e32 v[194:195], v[188:189], v[138:139]
	v_fma_f64 v[186:187], v[186:187], v[138:139], -v[140:141]
	scratch_load_b128 v[138:141], off, off offset:864
	v_add_f64_e32 v[190:191], v[190:191], v[196:197]
	v_add_f64_e32 v[188:189], v[200:201], v[198:199]
	v_fmac_f64_e32 v[192:193], v[6:7], v[142:143]
	v_fma_f64 v[198:199], v[4:5], v[142:143], -v[144:145]
	ds_load_b128 v[4:7], v2 offset:1680
	s_wait_loadcnt_dscnt 0xb01
	v_mul_f64_e32 v[196:197], v[178:179], v[148:149]
	v_mul_f64_e32 v[148:149], v[180:181], v[148:149]
	scratch_load_b128 v[142:145], off, off offset:880
	v_add_f64_e32 v[190:191], v[190:191], v[194:195]
	s_wait_loadcnt_dscnt 0xb00
	v_mul_f64_e32 v[194:195], v[4:5], v[152:153]
	v_add_f64_e32 v[200:201], v[188:189], v[186:187]
	v_mul_f64_e32 v[152:153], v[6:7], v[152:153]
	ds_load_b128 v[186:189], v2 offset:1696
	v_fmac_f64_e32 v[196:197], v[180:181], v[146:147]
	v_fma_f64 v[178:179], v[178:179], v[146:147], -v[148:149]
	scratch_load_b128 v[146:149], off, off offset:896
	v_add_f64_e32 v[190:191], v[190:191], v[192:193]
	v_fmac_f64_e32 v[194:195], v[6:7], v[150:151]
	v_add_f64_e32 v[180:181], v[200:201], v[198:199]
	v_fma_f64 v[198:199], v[4:5], v[150:151], -v[152:153]
	ds_load_b128 v[4:7], v2 offset:1712
	s_wait_loadcnt_dscnt 0xb01
	v_mul_f64_e32 v[192:193], v[186:187], v[156:157]
	v_mul_f64_e32 v[156:157], v[188:189], v[156:157]
	scratch_load_b128 v[150:153], off, off offset:912
	v_add_f64_e32 v[190:191], v[190:191], v[196:197]
	s_wait_loadcnt_dscnt 0xb00
	v_mul_f64_e32 v[196:197], v[4:5], v[160:161]
	v_add_f64_e32 v[200:201], v[180:181], v[178:179]
	v_mul_f64_e32 v[160:161], v[6:7], v[160:161]
	ds_load_b128 v[178:181], v2 offset:1728
	v_fmac_f64_e32 v[192:193], v[188:189], v[154:155]
	v_fma_f64 v[186:187], v[186:187], v[154:155], -v[156:157]
	scratch_load_b128 v[154:157], off, off offset:928
	v_add_f64_e32 v[190:191], v[190:191], v[194:195]
	v_fmac_f64_e32 v[196:197], v[6:7], v[158:159]
	v_add_f64_e32 v[188:189], v[200:201], v[198:199]
	v_fma_f64 v[198:199], v[4:5], v[158:159], -v[160:161]
	ds_load_b128 v[4:7], v2 offset:1744
	s_wait_loadcnt_dscnt 0xb01
	v_mul_f64_e32 v[194:195], v[178:179], v[164:165]
	v_mul_f64_e32 v[164:165], v[180:181], v[164:165]
	scratch_load_b128 v[158:161], off, off offset:944
	v_add_f64_e32 v[190:191], v[190:191], v[192:193]
	s_wait_loadcnt_dscnt 0xb00
	v_mul_f64_e32 v[192:193], v[4:5], v[172:173]
	v_add_f64_e32 v[200:201], v[188:189], v[186:187]
	v_mul_f64_e32 v[172:173], v[6:7], v[172:173]
	ds_load_b128 v[186:189], v2 offset:1760
	v_fmac_f64_e32 v[194:195], v[180:181], v[162:163]
	v_fma_f64 v[162:163], v[178:179], v[162:163], -v[164:165]
	s_wait_loadcnt_dscnt 0x900
	v_mul_f64_e32 v[180:181], v[186:187], v[184:185]
	v_mul_f64_e32 v[184:185], v[188:189], v[184:185]
	v_add_f64_e32 v[178:179], v[190:191], v[196:197]
	v_fmac_f64_e32 v[192:193], v[6:7], v[170:171]
	v_add_f64_e32 v[164:165], v[200:201], v[198:199]
	v_fma_f64 v[170:171], v[4:5], v[170:171], -v[172:173]
	v_fmac_f64_e32 v[180:181], v[188:189], v[182:183]
	v_fma_f64 v[182:183], v[186:187], v[182:183], -v[184:185]
	v_add_f64_e32 v[178:179], v[178:179], v[194:195]
	v_add_f64_e32 v[172:173], v[164:165], v[162:163]
	ds_load_b128 v[4:7], v2 offset:1776
	ds_load_b128 v[162:165], v2 offset:1792
	s_wait_loadcnt_dscnt 0x801
	v_mul_f64_e32 v[190:191], v[4:5], v[168:169]
	v_mul_f64_e32 v[168:169], v[6:7], v[168:169]
	v_add_f64_e32 v[170:171], v[172:173], v[170:171]
	v_add_f64_e32 v[172:173], v[178:179], v[192:193]
	s_wait_loadcnt_dscnt 0x700
	v_mul_f64_e32 v[178:179], v[162:163], v[12:13]
	v_mul_f64_e32 v[12:13], v[164:165], v[12:13]
	v_fmac_f64_e32 v[190:191], v[6:7], v[166:167]
	v_fma_f64 v[184:185], v[4:5], v[166:167], -v[168:169]
	ds_load_b128 v[4:7], v2 offset:1808
	ds_load_b128 v[166:169], v2 offset:1824
	v_add_f64_e32 v[170:171], v[170:171], v[182:183]
	v_add_f64_e32 v[172:173], v[172:173], v[180:181]
	v_fmac_f64_e32 v[178:179], v[164:165], v[10:11]
	v_fma_f64 v[10:11], v[162:163], v[10:11], -v[12:13]
	s_wait_loadcnt_dscnt 0x601
	v_mul_f64_e32 v[180:181], v[4:5], v[136:137]
	v_mul_f64_e32 v[136:137], v[6:7], v[136:137]
	s_wait_loadcnt_dscnt 0x500
	v_mul_f64_e32 v[164:165], v[166:167], v[140:141]
	v_mul_f64_e32 v[140:141], v[168:169], v[140:141]
	v_add_f64_e32 v[12:13], v[170:171], v[184:185]
	v_add_f64_e32 v[162:163], v[172:173], v[190:191]
	v_fmac_f64_e32 v[180:181], v[6:7], v[134:135]
	v_fma_f64 v[134:135], v[4:5], v[134:135], -v[136:137]
	v_fmac_f64_e32 v[164:165], v[168:169], v[138:139]
	v_fma_f64 v[138:139], v[166:167], v[138:139], -v[140:141]
	v_add_f64_e32 v[136:137], v[12:13], v[10:11]
	v_add_f64_e32 v[162:163], v[162:163], v[178:179]
	ds_load_b128 v[4:7], v2 offset:1840
	ds_load_b128 v[10:13], v2 offset:1856
	s_wait_loadcnt_dscnt 0x401
	v_mul_f64_e32 v[170:171], v[4:5], v[144:145]
	v_mul_f64_e32 v[144:145], v[6:7], v[144:145]
	s_wait_loadcnt_dscnt 0x300
	v_mul_f64_e32 v[140:141], v[10:11], v[148:149]
	v_mul_f64_e32 v[148:149], v[12:13], v[148:149]
	v_add_f64_e32 v[134:135], v[136:137], v[134:135]
	v_add_f64_e32 v[136:137], v[162:163], v[180:181]
	v_fmac_f64_e32 v[170:171], v[6:7], v[142:143]
	v_fma_f64 v[142:143], v[4:5], v[142:143], -v[144:145]
	v_fmac_f64_e32 v[140:141], v[12:13], v[146:147]
	v_fma_f64 v[10:11], v[10:11], v[146:147], -v[148:149]
	v_add_f64_e32 v[138:139], v[134:135], v[138:139]
	v_add_f64_e32 v[144:145], v[136:137], v[164:165]
	ds_load_b128 v[4:7], v2 offset:1872
	ds_load_b128 v[134:137], v2 offset:1888
	s_wait_loadcnt_dscnt 0x201
	v_mul_f64_e32 v[162:163], v[4:5], v[152:153]
	v_mul_f64_e32 v[152:153], v[6:7], v[152:153]
	v_add_f64_e32 v[12:13], v[138:139], v[142:143]
	v_add_f64_e32 v[138:139], v[144:145], v[170:171]
	s_wait_loadcnt_dscnt 0x100
	v_mul_f64_e32 v[142:143], v[134:135], v[156:157]
	v_mul_f64_e32 v[144:145], v[136:137], v[156:157]
	v_fmac_f64_e32 v[162:163], v[6:7], v[150:151]
	v_fma_f64 v[146:147], v[4:5], v[150:151], -v[152:153]
	ds_load_b128 v[4:7], v2 offset:1904
	v_add_f64_e32 v[10:11], v[12:13], v[10:11]
	v_add_f64_e32 v[12:13], v[138:139], v[140:141]
	v_fmac_f64_e32 v[142:143], v[136:137], v[154:155]
	v_fma_f64 v[134:135], v[134:135], v[154:155], -v[144:145]
	s_wait_loadcnt_dscnt 0x0
	v_mul_f64_e32 v[138:139], v[4:5], v[160:161]
	v_mul_f64_e32 v[140:141], v[6:7], v[160:161]
	v_add_f64_e32 v[10:11], v[10:11], v[146:147]
	v_add_f64_e32 v[12:13], v[12:13], v[162:163]
	s_delay_alu instid0(VALU_DEP_4) | instskip(NEXT) | instid1(VALU_DEP_4)
	v_fmac_f64_e32 v[138:139], v[6:7], v[158:159]
	v_fma_f64 v[4:5], v[4:5], v[158:159], -v[140:141]
	s_delay_alu instid0(VALU_DEP_4) | instskip(NEXT) | instid1(VALU_DEP_4)
	v_add_f64_e32 v[6:7], v[10:11], v[134:135]
	v_add_f64_e32 v[10:11], v[12:13], v[142:143]
	s_delay_alu instid0(VALU_DEP_2) | instskip(NEXT) | instid1(VALU_DEP_2)
	v_add_f64_e32 v[4:5], v[6:7], v[4:5]
	v_add_f64_e32 v[6:7], v[10:11], v[138:139]
	s_delay_alu instid0(VALU_DEP_2) | instskip(NEXT) | instid1(VALU_DEP_2)
	v_add_f64_e64 v[4:5], v[174:175], -v[4:5]
	v_add_f64_e64 v[6:7], v[176:177], -v[6:7]
	scratch_store_b128 off, v[4:7], off offset:608
	s_wait_xcnt 0x0
	v_cmpx_lt_u32_e32 37, v1
	s_cbranch_execz .LBB59_299
; %bb.298:
	scratch_load_b128 v[10:13], off, s28
	v_dual_mov_b32 v3, v2 :: v_dual_mov_b32 v4, v2
	v_mov_b32_e32 v5, v2
	scratch_store_b128 off, v[2:5], off offset:592
	s_wait_loadcnt 0x0
	ds_store_b128 v8, v[10:13]
.LBB59_299:
	s_wait_xcnt 0x0
	s_or_b32 exec_lo, exec_lo, s2
	s_wait_storecnt_dscnt 0x0
	s_barrier_signal -1
	s_barrier_wait -1
	s_clause 0x9
	scratch_load_b128 v[4:7], off, off offset:608
	scratch_load_b128 v[10:13], off, off offset:624
	;; [unrolled: 1-line block ×10, first 2 shown]
	ds_load_b128 v[166:169], v2 offset:1568
	ds_load_b128 v[174:177], v2 offset:1584
	s_clause 0x2
	scratch_load_b128 v[170:173], off, off offset:768
	scratch_load_b128 v[178:181], off, off offset:592
	;; [unrolled: 1-line block ×3, first 2 shown]
	s_mov_b32 s2, exec_lo
	s_wait_loadcnt_dscnt 0xc01
	v_mul_f64_e32 v[186:187], v[168:169], v[6:7]
	v_mul_f64_e32 v[190:191], v[166:167], v[6:7]
	s_wait_loadcnt_dscnt 0xb00
	v_mul_f64_e32 v[192:193], v[174:175], v[12:13]
	v_mul_f64_e32 v[12:13], v[176:177], v[12:13]
	s_delay_alu instid0(VALU_DEP_4) | instskip(NEXT) | instid1(VALU_DEP_4)
	v_fma_f64 v[194:195], v[166:167], v[4:5], -v[186:187]
	v_fmac_f64_e32 v[190:191], v[168:169], v[4:5]
	ds_load_b128 v[4:7], v2 offset:1600
	ds_load_b128 v[166:169], v2 offset:1616
	scratch_load_b128 v[186:189], off, off offset:800
	v_fmac_f64_e32 v[192:193], v[176:177], v[10:11]
	v_fma_f64 v[174:175], v[174:175], v[10:11], -v[12:13]
	scratch_load_b128 v[10:13], off, off offset:816
	s_wait_loadcnt_dscnt 0xc01
	v_mul_f64_e32 v[196:197], v[4:5], v[136:137]
	v_mul_f64_e32 v[136:137], v[6:7], v[136:137]
	v_add_f64_e32 v[176:177], 0, v[194:195]
	v_add_f64_e32 v[190:191], 0, v[190:191]
	s_wait_loadcnt_dscnt 0xb00
	v_mul_f64_e32 v[194:195], v[166:167], v[140:141]
	v_mul_f64_e32 v[140:141], v[168:169], v[140:141]
	v_fmac_f64_e32 v[196:197], v[6:7], v[134:135]
	v_fma_f64 v[198:199], v[4:5], v[134:135], -v[136:137]
	ds_load_b128 v[4:7], v2 offset:1632
	ds_load_b128 v[134:137], v2 offset:1648
	v_add_f64_e32 v[200:201], v[176:177], v[174:175]
	v_add_f64_e32 v[190:191], v[190:191], v[192:193]
	scratch_load_b128 v[174:177], off, off offset:832
	v_fmac_f64_e32 v[194:195], v[168:169], v[138:139]
	v_fma_f64 v[166:167], v[166:167], v[138:139], -v[140:141]
	scratch_load_b128 v[138:141], off, off offset:848
	s_wait_loadcnt_dscnt 0xc01
	v_mul_f64_e32 v[192:193], v[4:5], v[144:145]
	v_mul_f64_e32 v[144:145], v[6:7], v[144:145]
	v_add_f64_e32 v[168:169], v[200:201], v[198:199]
	v_add_f64_e32 v[190:191], v[190:191], v[196:197]
	s_wait_loadcnt_dscnt 0xb00
	v_mul_f64_e32 v[196:197], v[134:135], v[148:149]
	v_mul_f64_e32 v[148:149], v[136:137], v[148:149]
	v_fmac_f64_e32 v[192:193], v[6:7], v[142:143]
	v_fma_f64 v[198:199], v[4:5], v[142:143], -v[144:145]
	ds_load_b128 v[4:7], v2 offset:1664
	ds_load_b128 v[142:145], v2 offset:1680
	v_add_f64_e32 v[200:201], v[168:169], v[166:167]
	v_add_f64_e32 v[190:191], v[190:191], v[194:195]
	scratch_load_b128 v[166:169], off, off offset:864
	s_wait_loadcnt_dscnt 0xb01
	v_mul_f64_e32 v[194:195], v[4:5], v[152:153]
	v_mul_f64_e32 v[152:153], v[6:7], v[152:153]
	v_fmac_f64_e32 v[196:197], v[136:137], v[146:147]
	v_fma_f64 v[146:147], v[134:135], v[146:147], -v[148:149]
	scratch_load_b128 v[134:137], off, off offset:880
	v_add_f64_e32 v[148:149], v[200:201], v[198:199]
	v_add_f64_e32 v[190:191], v[190:191], v[192:193]
	s_wait_loadcnt_dscnt 0xb00
	v_mul_f64_e32 v[192:193], v[142:143], v[156:157]
	v_mul_f64_e32 v[156:157], v[144:145], v[156:157]
	v_fmac_f64_e32 v[194:195], v[6:7], v[150:151]
	v_fma_f64 v[198:199], v[4:5], v[150:151], -v[152:153]
	v_add_f64_e32 v[200:201], v[148:149], v[146:147]
	v_add_f64_e32 v[190:191], v[190:191], v[196:197]
	ds_load_b128 v[4:7], v2 offset:1696
	ds_load_b128 v[146:149], v2 offset:1712
	scratch_load_b128 v[150:153], off, off offset:896
	v_fmac_f64_e32 v[192:193], v[144:145], v[154:155]
	v_fma_f64 v[154:155], v[142:143], v[154:155], -v[156:157]
	scratch_load_b128 v[142:145], off, off offset:912
	s_wait_loadcnt_dscnt 0xc01
	v_mul_f64_e32 v[196:197], v[4:5], v[160:161]
	v_mul_f64_e32 v[160:161], v[6:7], v[160:161]
	v_add_f64_e32 v[156:157], v[200:201], v[198:199]
	v_add_f64_e32 v[190:191], v[190:191], v[194:195]
	s_wait_loadcnt_dscnt 0xb00
	v_mul_f64_e32 v[194:195], v[146:147], v[164:165]
	v_mul_f64_e32 v[164:165], v[148:149], v[164:165]
	v_fmac_f64_e32 v[196:197], v[6:7], v[158:159]
	v_fma_f64 v[198:199], v[4:5], v[158:159], -v[160:161]
	v_add_f64_e32 v[200:201], v[156:157], v[154:155]
	v_add_f64_e32 v[190:191], v[190:191], v[192:193]
	ds_load_b128 v[4:7], v2 offset:1728
	ds_load_b128 v[154:157], v2 offset:1744
	scratch_load_b128 v[158:161], off, off offset:928
	v_fmac_f64_e32 v[194:195], v[148:149], v[162:163]
	v_fma_f64 v[162:163], v[146:147], v[162:163], -v[164:165]
	scratch_load_b128 v[146:149], off, off offset:944
	s_wait_loadcnt_dscnt 0xc01
	v_mul_f64_e32 v[192:193], v[4:5], v[172:173]
	v_mul_f64_e32 v[172:173], v[6:7], v[172:173]
	v_add_f64_e32 v[164:165], v[200:201], v[198:199]
	v_add_f64_e32 v[190:191], v[190:191], v[196:197]
	s_wait_loadcnt_dscnt 0xa00
	v_mul_f64_e32 v[196:197], v[154:155], v[184:185]
	v_mul_f64_e32 v[184:185], v[156:157], v[184:185]
	v_fmac_f64_e32 v[192:193], v[6:7], v[170:171]
	v_fma_f64 v[170:171], v[4:5], v[170:171], -v[172:173]
	v_add_f64_e32 v[172:173], v[164:165], v[162:163]
	v_add_f64_e32 v[190:191], v[190:191], v[194:195]
	ds_load_b128 v[4:7], v2 offset:1760
	ds_load_b128 v[162:165], v2 offset:1776
	v_fmac_f64_e32 v[196:197], v[156:157], v[182:183]
	v_fma_f64 v[154:155], v[154:155], v[182:183], -v[184:185]
	s_wait_loadcnt_dscnt 0x901
	v_mul_f64_e32 v[194:195], v[4:5], v[188:189]
	v_mul_f64_e32 v[188:189], v[6:7], v[188:189]
	v_add_f64_e32 v[156:157], v[172:173], v[170:171]
	v_add_f64_e32 v[170:171], v[190:191], v[192:193]
	s_wait_loadcnt_dscnt 0x800
	v_mul_f64_e32 v[172:173], v[162:163], v[12:13]
	v_mul_f64_e32 v[12:13], v[164:165], v[12:13]
	v_fmac_f64_e32 v[194:195], v[6:7], v[186:187]
	v_fma_f64 v[182:183], v[4:5], v[186:187], -v[188:189]
	v_add_f64_e32 v[184:185], v[156:157], v[154:155]
	v_add_f64_e32 v[170:171], v[170:171], v[196:197]
	ds_load_b128 v[4:7], v2 offset:1792
	ds_load_b128 v[154:157], v2 offset:1808
	v_fmac_f64_e32 v[172:173], v[164:165], v[10:11]
	v_fma_f64 v[10:11], v[162:163], v[10:11], -v[12:13]
	s_wait_loadcnt_dscnt 0x701
	v_mul_f64_e32 v[186:187], v[4:5], v[176:177]
	v_mul_f64_e32 v[176:177], v[6:7], v[176:177]
	s_wait_loadcnt_dscnt 0x600
	v_mul_f64_e32 v[164:165], v[154:155], v[140:141]
	v_mul_f64_e32 v[140:141], v[156:157], v[140:141]
	v_add_f64_e32 v[12:13], v[184:185], v[182:183]
	v_add_f64_e32 v[162:163], v[170:171], v[194:195]
	v_fmac_f64_e32 v[186:187], v[6:7], v[174:175]
	v_fma_f64 v[170:171], v[4:5], v[174:175], -v[176:177]
	v_fmac_f64_e32 v[164:165], v[156:157], v[138:139]
	v_fma_f64 v[138:139], v[154:155], v[138:139], -v[140:141]
	v_add_f64_e32 v[174:175], v[12:13], v[10:11]
	v_add_f64_e32 v[162:163], v[162:163], v[172:173]
	ds_load_b128 v[4:7], v2 offset:1824
	ds_load_b128 v[10:13], v2 offset:1840
	s_wait_loadcnt_dscnt 0x501
	v_mul_f64_e32 v[172:173], v[4:5], v[168:169]
	v_mul_f64_e32 v[168:169], v[6:7], v[168:169]
	s_wait_loadcnt_dscnt 0x400
	v_mul_f64_e32 v[156:157], v[10:11], v[136:137]
	v_add_f64_e32 v[140:141], v[174:175], v[170:171]
	v_add_f64_e32 v[154:155], v[162:163], v[186:187]
	v_mul_f64_e32 v[162:163], v[12:13], v[136:137]
	v_fmac_f64_e32 v[172:173], v[6:7], v[166:167]
	v_fma_f64 v[166:167], v[4:5], v[166:167], -v[168:169]
	v_fmac_f64_e32 v[156:157], v[12:13], v[134:135]
	v_add_f64_e32 v[140:141], v[140:141], v[138:139]
	v_add_f64_e32 v[154:155], v[154:155], v[164:165]
	ds_load_b128 v[4:7], v2 offset:1856
	ds_load_b128 v[136:139], v2 offset:1872
	v_fma_f64 v[10:11], v[10:11], v[134:135], -v[162:163]
	s_wait_loadcnt_dscnt 0x301
	v_mul_f64_e32 v[164:165], v[4:5], v[152:153]
	v_mul_f64_e32 v[152:153], v[6:7], v[152:153]
	v_add_f64_e32 v[12:13], v[140:141], v[166:167]
	v_add_f64_e32 v[134:135], v[154:155], v[172:173]
	s_wait_loadcnt_dscnt 0x200
	v_mul_f64_e32 v[140:141], v[136:137], v[144:145]
	v_mul_f64_e32 v[144:145], v[138:139], v[144:145]
	v_fmac_f64_e32 v[164:165], v[6:7], v[150:151]
	v_fma_f64 v[150:151], v[4:5], v[150:151], -v[152:153]
	v_add_f64_e32 v[152:153], v[12:13], v[10:11]
	v_add_f64_e32 v[134:135], v[134:135], v[156:157]
	ds_load_b128 v[4:7], v2 offset:1888
	ds_load_b128 v[10:13], v2 offset:1904
	v_fmac_f64_e32 v[140:141], v[138:139], v[142:143]
	v_fma_f64 v[136:137], v[136:137], v[142:143], -v[144:145]
	s_wait_loadcnt_dscnt 0x101
	v_mul_f64_e32 v[2:3], v[4:5], v[160:161]
	v_mul_f64_e32 v[154:155], v[6:7], v[160:161]
	s_wait_loadcnt_dscnt 0x0
	v_mul_f64_e32 v[142:143], v[10:11], v[148:149]
	v_mul_f64_e32 v[144:145], v[12:13], v[148:149]
	v_add_f64_e32 v[138:139], v[152:153], v[150:151]
	v_add_f64_e32 v[134:135], v[134:135], v[164:165]
	v_fmac_f64_e32 v[2:3], v[6:7], v[158:159]
	v_fma_f64 v[4:5], v[4:5], v[158:159], -v[154:155]
	v_fmac_f64_e32 v[142:143], v[12:13], v[146:147]
	v_fma_f64 v[10:11], v[10:11], v[146:147], -v[144:145]
	v_add_f64_e32 v[6:7], v[138:139], v[136:137]
	v_add_f64_e32 v[134:135], v[134:135], v[140:141]
	s_delay_alu instid0(VALU_DEP_2) | instskip(NEXT) | instid1(VALU_DEP_2)
	v_add_f64_e32 v[4:5], v[6:7], v[4:5]
	v_add_f64_e32 v[2:3], v[134:135], v[2:3]
	s_delay_alu instid0(VALU_DEP_2) | instskip(NEXT) | instid1(VALU_DEP_2)
	;; [unrolled: 3-line block ×3, first 2 shown]
	v_add_f64_e64 v[2:3], v[178:179], -v[4:5]
	v_add_f64_e64 v[4:5], v[180:181], -v[6:7]
	scratch_store_b128 off, v[2:5], off offset:592
	s_wait_xcnt 0x0
	v_cmpx_lt_u32_e32 36, v1
	s_cbranch_execz .LBB59_301
; %bb.300:
	scratch_load_b128 v[2:5], off, s35
	v_mov_b32_e32 v10, 0
	s_delay_alu instid0(VALU_DEP_1)
	v_dual_mov_b32 v11, v10 :: v_dual_mov_b32 v12, v10
	v_mov_b32_e32 v13, v10
	scratch_store_b128 off, v[10:13], off offset:576
	s_wait_loadcnt 0x0
	ds_store_b128 v8, v[2:5]
.LBB59_301:
	s_wait_xcnt 0x0
	s_or_b32 exec_lo, exec_lo, s2
	s_wait_storecnt_dscnt 0x0
	s_barrier_signal -1
	s_barrier_wait -1
	s_clause 0x9
	scratch_load_b128 v[4:7], off, off offset:592
	scratch_load_b128 v[10:13], off, off offset:608
	;; [unrolled: 1-line block ×10, first 2 shown]
	v_mov_b32_e32 v2, 0
	s_mov_b32 s2, exec_lo
	ds_load_b128 v[166:169], v2 offset:1552
	s_clause 0x2
	scratch_load_b128 v[170:173], off, off offset:752
	scratch_load_b128 v[174:177], off, off offset:576
	scratch_load_b128 v[182:185], off, off offset:768
	s_wait_loadcnt_dscnt 0xc00
	v_mul_f64_e32 v[186:187], v[168:169], v[6:7]
	v_mul_f64_e32 v[190:191], v[166:167], v[6:7]
	ds_load_b128 v[178:181], v2 offset:1568
	v_fma_f64 v[194:195], v[166:167], v[4:5], -v[186:187]
	v_fmac_f64_e32 v[190:191], v[168:169], v[4:5]
	ds_load_b128 v[4:7], v2 offset:1584
	s_wait_loadcnt_dscnt 0xb01
	v_mul_f64_e32 v[192:193], v[178:179], v[12:13]
	v_mul_f64_e32 v[12:13], v[180:181], v[12:13]
	scratch_load_b128 v[166:169], off, off offset:784
	ds_load_b128 v[186:189], v2 offset:1600
	s_wait_loadcnt_dscnt 0xb01
	v_mul_f64_e32 v[196:197], v[4:5], v[136:137]
	v_mul_f64_e32 v[136:137], v[6:7], v[136:137]
	v_add_f64_e32 v[190:191], 0, v[190:191]
	v_fmac_f64_e32 v[192:193], v[180:181], v[10:11]
	v_fma_f64 v[178:179], v[178:179], v[10:11], -v[12:13]
	v_add_f64_e32 v[180:181], 0, v[194:195]
	scratch_load_b128 v[10:13], off, off offset:800
	v_fmac_f64_e32 v[196:197], v[6:7], v[134:135]
	v_fma_f64 v[198:199], v[4:5], v[134:135], -v[136:137]
	ds_load_b128 v[4:7], v2 offset:1616
	s_wait_loadcnt_dscnt 0xb01
	v_mul_f64_e32 v[194:195], v[186:187], v[140:141]
	v_mul_f64_e32 v[140:141], v[188:189], v[140:141]
	scratch_load_b128 v[134:137], off, off offset:816
	v_add_f64_e32 v[190:191], v[190:191], v[192:193]
	v_add_f64_e32 v[200:201], v[180:181], v[178:179]
	ds_load_b128 v[178:181], v2 offset:1632
	s_wait_loadcnt_dscnt 0xb01
	v_mul_f64_e32 v[192:193], v[4:5], v[144:145]
	v_mul_f64_e32 v[144:145], v[6:7], v[144:145]
	v_fmac_f64_e32 v[194:195], v[188:189], v[138:139]
	v_fma_f64 v[186:187], v[186:187], v[138:139], -v[140:141]
	scratch_load_b128 v[138:141], off, off offset:832
	v_add_f64_e32 v[190:191], v[190:191], v[196:197]
	v_add_f64_e32 v[188:189], v[200:201], v[198:199]
	v_fmac_f64_e32 v[192:193], v[6:7], v[142:143]
	v_fma_f64 v[198:199], v[4:5], v[142:143], -v[144:145]
	ds_load_b128 v[4:7], v2 offset:1648
	s_wait_loadcnt_dscnt 0xb01
	v_mul_f64_e32 v[196:197], v[178:179], v[148:149]
	v_mul_f64_e32 v[148:149], v[180:181], v[148:149]
	scratch_load_b128 v[142:145], off, off offset:848
	v_add_f64_e32 v[190:191], v[190:191], v[194:195]
	s_wait_loadcnt_dscnt 0xb00
	v_mul_f64_e32 v[194:195], v[4:5], v[152:153]
	v_add_f64_e32 v[200:201], v[188:189], v[186:187]
	v_mul_f64_e32 v[152:153], v[6:7], v[152:153]
	ds_load_b128 v[186:189], v2 offset:1664
	v_fmac_f64_e32 v[196:197], v[180:181], v[146:147]
	v_fma_f64 v[178:179], v[178:179], v[146:147], -v[148:149]
	scratch_load_b128 v[146:149], off, off offset:864
	v_add_f64_e32 v[190:191], v[190:191], v[192:193]
	v_fmac_f64_e32 v[194:195], v[6:7], v[150:151]
	v_add_f64_e32 v[180:181], v[200:201], v[198:199]
	v_fma_f64 v[198:199], v[4:5], v[150:151], -v[152:153]
	ds_load_b128 v[4:7], v2 offset:1680
	s_wait_loadcnt_dscnt 0xb01
	v_mul_f64_e32 v[192:193], v[186:187], v[156:157]
	v_mul_f64_e32 v[156:157], v[188:189], v[156:157]
	scratch_load_b128 v[150:153], off, off offset:880
	v_add_f64_e32 v[190:191], v[190:191], v[196:197]
	s_wait_loadcnt_dscnt 0xb00
	v_mul_f64_e32 v[196:197], v[4:5], v[160:161]
	v_add_f64_e32 v[200:201], v[180:181], v[178:179]
	v_mul_f64_e32 v[160:161], v[6:7], v[160:161]
	ds_load_b128 v[178:181], v2 offset:1696
	v_fmac_f64_e32 v[192:193], v[188:189], v[154:155]
	v_fma_f64 v[186:187], v[186:187], v[154:155], -v[156:157]
	scratch_load_b128 v[154:157], off, off offset:896
	v_add_f64_e32 v[190:191], v[190:191], v[194:195]
	v_fmac_f64_e32 v[196:197], v[6:7], v[158:159]
	v_add_f64_e32 v[188:189], v[200:201], v[198:199]
	;; [unrolled: 18-line block ×3, first 2 shown]
	v_fma_f64 v[198:199], v[4:5], v[170:171], -v[172:173]
	ds_load_b128 v[4:7], v2 offset:1744
	s_wait_loadcnt_dscnt 0xa01
	v_mul_f64_e32 v[196:197], v[186:187], v[184:185]
	v_mul_f64_e32 v[184:185], v[188:189], v[184:185]
	scratch_load_b128 v[170:173], off, off offset:944
	v_add_f64_e32 v[190:191], v[190:191], v[194:195]
	v_add_f64_e32 v[200:201], v[180:181], v[178:179]
	s_wait_loadcnt_dscnt 0xa00
	v_mul_f64_e32 v[194:195], v[4:5], v[168:169]
	v_mul_f64_e32 v[168:169], v[6:7], v[168:169]
	v_fmac_f64_e32 v[196:197], v[188:189], v[182:183]
	v_fma_f64 v[182:183], v[186:187], v[182:183], -v[184:185]
	ds_load_b128 v[178:181], v2 offset:1760
	v_add_f64_e32 v[186:187], v[190:191], v[192:193]
	v_add_f64_e32 v[184:185], v[200:201], v[198:199]
	s_wait_loadcnt_dscnt 0x900
	v_mul_f64_e32 v[188:189], v[178:179], v[12:13]
	v_mul_f64_e32 v[12:13], v[180:181], v[12:13]
	v_fmac_f64_e32 v[194:195], v[6:7], v[166:167]
	v_fma_f64 v[190:191], v[4:5], v[166:167], -v[168:169]
	ds_load_b128 v[4:7], v2 offset:1776
	ds_load_b128 v[166:169], v2 offset:1792
	v_add_f64_e32 v[182:183], v[184:185], v[182:183]
	v_add_f64_e32 v[184:185], v[186:187], v[196:197]
	s_wait_loadcnt_dscnt 0x801
	v_mul_f64_e32 v[186:187], v[4:5], v[136:137]
	v_mul_f64_e32 v[136:137], v[6:7], v[136:137]
	v_fmac_f64_e32 v[188:189], v[180:181], v[10:11]
	v_fma_f64 v[10:11], v[178:179], v[10:11], -v[12:13]
	s_wait_loadcnt_dscnt 0x700
	v_mul_f64_e32 v[180:181], v[166:167], v[140:141]
	v_mul_f64_e32 v[140:141], v[168:169], v[140:141]
	v_add_f64_e32 v[12:13], v[182:183], v[190:191]
	v_add_f64_e32 v[178:179], v[184:185], v[194:195]
	v_fmac_f64_e32 v[186:187], v[6:7], v[134:135]
	v_fma_f64 v[134:135], v[4:5], v[134:135], -v[136:137]
	v_fmac_f64_e32 v[180:181], v[168:169], v[138:139]
	v_fma_f64 v[138:139], v[166:167], v[138:139], -v[140:141]
	v_add_f64_e32 v[136:137], v[12:13], v[10:11]
	v_add_f64_e32 v[178:179], v[178:179], v[188:189]
	ds_load_b128 v[4:7], v2 offset:1808
	ds_load_b128 v[10:13], v2 offset:1824
	s_wait_loadcnt_dscnt 0x601
	v_mul_f64_e32 v[182:183], v[4:5], v[144:145]
	v_mul_f64_e32 v[144:145], v[6:7], v[144:145]
	s_wait_loadcnt_dscnt 0x500
	v_mul_f64_e32 v[140:141], v[10:11], v[148:149]
	v_mul_f64_e32 v[148:149], v[12:13], v[148:149]
	v_add_f64_e32 v[134:135], v[136:137], v[134:135]
	v_add_f64_e32 v[136:137], v[178:179], v[186:187]
	v_fmac_f64_e32 v[182:183], v[6:7], v[142:143]
	v_fma_f64 v[142:143], v[4:5], v[142:143], -v[144:145]
	v_fmac_f64_e32 v[140:141], v[12:13], v[146:147]
	v_fma_f64 v[10:11], v[10:11], v[146:147], -v[148:149]
	v_add_f64_e32 v[138:139], v[134:135], v[138:139]
	v_add_f64_e32 v[144:145], v[136:137], v[180:181]
	ds_load_b128 v[4:7], v2 offset:1840
	ds_load_b128 v[134:137], v2 offset:1856
	s_wait_loadcnt_dscnt 0x401
	v_mul_f64_e32 v[166:167], v[4:5], v[152:153]
	v_mul_f64_e32 v[152:153], v[6:7], v[152:153]
	v_add_f64_e32 v[12:13], v[138:139], v[142:143]
	v_add_f64_e32 v[138:139], v[144:145], v[182:183]
	s_wait_loadcnt_dscnt 0x300
	v_mul_f64_e32 v[142:143], v[134:135], v[156:157]
	v_mul_f64_e32 v[144:145], v[136:137], v[156:157]
	v_fmac_f64_e32 v[166:167], v[6:7], v[150:151]
	v_fma_f64 v[146:147], v[4:5], v[150:151], -v[152:153]
	v_add_f64_e32 v[148:149], v[12:13], v[10:11]
	v_add_f64_e32 v[138:139], v[138:139], v[140:141]
	ds_load_b128 v[4:7], v2 offset:1872
	ds_load_b128 v[10:13], v2 offset:1888
	v_fmac_f64_e32 v[142:143], v[136:137], v[154:155]
	v_fma_f64 v[134:135], v[134:135], v[154:155], -v[144:145]
	s_wait_loadcnt_dscnt 0x201
	v_mul_f64_e32 v[140:141], v[4:5], v[160:161]
	v_mul_f64_e32 v[150:151], v[6:7], v[160:161]
	s_wait_loadcnt_dscnt 0x100
	v_mul_f64_e32 v[144:145], v[10:11], v[164:165]
	v_add_f64_e32 v[136:137], v[148:149], v[146:147]
	v_add_f64_e32 v[138:139], v[138:139], v[166:167]
	v_mul_f64_e32 v[146:147], v[12:13], v[164:165]
	v_fmac_f64_e32 v[140:141], v[6:7], v[158:159]
	v_fma_f64 v[148:149], v[4:5], v[158:159], -v[150:151]
	ds_load_b128 v[4:7], v2 offset:1904
	v_fmac_f64_e32 v[144:145], v[12:13], v[162:163]
	v_add_f64_e32 v[134:135], v[136:137], v[134:135]
	v_add_f64_e32 v[136:137], v[138:139], v[142:143]
	v_fma_f64 v[10:11], v[10:11], v[162:163], -v[146:147]
	s_wait_loadcnt_dscnt 0x0
	v_mul_f64_e32 v[138:139], v[4:5], v[172:173]
	v_mul_f64_e32 v[142:143], v[6:7], v[172:173]
	v_add_f64_e32 v[12:13], v[134:135], v[148:149]
	v_add_f64_e32 v[134:135], v[136:137], v[140:141]
	s_delay_alu instid0(VALU_DEP_4) | instskip(NEXT) | instid1(VALU_DEP_4)
	v_fmac_f64_e32 v[138:139], v[6:7], v[170:171]
	v_fma_f64 v[4:5], v[4:5], v[170:171], -v[142:143]
	s_delay_alu instid0(VALU_DEP_4) | instskip(NEXT) | instid1(VALU_DEP_4)
	v_add_f64_e32 v[6:7], v[12:13], v[10:11]
	v_add_f64_e32 v[10:11], v[134:135], v[144:145]
	s_delay_alu instid0(VALU_DEP_2) | instskip(NEXT) | instid1(VALU_DEP_2)
	v_add_f64_e32 v[4:5], v[6:7], v[4:5]
	v_add_f64_e32 v[6:7], v[10:11], v[138:139]
	s_delay_alu instid0(VALU_DEP_2) | instskip(NEXT) | instid1(VALU_DEP_2)
	v_add_f64_e64 v[4:5], v[174:175], -v[4:5]
	v_add_f64_e64 v[6:7], v[176:177], -v[6:7]
	scratch_store_b128 off, v[4:7], off offset:576
	s_wait_xcnt 0x0
	v_cmpx_lt_u32_e32 35, v1
	s_cbranch_execz .LBB59_303
; %bb.302:
	scratch_load_b128 v[10:13], off, s33
	v_dual_mov_b32 v3, v2 :: v_dual_mov_b32 v4, v2
	v_mov_b32_e32 v5, v2
	scratch_store_b128 off, v[2:5], off offset:560
	s_wait_loadcnt 0x0
	ds_store_b128 v8, v[10:13]
.LBB59_303:
	s_wait_xcnt 0x0
	s_or_b32 exec_lo, exec_lo, s2
	s_wait_storecnt_dscnt 0x0
	s_barrier_signal -1
	s_barrier_wait -1
	s_clause 0x9
	scratch_load_b128 v[4:7], off, off offset:576
	scratch_load_b128 v[10:13], off, off offset:592
	;; [unrolled: 1-line block ×10, first 2 shown]
	ds_load_b128 v[166:169], v2 offset:1536
	ds_load_b128 v[174:177], v2 offset:1552
	s_clause 0x2
	scratch_load_b128 v[170:173], off, off offset:736
	scratch_load_b128 v[178:181], off, off offset:560
	;; [unrolled: 1-line block ×3, first 2 shown]
	s_mov_b32 s2, exec_lo
	s_wait_loadcnt_dscnt 0xc01
	v_mul_f64_e32 v[186:187], v[168:169], v[6:7]
	v_mul_f64_e32 v[190:191], v[166:167], v[6:7]
	s_wait_loadcnt_dscnt 0xb00
	v_mul_f64_e32 v[192:193], v[174:175], v[12:13]
	v_mul_f64_e32 v[12:13], v[176:177], v[12:13]
	s_delay_alu instid0(VALU_DEP_4) | instskip(NEXT) | instid1(VALU_DEP_4)
	v_fma_f64 v[194:195], v[166:167], v[4:5], -v[186:187]
	v_fmac_f64_e32 v[190:191], v[168:169], v[4:5]
	ds_load_b128 v[4:7], v2 offset:1568
	ds_load_b128 v[166:169], v2 offset:1584
	scratch_load_b128 v[186:189], off, off offset:768
	v_fmac_f64_e32 v[192:193], v[176:177], v[10:11]
	v_fma_f64 v[174:175], v[174:175], v[10:11], -v[12:13]
	scratch_load_b128 v[10:13], off, off offset:784
	s_wait_loadcnt_dscnt 0xc01
	v_mul_f64_e32 v[196:197], v[4:5], v[136:137]
	v_mul_f64_e32 v[136:137], v[6:7], v[136:137]
	v_add_f64_e32 v[176:177], 0, v[194:195]
	v_add_f64_e32 v[190:191], 0, v[190:191]
	s_wait_loadcnt_dscnt 0xb00
	v_mul_f64_e32 v[194:195], v[166:167], v[140:141]
	v_mul_f64_e32 v[140:141], v[168:169], v[140:141]
	v_fmac_f64_e32 v[196:197], v[6:7], v[134:135]
	v_fma_f64 v[198:199], v[4:5], v[134:135], -v[136:137]
	ds_load_b128 v[4:7], v2 offset:1600
	ds_load_b128 v[134:137], v2 offset:1616
	v_add_f64_e32 v[200:201], v[176:177], v[174:175]
	v_add_f64_e32 v[190:191], v[190:191], v[192:193]
	scratch_load_b128 v[174:177], off, off offset:800
	v_fmac_f64_e32 v[194:195], v[168:169], v[138:139]
	v_fma_f64 v[166:167], v[166:167], v[138:139], -v[140:141]
	scratch_load_b128 v[138:141], off, off offset:816
	s_wait_loadcnt_dscnt 0xc01
	v_mul_f64_e32 v[192:193], v[4:5], v[144:145]
	v_mul_f64_e32 v[144:145], v[6:7], v[144:145]
	v_add_f64_e32 v[168:169], v[200:201], v[198:199]
	v_add_f64_e32 v[190:191], v[190:191], v[196:197]
	s_wait_loadcnt_dscnt 0xb00
	v_mul_f64_e32 v[196:197], v[134:135], v[148:149]
	v_mul_f64_e32 v[148:149], v[136:137], v[148:149]
	v_fmac_f64_e32 v[192:193], v[6:7], v[142:143]
	v_fma_f64 v[198:199], v[4:5], v[142:143], -v[144:145]
	ds_load_b128 v[4:7], v2 offset:1632
	ds_load_b128 v[142:145], v2 offset:1648
	v_add_f64_e32 v[200:201], v[168:169], v[166:167]
	v_add_f64_e32 v[190:191], v[190:191], v[194:195]
	scratch_load_b128 v[166:169], off, off offset:832
	s_wait_loadcnt_dscnt 0xb01
	v_mul_f64_e32 v[194:195], v[4:5], v[152:153]
	v_mul_f64_e32 v[152:153], v[6:7], v[152:153]
	v_fmac_f64_e32 v[196:197], v[136:137], v[146:147]
	v_fma_f64 v[146:147], v[134:135], v[146:147], -v[148:149]
	scratch_load_b128 v[134:137], off, off offset:848
	v_add_f64_e32 v[148:149], v[200:201], v[198:199]
	v_add_f64_e32 v[190:191], v[190:191], v[192:193]
	s_wait_loadcnt_dscnt 0xb00
	v_mul_f64_e32 v[192:193], v[142:143], v[156:157]
	v_mul_f64_e32 v[156:157], v[144:145], v[156:157]
	v_fmac_f64_e32 v[194:195], v[6:7], v[150:151]
	v_fma_f64 v[198:199], v[4:5], v[150:151], -v[152:153]
	v_add_f64_e32 v[200:201], v[148:149], v[146:147]
	v_add_f64_e32 v[190:191], v[190:191], v[196:197]
	ds_load_b128 v[4:7], v2 offset:1664
	ds_load_b128 v[146:149], v2 offset:1680
	scratch_load_b128 v[150:153], off, off offset:864
	v_fmac_f64_e32 v[192:193], v[144:145], v[154:155]
	v_fma_f64 v[154:155], v[142:143], v[154:155], -v[156:157]
	scratch_load_b128 v[142:145], off, off offset:880
	s_wait_loadcnt_dscnt 0xc01
	v_mul_f64_e32 v[196:197], v[4:5], v[160:161]
	v_mul_f64_e32 v[160:161], v[6:7], v[160:161]
	v_add_f64_e32 v[156:157], v[200:201], v[198:199]
	v_add_f64_e32 v[190:191], v[190:191], v[194:195]
	s_wait_loadcnt_dscnt 0xb00
	v_mul_f64_e32 v[194:195], v[146:147], v[164:165]
	v_mul_f64_e32 v[164:165], v[148:149], v[164:165]
	v_fmac_f64_e32 v[196:197], v[6:7], v[158:159]
	v_fma_f64 v[198:199], v[4:5], v[158:159], -v[160:161]
	v_add_f64_e32 v[200:201], v[156:157], v[154:155]
	v_add_f64_e32 v[190:191], v[190:191], v[192:193]
	ds_load_b128 v[4:7], v2 offset:1696
	ds_load_b128 v[154:157], v2 offset:1712
	scratch_load_b128 v[158:161], off, off offset:896
	v_fmac_f64_e32 v[194:195], v[148:149], v[162:163]
	v_fma_f64 v[162:163], v[146:147], v[162:163], -v[164:165]
	scratch_load_b128 v[146:149], off, off offset:912
	s_wait_loadcnt_dscnt 0xc01
	v_mul_f64_e32 v[192:193], v[4:5], v[172:173]
	v_mul_f64_e32 v[172:173], v[6:7], v[172:173]
	;; [unrolled: 18-line block ×3, first 2 shown]
	v_add_f64_e32 v[184:185], v[200:201], v[198:199]
	v_add_f64_e32 v[190:191], v[190:191], v[192:193]
	s_wait_loadcnt_dscnt 0xa00
	v_mul_f64_e32 v[192:193], v[162:163], v[12:13]
	v_mul_f64_e32 v[12:13], v[164:165], v[12:13]
	v_fmac_f64_e32 v[194:195], v[6:7], v[186:187]
	v_fma_f64 v[186:187], v[4:5], v[186:187], -v[188:189]
	v_add_f64_e32 v[188:189], v[184:185], v[182:183]
	v_add_f64_e32 v[190:191], v[190:191], v[196:197]
	ds_load_b128 v[4:7], v2 offset:1760
	ds_load_b128 v[182:185], v2 offset:1776
	v_fmac_f64_e32 v[192:193], v[164:165], v[10:11]
	v_fma_f64 v[10:11], v[162:163], v[10:11], -v[12:13]
	s_wait_loadcnt_dscnt 0x901
	v_mul_f64_e32 v[196:197], v[4:5], v[176:177]
	v_mul_f64_e32 v[176:177], v[6:7], v[176:177]
	s_wait_loadcnt_dscnt 0x800
	v_mul_f64_e32 v[164:165], v[182:183], v[140:141]
	v_mul_f64_e32 v[140:141], v[184:185], v[140:141]
	v_add_f64_e32 v[12:13], v[188:189], v[186:187]
	v_add_f64_e32 v[162:163], v[190:191], v[194:195]
	v_fmac_f64_e32 v[196:197], v[6:7], v[174:175]
	v_fma_f64 v[174:175], v[4:5], v[174:175], -v[176:177]
	v_fmac_f64_e32 v[164:165], v[184:185], v[138:139]
	v_fma_f64 v[138:139], v[182:183], v[138:139], -v[140:141]
	v_add_f64_e32 v[176:177], v[12:13], v[10:11]
	v_add_f64_e32 v[162:163], v[162:163], v[192:193]
	ds_load_b128 v[4:7], v2 offset:1792
	ds_load_b128 v[10:13], v2 offset:1808
	s_wait_loadcnt_dscnt 0x701
	v_mul_f64_e32 v[186:187], v[4:5], v[168:169]
	v_mul_f64_e32 v[168:169], v[6:7], v[168:169]
	v_add_f64_e32 v[140:141], v[176:177], v[174:175]
	v_add_f64_e32 v[162:163], v[162:163], v[196:197]
	s_wait_loadcnt_dscnt 0x600
	v_mul_f64_e32 v[174:175], v[10:11], v[136:137]
	v_mul_f64_e32 v[176:177], v[12:13], v[136:137]
	v_fmac_f64_e32 v[186:187], v[6:7], v[166:167]
	v_fma_f64 v[166:167], v[4:5], v[166:167], -v[168:169]
	v_add_f64_e32 v[140:141], v[140:141], v[138:139]
	v_add_f64_e32 v[162:163], v[162:163], v[164:165]
	ds_load_b128 v[4:7], v2 offset:1824
	ds_load_b128 v[136:139], v2 offset:1840
	v_fmac_f64_e32 v[174:175], v[12:13], v[134:135]
	v_fma_f64 v[10:11], v[10:11], v[134:135], -v[176:177]
	s_wait_loadcnt_dscnt 0x501
	v_mul_f64_e32 v[164:165], v[4:5], v[152:153]
	v_mul_f64_e32 v[152:153], v[6:7], v[152:153]
	v_add_f64_e32 v[12:13], v[140:141], v[166:167]
	v_add_f64_e32 v[134:135], v[162:163], v[186:187]
	s_wait_loadcnt_dscnt 0x400
	v_mul_f64_e32 v[140:141], v[136:137], v[144:145]
	v_mul_f64_e32 v[144:145], v[138:139], v[144:145]
	v_fmac_f64_e32 v[164:165], v[6:7], v[150:151]
	v_fma_f64 v[150:151], v[4:5], v[150:151], -v[152:153]
	v_add_f64_e32 v[152:153], v[12:13], v[10:11]
	v_add_f64_e32 v[134:135], v[134:135], v[174:175]
	ds_load_b128 v[4:7], v2 offset:1856
	ds_load_b128 v[10:13], v2 offset:1872
	v_fmac_f64_e32 v[140:141], v[138:139], v[142:143]
	v_fma_f64 v[136:137], v[136:137], v[142:143], -v[144:145]
	s_wait_loadcnt_dscnt 0x301
	v_mul_f64_e32 v[162:163], v[4:5], v[160:161]
	v_mul_f64_e32 v[160:161], v[6:7], v[160:161]
	s_wait_loadcnt_dscnt 0x200
	v_mul_f64_e32 v[142:143], v[10:11], v[148:149]
	v_mul_f64_e32 v[144:145], v[12:13], v[148:149]
	v_add_f64_e32 v[138:139], v[152:153], v[150:151]
	v_add_f64_e32 v[134:135], v[134:135], v[164:165]
	v_fmac_f64_e32 v[162:163], v[6:7], v[158:159]
	v_fma_f64 v[148:149], v[4:5], v[158:159], -v[160:161]
	v_fmac_f64_e32 v[142:143], v[12:13], v[146:147]
	v_fma_f64 v[10:11], v[10:11], v[146:147], -v[144:145]
	v_add_f64_e32 v[138:139], v[138:139], v[136:137]
	v_add_f64_e32 v[140:141], v[134:135], v[140:141]
	ds_load_b128 v[4:7], v2 offset:1888
	ds_load_b128 v[134:137], v2 offset:1904
	s_wait_loadcnt_dscnt 0x101
	v_mul_f64_e32 v[2:3], v[4:5], v[172:173]
	v_mul_f64_e32 v[150:151], v[6:7], v[172:173]
	s_wait_loadcnt_dscnt 0x0
	v_mul_f64_e32 v[144:145], v[136:137], v[156:157]
	v_add_f64_e32 v[12:13], v[138:139], v[148:149]
	v_add_f64_e32 v[138:139], v[140:141], v[162:163]
	v_mul_f64_e32 v[140:141], v[134:135], v[156:157]
	v_fmac_f64_e32 v[2:3], v[6:7], v[170:171]
	v_fma_f64 v[4:5], v[4:5], v[170:171], -v[150:151]
	v_add_f64_e32 v[6:7], v[12:13], v[10:11]
	v_add_f64_e32 v[10:11], v[138:139], v[142:143]
	v_fmac_f64_e32 v[140:141], v[136:137], v[154:155]
	v_fma_f64 v[12:13], v[134:135], v[154:155], -v[144:145]
	s_delay_alu instid0(VALU_DEP_4) | instskip(NEXT) | instid1(VALU_DEP_4)
	v_add_f64_e32 v[4:5], v[6:7], v[4:5]
	v_add_f64_e32 v[2:3], v[10:11], v[2:3]
	s_delay_alu instid0(VALU_DEP_2) | instskip(NEXT) | instid1(VALU_DEP_2)
	v_add_f64_e32 v[4:5], v[4:5], v[12:13]
	v_add_f64_e32 v[6:7], v[2:3], v[140:141]
	s_delay_alu instid0(VALU_DEP_2) | instskip(NEXT) | instid1(VALU_DEP_2)
	v_add_f64_e64 v[2:3], v[178:179], -v[4:5]
	v_add_f64_e64 v[4:5], v[180:181], -v[6:7]
	scratch_store_b128 off, v[2:5], off offset:560
	s_wait_xcnt 0x0
	v_cmpx_lt_u32_e32 34, v1
	s_cbranch_execz .LBB59_305
; %bb.304:
	scratch_load_b128 v[2:5], off, s38
	v_mov_b32_e32 v10, 0
	s_delay_alu instid0(VALU_DEP_1)
	v_dual_mov_b32 v11, v10 :: v_dual_mov_b32 v12, v10
	v_mov_b32_e32 v13, v10
	scratch_store_b128 off, v[10:13], off offset:544
	s_wait_loadcnt 0x0
	ds_store_b128 v8, v[2:5]
.LBB59_305:
	s_wait_xcnt 0x0
	s_or_b32 exec_lo, exec_lo, s2
	s_wait_storecnt_dscnt 0x0
	s_barrier_signal -1
	s_barrier_wait -1
	s_clause 0x9
	scratch_load_b128 v[4:7], off, off offset:560
	scratch_load_b128 v[10:13], off, off offset:576
	;; [unrolled: 1-line block ×10, first 2 shown]
	v_mov_b32_e32 v2, 0
	s_mov_b32 s2, exec_lo
	ds_load_b128 v[166:169], v2 offset:1520
	s_clause 0x2
	scratch_load_b128 v[170:173], off, off offset:720
	scratch_load_b128 v[174:177], off, off offset:544
	;; [unrolled: 1-line block ×3, first 2 shown]
	s_wait_loadcnt_dscnt 0xc00
	v_mul_f64_e32 v[186:187], v[168:169], v[6:7]
	v_mul_f64_e32 v[190:191], v[166:167], v[6:7]
	ds_load_b128 v[178:181], v2 offset:1536
	v_fma_f64 v[194:195], v[166:167], v[4:5], -v[186:187]
	v_fmac_f64_e32 v[190:191], v[168:169], v[4:5]
	ds_load_b128 v[4:7], v2 offset:1552
	s_wait_loadcnt_dscnt 0xb01
	v_mul_f64_e32 v[192:193], v[178:179], v[12:13]
	v_mul_f64_e32 v[12:13], v[180:181], v[12:13]
	scratch_load_b128 v[166:169], off, off offset:752
	ds_load_b128 v[186:189], v2 offset:1568
	s_wait_loadcnt_dscnt 0xb01
	v_mul_f64_e32 v[196:197], v[4:5], v[136:137]
	v_mul_f64_e32 v[136:137], v[6:7], v[136:137]
	v_add_f64_e32 v[190:191], 0, v[190:191]
	v_fmac_f64_e32 v[192:193], v[180:181], v[10:11]
	v_fma_f64 v[178:179], v[178:179], v[10:11], -v[12:13]
	v_add_f64_e32 v[180:181], 0, v[194:195]
	scratch_load_b128 v[10:13], off, off offset:768
	v_fmac_f64_e32 v[196:197], v[6:7], v[134:135]
	v_fma_f64 v[198:199], v[4:5], v[134:135], -v[136:137]
	ds_load_b128 v[4:7], v2 offset:1584
	s_wait_loadcnt_dscnt 0xb01
	v_mul_f64_e32 v[194:195], v[186:187], v[140:141]
	v_mul_f64_e32 v[140:141], v[188:189], v[140:141]
	scratch_load_b128 v[134:137], off, off offset:784
	v_add_f64_e32 v[190:191], v[190:191], v[192:193]
	v_add_f64_e32 v[200:201], v[180:181], v[178:179]
	ds_load_b128 v[178:181], v2 offset:1600
	s_wait_loadcnt_dscnt 0xb01
	v_mul_f64_e32 v[192:193], v[4:5], v[144:145]
	v_mul_f64_e32 v[144:145], v[6:7], v[144:145]
	v_fmac_f64_e32 v[194:195], v[188:189], v[138:139]
	v_fma_f64 v[186:187], v[186:187], v[138:139], -v[140:141]
	scratch_load_b128 v[138:141], off, off offset:800
	v_add_f64_e32 v[190:191], v[190:191], v[196:197]
	v_add_f64_e32 v[188:189], v[200:201], v[198:199]
	v_fmac_f64_e32 v[192:193], v[6:7], v[142:143]
	v_fma_f64 v[198:199], v[4:5], v[142:143], -v[144:145]
	ds_load_b128 v[4:7], v2 offset:1616
	s_wait_loadcnt_dscnt 0xb01
	v_mul_f64_e32 v[196:197], v[178:179], v[148:149]
	v_mul_f64_e32 v[148:149], v[180:181], v[148:149]
	scratch_load_b128 v[142:145], off, off offset:816
	v_add_f64_e32 v[190:191], v[190:191], v[194:195]
	s_wait_loadcnt_dscnt 0xb00
	v_mul_f64_e32 v[194:195], v[4:5], v[152:153]
	v_add_f64_e32 v[200:201], v[188:189], v[186:187]
	v_mul_f64_e32 v[152:153], v[6:7], v[152:153]
	ds_load_b128 v[186:189], v2 offset:1632
	v_fmac_f64_e32 v[196:197], v[180:181], v[146:147]
	v_fma_f64 v[178:179], v[178:179], v[146:147], -v[148:149]
	scratch_load_b128 v[146:149], off, off offset:832
	v_add_f64_e32 v[190:191], v[190:191], v[192:193]
	v_fmac_f64_e32 v[194:195], v[6:7], v[150:151]
	v_add_f64_e32 v[180:181], v[200:201], v[198:199]
	v_fma_f64 v[198:199], v[4:5], v[150:151], -v[152:153]
	ds_load_b128 v[4:7], v2 offset:1648
	s_wait_loadcnt_dscnt 0xb01
	v_mul_f64_e32 v[192:193], v[186:187], v[156:157]
	v_mul_f64_e32 v[156:157], v[188:189], v[156:157]
	scratch_load_b128 v[150:153], off, off offset:848
	v_add_f64_e32 v[190:191], v[190:191], v[196:197]
	s_wait_loadcnt_dscnt 0xb00
	v_mul_f64_e32 v[196:197], v[4:5], v[160:161]
	v_add_f64_e32 v[200:201], v[180:181], v[178:179]
	v_mul_f64_e32 v[160:161], v[6:7], v[160:161]
	ds_load_b128 v[178:181], v2 offset:1664
	v_fmac_f64_e32 v[192:193], v[188:189], v[154:155]
	v_fma_f64 v[186:187], v[186:187], v[154:155], -v[156:157]
	scratch_load_b128 v[154:157], off, off offset:864
	v_add_f64_e32 v[190:191], v[190:191], v[194:195]
	v_fmac_f64_e32 v[196:197], v[6:7], v[158:159]
	v_add_f64_e32 v[188:189], v[200:201], v[198:199]
	;; [unrolled: 18-line block ×3, first 2 shown]
	v_fma_f64 v[198:199], v[4:5], v[170:171], -v[172:173]
	ds_load_b128 v[4:7], v2 offset:1712
	s_wait_loadcnt_dscnt 0xa01
	v_mul_f64_e32 v[196:197], v[186:187], v[184:185]
	v_mul_f64_e32 v[184:185], v[188:189], v[184:185]
	scratch_load_b128 v[170:173], off, off offset:912
	v_add_f64_e32 v[190:191], v[190:191], v[194:195]
	v_add_f64_e32 v[200:201], v[180:181], v[178:179]
	s_wait_loadcnt_dscnt 0xa00
	v_mul_f64_e32 v[194:195], v[4:5], v[168:169]
	v_mul_f64_e32 v[168:169], v[6:7], v[168:169]
	v_fmac_f64_e32 v[196:197], v[188:189], v[182:183]
	v_fma_f64 v[186:187], v[186:187], v[182:183], -v[184:185]
	ds_load_b128 v[178:181], v2 offset:1728
	scratch_load_b128 v[182:185], off, off offset:928
	v_add_f64_e32 v[190:191], v[190:191], v[192:193]
	v_add_f64_e32 v[188:189], v[200:201], v[198:199]
	v_fmac_f64_e32 v[194:195], v[6:7], v[166:167]
	v_fma_f64 v[198:199], v[4:5], v[166:167], -v[168:169]
	ds_load_b128 v[4:7], v2 offset:1744
	s_wait_loadcnt_dscnt 0xa01
	v_mul_f64_e32 v[192:193], v[178:179], v[12:13]
	v_mul_f64_e32 v[12:13], v[180:181], v[12:13]
	scratch_load_b128 v[166:169], off, off offset:944
	v_add_f64_e32 v[190:191], v[190:191], v[196:197]
	s_wait_loadcnt_dscnt 0xa00
	v_mul_f64_e32 v[196:197], v[4:5], v[136:137]
	v_add_f64_e32 v[200:201], v[188:189], v[186:187]
	v_mul_f64_e32 v[136:137], v[6:7], v[136:137]
	ds_load_b128 v[186:189], v2 offset:1760
	v_fmac_f64_e32 v[192:193], v[180:181], v[10:11]
	v_fma_f64 v[10:11], v[178:179], v[10:11], -v[12:13]
	s_wait_loadcnt_dscnt 0x900
	v_mul_f64_e32 v[180:181], v[186:187], v[140:141]
	v_mul_f64_e32 v[140:141], v[188:189], v[140:141]
	v_add_f64_e32 v[178:179], v[190:191], v[194:195]
	v_fmac_f64_e32 v[196:197], v[6:7], v[134:135]
	v_add_f64_e32 v[12:13], v[200:201], v[198:199]
	v_fma_f64 v[134:135], v[4:5], v[134:135], -v[136:137]
	v_fmac_f64_e32 v[180:181], v[188:189], v[138:139]
	v_fma_f64 v[138:139], v[186:187], v[138:139], -v[140:141]
	v_add_f64_e32 v[178:179], v[178:179], v[192:193]
	v_add_f64_e32 v[136:137], v[12:13], v[10:11]
	ds_load_b128 v[4:7], v2 offset:1776
	ds_load_b128 v[10:13], v2 offset:1792
	s_wait_loadcnt_dscnt 0x801
	v_mul_f64_e32 v[190:191], v[4:5], v[144:145]
	v_mul_f64_e32 v[144:145], v[6:7], v[144:145]
	s_wait_loadcnt_dscnt 0x700
	v_mul_f64_e32 v[140:141], v[10:11], v[148:149]
	v_mul_f64_e32 v[148:149], v[12:13], v[148:149]
	v_add_f64_e32 v[134:135], v[136:137], v[134:135]
	v_add_f64_e32 v[136:137], v[178:179], v[196:197]
	v_fmac_f64_e32 v[190:191], v[6:7], v[142:143]
	v_fma_f64 v[142:143], v[4:5], v[142:143], -v[144:145]
	v_fmac_f64_e32 v[140:141], v[12:13], v[146:147]
	v_fma_f64 v[10:11], v[10:11], v[146:147], -v[148:149]
	v_add_f64_e32 v[138:139], v[134:135], v[138:139]
	v_add_f64_e32 v[144:145], v[136:137], v[180:181]
	ds_load_b128 v[4:7], v2 offset:1808
	ds_load_b128 v[134:137], v2 offset:1824
	s_wait_loadcnt_dscnt 0x601
	v_mul_f64_e32 v[178:179], v[4:5], v[152:153]
	v_mul_f64_e32 v[152:153], v[6:7], v[152:153]
	v_add_f64_e32 v[12:13], v[138:139], v[142:143]
	v_add_f64_e32 v[138:139], v[144:145], v[190:191]
	s_wait_loadcnt_dscnt 0x500
	v_mul_f64_e32 v[142:143], v[134:135], v[156:157]
	v_mul_f64_e32 v[144:145], v[136:137], v[156:157]
	v_fmac_f64_e32 v[178:179], v[6:7], v[150:151]
	v_fma_f64 v[146:147], v[4:5], v[150:151], -v[152:153]
	v_add_f64_e32 v[148:149], v[12:13], v[10:11]
	v_add_f64_e32 v[138:139], v[138:139], v[140:141]
	ds_load_b128 v[4:7], v2 offset:1840
	ds_load_b128 v[10:13], v2 offset:1856
	v_fmac_f64_e32 v[142:143], v[136:137], v[154:155]
	v_fma_f64 v[134:135], v[134:135], v[154:155], -v[144:145]
	s_wait_loadcnt_dscnt 0x401
	v_mul_f64_e32 v[140:141], v[4:5], v[160:161]
	v_mul_f64_e32 v[150:151], v[6:7], v[160:161]
	s_wait_loadcnt_dscnt 0x300
	v_mul_f64_e32 v[144:145], v[10:11], v[164:165]
	v_add_f64_e32 v[136:137], v[148:149], v[146:147]
	v_add_f64_e32 v[138:139], v[138:139], v[178:179]
	v_mul_f64_e32 v[146:147], v[12:13], v[164:165]
	v_fmac_f64_e32 v[140:141], v[6:7], v[158:159]
	v_fma_f64 v[148:149], v[4:5], v[158:159], -v[150:151]
	v_fmac_f64_e32 v[144:145], v[12:13], v[162:163]
	v_add_f64_e32 v[150:151], v[136:137], v[134:135]
	v_add_f64_e32 v[138:139], v[138:139], v[142:143]
	ds_load_b128 v[4:7], v2 offset:1872
	ds_load_b128 v[134:137], v2 offset:1888
	v_fma_f64 v[10:11], v[10:11], v[162:163], -v[146:147]
	s_wait_loadcnt_dscnt 0x201
	v_mul_f64_e32 v[142:143], v[4:5], v[172:173]
	v_mul_f64_e32 v[152:153], v[6:7], v[172:173]
	s_wait_loadcnt_dscnt 0x100
	v_mul_f64_e32 v[146:147], v[136:137], v[184:185]
	v_add_f64_e32 v[12:13], v[150:151], v[148:149]
	v_add_f64_e32 v[138:139], v[138:139], v[140:141]
	v_mul_f64_e32 v[140:141], v[134:135], v[184:185]
	v_fmac_f64_e32 v[142:143], v[6:7], v[170:171]
	v_fma_f64 v[148:149], v[4:5], v[170:171], -v[152:153]
	ds_load_b128 v[4:7], v2 offset:1904
	v_fma_f64 v[134:135], v[134:135], v[182:183], -v[146:147]
	v_add_f64_e32 v[10:11], v[12:13], v[10:11]
	v_add_f64_e32 v[12:13], v[138:139], v[144:145]
	v_fmac_f64_e32 v[140:141], v[136:137], v[182:183]
	s_wait_loadcnt_dscnt 0x0
	v_mul_f64_e32 v[138:139], v[4:5], v[168:169]
	v_mul_f64_e32 v[144:145], v[6:7], v[168:169]
	v_add_f64_e32 v[10:11], v[10:11], v[148:149]
	v_add_f64_e32 v[12:13], v[12:13], v[142:143]
	s_delay_alu instid0(VALU_DEP_4) | instskip(NEXT) | instid1(VALU_DEP_4)
	v_fmac_f64_e32 v[138:139], v[6:7], v[166:167]
	v_fma_f64 v[4:5], v[4:5], v[166:167], -v[144:145]
	s_delay_alu instid0(VALU_DEP_4) | instskip(NEXT) | instid1(VALU_DEP_4)
	v_add_f64_e32 v[6:7], v[10:11], v[134:135]
	v_add_f64_e32 v[10:11], v[12:13], v[140:141]
	s_delay_alu instid0(VALU_DEP_2) | instskip(NEXT) | instid1(VALU_DEP_2)
	v_add_f64_e32 v[4:5], v[6:7], v[4:5]
	v_add_f64_e32 v[6:7], v[10:11], v[138:139]
	s_delay_alu instid0(VALU_DEP_2) | instskip(NEXT) | instid1(VALU_DEP_2)
	v_add_f64_e64 v[4:5], v[174:175], -v[4:5]
	v_add_f64_e64 v[6:7], v[176:177], -v[6:7]
	scratch_store_b128 off, v[4:7], off offset:544
	s_wait_xcnt 0x0
	v_cmpx_lt_u32_e32 33, v1
	s_cbranch_execz .LBB59_307
; %bb.306:
	scratch_load_b128 v[10:13], off, s37
	v_dual_mov_b32 v3, v2 :: v_dual_mov_b32 v4, v2
	v_mov_b32_e32 v5, v2
	scratch_store_b128 off, v[2:5], off offset:528
	s_wait_loadcnt 0x0
	ds_store_b128 v8, v[10:13]
.LBB59_307:
	s_wait_xcnt 0x0
	s_or_b32 exec_lo, exec_lo, s2
	s_wait_storecnt_dscnt 0x0
	s_barrier_signal -1
	s_barrier_wait -1
	s_clause 0x9
	scratch_load_b128 v[4:7], off, off offset:544
	scratch_load_b128 v[10:13], off, off offset:560
	;; [unrolled: 1-line block ×10, first 2 shown]
	ds_load_b128 v[166:169], v2 offset:1504
	ds_load_b128 v[174:177], v2 offset:1520
	s_clause 0x2
	scratch_load_b128 v[170:173], off, off offset:704
	scratch_load_b128 v[178:181], off, off offset:528
	;; [unrolled: 1-line block ×3, first 2 shown]
	s_mov_b32 s2, exec_lo
	s_wait_loadcnt_dscnt 0xc01
	v_mul_f64_e32 v[186:187], v[168:169], v[6:7]
	v_mul_f64_e32 v[190:191], v[166:167], v[6:7]
	s_wait_loadcnt_dscnt 0xb00
	v_mul_f64_e32 v[192:193], v[174:175], v[12:13]
	v_mul_f64_e32 v[12:13], v[176:177], v[12:13]
	s_delay_alu instid0(VALU_DEP_4) | instskip(NEXT) | instid1(VALU_DEP_4)
	v_fma_f64 v[194:195], v[166:167], v[4:5], -v[186:187]
	v_fmac_f64_e32 v[190:191], v[168:169], v[4:5]
	ds_load_b128 v[4:7], v2 offset:1536
	ds_load_b128 v[166:169], v2 offset:1552
	scratch_load_b128 v[186:189], off, off offset:736
	v_fmac_f64_e32 v[192:193], v[176:177], v[10:11]
	v_fma_f64 v[174:175], v[174:175], v[10:11], -v[12:13]
	scratch_load_b128 v[10:13], off, off offset:752
	s_wait_loadcnt_dscnt 0xc01
	v_mul_f64_e32 v[196:197], v[4:5], v[136:137]
	v_mul_f64_e32 v[136:137], v[6:7], v[136:137]
	v_add_f64_e32 v[176:177], 0, v[194:195]
	v_add_f64_e32 v[190:191], 0, v[190:191]
	s_wait_loadcnt_dscnt 0xb00
	v_mul_f64_e32 v[194:195], v[166:167], v[140:141]
	v_mul_f64_e32 v[140:141], v[168:169], v[140:141]
	v_fmac_f64_e32 v[196:197], v[6:7], v[134:135]
	v_fma_f64 v[198:199], v[4:5], v[134:135], -v[136:137]
	ds_load_b128 v[4:7], v2 offset:1568
	ds_load_b128 v[134:137], v2 offset:1584
	v_add_f64_e32 v[200:201], v[176:177], v[174:175]
	v_add_f64_e32 v[190:191], v[190:191], v[192:193]
	scratch_load_b128 v[174:177], off, off offset:768
	v_fmac_f64_e32 v[194:195], v[168:169], v[138:139]
	v_fma_f64 v[166:167], v[166:167], v[138:139], -v[140:141]
	scratch_load_b128 v[138:141], off, off offset:784
	s_wait_loadcnt_dscnt 0xc01
	v_mul_f64_e32 v[192:193], v[4:5], v[144:145]
	v_mul_f64_e32 v[144:145], v[6:7], v[144:145]
	v_add_f64_e32 v[168:169], v[200:201], v[198:199]
	v_add_f64_e32 v[190:191], v[190:191], v[196:197]
	s_wait_loadcnt_dscnt 0xb00
	v_mul_f64_e32 v[196:197], v[134:135], v[148:149]
	v_mul_f64_e32 v[148:149], v[136:137], v[148:149]
	v_fmac_f64_e32 v[192:193], v[6:7], v[142:143]
	v_fma_f64 v[198:199], v[4:5], v[142:143], -v[144:145]
	ds_load_b128 v[4:7], v2 offset:1600
	ds_load_b128 v[142:145], v2 offset:1616
	v_add_f64_e32 v[200:201], v[168:169], v[166:167]
	v_add_f64_e32 v[190:191], v[190:191], v[194:195]
	scratch_load_b128 v[166:169], off, off offset:800
	s_wait_loadcnt_dscnt 0xb01
	v_mul_f64_e32 v[194:195], v[4:5], v[152:153]
	v_mul_f64_e32 v[152:153], v[6:7], v[152:153]
	v_fmac_f64_e32 v[196:197], v[136:137], v[146:147]
	v_fma_f64 v[146:147], v[134:135], v[146:147], -v[148:149]
	scratch_load_b128 v[134:137], off, off offset:816
	v_add_f64_e32 v[148:149], v[200:201], v[198:199]
	v_add_f64_e32 v[190:191], v[190:191], v[192:193]
	s_wait_loadcnt_dscnt 0xb00
	v_mul_f64_e32 v[192:193], v[142:143], v[156:157]
	v_mul_f64_e32 v[156:157], v[144:145], v[156:157]
	v_fmac_f64_e32 v[194:195], v[6:7], v[150:151]
	v_fma_f64 v[198:199], v[4:5], v[150:151], -v[152:153]
	v_add_f64_e32 v[200:201], v[148:149], v[146:147]
	v_add_f64_e32 v[190:191], v[190:191], v[196:197]
	ds_load_b128 v[4:7], v2 offset:1632
	ds_load_b128 v[146:149], v2 offset:1648
	scratch_load_b128 v[150:153], off, off offset:832
	v_fmac_f64_e32 v[192:193], v[144:145], v[154:155]
	v_fma_f64 v[154:155], v[142:143], v[154:155], -v[156:157]
	scratch_load_b128 v[142:145], off, off offset:848
	s_wait_loadcnt_dscnt 0xc01
	v_mul_f64_e32 v[196:197], v[4:5], v[160:161]
	v_mul_f64_e32 v[160:161], v[6:7], v[160:161]
	v_add_f64_e32 v[156:157], v[200:201], v[198:199]
	v_add_f64_e32 v[190:191], v[190:191], v[194:195]
	s_wait_loadcnt_dscnt 0xb00
	v_mul_f64_e32 v[194:195], v[146:147], v[164:165]
	v_mul_f64_e32 v[164:165], v[148:149], v[164:165]
	v_fmac_f64_e32 v[196:197], v[6:7], v[158:159]
	v_fma_f64 v[198:199], v[4:5], v[158:159], -v[160:161]
	v_add_f64_e32 v[200:201], v[156:157], v[154:155]
	v_add_f64_e32 v[190:191], v[190:191], v[192:193]
	ds_load_b128 v[4:7], v2 offset:1664
	ds_load_b128 v[154:157], v2 offset:1680
	scratch_load_b128 v[158:161], off, off offset:864
	v_fmac_f64_e32 v[194:195], v[148:149], v[162:163]
	v_fma_f64 v[162:163], v[146:147], v[162:163], -v[164:165]
	scratch_load_b128 v[146:149], off, off offset:880
	s_wait_loadcnt_dscnt 0xc01
	v_mul_f64_e32 v[192:193], v[4:5], v[172:173]
	v_mul_f64_e32 v[172:173], v[6:7], v[172:173]
	;; [unrolled: 18-line block ×4, first 2 shown]
	v_add_f64_e32 v[164:165], v[200:201], v[198:199]
	v_add_f64_e32 v[190:191], v[190:191], v[194:195]
	s_wait_loadcnt_dscnt 0xa00
	v_mul_f64_e32 v[194:195], v[182:183], v[140:141]
	v_mul_f64_e32 v[140:141], v[184:185], v[140:141]
	v_fmac_f64_e32 v[196:197], v[6:7], v[174:175]
	v_fma_f64 v[174:175], v[4:5], v[174:175], -v[176:177]
	v_add_f64_e32 v[176:177], v[164:165], v[162:163]
	v_add_f64_e32 v[190:191], v[190:191], v[192:193]
	ds_load_b128 v[4:7], v2 offset:1760
	ds_load_b128 v[162:165], v2 offset:1776
	v_fmac_f64_e32 v[194:195], v[184:185], v[138:139]
	v_fma_f64 v[138:139], v[182:183], v[138:139], -v[140:141]
	s_wait_loadcnt_dscnt 0x901
	v_mul_f64_e32 v[192:193], v[4:5], v[168:169]
	v_mul_f64_e32 v[168:169], v[6:7], v[168:169]
	s_wait_loadcnt_dscnt 0x800
	v_mul_f64_e32 v[182:183], v[164:165], v[136:137]
	v_add_f64_e32 v[140:141], v[176:177], v[174:175]
	v_add_f64_e32 v[174:175], v[190:191], v[196:197]
	v_mul_f64_e32 v[176:177], v[162:163], v[136:137]
	v_fmac_f64_e32 v[192:193], v[6:7], v[166:167]
	v_fma_f64 v[166:167], v[4:5], v[166:167], -v[168:169]
	v_add_f64_e32 v[140:141], v[140:141], v[138:139]
	v_add_f64_e32 v[168:169], v[174:175], v[194:195]
	ds_load_b128 v[4:7], v2 offset:1792
	ds_load_b128 v[136:139], v2 offset:1808
	v_fmac_f64_e32 v[176:177], v[164:165], v[134:135]
	v_fma_f64 v[134:135], v[162:163], v[134:135], -v[182:183]
	s_wait_loadcnt_dscnt 0x701
	v_mul_f64_e32 v[174:175], v[4:5], v[152:153]
	v_mul_f64_e32 v[152:153], v[6:7], v[152:153]
	s_wait_loadcnt_dscnt 0x600
	v_mul_f64_e32 v[164:165], v[136:137], v[144:145]
	v_mul_f64_e32 v[144:145], v[138:139], v[144:145]
	v_add_f64_e32 v[140:141], v[140:141], v[166:167]
	v_add_f64_e32 v[162:163], v[168:169], v[192:193]
	v_fmac_f64_e32 v[174:175], v[6:7], v[150:151]
	v_fma_f64 v[166:167], v[4:5], v[150:151], -v[152:153]
	ds_load_b128 v[4:7], v2 offset:1824
	ds_load_b128 v[150:153], v2 offset:1840
	v_fmac_f64_e32 v[164:165], v[138:139], v[142:143]
	v_fma_f64 v[136:137], v[136:137], v[142:143], -v[144:145]
	v_add_f64_e32 v[134:135], v[140:141], v[134:135]
	v_add_f64_e32 v[140:141], v[162:163], v[176:177]
	s_wait_loadcnt_dscnt 0x501
	v_mul_f64_e32 v[162:163], v[4:5], v[160:161]
	v_mul_f64_e32 v[160:161], v[6:7], v[160:161]
	s_wait_loadcnt_dscnt 0x400
	v_mul_f64_e32 v[142:143], v[152:153], v[148:149]
	v_add_f64_e32 v[134:135], v[134:135], v[166:167]
	v_add_f64_e32 v[138:139], v[140:141], v[174:175]
	v_mul_f64_e32 v[140:141], v[150:151], v[148:149]
	v_fmac_f64_e32 v[162:163], v[6:7], v[158:159]
	v_fma_f64 v[144:145], v[4:5], v[158:159], -v[160:161]
	v_fma_f64 v[142:143], v[150:151], v[146:147], -v[142:143]
	v_add_f64_e32 v[148:149], v[134:135], v[136:137]
	v_add_f64_e32 v[138:139], v[138:139], v[164:165]
	ds_load_b128 v[4:7], v2 offset:1856
	ds_load_b128 v[134:137], v2 offset:1872
	v_fmac_f64_e32 v[140:141], v[152:153], v[146:147]
	s_wait_loadcnt_dscnt 0x301
	v_mul_f64_e32 v[158:159], v[4:5], v[172:173]
	v_mul_f64_e32 v[160:161], v[6:7], v[172:173]
	s_wait_loadcnt_dscnt 0x200
	v_mul_f64_e32 v[146:147], v[134:135], v[156:157]
	v_add_f64_e32 v[144:145], v[148:149], v[144:145]
	v_add_f64_e32 v[138:139], v[138:139], v[162:163]
	v_mul_f64_e32 v[148:149], v[136:137], v[156:157]
	v_fmac_f64_e32 v[158:159], v[6:7], v[170:171]
	v_fma_f64 v[150:151], v[4:5], v[170:171], -v[160:161]
	v_fmac_f64_e32 v[146:147], v[136:137], v[154:155]
	v_add_f64_e32 v[142:143], v[144:145], v[142:143]
	v_add_f64_e32 v[144:145], v[138:139], v[140:141]
	ds_load_b128 v[4:7], v2 offset:1888
	ds_load_b128 v[138:141], v2 offset:1904
	v_fma_f64 v[134:135], v[134:135], v[154:155], -v[148:149]
	s_wait_loadcnt_dscnt 0x101
	v_mul_f64_e32 v[2:3], v[4:5], v[188:189]
	v_mul_f64_e32 v[152:153], v[6:7], v[188:189]
	v_add_f64_e32 v[136:137], v[142:143], v[150:151]
	v_add_f64_e32 v[142:143], v[144:145], v[158:159]
	s_wait_loadcnt_dscnt 0x0
	v_mul_f64_e32 v[144:145], v[138:139], v[12:13]
	v_mul_f64_e32 v[12:13], v[140:141], v[12:13]
	v_fmac_f64_e32 v[2:3], v[6:7], v[186:187]
	v_fma_f64 v[4:5], v[4:5], v[186:187], -v[152:153]
	v_add_f64_e32 v[6:7], v[136:137], v[134:135]
	v_add_f64_e32 v[134:135], v[142:143], v[146:147]
	v_fmac_f64_e32 v[144:145], v[140:141], v[10:11]
	v_fma_f64 v[10:11], v[138:139], v[10:11], -v[12:13]
	s_delay_alu instid0(VALU_DEP_4) | instskip(NEXT) | instid1(VALU_DEP_4)
	v_add_f64_e32 v[4:5], v[6:7], v[4:5]
	v_add_f64_e32 v[2:3], v[134:135], v[2:3]
	s_delay_alu instid0(VALU_DEP_2) | instskip(NEXT) | instid1(VALU_DEP_2)
	v_add_f64_e32 v[4:5], v[4:5], v[10:11]
	v_add_f64_e32 v[6:7], v[2:3], v[144:145]
	s_delay_alu instid0(VALU_DEP_2) | instskip(NEXT) | instid1(VALU_DEP_2)
	v_add_f64_e64 v[2:3], v[178:179], -v[4:5]
	v_add_f64_e64 v[4:5], v[180:181], -v[6:7]
	scratch_store_b128 off, v[2:5], off offset:528
	s_wait_xcnt 0x0
	v_cmpx_lt_u32_e32 32, v1
	s_cbranch_execz .LBB59_309
; %bb.308:
	scratch_load_b128 v[2:5], off, s41
	v_mov_b32_e32 v10, 0
	s_delay_alu instid0(VALU_DEP_1)
	v_dual_mov_b32 v11, v10 :: v_dual_mov_b32 v12, v10
	v_mov_b32_e32 v13, v10
	scratch_store_b128 off, v[10:13], off offset:512
	s_wait_loadcnt 0x0
	ds_store_b128 v8, v[2:5]
.LBB59_309:
	s_wait_xcnt 0x0
	s_or_b32 exec_lo, exec_lo, s2
	s_wait_storecnt_dscnt 0x0
	s_barrier_signal -1
	s_barrier_wait -1
	s_clause 0x9
	scratch_load_b128 v[4:7], off, off offset:528
	scratch_load_b128 v[10:13], off, off offset:544
	;; [unrolled: 1-line block ×10, first 2 shown]
	v_mov_b32_e32 v2, 0
	s_mov_b32 s2, exec_lo
	ds_load_b128 v[166:169], v2 offset:1488
	s_clause 0x2
	scratch_load_b128 v[170:173], off, off offset:688
	scratch_load_b128 v[174:177], off, off offset:512
	;; [unrolled: 1-line block ×3, first 2 shown]
	s_wait_loadcnt_dscnt 0xc00
	v_mul_f64_e32 v[186:187], v[168:169], v[6:7]
	v_mul_f64_e32 v[190:191], v[166:167], v[6:7]
	ds_load_b128 v[178:181], v2 offset:1504
	v_fma_f64 v[194:195], v[166:167], v[4:5], -v[186:187]
	v_fmac_f64_e32 v[190:191], v[168:169], v[4:5]
	ds_load_b128 v[4:7], v2 offset:1520
	s_wait_loadcnt_dscnt 0xb01
	v_mul_f64_e32 v[192:193], v[178:179], v[12:13]
	v_mul_f64_e32 v[12:13], v[180:181], v[12:13]
	scratch_load_b128 v[166:169], off, off offset:720
	ds_load_b128 v[186:189], v2 offset:1536
	s_wait_loadcnt_dscnt 0xb01
	v_mul_f64_e32 v[196:197], v[4:5], v[136:137]
	v_mul_f64_e32 v[136:137], v[6:7], v[136:137]
	v_add_f64_e32 v[190:191], 0, v[190:191]
	v_fmac_f64_e32 v[192:193], v[180:181], v[10:11]
	v_fma_f64 v[178:179], v[178:179], v[10:11], -v[12:13]
	v_add_f64_e32 v[180:181], 0, v[194:195]
	scratch_load_b128 v[10:13], off, off offset:736
	v_fmac_f64_e32 v[196:197], v[6:7], v[134:135]
	v_fma_f64 v[198:199], v[4:5], v[134:135], -v[136:137]
	ds_load_b128 v[4:7], v2 offset:1552
	s_wait_loadcnt_dscnt 0xb01
	v_mul_f64_e32 v[194:195], v[186:187], v[140:141]
	v_mul_f64_e32 v[140:141], v[188:189], v[140:141]
	scratch_load_b128 v[134:137], off, off offset:752
	v_add_f64_e32 v[190:191], v[190:191], v[192:193]
	v_add_f64_e32 v[200:201], v[180:181], v[178:179]
	ds_load_b128 v[178:181], v2 offset:1568
	s_wait_loadcnt_dscnt 0xb01
	v_mul_f64_e32 v[192:193], v[4:5], v[144:145]
	v_mul_f64_e32 v[144:145], v[6:7], v[144:145]
	v_fmac_f64_e32 v[194:195], v[188:189], v[138:139]
	v_fma_f64 v[186:187], v[186:187], v[138:139], -v[140:141]
	scratch_load_b128 v[138:141], off, off offset:768
	v_add_f64_e32 v[190:191], v[190:191], v[196:197]
	v_add_f64_e32 v[188:189], v[200:201], v[198:199]
	v_fmac_f64_e32 v[192:193], v[6:7], v[142:143]
	v_fma_f64 v[198:199], v[4:5], v[142:143], -v[144:145]
	ds_load_b128 v[4:7], v2 offset:1584
	s_wait_loadcnt_dscnt 0xb01
	v_mul_f64_e32 v[196:197], v[178:179], v[148:149]
	v_mul_f64_e32 v[148:149], v[180:181], v[148:149]
	scratch_load_b128 v[142:145], off, off offset:784
	v_add_f64_e32 v[190:191], v[190:191], v[194:195]
	s_wait_loadcnt_dscnt 0xb00
	v_mul_f64_e32 v[194:195], v[4:5], v[152:153]
	v_add_f64_e32 v[200:201], v[188:189], v[186:187]
	v_mul_f64_e32 v[152:153], v[6:7], v[152:153]
	ds_load_b128 v[186:189], v2 offset:1600
	v_fmac_f64_e32 v[196:197], v[180:181], v[146:147]
	v_fma_f64 v[178:179], v[178:179], v[146:147], -v[148:149]
	scratch_load_b128 v[146:149], off, off offset:800
	v_add_f64_e32 v[190:191], v[190:191], v[192:193]
	v_fmac_f64_e32 v[194:195], v[6:7], v[150:151]
	v_add_f64_e32 v[180:181], v[200:201], v[198:199]
	v_fma_f64 v[198:199], v[4:5], v[150:151], -v[152:153]
	ds_load_b128 v[4:7], v2 offset:1616
	s_wait_loadcnt_dscnt 0xb01
	v_mul_f64_e32 v[192:193], v[186:187], v[156:157]
	v_mul_f64_e32 v[156:157], v[188:189], v[156:157]
	scratch_load_b128 v[150:153], off, off offset:816
	v_add_f64_e32 v[190:191], v[190:191], v[196:197]
	s_wait_loadcnt_dscnt 0xb00
	v_mul_f64_e32 v[196:197], v[4:5], v[160:161]
	v_add_f64_e32 v[200:201], v[180:181], v[178:179]
	v_mul_f64_e32 v[160:161], v[6:7], v[160:161]
	ds_load_b128 v[178:181], v2 offset:1632
	v_fmac_f64_e32 v[192:193], v[188:189], v[154:155]
	v_fma_f64 v[186:187], v[186:187], v[154:155], -v[156:157]
	scratch_load_b128 v[154:157], off, off offset:832
	v_add_f64_e32 v[190:191], v[190:191], v[194:195]
	v_fmac_f64_e32 v[196:197], v[6:7], v[158:159]
	v_add_f64_e32 v[188:189], v[200:201], v[198:199]
	;; [unrolled: 18-line block ×3, first 2 shown]
	v_fma_f64 v[198:199], v[4:5], v[170:171], -v[172:173]
	ds_load_b128 v[4:7], v2 offset:1680
	s_wait_loadcnt_dscnt 0xa01
	v_mul_f64_e32 v[196:197], v[186:187], v[184:185]
	v_mul_f64_e32 v[184:185], v[188:189], v[184:185]
	scratch_load_b128 v[170:173], off, off offset:880
	v_add_f64_e32 v[190:191], v[190:191], v[194:195]
	v_add_f64_e32 v[200:201], v[180:181], v[178:179]
	s_wait_loadcnt_dscnt 0xa00
	v_mul_f64_e32 v[194:195], v[4:5], v[168:169]
	v_mul_f64_e32 v[168:169], v[6:7], v[168:169]
	v_fmac_f64_e32 v[196:197], v[188:189], v[182:183]
	v_fma_f64 v[186:187], v[186:187], v[182:183], -v[184:185]
	ds_load_b128 v[178:181], v2 offset:1696
	scratch_load_b128 v[182:185], off, off offset:896
	v_add_f64_e32 v[190:191], v[190:191], v[192:193]
	v_add_f64_e32 v[188:189], v[200:201], v[198:199]
	v_fmac_f64_e32 v[194:195], v[6:7], v[166:167]
	v_fma_f64 v[198:199], v[4:5], v[166:167], -v[168:169]
	ds_load_b128 v[4:7], v2 offset:1712
	s_wait_loadcnt_dscnt 0xa01
	v_mul_f64_e32 v[192:193], v[178:179], v[12:13]
	v_mul_f64_e32 v[12:13], v[180:181], v[12:13]
	scratch_load_b128 v[166:169], off, off offset:912
	v_add_f64_e32 v[190:191], v[190:191], v[196:197]
	s_wait_loadcnt_dscnt 0xa00
	v_mul_f64_e32 v[196:197], v[4:5], v[136:137]
	v_add_f64_e32 v[200:201], v[188:189], v[186:187]
	v_mul_f64_e32 v[136:137], v[6:7], v[136:137]
	ds_load_b128 v[186:189], v2 offset:1728
	v_fmac_f64_e32 v[192:193], v[180:181], v[10:11]
	v_fma_f64 v[178:179], v[178:179], v[10:11], -v[12:13]
	scratch_load_b128 v[10:13], off, off offset:928
	v_add_f64_e32 v[190:191], v[190:191], v[194:195]
	v_fmac_f64_e32 v[196:197], v[6:7], v[134:135]
	v_add_f64_e32 v[180:181], v[200:201], v[198:199]
	v_fma_f64 v[198:199], v[4:5], v[134:135], -v[136:137]
	ds_load_b128 v[4:7], v2 offset:1744
	s_wait_loadcnt_dscnt 0xa01
	v_mul_f64_e32 v[194:195], v[186:187], v[140:141]
	v_mul_f64_e32 v[140:141], v[188:189], v[140:141]
	scratch_load_b128 v[134:137], off, off offset:944
	v_add_f64_e32 v[190:191], v[190:191], v[192:193]
	s_wait_loadcnt_dscnt 0xa00
	v_mul_f64_e32 v[192:193], v[4:5], v[144:145]
	v_add_f64_e32 v[200:201], v[180:181], v[178:179]
	v_mul_f64_e32 v[144:145], v[6:7], v[144:145]
	ds_load_b128 v[178:181], v2 offset:1760
	v_fmac_f64_e32 v[194:195], v[188:189], v[138:139]
	v_fma_f64 v[138:139], v[186:187], v[138:139], -v[140:141]
	s_wait_loadcnt_dscnt 0x900
	v_mul_f64_e32 v[188:189], v[178:179], v[148:149]
	v_mul_f64_e32 v[148:149], v[180:181], v[148:149]
	v_add_f64_e32 v[186:187], v[190:191], v[196:197]
	v_fmac_f64_e32 v[192:193], v[6:7], v[142:143]
	v_add_f64_e32 v[140:141], v[200:201], v[198:199]
	v_fma_f64 v[142:143], v[4:5], v[142:143], -v[144:145]
	v_fmac_f64_e32 v[188:189], v[180:181], v[146:147]
	v_fma_f64 v[146:147], v[178:179], v[146:147], -v[148:149]
	v_add_f64_e32 v[186:187], v[186:187], v[194:195]
	v_add_f64_e32 v[144:145], v[140:141], v[138:139]
	ds_load_b128 v[4:7], v2 offset:1776
	ds_load_b128 v[138:141], v2 offset:1792
	s_wait_loadcnt_dscnt 0x801
	v_mul_f64_e32 v[190:191], v[4:5], v[152:153]
	v_mul_f64_e32 v[152:153], v[6:7], v[152:153]
	s_wait_loadcnt_dscnt 0x700
	v_mul_f64_e32 v[148:149], v[138:139], v[156:157]
	v_mul_f64_e32 v[156:157], v[140:141], v[156:157]
	v_add_f64_e32 v[142:143], v[144:145], v[142:143]
	v_add_f64_e32 v[144:145], v[186:187], v[192:193]
	v_fmac_f64_e32 v[190:191], v[6:7], v[150:151]
	v_fma_f64 v[150:151], v[4:5], v[150:151], -v[152:153]
	v_fmac_f64_e32 v[148:149], v[140:141], v[154:155]
	v_fma_f64 v[138:139], v[138:139], v[154:155], -v[156:157]
	v_add_f64_e32 v[146:147], v[142:143], v[146:147]
	v_add_f64_e32 v[152:153], v[144:145], v[188:189]
	ds_load_b128 v[4:7], v2 offset:1808
	ds_load_b128 v[142:145], v2 offset:1824
	s_wait_loadcnt_dscnt 0x601
	v_mul_f64_e32 v[178:179], v[4:5], v[160:161]
	v_mul_f64_e32 v[160:161], v[6:7], v[160:161]
	v_add_f64_e32 v[140:141], v[146:147], v[150:151]
	v_add_f64_e32 v[146:147], v[152:153], v[190:191]
	s_wait_loadcnt_dscnt 0x500
	v_mul_f64_e32 v[150:151], v[142:143], v[164:165]
	v_mul_f64_e32 v[152:153], v[144:145], v[164:165]
	v_fmac_f64_e32 v[178:179], v[6:7], v[158:159]
	v_fma_f64 v[154:155], v[4:5], v[158:159], -v[160:161]
	v_add_f64_e32 v[156:157], v[140:141], v[138:139]
	v_add_f64_e32 v[146:147], v[146:147], v[148:149]
	ds_load_b128 v[4:7], v2 offset:1840
	ds_load_b128 v[138:141], v2 offset:1856
	v_fmac_f64_e32 v[150:151], v[144:145], v[162:163]
	v_fma_f64 v[142:143], v[142:143], v[162:163], -v[152:153]
	s_wait_loadcnt_dscnt 0x401
	v_mul_f64_e32 v[148:149], v[4:5], v[172:173]
	v_mul_f64_e32 v[158:159], v[6:7], v[172:173]
	s_wait_loadcnt_dscnt 0x300
	v_mul_f64_e32 v[152:153], v[138:139], v[184:185]
	v_add_f64_e32 v[144:145], v[156:157], v[154:155]
	v_add_f64_e32 v[146:147], v[146:147], v[178:179]
	v_mul_f64_e32 v[154:155], v[140:141], v[184:185]
	v_fmac_f64_e32 v[148:149], v[6:7], v[170:171]
	v_fma_f64 v[156:157], v[4:5], v[170:171], -v[158:159]
	v_fmac_f64_e32 v[152:153], v[140:141], v[182:183]
	v_add_f64_e32 v[158:159], v[144:145], v[142:143]
	v_add_f64_e32 v[146:147], v[146:147], v[150:151]
	ds_load_b128 v[4:7], v2 offset:1872
	ds_load_b128 v[142:145], v2 offset:1888
	v_fma_f64 v[138:139], v[138:139], v[182:183], -v[154:155]
	s_wait_loadcnt_dscnt 0x201
	v_mul_f64_e32 v[150:151], v[4:5], v[168:169]
	v_mul_f64_e32 v[160:161], v[6:7], v[168:169]
	v_add_f64_e32 v[140:141], v[158:159], v[156:157]
	v_add_f64_e32 v[146:147], v[146:147], v[148:149]
	s_wait_loadcnt_dscnt 0x100
	v_mul_f64_e32 v[148:149], v[142:143], v[12:13]
	v_mul_f64_e32 v[12:13], v[144:145], v[12:13]
	v_fmac_f64_e32 v[150:151], v[6:7], v[166:167]
	v_fma_f64 v[154:155], v[4:5], v[166:167], -v[160:161]
	ds_load_b128 v[4:7], v2 offset:1904
	v_add_f64_e32 v[138:139], v[140:141], v[138:139]
	v_add_f64_e32 v[140:141], v[146:147], v[152:153]
	v_fmac_f64_e32 v[148:149], v[144:145], v[10:11]
	v_fma_f64 v[10:11], v[142:143], v[10:11], -v[12:13]
	s_wait_loadcnt_dscnt 0x0
	v_mul_f64_e32 v[146:147], v[4:5], v[136:137]
	v_mul_f64_e32 v[136:137], v[6:7], v[136:137]
	v_add_f64_e32 v[12:13], v[138:139], v[154:155]
	v_add_f64_e32 v[138:139], v[140:141], v[150:151]
	s_delay_alu instid0(VALU_DEP_4) | instskip(NEXT) | instid1(VALU_DEP_4)
	v_fmac_f64_e32 v[146:147], v[6:7], v[134:135]
	v_fma_f64 v[4:5], v[4:5], v[134:135], -v[136:137]
	s_delay_alu instid0(VALU_DEP_4) | instskip(NEXT) | instid1(VALU_DEP_4)
	v_add_f64_e32 v[6:7], v[12:13], v[10:11]
	v_add_f64_e32 v[10:11], v[138:139], v[148:149]
	s_delay_alu instid0(VALU_DEP_2) | instskip(NEXT) | instid1(VALU_DEP_2)
	v_add_f64_e32 v[4:5], v[6:7], v[4:5]
	v_add_f64_e32 v[6:7], v[10:11], v[146:147]
	s_delay_alu instid0(VALU_DEP_2) | instskip(NEXT) | instid1(VALU_DEP_2)
	v_add_f64_e64 v[4:5], v[174:175], -v[4:5]
	v_add_f64_e64 v[6:7], v[176:177], -v[6:7]
	scratch_store_b128 off, v[4:7], off offset:512
	s_wait_xcnt 0x0
	v_cmpx_lt_u32_e32 31, v1
	s_cbranch_execz .LBB59_311
; %bb.310:
	scratch_load_b128 v[10:13], off, s39
	v_dual_mov_b32 v3, v2 :: v_dual_mov_b32 v4, v2
	v_mov_b32_e32 v5, v2
	scratch_store_b128 off, v[2:5], off offset:496
	s_wait_loadcnt 0x0
	ds_store_b128 v8, v[10:13]
.LBB59_311:
	s_wait_xcnt 0x0
	s_or_b32 exec_lo, exec_lo, s2
	s_wait_storecnt_dscnt 0x0
	s_barrier_signal -1
	s_barrier_wait -1
	s_clause 0x9
	scratch_load_b128 v[4:7], off, off offset:512
	scratch_load_b128 v[10:13], off, off offset:528
	;; [unrolled: 1-line block ×10, first 2 shown]
	ds_load_b128 v[166:169], v2 offset:1472
	ds_load_b128 v[174:177], v2 offset:1488
	s_clause 0x2
	scratch_load_b128 v[170:173], off, off offset:672
	scratch_load_b128 v[178:181], off, off offset:496
	;; [unrolled: 1-line block ×3, first 2 shown]
	s_mov_b32 s2, exec_lo
	s_wait_loadcnt_dscnt 0xc01
	v_mul_f64_e32 v[186:187], v[168:169], v[6:7]
	v_mul_f64_e32 v[190:191], v[166:167], v[6:7]
	s_wait_loadcnt_dscnt 0xb00
	v_mul_f64_e32 v[192:193], v[174:175], v[12:13]
	v_mul_f64_e32 v[12:13], v[176:177], v[12:13]
	s_delay_alu instid0(VALU_DEP_4) | instskip(NEXT) | instid1(VALU_DEP_4)
	v_fma_f64 v[194:195], v[166:167], v[4:5], -v[186:187]
	v_fmac_f64_e32 v[190:191], v[168:169], v[4:5]
	ds_load_b128 v[4:7], v2 offset:1504
	ds_load_b128 v[166:169], v2 offset:1520
	scratch_load_b128 v[186:189], off, off offset:704
	v_fmac_f64_e32 v[192:193], v[176:177], v[10:11]
	v_fma_f64 v[174:175], v[174:175], v[10:11], -v[12:13]
	scratch_load_b128 v[10:13], off, off offset:720
	s_wait_loadcnt_dscnt 0xc01
	v_mul_f64_e32 v[196:197], v[4:5], v[136:137]
	v_mul_f64_e32 v[136:137], v[6:7], v[136:137]
	v_add_f64_e32 v[176:177], 0, v[194:195]
	v_add_f64_e32 v[190:191], 0, v[190:191]
	s_wait_loadcnt_dscnt 0xb00
	v_mul_f64_e32 v[194:195], v[166:167], v[140:141]
	v_mul_f64_e32 v[140:141], v[168:169], v[140:141]
	v_fmac_f64_e32 v[196:197], v[6:7], v[134:135]
	v_fma_f64 v[198:199], v[4:5], v[134:135], -v[136:137]
	ds_load_b128 v[4:7], v2 offset:1536
	ds_load_b128 v[134:137], v2 offset:1552
	v_add_f64_e32 v[200:201], v[176:177], v[174:175]
	v_add_f64_e32 v[190:191], v[190:191], v[192:193]
	scratch_load_b128 v[174:177], off, off offset:736
	v_fmac_f64_e32 v[194:195], v[168:169], v[138:139]
	v_fma_f64 v[166:167], v[166:167], v[138:139], -v[140:141]
	scratch_load_b128 v[138:141], off, off offset:752
	s_wait_loadcnt_dscnt 0xc01
	v_mul_f64_e32 v[192:193], v[4:5], v[144:145]
	v_mul_f64_e32 v[144:145], v[6:7], v[144:145]
	v_add_f64_e32 v[168:169], v[200:201], v[198:199]
	v_add_f64_e32 v[190:191], v[190:191], v[196:197]
	s_wait_loadcnt_dscnt 0xb00
	v_mul_f64_e32 v[196:197], v[134:135], v[148:149]
	v_mul_f64_e32 v[148:149], v[136:137], v[148:149]
	v_fmac_f64_e32 v[192:193], v[6:7], v[142:143]
	v_fma_f64 v[198:199], v[4:5], v[142:143], -v[144:145]
	ds_load_b128 v[4:7], v2 offset:1568
	ds_load_b128 v[142:145], v2 offset:1584
	v_add_f64_e32 v[200:201], v[168:169], v[166:167]
	v_add_f64_e32 v[190:191], v[190:191], v[194:195]
	scratch_load_b128 v[166:169], off, off offset:768
	s_wait_loadcnt_dscnt 0xb01
	v_mul_f64_e32 v[194:195], v[4:5], v[152:153]
	v_mul_f64_e32 v[152:153], v[6:7], v[152:153]
	v_fmac_f64_e32 v[196:197], v[136:137], v[146:147]
	v_fma_f64 v[146:147], v[134:135], v[146:147], -v[148:149]
	scratch_load_b128 v[134:137], off, off offset:784
	v_add_f64_e32 v[148:149], v[200:201], v[198:199]
	v_add_f64_e32 v[190:191], v[190:191], v[192:193]
	s_wait_loadcnt_dscnt 0xb00
	v_mul_f64_e32 v[192:193], v[142:143], v[156:157]
	v_mul_f64_e32 v[156:157], v[144:145], v[156:157]
	v_fmac_f64_e32 v[194:195], v[6:7], v[150:151]
	v_fma_f64 v[198:199], v[4:5], v[150:151], -v[152:153]
	v_add_f64_e32 v[200:201], v[148:149], v[146:147]
	v_add_f64_e32 v[190:191], v[190:191], v[196:197]
	ds_load_b128 v[4:7], v2 offset:1600
	ds_load_b128 v[146:149], v2 offset:1616
	scratch_load_b128 v[150:153], off, off offset:800
	v_fmac_f64_e32 v[192:193], v[144:145], v[154:155]
	v_fma_f64 v[154:155], v[142:143], v[154:155], -v[156:157]
	scratch_load_b128 v[142:145], off, off offset:816
	s_wait_loadcnt_dscnt 0xc01
	v_mul_f64_e32 v[196:197], v[4:5], v[160:161]
	v_mul_f64_e32 v[160:161], v[6:7], v[160:161]
	v_add_f64_e32 v[156:157], v[200:201], v[198:199]
	v_add_f64_e32 v[190:191], v[190:191], v[194:195]
	s_wait_loadcnt_dscnt 0xb00
	v_mul_f64_e32 v[194:195], v[146:147], v[164:165]
	v_mul_f64_e32 v[164:165], v[148:149], v[164:165]
	v_fmac_f64_e32 v[196:197], v[6:7], v[158:159]
	v_fma_f64 v[198:199], v[4:5], v[158:159], -v[160:161]
	v_add_f64_e32 v[200:201], v[156:157], v[154:155]
	v_add_f64_e32 v[190:191], v[190:191], v[192:193]
	ds_load_b128 v[4:7], v2 offset:1632
	ds_load_b128 v[154:157], v2 offset:1648
	scratch_load_b128 v[158:161], off, off offset:832
	v_fmac_f64_e32 v[194:195], v[148:149], v[162:163]
	v_fma_f64 v[162:163], v[146:147], v[162:163], -v[164:165]
	scratch_load_b128 v[146:149], off, off offset:848
	s_wait_loadcnt_dscnt 0xc01
	v_mul_f64_e32 v[192:193], v[4:5], v[172:173]
	v_mul_f64_e32 v[172:173], v[6:7], v[172:173]
	;; [unrolled: 18-line block ×5, first 2 shown]
	v_add_f64_e32 v[184:185], v[200:201], v[198:199]
	v_add_f64_e32 v[190:191], v[190:191], v[196:197]
	s_wait_loadcnt_dscnt 0xa00
	v_mul_f64_e32 v[196:197], v[162:163], v[136:137]
	v_mul_f64_e32 v[136:137], v[164:165], v[136:137]
	v_fmac_f64_e32 v[192:193], v[6:7], v[166:167]
	v_fma_f64 v[198:199], v[4:5], v[166:167], -v[168:169]
	ds_load_b128 v[4:7], v2 offset:1760
	ds_load_b128 v[166:169], v2 offset:1776
	v_add_f64_e32 v[182:183], v[184:185], v[182:183]
	v_add_f64_e32 v[184:185], v[190:191], v[194:195]
	v_fmac_f64_e32 v[196:197], v[164:165], v[134:135]
	v_fma_f64 v[134:135], v[162:163], v[134:135], -v[136:137]
	s_wait_loadcnt_dscnt 0x901
	v_mul_f64_e32 v[190:191], v[4:5], v[152:153]
	v_mul_f64_e32 v[152:153], v[6:7], v[152:153]
	s_wait_loadcnt_dscnt 0x800
	v_mul_f64_e32 v[164:165], v[166:167], v[144:145]
	v_mul_f64_e32 v[144:145], v[168:169], v[144:145]
	v_add_f64_e32 v[136:137], v[182:183], v[198:199]
	v_add_f64_e32 v[162:163], v[184:185], v[192:193]
	v_fmac_f64_e32 v[190:191], v[6:7], v[150:151]
	v_fma_f64 v[150:151], v[4:5], v[150:151], -v[152:153]
	v_fmac_f64_e32 v[164:165], v[168:169], v[142:143]
	v_fma_f64 v[142:143], v[166:167], v[142:143], -v[144:145]
	v_add_f64_e32 v[152:153], v[136:137], v[134:135]
	v_add_f64_e32 v[162:163], v[162:163], v[196:197]
	ds_load_b128 v[4:7], v2 offset:1792
	ds_load_b128 v[134:137], v2 offset:1808
	s_wait_loadcnt_dscnt 0x701
	v_mul_f64_e32 v[182:183], v[4:5], v[160:161]
	v_mul_f64_e32 v[160:161], v[6:7], v[160:161]
	v_add_f64_e32 v[144:145], v[152:153], v[150:151]
	v_add_f64_e32 v[150:151], v[162:163], v[190:191]
	s_wait_loadcnt_dscnt 0x600
	v_mul_f64_e32 v[152:153], v[134:135], v[148:149]
	v_mul_f64_e32 v[148:149], v[136:137], v[148:149]
	v_fmac_f64_e32 v[182:183], v[6:7], v[158:159]
	v_fma_f64 v[158:159], v[4:5], v[158:159], -v[160:161]
	v_add_f64_e32 v[160:161], v[144:145], v[142:143]
	v_add_f64_e32 v[150:151], v[150:151], v[164:165]
	ds_load_b128 v[4:7], v2 offset:1824
	ds_load_b128 v[142:145], v2 offset:1840
	v_fmac_f64_e32 v[152:153], v[136:137], v[146:147]
	v_fma_f64 v[134:135], v[134:135], v[146:147], -v[148:149]
	s_wait_loadcnt_dscnt 0x501
	v_mul_f64_e32 v[162:163], v[4:5], v[172:173]
	v_mul_f64_e32 v[164:165], v[6:7], v[172:173]
	s_wait_loadcnt_dscnt 0x400
	v_mul_f64_e32 v[148:149], v[142:143], v[156:157]
	v_add_f64_e32 v[136:137], v[160:161], v[158:159]
	v_add_f64_e32 v[146:147], v[150:151], v[182:183]
	v_mul_f64_e32 v[150:151], v[144:145], v[156:157]
	v_fmac_f64_e32 v[162:163], v[6:7], v[170:171]
	v_fma_f64 v[156:157], v[4:5], v[170:171], -v[164:165]
	v_fmac_f64_e32 v[148:149], v[144:145], v[154:155]
	v_add_f64_e32 v[158:159], v[136:137], v[134:135]
	v_add_f64_e32 v[146:147], v[146:147], v[152:153]
	ds_load_b128 v[4:7], v2 offset:1856
	ds_load_b128 v[134:137], v2 offset:1872
	v_fma_f64 v[142:143], v[142:143], v[154:155], -v[150:151]
	s_wait_loadcnt_dscnt 0x301
	v_mul_f64_e32 v[152:153], v[4:5], v[188:189]
	v_mul_f64_e32 v[160:161], v[6:7], v[188:189]
	s_wait_loadcnt_dscnt 0x200
	v_mul_f64_e32 v[150:151], v[134:135], v[12:13]
	v_mul_f64_e32 v[12:13], v[136:137], v[12:13]
	v_add_f64_e32 v[144:145], v[158:159], v[156:157]
	v_add_f64_e32 v[146:147], v[146:147], v[162:163]
	v_fmac_f64_e32 v[152:153], v[6:7], v[186:187]
	v_fma_f64 v[154:155], v[4:5], v[186:187], -v[160:161]
	v_fmac_f64_e32 v[150:151], v[136:137], v[10:11]
	v_fma_f64 v[10:11], v[134:135], v[10:11], -v[12:13]
	v_add_f64_e32 v[156:157], v[144:145], v[142:143]
	v_add_f64_e32 v[146:147], v[146:147], v[148:149]
	ds_load_b128 v[4:7], v2 offset:1888
	ds_load_b128 v[142:145], v2 offset:1904
	s_wait_loadcnt_dscnt 0x101
	v_mul_f64_e32 v[2:3], v[4:5], v[176:177]
	v_mul_f64_e32 v[148:149], v[6:7], v[176:177]
	s_wait_loadcnt_dscnt 0x0
	v_mul_f64_e32 v[136:137], v[142:143], v[140:141]
	v_mul_f64_e32 v[140:141], v[144:145], v[140:141]
	v_add_f64_e32 v[12:13], v[156:157], v[154:155]
	v_add_f64_e32 v[134:135], v[146:147], v[152:153]
	v_fmac_f64_e32 v[2:3], v[6:7], v[174:175]
	v_fma_f64 v[4:5], v[4:5], v[174:175], -v[148:149]
	v_fmac_f64_e32 v[136:137], v[144:145], v[138:139]
	v_add_f64_e32 v[6:7], v[12:13], v[10:11]
	v_add_f64_e32 v[10:11], v[134:135], v[150:151]
	v_fma_f64 v[12:13], v[142:143], v[138:139], -v[140:141]
	s_delay_alu instid0(VALU_DEP_3) | instskip(NEXT) | instid1(VALU_DEP_3)
	v_add_f64_e32 v[4:5], v[6:7], v[4:5]
	v_add_f64_e32 v[2:3], v[10:11], v[2:3]
	s_delay_alu instid0(VALU_DEP_2) | instskip(NEXT) | instid1(VALU_DEP_2)
	v_add_f64_e32 v[4:5], v[4:5], v[12:13]
	v_add_f64_e32 v[6:7], v[2:3], v[136:137]
	s_delay_alu instid0(VALU_DEP_2) | instskip(NEXT) | instid1(VALU_DEP_2)
	v_add_f64_e64 v[2:3], v[178:179], -v[4:5]
	v_add_f64_e64 v[4:5], v[180:181], -v[6:7]
	scratch_store_b128 off, v[2:5], off offset:496
	s_wait_xcnt 0x0
	v_cmpx_lt_u32_e32 30, v1
	s_cbranch_execz .LBB59_313
; %bb.312:
	scratch_load_b128 v[2:5], off, s47
	v_mov_b32_e32 v10, 0
	s_delay_alu instid0(VALU_DEP_1)
	v_dual_mov_b32 v11, v10 :: v_dual_mov_b32 v12, v10
	v_mov_b32_e32 v13, v10
	scratch_store_b128 off, v[10:13], off offset:480
	s_wait_loadcnt 0x0
	ds_store_b128 v8, v[2:5]
.LBB59_313:
	s_wait_xcnt 0x0
	s_or_b32 exec_lo, exec_lo, s2
	s_wait_storecnt_dscnt 0x0
	s_barrier_signal -1
	s_barrier_wait -1
	s_clause 0x9
	scratch_load_b128 v[4:7], off, off offset:496
	scratch_load_b128 v[10:13], off, off offset:512
	;; [unrolled: 1-line block ×10, first 2 shown]
	v_mov_b32_e32 v2, 0
	s_mov_b32 s2, exec_lo
	ds_load_b128 v[166:169], v2 offset:1456
	s_clause 0x2
	scratch_load_b128 v[170:173], off, off offset:656
	scratch_load_b128 v[174:177], off, off offset:480
	;; [unrolled: 1-line block ×3, first 2 shown]
	s_wait_loadcnt_dscnt 0xc00
	v_mul_f64_e32 v[186:187], v[168:169], v[6:7]
	v_mul_f64_e32 v[190:191], v[166:167], v[6:7]
	ds_load_b128 v[178:181], v2 offset:1472
	v_fma_f64 v[194:195], v[166:167], v[4:5], -v[186:187]
	v_fmac_f64_e32 v[190:191], v[168:169], v[4:5]
	ds_load_b128 v[4:7], v2 offset:1488
	s_wait_loadcnt_dscnt 0xb01
	v_mul_f64_e32 v[192:193], v[178:179], v[12:13]
	v_mul_f64_e32 v[12:13], v[180:181], v[12:13]
	scratch_load_b128 v[166:169], off, off offset:688
	ds_load_b128 v[186:189], v2 offset:1504
	s_wait_loadcnt_dscnt 0xb01
	v_mul_f64_e32 v[196:197], v[4:5], v[136:137]
	v_mul_f64_e32 v[136:137], v[6:7], v[136:137]
	v_add_f64_e32 v[190:191], 0, v[190:191]
	v_fmac_f64_e32 v[192:193], v[180:181], v[10:11]
	v_fma_f64 v[178:179], v[178:179], v[10:11], -v[12:13]
	v_add_f64_e32 v[180:181], 0, v[194:195]
	scratch_load_b128 v[10:13], off, off offset:704
	v_fmac_f64_e32 v[196:197], v[6:7], v[134:135]
	v_fma_f64 v[198:199], v[4:5], v[134:135], -v[136:137]
	ds_load_b128 v[4:7], v2 offset:1520
	s_wait_loadcnt_dscnt 0xb01
	v_mul_f64_e32 v[194:195], v[186:187], v[140:141]
	v_mul_f64_e32 v[140:141], v[188:189], v[140:141]
	scratch_load_b128 v[134:137], off, off offset:720
	v_add_f64_e32 v[190:191], v[190:191], v[192:193]
	v_add_f64_e32 v[200:201], v[180:181], v[178:179]
	ds_load_b128 v[178:181], v2 offset:1536
	s_wait_loadcnt_dscnt 0xb01
	v_mul_f64_e32 v[192:193], v[4:5], v[144:145]
	v_mul_f64_e32 v[144:145], v[6:7], v[144:145]
	v_fmac_f64_e32 v[194:195], v[188:189], v[138:139]
	v_fma_f64 v[186:187], v[186:187], v[138:139], -v[140:141]
	scratch_load_b128 v[138:141], off, off offset:736
	v_add_f64_e32 v[190:191], v[190:191], v[196:197]
	v_add_f64_e32 v[188:189], v[200:201], v[198:199]
	v_fmac_f64_e32 v[192:193], v[6:7], v[142:143]
	v_fma_f64 v[198:199], v[4:5], v[142:143], -v[144:145]
	ds_load_b128 v[4:7], v2 offset:1552
	s_wait_loadcnt_dscnt 0xb01
	v_mul_f64_e32 v[196:197], v[178:179], v[148:149]
	v_mul_f64_e32 v[148:149], v[180:181], v[148:149]
	scratch_load_b128 v[142:145], off, off offset:752
	v_add_f64_e32 v[190:191], v[190:191], v[194:195]
	s_wait_loadcnt_dscnt 0xb00
	v_mul_f64_e32 v[194:195], v[4:5], v[152:153]
	v_add_f64_e32 v[200:201], v[188:189], v[186:187]
	v_mul_f64_e32 v[152:153], v[6:7], v[152:153]
	ds_load_b128 v[186:189], v2 offset:1568
	v_fmac_f64_e32 v[196:197], v[180:181], v[146:147]
	v_fma_f64 v[178:179], v[178:179], v[146:147], -v[148:149]
	scratch_load_b128 v[146:149], off, off offset:768
	v_add_f64_e32 v[190:191], v[190:191], v[192:193]
	v_fmac_f64_e32 v[194:195], v[6:7], v[150:151]
	v_add_f64_e32 v[180:181], v[200:201], v[198:199]
	v_fma_f64 v[198:199], v[4:5], v[150:151], -v[152:153]
	ds_load_b128 v[4:7], v2 offset:1584
	s_wait_loadcnt_dscnt 0xb01
	v_mul_f64_e32 v[192:193], v[186:187], v[156:157]
	v_mul_f64_e32 v[156:157], v[188:189], v[156:157]
	scratch_load_b128 v[150:153], off, off offset:784
	v_add_f64_e32 v[190:191], v[190:191], v[196:197]
	s_wait_loadcnt_dscnt 0xb00
	v_mul_f64_e32 v[196:197], v[4:5], v[160:161]
	v_add_f64_e32 v[200:201], v[180:181], v[178:179]
	v_mul_f64_e32 v[160:161], v[6:7], v[160:161]
	ds_load_b128 v[178:181], v2 offset:1600
	v_fmac_f64_e32 v[192:193], v[188:189], v[154:155]
	v_fma_f64 v[186:187], v[186:187], v[154:155], -v[156:157]
	scratch_load_b128 v[154:157], off, off offset:800
	v_add_f64_e32 v[190:191], v[190:191], v[194:195]
	v_fmac_f64_e32 v[196:197], v[6:7], v[158:159]
	v_add_f64_e32 v[188:189], v[200:201], v[198:199]
	;; [unrolled: 18-line block ×3, first 2 shown]
	v_fma_f64 v[198:199], v[4:5], v[170:171], -v[172:173]
	ds_load_b128 v[4:7], v2 offset:1648
	s_wait_loadcnt_dscnt 0xa01
	v_mul_f64_e32 v[196:197], v[186:187], v[184:185]
	v_mul_f64_e32 v[184:185], v[188:189], v[184:185]
	scratch_load_b128 v[170:173], off, off offset:848
	v_add_f64_e32 v[190:191], v[190:191], v[194:195]
	v_add_f64_e32 v[200:201], v[180:181], v[178:179]
	s_wait_loadcnt_dscnt 0xa00
	v_mul_f64_e32 v[194:195], v[4:5], v[168:169]
	v_mul_f64_e32 v[168:169], v[6:7], v[168:169]
	v_fmac_f64_e32 v[196:197], v[188:189], v[182:183]
	v_fma_f64 v[186:187], v[186:187], v[182:183], -v[184:185]
	ds_load_b128 v[178:181], v2 offset:1664
	scratch_load_b128 v[182:185], off, off offset:864
	v_add_f64_e32 v[190:191], v[190:191], v[192:193]
	v_add_f64_e32 v[188:189], v[200:201], v[198:199]
	v_fmac_f64_e32 v[194:195], v[6:7], v[166:167]
	v_fma_f64 v[198:199], v[4:5], v[166:167], -v[168:169]
	ds_load_b128 v[4:7], v2 offset:1680
	s_wait_loadcnt_dscnt 0xa01
	v_mul_f64_e32 v[192:193], v[178:179], v[12:13]
	v_mul_f64_e32 v[12:13], v[180:181], v[12:13]
	scratch_load_b128 v[166:169], off, off offset:880
	v_add_f64_e32 v[190:191], v[190:191], v[196:197]
	s_wait_loadcnt_dscnt 0xa00
	v_mul_f64_e32 v[196:197], v[4:5], v[136:137]
	v_add_f64_e32 v[200:201], v[188:189], v[186:187]
	v_mul_f64_e32 v[136:137], v[6:7], v[136:137]
	ds_load_b128 v[186:189], v2 offset:1696
	v_fmac_f64_e32 v[192:193], v[180:181], v[10:11]
	v_fma_f64 v[178:179], v[178:179], v[10:11], -v[12:13]
	scratch_load_b128 v[10:13], off, off offset:896
	v_add_f64_e32 v[190:191], v[190:191], v[194:195]
	v_fmac_f64_e32 v[196:197], v[6:7], v[134:135]
	v_add_f64_e32 v[180:181], v[200:201], v[198:199]
	v_fma_f64 v[198:199], v[4:5], v[134:135], -v[136:137]
	ds_load_b128 v[4:7], v2 offset:1712
	s_wait_loadcnt_dscnt 0xa01
	v_mul_f64_e32 v[194:195], v[186:187], v[140:141]
	v_mul_f64_e32 v[140:141], v[188:189], v[140:141]
	scratch_load_b128 v[134:137], off, off offset:912
	v_add_f64_e32 v[190:191], v[190:191], v[192:193]
	s_wait_loadcnt_dscnt 0xa00
	v_mul_f64_e32 v[192:193], v[4:5], v[144:145]
	v_add_f64_e32 v[200:201], v[180:181], v[178:179]
	v_mul_f64_e32 v[144:145], v[6:7], v[144:145]
	ds_load_b128 v[178:181], v2 offset:1728
	v_fmac_f64_e32 v[194:195], v[188:189], v[138:139]
	v_fma_f64 v[186:187], v[186:187], v[138:139], -v[140:141]
	scratch_load_b128 v[138:141], off, off offset:928
	v_add_f64_e32 v[190:191], v[190:191], v[196:197]
	v_fmac_f64_e32 v[192:193], v[6:7], v[142:143]
	v_add_f64_e32 v[188:189], v[200:201], v[198:199]
	v_fma_f64 v[198:199], v[4:5], v[142:143], -v[144:145]
	ds_load_b128 v[4:7], v2 offset:1744
	s_wait_loadcnt_dscnt 0xa01
	v_mul_f64_e32 v[196:197], v[178:179], v[148:149]
	v_mul_f64_e32 v[148:149], v[180:181], v[148:149]
	scratch_load_b128 v[142:145], off, off offset:944
	v_add_f64_e32 v[190:191], v[190:191], v[194:195]
	s_wait_loadcnt_dscnt 0xa00
	v_mul_f64_e32 v[194:195], v[4:5], v[152:153]
	v_add_f64_e32 v[200:201], v[188:189], v[186:187]
	v_mul_f64_e32 v[152:153], v[6:7], v[152:153]
	ds_load_b128 v[186:189], v2 offset:1760
	v_fmac_f64_e32 v[196:197], v[180:181], v[146:147]
	v_fma_f64 v[146:147], v[178:179], v[146:147], -v[148:149]
	s_wait_loadcnt_dscnt 0x900
	v_mul_f64_e32 v[180:181], v[186:187], v[156:157]
	v_mul_f64_e32 v[156:157], v[188:189], v[156:157]
	v_add_f64_e32 v[178:179], v[190:191], v[192:193]
	v_fmac_f64_e32 v[194:195], v[6:7], v[150:151]
	v_add_f64_e32 v[148:149], v[200:201], v[198:199]
	v_fma_f64 v[150:151], v[4:5], v[150:151], -v[152:153]
	v_fmac_f64_e32 v[180:181], v[188:189], v[154:155]
	v_fma_f64 v[154:155], v[186:187], v[154:155], -v[156:157]
	v_add_f64_e32 v[178:179], v[178:179], v[196:197]
	v_add_f64_e32 v[152:153], v[148:149], v[146:147]
	ds_load_b128 v[4:7], v2 offset:1776
	ds_load_b128 v[146:149], v2 offset:1792
	s_wait_loadcnt_dscnt 0x801
	v_mul_f64_e32 v[190:191], v[4:5], v[160:161]
	v_mul_f64_e32 v[160:161], v[6:7], v[160:161]
	s_wait_loadcnt_dscnt 0x700
	v_mul_f64_e32 v[156:157], v[146:147], v[164:165]
	v_mul_f64_e32 v[164:165], v[148:149], v[164:165]
	v_add_f64_e32 v[150:151], v[152:153], v[150:151]
	v_add_f64_e32 v[152:153], v[178:179], v[194:195]
	v_fmac_f64_e32 v[190:191], v[6:7], v[158:159]
	v_fma_f64 v[158:159], v[4:5], v[158:159], -v[160:161]
	v_fmac_f64_e32 v[156:157], v[148:149], v[162:163]
	v_fma_f64 v[146:147], v[146:147], v[162:163], -v[164:165]
	v_add_f64_e32 v[154:155], v[150:151], v[154:155]
	v_add_f64_e32 v[160:161], v[152:153], v[180:181]
	ds_load_b128 v[4:7], v2 offset:1808
	ds_load_b128 v[150:153], v2 offset:1824
	s_wait_loadcnt_dscnt 0x601
	v_mul_f64_e32 v[178:179], v[4:5], v[172:173]
	v_mul_f64_e32 v[172:173], v[6:7], v[172:173]
	v_add_f64_e32 v[148:149], v[154:155], v[158:159]
	v_add_f64_e32 v[154:155], v[160:161], v[190:191]
	s_wait_loadcnt_dscnt 0x500
	v_mul_f64_e32 v[158:159], v[150:151], v[184:185]
	v_mul_f64_e32 v[160:161], v[152:153], v[184:185]
	v_fmac_f64_e32 v[178:179], v[6:7], v[170:171]
	v_fma_f64 v[162:163], v[4:5], v[170:171], -v[172:173]
	v_add_f64_e32 v[164:165], v[148:149], v[146:147]
	v_add_f64_e32 v[154:155], v[154:155], v[156:157]
	ds_load_b128 v[4:7], v2 offset:1840
	ds_load_b128 v[146:149], v2 offset:1856
	v_fmac_f64_e32 v[158:159], v[152:153], v[182:183]
	v_fma_f64 v[150:151], v[150:151], v[182:183], -v[160:161]
	s_wait_loadcnt_dscnt 0x401
	v_mul_f64_e32 v[156:157], v[4:5], v[168:169]
	v_mul_f64_e32 v[168:169], v[6:7], v[168:169]
	s_wait_loadcnt_dscnt 0x300
	v_mul_f64_e32 v[160:161], v[146:147], v[12:13]
	v_mul_f64_e32 v[12:13], v[148:149], v[12:13]
	v_add_f64_e32 v[152:153], v[164:165], v[162:163]
	v_add_f64_e32 v[154:155], v[154:155], v[178:179]
	v_fmac_f64_e32 v[156:157], v[6:7], v[166:167]
	v_fma_f64 v[162:163], v[4:5], v[166:167], -v[168:169]
	v_fmac_f64_e32 v[160:161], v[148:149], v[10:11]
	v_fma_f64 v[10:11], v[146:147], v[10:11], -v[12:13]
	v_add_f64_e32 v[164:165], v[152:153], v[150:151]
	v_add_f64_e32 v[154:155], v[154:155], v[158:159]
	ds_load_b128 v[4:7], v2 offset:1872
	ds_load_b128 v[150:153], v2 offset:1888
	s_wait_loadcnt_dscnt 0x201
	v_mul_f64_e32 v[158:159], v[4:5], v[136:137]
	v_mul_f64_e32 v[136:137], v[6:7], v[136:137]
	s_wait_loadcnt_dscnt 0x100
	v_mul_f64_e32 v[148:149], v[150:151], v[140:141]
	v_mul_f64_e32 v[140:141], v[152:153], v[140:141]
	v_add_f64_e32 v[12:13], v[164:165], v[162:163]
	v_add_f64_e32 v[146:147], v[154:155], v[156:157]
	v_fmac_f64_e32 v[158:159], v[6:7], v[134:135]
	v_fma_f64 v[134:135], v[4:5], v[134:135], -v[136:137]
	ds_load_b128 v[4:7], v2 offset:1904
	v_fmac_f64_e32 v[148:149], v[152:153], v[138:139]
	v_fma_f64 v[138:139], v[150:151], v[138:139], -v[140:141]
	v_add_f64_e32 v[10:11], v[12:13], v[10:11]
	v_add_f64_e32 v[12:13], v[146:147], v[160:161]
	s_wait_loadcnt_dscnt 0x0
	v_mul_f64_e32 v[136:137], v[4:5], v[144:145]
	v_mul_f64_e32 v[144:145], v[6:7], v[144:145]
	s_delay_alu instid0(VALU_DEP_4) | instskip(NEXT) | instid1(VALU_DEP_4)
	v_add_f64_e32 v[10:11], v[10:11], v[134:135]
	v_add_f64_e32 v[12:13], v[12:13], v[158:159]
	s_delay_alu instid0(VALU_DEP_4) | instskip(NEXT) | instid1(VALU_DEP_4)
	v_fmac_f64_e32 v[136:137], v[6:7], v[142:143]
	v_fma_f64 v[4:5], v[4:5], v[142:143], -v[144:145]
	s_delay_alu instid0(VALU_DEP_4) | instskip(NEXT) | instid1(VALU_DEP_4)
	v_add_f64_e32 v[6:7], v[10:11], v[138:139]
	v_add_f64_e32 v[10:11], v[12:13], v[148:149]
	s_delay_alu instid0(VALU_DEP_2) | instskip(NEXT) | instid1(VALU_DEP_2)
	v_add_f64_e32 v[4:5], v[6:7], v[4:5]
	v_add_f64_e32 v[6:7], v[10:11], v[136:137]
	s_delay_alu instid0(VALU_DEP_2) | instskip(NEXT) | instid1(VALU_DEP_2)
	v_add_f64_e64 v[4:5], v[174:175], -v[4:5]
	v_add_f64_e64 v[6:7], v[176:177], -v[6:7]
	scratch_store_b128 off, v[4:7], off offset:480
	s_wait_xcnt 0x0
	v_cmpx_lt_u32_e32 29, v1
	s_cbranch_execz .LBB59_315
; %bb.314:
	scratch_load_b128 v[10:13], off, s45
	v_dual_mov_b32 v3, v2 :: v_dual_mov_b32 v4, v2
	v_mov_b32_e32 v5, v2
	scratch_store_b128 off, v[2:5], off offset:464
	s_wait_loadcnt 0x0
	ds_store_b128 v8, v[10:13]
.LBB59_315:
	s_wait_xcnt 0x0
	s_or_b32 exec_lo, exec_lo, s2
	s_wait_storecnt_dscnt 0x0
	s_barrier_signal -1
	s_barrier_wait -1
	s_clause 0x9
	scratch_load_b128 v[4:7], off, off offset:480
	scratch_load_b128 v[10:13], off, off offset:496
	;; [unrolled: 1-line block ×10, first 2 shown]
	ds_load_b128 v[166:169], v2 offset:1440
	ds_load_b128 v[174:177], v2 offset:1456
	s_clause 0x2
	scratch_load_b128 v[170:173], off, off offset:640
	scratch_load_b128 v[178:181], off, off offset:464
	;; [unrolled: 1-line block ×3, first 2 shown]
	s_mov_b32 s2, exec_lo
	s_wait_loadcnt_dscnt 0xc01
	v_mul_f64_e32 v[186:187], v[168:169], v[6:7]
	v_mul_f64_e32 v[190:191], v[166:167], v[6:7]
	s_wait_loadcnt_dscnt 0xb00
	v_mul_f64_e32 v[192:193], v[174:175], v[12:13]
	v_mul_f64_e32 v[12:13], v[176:177], v[12:13]
	s_delay_alu instid0(VALU_DEP_4) | instskip(NEXT) | instid1(VALU_DEP_4)
	v_fma_f64 v[194:195], v[166:167], v[4:5], -v[186:187]
	v_fmac_f64_e32 v[190:191], v[168:169], v[4:5]
	ds_load_b128 v[4:7], v2 offset:1472
	ds_load_b128 v[166:169], v2 offset:1488
	scratch_load_b128 v[186:189], off, off offset:672
	v_fmac_f64_e32 v[192:193], v[176:177], v[10:11]
	v_fma_f64 v[174:175], v[174:175], v[10:11], -v[12:13]
	scratch_load_b128 v[10:13], off, off offset:688
	s_wait_loadcnt_dscnt 0xc01
	v_mul_f64_e32 v[196:197], v[4:5], v[136:137]
	v_mul_f64_e32 v[136:137], v[6:7], v[136:137]
	v_add_f64_e32 v[176:177], 0, v[194:195]
	v_add_f64_e32 v[190:191], 0, v[190:191]
	s_wait_loadcnt_dscnt 0xb00
	v_mul_f64_e32 v[194:195], v[166:167], v[140:141]
	v_mul_f64_e32 v[140:141], v[168:169], v[140:141]
	v_fmac_f64_e32 v[196:197], v[6:7], v[134:135]
	v_fma_f64 v[198:199], v[4:5], v[134:135], -v[136:137]
	ds_load_b128 v[4:7], v2 offset:1504
	ds_load_b128 v[134:137], v2 offset:1520
	v_add_f64_e32 v[200:201], v[176:177], v[174:175]
	v_add_f64_e32 v[190:191], v[190:191], v[192:193]
	scratch_load_b128 v[174:177], off, off offset:704
	v_fmac_f64_e32 v[194:195], v[168:169], v[138:139]
	v_fma_f64 v[166:167], v[166:167], v[138:139], -v[140:141]
	scratch_load_b128 v[138:141], off, off offset:720
	s_wait_loadcnt_dscnt 0xc01
	v_mul_f64_e32 v[192:193], v[4:5], v[144:145]
	v_mul_f64_e32 v[144:145], v[6:7], v[144:145]
	v_add_f64_e32 v[168:169], v[200:201], v[198:199]
	v_add_f64_e32 v[190:191], v[190:191], v[196:197]
	s_wait_loadcnt_dscnt 0xb00
	v_mul_f64_e32 v[196:197], v[134:135], v[148:149]
	v_mul_f64_e32 v[148:149], v[136:137], v[148:149]
	v_fmac_f64_e32 v[192:193], v[6:7], v[142:143]
	v_fma_f64 v[198:199], v[4:5], v[142:143], -v[144:145]
	ds_load_b128 v[4:7], v2 offset:1536
	ds_load_b128 v[142:145], v2 offset:1552
	v_add_f64_e32 v[200:201], v[168:169], v[166:167]
	v_add_f64_e32 v[190:191], v[190:191], v[194:195]
	scratch_load_b128 v[166:169], off, off offset:736
	s_wait_loadcnt_dscnt 0xb01
	v_mul_f64_e32 v[194:195], v[4:5], v[152:153]
	v_mul_f64_e32 v[152:153], v[6:7], v[152:153]
	v_fmac_f64_e32 v[196:197], v[136:137], v[146:147]
	v_fma_f64 v[146:147], v[134:135], v[146:147], -v[148:149]
	scratch_load_b128 v[134:137], off, off offset:752
	v_add_f64_e32 v[148:149], v[200:201], v[198:199]
	v_add_f64_e32 v[190:191], v[190:191], v[192:193]
	s_wait_loadcnt_dscnt 0xb00
	v_mul_f64_e32 v[192:193], v[142:143], v[156:157]
	v_mul_f64_e32 v[156:157], v[144:145], v[156:157]
	v_fmac_f64_e32 v[194:195], v[6:7], v[150:151]
	v_fma_f64 v[198:199], v[4:5], v[150:151], -v[152:153]
	v_add_f64_e32 v[200:201], v[148:149], v[146:147]
	v_add_f64_e32 v[190:191], v[190:191], v[196:197]
	ds_load_b128 v[4:7], v2 offset:1568
	ds_load_b128 v[146:149], v2 offset:1584
	scratch_load_b128 v[150:153], off, off offset:768
	v_fmac_f64_e32 v[192:193], v[144:145], v[154:155]
	v_fma_f64 v[154:155], v[142:143], v[154:155], -v[156:157]
	scratch_load_b128 v[142:145], off, off offset:784
	s_wait_loadcnt_dscnt 0xc01
	v_mul_f64_e32 v[196:197], v[4:5], v[160:161]
	v_mul_f64_e32 v[160:161], v[6:7], v[160:161]
	v_add_f64_e32 v[156:157], v[200:201], v[198:199]
	v_add_f64_e32 v[190:191], v[190:191], v[194:195]
	s_wait_loadcnt_dscnt 0xb00
	v_mul_f64_e32 v[194:195], v[146:147], v[164:165]
	v_mul_f64_e32 v[164:165], v[148:149], v[164:165]
	v_fmac_f64_e32 v[196:197], v[6:7], v[158:159]
	v_fma_f64 v[198:199], v[4:5], v[158:159], -v[160:161]
	v_add_f64_e32 v[200:201], v[156:157], v[154:155]
	v_add_f64_e32 v[190:191], v[190:191], v[192:193]
	ds_load_b128 v[4:7], v2 offset:1600
	ds_load_b128 v[154:157], v2 offset:1616
	scratch_load_b128 v[158:161], off, off offset:800
	v_fmac_f64_e32 v[194:195], v[148:149], v[162:163]
	v_fma_f64 v[162:163], v[146:147], v[162:163], -v[164:165]
	scratch_load_b128 v[146:149], off, off offset:816
	s_wait_loadcnt_dscnt 0xc01
	v_mul_f64_e32 v[192:193], v[4:5], v[172:173]
	v_mul_f64_e32 v[172:173], v[6:7], v[172:173]
	;; [unrolled: 18-line block ×5, first 2 shown]
	v_add_f64_e32 v[184:185], v[200:201], v[198:199]
	v_add_f64_e32 v[190:191], v[190:191], v[196:197]
	s_wait_loadcnt_dscnt 0xa00
	v_mul_f64_e32 v[196:197], v[162:163], v[136:137]
	v_mul_f64_e32 v[136:137], v[164:165], v[136:137]
	v_fmac_f64_e32 v[192:193], v[6:7], v[166:167]
	v_fma_f64 v[198:199], v[4:5], v[166:167], -v[168:169]
	ds_load_b128 v[4:7], v2 offset:1728
	ds_load_b128 v[166:169], v2 offset:1744
	v_add_f64_e32 v[200:201], v[184:185], v[182:183]
	v_add_f64_e32 v[190:191], v[190:191], v[194:195]
	scratch_load_b128 v[182:185], off, off offset:928
	v_fmac_f64_e32 v[196:197], v[164:165], v[134:135]
	v_fma_f64 v[162:163], v[162:163], v[134:135], -v[136:137]
	scratch_load_b128 v[134:137], off, off offset:944
	s_wait_loadcnt_dscnt 0xb01
	v_mul_f64_e32 v[194:195], v[4:5], v[152:153]
	v_mul_f64_e32 v[152:153], v[6:7], v[152:153]
	v_add_f64_e32 v[164:165], v[200:201], v[198:199]
	v_add_f64_e32 v[190:191], v[190:191], v[192:193]
	s_wait_loadcnt_dscnt 0xa00
	v_mul_f64_e32 v[192:193], v[166:167], v[144:145]
	v_mul_f64_e32 v[144:145], v[168:169], v[144:145]
	v_fmac_f64_e32 v[194:195], v[6:7], v[150:151]
	v_fma_f64 v[198:199], v[4:5], v[150:151], -v[152:153]
	ds_load_b128 v[4:7], v2 offset:1760
	ds_load_b128 v[150:153], v2 offset:1776
	v_add_f64_e32 v[162:163], v[164:165], v[162:163]
	v_add_f64_e32 v[164:165], v[190:191], v[196:197]
	v_fmac_f64_e32 v[192:193], v[168:169], v[142:143]
	s_wait_loadcnt_dscnt 0x901
	v_mul_f64_e32 v[190:191], v[4:5], v[160:161]
	v_mul_f64_e32 v[160:161], v[6:7], v[160:161]
	v_fma_f64 v[142:143], v[166:167], v[142:143], -v[144:145]
	v_add_f64_e32 v[144:145], v[162:163], v[198:199]
	v_add_f64_e32 v[162:163], v[164:165], v[194:195]
	s_wait_loadcnt_dscnt 0x800
	v_mul_f64_e32 v[164:165], v[150:151], v[148:149]
	v_mul_f64_e32 v[148:149], v[152:153], v[148:149]
	v_fmac_f64_e32 v[190:191], v[6:7], v[158:159]
	v_fma_f64 v[158:159], v[4:5], v[158:159], -v[160:161]
	v_add_f64_e32 v[160:161], v[144:145], v[142:143]
	v_add_f64_e32 v[162:163], v[162:163], v[192:193]
	ds_load_b128 v[4:7], v2 offset:1792
	ds_load_b128 v[142:145], v2 offset:1808
	v_fmac_f64_e32 v[164:165], v[152:153], v[146:147]
	v_fma_f64 v[146:147], v[150:151], v[146:147], -v[148:149]
	s_wait_loadcnt_dscnt 0x701
	v_mul_f64_e32 v[166:167], v[4:5], v[172:173]
	v_mul_f64_e32 v[168:169], v[6:7], v[172:173]
	s_wait_loadcnt_dscnt 0x600
	v_mul_f64_e32 v[152:153], v[142:143], v[156:157]
	v_mul_f64_e32 v[156:157], v[144:145], v[156:157]
	v_add_f64_e32 v[148:149], v[160:161], v[158:159]
	v_add_f64_e32 v[150:151], v[162:163], v[190:191]
	v_fmac_f64_e32 v[166:167], v[6:7], v[170:171]
	v_fma_f64 v[158:159], v[4:5], v[170:171], -v[168:169]
	v_fmac_f64_e32 v[152:153], v[144:145], v[154:155]
	v_fma_f64 v[142:143], v[142:143], v[154:155], -v[156:157]
	v_add_f64_e32 v[160:161], v[148:149], v[146:147]
	v_add_f64_e32 v[150:151], v[150:151], v[164:165]
	ds_load_b128 v[4:7], v2 offset:1824
	ds_load_b128 v[146:149], v2 offset:1840
	s_wait_loadcnt_dscnt 0x501
	v_mul_f64_e32 v[162:163], v[4:5], v[188:189]
	v_mul_f64_e32 v[164:165], v[6:7], v[188:189]
	s_wait_loadcnt_dscnt 0x400
	v_mul_f64_e32 v[154:155], v[146:147], v[12:13]
	v_mul_f64_e32 v[12:13], v[148:149], v[12:13]
	v_add_f64_e32 v[144:145], v[160:161], v[158:159]
	v_add_f64_e32 v[150:151], v[150:151], v[166:167]
	v_fmac_f64_e32 v[162:163], v[6:7], v[186:187]
	v_fma_f64 v[156:157], v[4:5], v[186:187], -v[164:165]
	v_fmac_f64_e32 v[154:155], v[148:149], v[10:11]
	v_fma_f64 v[10:11], v[146:147], v[10:11], -v[12:13]
	v_add_f64_e32 v[158:159], v[144:145], v[142:143]
	v_add_f64_e32 v[150:151], v[150:151], v[152:153]
	ds_load_b128 v[4:7], v2 offset:1856
	ds_load_b128 v[142:145], v2 offset:1872
	;; [unrolled: 16-line block ×3, first 2 shown]
	s_wait_loadcnt_dscnt 0x101
	v_mul_f64_e32 v[2:3], v[4:5], v[184:185]
	v_mul_f64_e32 v[154:155], v[6:7], v[184:185]
	s_wait_loadcnt_dscnt 0x0
	v_mul_f64_e32 v[144:145], v[10:11], v[136:137]
	v_mul_f64_e32 v[136:137], v[12:13], v[136:137]
	v_add_f64_e32 v[140:141], v[156:157], v[150:151]
	v_add_f64_e32 v[142:143], v[146:147], v[152:153]
	v_fmac_f64_e32 v[2:3], v[6:7], v[182:183]
	v_fma_f64 v[4:5], v[4:5], v[182:183], -v[154:155]
	v_fmac_f64_e32 v[144:145], v[12:13], v[134:135]
	v_fma_f64 v[10:11], v[10:11], v[134:135], -v[136:137]
	v_add_f64_e32 v[6:7], v[140:141], v[138:139]
	v_add_f64_e32 v[138:139], v[142:143], v[148:149]
	s_delay_alu instid0(VALU_DEP_2) | instskip(NEXT) | instid1(VALU_DEP_2)
	v_add_f64_e32 v[4:5], v[6:7], v[4:5]
	v_add_f64_e32 v[2:3], v[138:139], v[2:3]
	s_delay_alu instid0(VALU_DEP_2) | instskip(NEXT) | instid1(VALU_DEP_2)
	;; [unrolled: 3-line block ×3, first 2 shown]
	v_add_f64_e64 v[2:3], v[178:179], -v[4:5]
	v_add_f64_e64 v[4:5], v[180:181], -v[6:7]
	scratch_store_b128 off, v[2:5], off offset:464
	s_wait_xcnt 0x0
	v_cmpx_lt_u32_e32 28, v1
	s_cbranch_execz .LBB59_317
; %bb.316:
	scratch_load_b128 v[2:5], off, s43
	v_mov_b32_e32 v10, 0
	s_delay_alu instid0(VALU_DEP_1)
	v_dual_mov_b32 v11, v10 :: v_dual_mov_b32 v12, v10
	v_mov_b32_e32 v13, v10
	scratch_store_b128 off, v[10:13], off offset:448
	s_wait_loadcnt 0x0
	ds_store_b128 v8, v[2:5]
.LBB59_317:
	s_wait_xcnt 0x0
	s_or_b32 exec_lo, exec_lo, s2
	s_wait_storecnt_dscnt 0x0
	s_barrier_signal -1
	s_barrier_wait -1
	s_clause 0x9
	scratch_load_b128 v[4:7], off, off offset:464
	scratch_load_b128 v[10:13], off, off offset:480
	;; [unrolled: 1-line block ×10, first 2 shown]
	v_mov_b32_e32 v2, 0
	s_mov_b32 s2, exec_lo
	ds_load_b128 v[166:169], v2 offset:1424
	s_clause 0x2
	scratch_load_b128 v[170:173], off, off offset:624
	scratch_load_b128 v[174:177], off, off offset:448
	;; [unrolled: 1-line block ×3, first 2 shown]
	s_wait_loadcnt_dscnt 0xc00
	v_mul_f64_e32 v[186:187], v[168:169], v[6:7]
	v_mul_f64_e32 v[190:191], v[166:167], v[6:7]
	ds_load_b128 v[178:181], v2 offset:1440
	v_fma_f64 v[194:195], v[166:167], v[4:5], -v[186:187]
	v_fmac_f64_e32 v[190:191], v[168:169], v[4:5]
	ds_load_b128 v[4:7], v2 offset:1456
	s_wait_loadcnt_dscnt 0xb01
	v_mul_f64_e32 v[192:193], v[178:179], v[12:13]
	v_mul_f64_e32 v[12:13], v[180:181], v[12:13]
	scratch_load_b128 v[166:169], off, off offset:656
	ds_load_b128 v[186:189], v2 offset:1472
	s_wait_loadcnt_dscnt 0xb01
	v_mul_f64_e32 v[196:197], v[4:5], v[136:137]
	v_mul_f64_e32 v[136:137], v[6:7], v[136:137]
	v_add_f64_e32 v[190:191], 0, v[190:191]
	v_fmac_f64_e32 v[192:193], v[180:181], v[10:11]
	v_fma_f64 v[178:179], v[178:179], v[10:11], -v[12:13]
	v_add_f64_e32 v[180:181], 0, v[194:195]
	scratch_load_b128 v[10:13], off, off offset:672
	v_fmac_f64_e32 v[196:197], v[6:7], v[134:135]
	v_fma_f64 v[198:199], v[4:5], v[134:135], -v[136:137]
	ds_load_b128 v[4:7], v2 offset:1488
	s_wait_loadcnt_dscnt 0xb01
	v_mul_f64_e32 v[194:195], v[186:187], v[140:141]
	v_mul_f64_e32 v[140:141], v[188:189], v[140:141]
	scratch_load_b128 v[134:137], off, off offset:688
	v_add_f64_e32 v[190:191], v[190:191], v[192:193]
	v_add_f64_e32 v[200:201], v[180:181], v[178:179]
	ds_load_b128 v[178:181], v2 offset:1504
	s_wait_loadcnt_dscnt 0xb01
	v_mul_f64_e32 v[192:193], v[4:5], v[144:145]
	v_mul_f64_e32 v[144:145], v[6:7], v[144:145]
	v_fmac_f64_e32 v[194:195], v[188:189], v[138:139]
	v_fma_f64 v[186:187], v[186:187], v[138:139], -v[140:141]
	scratch_load_b128 v[138:141], off, off offset:704
	v_add_f64_e32 v[190:191], v[190:191], v[196:197]
	v_add_f64_e32 v[188:189], v[200:201], v[198:199]
	v_fmac_f64_e32 v[192:193], v[6:7], v[142:143]
	v_fma_f64 v[198:199], v[4:5], v[142:143], -v[144:145]
	ds_load_b128 v[4:7], v2 offset:1520
	s_wait_loadcnt_dscnt 0xb01
	v_mul_f64_e32 v[196:197], v[178:179], v[148:149]
	v_mul_f64_e32 v[148:149], v[180:181], v[148:149]
	scratch_load_b128 v[142:145], off, off offset:720
	v_add_f64_e32 v[190:191], v[190:191], v[194:195]
	s_wait_loadcnt_dscnt 0xb00
	v_mul_f64_e32 v[194:195], v[4:5], v[152:153]
	v_add_f64_e32 v[200:201], v[188:189], v[186:187]
	v_mul_f64_e32 v[152:153], v[6:7], v[152:153]
	ds_load_b128 v[186:189], v2 offset:1536
	v_fmac_f64_e32 v[196:197], v[180:181], v[146:147]
	v_fma_f64 v[178:179], v[178:179], v[146:147], -v[148:149]
	scratch_load_b128 v[146:149], off, off offset:736
	v_add_f64_e32 v[190:191], v[190:191], v[192:193]
	v_fmac_f64_e32 v[194:195], v[6:7], v[150:151]
	v_add_f64_e32 v[180:181], v[200:201], v[198:199]
	v_fma_f64 v[198:199], v[4:5], v[150:151], -v[152:153]
	ds_load_b128 v[4:7], v2 offset:1552
	s_wait_loadcnt_dscnt 0xb01
	v_mul_f64_e32 v[192:193], v[186:187], v[156:157]
	v_mul_f64_e32 v[156:157], v[188:189], v[156:157]
	scratch_load_b128 v[150:153], off, off offset:752
	v_add_f64_e32 v[190:191], v[190:191], v[196:197]
	s_wait_loadcnt_dscnt 0xb00
	v_mul_f64_e32 v[196:197], v[4:5], v[160:161]
	v_add_f64_e32 v[200:201], v[180:181], v[178:179]
	v_mul_f64_e32 v[160:161], v[6:7], v[160:161]
	ds_load_b128 v[178:181], v2 offset:1568
	v_fmac_f64_e32 v[192:193], v[188:189], v[154:155]
	v_fma_f64 v[186:187], v[186:187], v[154:155], -v[156:157]
	scratch_load_b128 v[154:157], off, off offset:768
	v_add_f64_e32 v[190:191], v[190:191], v[194:195]
	v_fmac_f64_e32 v[196:197], v[6:7], v[158:159]
	v_add_f64_e32 v[188:189], v[200:201], v[198:199]
	;; [unrolled: 18-line block ×3, first 2 shown]
	v_fma_f64 v[198:199], v[4:5], v[170:171], -v[172:173]
	ds_load_b128 v[4:7], v2 offset:1616
	s_wait_loadcnt_dscnt 0xa01
	v_mul_f64_e32 v[196:197], v[186:187], v[184:185]
	v_mul_f64_e32 v[184:185], v[188:189], v[184:185]
	scratch_load_b128 v[170:173], off, off offset:816
	v_add_f64_e32 v[190:191], v[190:191], v[194:195]
	v_add_f64_e32 v[200:201], v[180:181], v[178:179]
	s_wait_loadcnt_dscnt 0xa00
	v_mul_f64_e32 v[194:195], v[4:5], v[168:169]
	v_mul_f64_e32 v[168:169], v[6:7], v[168:169]
	v_fmac_f64_e32 v[196:197], v[188:189], v[182:183]
	v_fma_f64 v[186:187], v[186:187], v[182:183], -v[184:185]
	ds_load_b128 v[178:181], v2 offset:1632
	scratch_load_b128 v[182:185], off, off offset:832
	v_add_f64_e32 v[190:191], v[190:191], v[192:193]
	v_add_f64_e32 v[188:189], v[200:201], v[198:199]
	v_fmac_f64_e32 v[194:195], v[6:7], v[166:167]
	v_fma_f64 v[198:199], v[4:5], v[166:167], -v[168:169]
	ds_load_b128 v[4:7], v2 offset:1648
	s_wait_loadcnt_dscnt 0xa01
	v_mul_f64_e32 v[192:193], v[178:179], v[12:13]
	v_mul_f64_e32 v[12:13], v[180:181], v[12:13]
	scratch_load_b128 v[166:169], off, off offset:848
	v_add_f64_e32 v[190:191], v[190:191], v[196:197]
	s_wait_loadcnt_dscnt 0xa00
	v_mul_f64_e32 v[196:197], v[4:5], v[136:137]
	v_add_f64_e32 v[200:201], v[188:189], v[186:187]
	v_mul_f64_e32 v[136:137], v[6:7], v[136:137]
	ds_load_b128 v[186:189], v2 offset:1664
	v_fmac_f64_e32 v[192:193], v[180:181], v[10:11]
	v_fma_f64 v[178:179], v[178:179], v[10:11], -v[12:13]
	scratch_load_b128 v[10:13], off, off offset:864
	v_add_f64_e32 v[190:191], v[190:191], v[194:195]
	v_fmac_f64_e32 v[196:197], v[6:7], v[134:135]
	v_add_f64_e32 v[180:181], v[200:201], v[198:199]
	v_fma_f64 v[198:199], v[4:5], v[134:135], -v[136:137]
	ds_load_b128 v[4:7], v2 offset:1680
	s_wait_loadcnt_dscnt 0xa01
	v_mul_f64_e32 v[194:195], v[186:187], v[140:141]
	v_mul_f64_e32 v[140:141], v[188:189], v[140:141]
	scratch_load_b128 v[134:137], off, off offset:880
	v_add_f64_e32 v[190:191], v[190:191], v[192:193]
	s_wait_loadcnt_dscnt 0xa00
	v_mul_f64_e32 v[192:193], v[4:5], v[144:145]
	v_add_f64_e32 v[200:201], v[180:181], v[178:179]
	v_mul_f64_e32 v[144:145], v[6:7], v[144:145]
	ds_load_b128 v[178:181], v2 offset:1696
	v_fmac_f64_e32 v[194:195], v[188:189], v[138:139]
	v_fma_f64 v[186:187], v[186:187], v[138:139], -v[140:141]
	scratch_load_b128 v[138:141], off, off offset:896
	v_add_f64_e32 v[190:191], v[190:191], v[196:197]
	v_fmac_f64_e32 v[192:193], v[6:7], v[142:143]
	v_add_f64_e32 v[188:189], v[200:201], v[198:199]
	;; [unrolled: 18-line block ×3, first 2 shown]
	v_fma_f64 v[198:199], v[4:5], v[150:151], -v[152:153]
	ds_load_b128 v[4:7], v2 offset:1744
	s_wait_loadcnt_dscnt 0xa01
	v_mul_f64_e32 v[192:193], v[186:187], v[156:157]
	v_mul_f64_e32 v[156:157], v[188:189], v[156:157]
	scratch_load_b128 v[150:153], off, off offset:944
	v_add_f64_e32 v[190:191], v[190:191], v[196:197]
	s_wait_loadcnt_dscnt 0xa00
	v_mul_f64_e32 v[196:197], v[4:5], v[160:161]
	v_add_f64_e32 v[200:201], v[180:181], v[178:179]
	v_mul_f64_e32 v[160:161], v[6:7], v[160:161]
	ds_load_b128 v[178:181], v2 offset:1760
	v_fmac_f64_e32 v[192:193], v[188:189], v[154:155]
	v_fma_f64 v[154:155], v[186:187], v[154:155], -v[156:157]
	s_wait_loadcnt_dscnt 0x900
	v_mul_f64_e32 v[188:189], v[178:179], v[164:165]
	v_mul_f64_e32 v[164:165], v[180:181], v[164:165]
	v_add_f64_e32 v[186:187], v[190:191], v[194:195]
	v_fmac_f64_e32 v[196:197], v[6:7], v[158:159]
	v_add_f64_e32 v[156:157], v[200:201], v[198:199]
	v_fma_f64 v[158:159], v[4:5], v[158:159], -v[160:161]
	v_fmac_f64_e32 v[188:189], v[180:181], v[162:163]
	v_fma_f64 v[162:163], v[178:179], v[162:163], -v[164:165]
	v_add_f64_e32 v[186:187], v[186:187], v[192:193]
	v_add_f64_e32 v[160:161], v[156:157], v[154:155]
	ds_load_b128 v[4:7], v2 offset:1776
	ds_load_b128 v[154:157], v2 offset:1792
	s_wait_loadcnt_dscnt 0x801
	v_mul_f64_e32 v[190:191], v[4:5], v[172:173]
	v_mul_f64_e32 v[172:173], v[6:7], v[172:173]
	s_wait_loadcnt_dscnt 0x700
	v_mul_f64_e32 v[164:165], v[154:155], v[184:185]
	v_mul_f64_e32 v[178:179], v[156:157], v[184:185]
	v_add_f64_e32 v[158:159], v[160:161], v[158:159]
	v_add_f64_e32 v[160:161], v[186:187], v[196:197]
	v_fmac_f64_e32 v[190:191], v[6:7], v[170:171]
	v_fma_f64 v[170:171], v[4:5], v[170:171], -v[172:173]
	v_fmac_f64_e32 v[164:165], v[156:157], v[182:183]
	v_fma_f64 v[154:155], v[154:155], v[182:183], -v[178:179]
	v_add_f64_e32 v[162:163], v[158:159], v[162:163]
	v_add_f64_e32 v[172:173], v[160:161], v[188:189]
	ds_load_b128 v[4:7], v2 offset:1808
	ds_load_b128 v[158:161], v2 offset:1824
	s_wait_loadcnt_dscnt 0x601
	v_mul_f64_e32 v[180:181], v[4:5], v[168:169]
	v_mul_f64_e32 v[168:169], v[6:7], v[168:169]
	v_add_f64_e32 v[156:157], v[162:163], v[170:171]
	v_add_f64_e32 v[162:163], v[172:173], v[190:191]
	s_wait_loadcnt_dscnt 0x500
	v_mul_f64_e32 v[170:171], v[158:159], v[12:13]
	v_mul_f64_e32 v[12:13], v[160:161], v[12:13]
	v_fmac_f64_e32 v[180:181], v[6:7], v[166:167]
	v_fma_f64 v[166:167], v[4:5], v[166:167], -v[168:169]
	v_add_f64_e32 v[168:169], v[156:157], v[154:155]
	v_add_f64_e32 v[162:163], v[162:163], v[164:165]
	ds_load_b128 v[4:7], v2 offset:1840
	ds_load_b128 v[154:157], v2 offset:1856
	v_fmac_f64_e32 v[170:171], v[160:161], v[10:11]
	v_fma_f64 v[10:11], v[158:159], v[10:11], -v[12:13]
	s_wait_loadcnt_dscnt 0x401
	v_mul_f64_e32 v[164:165], v[4:5], v[136:137]
	v_mul_f64_e32 v[136:137], v[6:7], v[136:137]
	s_wait_loadcnt_dscnt 0x300
	v_mul_f64_e32 v[160:161], v[154:155], v[140:141]
	v_mul_f64_e32 v[140:141], v[156:157], v[140:141]
	v_add_f64_e32 v[12:13], v[168:169], v[166:167]
	v_add_f64_e32 v[158:159], v[162:163], v[180:181]
	v_fmac_f64_e32 v[164:165], v[6:7], v[134:135]
	v_fma_f64 v[134:135], v[4:5], v[134:135], -v[136:137]
	v_fmac_f64_e32 v[160:161], v[156:157], v[138:139]
	v_fma_f64 v[138:139], v[154:155], v[138:139], -v[140:141]
	v_add_f64_e32 v[136:137], v[12:13], v[10:11]
	v_add_f64_e32 v[158:159], v[158:159], v[170:171]
	ds_load_b128 v[4:7], v2 offset:1872
	ds_load_b128 v[10:13], v2 offset:1888
	s_wait_loadcnt_dscnt 0x201
	v_mul_f64_e32 v[162:163], v[4:5], v[144:145]
	v_mul_f64_e32 v[144:145], v[6:7], v[144:145]
	s_wait_loadcnt_dscnt 0x100
	v_mul_f64_e32 v[140:141], v[10:11], v[148:149]
	v_mul_f64_e32 v[148:149], v[12:13], v[148:149]
	v_add_f64_e32 v[134:135], v[136:137], v[134:135]
	v_add_f64_e32 v[136:137], v[158:159], v[164:165]
	v_fmac_f64_e32 v[162:163], v[6:7], v[142:143]
	v_fma_f64 v[142:143], v[4:5], v[142:143], -v[144:145]
	ds_load_b128 v[4:7], v2 offset:1904
	v_fmac_f64_e32 v[140:141], v[12:13], v[146:147]
	v_fma_f64 v[10:11], v[10:11], v[146:147], -v[148:149]
	v_add_f64_e32 v[134:135], v[134:135], v[138:139]
	v_add_f64_e32 v[136:137], v[136:137], v[160:161]
	s_wait_loadcnt_dscnt 0x0
	v_mul_f64_e32 v[138:139], v[4:5], v[152:153]
	v_mul_f64_e32 v[144:145], v[6:7], v[152:153]
	s_delay_alu instid0(VALU_DEP_4) | instskip(NEXT) | instid1(VALU_DEP_4)
	v_add_f64_e32 v[12:13], v[134:135], v[142:143]
	v_add_f64_e32 v[134:135], v[136:137], v[162:163]
	s_delay_alu instid0(VALU_DEP_4) | instskip(NEXT) | instid1(VALU_DEP_4)
	v_fmac_f64_e32 v[138:139], v[6:7], v[150:151]
	v_fma_f64 v[4:5], v[4:5], v[150:151], -v[144:145]
	s_delay_alu instid0(VALU_DEP_4) | instskip(NEXT) | instid1(VALU_DEP_4)
	v_add_f64_e32 v[6:7], v[12:13], v[10:11]
	v_add_f64_e32 v[10:11], v[134:135], v[140:141]
	s_delay_alu instid0(VALU_DEP_2) | instskip(NEXT) | instid1(VALU_DEP_2)
	v_add_f64_e32 v[4:5], v[6:7], v[4:5]
	v_add_f64_e32 v[6:7], v[10:11], v[138:139]
	s_delay_alu instid0(VALU_DEP_2) | instskip(NEXT) | instid1(VALU_DEP_2)
	v_add_f64_e64 v[4:5], v[174:175], -v[4:5]
	v_add_f64_e64 v[6:7], v[176:177], -v[6:7]
	scratch_store_b128 off, v[4:7], off offset:448
	s_wait_xcnt 0x0
	v_cmpx_lt_u32_e32 27, v1
	s_cbranch_execz .LBB59_319
; %bb.318:
	scratch_load_b128 v[10:13], off, s40
	v_dual_mov_b32 v3, v2 :: v_dual_mov_b32 v4, v2
	v_mov_b32_e32 v5, v2
	scratch_store_b128 off, v[2:5], off offset:432
	s_wait_loadcnt 0x0
	ds_store_b128 v8, v[10:13]
.LBB59_319:
	s_wait_xcnt 0x0
	s_or_b32 exec_lo, exec_lo, s2
	s_wait_storecnt_dscnt 0x0
	s_barrier_signal -1
	s_barrier_wait -1
	s_clause 0x9
	scratch_load_b128 v[4:7], off, off offset:448
	scratch_load_b128 v[10:13], off, off offset:464
	scratch_load_b128 v[134:137], off, off offset:480
	scratch_load_b128 v[138:141], off, off offset:496
	scratch_load_b128 v[142:145], off, off offset:512
	scratch_load_b128 v[146:149], off, off offset:528
	scratch_load_b128 v[150:153], off, off offset:544
	scratch_load_b128 v[154:157], off, off offset:560
	scratch_load_b128 v[158:161], off, off offset:576
	scratch_load_b128 v[162:165], off, off offset:592
	ds_load_b128 v[166:169], v2 offset:1408
	ds_load_b128 v[174:177], v2 offset:1424
	s_clause 0x2
	scratch_load_b128 v[170:173], off, off offset:608
	scratch_load_b128 v[178:181], off, off offset:432
	;; [unrolled: 1-line block ×3, first 2 shown]
	s_mov_b32 s2, exec_lo
	s_wait_loadcnt_dscnt 0xc01
	v_mul_f64_e32 v[186:187], v[168:169], v[6:7]
	v_mul_f64_e32 v[190:191], v[166:167], v[6:7]
	s_wait_loadcnt_dscnt 0xb00
	v_mul_f64_e32 v[192:193], v[174:175], v[12:13]
	v_mul_f64_e32 v[12:13], v[176:177], v[12:13]
	s_delay_alu instid0(VALU_DEP_4) | instskip(NEXT) | instid1(VALU_DEP_4)
	v_fma_f64 v[194:195], v[166:167], v[4:5], -v[186:187]
	v_fmac_f64_e32 v[190:191], v[168:169], v[4:5]
	ds_load_b128 v[4:7], v2 offset:1440
	ds_load_b128 v[166:169], v2 offset:1456
	scratch_load_b128 v[186:189], off, off offset:640
	v_fmac_f64_e32 v[192:193], v[176:177], v[10:11]
	v_fma_f64 v[174:175], v[174:175], v[10:11], -v[12:13]
	scratch_load_b128 v[10:13], off, off offset:656
	s_wait_loadcnt_dscnt 0xc01
	v_mul_f64_e32 v[196:197], v[4:5], v[136:137]
	v_mul_f64_e32 v[136:137], v[6:7], v[136:137]
	v_add_f64_e32 v[176:177], 0, v[194:195]
	v_add_f64_e32 v[190:191], 0, v[190:191]
	s_wait_loadcnt_dscnt 0xb00
	v_mul_f64_e32 v[194:195], v[166:167], v[140:141]
	v_mul_f64_e32 v[140:141], v[168:169], v[140:141]
	v_fmac_f64_e32 v[196:197], v[6:7], v[134:135]
	v_fma_f64 v[198:199], v[4:5], v[134:135], -v[136:137]
	ds_load_b128 v[4:7], v2 offset:1472
	ds_load_b128 v[134:137], v2 offset:1488
	v_add_f64_e32 v[200:201], v[176:177], v[174:175]
	v_add_f64_e32 v[190:191], v[190:191], v[192:193]
	scratch_load_b128 v[174:177], off, off offset:672
	v_fmac_f64_e32 v[194:195], v[168:169], v[138:139]
	v_fma_f64 v[166:167], v[166:167], v[138:139], -v[140:141]
	scratch_load_b128 v[138:141], off, off offset:688
	s_wait_loadcnt_dscnt 0xc01
	v_mul_f64_e32 v[192:193], v[4:5], v[144:145]
	v_mul_f64_e32 v[144:145], v[6:7], v[144:145]
	v_add_f64_e32 v[168:169], v[200:201], v[198:199]
	v_add_f64_e32 v[190:191], v[190:191], v[196:197]
	s_wait_loadcnt_dscnt 0xb00
	v_mul_f64_e32 v[196:197], v[134:135], v[148:149]
	v_mul_f64_e32 v[148:149], v[136:137], v[148:149]
	v_fmac_f64_e32 v[192:193], v[6:7], v[142:143]
	v_fma_f64 v[198:199], v[4:5], v[142:143], -v[144:145]
	ds_load_b128 v[4:7], v2 offset:1504
	ds_load_b128 v[142:145], v2 offset:1520
	v_add_f64_e32 v[200:201], v[168:169], v[166:167]
	v_add_f64_e32 v[190:191], v[190:191], v[194:195]
	scratch_load_b128 v[166:169], off, off offset:704
	s_wait_loadcnt_dscnt 0xb01
	v_mul_f64_e32 v[194:195], v[4:5], v[152:153]
	v_mul_f64_e32 v[152:153], v[6:7], v[152:153]
	v_fmac_f64_e32 v[196:197], v[136:137], v[146:147]
	v_fma_f64 v[146:147], v[134:135], v[146:147], -v[148:149]
	scratch_load_b128 v[134:137], off, off offset:720
	v_add_f64_e32 v[148:149], v[200:201], v[198:199]
	v_add_f64_e32 v[190:191], v[190:191], v[192:193]
	s_wait_loadcnt_dscnt 0xb00
	v_mul_f64_e32 v[192:193], v[142:143], v[156:157]
	v_mul_f64_e32 v[156:157], v[144:145], v[156:157]
	v_fmac_f64_e32 v[194:195], v[6:7], v[150:151]
	v_fma_f64 v[198:199], v[4:5], v[150:151], -v[152:153]
	v_add_f64_e32 v[200:201], v[148:149], v[146:147]
	v_add_f64_e32 v[190:191], v[190:191], v[196:197]
	ds_load_b128 v[4:7], v2 offset:1536
	ds_load_b128 v[146:149], v2 offset:1552
	scratch_load_b128 v[150:153], off, off offset:736
	v_fmac_f64_e32 v[192:193], v[144:145], v[154:155]
	v_fma_f64 v[154:155], v[142:143], v[154:155], -v[156:157]
	scratch_load_b128 v[142:145], off, off offset:752
	s_wait_loadcnt_dscnt 0xc01
	v_mul_f64_e32 v[196:197], v[4:5], v[160:161]
	v_mul_f64_e32 v[160:161], v[6:7], v[160:161]
	v_add_f64_e32 v[156:157], v[200:201], v[198:199]
	v_add_f64_e32 v[190:191], v[190:191], v[194:195]
	s_wait_loadcnt_dscnt 0xb00
	v_mul_f64_e32 v[194:195], v[146:147], v[164:165]
	v_mul_f64_e32 v[164:165], v[148:149], v[164:165]
	v_fmac_f64_e32 v[196:197], v[6:7], v[158:159]
	v_fma_f64 v[198:199], v[4:5], v[158:159], -v[160:161]
	v_add_f64_e32 v[200:201], v[156:157], v[154:155]
	v_add_f64_e32 v[190:191], v[190:191], v[192:193]
	ds_load_b128 v[4:7], v2 offset:1568
	ds_load_b128 v[154:157], v2 offset:1584
	scratch_load_b128 v[158:161], off, off offset:768
	v_fmac_f64_e32 v[194:195], v[148:149], v[162:163]
	v_fma_f64 v[162:163], v[146:147], v[162:163], -v[164:165]
	scratch_load_b128 v[146:149], off, off offset:784
	s_wait_loadcnt_dscnt 0xc01
	v_mul_f64_e32 v[192:193], v[4:5], v[172:173]
	v_mul_f64_e32 v[172:173], v[6:7], v[172:173]
	;; [unrolled: 18-line block ×5, first 2 shown]
	v_add_f64_e32 v[184:185], v[200:201], v[198:199]
	v_add_f64_e32 v[190:191], v[190:191], v[196:197]
	s_wait_loadcnt_dscnt 0xa00
	v_mul_f64_e32 v[196:197], v[162:163], v[136:137]
	v_mul_f64_e32 v[136:137], v[164:165], v[136:137]
	v_fmac_f64_e32 v[192:193], v[6:7], v[166:167]
	v_fma_f64 v[198:199], v[4:5], v[166:167], -v[168:169]
	ds_load_b128 v[4:7], v2 offset:1696
	ds_load_b128 v[166:169], v2 offset:1712
	v_add_f64_e32 v[200:201], v[184:185], v[182:183]
	v_add_f64_e32 v[190:191], v[190:191], v[194:195]
	scratch_load_b128 v[182:185], off, off offset:896
	v_fmac_f64_e32 v[196:197], v[164:165], v[134:135]
	v_fma_f64 v[162:163], v[162:163], v[134:135], -v[136:137]
	scratch_load_b128 v[134:137], off, off offset:912
	s_wait_loadcnt_dscnt 0xb01
	v_mul_f64_e32 v[194:195], v[4:5], v[152:153]
	v_mul_f64_e32 v[152:153], v[6:7], v[152:153]
	v_add_f64_e32 v[164:165], v[200:201], v[198:199]
	v_add_f64_e32 v[190:191], v[190:191], v[192:193]
	s_wait_loadcnt_dscnt 0xa00
	v_mul_f64_e32 v[192:193], v[166:167], v[144:145]
	v_mul_f64_e32 v[144:145], v[168:169], v[144:145]
	v_fmac_f64_e32 v[194:195], v[6:7], v[150:151]
	v_fma_f64 v[198:199], v[4:5], v[150:151], -v[152:153]
	ds_load_b128 v[4:7], v2 offset:1728
	ds_load_b128 v[150:153], v2 offset:1744
	v_add_f64_e32 v[200:201], v[164:165], v[162:163]
	v_add_f64_e32 v[190:191], v[190:191], v[196:197]
	scratch_load_b128 v[162:165], off, off offset:928
	s_wait_loadcnt_dscnt 0xa01
	v_mul_f64_e32 v[196:197], v[4:5], v[160:161]
	v_mul_f64_e32 v[160:161], v[6:7], v[160:161]
	v_fmac_f64_e32 v[192:193], v[168:169], v[142:143]
	v_fma_f64 v[166:167], v[166:167], v[142:143], -v[144:145]
	scratch_load_b128 v[142:145], off, off offset:944
	v_add_f64_e32 v[168:169], v[200:201], v[198:199]
	v_add_f64_e32 v[190:191], v[190:191], v[194:195]
	s_wait_loadcnt_dscnt 0xa00
	v_mul_f64_e32 v[194:195], v[150:151], v[148:149]
	v_mul_f64_e32 v[148:149], v[152:153], v[148:149]
	v_fmac_f64_e32 v[196:197], v[6:7], v[158:159]
	v_fma_f64 v[198:199], v[4:5], v[158:159], -v[160:161]
	ds_load_b128 v[4:7], v2 offset:1760
	ds_load_b128 v[158:161], v2 offset:1776
	v_add_f64_e32 v[166:167], v[168:169], v[166:167]
	v_add_f64_e32 v[168:169], v[190:191], v[192:193]
	v_fmac_f64_e32 v[194:195], v[152:153], v[146:147]
	s_wait_loadcnt_dscnt 0x901
	v_mul_f64_e32 v[190:191], v[4:5], v[172:173]
	v_mul_f64_e32 v[172:173], v[6:7], v[172:173]
	v_fma_f64 v[146:147], v[150:151], v[146:147], -v[148:149]
	s_wait_loadcnt_dscnt 0x800
	v_mul_f64_e32 v[152:153], v[158:159], v[156:157]
	v_mul_f64_e32 v[156:157], v[160:161], v[156:157]
	v_add_f64_e32 v[148:149], v[166:167], v[198:199]
	v_add_f64_e32 v[150:151], v[168:169], v[196:197]
	v_fmac_f64_e32 v[190:191], v[6:7], v[170:171]
	v_fma_f64 v[166:167], v[4:5], v[170:171], -v[172:173]
	v_fmac_f64_e32 v[152:153], v[160:161], v[154:155]
	v_fma_f64 v[154:155], v[158:159], v[154:155], -v[156:157]
	v_add_f64_e32 v[168:169], v[148:149], v[146:147]
	v_add_f64_e32 v[150:151], v[150:151], v[194:195]
	ds_load_b128 v[4:7], v2 offset:1792
	ds_load_b128 v[146:149], v2 offset:1808
	s_wait_loadcnt_dscnt 0x701
	v_mul_f64_e32 v[170:171], v[4:5], v[188:189]
	v_mul_f64_e32 v[172:173], v[6:7], v[188:189]
	s_wait_loadcnt_dscnt 0x600
	v_mul_f64_e32 v[158:159], v[146:147], v[12:13]
	v_mul_f64_e32 v[12:13], v[148:149], v[12:13]
	v_add_f64_e32 v[156:157], v[168:169], v[166:167]
	v_add_f64_e32 v[150:151], v[150:151], v[190:191]
	v_fmac_f64_e32 v[170:171], v[6:7], v[186:187]
	v_fma_f64 v[160:161], v[4:5], v[186:187], -v[172:173]
	v_fmac_f64_e32 v[158:159], v[148:149], v[10:11]
	v_fma_f64 v[10:11], v[146:147], v[10:11], -v[12:13]
	v_add_f64_e32 v[154:155], v[156:157], v[154:155]
	v_add_f64_e32 v[156:157], v[150:151], v[152:153]
	ds_load_b128 v[4:7], v2 offset:1824
	ds_load_b128 v[150:153], v2 offset:1840
	s_wait_loadcnt_dscnt 0x501
	v_mul_f64_e32 v[166:167], v[4:5], v[176:177]
	v_mul_f64_e32 v[168:169], v[6:7], v[176:177]
	;; [unrolled: 16-line block ×4, first 2 shown]
	v_add_f64_e32 v[12:13], v[140:141], v[154:155]
	v_add_f64_e32 v[134:135], v[146:147], v[158:159]
	s_wait_loadcnt_dscnt 0x0
	v_mul_f64_e32 v[140:141], v[136:137], v[144:145]
	v_mul_f64_e32 v[144:145], v[138:139], v[144:145]
	v_fmac_f64_e32 v[2:3], v[6:7], v[162:163]
	v_fma_f64 v[4:5], v[4:5], v[162:163], -v[148:149]
	v_add_f64_e32 v[6:7], v[12:13], v[10:11]
	v_add_f64_e32 v[10:11], v[134:135], v[150:151]
	v_fmac_f64_e32 v[140:141], v[138:139], v[142:143]
	v_fma_f64 v[12:13], v[136:137], v[142:143], -v[144:145]
	s_delay_alu instid0(VALU_DEP_4) | instskip(NEXT) | instid1(VALU_DEP_4)
	v_add_f64_e32 v[4:5], v[6:7], v[4:5]
	v_add_f64_e32 v[2:3], v[10:11], v[2:3]
	s_delay_alu instid0(VALU_DEP_2) | instskip(NEXT) | instid1(VALU_DEP_2)
	v_add_f64_e32 v[4:5], v[4:5], v[12:13]
	v_add_f64_e32 v[6:7], v[2:3], v[140:141]
	s_delay_alu instid0(VALU_DEP_2) | instskip(NEXT) | instid1(VALU_DEP_2)
	v_add_f64_e64 v[2:3], v[178:179], -v[4:5]
	v_add_f64_e64 v[4:5], v[180:181], -v[6:7]
	scratch_store_b128 off, v[2:5], off offset:432
	s_wait_xcnt 0x0
	v_cmpx_lt_u32_e32 26, v1
	s_cbranch_execz .LBB59_321
; %bb.320:
	scratch_load_b128 v[2:5], off, s46
	v_mov_b32_e32 v10, 0
	s_delay_alu instid0(VALU_DEP_1)
	v_dual_mov_b32 v11, v10 :: v_dual_mov_b32 v12, v10
	v_mov_b32_e32 v13, v10
	scratch_store_b128 off, v[10:13], off offset:416
	s_wait_loadcnt 0x0
	ds_store_b128 v8, v[2:5]
.LBB59_321:
	s_wait_xcnt 0x0
	s_or_b32 exec_lo, exec_lo, s2
	s_wait_storecnt_dscnt 0x0
	s_barrier_signal -1
	s_barrier_wait -1
	s_clause 0x9
	scratch_load_b128 v[4:7], off, off offset:432
	scratch_load_b128 v[10:13], off, off offset:448
	;; [unrolled: 1-line block ×10, first 2 shown]
	v_mov_b32_e32 v2, 0
	s_mov_b32 s2, exec_lo
	ds_load_b128 v[166:169], v2 offset:1392
	s_clause 0x2
	scratch_load_b128 v[170:173], off, off offset:592
	scratch_load_b128 v[174:177], off, off offset:416
	scratch_load_b128 v[182:185], off, off offset:608
	s_wait_loadcnt_dscnt 0xc00
	v_mul_f64_e32 v[186:187], v[168:169], v[6:7]
	v_mul_f64_e32 v[190:191], v[166:167], v[6:7]
	ds_load_b128 v[178:181], v2 offset:1408
	v_fma_f64 v[194:195], v[166:167], v[4:5], -v[186:187]
	v_fmac_f64_e32 v[190:191], v[168:169], v[4:5]
	ds_load_b128 v[4:7], v2 offset:1424
	s_wait_loadcnt_dscnt 0xb01
	v_mul_f64_e32 v[192:193], v[178:179], v[12:13]
	v_mul_f64_e32 v[12:13], v[180:181], v[12:13]
	scratch_load_b128 v[166:169], off, off offset:624
	ds_load_b128 v[186:189], v2 offset:1440
	s_wait_loadcnt_dscnt 0xb01
	v_mul_f64_e32 v[196:197], v[4:5], v[136:137]
	v_mul_f64_e32 v[136:137], v[6:7], v[136:137]
	v_add_f64_e32 v[190:191], 0, v[190:191]
	v_fmac_f64_e32 v[192:193], v[180:181], v[10:11]
	v_fma_f64 v[178:179], v[178:179], v[10:11], -v[12:13]
	v_add_f64_e32 v[180:181], 0, v[194:195]
	scratch_load_b128 v[10:13], off, off offset:640
	v_fmac_f64_e32 v[196:197], v[6:7], v[134:135]
	v_fma_f64 v[198:199], v[4:5], v[134:135], -v[136:137]
	ds_load_b128 v[4:7], v2 offset:1456
	s_wait_loadcnt_dscnt 0xb01
	v_mul_f64_e32 v[194:195], v[186:187], v[140:141]
	v_mul_f64_e32 v[140:141], v[188:189], v[140:141]
	scratch_load_b128 v[134:137], off, off offset:656
	v_add_f64_e32 v[190:191], v[190:191], v[192:193]
	v_add_f64_e32 v[200:201], v[180:181], v[178:179]
	ds_load_b128 v[178:181], v2 offset:1472
	s_wait_loadcnt_dscnt 0xb01
	v_mul_f64_e32 v[192:193], v[4:5], v[144:145]
	v_mul_f64_e32 v[144:145], v[6:7], v[144:145]
	v_fmac_f64_e32 v[194:195], v[188:189], v[138:139]
	v_fma_f64 v[186:187], v[186:187], v[138:139], -v[140:141]
	scratch_load_b128 v[138:141], off, off offset:672
	v_add_f64_e32 v[190:191], v[190:191], v[196:197]
	v_add_f64_e32 v[188:189], v[200:201], v[198:199]
	v_fmac_f64_e32 v[192:193], v[6:7], v[142:143]
	v_fma_f64 v[198:199], v[4:5], v[142:143], -v[144:145]
	ds_load_b128 v[4:7], v2 offset:1488
	s_wait_loadcnt_dscnt 0xb01
	v_mul_f64_e32 v[196:197], v[178:179], v[148:149]
	v_mul_f64_e32 v[148:149], v[180:181], v[148:149]
	scratch_load_b128 v[142:145], off, off offset:688
	v_add_f64_e32 v[190:191], v[190:191], v[194:195]
	s_wait_loadcnt_dscnt 0xb00
	v_mul_f64_e32 v[194:195], v[4:5], v[152:153]
	v_add_f64_e32 v[200:201], v[188:189], v[186:187]
	v_mul_f64_e32 v[152:153], v[6:7], v[152:153]
	ds_load_b128 v[186:189], v2 offset:1504
	v_fmac_f64_e32 v[196:197], v[180:181], v[146:147]
	v_fma_f64 v[178:179], v[178:179], v[146:147], -v[148:149]
	scratch_load_b128 v[146:149], off, off offset:704
	v_add_f64_e32 v[190:191], v[190:191], v[192:193]
	v_fmac_f64_e32 v[194:195], v[6:7], v[150:151]
	v_add_f64_e32 v[180:181], v[200:201], v[198:199]
	v_fma_f64 v[198:199], v[4:5], v[150:151], -v[152:153]
	ds_load_b128 v[4:7], v2 offset:1520
	s_wait_loadcnt_dscnt 0xb01
	v_mul_f64_e32 v[192:193], v[186:187], v[156:157]
	v_mul_f64_e32 v[156:157], v[188:189], v[156:157]
	scratch_load_b128 v[150:153], off, off offset:720
	v_add_f64_e32 v[190:191], v[190:191], v[196:197]
	s_wait_loadcnt_dscnt 0xb00
	v_mul_f64_e32 v[196:197], v[4:5], v[160:161]
	v_add_f64_e32 v[200:201], v[180:181], v[178:179]
	v_mul_f64_e32 v[160:161], v[6:7], v[160:161]
	ds_load_b128 v[178:181], v2 offset:1536
	v_fmac_f64_e32 v[192:193], v[188:189], v[154:155]
	v_fma_f64 v[186:187], v[186:187], v[154:155], -v[156:157]
	scratch_load_b128 v[154:157], off, off offset:736
	v_add_f64_e32 v[190:191], v[190:191], v[194:195]
	v_fmac_f64_e32 v[196:197], v[6:7], v[158:159]
	v_add_f64_e32 v[188:189], v[200:201], v[198:199]
	;; [unrolled: 18-line block ×3, first 2 shown]
	v_fma_f64 v[198:199], v[4:5], v[170:171], -v[172:173]
	ds_load_b128 v[4:7], v2 offset:1584
	s_wait_loadcnt_dscnt 0xa01
	v_mul_f64_e32 v[196:197], v[186:187], v[184:185]
	v_mul_f64_e32 v[184:185], v[188:189], v[184:185]
	scratch_load_b128 v[170:173], off, off offset:784
	v_add_f64_e32 v[190:191], v[190:191], v[194:195]
	v_add_f64_e32 v[200:201], v[180:181], v[178:179]
	s_wait_loadcnt_dscnt 0xa00
	v_mul_f64_e32 v[194:195], v[4:5], v[168:169]
	v_mul_f64_e32 v[168:169], v[6:7], v[168:169]
	v_fmac_f64_e32 v[196:197], v[188:189], v[182:183]
	v_fma_f64 v[186:187], v[186:187], v[182:183], -v[184:185]
	ds_load_b128 v[178:181], v2 offset:1600
	scratch_load_b128 v[182:185], off, off offset:800
	v_add_f64_e32 v[190:191], v[190:191], v[192:193]
	v_add_f64_e32 v[188:189], v[200:201], v[198:199]
	v_fmac_f64_e32 v[194:195], v[6:7], v[166:167]
	v_fma_f64 v[198:199], v[4:5], v[166:167], -v[168:169]
	ds_load_b128 v[4:7], v2 offset:1616
	s_wait_loadcnt_dscnt 0xa01
	v_mul_f64_e32 v[192:193], v[178:179], v[12:13]
	v_mul_f64_e32 v[12:13], v[180:181], v[12:13]
	scratch_load_b128 v[166:169], off, off offset:816
	v_add_f64_e32 v[190:191], v[190:191], v[196:197]
	s_wait_loadcnt_dscnt 0xa00
	v_mul_f64_e32 v[196:197], v[4:5], v[136:137]
	v_add_f64_e32 v[200:201], v[188:189], v[186:187]
	v_mul_f64_e32 v[136:137], v[6:7], v[136:137]
	ds_load_b128 v[186:189], v2 offset:1632
	v_fmac_f64_e32 v[192:193], v[180:181], v[10:11]
	v_fma_f64 v[178:179], v[178:179], v[10:11], -v[12:13]
	scratch_load_b128 v[10:13], off, off offset:832
	v_add_f64_e32 v[190:191], v[190:191], v[194:195]
	v_fmac_f64_e32 v[196:197], v[6:7], v[134:135]
	v_add_f64_e32 v[180:181], v[200:201], v[198:199]
	v_fma_f64 v[198:199], v[4:5], v[134:135], -v[136:137]
	ds_load_b128 v[4:7], v2 offset:1648
	s_wait_loadcnt_dscnt 0xa01
	v_mul_f64_e32 v[194:195], v[186:187], v[140:141]
	v_mul_f64_e32 v[140:141], v[188:189], v[140:141]
	scratch_load_b128 v[134:137], off, off offset:848
	v_add_f64_e32 v[190:191], v[190:191], v[192:193]
	s_wait_loadcnt_dscnt 0xa00
	v_mul_f64_e32 v[192:193], v[4:5], v[144:145]
	v_add_f64_e32 v[200:201], v[180:181], v[178:179]
	v_mul_f64_e32 v[144:145], v[6:7], v[144:145]
	ds_load_b128 v[178:181], v2 offset:1664
	v_fmac_f64_e32 v[194:195], v[188:189], v[138:139]
	v_fma_f64 v[186:187], v[186:187], v[138:139], -v[140:141]
	scratch_load_b128 v[138:141], off, off offset:864
	v_add_f64_e32 v[190:191], v[190:191], v[196:197]
	v_fmac_f64_e32 v[192:193], v[6:7], v[142:143]
	v_add_f64_e32 v[188:189], v[200:201], v[198:199]
	;; [unrolled: 18-line block ×4, first 2 shown]
	v_fma_f64 v[198:199], v[4:5], v[158:159], -v[160:161]
	ds_load_b128 v[4:7], v2 offset:1744
	s_wait_loadcnt_dscnt 0xa01
	v_mul_f64_e32 v[194:195], v[178:179], v[164:165]
	v_mul_f64_e32 v[164:165], v[180:181], v[164:165]
	scratch_load_b128 v[158:161], off, off offset:944
	v_add_f64_e32 v[190:191], v[190:191], v[192:193]
	s_wait_loadcnt_dscnt 0xa00
	v_mul_f64_e32 v[192:193], v[4:5], v[172:173]
	v_add_f64_e32 v[200:201], v[188:189], v[186:187]
	v_mul_f64_e32 v[172:173], v[6:7], v[172:173]
	ds_load_b128 v[186:189], v2 offset:1760
	v_fmac_f64_e32 v[194:195], v[180:181], v[162:163]
	v_fma_f64 v[162:163], v[178:179], v[162:163], -v[164:165]
	s_wait_loadcnt_dscnt 0x900
	v_mul_f64_e32 v[180:181], v[186:187], v[184:185]
	v_mul_f64_e32 v[184:185], v[188:189], v[184:185]
	v_add_f64_e32 v[178:179], v[190:191], v[196:197]
	v_fmac_f64_e32 v[192:193], v[6:7], v[170:171]
	v_add_f64_e32 v[164:165], v[200:201], v[198:199]
	v_fma_f64 v[170:171], v[4:5], v[170:171], -v[172:173]
	v_fmac_f64_e32 v[180:181], v[188:189], v[182:183]
	v_fma_f64 v[182:183], v[186:187], v[182:183], -v[184:185]
	v_add_f64_e32 v[178:179], v[178:179], v[194:195]
	v_add_f64_e32 v[172:173], v[164:165], v[162:163]
	ds_load_b128 v[4:7], v2 offset:1776
	ds_load_b128 v[162:165], v2 offset:1792
	s_wait_loadcnt_dscnt 0x801
	v_mul_f64_e32 v[190:191], v[4:5], v[168:169]
	v_mul_f64_e32 v[168:169], v[6:7], v[168:169]
	v_add_f64_e32 v[170:171], v[172:173], v[170:171]
	v_add_f64_e32 v[172:173], v[178:179], v[192:193]
	s_wait_loadcnt_dscnt 0x700
	v_mul_f64_e32 v[178:179], v[162:163], v[12:13]
	v_mul_f64_e32 v[12:13], v[164:165], v[12:13]
	v_fmac_f64_e32 v[190:191], v[6:7], v[166:167]
	v_fma_f64 v[184:185], v[4:5], v[166:167], -v[168:169]
	ds_load_b128 v[4:7], v2 offset:1808
	ds_load_b128 v[166:169], v2 offset:1824
	v_add_f64_e32 v[170:171], v[170:171], v[182:183]
	v_add_f64_e32 v[172:173], v[172:173], v[180:181]
	v_fmac_f64_e32 v[178:179], v[164:165], v[10:11]
	v_fma_f64 v[10:11], v[162:163], v[10:11], -v[12:13]
	s_wait_loadcnt_dscnt 0x601
	v_mul_f64_e32 v[180:181], v[4:5], v[136:137]
	v_mul_f64_e32 v[136:137], v[6:7], v[136:137]
	s_wait_loadcnt_dscnt 0x500
	v_mul_f64_e32 v[164:165], v[166:167], v[140:141]
	v_mul_f64_e32 v[140:141], v[168:169], v[140:141]
	v_add_f64_e32 v[12:13], v[170:171], v[184:185]
	v_add_f64_e32 v[162:163], v[172:173], v[190:191]
	v_fmac_f64_e32 v[180:181], v[6:7], v[134:135]
	v_fma_f64 v[134:135], v[4:5], v[134:135], -v[136:137]
	v_fmac_f64_e32 v[164:165], v[168:169], v[138:139]
	v_fma_f64 v[138:139], v[166:167], v[138:139], -v[140:141]
	v_add_f64_e32 v[136:137], v[12:13], v[10:11]
	v_add_f64_e32 v[162:163], v[162:163], v[178:179]
	ds_load_b128 v[4:7], v2 offset:1840
	ds_load_b128 v[10:13], v2 offset:1856
	s_wait_loadcnt_dscnt 0x401
	v_mul_f64_e32 v[170:171], v[4:5], v[144:145]
	v_mul_f64_e32 v[144:145], v[6:7], v[144:145]
	s_wait_loadcnt_dscnt 0x300
	v_mul_f64_e32 v[140:141], v[10:11], v[148:149]
	v_mul_f64_e32 v[148:149], v[12:13], v[148:149]
	v_add_f64_e32 v[134:135], v[136:137], v[134:135]
	v_add_f64_e32 v[136:137], v[162:163], v[180:181]
	v_fmac_f64_e32 v[170:171], v[6:7], v[142:143]
	v_fma_f64 v[142:143], v[4:5], v[142:143], -v[144:145]
	v_fmac_f64_e32 v[140:141], v[12:13], v[146:147]
	v_fma_f64 v[10:11], v[10:11], v[146:147], -v[148:149]
	v_add_f64_e32 v[138:139], v[134:135], v[138:139]
	v_add_f64_e32 v[144:145], v[136:137], v[164:165]
	ds_load_b128 v[4:7], v2 offset:1872
	ds_load_b128 v[134:137], v2 offset:1888
	s_wait_loadcnt_dscnt 0x201
	v_mul_f64_e32 v[162:163], v[4:5], v[152:153]
	v_mul_f64_e32 v[152:153], v[6:7], v[152:153]
	v_add_f64_e32 v[12:13], v[138:139], v[142:143]
	v_add_f64_e32 v[138:139], v[144:145], v[170:171]
	s_wait_loadcnt_dscnt 0x100
	v_mul_f64_e32 v[142:143], v[134:135], v[156:157]
	v_mul_f64_e32 v[144:145], v[136:137], v[156:157]
	v_fmac_f64_e32 v[162:163], v[6:7], v[150:151]
	v_fma_f64 v[146:147], v[4:5], v[150:151], -v[152:153]
	ds_load_b128 v[4:7], v2 offset:1904
	v_add_f64_e32 v[10:11], v[12:13], v[10:11]
	v_add_f64_e32 v[12:13], v[138:139], v[140:141]
	v_fmac_f64_e32 v[142:143], v[136:137], v[154:155]
	v_fma_f64 v[134:135], v[134:135], v[154:155], -v[144:145]
	s_wait_loadcnt_dscnt 0x0
	v_mul_f64_e32 v[138:139], v[4:5], v[160:161]
	v_mul_f64_e32 v[140:141], v[6:7], v[160:161]
	v_add_f64_e32 v[10:11], v[10:11], v[146:147]
	v_add_f64_e32 v[12:13], v[12:13], v[162:163]
	s_delay_alu instid0(VALU_DEP_4) | instskip(NEXT) | instid1(VALU_DEP_4)
	v_fmac_f64_e32 v[138:139], v[6:7], v[158:159]
	v_fma_f64 v[4:5], v[4:5], v[158:159], -v[140:141]
	s_delay_alu instid0(VALU_DEP_4) | instskip(NEXT) | instid1(VALU_DEP_4)
	v_add_f64_e32 v[6:7], v[10:11], v[134:135]
	v_add_f64_e32 v[10:11], v[12:13], v[142:143]
	s_delay_alu instid0(VALU_DEP_2) | instskip(NEXT) | instid1(VALU_DEP_2)
	v_add_f64_e32 v[4:5], v[6:7], v[4:5]
	v_add_f64_e32 v[6:7], v[10:11], v[138:139]
	s_delay_alu instid0(VALU_DEP_2) | instskip(NEXT) | instid1(VALU_DEP_2)
	v_add_f64_e64 v[4:5], v[174:175], -v[4:5]
	v_add_f64_e64 v[6:7], v[176:177], -v[6:7]
	scratch_store_b128 off, v[4:7], off offset:416
	s_wait_xcnt 0x0
	v_cmpx_lt_u32_e32 25, v1
	s_cbranch_execz .LBB59_323
; %bb.322:
	scratch_load_b128 v[10:13], off, s44
	v_dual_mov_b32 v3, v2 :: v_dual_mov_b32 v4, v2
	v_mov_b32_e32 v5, v2
	scratch_store_b128 off, v[2:5], off offset:400
	s_wait_loadcnt 0x0
	ds_store_b128 v8, v[10:13]
.LBB59_323:
	s_wait_xcnt 0x0
	s_or_b32 exec_lo, exec_lo, s2
	s_wait_storecnt_dscnt 0x0
	s_barrier_signal -1
	s_barrier_wait -1
	s_clause 0x9
	scratch_load_b128 v[4:7], off, off offset:416
	scratch_load_b128 v[10:13], off, off offset:432
	;; [unrolled: 1-line block ×10, first 2 shown]
	ds_load_b128 v[166:169], v2 offset:1376
	ds_load_b128 v[174:177], v2 offset:1392
	s_clause 0x2
	scratch_load_b128 v[170:173], off, off offset:576
	scratch_load_b128 v[178:181], off, off offset:400
	;; [unrolled: 1-line block ×3, first 2 shown]
	s_mov_b32 s2, exec_lo
	s_wait_loadcnt_dscnt 0xc01
	v_mul_f64_e32 v[186:187], v[168:169], v[6:7]
	v_mul_f64_e32 v[190:191], v[166:167], v[6:7]
	s_wait_loadcnt_dscnt 0xb00
	v_mul_f64_e32 v[192:193], v[174:175], v[12:13]
	v_mul_f64_e32 v[12:13], v[176:177], v[12:13]
	s_delay_alu instid0(VALU_DEP_4) | instskip(NEXT) | instid1(VALU_DEP_4)
	v_fma_f64 v[194:195], v[166:167], v[4:5], -v[186:187]
	v_fmac_f64_e32 v[190:191], v[168:169], v[4:5]
	ds_load_b128 v[4:7], v2 offset:1408
	ds_load_b128 v[166:169], v2 offset:1424
	scratch_load_b128 v[186:189], off, off offset:608
	v_fmac_f64_e32 v[192:193], v[176:177], v[10:11]
	v_fma_f64 v[174:175], v[174:175], v[10:11], -v[12:13]
	scratch_load_b128 v[10:13], off, off offset:624
	s_wait_loadcnt_dscnt 0xc01
	v_mul_f64_e32 v[196:197], v[4:5], v[136:137]
	v_mul_f64_e32 v[136:137], v[6:7], v[136:137]
	v_add_f64_e32 v[176:177], 0, v[194:195]
	v_add_f64_e32 v[190:191], 0, v[190:191]
	s_wait_loadcnt_dscnt 0xb00
	v_mul_f64_e32 v[194:195], v[166:167], v[140:141]
	v_mul_f64_e32 v[140:141], v[168:169], v[140:141]
	v_fmac_f64_e32 v[196:197], v[6:7], v[134:135]
	v_fma_f64 v[198:199], v[4:5], v[134:135], -v[136:137]
	ds_load_b128 v[4:7], v2 offset:1440
	ds_load_b128 v[134:137], v2 offset:1456
	v_add_f64_e32 v[200:201], v[176:177], v[174:175]
	v_add_f64_e32 v[190:191], v[190:191], v[192:193]
	scratch_load_b128 v[174:177], off, off offset:640
	v_fmac_f64_e32 v[194:195], v[168:169], v[138:139]
	v_fma_f64 v[166:167], v[166:167], v[138:139], -v[140:141]
	scratch_load_b128 v[138:141], off, off offset:656
	s_wait_loadcnt_dscnt 0xc01
	v_mul_f64_e32 v[192:193], v[4:5], v[144:145]
	v_mul_f64_e32 v[144:145], v[6:7], v[144:145]
	v_add_f64_e32 v[168:169], v[200:201], v[198:199]
	v_add_f64_e32 v[190:191], v[190:191], v[196:197]
	s_wait_loadcnt_dscnt 0xb00
	v_mul_f64_e32 v[196:197], v[134:135], v[148:149]
	v_mul_f64_e32 v[148:149], v[136:137], v[148:149]
	v_fmac_f64_e32 v[192:193], v[6:7], v[142:143]
	v_fma_f64 v[198:199], v[4:5], v[142:143], -v[144:145]
	ds_load_b128 v[4:7], v2 offset:1472
	ds_load_b128 v[142:145], v2 offset:1488
	v_add_f64_e32 v[200:201], v[168:169], v[166:167]
	v_add_f64_e32 v[190:191], v[190:191], v[194:195]
	scratch_load_b128 v[166:169], off, off offset:672
	s_wait_loadcnt_dscnt 0xb01
	v_mul_f64_e32 v[194:195], v[4:5], v[152:153]
	v_mul_f64_e32 v[152:153], v[6:7], v[152:153]
	v_fmac_f64_e32 v[196:197], v[136:137], v[146:147]
	v_fma_f64 v[146:147], v[134:135], v[146:147], -v[148:149]
	scratch_load_b128 v[134:137], off, off offset:688
	v_add_f64_e32 v[148:149], v[200:201], v[198:199]
	v_add_f64_e32 v[190:191], v[190:191], v[192:193]
	s_wait_loadcnt_dscnt 0xb00
	v_mul_f64_e32 v[192:193], v[142:143], v[156:157]
	v_mul_f64_e32 v[156:157], v[144:145], v[156:157]
	v_fmac_f64_e32 v[194:195], v[6:7], v[150:151]
	v_fma_f64 v[198:199], v[4:5], v[150:151], -v[152:153]
	v_add_f64_e32 v[200:201], v[148:149], v[146:147]
	v_add_f64_e32 v[190:191], v[190:191], v[196:197]
	ds_load_b128 v[4:7], v2 offset:1504
	ds_load_b128 v[146:149], v2 offset:1520
	scratch_load_b128 v[150:153], off, off offset:704
	v_fmac_f64_e32 v[192:193], v[144:145], v[154:155]
	v_fma_f64 v[154:155], v[142:143], v[154:155], -v[156:157]
	scratch_load_b128 v[142:145], off, off offset:720
	s_wait_loadcnt_dscnt 0xc01
	v_mul_f64_e32 v[196:197], v[4:5], v[160:161]
	v_mul_f64_e32 v[160:161], v[6:7], v[160:161]
	v_add_f64_e32 v[156:157], v[200:201], v[198:199]
	v_add_f64_e32 v[190:191], v[190:191], v[194:195]
	s_wait_loadcnt_dscnt 0xb00
	v_mul_f64_e32 v[194:195], v[146:147], v[164:165]
	v_mul_f64_e32 v[164:165], v[148:149], v[164:165]
	v_fmac_f64_e32 v[196:197], v[6:7], v[158:159]
	v_fma_f64 v[198:199], v[4:5], v[158:159], -v[160:161]
	v_add_f64_e32 v[200:201], v[156:157], v[154:155]
	v_add_f64_e32 v[190:191], v[190:191], v[192:193]
	ds_load_b128 v[4:7], v2 offset:1536
	ds_load_b128 v[154:157], v2 offset:1552
	scratch_load_b128 v[158:161], off, off offset:736
	v_fmac_f64_e32 v[194:195], v[148:149], v[162:163]
	v_fma_f64 v[162:163], v[146:147], v[162:163], -v[164:165]
	scratch_load_b128 v[146:149], off, off offset:752
	s_wait_loadcnt_dscnt 0xc01
	v_mul_f64_e32 v[192:193], v[4:5], v[172:173]
	v_mul_f64_e32 v[172:173], v[6:7], v[172:173]
	;; [unrolled: 18-line block ×5, first 2 shown]
	v_add_f64_e32 v[184:185], v[200:201], v[198:199]
	v_add_f64_e32 v[190:191], v[190:191], v[196:197]
	s_wait_loadcnt_dscnt 0xa00
	v_mul_f64_e32 v[196:197], v[162:163], v[136:137]
	v_mul_f64_e32 v[136:137], v[164:165], v[136:137]
	v_fmac_f64_e32 v[192:193], v[6:7], v[166:167]
	v_fma_f64 v[198:199], v[4:5], v[166:167], -v[168:169]
	ds_load_b128 v[4:7], v2 offset:1664
	ds_load_b128 v[166:169], v2 offset:1680
	v_add_f64_e32 v[200:201], v[184:185], v[182:183]
	v_add_f64_e32 v[190:191], v[190:191], v[194:195]
	scratch_load_b128 v[182:185], off, off offset:864
	v_fmac_f64_e32 v[196:197], v[164:165], v[134:135]
	v_fma_f64 v[162:163], v[162:163], v[134:135], -v[136:137]
	scratch_load_b128 v[134:137], off, off offset:880
	s_wait_loadcnt_dscnt 0xb01
	v_mul_f64_e32 v[194:195], v[4:5], v[152:153]
	v_mul_f64_e32 v[152:153], v[6:7], v[152:153]
	v_add_f64_e32 v[164:165], v[200:201], v[198:199]
	v_add_f64_e32 v[190:191], v[190:191], v[192:193]
	s_wait_loadcnt_dscnt 0xa00
	v_mul_f64_e32 v[192:193], v[166:167], v[144:145]
	v_mul_f64_e32 v[144:145], v[168:169], v[144:145]
	v_fmac_f64_e32 v[194:195], v[6:7], v[150:151]
	v_fma_f64 v[198:199], v[4:5], v[150:151], -v[152:153]
	ds_load_b128 v[4:7], v2 offset:1696
	ds_load_b128 v[150:153], v2 offset:1712
	v_add_f64_e32 v[200:201], v[164:165], v[162:163]
	v_add_f64_e32 v[190:191], v[190:191], v[196:197]
	scratch_load_b128 v[162:165], off, off offset:896
	s_wait_loadcnt_dscnt 0xa01
	v_mul_f64_e32 v[196:197], v[4:5], v[160:161]
	v_mul_f64_e32 v[160:161], v[6:7], v[160:161]
	v_fmac_f64_e32 v[192:193], v[168:169], v[142:143]
	v_fma_f64 v[166:167], v[166:167], v[142:143], -v[144:145]
	scratch_load_b128 v[142:145], off, off offset:912
	v_add_f64_e32 v[168:169], v[200:201], v[198:199]
	v_add_f64_e32 v[190:191], v[190:191], v[194:195]
	s_wait_loadcnt_dscnt 0xa00
	v_mul_f64_e32 v[194:195], v[150:151], v[148:149]
	v_mul_f64_e32 v[148:149], v[152:153], v[148:149]
	v_fmac_f64_e32 v[196:197], v[6:7], v[158:159]
	v_fma_f64 v[198:199], v[4:5], v[158:159], -v[160:161]
	ds_load_b128 v[4:7], v2 offset:1728
	ds_load_b128 v[158:161], v2 offset:1744
	v_add_f64_e32 v[200:201], v[168:169], v[166:167]
	v_add_f64_e32 v[190:191], v[190:191], v[192:193]
	scratch_load_b128 v[166:169], off, off offset:928
	s_wait_loadcnt_dscnt 0xa01
	v_mul_f64_e32 v[192:193], v[4:5], v[172:173]
	v_mul_f64_e32 v[172:173], v[6:7], v[172:173]
	v_fmac_f64_e32 v[194:195], v[152:153], v[146:147]
	v_fma_f64 v[150:151], v[150:151], v[146:147], -v[148:149]
	scratch_load_b128 v[146:149], off, off offset:944
	v_add_f64_e32 v[152:153], v[200:201], v[198:199]
	v_add_f64_e32 v[190:191], v[190:191], v[196:197]
	s_wait_loadcnt_dscnt 0xa00
	v_mul_f64_e32 v[196:197], v[158:159], v[156:157]
	v_mul_f64_e32 v[156:157], v[160:161], v[156:157]
	v_fmac_f64_e32 v[192:193], v[6:7], v[170:171]
	v_fma_f64 v[170:171], v[4:5], v[170:171], -v[172:173]
	v_add_f64_e32 v[172:173], v[152:153], v[150:151]
	v_add_f64_e32 v[190:191], v[190:191], v[194:195]
	ds_load_b128 v[4:7], v2 offset:1760
	ds_load_b128 v[150:153], v2 offset:1776
	v_fmac_f64_e32 v[196:197], v[160:161], v[154:155]
	v_fma_f64 v[154:155], v[158:159], v[154:155], -v[156:157]
	s_wait_loadcnt_dscnt 0x901
	v_mul_f64_e32 v[194:195], v[4:5], v[188:189]
	v_mul_f64_e32 v[188:189], v[6:7], v[188:189]
	s_wait_loadcnt_dscnt 0x800
	v_mul_f64_e32 v[160:161], v[150:151], v[12:13]
	v_mul_f64_e32 v[12:13], v[152:153], v[12:13]
	v_add_f64_e32 v[156:157], v[172:173], v[170:171]
	v_add_f64_e32 v[158:159], v[190:191], v[192:193]
	v_fmac_f64_e32 v[194:195], v[6:7], v[186:187]
	v_fma_f64 v[170:171], v[4:5], v[186:187], -v[188:189]
	v_fmac_f64_e32 v[160:161], v[152:153], v[10:11]
	v_fma_f64 v[10:11], v[150:151], v[10:11], -v[12:13]
	v_add_f64_e32 v[172:173], v[156:157], v[154:155]
	v_add_f64_e32 v[158:159], v[158:159], v[196:197]
	ds_load_b128 v[4:7], v2 offset:1792
	ds_load_b128 v[154:157], v2 offset:1808
	s_wait_loadcnt_dscnt 0x701
	v_mul_f64_e32 v[186:187], v[4:5], v[176:177]
	v_mul_f64_e32 v[176:177], v[6:7], v[176:177]
	s_wait_loadcnt_dscnt 0x600
	v_mul_f64_e32 v[152:153], v[154:155], v[140:141]
	v_mul_f64_e32 v[140:141], v[156:157], v[140:141]
	v_add_f64_e32 v[12:13], v[172:173], v[170:171]
	v_add_f64_e32 v[150:151], v[158:159], v[194:195]
	v_fmac_f64_e32 v[186:187], v[6:7], v[174:175]
	v_fma_f64 v[158:159], v[4:5], v[174:175], -v[176:177]
	v_fmac_f64_e32 v[152:153], v[156:157], v[138:139]
	v_fma_f64 v[138:139], v[154:155], v[138:139], -v[140:141]
	v_add_f64_e32 v[170:171], v[12:13], v[10:11]
	v_add_f64_e32 v[150:151], v[150:151], v[160:161]
	ds_load_b128 v[4:7], v2 offset:1824
	ds_load_b128 v[10:13], v2 offset:1840
	;; [unrolled: 16-line block ×3, first 2 shown]
	s_wait_loadcnt_dscnt 0x301
	v_mul_f64_e32 v[152:153], v[4:5], v[164:165]
	v_mul_f64_e32 v[164:165], v[6:7], v[164:165]
	v_add_f64_e32 v[12:13], v[140:141], v[158:159]
	v_add_f64_e32 v[134:135], v[150:151], v[160:161]
	s_wait_loadcnt_dscnt 0x200
	v_mul_f64_e32 v[140:141], v[136:137], v[144:145]
	v_mul_f64_e32 v[144:145], v[138:139], v[144:145]
	v_fmac_f64_e32 v[152:153], v[6:7], v[162:163]
	v_fma_f64 v[150:151], v[4:5], v[162:163], -v[164:165]
	v_add_f64_e32 v[156:157], v[12:13], v[10:11]
	v_add_f64_e32 v[134:135], v[134:135], v[154:155]
	ds_load_b128 v[4:7], v2 offset:1888
	ds_load_b128 v[10:13], v2 offset:1904
	v_fmac_f64_e32 v[140:141], v[138:139], v[142:143]
	v_fma_f64 v[136:137], v[136:137], v[142:143], -v[144:145]
	s_wait_loadcnt_dscnt 0x101
	v_mul_f64_e32 v[2:3], v[4:5], v[168:169]
	v_mul_f64_e32 v[154:155], v[6:7], v[168:169]
	s_wait_loadcnt_dscnt 0x0
	v_mul_f64_e32 v[142:143], v[10:11], v[148:149]
	v_mul_f64_e32 v[144:145], v[12:13], v[148:149]
	v_add_f64_e32 v[138:139], v[156:157], v[150:151]
	v_add_f64_e32 v[134:135], v[134:135], v[152:153]
	v_fmac_f64_e32 v[2:3], v[6:7], v[166:167]
	v_fma_f64 v[4:5], v[4:5], v[166:167], -v[154:155]
	v_fmac_f64_e32 v[142:143], v[12:13], v[146:147]
	v_fma_f64 v[10:11], v[10:11], v[146:147], -v[144:145]
	v_add_f64_e32 v[6:7], v[138:139], v[136:137]
	v_add_f64_e32 v[134:135], v[134:135], v[140:141]
	s_delay_alu instid0(VALU_DEP_2) | instskip(NEXT) | instid1(VALU_DEP_2)
	v_add_f64_e32 v[4:5], v[6:7], v[4:5]
	v_add_f64_e32 v[2:3], v[134:135], v[2:3]
	s_delay_alu instid0(VALU_DEP_2) | instskip(NEXT) | instid1(VALU_DEP_2)
	v_add_f64_e32 v[4:5], v[4:5], v[10:11]
	v_add_f64_e32 v[6:7], v[2:3], v[142:143]
	s_delay_alu instid0(VALU_DEP_2) | instskip(NEXT) | instid1(VALU_DEP_2)
	v_add_f64_e64 v[2:3], v[178:179], -v[4:5]
	v_add_f64_e64 v[4:5], v[180:181], -v[6:7]
	scratch_store_b128 off, v[2:5], off offset:400
	s_wait_xcnt 0x0
	v_cmpx_lt_u32_e32 24, v1
	s_cbranch_execz .LBB59_325
; %bb.324:
	scratch_load_b128 v[2:5], off, s42
	v_mov_b32_e32 v10, 0
	s_delay_alu instid0(VALU_DEP_1)
	v_dual_mov_b32 v11, v10 :: v_dual_mov_b32 v12, v10
	v_mov_b32_e32 v13, v10
	scratch_store_b128 off, v[10:13], off offset:384
	s_wait_loadcnt 0x0
	ds_store_b128 v8, v[2:5]
.LBB59_325:
	s_wait_xcnt 0x0
	s_or_b32 exec_lo, exec_lo, s2
	s_wait_storecnt_dscnt 0x0
	s_barrier_signal -1
	s_barrier_wait -1
	s_clause 0x9
	scratch_load_b128 v[4:7], off, off offset:400
	scratch_load_b128 v[10:13], off, off offset:416
	;; [unrolled: 1-line block ×10, first 2 shown]
	v_mov_b32_e32 v2, 0
	s_mov_b32 s2, exec_lo
	ds_load_b128 v[166:169], v2 offset:1360
	s_clause 0x2
	scratch_load_b128 v[170:173], off, off offset:560
	scratch_load_b128 v[174:177], off, off offset:384
	;; [unrolled: 1-line block ×3, first 2 shown]
	s_wait_loadcnt_dscnt 0xc00
	v_mul_f64_e32 v[186:187], v[168:169], v[6:7]
	v_mul_f64_e32 v[190:191], v[166:167], v[6:7]
	ds_load_b128 v[178:181], v2 offset:1376
	v_fma_f64 v[194:195], v[166:167], v[4:5], -v[186:187]
	v_fmac_f64_e32 v[190:191], v[168:169], v[4:5]
	ds_load_b128 v[4:7], v2 offset:1392
	s_wait_loadcnt_dscnt 0xb01
	v_mul_f64_e32 v[192:193], v[178:179], v[12:13]
	v_mul_f64_e32 v[12:13], v[180:181], v[12:13]
	scratch_load_b128 v[166:169], off, off offset:592
	ds_load_b128 v[186:189], v2 offset:1408
	s_wait_loadcnt_dscnt 0xb01
	v_mul_f64_e32 v[196:197], v[4:5], v[136:137]
	v_mul_f64_e32 v[136:137], v[6:7], v[136:137]
	v_add_f64_e32 v[190:191], 0, v[190:191]
	v_fmac_f64_e32 v[192:193], v[180:181], v[10:11]
	v_fma_f64 v[178:179], v[178:179], v[10:11], -v[12:13]
	v_add_f64_e32 v[180:181], 0, v[194:195]
	scratch_load_b128 v[10:13], off, off offset:608
	v_fmac_f64_e32 v[196:197], v[6:7], v[134:135]
	v_fma_f64 v[198:199], v[4:5], v[134:135], -v[136:137]
	ds_load_b128 v[4:7], v2 offset:1424
	s_wait_loadcnt_dscnt 0xb01
	v_mul_f64_e32 v[194:195], v[186:187], v[140:141]
	v_mul_f64_e32 v[140:141], v[188:189], v[140:141]
	scratch_load_b128 v[134:137], off, off offset:624
	v_add_f64_e32 v[190:191], v[190:191], v[192:193]
	v_add_f64_e32 v[200:201], v[180:181], v[178:179]
	ds_load_b128 v[178:181], v2 offset:1440
	s_wait_loadcnt_dscnt 0xb01
	v_mul_f64_e32 v[192:193], v[4:5], v[144:145]
	v_mul_f64_e32 v[144:145], v[6:7], v[144:145]
	v_fmac_f64_e32 v[194:195], v[188:189], v[138:139]
	v_fma_f64 v[186:187], v[186:187], v[138:139], -v[140:141]
	scratch_load_b128 v[138:141], off, off offset:640
	v_add_f64_e32 v[190:191], v[190:191], v[196:197]
	v_add_f64_e32 v[188:189], v[200:201], v[198:199]
	v_fmac_f64_e32 v[192:193], v[6:7], v[142:143]
	v_fma_f64 v[198:199], v[4:5], v[142:143], -v[144:145]
	ds_load_b128 v[4:7], v2 offset:1456
	s_wait_loadcnt_dscnt 0xb01
	v_mul_f64_e32 v[196:197], v[178:179], v[148:149]
	v_mul_f64_e32 v[148:149], v[180:181], v[148:149]
	scratch_load_b128 v[142:145], off, off offset:656
	v_add_f64_e32 v[190:191], v[190:191], v[194:195]
	s_wait_loadcnt_dscnt 0xb00
	v_mul_f64_e32 v[194:195], v[4:5], v[152:153]
	v_add_f64_e32 v[200:201], v[188:189], v[186:187]
	v_mul_f64_e32 v[152:153], v[6:7], v[152:153]
	ds_load_b128 v[186:189], v2 offset:1472
	v_fmac_f64_e32 v[196:197], v[180:181], v[146:147]
	v_fma_f64 v[178:179], v[178:179], v[146:147], -v[148:149]
	scratch_load_b128 v[146:149], off, off offset:672
	v_add_f64_e32 v[190:191], v[190:191], v[192:193]
	v_fmac_f64_e32 v[194:195], v[6:7], v[150:151]
	v_add_f64_e32 v[180:181], v[200:201], v[198:199]
	v_fma_f64 v[198:199], v[4:5], v[150:151], -v[152:153]
	ds_load_b128 v[4:7], v2 offset:1488
	s_wait_loadcnt_dscnt 0xb01
	v_mul_f64_e32 v[192:193], v[186:187], v[156:157]
	v_mul_f64_e32 v[156:157], v[188:189], v[156:157]
	scratch_load_b128 v[150:153], off, off offset:688
	v_add_f64_e32 v[190:191], v[190:191], v[196:197]
	s_wait_loadcnt_dscnt 0xb00
	v_mul_f64_e32 v[196:197], v[4:5], v[160:161]
	v_add_f64_e32 v[200:201], v[180:181], v[178:179]
	v_mul_f64_e32 v[160:161], v[6:7], v[160:161]
	ds_load_b128 v[178:181], v2 offset:1504
	v_fmac_f64_e32 v[192:193], v[188:189], v[154:155]
	v_fma_f64 v[186:187], v[186:187], v[154:155], -v[156:157]
	scratch_load_b128 v[154:157], off, off offset:704
	v_add_f64_e32 v[190:191], v[190:191], v[194:195]
	v_fmac_f64_e32 v[196:197], v[6:7], v[158:159]
	v_add_f64_e32 v[188:189], v[200:201], v[198:199]
	;; [unrolled: 18-line block ×3, first 2 shown]
	v_fma_f64 v[198:199], v[4:5], v[170:171], -v[172:173]
	ds_load_b128 v[4:7], v2 offset:1552
	s_wait_loadcnt_dscnt 0xa01
	v_mul_f64_e32 v[196:197], v[186:187], v[184:185]
	v_mul_f64_e32 v[184:185], v[188:189], v[184:185]
	scratch_load_b128 v[170:173], off, off offset:752
	v_add_f64_e32 v[190:191], v[190:191], v[194:195]
	v_add_f64_e32 v[200:201], v[180:181], v[178:179]
	s_wait_loadcnt_dscnt 0xa00
	v_mul_f64_e32 v[194:195], v[4:5], v[168:169]
	v_mul_f64_e32 v[168:169], v[6:7], v[168:169]
	v_fmac_f64_e32 v[196:197], v[188:189], v[182:183]
	v_fma_f64 v[186:187], v[186:187], v[182:183], -v[184:185]
	ds_load_b128 v[178:181], v2 offset:1568
	scratch_load_b128 v[182:185], off, off offset:768
	v_add_f64_e32 v[190:191], v[190:191], v[192:193]
	v_add_f64_e32 v[188:189], v[200:201], v[198:199]
	v_fmac_f64_e32 v[194:195], v[6:7], v[166:167]
	v_fma_f64 v[198:199], v[4:5], v[166:167], -v[168:169]
	ds_load_b128 v[4:7], v2 offset:1584
	s_wait_loadcnt_dscnt 0xa01
	v_mul_f64_e32 v[192:193], v[178:179], v[12:13]
	v_mul_f64_e32 v[12:13], v[180:181], v[12:13]
	scratch_load_b128 v[166:169], off, off offset:784
	v_add_f64_e32 v[190:191], v[190:191], v[196:197]
	s_wait_loadcnt_dscnt 0xa00
	v_mul_f64_e32 v[196:197], v[4:5], v[136:137]
	v_add_f64_e32 v[200:201], v[188:189], v[186:187]
	v_mul_f64_e32 v[136:137], v[6:7], v[136:137]
	ds_load_b128 v[186:189], v2 offset:1600
	v_fmac_f64_e32 v[192:193], v[180:181], v[10:11]
	v_fma_f64 v[178:179], v[178:179], v[10:11], -v[12:13]
	scratch_load_b128 v[10:13], off, off offset:800
	v_add_f64_e32 v[190:191], v[190:191], v[194:195]
	v_fmac_f64_e32 v[196:197], v[6:7], v[134:135]
	v_add_f64_e32 v[180:181], v[200:201], v[198:199]
	v_fma_f64 v[198:199], v[4:5], v[134:135], -v[136:137]
	ds_load_b128 v[4:7], v2 offset:1616
	s_wait_loadcnt_dscnt 0xa01
	v_mul_f64_e32 v[194:195], v[186:187], v[140:141]
	v_mul_f64_e32 v[140:141], v[188:189], v[140:141]
	scratch_load_b128 v[134:137], off, off offset:816
	v_add_f64_e32 v[190:191], v[190:191], v[192:193]
	s_wait_loadcnt_dscnt 0xa00
	v_mul_f64_e32 v[192:193], v[4:5], v[144:145]
	v_add_f64_e32 v[200:201], v[180:181], v[178:179]
	v_mul_f64_e32 v[144:145], v[6:7], v[144:145]
	ds_load_b128 v[178:181], v2 offset:1632
	v_fmac_f64_e32 v[194:195], v[188:189], v[138:139]
	v_fma_f64 v[186:187], v[186:187], v[138:139], -v[140:141]
	scratch_load_b128 v[138:141], off, off offset:832
	v_add_f64_e32 v[190:191], v[190:191], v[196:197]
	v_fmac_f64_e32 v[192:193], v[6:7], v[142:143]
	v_add_f64_e32 v[188:189], v[200:201], v[198:199]
	;; [unrolled: 18-line block ×5, first 2 shown]
	v_fma_f64 v[198:199], v[4:5], v[170:171], -v[172:173]
	ds_load_b128 v[4:7], v2 offset:1744
	s_wait_loadcnt_dscnt 0xa01
	v_mul_f64_e32 v[196:197], v[186:187], v[184:185]
	v_mul_f64_e32 v[184:185], v[188:189], v[184:185]
	scratch_load_b128 v[170:173], off, off offset:944
	v_add_f64_e32 v[190:191], v[190:191], v[194:195]
	s_wait_loadcnt_dscnt 0xa00
	v_mul_f64_e32 v[194:195], v[4:5], v[168:169]
	v_add_f64_e32 v[200:201], v[180:181], v[178:179]
	v_mul_f64_e32 v[168:169], v[6:7], v[168:169]
	ds_load_b128 v[178:181], v2 offset:1760
	v_fmac_f64_e32 v[196:197], v[188:189], v[182:183]
	v_fma_f64 v[182:183], v[186:187], v[182:183], -v[184:185]
	s_wait_loadcnt_dscnt 0x900
	v_mul_f64_e32 v[188:189], v[178:179], v[12:13]
	v_mul_f64_e32 v[12:13], v[180:181], v[12:13]
	v_add_f64_e32 v[186:187], v[190:191], v[192:193]
	v_fmac_f64_e32 v[194:195], v[6:7], v[166:167]
	v_add_f64_e32 v[184:185], v[200:201], v[198:199]
	v_fma_f64 v[190:191], v[4:5], v[166:167], -v[168:169]
	ds_load_b128 v[4:7], v2 offset:1776
	ds_load_b128 v[166:169], v2 offset:1792
	v_fmac_f64_e32 v[188:189], v[180:181], v[10:11]
	v_fma_f64 v[10:11], v[178:179], v[10:11], -v[12:13]
	v_add_f64_e32 v[182:183], v[184:185], v[182:183]
	v_add_f64_e32 v[184:185], v[186:187], v[196:197]
	s_wait_loadcnt_dscnt 0x801
	v_mul_f64_e32 v[186:187], v[4:5], v[136:137]
	v_mul_f64_e32 v[136:137], v[6:7], v[136:137]
	s_wait_loadcnt_dscnt 0x700
	v_mul_f64_e32 v[180:181], v[166:167], v[140:141]
	v_mul_f64_e32 v[140:141], v[168:169], v[140:141]
	v_add_f64_e32 v[12:13], v[182:183], v[190:191]
	v_add_f64_e32 v[178:179], v[184:185], v[194:195]
	v_fmac_f64_e32 v[186:187], v[6:7], v[134:135]
	v_fma_f64 v[134:135], v[4:5], v[134:135], -v[136:137]
	v_fmac_f64_e32 v[180:181], v[168:169], v[138:139]
	v_fma_f64 v[138:139], v[166:167], v[138:139], -v[140:141]
	v_add_f64_e32 v[136:137], v[12:13], v[10:11]
	v_add_f64_e32 v[178:179], v[178:179], v[188:189]
	ds_load_b128 v[4:7], v2 offset:1808
	ds_load_b128 v[10:13], v2 offset:1824
	s_wait_loadcnt_dscnt 0x601
	v_mul_f64_e32 v[182:183], v[4:5], v[144:145]
	v_mul_f64_e32 v[144:145], v[6:7], v[144:145]
	s_wait_loadcnt_dscnt 0x500
	v_mul_f64_e32 v[140:141], v[10:11], v[148:149]
	v_mul_f64_e32 v[148:149], v[12:13], v[148:149]
	v_add_f64_e32 v[134:135], v[136:137], v[134:135]
	v_add_f64_e32 v[136:137], v[178:179], v[186:187]
	v_fmac_f64_e32 v[182:183], v[6:7], v[142:143]
	v_fma_f64 v[142:143], v[4:5], v[142:143], -v[144:145]
	v_fmac_f64_e32 v[140:141], v[12:13], v[146:147]
	v_fma_f64 v[10:11], v[10:11], v[146:147], -v[148:149]
	v_add_f64_e32 v[138:139], v[134:135], v[138:139]
	v_add_f64_e32 v[144:145], v[136:137], v[180:181]
	ds_load_b128 v[4:7], v2 offset:1840
	ds_load_b128 v[134:137], v2 offset:1856
	s_wait_loadcnt_dscnt 0x401
	v_mul_f64_e32 v[166:167], v[4:5], v[152:153]
	v_mul_f64_e32 v[152:153], v[6:7], v[152:153]
	v_add_f64_e32 v[12:13], v[138:139], v[142:143]
	v_add_f64_e32 v[138:139], v[144:145], v[182:183]
	s_wait_loadcnt_dscnt 0x300
	v_mul_f64_e32 v[142:143], v[134:135], v[156:157]
	v_mul_f64_e32 v[144:145], v[136:137], v[156:157]
	v_fmac_f64_e32 v[166:167], v[6:7], v[150:151]
	v_fma_f64 v[146:147], v[4:5], v[150:151], -v[152:153]
	v_add_f64_e32 v[148:149], v[12:13], v[10:11]
	v_add_f64_e32 v[138:139], v[138:139], v[140:141]
	ds_load_b128 v[4:7], v2 offset:1872
	ds_load_b128 v[10:13], v2 offset:1888
	v_fmac_f64_e32 v[142:143], v[136:137], v[154:155]
	v_fma_f64 v[134:135], v[134:135], v[154:155], -v[144:145]
	s_wait_loadcnt_dscnt 0x201
	v_mul_f64_e32 v[140:141], v[4:5], v[160:161]
	v_mul_f64_e32 v[150:151], v[6:7], v[160:161]
	s_wait_loadcnt_dscnt 0x100
	v_mul_f64_e32 v[144:145], v[10:11], v[164:165]
	v_add_f64_e32 v[136:137], v[148:149], v[146:147]
	v_add_f64_e32 v[138:139], v[138:139], v[166:167]
	v_mul_f64_e32 v[146:147], v[12:13], v[164:165]
	v_fmac_f64_e32 v[140:141], v[6:7], v[158:159]
	v_fma_f64 v[148:149], v[4:5], v[158:159], -v[150:151]
	ds_load_b128 v[4:7], v2 offset:1904
	v_fmac_f64_e32 v[144:145], v[12:13], v[162:163]
	v_add_f64_e32 v[134:135], v[136:137], v[134:135]
	v_add_f64_e32 v[136:137], v[138:139], v[142:143]
	v_fma_f64 v[10:11], v[10:11], v[162:163], -v[146:147]
	s_wait_loadcnt_dscnt 0x0
	v_mul_f64_e32 v[138:139], v[4:5], v[172:173]
	v_mul_f64_e32 v[142:143], v[6:7], v[172:173]
	v_add_f64_e32 v[12:13], v[134:135], v[148:149]
	v_add_f64_e32 v[134:135], v[136:137], v[140:141]
	s_delay_alu instid0(VALU_DEP_4) | instskip(NEXT) | instid1(VALU_DEP_4)
	v_fmac_f64_e32 v[138:139], v[6:7], v[170:171]
	v_fma_f64 v[4:5], v[4:5], v[170:171], -v[142:143]
	s_delay_alu instid0(VALU_DEP_4) | instskip(NEXT) | instid1(VALU_DEP_4)
	v_add_f64_e32 v[6:7], v[12:13], v[10:11]
	v_add_f64_e32 v[10:11], v[134:135], v[144:145]
	s_delay_alu instid0(VALU_DEP_2) | instskip(NEXT) | instid1(VALU_DEP_2)
	v_add_f64_e32 v[4:5], v[6:7], v[4:5]
	v_add_f64_e32 v[6:7], v[10:11], v[138:139]
	s_delay_alu instid0(VALU_DEP_2) | instskip(NEXT) | instid1(VALU_DEP_2)
	v_add_f64_e64 v[4:5], v[174:175], -v[4:5]
	v_add_f64_e64 v[6:7], v[176:177], -v[6:7]
	scratch_store_b128 off, v[4:7], off offset:384
	s_wait_xcnt 0x0
	v_cmpx_lt_u32_e32 23, v1
	s_cbranch_execz .LBB59_327
; %bb.326:
	scratch_load_b128 v[10:13], off, s65
	v_dual_mov_b32 v3, v2 :: v_dual_mov_b32 v4, v2
	v_mov_b32_e32 v5, v2
	scratch_store_b128 off, v[2:5], off offset:368
	s_wait_loadcnt 0x0
	ds_store_b128 v8, v[10:13]
.LBB59_327:
	s_wait_xcnt 0x0
	s_or_b32 exec_lo, exec_lo, s2
	s_wait_storecnt_dscnt 0x0
	s_barrier_signal -1
	s_barrier_wait -1
	s_clause 0x9
	scratch_load_b128 v[4:7], off, off offset:384
	scratch_load_b128 v[10:13], off, off offset:400
	;; [unrolled: 1-line block ×10, first 2 shown]
	ds_load_b128 v[166:169], v2 offset:1344
	ds_load_b128 v[174:177], v2 offset:1360
	s_clause 0x2
	scratch_load_b128 v[170:173], off, off offset:544
	scratch_load_b128 v[178:181], off, off offset:368
	;; [unrolled: 1-line block ×3, first 2 shown]
	s_mov_b32 s2, exec_lo
	s_wait_loadcnt_dscnt 0xc01
	v_mul_f64_e32 v[186:187], v[168:169], v[6:7]
	v_mul_f64_e32 v[190:191], v[166:167], v[6:7]
	s_wait_loadcnt_dscnt 0xb00
	v_mul_f64_e32 v[192:193], v[174:175], v[12:13]
	v_mul_f64_e32 v[12:13], v[176:177], v[12:13]
	s_delay_alu instid0(VALU_DEP_4) | instskip(NEXT) | instid1(VALU_DEP_4)
	v_fma_f64 v[194:195], v[166:167], v[4:5], -v[186:187]
	v_fmac_f64_e32 v[190:191], v[168:169], v[4:5]
	ds_load_b128 v[4:7], v2 offset:1376
	ds_load_b128 v[166:169], v2 offset:1392
	scratch_load_b128 v[186:189], off, off offset:576
	v_fmac_f64_e32 v[192:193], v[176:177], v[10:11]
	v_fma_f64 v[174:175], v[174:175], v[10:11], -v[12:13]
	scratch_load_b128 v[10:13], off, off offset:592
	s_wait_loadcnt_dscnt 0xc01
	v_mul_f64_e32 v[196:197], v[4:5], v[136:137]
	v_mul_f64_e32 v[136:137], v[6:7], v[136:137]
	v_add_f64_e32 v[176:177], 0, v[194:195]
	v_add_f64_e32 v[190:191], 0, v[190:191]
	s_wait_loadcnt_dscnt 0xb00
	v_mul_f64_e32 v[194:195], v[166:167], v[140:141]
	v_mul_f64_e32 v[140:141], v[168:169], v[140:141]
	v_fmac_f64_e32 v[196:197], v[6:7], v[134:135]
	v_fma_f64 v[198:199], v[4:5], v[134:135], -v[136:137]
	ds_load_b128 v[4:7], v2 offset:1408
	ds_load_b128 v[134:137], v2 offset:1424
	v_add_f64_e32 v[200:201], v[176:177], v[174:175]
	v_add_f64_e32 v[190:191], v[190:191], v[192:193]
	scratch_load_b128 v[174:177], off, off offset:608
	v_fmac_f64_e32 v[194:195], v[168:169], v[138:139]
	v_fma_f64 v[166:167], v[166:167], v[138:139], -v[140:141]
	scratch_load_b128 v[138:141], off, off offset:624
	s_wait_loadcnt_dscnt 0xc01
	v_mul_f64_e32 v[192:193], v[4:5], v[144:145]
	v_mul_f64_e32 v[144:145], v[6:7], v[144:145]
	v_add_f64_e32 v[168:169], v[200:201], v[198:199]
	v_add_f64_e32 v[190:191], v[190:191], v[196:197]
	s_wait_loadcnt_dscnt 0xb00
	v_mul_f64_e32 v[196:197], v[134:135], v[148:149]
	v_mul_f64_e32 v[148:149], v[136:137], v[148:149]
	v_fmac_f64_e32 v[192:193], v[6:7], v[142:143]
	v_fma_f64 v[198:199], v[4:5], v[142:143], -v[144:145]
	ds_load_b128 v[4:7], v2 offset:1440
	ds_load_b128 v[142:145], v2 offset:1456
	v_add_f64_e32 v[200:201], v[168:169], v[166:167]
	v_add_f64_e32 v[190:191], v[190:191], v[194:195]
	scratch_load_b128 v[166:169], off, off offset:640
	s_wait_loadcnt_dscnt 0xb01
	v_mul_f64_e32 v[194:195], v[4:5], v[152:153]
	v_mul_f64_e32 v[152:153], v[6:7], v[152:153]
	v_fmac_f64_e32 v[196:197], v[136:137], v[146:147]
	v_fma_f64 v[146:147], v[134:135], v[146:147], -v[148:149]
	scratch_load_b128 v[134:137], off, off offset:656
	v_add_f64_e32 v[148:149], v[200:201], v[198:199]
	v_add_f64_e32 v[190:191], v[190:191], v[192:193]
	s_wait_loadcnt_dscnt 0xb00
	v_mul_f64_e32 v[192:193], v[142:143], v[156:157]
	v_mul_f64_e32 v[156:157], v[144:145], v[156:157]
	v_fmac_f64_e32 v[194:195], v[6:7], v[150:151]
	v_fma_f64 v[198:199], v[4:5], v[150:151], -v[152:153]
	v_add_f64_e32 v[200:201], v[148:149], v[146:147]
	v_add_f64_e32 v[190:191], v[190:191], v[196:197]
	ds_load_b128 v[4:7], v2 offset:1472
	ds_load_b128 v[146:149], v2 offset:1488
	scratch_load_b128 v[150:153], off, off offset:672
	v_fmac_f64_e32 v[192:193], v[144:145], v[154:155]
	v_fma_f64 v[154:155], v[142:143], v[154:155], -v[156:157]
	scratch_load_b128 v[142:145], off, off offset:688
	s_wait_loadcnt_dscnt 0xc01
	v_mul_f64_e32 v[196:197], v[4:5], v[160:161]
	v_mul_f64_e32 v[160:161], v[6:7], v[160:161]
	v_add_f64_e32 v[156:157], v[200:201], v[198:199]
	v_add_f64_e32 v[190:191], v[190:191], v[194:195]
	s_wait_loadcnt_dscnt 0xb00
	v_mul_f64_e32 v[194:195], v[146:147], v[164:165]
	v_mul_f64_e32 v[164:165], v[148:149], v[164:165]
	v_fmac_f64_e32 v[196:197], v[6:7], v[158:159]
	v_fma_f64 v[198:199], v[4:5], v[158:159], -v[160:161]
	v_add_f64_e32 v[200:201], v[156:157], v[154:155]
	v_add_f64_e32 v[190:191], v[190:191], v[192:193]
	ds_load_b128 v[4:7], v2 offset:1504
	ds_load_b128 v[154:157], v2 offset:1520
	scratch_load_b128 v[158:161], off, off offset:704
	v_fmac_f64_e32 v[194:195], v[148:149], v[162:163]
	v_fma_f64 v[162:163], v[146:147], v[162:163], -v[164:165]
	scratch_load_b128 v[146:149], off, off offset:720
	s_wait_loadcnt_dscnt 0xc01
	v_mul_f64_e32 v[192:193], v[4:5], v[172:173]
	v_mul_f64_e32 v[172:173], v[6:7], v[172:173]
	;; [unrolled: 18-line block ×5, first 2 shown]
	v_add_f64_e32 v[184:185], v[200:201], v[198:199]
	v_add_f64_e32 v[190:191], v[190:191], v[196:197]
	s_wait_loadcnt_dscnt 0xa00
	v_mul_f64_e32 v[196:197], v[162:163], v[136:137]
	v_mul_f64_e32 v[136:137], v[164:165], v[136:137]
	v_fmac_f64_e32 v[192:193], v[6:7], v[166:167]
	v_fma_f64 v[198:199], v[4:5], v[166:167], -v[168:169]
	ds_load_b128 v[4:7], v2 offset:1632
	ds_load_b128 v[166:169], v2 offset:1648
	v_add_f64_e32 v[200:201], v[184:185], v[182:183]
	v_add_f64_e32 v[190:191], v[190:191], v[194:195]
	scratch_load_b128 v[182:185], off, off offset:832
	v_fmac_f64_e32 v[196:197], v[164:165], v[134:135]
	v_fma_f64 v[162:163], v[162:163], v[134:135], -v[136:137]
	scratch_load_b128 v[134:137], off, off offset:848
	s_wait_loadcnt_dscnt 0xb01
	v_mul_f64_e32 v[194:195], v[4:5], v[152:153]
	v_mul_f64_e32 v[152:153], v[6:7], v[152:153]
	v_add_f64_e32 v[164:165], v[200:201], v[198:199]
	v_add_f64_e32 v[190:191], v[190:191], v[192:193]
	s_wait_loadcnt_dscnt 0xa00
	v_mul_f64_e32 v[192:193], v[166:167], v[144:145]
	v_mul_f64_e32 v[144:145], v[168:169], v[144:145]
	v_fmac_f64_e32 v[194:195], v[6:7], v[150:151]
	v_fma_f64 v[198:199], v[4:5], v[150:151], -v[152:153]
	ds_load_b128 v[4:7], v2 offset:1664
	ds_load_b128 v[150:153], v2 offset:1680
	v_add_f64_e32 v[200:201], v[164:165], v[162:163]
	v_add_f64_e32 v[190:191], v[190:191], v[196:197]
	scratch_load_b128 v[162:165], off, off offset:864
	s_wait_loadcnt_dscnt 0xa01
	v_mul_f64_e32 v[196:197], v[4:5], v[160:161]
	v_mul_f64_e32 v[160:161], v[6:7], v[160:161]
	v_fmac_f64_e32 v[192:193], v[168:169], v[142:143]
	v_fma_f64 v[166:167], v[166:167], v[142:143], -v[144:145]
	scratch_load_b128 v[142:145], off, off offset:880
	v_add_f64_e32 v[168:169], v[200:201], v[198:199]
	v_add_f64_e32 v[190:191], v[190:191], v[194:195]
	s_wait_loadcnt_dscnt 0xa00
	v_mul_f64_e32 v[194:195], v[150:151], v[148:149]
	v_mul_f64_e32 v[148:149], v[152:153], v[148:149]
	v_fmac_f64_e32 v[196:197], v[6:7], v[158:159]
	v_fma_f64 v[198:199], v[4:5], v[158:159], -v[160:161]
	ds_load_b128 v[4:7], v2 offset:1696
	ds_load_b128 v[158:161], v2 offset:1712
	v_add_f64_e32 v[200:201], v[168:169], v[166:167]
	v_add_f64_e32 v[190:191], v[190:191], v[192:193]
	scratch_load_b128 v[166:169], off, off offset:896
	s_wait_loadcnt_dscnt 0xa01
	v_mul_f64_e32 v[192:193], v[4:5], v[172:173]
	v_mul_f64_e32 v[172:173], v[6:7], v[172:173]
	v_fmac_f64_e32 v[194:195], v[152:153], v[146:147]
	v_fma_f64 v[150:151], v[150:151], v[146:147], -v[148:149]
	scratch_load_b128 v[146:149], off, off offset:912
	v_add_f64_e32 v[152:153], v[200:201], v[198:199]
	v_add_f64_e32 v[190:191], v[190:191], v[196:197]
	s_wait_loadcnt_dscnt 0xa00
	v_mul_f64_e32 v[196:197], v[158:159], v[156:157]
	v_mul_f64_e32 v[156:157], v[160:161], v[156:157]
	v_fmac_f64_e32 v[192:193], v[6:7], v[170:171]
	v_fma_f64 v[198:199], v[4:5], v[170:171], -v[172:173]
	v_add_f64_e32 v[200:201], v[152:153], v[150:151]
	v_add_f64_e32 v[190:191], v[190:191], v[194:195]
	ds_load_b128 v[4:7], v2 offset:1728
	ds_load_b128 v[150:153], v2 offset:1744
	scratch_load_b128 v[170:173], off, off offset:928
	v_fmac_f64_e32 v[196:197], v[160:161], v[154:155]
	v_fma_f64 v[158:159], v[158:159], v[154:155], -v[156:157]
	scratch_load_b128 v[154:157], off, off offset:944
	s_wait_loadcnt_dscnt 0xb01
	v_mul_f64_e32 v[194:195], v[4:5], v[188:189]
	v_mul_f64_e32 v[188:189], v[6:7], v[188:189]
	v_add_f64_e32 v[160:161], v[200:201], v[198:199]
	v_add_f64_e32 v[190:191], v[190:191], v[192:193]
	s_wait_loadcnt_dscnt 0xa00
	v_mul_f64_e32 v[192:193], v[150:151], v[12:13]
	v_mul_f64_e32 v[12:13], v[152:153], v[12:13]
	v_fmac_f64_e32 v[194:195], v[6:7], v[186:187]
	v_fma_f64 v[186:187], v[4:5], v[186:187], -v[188:189]
	v_add_f64_e32 v[188:189], v[160:161], v[158:159]
	v_add_f64_e32 v[190:191], v[190:191], v[196:197]
	ds_load_b128 v[4:7], v2 offset:1760
	ds_load_b128 v[158:161], v2 offset:1776
	v_fmac_f64_e32 v[192:193], v[152:153], v[10:11]
	v_fma_f64 v[10:11], v[150:151], v[10:11], -v[12:13]
	s_wait_loadcnt_dscnt 0x901
	v_mul_f64_e32 v[196:197], v[4:5], v[176:177]
	v_mul_f64_e32 v[176:177], v[6:7], v[176:177]
	s_wait_loadcnt_dscnt 0x800
	v_mul_f64_e32 v[152:153], v[158:159], v[140:141]
	v_mul_f64_e32 v[140:141], v[160:161], v[140:141]
	v_add_f64_e32 v[12:13], v[188:189], v[186:187]
	v_add_f64_e32 v[150:151], v[190:191], v[194:195]
	v_fmac_f64_e32 v[196:197], v[6:7], v[174:175]
	v_fma_f64 v[174:175], v[4:5], v[174:175], -v[176:177]
	v_fmac_f64_e32 v[152:153], v[160:161], v[138:139]
	v_fma_f64 v[138:139], v[158:159], v[138:139], -v[140:141]
	v_add_f64_e32 v[176:177], v[12:13], v[10:11]
	v_add_f64_e32 v[150:151], v[150:151], v[192:193]
	ds_load_b128 v[4:7], v2 offset:1792
	ds_load_b128 v[10:13], v2 offset:1808
	s_wait_loadcnt_dscnt 0x701
	v_mul_f64_e32 v[186:187], v[4:5], v[184:185]
	v_mul_f64_e32 v[184:185], v[6:7], v[184:185]
	s_wait_loadcnt_dscnt 0x600
	v_mul_f64_e32 v[158:159], v[10:11], v[136:137]
	v_mul_f64_e32 v[160:161], v[12:13], v[136:137]
	v_add_f64_e32 v[140:141], v[176:177], v[174:175]
	v_add_f64_e32 v[150:151], v[150:151], v[196:197]
	v_fmac_f64_e32 v[186:187], v[6:7], v[182:183]
	v_fma_f64 v[174:175], v[4:5], v[182:183], -v[184:185]
	v_fmac_f64_e32 v[158:159], v[12:13], v[134:135]
	v_fma_f64 v[10:11], v[10:11], v[134:135], -v[160:161]
	v_add_f64_e32 v[140:141], v[140:141], v[138:139]
	v_add_f64_e32 v[150:151], v[150:151], v[152:153]
	ds_load_b128 v[4:7], v2 offset:1824
	ds_load_b128 v[136:139], v2 offset:1840
	s_wait_loadcnt_dscnt 0x501
	v_mul_f64_e32 v[152:153], v[4:5], v[164:165]
	v_mul_f64_e32 v[164:165], v[6:7], v[164:165]
	v_add_f64_e32 v[12:13], v[140:141], v[174:175]
	v_add_f64_e32 v[134:135], v[150:151], v[186:187]
	s_wait_loadcnt_dscnt 0x400
	v_mul_f64_e32 v[140:141], v[136:137], v[144:145]
	v_mul_f64_e32 v[144:145], v[138:139], v[144:145]
	v_fmac_f64_e32 v[152:153], v[6:7], v[162:163]
	v_fma_f64 v[150:151], v[4:5], v[162:163], -v[164:165]
	v_add_f64_e32 v[160:161], v[12:13], v[10:11]
	v_add_f64_e32 v[134:135], v[134:135], v[158:159]
	ds_load_b128 v[4:7], v2 offset:1856
	ds_load_b128 v[10:13], v2 offset:1872
	v_fmac_f64_e32 v[140:141], v[138:139], v[142:143]
	v_fma_f64 v[136:137], v[136:137], v[142:143], -v[144:145]
	s_wait_loadcnt_dscnt 0x301
	v_mul_f64_e32 v[158:159], v[4:5], v[168:169]
	v_mul_f64_e32 v[162:163], v[6:7], v[168:169]
	s_wait_loadcnt_dscnt 0x200
	v_mul_f64_e32 v[142:143], v[10:11], v[148:149]
	v_mul_f64_e32 v[144:145], v[12:13], v[148:149]
	v_add_f64_e32 v[138:139], v[160:161], v[150:151]
	v_add_f64_e32 v[134:135], v[134:135], v[152:153]
	v_fmac_f64_e32 v[158:159], v[6:7], v[166:167]
	v_fma_f64 v[148:149], v[4:5], v[166:167], -v[162:163]
	v_fmac_f64_e32 v[142:143], v[12:13], v[146:147]
	v_fma_f64 v[10:11], v[10:11], v[146:147], -v[144:145]
	v_add_f64_e32 v[138:139], v[138:139], v[136:137]
	v_add_f64_e32 v[140:141], v[134:135], v[140:141]
	ds_load_b128 v[4:7], v2 offset:1888
	ds_load_b128 v[134:137], v2 offset:1904
	s_wait_loadcnt_dscnt 0x101
	v_mul_f64_e32 v[2:3], v[4:5], v[172:173]
	v_mul_f64_e32 v[150:151], v[6:7], v[172:173]
	s_wait_loadcnt_dscnt 0x0
	v_mul_f64_e32 v[144:145], v[136:137], v[156:157]
	v_add_f64_e32 v[12:13], v[138:139], v[148:149]
	v_add_f64_e32 v[138:139], v[140:141], v[158:159]
	v_mul_f64_e32 v[140:141], v[134:135], v[156:157]
	v_fmac_f64_e32 v[2:3], v[6:7], v[170:171]
	v_fma_f64 v[4:5], v[4:5], v[170:171], -v[150:151]
	v_add_f64_e32 v[6:7], v[12:13], v[10:11]
	v_add_f64_e32 v[10:11], v[138:139], v[142:143]
	v_fmac_f64_e32 v[140:141], v[136:137], v[154:155]
	v_fma_f64 v[12:13], v[134:135], v[154:155], -v[144:145]
	s_delay_alu instid0(VALU_DEP_4) | instskip(NEXT) | instid1(VALU_DEP_4)
	v_add_f64_e32 v[4:5], v[6:7], v[4:5]
	v_add_f64_e32 v[2:3], v[10:11], v[2:3]
	s_delay_alu instid0(VALU_DEP_2) | instskip(NEXT) | instid1(VALU_DEP_2)
	v_add_f64_e32 v[4:5], v[4:5], v[12:13]
	v_add_f64_e32 v[6:7], v[2:3], v[140:141]
	s_delay_alu instid0(VALU_DEP_2) | instskip(NEXT) | instid1(VALU_DEP_2)
	v_add_f64_e64 v[2:3], v[178:179], -v[4:5]
	v_add_f64_e64 v[4:5], v[180:181], -v[6:7]
	scratch_store_b128 off, v[2:5], off offset:368
	s_wait_xcnt 0x0
	v_cmpx_lt_u32_e32 22, v1
	s_cbranch_execz .LBB59_329
; %bb.328:
	scratch_load_b128 v[2:5], off, s62
	v_mov_b32_e32 v10, 0
	s_delay_alu instid0(VALU_DEP_1)
	v_dual_mov_b32 v11, v10 :: v_dual_mov_b32 v12, v10
	v_mov_b32_e32 v13, v10
	scratch_store_b128 off, v[10:13], off offset:352
	s_wait_loadcnt 0x0
	ds_store_b128 v8, v[2:5]
.LBB59_329:
	s_wait_xcnt 0x0
	s_or_b32 exec_lo, exec_lo, s2
	s_wait_storecnt_dscnt 0x0
	s_barrier_signal -1
	s_barrier_wait -1
	s_clause 0x9
	scratch_load_b128 v[4:7], off, off offset:368
	scratch_load_b128 v[10:13], off, off offset:384
	;; [unrolled: 1-line block ×10, first 2 shown]
	v_mov_b32_e32 v2, 0
	s_mov_b32 s2, exec_lo
	ds_load_b128 v[166:169], v2 offset:1328
	s_clause 0x2
	scratch_load_b128 v[170:173], off, off offset:528
	scratch_load_b128 v[174:177], off, off offset:352
	;; [unrolled: 1-line block ×3, first 2 shown]
	s_wait_loadcnt_dscnt 0xc00
	v_mul_f64_e32 v[186:187], v[168:169], v[6:7]
	v_mul_f64_e32 v[190:191], v[166:167], v[6:7]
	ds_load_b128 v[178:181], v2 offset:1344
	v_fma_f64 v[194:195], v[166:167], v[4:5], -v[186:187]
	v_fmac_f64_e32 v[190:191], v[168:169], v[4:5]
	ds_load_b128 v[4:7], v2 offset:1360
	s_wait_loadcnt_dscnt 0xb01
	v_mul_f64_e32 v[192:193], v[178:179], v[12:13]
	v_mul_f64_e32 v[12:13], v[180:181], v[12:13]
	scratch_load_b128 v[166:169], off, off offset:560
	ds_load_b128 v[186:189], v2 offset:1376
	s_wait_loadcnt_dscnt 0xb01
	v_mul_f64_e32 v[196:197], v[4:5], v[136:137]
	v_mul_f64_e32 v[136:137], v[6:7], v[136:137]
	v_add_f64_e32 v[190:191], 0, v[190:191]
	v_fmac_f64_e32 v[192:193], v[180:181], v[10:11]
	v_fma_f64 v[178:179], v[178:179], v[10:11], -v[12:13]
	v_add_f64_e32 v[180:181], 0, v[194:195]
	scratch_load_b128 v[10:13], off, off offset:576
	v_fmac_f64_e32 v[196:197], v[6:7], v[134:135]
	v_fma_f64 v[198:199], v[4:5], v[134:135], -v[136:137]
	ds_load_b128 v[4:7], v2 offset:1392
	s_wait_loadcnt_dscnt 0xb01
	v_mul_f64_e32 v[194:195], v[186:187], v[140:141]
	v_mul_f64_e32 v[140:141], v[188:189], v[140:141]
	scratch_load_b128 v[134:137], off, off offset:592
	v_add_f64_e32 v[190:191], v[190:191], v[192:193]
	v_add_f64_e32 v[200:201], v[180:181], v[178:179]
	ds_load_b128 v[178:181], v2 offset:1408
	s_wait_loadcnt_dscnt 0xb01
	v_mul_f64_e32 v[192:193], v[4:5], v[144:145]
	v_mul_f64_e32 v[144:145], v[6:7], v[144:145]
	v_fmac_f64_e32 v[194:195], v[188:189], v[138:139]
	v_fma_f64 v[186:187], v[186:187], v[138:139], -v[140:141]
	scratch_load_b128 v[138:141], off, off offset:608
	v_add_f64_e32 v[190:191], v[190:191], v[196:197]
	v_add_f64_e32 v[188:189], v[200:201], v[198:199]
	v_fmac_f64_e32 v[192:193], v[6:7], v[142:143]
	v_fma_f64 v[198:199], v[4:5], v[142:143], -v[144:145]
	ds_load_b128 v[4:7], v2 offset:1424
	s_wait_loadcnt_dscnt 0xb01
	v_mul_f64_e32 v[196:197], v[178:179], v[148:149]
	v_mul_f64_e32 v[148:149], v[180:181], v[148:149]
	scratch_load_b128 v[142:145], off, off offset:624
	v_add_f64_e32 v[190:191], v[190:191], v[194:195]
	s_wait_loadcnt_dscnt 0xb00
	v_mul_f64_e32 v[194:195], v[4:5], v[152:153]
	v_add_f64_e32 v[200:201], v[188:189], v[186:187]
	v_mul_f64_e32 v[152:153], v[6:7], v[152:153]
	ds_load_b128 v[186:189], v2 offset:1440
	v_fmac_f64_e32 v[196:197], v[180:181], v[146:147]
	v_fma_f64 v[178:179], v[178:179], v[146:147], -v[148:149]
	scratch_load_b128 v[146:149], off, off offset:640
	v_add_f64_e32 v[190:191], v[190:191], v[192:193]
	v_fmac_f64_e32 v[194:195], v[6:7], v[150:151]
	v_add_f64_e32 v[180:181], v[200:201], v[198:199]
	v_fma_f64 v[198:199], v[4:5], v[150:151], -v[152:153]
	ds_load_b128 v[4:7], v2 offset:1456
	s_wait_loadcnt_dscnt 0xb01
	v_mul_f64_e32 v[192:193], v[186:187], v[156:157]
	v_mul_f64_e32 v[156:157], v[188:189], v[156:157]
	scratch_load_b128 v[150:153], off, off offset:656
	v_add_f64_e32 v[190:191], v[190:191], v[196:197]
	s_wait_loadcnt_dscnt 0xb00
	v_mul_f64_e32 v[196:197], v[4:5], v[160:161]
	v_add_f64_e32 v[200:201], v[180:181], v[178:179]
	v_mul_f64_e32 v[160:161], v[6:7], v[160:161]
	ds_load_b128 v[178:181], v2 offset:1472
	v_fmac_f64_e32 v[192:193], v[188:189], v[154:155]
	v_fma_f64 v[186:187], v[186:187], v[154:155], -v[156:157]
	scratch_load_b128 v[154:157], off, off offset:672
	v_add_f64_e32 v[190:191], v[190:191], v[194:195]
	v_fmac_f64_e32 v[196:197], v[6:7], v[158:159]
	v_add_f64_e32 v[188:189], v[200:201], v[198:199]
	;; [unrolled: 18-line block ×3, first 2 shown]
	v_fma_f64 v[198:199], v[4:5], v[170:171], -v[172:173]
	ds_load_b128 v[4:7], v2 offset:1520
	s_wait_loadcnt_dscnt 0xa01
	v_mul_f64_e32 v[196:197], v[186:187], v[184:185]
	v_mul_f64_e32 v[184:185], v[188:189], v[184:185]
	scratch_load_b128 v[170:173], off, off offset:720
	v_add_f64_e32 v[190:191], v[190:191], v[194:195]
	v_add_f64_e32 v[200:201], v[180:181], v[178:179]
	s_wait_loadcnt_dscnt 0xa00
	v_mul_f64_e32 v[194:195], v[4:5], v[168:169]
	v_mul_f64_e32 v[168:169], v[6:7], v[168:169]
	v_fmac_f64_e32 v[196:197], v[188:189], v[182:183]
	v_fma_f64 v[186:187], v[186:187], v[182:183], -v[184:185]
	ds_load_b128 v[178:181], v2 offset:1536
	scratch_load_b128 v[182:185], off, off offset:736
	v_add_f64_e32 v[190:191], v[190:191], v[192:193]
	v_add_f64_e32 v[188:189], v[200:201], v[198:199]
	v_fmac_f64_e32 v[194:195], v[6:7], v[166:167]
	v_fma_f64 v[198:199], v[4:5], v[166:167], -v[168:169]
	ds_load_b128 v[4:7], v2 offset:1552
	s_wait_loadcnt_dscnt 0xa01
	v_mul_f64_e32 v[192:193], v[178:179], v[12:13]
	v_mul_f64_e32 v[12:13], v[180:181], v[12:13]
	scratch_load_b128 v[166:169], off, off offset:752
	v_add_f64_e32 v[190:191], v[190:191], v[196:197]
	s_wait_loadcnt_dscnt 0xa00
	v_mul_f64_e32 v[196:197], v[4:5], v[136:137]
	v_add_f64_e32 v[200:201], v[188:189], v[186:187]
	v_mul_f64_e32 v[136:137], v[6:7], v[136:137]
	ds_load_b128 v[186:189], v2 offset:1568
	v_fmac_f64_e32 v[192:193], v[180:181], v[10:11]
	v_fma_f64 v[178:179], v[178:179], v[10:11], -v[12:13]
	scratch_load_b128 v[10:13], off, off offset:768
	v_add_f64_e32 v[190:191], v[190:191], v[194:195]
	v_fmac_f64_e32 v[196:197], v[6:7], v[134:135]
	v_add_f64_e32 v[180:181], v[200:201], v[198:199]
	v_fma_f64 v[198:199], v[4:5], v[134:135], -v[136:137]
	ds_load_b128 v[4:7], v2 offset:1584
	s_wait_loadcnt_dscnt 0xa01
	v_mul_f64_e32 v[194:195], v[186:187], v[140:141]
	v_mul_f64_e32 v[140:141], v[188:189], v[140:141]
	scratch_load_b128 v[134:137], off, off offset:784
	v_add_f64_e32 v[190:191], v[190:191], v[192:193]
	s_wait_loadcnt_dscnt 0xa00
	v_mul_f64_e32 v[192:193], v[4:5], v[144:145]
	v_add_f64_e32 v[200:201], v[180:181], v[178:179]
	v_mul_f64_e32 v[144:145], v[6:7], v[144:145]
	ds_load_b128 v[178:181], v2 offset:1600
	v_fmac_f64_e32 v[194:195], v[188:189], v[138:139]
	v_fma_f64 v[186:187], v[186:187], v[138:139], -v[140:141]
	scratch_load_b128 v[138:141], off, off offset:800
	v_add_f64_e32 v[190:191], v[190:191], v[196:197]
	v_fmac_f64_e32 v[192:193], v[6:7], v[142:143]
	v_add_f64_e32 v[188:189], v[200:201], v[198:199]
	v_fma_f64 v[198:199], v[4:5], v[142:143], -v[144:145]
	ds_load_b128 v[4:7], v2 offset:1616
	s_wait_loadcnt_dscnt 0xa01
	v_mul_f64_e32 v[196:197], v[178:179], v[148:149]
	v_mul_f64_e32 v[148:149], v[180:181], v[148:149]
	scratch_load_b128 v[142:145], off, off offset:816
	v_add_f64_e32 v[190:191], v[190:191], v[194:195]
	s_wait_loadcnt_dscnt 0xa00
	v_mul_f64_e32 v[194:195], v[4:5], v[152:153]
	v_add_f64_e32 v[200:201], v[188:189], v[186:187]
	v_mul_f64_e32 v[152:153], v[6:7], v[152:153]
	ds_load_b128 v[186:189], v2 offset:1632
	v_fmac_f64_e32 v[196:197], v[180:181], v[146:147]
	v_fma_f64 v[178:179], v[178:179], v[146:147], -v[148:149]
	scratch_load_b128 v[146:149], off, off offset:832
	v_add_f64_e32 v[190:191], v[190:191], v[192:193]
	v_fmac_f64_e32 v[194:195], v[6:7], v[150:151]
	v_add_f64_e32 v[180:181], v[200:201], v[198:199]
	v_fma_f64 v[198:199], v[4:5], v[150:151], -v[152:153]
	ds_load_b128 v[4:7], v2 offset:1648
	s_wait_loadcnt_dscnt 0xa01
	v_mul_f64_e32 v[192:193], v[186:187], v[156:157]
	v_mul_f64_e32 v[156:157], v[188:189], v[156:157]
	scratch_load_b128 v[150:153], off, off offset:848
	v_add_f64_e32 v[190:191], v[190:191], v[196:197]
	s_wait_loadcnt_dscnt 0xa00
	v_mul_f64_e32 v[196:197], v[4:5], v[160:161]
	v_add_f64_e32 v[200:201], v[180:181], v[178:179]
	v_mul_f64_e32 v[160:161], v[6:7], v[160:161]
	ds_load_b128 v[178:181], v2 offset:1664
	v_fmac_f64_e32 v[192:193], v[188:189], v[154:155]
	v_fma_f64 v[186:187], v[186:187], v[154:155], -v[156:157]
	scratch_load_b128 v[154:157], off, off offset:864
	v_add_f64_e32 v[190:191], v[190:191], v[194:195]
	v_fmac_f64_e32 v[196:197], v[6:7], v[158:159]
	v_add_f64_e32 v[188:189], v[200:201], v[198:199]
	v_fma_f64 v[198:199], v[4:5], v[158:159], -v[160:161]
	ds_load_b128 v[4:7], v2 offset:1680
	s_wait_loadcnt_dscnt 0xa01
	v_mul_f64_e32 v[194:195], v[178:179], v[164:165]
	v_mul_f64_e32 v[164:165], v[180:181], v[164:165]
	scratch_load_b128 v[158:161], off, off offset:880
	v_add_f64_e32 v[190:191], v[190:191], v[192:193]
	s_wait_loadcnt_dscnt 0xa00
	v_mul_f64_e32 v[192:193], v[4:5], v[172:173]
	v_add_f64_e32 v[200:201], v[188:189], v[186:187]
	v_mul_f64_e32 v[172:173], v[6:7], v[172:173]
	ds_load_b128 v[186:189], v2 offset:1696
	v_fmac_f64_e32 v[194:195], v[180:181], v[162:163]
	v_fma_f64 v[178:179], v[178:179], v[162:163], -v[164:165]
	scratch_load_b128 v[162:165], off, off offset:896
	v_add_f64_e32 v[190:191], v[190:191], v[196:197]
	v_fmac_f64_e32 v[192:193], v[6:7], v[170:171]
	v_add_f64_e32 v[180:181], v[200:201], v[198:199]
	v_fma_f64 v[198:199], v[4:5], v[170:171], -v[172:173]
	ds_load_b128 v[4:7], v2 offset:1712
	s_wait_loadcnt_dscnt 0xa01
	v_mul_f64_e32 v[196:197], v[186:187], v[184:185]
	v_mul_f64_e32 v[184:185], v[188:189], v[184:185]
	scratch_load_b128 v[170:173], off, off offset:912
	v_add_f64_e32 v[190:191], v[190:191], v[194:195]
	s_wait_loadcnt_dscnt 0xa00
	v_mul_f64_e32 v[194:195], v[4:5], v[168:169]
	v_add_f64_e32 v[200:201], v[180:181], v[178:179]
	v_mul_f64_e32 v[168:169], v[6:7], v[168:169]
	ds_load_b128 v[178:181], v2 offset:1728
	v_fmac_f64_e32 v[196:197], v[188:189], v[182:183]
	v_fma_f64 v[186:187], v[186:187], v[182:183], -v[184:185]
	scratch_load_b128 v[182:185], off, off offset:928
	v_add_f64_e32 v[190:191], v[190:191], v[192:193]
	v_fmac_f64_e32 v[194:195], v[6:7], v[166:167]
	v_add_f64_e32 v[188:189], v[200:201], v[198:199]
	v_fma_f64 v[198:199], v[4:5], v[166:167], -v[168:169]
	ds_load_b128 v[4:7], v2 offset:1744
	s_wait_loadcnt_dscnt 0xa01
	v_mul_f64_e32 v[192:193], v[178:179], v[12:13]
	v_mul_f64_e32 v[12:13], v[180:181], v[12:13]
	scratch_load_b128 v[166:169], off, off offset:944
	v_add_f64_e32 v[190:191], v[190:191], v[196:197]
	s_wait_loadcnt_dscnt 0xa00
	v_mul_f64_e32 v[196:197], v[4:5], v[136:137]
	v_add_f64_e32 v[200:201], v[188:189], v[186:187]
	v_mul_f64_e32 v[136:137], v[6:7], v[136:137]
	ds_load_b128 v[186:189], v2 offset:1760
	v_fmac_f64_e32 v[192:193], v[180:181], v[10:11]
	v_fma_f64 v[10:11], v[178:179], v[10:11], -v[12:13]
	s_wait_loadcnt_dscnt 0x900
	v_mul_f64_e32 v[180:181], v[186:187], v[140:141]
	v_mul_f64_e32 v[140:141], v[188:189], v[140:141]
	v_add_f64_e32 v[178:179], v[190:191], v[194:195]
	v_fmac_f64_e32 v[196:197], v[6:7], v[134:135]
	v_add_f64_e32 v[12:13], v[200:201], v[198:199]
	v_fma_f64 v[134:135], v[4:5], v[134:135], -v[136:137]
	v_fmac_f64_e32 v[180:181], v[188:189], v[138:139]
	v_fma_f64 v[138:139], v[186:187], v[138:139], -v[140:141]
	v_add_f64_e32 v[178:179], v[178:179], v[192:193]
	v_add_f64_e32 v[136:137], v[12:13], v[10:11]
	ds_load_b128 v[4:7], v2 offset:1776
	ds_load_b128 v[10:13], v2 offset:1792
	s_wait_loadcnt_dscnt 0x801
	v_mul_f64_e32 v[190:191], v[4:5], v[144:145]
	v_mul_f64_e32 v[144:145], v[6:7], v[144:145]
	s_wait_loadcnt_dscnt 0x700
	v_mul_f64_e32 v[140:141], v[10:11], v[148:149]
	v_mul_f64_e32 v[148:149], v[12:13], v[148:149]
	v_add_f64_e32 v[134:135], v[136:137], v[134:135]
	v_add_f64_e32 v[136:137], v[178:179], v[196:197]
	v_fmac_f64_e32 v[190:191], v[6:7], v[142:143]
	v_fma_f64 v[142:143], v[4:5], v[142:143], -v[144:145]
	v_fmac_f64_e32 v[140:141], v[12:13], v[146:147]
	v_fma_f64 v[10:11], v[10:11], v[146:147], -v[148:149]
	v_add_f64_e32 v[138:139], v[134:135], v[138:139]
	v_add_f64_e32 v[144:145], v[136:137], v[180:181]
	ds_load_b128 v[4:7], v2 offset:1808
	ds_load_b128 v[134:137], v2 offset:1824
	s_wait_loadcnt_dscnt 0x601
	v_mul_f64_e32 v[178:179], v[4:5], v[152:153]
	v_mul_f64_e32 v[152:153], v[6:7], v[152:153]
	v_add_f64_e32 v[12:13], v[138:139], v[142:143]
	v_add_f64_e32 v[138:139], v[144:145], v[190:191]
	s_wait_loadcnt_dscnt 0x500
	v_mul_f64_e32 v[142:143], v[134:135], v[156:157]
	v_mul_f64_e32 v[144:145], v[136:137], v[156:157]
	v_fmac_f64_e32 v[178:179], v[6:7], v[150:151]
	v_fma_f64 v[146:147], v[4:5], v[150:151], -v[152:153]
	v_add_f64_e32 v[148:149], v[12:13], v[10:11]
	v_add_f64_e32 v[138:139], v[138:139], v[140:141]
	ds_load_b128 v[4:7], v2 offset:1840
	ds_load_b128 v[10:13], v2 offset:1856
	v_fmac_f64_e32 v[142:143], v[136:137], v[154:155]
	v_fma_f64 v[134:135], v[134:135], v[154:155], -v[144:145]
	s_wait_loadcnt_dscnt 0x401
	v_mul_f64_e32 v[140:141], v[4:5], v[160:161]
	v_mul_f64_e32 v[150:151], v[6:7], v[160:161]
	s_wait_loadcnt_dscnt 0x300
	v_mul_f64_e32 v[144:145], v[10:11], v[164:165]
	v_add_f64_e32 v[136:137], v[148:149], v[146:147]
	v_add_f64_e32 v[138:139], v[138:139], v[178:179]
	v_mul_f64_e32 v[146:147], v[12:13], v[164:165]
	v_fmac_f64_e32 v[140:141], v[6:7], v[158:159]
	v_fma_f64 v[148:149], v[4:5], v[158:159], -v[150:151]
	v_fmac_f64_e32 v[144:145], v[12:13], v[162:163]
	v_add_f64_e32 v[150:151], v[136:137], v[134:135]
	v_add_f64_e32 v[138:139], v[138:139], v[142:143]
	ds_load_b128 v[4:7], v2 offset:1872
	ds_load_b128 v[134:137], v2 offset:1888
	v_fma_f64 v[10:11], v[10:11], v[162:163], -v[146:147]
	s_wait_loadcnt_dscnt 0x201
	v_mul_f64_e32 v[142:143], v[4:5], v[172:173]
	v_mul_f64_e32 v[152:153], v[6:7], v[172:173]
	s_wait_loadcnt_dscnt 0x100
	v_mul_f64_e32 v[146:147], v[136:137], v[184:185]
	v_add_f64_e32 v[12:13], v[150:151], v[148:149]
	v_add_f64_e32 v[138:139], v[138:139], v[140:141]
	v_mul_f64_e32 v[140:141], v[134:135], v[184:185]
	v_fmac_f64_e32 v[142:143], v[6:7], v[170:171]
	v_fma_f64 v[148:149], v[4:5], v[170:171], -v[152:153]
	ds_load_b128 v[4:7], v2 offset:1904
	v_fma_f64 v[134:135], v[134:135], v[182:183], -v[146:147]
	v_add_f64_e32 v[10:11], v[12:13], v[10:11]
	v_add_f64_e32 v[12:13], v[138:139], v[144:145]
	v_fmac_f64_e32 v[140:141], v[136:137], v[182:183]
	s_wait_loadcnt_dscnt 0x0
	v_mul_f64_e32 v[138:139], v[4:5], v[168:169]
	v_mul_f64_e32 v[144:145], v[6:7], v[168:169]
	v_add_f64_e32 v[10:11], v[10:11], v[148:149]
	v_add_f64_e32 v[12:13], v[12:13], v[142:143]
	s_delay_alu instid0(VALU_DEP_4) | instskip(NEXT) | instid1(VALU_DEP_4)
	v_fmac_f64_e32 v[138:139], v[6:7], v[166:167]
	v_fma_f64 v[4:5], v[4:5], v[166:167], -v[144:145]
	s_delay_alu instid0(VALU_DEP_4) | instskip(NEXT) | instid1(VALU_DEP_4)
	v_add_f64_e32 v[6:7], v[10:11], v[134:135]
	v_add_f64_e32 v[10:11], v[12:13], v[140:141]
	s_delay_alu instid0(VALU_DEP_2) | instskip(NEXT) | instid1(VALU_DEP_2)
	v_add_f64_e32 v[4:5], v[6:7], v[4:5]
	v_add_f64_e32 v[6:7], v[10:11], v[138:139]
	s_delay_alu instid0(VALU_DEP_2) | instskip(NEXT) | instid1(VALU_DEP_2)
	v_add_f64_e64 v[4:5], v[174:175], -v[4:5]
	v_add_f64_e64 v[6:7], v[176:177], -v[6:7]
	scratch_store_b128 off, v[4:7], off offset:352
	s_wait_xcnt 0x0
	v_cmpx_lt_u32_e32 21, v1
	s_cbranch_execz .LBB59_331
; %bb.330:
	scratch_load_b128 v[10:13], off, s58
	v_dual_mov_b32 v3, v2 :: v_dual_mov_b32 v4, v2
	v_mov_b32_e32 v5, v2
	scratch_store_b128 off, v[2:5], off offset:336
	s_wait_loadcnt 0x0
	ds_store_b128 v8, v[10:13]
.LBB59_331:
	s_wait_xcnt 0x0
	s_or_b32 exec_lo, exec_lo, s2
	s_wait_storecnt_dscnt 0x0
	s_barrier_signal -1
	s_barrier_wait -1
	s_clause 0x9
	scratch_load_b128 v[4:7], off, off offset:352
	scratch_load_b128 v[10:13], off, off offset:368
	;; [unrolled: 1-line block ×10, first 2 shown]
	ds_load_b128 v[166:169], v2 offset:1312
	ds_load_b128 v[174:177], v2 offset:1328
	s_clause 0x2
	scratch_load_b128 v[170:173], off, off offset:512
	scratch_load_b128 v[178:181], off, off offset:336
	;; [unrolled: 1-line block ×3, first 2 shown]
	s_mov_b32 s2, exec_lo
	s_wait_loadcnt_dscnt 0xc01
	v_mul_f64_e32 v[186:187], v[168:169], v[6:7]
	v_mul_f64_e32 v[190:191], v[166:167], v[6:7]
	s_wait_loadcnt_dscnt 0xb00
	v_mul_f64_e32 v[192:193], v[174:175], v[12:13]
	v_mul_f64_e32 v[12:13], v[176:177], v[12:13]
	s_delay_alu instid0(VALU_DEP_4) | instskip(NEXT) | instid1(VALU_DEP_4)
	v_fma_f64 v[194:195], v[166:167], v[4:5], -v[186:187]
	v_fmac_f64_e32 v[190:191], v[168:169], v[4:5]
	ds_load_b128 v[4:7], v2 offset:1344
	ds_load_b128 v[166:169], v2 offset:1360
	scratch_load_b128 v[186:189], off, off offset:544
	v_fmac_f64_e32 v[192:193], v[176:177], v[10:11]
	v_fma_f64 v[174:175], v[174:175], v[10:11], -v[12:13]
	scratch_load_b128 v[10:13], off, off offset:560
	s_wait_loadcnt_dscnt 0xc01
	v_mul_f64_e32 v[196:197], v[4:5], v[136:137]
	v_mul_f64_e32 v[136:137], v[6:7], v[136:137]
	v_add_f64_e32 v[176:177], 0, v[194:195]
	v_add_f64_e32 v[190:191], 0, v[190:191]
	s_wait_loadcnt_dscnt 0xb00
	v_mul_f64_e32 v[194:195], v[166:167], v[140:141]
	v_mul_f64_e32 v[140:141], v[168:169], v[140:141]
	v_fmac_f64_e32 v[196:197], v[6:7], v[134:135]
	v_fma_f64 v[198:199], v[4:5], v[134:135], -v[136:137]
	ds_load_b128 v[4:7], v2 offset:1376
	ds_load_b128 v[134:137], v2 offset:1392
	v_add_f64_e32 v[200:201], v[176:177], v[174:175]
	v_add_f64_e32 v[190:191], v[190:191], v[192:193]
	scratch_load_b128 v[174:177], off, off offset:576
	v_fmac_f64_e32 v[194:195], v[168:169], v[138:139]
	v_fma_f64 v[166:167], v[166:167], v[138:139], -v[140:141]
	scratch_load_b128 v[138:141], off, off offset:592
	s_wait_loadcnt_dscnt 0xc01
	v_mul_f64_e32 v[192:193], v[4:5], v[144:145]
	v_mul_f64_e32 v[144:145], v[6:7], v[144:145]
	v_add_f64_e32 v[168:169], v[200:201], v[198:199]
	v_add_f64_e32 v[190:191], v[190:191], v[196:197]
	s_wait_loadcnt_dscnt 0xb00
	v_mul_f64_e32 v[196:197], v[134:135], v[148:149]
	v_mul_f64_e32 v[148:149], v[136:137], v[148:149]
	v_fmac_f64_e32 v[192:193], v[6:7], v[142:143]
	v_fma_f64 v[198:199], v[4:5], v[142:143], -v[144:145]
	ds_load_b128 v[4:7], v2 offset:1408
	ds_load_b128 v[142:145], v2 offset:1424
	v_add_f64_e32 v[200:201], v[168:169], v[166:167]
	v_add_f64_e32 v[190:191], v[190:191], v[194:195]
	scratch_load_b128 v[166:169], off, off offset:608
	s_wait_loadcnt_dscnt 0xb01
	v_mul_f64_e32 v[194:195], v[4:5], v[152:153]
	v_mul_f64_e32 v[152:153], v[6:7], v[152:153]
	v_fmac_f64_e32 v[196:197], v[136:137], v[146:147]
	v_fma_f64 v[146:147], v[134:135], v[146:147], -v[148:149]
	scratch_load_b128 v[134:137], off, off offset:624
	v_add_f64_e32 v[148:149], v[200:201], v[198:199]
	v_add_f64_e32 v[190:191], v[190:191], v[192:193]
	s_wait_loadcnt_dscnt 0xb00
	v_mul_f64_e32 v[192:193], v[142:143], v[156:157]
	v_mul_f64_e32 v[156:157], v[144:145], v[156:157]
	v_fmac_f64_e32 v[194:195], v[6:7], v[150:151]
	v_fma_f64 v[198:199], v[4:5], v[150:151], -v[152:153]
	v_add_f64_e32 v[200:201], v[148:149], v[146:147]
	v_add_f64_e32 v[190:191], v[190:191], v[196:197]
	ds_load_b128 v[4:7], v2 offset:1440
	ds_load_b128 v[146:149], v2 offset:1456
	scratch_load_b128 v[150:153], off, off offset:640
	v_fmac_f64_e32 v[192:193], v[144:145], v[154:155]
	v_fma_f64 v[154:155], v[142:143], v[154:155], -v[156:157]
	scratch_load_b128 v[142:145], off, off offset:656
	s_wait_loadcnt_dscnt 0xc01
	v_mul_f64_e32 v[196:197], v[4:5], v[160:161]
	v_mul_f64_e32 v[160:161], v[6:7], v[160:161]
	v_add_f64_e32 v[156:157], v[200:201], v[198:199]
	v_add_f64_e32 v[190:191], v[190:191], v[194:195]
	s_wait_loadcnt_dscnt 0xb00
	v_mul_f64_e32 v[194:195], v[146:147], v[164:165]
	v_mul_f64_e32 v[164:165], v[148:149], v[164:165]
	v_fmac_f64_e32 v[196:197], v[6:7], v[158:159]
	v_fma_f64 v[198:199], v[4:5], v[158:159], -v[160:161]
	v_add_f64_e32 v[200:201], v[156:157], v[154:155]
	v_add_f64_e32 v[190:191], v[190:191], v[192:193]
	ds_load_b128 v[4:7], v2 offset:1472
	ds_load_b128 v[154:157], v2 offset:1488
	scratch_load_b128 v[158:161], off, off offset:672
	v_fmac_f64_e32 v[194:195], v[148:149], v[162:163]
	v_fma_f64 v[162:163], v[146:147], v[162:163], -v[164:165]
	scratch_load_b128 v[146:149], off, off offset:688
	s_wait_loadcnt_dscnt 0xc01
	v_mul_f64_e32 v[192:193], v[4:5], v[172:173]
	v_mul_f64_e32 v[172:173], v[6:7], v[172:173]
	;; [unrolled: 18-line block ×5, first 2 shown]
	v_add_f64_e32 v[184:185], v[200:201], v[198:199]
	v_add_f64_e32 v[190:191], v[190:191], v[196:197]
	s_wait_loadcnt_dscnt 0xa00
	v_mul_f64_e32 v[196:197], v[162:163], v[136:137]
	v_mul_f64_e32 v[136:137], v[164:165], v[136:137]
	v_fmac_f64_e32 v[192:193], v[6:7], v[166:167]
	v_fma_f64 v[198:199], v[4:5], v[166:167], -v[168:169]
	ds_load_b128 v[4:7], v2 offset:1600
	ds_load_b128 v[166:169], v2 offset:1616
	v_add_f64_e32 v[200:201], v[184:185], v[182:183]
	v_add_f64_e32 v[190:191], v[190:191], v[194:195]
	scratch_load_b128 v[182:185], off, off offset:800
	v_fmac_f64_e32 v[196:197], v[164:165], v[134:135]
	v_fma_f64 v[162:163], v[162:163], v[134:135], -v[136:137]
	scratch_load_b128 v[134:137], off, off offset:816
	s_wait_loadcnt_dscnt 0xb01
	v_mul_f64_e32 v[194:195], v[4:5], v[152:153]
	v_mul_f64_e32 v[152:153], v[6:7], v[152:153]
	v_add_f64_e32 v[164:165], v[200:201], v[198:199]
	v_add_f64_e32 v[190:191], v[190:191], v[192:193]
	s_wait_loadcnt_dscnt 0xa00
	v_mul_f64_e32 v[192:193], v[166:167], v[144:145]
	v_mul_f64_e32 v[144:145], v[168:169], v[144:145]
	v_fmac_f64_e32 v[194:195], v[6:7], v[150:151]
	v_fma_f64 v[198:199], v[4:5], v[150:151], -v[152:153]
	ds_load_b128 v[4:7], v2 offset:1632
	ds_load_b128 v[150:153], v2 offset:1648
	v_add_f64_e32 v[200:201], v[164:165], v[162:163]
	v_add_f64_e32 v[190:191], v[190:191], v[196:197]
	scratch_load_b128 v[162:165], off, off offset:832
	s_wait_loadcnt_dscnt 0xa01
	v_mul_f64_e32 v[196:197], v[4:5], v[160:161]
	v_mul_f64_e32 v[160:161], v[6:7], v[160:161]
	v_fmac_f64_e32 v[192:193], v[168:169], v[142:143]
	v_fma_f64 v[166:167], v[166:167], v[142:143], -v[144:145]
	scratch_load_b128 v[142:145], off, off offset:848
	v_add_f64_e32 v[168:169], v[200:201], v[198:199]
	v_add_f64_e32 v[190:191], v[190:191], v[194:195]
	s_wait_loadcnt_dscnt 0xa00
	v_mul_f64_e32 v[194:195], v[150:151], v[148:149]
	v_mul_f64_e32 v[148:149], v[152:153], v[148:149]
	v_fmac_f64_e32 v[196:197], v[6:7], v[158:159]
	v_fma_f64 v[198:199], v[4:5], v[158:159], -v[160:161]
	ds_load_b128 v[4:7], v2 offset:1664
	ds_load_b128 v[158:161], v2 offset:1680
	v_add_f64_e32 v[200:201], v[168:169], v[166:167]
	v_add_f64_e32 v[190:191], v[190:191], v[192:193]
	scratch_load_b128 v[166:169], off, off offset:864
	s_wait_loadcnt_dscnt 0xa01
	v_mul_f64_e32 v[192:193], v[4:5], v[172:173]
	v_mul_f64_e32 v[172:173], v[6:7], v[172:173]
	v_fmac_f64_e32 v[194:195], v[152:153], v[146:147]
	v_fma_f64 v[150:151], v[150:151], v[146:147], -v[148:149]
	scratch_load_b128 v[146:149], off, off offset:880
	v_add_f64_e32 v[152:153], v[200:201], v[198:199]
	v_add_f64_e32 v[190:191], v[190:191], v[196:197]
	s_wait_loadcnt_dscnt 0xa00
	v_mul_f64_e32 v[196:197], v[158:159], v[156:157]
	v_mul_f64_e32 v[156:157], v[160:161], v[156:157]
	v_fmac_f64_e32 v[192:193], v[6:7], v[170:171]
	v_fma_f64 v[198:199], v[4:5], v[170:171], -v[172:173]
	v_add_f64_e32 v[200:201], v[152:153], v[150:151]
	v_add_f64_e32 v[190:191], v[190:191], v[194:195]
	ds_load_b128 v[4:7], v2 offset:1696
	ds_load_b128 v[150:153], v2 offset:1712
	scratch_load_b128 v[170:173], off, off offset:896
	v_fmac_f64_e32 v[196:197], v[160:161], v[154:155]
	v_fma_f64 v[158:159], v[158:159], v[154:155], -v[156:157]
	scratch_load_b128 v[154:157], off, off offset:912
	s_wait_loadcnt_dscnt 0xb01
	v_mul_f64_e32 v[194:195], v[4:5], v[188:189]
	v_mul_f64_e32 v[188:189], v[6:7], v[188:189]
	v_add_f64_e32 v[160:161], v[200:201], v[198:199]
	v_add_f64_e32 v[190:191], v[190:191], v[192:193]
	s_wait_loadcnt_dscnt 0xa00
	v_mul_f64_e32 v[192:193], v[150:151], v[12:13]
	v_mul_f64_e32 v[12:13], v[152:153], v[12:13]
	v_fmac_f64_e32 v[194:195], v[6:7], v[186:187]
	v_fma_f64 v[198:199], v[4:5], v[186:187], -v[188:189]
	v_add_f64_e32 v[200:201], v[160:161], v[158:159]
	v_add_f64_e32 v[190:191], v[190:191], v[196:197]
	ds_load_b128 v[4:7], v2 offset:1728
	ds_load_b128 v[158:161], v2 offset:1744
	scratch_load_b128 v[186:189], off, off offset:928
	v_fmac_f64_e32 v[192:193], v[152:153], v[10:11]
	v_fma_f64 v[150:151], v[150:151], v[10:11], -v[12:13]
	scratch_load_b128 v[10:13], off, off offset:944
	s_wait_loadcnt_dscnt 0xb01
	v_mul_f64_e32 v[196:197], v[4:5], v[176:177]
	v_mul_f64_e32 v[176:177], v[6:7], v[176:177]
	v_add_f64_e32 v[152:153], v[200:201], v[198:199]
	v_add_f64_e32 v[190:191], v[190:191], v[194:195]
	s_wait_loadcnt_dscnt 0xa00
	v_mul_f64_e32 v[194:195], v[158:159], v[140:141]
	v_mul_f64_e32 v[140:141], v[160:161], v[140:141]
	v_fmac_f64_e32 v[196:197], v[6:7], v[174:175]
	v_fma_f64 v[174:175], v[4:5], v[174:175], -v[176:177]
	v_add_f64_e32 v[176:177], v[152:153], v[150:151]
	v_add_f64_e32 v[190:191], v[190:191], v[192:193]
	ds_load_b128 v[4:7], v2 offset:1760
	ds_load_b128 v[150:153], v2 offset:1776
	v_fmac_f64_e32 v[194:195], v[160:161], v[138:139]
	v_fma_f64 v[138:139], v[158:159], v[138:139], -v[140:141]
	s_wait_loadcnt_dscnt 0x901
	v_mul_f64_e32 v[192:193], v[4:5], v[184:185]
	v_mul_f64_e32 v[184:185], v[6:7], v[184:185]
	s_wait_loadcnt_dscnt 0x800
	v_mul_f64_e32 v[160:161], v[150:151], v[136:137]
	v_add_f64_e32 v[140:141], v[176:177], v[174:175]
	v_add_f64_e32 v[158:159], v[190:191], v[196:197]
	v_mul_f64_e32 v[174:175], v[152:153], v[136:137]
	v_fmac_f64_e32 v[192:193], v[6:7], v[182:183]
	v_fma_f64 v[176:177], v[4:5], v[182:183], -v[184:185]
	v_fmac_f64_e32 v[160:161], v[152:153], v[134:135]
	v_add_f64_e32 v[140:141], v[140:141], v[138:139]
	v_add_f64_e32 v[158:159], v[158:159], v[194:195]
	ds_load_b128 v[4:7], v2 offset:1792
	ds_load_b128 v[136:139], v2 offset:1808
	v_fma_f64 v[134:135], v[150:151], v[134:135], -v[174:175]
	s_wait_loadcnt_dscnt 0x701
	v_mul_f64_e32 v[182:183], v[4:5], v[164:165]
	v_mul_f64_e32 v[164:165], v[6:7], v[164:165]
	v_add_f64_e32 v[140:141], v[140:141], v[176:177]
	v_add_f64_e32 v[150:151], v[158:159], v[192:193]
	s_wait_loadcnt_dscnt 0x600
	v_mul_f64_e32 v[158:159], v[136:137], v[144:145]
	v_mul_f64_e32 v[144:145], v[138:139], v[144:145]
	v_fmac_f64_e32 v[182:183], v[6:7], v[162:163]
	v_fma_f64 v[162:163], v[4:5], v[162:163], -v[164:165]
	v_add_f64_e32 v[134:135], v[140:141], v[134:135]
	v_add_f64_e32 v[140:141], v[150:151], v[160:161]
	ds_load_b128 v[4:7], v2 offset:1824
	ds_load_b128 v[150:153], v2 offset:1840
	v_fmac_f64_e32 v[158:159], v[138:139], v[142:143]
	v_fma_f64 v[136:137], v[136:137], v[142:143], -v[144:145]
	s_wait_loadcnt_dscnt 0x501
	v_mul_f64_e32 v[160:161], v[4:5], v[168:169]
	v_mul_f64_e32 v[164:165], v[6:7], v[168:169]
	s_wait_loadcnt_dscnt 0x400
	v_mul_f64_e32 v[142:143], v[152:153], v[148:149]
	v_add_f64_e32 v[134:135], v[134:135], v[162:163]
	v_add_f64_e32 v[138:139], v[140:141], v[182:183]
	v_mul_f64_e32 v[140:141], v[150:151], v[148:149]
	v_fmac_f64_e32 v[160:161], v[6:7], v[166:167]
	v_fma_f64 v[144:145], v[4:5], v[166:167], -v[164:165]
	v_fma_f64 v[142:143], v[150:151], v[146:147], -v[142:143]
	v_add_f64_e32 v[148:149], v[134:135], v[136:137]
	v_add_f64_e32 v[138:139], v[138:139], v[158:159]
	ds_load_b128 v[4:7], v2 offset:1856
	ds_load_b128 v[134:137], v2 offset:1872
	v_fmac_f64_e32 v[140:141], v[152:153], v[146:147]
	s_wait_loadcnt_dscnt 0x301
	v_mul_f64_e32 v[158:159], v[4:5], v[172:173]
	v_mul_f64_e32 v[162:163], v[6:7], v[172:173]
	s_wait_loadcnt_dscnt 0x200
	v_mul_f64_e32 v[146:147], v[134:135], v[156:157]
	v_add_f64_e32 v[144:145], v[148:149], v[144:145]
	v_add_f64_e32 v[138:139], v[138:139], v[160:161]
	v_mul_f64_e32 v[148:149], v[136:137], v[156:157]
	v_fmac_f64_e32 v[158:159], v[6:7], v[170:171]
	v_fma_f64 v[150:151], v[4:5], v[170:171], -v[162:163]
	v_fmac_f64_e32 v[146:147], v[136:137], v[154:155]
	v_add_f64_e32 v[142:143], v[144:145], v[142:143]
	v_add_f64_e32 v[144:145], v[138:139], v[140:141]
	ds_load_b128 v[4:7], v2 offset:1888
	ds_load_b128 v[138:141], v2 offset:1904
	v_fma_f64 v[134:135], v[134:135], v[154:155], -v[148:149]
	s_wait_loadcnt_dscnt 0x101
	v_mul_f64_e32 v[2:3], v[4:5], v[188:189]
	v_mul_f64_e32 v[152:153], v[6:7], v[188:189]
	v_add_f64_e32 v[136:137], v[142:143], v[150:151]
	v_add_f64_e32 v[142:143], v[144:145], v[158:159]
	s_wait_loadcnt_dscnt 0x0
	v_mul_f64_e32 v[144:145], v[138:139], v[12:13]
	v_mul_f64_e32 v[12:13], v[140:141], v[12:13]
	v_fmac_f64_e32 v[2:3], v[6:7], v[186:187]
	v_fma_f64 v[4:5], v[4:5], v[186:187], -v[152:153]
	v_add_f64_e32 v[6:7], v[136:137], v[134:135]
	v_add_f64_e32 v[134:135], v[142:143], v[146:147]
	v_fmac_f64_e32 v[144:145], v[140:141], v[10:11]
	v_fma_f64 v[10:11], v[138:139], v[10:11], -v[12:13]
	s_delay_alu instid0(VALU_DEP_4) | instskip(NEXT) | instid1(VALU_DEP_4)
	v_add_f64_e32 v[4:5], v[6:7], v[4:5]
	v_add_f64_e32 v[2:3], v[134:135], v[2:3]
	s_delay_alu instid0(VALU_DEP_2) | instskip(NEXT) | instid1(VALU_DEP_2)
	v_add_f64_e32 v[4:5], v[4:5], v[10:11]
	v_add_f64_e32 v[6:7], v[2:3], v[144:145]
	s_delay_alu instid0(VALU_DEP_2) | instskip(NEXT) | instid1(VALU_DEP_2)
	v_add_f64_e64 v[2:3], v[178:179], -v[4:5]
	v_add_f64_e64 v[4:5], v[180:181], -v[6:7]
	scratch_store_b128 off, v[2:5], off offset:336
	s_wait_xcnt 0x0
	v_cmpx_lt_u32_e32 20, v1
	s_cbranch_execz .LBB59_333
; %bb.332:
	scratch_load_b128 v[2:5], off, s67
	v_mov_b32_e32 v10, 0
	s_delay_alu instid0(VALU_DEP_1)
	v_dual_mov_b32 v11, v10 :: v_dual_mov_b32 v12, v10
	v_mov_b32_e32 v13, v10
	scratch_store_b128 off, v[10:13], off offset:320
	s_wait_loadcnt 0x0
	ds_store_b128 v8, v[2:5]
.LBB59_333:
	s_wait_xcnt 0x0
	s_or_b32 exec_lo, exec_lo, s2
	s_wait_storecnt_dscnt 0x0
	s_barrier_signal -1
	s_barrier_wait -1
	s_clause 0x9
	scratch_load_b128 v[4:7], off, off offset:336
	scratch_load_b128 v[10:13], off, off offset:352
	scratch_load_b128 v[134:137], off, off offset:368
	scratch_load_b128 v[138:141], off, off offset:384
	scratch_load_b128 v[142:145], off, off offset:400
	scratch_load_b128 v[146:149], off, off offset:416
	scratch_load_b128 v[150:153], off, off offset:432
	scratch_load_b128 v[154:157], off, off offset:448
	scratch_load_b128 v[158:161], off, off offset:464
	scratch_load_b128 v[162:165], off, off offset:480
	v_mov_b32_e32 v2, 0
	s_mov_b32 s2, exec_lo
	ds_load_b128 v[166:169], v2 offset:1296
	s_clause 0x2
	scratch_load_b128 v[170:173], off, off offset:496
	scratch_load_b128 v[174:177], off, off offset:320
	;; [unrolled: 1-line block ×3, first 2 shown]
	s_wait_loadcnt_dscnt 0xc00
	v_mul_f64_e32 v[186:187], v[168:169], v[6:7]
	v_mul_f64_e32 v[190:191], v[166:167], v[6:7]
	ds_load_b128 v[178:181], v2 offset:1312
	v_fma_f64 v[194:195], v[166:167], v[4:5], -v[186:187]
	v_fmac_f64_e32 v[190:191], v[168:169], v[4:5]
	ds_load_b128 v[4:7], v2 offset:1328
	s_wait_loadcnt_dscnt 0xb01
	v_mul_f64_e32 v[192:193], v[178:179], v[12:13]
	v_mul_f64_e32 v[12:13], v[180:181], v[12:13]
	scratch_load_b128 v[166:169], off, off offset:528
	ds_load_b128 v[186:189], v2 offset:1344
	s_wait_loadcnt_dscnt 0xb01
	v_mul_f64_e32 v[196:197], v[4:5], v[136:137]
	v_mul_f64_e32 v[136:137], v[6:7], v[136:137]
	v_add_f64_e32 v[190:191], 0, v[190:191]
	v_fmac_f64_e32 v[192:193], v[180:181], v[10:11]
	v_fma_f64 v[178:179], v[178:179], v[10:11], -v[12:13]
	v_add_f64_e32 v[180:181], 0, v[194:195]
	scratch_load_b128 v[10:13], off, off offset:544
	v_fmac_f64_e32 v[196:197], v[6:7], v[134:135]
	v_fma_f64 v[198:199], v[4:5], v[134:135], -v[136:137]
	ds_load_b128 v[4:7], v2 offset:1360
	s_wait_loadcnt_dscnt 0xb01
	v_mul_f64_e32 v[194:195], v[186:187], v[140:141]
	v_mul_f64_e32 v[140:141], v[188:189], v[140:141]
	scratch_load_b128 v[134:137], off, off offset:560
	v_add_f64_e32 v[190:191], v[190:191], v[192:193]
	v_add_f64_e32 v[200:201], v[180:181], v[178:179]
	ds_load_b128 v[178:181], v2 offset:1376
	s_wait_loadcnt_dscnt 0xb01
	v_mul_f64_e32 v[192:193], v[4:5], v[144:145]
	v_mul_f64_e32 v[144:145], v[6:7], v[144:145]
	v_fmac_f64_e32 v[194:195], v[188:189], v[138:139]
	v_fma_f64 v[186:187], v[186:187], v[138:139], -v[140:141]
	scratch_load_b128 v[138:141], off, off offset:576
	v_add_f64_e32 v[190:191], v[190:191], v[196:197]
	v_add_f64_e32 v[188:189], v[200:201], v[198:199]
	v_fmac_f64_e32 v[192:193], v[6:7], v[142:143]
	v_fma_f64 v[198:199], v[4:5], v[142:143], -v[144:145]
	ds_load_b128 v[4:7], v2 offset:1392
	s_wait_loadcnt_dscnt 0xb01
	v_mul_f64_e32 v[196:197], v[178:179], v[148:149]
	v_mul_f64_e32 v[148:149], v[180:181], v[148:149]
	scratch_load_b128 v[142:145], off, off offset:592
	v_add_f64_e32 v[190:191], v[190:191], v[194:195]
	s_wait_loadcnt_dscnt 0xb00
	v_mul_f64_e32 v[194:195], v[4:5], v[152:153]
	v_add_f64_e32 v[200:201], v[188:189], v[186:187]
	v_mul_f64_e32 v[152:153], v[6:7], v[152:153]
	ds_load_b128 v[186:189], v2 offset:1408
	v_fmac_f64_e32 v[196:197], v[180:181], v[146:147]
	v_fma_f64 v[178:179], v[178:179], v[146:147], -v[148:149]
	scratch_load_b128 v[146:149], off, off offset:608
	v_add_f64_e32 v[190:191], v[190:191], v[192:193]
	v_fmac_f64_e32 v[194:195], v[6:7], v[150:151]
	v_add_f64_e32 v[180:181], v[200:201], v[198:199]
	v_fma_f64 v[198:199], v[4:5], v[150:151], -v[152:153]
	ds_load_b128 v[4:7], v2 offset:1424
	s_wait_loadcnt_dscnt 0xb01
	v_mul_f64_e32 v[192:193], v[186:187], v[156:157]
	v_mul_f64_e32 v[156:157], v[188:189], v[156:157]
	scratch_load_b128 v[150:153], off, off offset:624
	v_add_f64_e32 v[190:191], v[190:191], v[196:197]
	s_wait_loadcnt_dscnt 0xb00
	v_mul_f64_e32 v[196:197], v[4:5], v[160:161]
	v_add_f64_e32 v[200:201], v[180:181], v[178:179]
	v_mul_f64_e32 v[160:161], v[6:7], v[160:161]
	ds_load_b128 v[178:181], v2 offset:1440
	v_fmac_f64_e32 v[192:193], v[188:189], v[154:155]
	v_fma_f64 v[186:187], v[186:187], v[154:155], -v[156:157]
	scratch_load_b128 v[154:157], off, off offset:640
	v_add_f64_e32 v[190:191], v[190:191], v[194:195]
	v_fmac_f64_e32 v[196:197], v[6:7], v[158:159]
	v_add_f64_e32 v[188:189], v[200:201], v[198:199]
	;; [unrolled: 18-line block ×3, first 2 shown]
	v_fma_f64 v[198:199], v[4:5], v[170:171], -v[172:173]
	ds_load_b128 v[4:7], v2 offset:1488
	s_wait_loadcnt_dscnt 0xa01
	v_mul_f64_e32 v[196:197], v[186:187], v[184:185]
	v_mul_f64_e32 v[184:185], v[188:189], v[184:185]
	scratch_load_b128 v[170:173], off, off offset:688
	v_add_f64_e32 v[190:191], v[190:191], v[194:195]
	v_add_f64_e32 v[200:201], v[180:181], v[178:179]
	s_wait_loadcnt_dscnt 0xa00
	v_mul_f64_e32 v[194:195], v[4:5], v[168:169]
	v_mul_f64_e32 v[168:169], v[6:7], v[168:169]
	v_fmac_f64_e32 v[196:197], v[188:189], v[182:183]
	v_fma_f64 v[186:187], v[186:187], v[182:183], -v[184:185]
	ds_load_b128 v[178:181], v2 offset:1504
	scratch_load_b128 v[182:185], off, off offset:704
	v_add_f64_e32 v[190:191], v[190:191], v[192:193]
	v_add_f64_e32 v[188:189], v[200:201], v[198:199]
	v_fmac_f64_e32 v[194:195], v[6:7], v[166:167]
	v_fma_f64 v[198:199], v[4:5], v[166:167], -v[168:169]
	ds_load_b128 v[4:7], v2 offset:1520
	s_wait_loadcnt_dscnt 0xa01
	v_mul_f64_e32 v[192:193], v[178:179], v[12:13]
	v_mul_f64_e32 v[12:13], v[180:181], v[12:13]
	scratch_load_b128 v[166:169], off, off offset:720
	v_add_f64_e32 v[190:191], v[190:191], v[196:197]
	s_wait_loadcnt_dscnt 0xa00
	v_mul_f64_e32 v[196:197], v[4:5], v[136:137]
	v_add_f64_e32 v[200:201], v[188:189], v[186:187]
	v_mul_f64_e32 v[136:137], v[6:7], v[136:137]
	ds_load_b128 v[186:189], v2 offset:1536
	v_fmac_f64_e32 v[192:193], v[180:181], v[10:11]
	v_fma_f64 v[178:179], v[178:179], v[10:11], -v[12:13]
	scratch_load_b128 v[10:13], off, off offset:736
	v_add_f64_e32 v[190:191], v[190:191], v[194:195]
	v_fmac_f64_e32 v[196:197], v[6:7], v[134:135]
	v_add_f64_e32 v[180:181], v[200:201], v[198:199]
	v_fma_f64 v[198:199], v[4:5], v[134:135], -v[136:137]
	ds_load_b128 v[4:7], v2 offset:1552
	s_wait_loadcnt_dscnt 0xa01
	v_mul_f64_e32 v[194:195], v[186:187], v[140:141]
	v_mul_f64_e32 v[140:141], v[188:189], v[140:141]
	scratch_load_b128 v[134:137], off, off offset:752
	v_add_f64_e32 v[190:191], v[190:191], v[192:193]
	s_wait_loadcnt_dscnt 0xa00
	v_mul_f64_e32 v[192:193], v[4:5], v[144:145]
	v_add_f64_e32 v[200:201], v[180:181], v[178:179]
	v_mul_f64_e32 v[144:145], v[6:7], v[144:145]
	ds_load_b128 v[178:181], v2 offset:1568
	v_fmac_f64_e32 v[194:195], v[188:189], v[138:139]
	v_fma_f64 v[186:187], v[186:187], v[138:139], -v[140:141]
	scratch_load_b128 v[138:141], off, off offset:768
	v_add_f64_e32 v[190:191], v[190:191], v[196:197]
	v_fmac_f64_e32 v[192:193], v[6:7], v[142:143]
	v_add_f64_e32 v[188:189], v[200:201], v[198:199]
	;; [unrolled: 18-line block ×7, first 2 shown]
	v_fma_f64 v[198:199], v[4:5], v[134:135], -v[136:137]
	ds_load_b128 v[4:7], v2 offset:1744
	s_wait_loadcnt_dscnt 0xa01
	v_mul_f64_e32 v[194:195], v[186:187], v[140:141]
	v_mul_f64_e32 v[140:141], v[188:189], v[140:141]
	scratch_load_b128 v[134:137], off, off offset:944
	v_add_f64_e32 v[190:191], v[190:191], v[192:193]
	s_wait_loadcnt_dscnt 0xa00
	v_mul_f64_e32 v[192:193], v[4:5], v[144:145]
	v_add_f64_e32 v[200:201], v[180:181], v[178:179]
	v_mul_f64_e32 v[144:145], v[6:7], v[144:145]
	ds_load_b128 v[178:181], v2 offset:1760
	v_fmac_f64_e32 v[194:195], v[188:189], v[138:139]
	v_fma_f64 v[138:139], v[186:187], v[138:139], -v[140:141]
	s_wait_loadcnt_dscnt 0x900
	v_mul_f64_e32 v[188:189], v[178:179], v[148:149]
	v_mul_f64_e32 v[148:149], v[180:181], v[148:149]
	v_add_f64_e32 v[186:187], v[190:191], v[196:197]
	v_fmac_f64_e32 v[192:193], v[6:7], v[142:143]
	v_add_f64_e32 v[140:141], v[200:201], v[198:199]
	v_fma_f64 v[142:143], v[4:5], v[142:143], -v[144:145]
	v_fmac_f64_e32 v[188:189], v[180:181], v[146:147]
	v_fma_f64 v[146:147], v[178:179], v[146:147], -v[148:149]
	v_add_f64_e32 v[186:187], v[186:187], v[194:195]
	v_add_f64_e32 v[144:145], v[140:141], v[138:139]
	ds_load_b128 v[4:7], v2 offset:1776
	ds_load_b128 v[138:141], v2 offset:1792
	s_wait_loadcnt_dscnt 0x801
	v_mul_f64_e32 v[190:191], v[4:5], v[152:153]
	v_mul_f64_e32 v[152:153], v[6:7], v[152:153]
	s_wait_loadcnt_dscnt 0x700
	v_mul_f64_e32 v[148:149], v[138:139], v[156:157]
	v_mul_f64_e32 v[156:157], v[140:141], v[156:157]
	v_add_f64_e32 v[142:143], v[144:145], v[142:143]
	v_add_f64_e32 v[144:145], v[186:187], v[192:193]
	v_fmac_f64_e32 v[190:191], v[6:7], v[150:151]
	v_fma_f64 v[150:151], v[4:5], v[150:151], -v[152:153]
	v_fmac_f64_e32 v[148:149], v[140:141], v[154:155]
	v_fma_f64 v[138:139], v[138:139], v[154:155], -v[156:157]
	v_add_f64_e32 v[146:147], v[142:143], v[146:147]
	v_add_f64_e32 v[152:153], v[144:145], v[188:189]
	ds_load_b128 v[4:7], v2 offset:1808
	ds_load_b128 v[142:145], v2 offset:1824
	s_wait_loadcnt_dscnt 0x601
	v_mul_f64_e32 v[178:179], v[4:5], v[160:161]
	v_mul_f64_e32 v[160:161], v[6:7], v[160:161]
	v_add_f64_e32 v[140:141], v[146:147], v[150:151]
	v_add_f64_e32 v[146:147], v[152:153], v[190:191]
	s_wait_loadcnt_dscnt 0x500
	v_mul_f64_e32 v[150:151], v[142:143], v[164:165]
	v_mul_f64_e32 v[152:153], v[144:145], v[164:165]
	v_fmac_f64_e32 v[178:179], v[6:7], v[158:159]
	v_fma_f64 v[154:155], v[4:5], v[158:159], -v[160:161]
	v_add_f64_e32 v[156:157], v[140:141], v[138:139]
	v_add_f64_e32 v[146:147], v[146:147], v[148:149]
	ds_load_b128 v[4:7], v2 offset:1840
	ds_load_b128 v[138:141], v2 offset:1856
	v_fmac_f64_e32 v[150:151], v[144:145], v[162:163]
	v_fma_f64 v[142:143], v[142:143], v[162:163], -v[152:153]
	s_wait_loadcnt_dscnt 0x401
	v_mul_f64_e32 v[148:149], v[4:5], v[172:173]
	v_mul_f64_e32 v[158:159], v[6:7], v[172:173]
	s_wait_loadcnt_dscnt 0x300
	v_mul_f64_e32 v[152:153], v[138:139], v[184:185]
	v_add_f64_e32 v[144:145], v[156:157], v[154:155]
	v_add_f64_e32 v[146:147], v[146:147], v[178:179]
	v_mul_f64_e32 v[154:155], v[140:141], v[184:185]
	v_fmac_f64_e32 v[148:149], v[6:7], v[170:171]
	v_fma_f64 v[156:157], v[4:5], v[170:171], -v[158:159]
	v_fmac_f64_e32 v[152:153], v[140:141], v[182:183]
	v_add_f64_e32 v[158:159], v[144:145], v[142:143]
	v_add_f64_e32 v[146:147], v[146:147], v[150:151]
	ds_load_b128 v[4:7], v2 offset:1872
	ds_load_b128 v[142:145], v2 offset:1888
	v_fma_f64 v[138:139], v[138:139], v[182:183], -v[154:155]
	s_wait_loadcnt_dscnt 0x201
	v_mul_f64_e32 v[150:151], v[4:5], v[168:169]
	v_mul_f64_e32 v[160:161], v[6:7], v[168:169]
	v_add_f64_e32 v[140:141], v[158:159], v[156:157]
	v_add_f64_e32 v[146:147], v[146:147], v[148:149]
	s_wait_loadcnt_dscnt 0x100
	v_mul_f64_e32 v[148:149], v[142:143], v[12:13]
	v_mul_f64_e32 v[12:13], v[144:145], v[12:13]
	v_fmac_f64_e32 v[150:151], v[6:7], v[166:167]
	v_fma_f64 v[154:155], v[4:5], v[166:167], -v[160:161]
	ds_load_b128 v[4:7], v2 offset:1904
	v_add_f64_e32 v[138:139], v[140:141], v[138:139]
	v_add_f64_e32 v[140:141], v[146:147], v[152:153]
	v_fmac_f64_e32 v[148:149], v[144:145], v[10:11]
	v_fma_f64 v[10:11], v[142:143], v[10:11], -v[12:13]
	s_wait_loadcnt_dscnt 0x0
	v_mul_f64_e32 v[146:147], v[4:5], v[136:137]
	v_mul_f64_e32 v[136:137], v[6:7], v[136:137]
	v_add_f64_e32 v[12:13], v[138:139], v[154:155]
	v_add_f64_e32 v[138:139], v[140:141], v[150:151]
	s_delay_alu instid0(VALU_DEP_4) | instskip(NEXT) | instid1(VALU_DEP_4)
	v_fmac_f64_e32 v[146:147], v[6:7], v[134:135]
	v_fma_f64 v[4:5], v[4:5], v[134:135], -v[136:137]
	s_delay_alu instid0(VALU_DEP_4) | instskip(NEXT) | instid1(VALU_DEP_4)
	v_add_f64_e32 v[6:7], v[12:13], v[10:11]
	v_add_f64_e32 v[10:11], v[138:139], v[148:149]
	s_delay_alu instid0(VALU_DEP_2) | instskip(NEXT) | instid1(VALU_DEP_2)
	v_add_f64_e32 v[4:5], v[6:7], v[4:5]
	v_add_f64_e32 v[6:7], v[10:11], v[146:147]
	s_delay_alu instid0(VALU_DEP_2) | instskip(NEXT) | instid1(VALU_DEP_2)
	v_add_f64_e64 v[4:5], v[174:175], -v[4:5]
	v_add_f64_e64 v[6:7], v[176:177], -v[6:7]
	scratch_store_b128 off, v[4:7], off offset:320
	s_wait_xcnt 0x0
	v_cmpx_lt_u32_e32 19, v1
	s_cbranch_execz .LBB59_335
; %bb.334:
	scratch_load_b128 v[10:13], off, s66
	v_dual_mov_b32 v3, v2 :: v_dual_mov_b32 v4, v2
	v_mov_b32_e32 v5, v2
	scratch_store_b128 off, v[2:5], off offset:304
	s_wait_loadcnt 0x0
	ds_store_b128 v8, v[10:13]
.LBB59_335:
	s_wait_xcnt 0x0
	s_or_b32 exec_lo, exec_lo, s2
	s_wait_storecnt_dscnt 0x0
	s_barrier_signal -1
	s_barrier_wait -1
	s_clause 0x9
	scratch_load_b128 v[4:7], off, off offset:320
	scratch_load_b128 v[10:13], off, off offset:336
	;; [unrolled: 1-line block ×10, first 2 shown]
	ds_load_b128 v[166:169], v2 offset:1280
	ds_load_b128 v[174:177], v2 offset:1296
	s_clause 0x2
	scratch_load_b128 v[170:173], off, off offset:480
	scratch_load_b128 v[178:181], off, off offset:304
	scratch_load_b128 v[182:185], off, off offset:496
	s_mov_b32 s2, exec_lo
	s_wait_loadcnt_dscnt 0xc01
	v_mul_f64_e32 v[186:187], v[168:169], v[6:7]
	v_mul_f64_e32 v[190:191], v[166:167], v[6:7]
	s_wait_loadcnt_dscnt 0xb00
	v_mul_f64_e32 v[192:193], v[174:175], v[12:13]
	v_mul_f64_e32 v[12:13], v[176:177], v[12:13]
	s_delay_alu instid0(VALU_DEP_4) | instskip(NEXT) | instid1(VALU_DEP_4)
	v_fma_f64 v[194:195], v[166:167], v[4:5], -v[186:187]
	v_fmac_f64_e32 v[190:191], v[168:169], v[4:5]
	ds_load_b128 v[4:7], v2 offset:1312
	ds_load_b128 v[166:169], v2 offset:1328
	scratch_load_b128 v[186:189], off, off offset:512
	v_fmac_f64_e32 v[192:193], v[176:177], v[10:11]
	v_fma_f64 v[174:175], v[174:175], v[10:11], -v[12:13]
	scratch_load_b128 v[10:13], off, off offset:528
	s_wait_loadcnt_dscnt 0xc01
	v_mul_f64_e32 v[196:197], v[4:5], v[136:137]
	v_mul_f64_e32 v[136:137], v[6:7], v[136:137]
	v_add_f64_e32 v[176:177], 0, v[194:195]
	v_add_f64_e32 v[190:191], 0, v[190:191]
	s_wait_loadcnt_dscnt 0xb00
	v_mul_f64_e32 v[194:195], v[166:167], v[140:141]
	v_mul_f64_e32 v[140:141], v[168:169], v[140:141]
	v_fmac_f64_e32 v[196:197], v[6:7], v[134:135]
	v_fma_f64 v[198:199], v[4:5], v[134:135], -v[136:137]
	ds_load_b128 v[4:7], v2 offset:1344
	ds_load_b128 v[134:137], v2 offset:1360
	v_add_f64_e32 v[200:201], v[176:177], v[174:175]
	v_add_f64_e32 v[190:191], v[190:191], v[192:193]
	scratch_load_b128 v[174:177], off, off offset:544
	v_fmac_f64_e32 v[194:195], v[168:169], v[138:139]
	v_fma_f64 v[166:167], v[166:167], v[138:139], -v[140:141]
	scratch_load_b128 v[138:141], off, off offset:560
	s_wait_loadcnt_dscnt 0xc01
	v_mul_f64_e32 v[192:193], v[4:5], v[144:145]
	v_mul_f64_e32 v[144:145], v[6:7], v[144:145]
	v_add_f64_e32 v[168:169], v[200:201], v[198:199]
	v_add_f64_e32 v[190:191], v[190:191], v[196:197]
	s_wait_loadcnt_dscnt 0xb00
	v_mul_f64_e32 v[196:197], v[134:135], v[148:149]
	v_mul_f64_e32 v[148:149], v[136:137], v[148:149]
	v_fmac_f64_e32 v[192:193], v[6:7], v[142:143]
	v_fma_f64 v[198:199], v[4:5], v[142:143], -v[144:145]
	ds_load_b128 v[4:7], v2 offset:1376
	ds_load_b128 v[142:145], v2 offset:1392
	v_add_f64_e32 v[200:201], v[168:169], v[166:167]
	v_add_f64_e32 v[190:191], v[190:191], v[194:195]
	scratch_load_b128 v[166:169], off, off offset:576
	s_wait_loadcnt_dscnt 0xb01
	v_mul_f64_e32 v[194:195], v[4:5], v[152:153]
	v_mul_f64_e32 v[152:153], v[6:7], v[152:153]
	v_fmac_f64_e32 v[196:197], v[136:137], v[146:147]
	v_fma_f64 v[146:147], v[134:135], v[146:147], -v[148:149]
	scratch_load_b128 v[134:137], off, off offset:592
	v_add_f64_e32 v[148:149], v[200:201], v[198:199]
	v_add_f64_e32 v[190:191], v[190:191], v[192:193]
	s_wait_loadcnt_dscnt 0xb00
	v_mul_f64_e32 v[192:193], v[142:143], v[156:157]
	v_mul_f64_e32 v[156:157], v[144:145], v[156:157]
	v_fmac_f64_e32 v[194:195], v[6:7], v[150:151]
	v_fma_f64 v[198:199], v[4:5], v[150:151], -v[152:153]
	v_add_f64_e32 v[200:201], v[148:149], v[146:147]
	v_add_f64_e32 v[190:191], v[190:191], v[196:197]
	ds_load_b128 v[4:7], v2 offset:1408
	ds_load_b128 v[146:149], v2 offset:1424
	scratch_load_b128 v[150:153], off, off offset:608
	v_fmac_f64_e32 v[192:193], v[144:145], v[154:155]
	v_fma_f64 v[154:155], v[142:143], v[154:155], -v[156:157]
	scratch_load_b128 v[142:145], off, off offset:624
	s_wait_loadcnt_dscnt 0xc01
	v_mul_f64_e32 v[196:197], v[4:5], v[160:161]
	v_mul_f64_e32 v[160:161], v[6:7], v[160:161]
	v_add_f64_e32 v[156:157], v[200:201], v[198:199]
	v_add_f64_e32 v[190:191], v[190:191], v[194:195]
	s_wait_loadcnt_dscnt 0xb00
	v_mul_f64_e32 v[194:195], v[146:147], v[164:165]
	v_mul_f64_e32 v[164:165], v[148:149], v[164:165]
	v_fmac_f64_e32 v[196:197], v[6:7], v[158:159]
	v_fma_f64 v[198:199], v[4:5], v[158:159], -v[160:161]
	v_add_f64_e32 v[200:201], v[156:157], v[154:155]
	v_add_f64_e32 v[190:191], v[190:191], v[192:193]
	ds_load_b128 v[4:7], v2 offset:1440
	ds_load_b128 v[154:157], v2 offset:1456
	scratch_load_b128 v[158:161], off, off offset:640
	v_fmac_f64_e32 v[194:195], v[148:149], v[162:163]
	v_fma_f64 v[162:163], v[146:147], v[162:163], -v[164:165]
	scratch_load_b128 v[146:149], off, off offset:656
	s_wait_loadcnt_dscnt 0xc01
	v_mul_f64_e32 v[192:193], v[4:5], v[172:173]
	v_mul_f64_e32 v[172:173], v[6:7], v[172:173]
	;; [unrolled: 18-line block ×5, first 2 shown]
	v_add_f64_e32 v[184:185], v[200:201], v[198:199]
	v_add_f64_e32 v[190:191], v[190:191], v[196:197]
	s_wait_loadcnt_dscnt 0xa00
	v_mul_f64_e32 v[196:197], v[162:163], v[136:137]
	v_mul_f64_e32 v[136:137], v[164:165], v[136:137]
	v_fmac_f64_e32 v[192:193], v[6:7], v[166:167]
	v_fma_f64 v[198:199], v[4:5], v[166:167], -v[168:169]
	ds_load_b128 v[4:7], v2 offset:1568
	ds_load_b128 v[166:169], v2 offset:1584
	v_add_f64_e32 v[200:201], v[184:185], v[182:183]
	v_add_f64_e32 v[190:191], v[190:191], v[194:195]
	scratch_load_b128 v[182:185], off, off offset:768
	v_fmac_f64_e32 v[196:197], v[164:165], v[134:135]
	v_fma_f64 v[162:163], v[162:163], v[134:135], -v[136:137]
	scratch_load_b128 v[134:137], off, off offset:784
	s_wait_loadcnt_dscnt 0xb01
	v_mul_f64_e32 v[194:195], v[4:5], v[152:153]
	v_mul_f64_e32 v[152:153], v[6:7], v[152:153]
	v_add_f64_e32 v[164:165], v[200:201], v[198:199]
	v_add_f64_e32 v[190:191], v[190:191], v[192:193]
	s_wait_loadcnt_dscnt 0xa00
	v_mul_f64_e32 v[192:193], v[166:167], v[144:145]
	v_mul_f64_e32 v[144:145], v[168:169], v[144:145]
	v_fmac_f64_e32 v[194:195], v[6:7], v[150:151]
	v_fma_f64 v[198:199], v[4:5], v[150:151], -v[152:153]
	ds_load_b128 v[4:7], v2 offset:1600
	ds_load_b128 v[150:153], v2 offset:1616
	v_add_f64_e32 v[200:201], v[164:165], v[162:163]
	v_add_f64_e32 v[190:191], v[190:191], v[196:197]
	scratch_load_b128 v[162:165], off, off offset:800
	s_wait_loadcnt_dscnt 0xa01
	v_mul_f64_e32 v[196:197], v[4:5], v[160:161]
	v_mul_f64_e32 v[160:161], v[6:7], v[160:161]
	v_fmac_f64_e32 v[192:193], v[168:169], v[142:143]
	v_fma_f64 v[166:167], v[166:167], v[142:143], -v[144:145]
	scratch_load_b128 v[142:145], off, off offset:816
	v_add_f64_e32 v[168:169], v[200:201], v[198:199]
	v_add_f64_e32 v[190:191], v[190:191], v[194:195]
	s_wait_loadcnt_dscnt 0xa00
	v_mul_f64_e32 v[194:195], v[150:151], v[148:149]
	v_mul_f64_e32 v[148:149], v[152:153], v[148:149]
	v_fmac_f64_e32 v[196:197], v[6:7], v[158:159]
	v_fma_f64 v[198:199], v[4:5], v[158:159], -v[160:161]
	ds_load_b128 v[4:7], v2 offset:1632
	ds_load_b128 v[158:161], v2 offset:1648
	v_add_f64_e32 v[200:201], v[168:169], v[166:167]
	v_add_f64_e32 v[190:191], v[190:191], v[192:193]
	scratch_load_b128 v[166:169], off, off offset:832
	s_wait_loadcnt_dscnt 0xa01
	v_mul_f64_e32 v[192:193], v[4:5], v[172:173]
	v_mul_f64_e32 v[172:173], v[6:7], v[172:173]
	v_fmac_f64_e32 v[194:195], v[152:153], v[146:147]
	v_fma_f64 v[150:151], v[150:151], v[146:147], -v[148:149]
	scratch_load_b128 v[146:149], off, off offset:848
	v_add_f64_e32 v[152:153], v[200:201], v[198:199]
	v_add_f64_e32 v[190:191], v[190:191], v[196:197]
	s_wait_loadcnt_dscnt 0xa00
	v_mul_f64_e32 v[196:197], v[158:159], v[156:157]
	v_mul_f64_e32 v[156:157], v[160:161], v[156:157]
	v_fmac_f64_e32 v[192:193], v[6:7], v[170:171]
	v_fma_f64 v[198:199], v[4:5], v[170:171], -v[172:173]
	v_add_f64_e32 v[200:201], v[152:153], v[150:151]
	v_add_f64_e32 v[190:191], v[190:191], v[194:195]
	ds_load_b128 v[4:7], v2 offset:1664
	ds_load_b128 v[150:153], v2 offset:1680
	scratch_load_b128 v[170:173], off, off offset:864
	v_fmac_f64_e32 v[196:197], v[160:161], v[154:155]
	v_fma_f64 v[158:159], v[158:159], v[154:155], -v[156:157]
	scratch_load_b128 v[154:157], off, off offset:880
	s_wait_loadcnt_dscnt 0xb01
	v_mul_f64_e32 v[194:195], v[4:5], v[188:189]
	v_mul_f64_e32 v[188:189], v[6:7], v[188:189]
	v_add_f64_e32 v[160:161], v[200:201], v[198:199]
	v_add_f64_e32 v[190:191], v[190:191], v[192:193]
	s_wait_loadcnt_dscnt 0xa00
	v_mul_f64_e32 v[192:193], v[150:151], v[12:13]
	v_mul_f64_e32 v[12:13], v[152:153], v[12:13]
	v_fmac_f64_e32 v[194:195], v[6:7], v[186:187]
	v_fma_f64 v[198:199], v[4:5], v[186:187], -v[188:189]
	v_add_f64_e32 v[200:201], v[160:161], v[158:159]
	v_add_f64_e32 v[190:191], v[190:191], v[196:197]
	ds_load_b128 v[4:7], v2 offset:1696
	ds_load_b128 v[158:161], v2 offset:1712
	scratch_load_b128 v[186:189], off, off offset:896
	v_fmac_f64_e32 v[192:193], v[152:153], v[10:11]
	v_fma_f64 v[150:151], v[150:151], v[10:11], -v[12:13]
	scratch_load_b128 v[10:13], off, off offset:912
	s_wait_loadcnt_dscnt 0xb01
	v_mul_f64_e32 v[196:197], v[4:5], v[176:177]
	v_mul_f64_e32 v[176:177], v[6:7], v[176:177]
	;; [unrolled: 18-line block ×3, first 2 shown]
	v_add_f64_e32 v[160:161], v[200:201], v[198:199]
	v_add_f64_e32 v[190:191], v[190:191], v[196:197]
	s_wait_loadcnt_dscnt 0xa00
	v_mul_f64_e32 v[196:197], v[150:151], v[136:137]
	v_mul_f64_e32 v[136:137], v[152:153], v[136:137]
	v_fmac_f64_e32 v[192:193], v[6:7], v[182:183]
	v_fma_f64 v[182:183], v[4:5], v[182:183], -v[184:185]
	v_add_f64_e32 v[184:185], v[160:161], v[158:159]
	v_add_f64_e32 v[190:191], v[190:191], v[194:195]
	ds_load_b128 v[4:7], v2 offset:1760
	ds_load_b128 v[158:161], v2 offset:1776
	v_fmac_f64_e32 v[196:197], v[152:153], v[134:135]
	v_fma_f64 v[134:135], v[150:151], v[134:135], -v[136:137]
	s_wait_loadcnt_dscnt 0x901
	v_mul_f64_e32 v[194:195], v[4:5], v[164:165]
	v_mul_f64_e32 v[164:165], v[6:7], v[164:165]
	s_wait_loadcnt_dscnt 0x800
	v_mul_f64_e32 v[152:153], v[158:159], v[144:145]
	v_mul_f64_e32 v[144:145], v[160:161], v[144:145]
	v_add_f64_e32 v[136:137], v[184:185], v[182:183]
	v_add_f64_e32 v[150:151], v[190:191], v[192:193]
	v_fmac_f64_e32 v[194:195], v[6:7], v[162:163]
	v_fma_f64 v[162:163], v[4:5], v[162:163], -v[164:165]
	v_fmac_f64_e32 v[152:153], v[160:161], v[142:143]
	v_fma_f64 v[142:143], v[158:159], v[142:143], -v[144:145]
	v_add_f64_e32 v[164:165], v[136:137], v[134:135]
	v_add_f64_e32 v[150:151], v[150:151], v[196:197]
	ds_load_b128 v[4:7], v2 offset:1792
	ds_load_b128 v[134:137], v2 offset:1808
	s_wait_loadcnt_dscnt 0x701
	v_mul_f64_e32 v[182:183], v[4:5], v[168:169]
	v_mul_f64_e32 v[168:169], v[6:7], v[168:169]
	s_wait_loadcnt_dscnt 0x600
	v_mul_f64_e32 v[158:159], v[134:135], v[148:149]
	v_mul_f64_e32 v[148:149], v[136:137], v[148:149]
	v_add_f64_e32 v[144:145], v[164:165], v[162:163]
	v_add_f64_e32 v[150:151], v[150:151], v[194:195]
	v_fmac_f64_e32 v[182:183], v[6:7], v[166:167]
	v_fma_f64 v[160:161], v[4:5], v[166:167], -v[168:169]
	v_fmac_f64_e32 v[158:159], v[136:137], v[146:147]
	v_fma_f64 v[134:135], v[134:135], v[146:147], -v[148:149]
	v_add_f64_e32 v[162:163], v[144:145], v[142:143]
	v_add_f64_e32 v[150:151], v[150:151], v[152:153]
	ds_load_b128 v[4:7], v2 offset:1824
	ds_load_b128 v[142:145], v2 offset:1840
	s_wait_loadcnt_dscnt 0x501
	v_mul_f64_e32 v[152:153], v[4:5], v[172:173]
	v_mul_f64_e32 v[164:165], v[6:7], v[172:173]
	s_wait_loadcnt_dscnt 0x400
	v_mul_f64_e32 v[148:149], v[142:143], v[156:157]
	v_add_f64_e32 v[136:137], v[162:163], v[160:161]
	v_add_f64_e32 v[146:147], v[150:151], v[182:183]
	v_mul_f64_e32 v[150:151], v[144:145], v[156:157]
	v_fmac_f64_e32 v[152:153], v[6:7], v[170:171]
	v_fma_f64 v[156:157], v[4:5], v[170:171], -v[164:165]
	v_fmac_f64_e32 v[148:149], v[144:145], v[154:155]
	v_add_f64_e32 v[160:161], v[136:137], v[134:135]
	v_add_f64_e32 v[146:147], v[146:147], v[158:159]
	ds_load_b128 v[4:7], v2 offset:1856
	ds_load_b128 v[134:137], v2 offset:1872
	v_fma_f64 v[142:143], v[142:143], v[154:155], -v[150:151]
	s_wait_loadcnt_dscnt 0x301
	v_mul_f64_e32 v[158:159], v[4:5], v[188:189]
	v_mul_f64_e32 v[162:163], v[6:7], v[188:189]
	s_wait_loadcnt_dscnt 0x200
	v_mul_f64_e32 v[150:151], v[134:135], v[12:13]
	v_mul_f64_e32 v[12:13], v[136:137], v[12:13]
	v_add_f64_e32 v[144:145], v[160:161], v[156:157]
	v_add_f64_e32 v[146:147], v[146:147], v[152:153]
	v_fmac_f64_e32 v[158:159], v[6:7], v[186:187]
	v_fma_f64 v[152:153], v[4:5], v[186:187], -v[162:163]
	v_fmac_f64_e32 v[150:151], v[136:137], v[10:11]
	v_fma_f64 v[10:11], v[134:135], v[10:11], -v[12:13]
	v_add_f64_e32 v[154:155], v[144:145], v[142:143]
	v_add_f64_e32 v[146:147], v[146:147], v[148:149]
	ds_load_b128 v[4:7], v2 offset:1888
	ds_load_b128 v[142:145], v2 offset:1904
	s_wait_loadcnt_dscnt 0x101
	v_mul_f64_e32 v[2:3], v[4:5], v[176:177]
	v_mul_f64_e32 v[148:149], v[6:7], v[176:177]
	s_wait_loadcnt_dscnt 0x0
	v_mul_f64_e32 v[136:137], v[142:143], v[140:141]
	v_mul_f64_e32 v[140:141], v[144:145], v[140:141]
	v_add_f64_e32 v[12:13], v[154:155], v[152:153]
	v_add_f64_e32 v[134:135], v[146:147], v[158:159]
	v_fmac_f64_e32 v[2:3], v[6:7], v[174:175]
	v_fma_f64 v[4:5], v[4:5], v[174:175], -v[148:149]
	v_fmac_f64_e32 v[136:137], v[144:145], v[138:139]
	v_add_f64_e32 v[6:7], v[12:13], v[10:11]
	v_add_f64_e32 v[10:11], v[134:135], v[150:151]
	v_fma_f64 v[12:13], v[142:143], v[138:139], -v[140:141]
	s_delay_alu instid0(VALU_DEP_3) | instskip(NEXT) | instid1(VALU_DEP_3)
	v_add_f64_e32 v[4:5], v[6:7], v[4:5]
	v_add_f64_e32 v[2:3], v[10:11], v[2:3]
	s_delay_alu instid0(VALU_DEP_2) | instskip(NEXT) | instid1(VALU_DEP_2)
	v_add_f64_e32 v[4:5], v[4:5], v[12:13]
	v_add_f64_e32 v[6:7], v[2:3], v[136:137]
	s_delay_alu instid0(VALU_DEP_2) | instskip(NEXT) | instid1(VALU_DEP_2)
	v_add_f64_e64 v[2:3], v[178:179], -v[4:5]
	v_add_f64_e64 v[4:5], v[180:181], -v[6:7]
	scratch_store_b128 off, v[2:5], off offset:304
	s_wait_xcnt 0x0
	v_cmpx_lt_u32_e32 18, v1
	s_cbranch_execz .LBB59_337
; %bb.336:
	scratch_load_b128 v[2:5], off, s63
	v_mov_b32_e32 v10, 0
	s_delay_alu instid0(VALU_DEP_1)
	v_dual_mov_b32 v11, v10 :: v_dual_mov_b32 v12, v10
	v_mov_b32_e32 v13, v10
	scratch_store_b128 off, v[10:13], off offset:288
	s_wait_loadcnt 0x0
	ds_store_b128 v8, v[2:5]
.LBB59_337:
	s_wait_xcnt 0x0
	s_or_b32 exec_lo, exec_lo, s2
	s_wait_storecnt_dscnt 0x0
	s_barrier_signal -1
	s_barrier_wait -1
	s_clause 0x9
	scratch_load_b128 v[4:7], off, off offset:304
	scratch_load_b128 v[10:13], off, off offset:320
	;; [unrolled: 1-line block ×10, first 2 shown]
	v_mov_b32_e32 v2, 0
	s_mov_b32 s2, exec_lo
	ds_load_b128 v[166:169], v2 offset:1264
	s_clause 0x2
	scratch_load_b128 v[170:173], off, off offset:464
	scratch_load_b128 v[174:177], off, off offset:288
	scratch_load_b128 v[182:185], off, off offset:480
	s_wait_loadcnt_dscnt 0xc00
	v_mul_f64_e32 v[186:187], v[168:169], v[6:7]
	v_mul_f64_e32 v[190:191], v[166:167], v[6:7]
	ds_load_b128 v[178:181], v2 offset:1280
	v_fma_f64 v[194:195], v[166:167], v[4:5], -v[186:187]
	v_fmac_f64_e32 v[190:191], v[168:169], v[4:5]
	ds_load_b128 v[4:7], v2 offset:1296
	s_wait_loadcnt_dscnt 0xb01
	v_mul_f64_e32 v[192:193], v[178:179], v[12:13]
	v_mul_f64_e32 v[12:13], v[180:181], v[12:13]
	scratch_load_b128 v[166:169], off, off offset:496
	ds_load_b128 v[186:189], v2 offset:1312
	s_wait_loadcnt_dscnt 0xb01
	v_mul_f64_e32 v[196:197], v[4:5], v[136:137]
	v_mul_f64_e32 v[136:137], v[6:7], v[136:137]
	v_add_f64_e32 v[190:191], 0, v[190:191]
	v_fmac_f64_e32 v[192:193], v[180:181], v[10:11]
	v_fma_f64 v[178:179], v[178:179], v[10:11], -v[12:13]
	v_add_f64_e32 v[180:181], 0, v[194:195]
	scratch_load_b128 v[10:13], off, off offset:512
	v_fmac_f64_e32 v[196:197], v[6:7], v[134:135]
	v_fma_f64 v[198:199], v[4:5], v[134:135], -v[136:137]
	ds_load_b128 v[4:7], v2 offset:1328
	s_wait_loadcnt_dscnt 0xb01
	v_mul_f64_e32 v[194:195], v[186:187], v[140:141]
	v_mul_f64_e32 v[140:141], v[188:189], v[140:141]
	scratch_load_b128 v[134:137], off, off offset:528
	v_add_f64_e32 v[190:191], v[190:191], v[192:193]
	v_add_f64_e32 v[200:201], v[180:181], v[178:179]
	ds_load_b128 v[178:181], v2 offset:1344
	s_wait_loadcnt_dscnt 0xb01
	v_mul_f64_e32 v[192:193], v[4:5], v[144:145]
	v_mul_f64_e32 v[144:145], v[6:7], v[144:145]
	v_fmac_f64_e32 v[194:195], v[188:189], v[138:139]
	v_fma_f64 v[186:187], v[186:187], v[138:139], -v[140:141]
	scratch_load_b128 v[138:141], off, off offset:544
	v_add_f64_e32 v[190:191], v[190:191], v[196:197]
	v_add_f64_e32 v[188:189], v[200:201], v[198:199]
	v_fmac_f64_e32 v[192:193], v[6:7], v[142:143]
	v_fma_f64 v[198:199], v[4:5], v[142:143], -v[144:145]
	ds_load_b128 v[4:7], v2 offset:1360
	s_wait_loadcnt_dscnt 0xb01
	v_mul_f64_e32 v[196:197], v[178:179], v[148:149]
	v_mul_f64_e32 v[148:149], v[180:181], v[148:149]
	scratch_load_b128 v[142:145], off, off offset:560
	v_add_f64_e32 v[190:191], v[190:191], v[194:195]
	s_wait_loadcnt_dscnt 0xb00
	v_mul_f64_e32 v[194:195], v[4:5], v[152:153]
	v_add_f64_e32 v[200:201], v[188:189], v[186:187]
	v_mul_f64_e32 v[152:153], v[6:7], v[152:153]
	ds_load_b128 v[186:189], v2 offset:1376
	v_fmac_f64_e32 v[196:197], v[180:181], v[146:147]
	v_fma_f64 v[178:179], v[178:179], v[146:147], -v[148:149]
	scratch_load_b128 v[146:149], off, off offset:576
	v_add_f64_e32 v[190:191], v[190:191], v[192:193]
	v_fmac_f64_e32 v[194:195], v[6:7], v[150:151]
	v_add_f64_e32 v[180:181], v[200:201], v[198:199]
	v_fma_f64 v[198:199], v[4:5], v[150:151], -v[152:153]
	ds_load_b128 v[4:7], v2 offset:1392
	s_wait_loadcnt_dscnt 0xb01
	v_mul_f64_e32 v[192:193], v[186:187], v[156:157]
	v_mul_f64_e32 v[156:157], v[188:189], v[156:157]
	scratch_load_b128 v[150:153], off, off offset:592
	v_add_f64_e32 v[190:191], v[190:191], v[196:197]
	s_wait_loadcnt_dscnt 0xb00
	v_mul_f64_e32 v[196:197], v[4:5], v[160:161]
	v_add_f64_e32 v[200:201], v[180:181], v[178:179]
	v_mul_f64_e32 v[160:161], v[6:7], v[160:161]
	ds_load_b128 v[178:181], v2 offset:1408
	v_fmac_f64_e32 v[192:193], v[188:189], v[154:155]
	v_fma_f64 v[186:187], v[186:187], v[154:155], -v[156:157]
	scratch_load_b128 v[154:157], off, off offset:608
	v_add_f64_e32 v[190:191], v[190:191], v[194:195]
	v_fmac_f64_e32 v[196:197], v[6:7], v[158:159]
	v_add_f64_e32 v[188:189], v[200:201], v[198:199]
	v_fma_f64 v[198:199], v[4:5], v[158:159], -v[160:161]
	ds_load_b128 v[4:7], v2 offset:1424
	s_wait_loadcnt_dscnt 0xb01
	v_mul_f64_e32 v[194:195], v[178:179], v[164:165]
	v_mul_f64_e32 v[164:165], v[180:181], v[164:165]
	scratch_load_b128 v[158:161], off, off offset:624
	v_add_f64_e32 v[190:191], v[190:191], v[192:193]
	s_wait_loadcnt_dscnt 0xb00
	v_mul_f64_e32 v[192:193], v[4:5], v[172:173]
	v_add_f64_e32 v[200:201], v[188:189], v[186:187]
	v_mul_f64_e32 v[172:173], v[6:7], v[172:173]
	ds_load_b128 v[186:189], v2 offset:1440
	v_fmac_f64_e32 v[194:195], v[180:181], v[162:163]
	v_fma_f64 v[178:179], v[178:179], v[162:163], -v[164:165]
	scratch_load_b128 v[162:165], off, off offset:640
	v_add_f64_e32 v[190:191], v[190:191], v[196:197]
	v_fmac_f64_e32 v[192:193], v[6:7], v[170:171]
	v_add_f64_e32 v[180:181], v[200:201], v[198:199]
	v_fma_f64 v[198:199], v[4:5], v[170:171], -v[172:173]
	ds_load_b128 v[4:7], v2 offset:1456
	s_wait_loadcnt_dscnt 0xa01
	v_mul_f64_e32 v[196:197], v[186:187], v[184:185]
	v_mul_f64_e32 v[184:185], v[188:189], v[184:185]
	scratch_load_b128 v[170:173], off, off offset:656
	v_add_f64_e32 v[190:191], v[190:191], v[194:195]
	v_add_f64_e32 v[200:201], v[180:181], v[178:179]
	s_wait_loadcnt_dscnt 0xa00
	v_mul_f64_e32 v[194:195], v[4:5], v[168:169]
	v_mul_f64_e32 v[168:169], v[6:7], v[168:169]
	v_fmac_f64_e32 v[196:197], v[188:189], v[182:183]
	v_fma_f64 v[186:187], v[186:187], v[182:183], -v[184:185]
	ds_load_b128 v[178:181], v2 offset:1472
	scratch_load_b128 v[182:185], off, off offset:672
	v_add_f64_e32 v[190:191], v[190:191], v[192:193]
	v_add_f64_e32 v[188:189], v[200:201], v[198:199]
	v_fmac_f64_e32 v[194:195], v[6:7], v[166:167]
	v_fma_f64 v[198:199], v[4:5], v[166:167], -v[168:169]
	ds_load_b128 v[4:7], v2 offset:1488
	s_wait_loadcnt_dscnt 0xa01
	v_mul_f64_e32 v[192:193], v[178:179], v[12:13]
	v_mul_f64_e32 v[12:13], v[180:181], v[12:13]
	scratch_load_b128 v[166:169], off, off offset:688
	v_add_f64_e32 v[190:191], v[190:191], v[196:197]
	s_wait_loadcnt_dscnt 0xa00
	v_mul_f64_e32 v[196:197], v[4:5], v[136:137]
	v_add_f64_e32 v[200:201], v[188:189], v[186:187]
	v_mul_f64_e32 v[136:137], v[6:7], v[136:137]
	ds_load_b128 v[186:189], v2 offset:1504
	v_fmac_f64_e32 v[192:193], v[180:181], v[10:11]
	v_fma_f64 v[178:179], v[178:179], v[10:11], -v[12:13]
	scratch_load_b128 v[10:13], off, off offset:704
	v_add_f64_e32 v[190:191], v[190:191], v[194:195]
	v_fmac_f64_e32 v[196:197], v[6:7], v[134:135]
	v_add_f64_e32 v[180:181], v[200:201], v[198:199]
	v_fma_f64 v[198:199], v[4:5], v[134:135], -v[136:137]
	ds_load_b128 v[4:7], v2 offset:1520
	s_wait_loadcnt_dscnt 0xa01
	v_mul_f64_e32 v[194:195], v[186:187], v[140:141]
	v_mul_f64_e32 v[140:141], v[188:189], v[140:141]
	scratch_load_b128 v[134:137], off, off offset:720
	v_add_f64_e32 v[190:191], v[190:191], v[192:193]
	s_wait_loadcnt_dscnt 0xa00
	v_mul_f64_e32 v[192:193], v[4:5], v[144:145]
	v_add_f64_e32 v[200:201], v[180:181], v[178:179]
	v_mul_f64_e32 v[144:145], v[6:7], v[144:145]
	ds_load_b128 v[178:181], v2 offset:1536
	v_fmac_f64_e32 v[194:195], v[188:189], v[138:139]
	v_fma_f64 v[186:187], v[186:187], v[138:139], -v[140:141]
	scratch_load_b128 v[138:141], off, off offset:736
	v_add_f64_e32 v[190:191], v[190:191], v[196:197]
	v_fmac_f64_e32 v[192:193], v[6:7], v[142:143]
	v_add_f64_e32 v[188:189], v[200:201], v[198:199]
	;; [unrolled: 18-line block ×8, first 2 shown]
	v_fma_f64 v[198:199], v[4:5], v[142:143], -v[144:145]
	ds_load_b128 v[4:7], v2 offset:1744
	s_wait_loadcnt_dscnt 0xa01
	v_mul_f64_e32 v[196:197], v[178:179], v[148:149]
	v_mul_f64_e32 v[148:149], v[180:181], v[148:149]
	scratch_load_b128 v[142:145], off, off offset:944
	v_add_f64_e32 v[190:191], v[190:191], v[194:195]
	s_wait_loadcnt_dscnt 0xa00
	v_mul_f64_e32 v[194:195], v[4:5], v[152:153]
	v_add_f64_e32 v[200:201], v[188:189], v[186:187]
	v_mul_f64_e32 v[152:153], v[6:7], v[152:153]
	ds_load_b128 v[186:189], v2 offset:1760
	v_fmac_f64_e32 v[196:197], v[180:181], v[146:147]
	v_fma_f64 v[146:147], v[178:179], v[146:147], -v[148:149]
	s_wait_loadcnt_dscnt 0x900
	v_mul_f64_e32 v[180:181], v[186:187], v[156:157]
	v_mul_f64_e32 v[156:157], v[188:189], v[156:157]
	v_add_f64_e32 v[178:179], v[190:191], v[192:193]
	v_fmac_f64_e32 v[194:195], v[6:7], v[150:151]
	v_add_f64_e32 v[148:149], v[200:201], v[198:199]
	v_fma_f64 v[150:151], v[4:5], v[150:151], -v[152:153]
	v_fmac_f64_e32 v[180:181], v[188:189], v[154:155]
	v_fma_f64 v[154:155], v[186:187], v[154:155], -v[156:157]
	v_add_f64_e32 v[178:179], v[178:179], v[196:197]
	v_add_f64_e32 v[152:153], v[148:149], v[146:147]
	ds_load_b128 v[4:7], v2 offset:1776
	ds_load_b128 v[146:149], v2 offset:1792
	s_wait_loadcnt_dscnt 0x801
	v_mul_f64_e32 v[190:191], v[4:5], v[160:161]
	v_mul_f64_e32 v[160:161], v[6:7], v[160:161]
	s_wait_loadcnt_dscnt 0x700
	v_mul_f64_e32 v[156:157], v[146:147], v[164:165]
	v_mul_f64_e32 v[164:165], v[148:149], v[164:165]
	v_add_f64_e32 v[150:151], v[152:153], v[150:151]
	v_add_f64_e32 v[152:153], v[178:179], v[194:195]
	v_fmac_f64_e32 v[190:191], v[6:7], v[158:159]
	v_fma_f64 v[158:159], v[4:5], v[158:159], -v[160:161]
	v_fmac_f64_e32 v[156:157], v[148:149], v[162:163]
	v_fma_f64 v[146:147], v[146:147], v[162:163], -v[164:165]
	v_add_f64_e32 v[154:155], v[150:151], v[154:155]
	v_add_f64_e32 v[160:161], v[152:153], v[180:181]
	ds_load_b128 v[4:7], v2 offset:1808
	ds_load_b128 v[150:153], v2 offset:1824
	s_wait_loadcnt_dscnt 0x601
	v_mul_f64_e32 v[178:179], v[4:5], v[172:173]
	v_mul_f64_e32 v[172:173], v[6:7], v[172:173]
	v_add_f64_e32 v[148:149], v[154:155], v[158:159]
	v_add_f64_e32 v[154:155], v[160:161], v[190:191]
	s_wait_loadcnt_dscnt 0x500
	v_mul_f64_e32 v[158:159], v[150:151], v[184:185]
	v_mul_f64_e32 v[160:161], v[152:153], v[184:185]
	v_fmac_f64_e32 v[178:179], v[6:7], v[170:171]
	v_fma_f64 v[162:163], v[4:5], v[170:171], -v[172:173]
	v_add_f64_e32 v[164:165], v[148:149], v[146:147]
	v_add_f64_e32 v[154:155], v[154:155], v[156:157]
	ds_load_b128 v[4:7], v2 offset:1840
	ds_load_b128 v[146:149], v2 offset:1856
	v_fmac_f64_e32 v[158:159], v[152:153], v[182:183]
	v_fma_f64 v[150:151], v[150:151], v[182:183], -v[160:161]
	s_wait_loadcnt_dscnt 0x401
	v_mul_f64_e32 v[156:157], v[4:5], v[168:169]
	v_mul_f64_e32 v[168:169], v[6:7], v[168:169]
	s_wait_loadcnt_dscnt 0x300
	v_mul_f64_e32 v[160:161], v[146:147], v[12:13]
	v_mul_f64_e32 v[12:13], v[148:149], v[12:13]
	v_add_f64_e32 v[152:153], v[164:165], v[162:163]
	v_add_f64_e32 v[154:155], v[154:155], v[178:179]
	v_fmac_f64_e32 v[156:157], v[6:7], v[166:167]
	v_fma_f64 v[162:163], v[4:5], v[166:167], -v[168:169]
	v_fmac_f64_e32 v[160:161], v[148:149], v[10:11]
	v_fma_f64 v[10:11], v[146:147], v[10:11], -v[12:13]
	v_add_f64_e32 v[164:165], v[152:153], v[150:151]
	v_add_f64_e32 v[154:155], v[154:155], v[158:159]
	ds_load_b128 v[4:7], v2 offset:1872
	ds_load_b128 v[150:153], v2 offset:1888
	s_wait_loadcnt_dscnt 0x201
	v_mul_f64_e32 v[158:159], v[4:5], v[136:137]
	v_mul_f64_e32 v[136:137], v[6:7], v[136:137]
	s_wait_loadcnt_dscnt 0x100
	v_mul_f64_e32 v[148:149], v[150:151], v[140:141]
	v_mul_f64_e32 v[140:141], v[152:153], v[140:141]
	v_add_f64_e32 v[12:13], v[164:165], v[162:163]
	v_add_f64_e32 v[146:147], v[154:155], v[156:157]
	v_fmac_f64_e32 v[158:159], v[6:7], v[134:135]
	v_fma_f64 v[134:135], v[4:5], v[134:135], -v[136:137]
	ds_load_b128 v[4:7], v2 offset:1904
	v_fmac_f64_e32 v[148:149], v[152:153], v[138:139]
	v_fma_f64 v[138:139], v[150:151], v[138:139], -v[140:141]
	v_add_f64_e32 v[10:11], v[12:13], v[10:11]
	v_add_f64_e32 v[12:13], v[146:147], v[160:161]
	s_wait_loadcnt_dscnt 0x0
	v_mul_f64_e32 v[136:137], v[4:5], v[144:145]
	v_mul_f64_e32 v[144:145], v[6:7], v[144:145]
	s_delay_alu instid0(VALU_DEP_4) | instskip(NEXT) | instid1(VALU_DEP_4)
	v_add_f64_e32 v[10:11], v[10:11], v[134:135]
	v_add_f64_e32 v[12:13], v[12:13], v[158:159]
	s_delay_alu instid0(VALU_DEP_4) | instskip(NEXT) | instid1(VALU_DEP_4)
	v_fmac_f64_e32 v[136:137], v[6:7], v[142:143]
	v_fma_f64 v[4:5], v[4:5], v[142:143], -v[144:145]
	s_delay_alu instid0(VALU_DEP_4) | instskip(NEXT) | instid1(VALU_DEP_4)
	v_add_f64_e32 v[6:7], v[10:11], v[138:139]
	v_add_f64_e32 v[10:11], v[12:13], v[148:149]
	s_delay_alu instid0(VALU_DEP_2) | instskip(NEXT) | instid1(VALU_DEP_2)
	v_add_f64_e32 v[4:5], v[6:7], v[4:5]
	v_add_f64_e32 v[6:7], v[10:11], v[136:137]
	s_delay_alu instid0(VALU_DEP_2) | instskip(NEXT) | instid1(VALU_DEP_2)
	v_add_f64_e64 v[4:5], v[174:175], -v[4:5]
	v_add_f64_e64 v[6:7], v[176:177], -v[6:7]
	scratch_store_b128 off, v[4:7], off offset:288
	s_wait_xcnt 0x0
	v_cmpx_lt_u32_e32 17, v1
	s_cbranch_execz .LBB59_339
; %bb.338:
	scratch_load_b128 v[10:13], off, s60
	v_dual_mov_b32 v3, v2 :: v_dual_mov_b32 v4, v2
	v_mov_b32_e32 v5, v2
	scratch_store_b128 off, v[2:5], off offset:272
	s_wait_loadcnt 0x0
	ds_store_b128 v8, v[10:13]
.LBB59_339:
	s_wait_xcnt 0x0
	s_or_b32 exec_lo, exec_lo, s2
	s_wait_storecnt_dscnt 0x0
	s_barrier_signal -1
	s_barrier_wait -1
	s_clause 0x9
	scratch_load_b128 v[4:7], off, off offset:288
	scratch_load_b128 v[10:13], off, off offset:304
	;; [unrolled: 1-line block ×10, first 2 shown]
	ds_load_b128 v[166:169], v2 offset:1248
	ds_load_b128 v[174:177], v2 offset:1264
	s_clause 0x2
	scratch_load_b128 v[170:173], off, off offset:448
	scratch_load_b128 v[178:181], off, off offset:272
	scratch_load_b128 v[182:185], off, off offset:464
	s_mov_b32 s2, exec_lo
	s_wait_loadcnt_dscnt 0xc01
	v_mul_f64_e32 v[186:187], v[168:169], v[6:7]
	v_mul_f64_e32 v[190:191], v[166:167], v[6:7]
	s_wait_loadcnt_dscnt 0xb00
	v_mul_f64_e32 v[192:193], v[174:175], v[12:13]
	v_mul_f64_e32 v[12:13], v[176:177], v[12:13]
	s_delay_alu instid0(VALU_DEP_4) | instskip(NEXT) | instid1(VALU_DEP_4)
	v_fma_f64 v[194:195], v[166:167], v[4:5], -v[186:187]
	v_fmac_f64_e32 v[190:191], v[168:169], v[4:5]
	ds_load_b128 v[4:7], v2 offset:1280
	ds_load_b128 v[166:169], v2 offset:1296
	scratch_load_b128 v[186:189], off, off offset:480
	v_fmac_f64_e32 v[192:193], v[176:177], v[10:11]
	v_fma_f64 v[174:175], v[174:175], v[10:11], -v[12:13]
	scratch_load_b128 v[10:13], off, off offset:496
	s_wait_loadcnt_dscnt 0xc01
	v_mul_f64_e32 v[196:197], v[4:5], v[136:137]
	v_mul_f64_e32 v[136:137], v[6:7], v[136:137]
	v_add_f64_e32 v[176:177], 0, v[194:195]
	v_add_f64_e32 v[190:191], 0, v[190:191]
	s_wait_loadcnt_dscnt 0xb00
	v_mul_f64_e32 v[194:195], v[166:167], v[140:141]
	v_mul_f64_e32 v[140:141], v[168:169], v[140:141]
	v_fmac_f64_e32 v[196:197], v[6:7], v[134:135]
	v_fma_f64 v[198:199], v[4:5], v[134:135], -v[136:137]
	ds_load_b128 v[4:7], v2 offset:1312
	ds_load_b128 v[134:137], v2 offset:1328
	v_add_f64_e32 v[200:201], v[176:177], v[174:175]
	v_add_f64_e32 v[190:191], v[190:191], v[192:193]
	scratch_load_b128 v[174:177], off, off offset:512
	v_fmac_f64_e32 v[194:195], v[168:169], v[138:139]
	v_fma_f64 v[166:167], v[166:167], v[138:139], -v[140:141]
	scratch_load_b128 v[138:141], off, off offset:528
	s_wait_loadcnt_dscnt 0xc01
	v_mul_f64_e32 v[192:193], v[4:5], v[144:145]
	v_mul_f64_e32 v[144:145], v[6:7], v[144:145]
	v_add_f64_e32 v[168:169], v[200:201], v[198:199]
	v_add_f64_e32 v[190:191], v[190:191], v[196:197]
	s_wait_loadcnt_dscnt 0xb00
	v_mul_f64_e32 v[196:197], v[134:135], v[148:149]
	v_mul_f64_e32 v[148:149], v[136:137], v[148:149]
	v_fmac_f64_e32 v[192:193], v[6:7], v[142:143]
	v_fma_f64 v[198:199], v[4:5], v[142:143], -v[144:145]
	ds_load_b128 v[4:7], v2 offset:1344
	ds_load_b128 v[142:145], v2 offset:1360
	v_add_f64_e32 v[200:201], v[168:169], v[166:167]
	v_add_f64_e32 v[190:191], v[190:191], v[194:195]
	scratch_load_b128 v[166:169], off, off offset:544
	s_wait_loadcnt_dscnt 0xb01
	v_mul_f64_e32 v[194:195], v[4:5], v[152:153]
	v_mul_f64_e32 v[152:153], v[6:7], v[152:153]
	v_fmac_f64_e32 v[196:197], v[136:137], v[146:147]
	v_fma_f64 v[146:147], v[134:135], v[146:147], -v[148:149]
	scratch_load_b128 v[134:137], off, off offset:560
	v_add_f64_e32 v[148:149], v[200:201], v[198:199]
	v_add_f64_e32 v[190:191], v[190:191], v[192:193]
	s_wait_loadcnt_dscnt 0xb00
	v_mul_f64_e32 v[192:193], v[142:143], v[156:157]
	v_mul_f64_e32 v[156:157], v[144:145], v[156:157]
	v_fmac_f64_e32 v[194:195], v[6:7], v[150:151]
	v_fma_f64 v[198:199], v[4:5], v[150:151], -v[152:153]
	v_add_f64_e32 v[200:201], v[148:149], v[146:147]
	v_add_f64_e32 v[190:191], v[190:191], v[196:197]
	ds_load_b128 v[4:7], v2 offset:1376
	ds_load_b128 v[146:149], v2 offset:1392
	scratch_load_b128 v[150:153], off, off offset:576
	v_fmac_f64_e32 v[192:193], v[144:145], v[154:155]
	v_fma_f64 v[154:155], v[142:143], v[154:155], -v[156:157]
	scratch_load_b128 v[142:145], off, off offset:592
	s_wait_loadcnt_dscnt 0xc01
	v_mul_f64_e32 v[196:197], v[4:5], v[160:161]
	v_mul_f64_e32 v[160:161], v[6:7], v[160:161]
	v_add_f64_e32 v[156:157], v[200:201], v[198:199]
	v_add_f64_e32 v[190:191], v[190:191], v[194:195]
	s_wait_loadcnt_dscnt 0xb00
	v_mul_f64_e32 v[194:195], v[146:147], v[164:165]
	v_mul_f64_e32 v[164:165], v[148:149], v[164:165]
	v_fmac_f64_e32 v[196:197], v[6:7], v[158:159]
	v_fma_f64 v[198:199], v[4:5], v[158:159], -v[160:161]
	v_add_f64_e32 v[200:201], v[156:157], v[154:155]
	v_add_f64_e32 v[190:191], v[190:191], v[192:193]
	ds_load_b128 v[4:7], v2 offset:1408
	ds_load_b128 v[154:157], v2 offset:1424
	scratch_load_b128 v[158:161], off, off offset:608
	v_fmac_f64_e32 v[194:195], v[148:149], v[162:163]
	v_fma_f64 v[162:163], v[146:147], v[162:163], -v[164:165]
	scratch_load_b128 v[146:149], off, off offset:624
	s_wait_loadcnt_dscnt 0xc01
	v_mul_f64_e32 v[192:193], v[4:5], v[172:173]
	v_mul_f64_e32 v[172:173], v[6:7], v[172:173]
	;; [unrolled: 18-line block ×5, first 2 shown]
	v_add_f64_e32 v[184:185], v[200:201], v[198:199]
	v_add_f64_e32 v[190:191], v[190:191], v[196:197]
	s_wait_loadcnt_dscnt 0xa00
	v_mul_f64_e32 v[196:197], v[162:163], v[136:137]
	v_mul_f64_e32 v[136:137], v[164:165], v[136:137]
	v_fmac_f64_e32 v[192:193], v[6:7], v[166:167]
	v_fma_f64 v[198:199], v[4:5], v[166:167], -v[168:169]
	ds_load_b128 v[4:7], v2 offset:1536
	ds_load_b128 v[166:169], v2 offset:1552
	v_add_f64_e32 v[200:201], v[184:185], v[182:183]
	v_add_f64_e32 v[190:191], v[190:191], v[194:195]
	scratch_load_b128 v[182:185], off, off offset:736
	v_fmac_f64_e32 v[196:197], v[164:165], v[134:135]
	v_fma_f64 v[162:163], v[162:163], v[134:135], -v[136:137]
	scratch_load_b128 v[134:137], off, off offset:752
	s_wait_loadcnt_dscnt 0xb01
	v_mul_f64_e32 v[194:195], v[4:5], v[152:153]
	v_mul_f64_e32 v[152:153], v[6:7], v[152:153]
	v_add_f64_e32 v[164:165], v[200:201], v[198:199]
	v_add_f64_e32 v[190:191], v[190:191], v[192:193]
	s_wait_loadcnt_dscnt 0xa00
	v_mul_f64_e32 v[192:193], v[166:167], v[144:145]
	v_mul_f64_e32 v[144:145], v[168:169], v[144:145]
	v_fmac_f64_e32 v[194:195], v[6:7], v[150:151]
	v_fma_f64 v[198:199], v[4:5], v[150:151], -v[152:153]
	ds_load_b128 v[4:7], v2 offset:1568
	ds_load_b128 v[150:153], v2 offset:1584
	v_add_f64_e32 v[200:201], v[164:165], v[162:163]
	v_add_f64_e32 v[190:191], v[190:191], v[196:197]
	scratch_load_b128 v[162:165], off, off offset:768
	s_wait_loadcnt_dscnt 0xa01
	v_mul_f64_e32 v[196:197], v[4:5], v[160:161]
	v_mul_f64_e32 v[160:161], v[6:7], v[160:161]
	v_fmac_f64_e32 v[192:193], v[168:169], v[142:143]
	v_fma_f64 v[166:167], v[166:167], v[142:143], -v[144:145]
	scratch_load_b128 v[142:145], off, off offset:784
	v_add_f64_e32 v[168:169], v[200:201], v[198:199]
	v_add_f64_e32 v[190:191], v[190:191], v[194:195]
	s_wait_loadcnt_dscnt 0xa00
	v_mul_f64_e32 v[194:195], v[150:151], v[148:149]
	v_mul_f64_e32 v[148:149], v[152:153], v[148:149]
	v_fmac_f64_e32 v[196:197], v[6:7], v[158:159]
	v_fma_f64 v[198:199], v[4:5], v[158:159], -v[160:161]
	ds_load_b128 v[4:7], v2 offset:1600
	ds_load_b128 v[158:161], v2 offset:1616
	v_add_f64_e32 v[200:201], v[168:169], v[166:167]
	v_add_f64_e32 v[190:191], v[190:191], v[192:193]
	scratch_load_b128 v[166:169], off, off offset:800
	s_wait_loadcnt_dscnt 0xa01
	v_mul_f64_e32 v[192:193], v[4:5], v[172:173]
	v_mul_f64_e32 v[172:173], v[6:7], v[172:173]
	v_fmac_f64_e32 v[194:195], v[152:153], v[146:147]
	v_fma_f64 v[150:151], v[150:151], v[146:147], -v[148:149]
	scratch_load_b128 v[146:149], off, off offset:816
	v_add_f64_e32 v[152:153], v[200:201], v[198:199]
	v_add_f64_e32 v[190:191], v[190:191], v[196:197]
	s_wait_loadcnt_dscnt 0xa00
	v_mul_f64_e32 v[196:197], v[158:159], v[156:157]
	v_mul_f64_e32 v[156:157], v[160:161], v[156:157]
	v_fmac_f64_e32 v[192:193], v[6:7], v[170:171]
	v_fma_f64 v[198:199], v[4:5], v[170:171], -v[172:173]
	v_add_f64_e32 v[200:201], v[152:153], v[150:151]
	v_add_f64_e32 v[190:191], v[190:191], v[194:195]
	ds_load_b128 v[4:7], v2 offset:1632
	ds_load_b128 v[150:153], v2 offset:1648
	scratch_load_b128 v[170:173], off, off offset:832
	v_fmac_f64_e32 v[196:197], v[160:161], v[154:155]
	v_fma_f64 v[158:159], v[158:159], v[154:155], -v[156:157]
	scratch_load_b128 v[154:157], off, off offset:848
	s_wait_loadcnt_dscnt 0xb01
	v_mul_f64_e32 v[194:195], v[4:5], v[188:189]
	v_mul_f64_e32 v[188:189], v[6:7], v[188:189]
	v_add_f64_e32 v[160:161], v[200:201], v[198:199]
	v_add_f64_e32 v[190:191], v[190:191], v[192:193]
	s_wait_loadcnt_dscnt 0xa00
	v_mul_f64_e32 v[192:193], v[150:151], v[12:13]
	v_mul_f64_e32 v[12:13], v[152:153], v[12:13]
	v_fmac_f64_e32 v[194:195], v[6:7], v[186:187]
	v_fma_f64 v[198:199], v[4:5], v[186:187], -v[188:189]
	v_add_f64_e32 v[200:201], v[160:161], v[158:159]
	v_add_f64_e32 v[190:191], v[190:191], v[196:197]
	ds_load_b128 v[4:7], v2 offset:1664
	ds_load_b128 v[158:161], v2 offset:1680
	scratch_load_b128 v[186:189], off, off offset:864
	v_fmac_f64_e32 v[192:193], v[152:153], v[10:11]
	v_fma_f64 v[150:151], v[150:151], v[10:11], -v[12:13]
	scratch_load_b128 v[10:13], off, off offset:880
	s_wait_loadcnt_dscnt 0xb01
	v_mul_f64_e32 v[196:197], v[4:5], v[176:177]
	v_mul_f64_e32 v[176:177], v[6:7], v[176:177]
	;; [unrolled: 18-line block ×4, first 2 shown]
	v_add_f64_e32 v[152:153], v[200:201], v[198:199]
	v_add_f64_e32 v[190:191], v[190:191], v[192:193]
	s_wait_loadcnt_dscnt 0xa00
	v_mul_f64_e32 v[192:193], v[158:159], v[144:145]
	v_mul_f64_e32 v[144:145], v[160:161], v[144:145]
	v_fmac_f64_e32 v[194:195], v[6:7], v[162:163]
	v_fma_f64 v[162:163], v[4:5], v[162:163], -v[164:165]
	v_add_f64_e32 v[164:165], v[152:153], v[150:151]
	v_add_f64_e32 v[190:191], v[190:191], v[196:197]
	ds_load_b128 v[4:7], v2 offset:1760
	ds_load_b128 v[150:153], v2 offset:1776
	v_fmac_f64_e32 v[192:193], v[160:161], v[142:143]
	v_fma_f64 v[142:143], v[158:159], v[142:143], -v[144:145]
	s_wait_loadcnt_dscnt 0x901
	v_mul_f64_e32 v[196:197], v[4:5], v[168:169]
	v_mul_f64_e32 v[168:169], v[6:7], v[168:169]
	s_wait_loadcnt_dscnt 0x800
	v_mul_f64_e32 v[160:161], v[150:151], v[148:149]
	v_mul_f64_e32 v[148:149], v[152:153], v[148:149]
	v_add_f64_e32 v[144:145], v[164:165], v[162:163]
	v_add_f64_e32 v[158:159], v[190:191], v[194:195]
	v_fmac_f64_e32 v[196:197], v[6:7], v[166:167]
	v_fma_f64 v[162:163], v[4:5], v[166:167], -v[168:169]
	v_fmac_f64_e32 v[160:161], v[152:153], v[146:147]
	v_fma_f64 v[146:147], v[150:151], v[146:147], -v[148:149]
	v_add_f64_e32 v[164:165], v[144:145], v[142:143]
	v_add_f64_e32 v[158:159], v[158:159], v[192:193]
	ds_load_b128 v[4:7], v2 offset:1792
	ds_load_b128 v[142:145], v2 offset:1808
	s_wait_loadcnt_dscnt 0x701
	v_mul_f64_e32 v[166:167], v[4:5], v[172:173]
	v_mul_f64_e32 v[168:169], v[6:7], v[172:173]
	s_wait_loadcnt_dscnt 0x600
	v_mul_f64_e32 v[152:153], v[142:143], v[156:157]
	v_mul_f64_e32 v[156:157], v[144:145], v[156:157]
	v_add_f64_e32 v[148:149], v[164:165], v[162:163]
	v_add_f64_e32 v[150:151], v[158:159], v[196:197]
	v_fmac_f64_e32 v[166:167], v[6:7], v[170:171]
	v_fma_f64 v[158:159], v[4:5], v[170:171], -v[168:169]
	v_fmac_f64_e32 v[152:153], v[144:145], v[154:155]
	v_fma_f64 v[142:143], v[142:143], v[154:155], -v[156:157]
	v_add_f64_e32 v[162:163], v[148:149], v[146:147]
	v_add_f64_e32 v[150:151], v[150:151], v[160:161]
	ds_load_b128 v[4:7], v2 offset:1824
	ds_load_b128 v[146:149], v2 offset:1840
	;; [unrolled: 16-line block ×4, first 2 shown]
	s_wait_loadcnt_dscnt 0x101
	v_mul_f64_e32 v[2:3], v[4:5], v[184:185]
	v_mul_f64_e32 v[154:155], v[6:7], v[184:185]
	s_wait_loadcnt_dscnt 0x0
	v_mul_f64_e32 v[144:145], v[10:11], v[136:137]
	v_mul_f64_e32 v[136:137], v[12:13], v[136:137]
	v_add_f64_e32 v[140:141], v[156:157], v[150:151]
	v_add_f64_e32 v[142:143], v[146:147], v[152:153]
	v_fmac_f64_e32 v[2:3], v[6:7], v[182:183]
	v_fma_f64 v[4:5], v[4:5], v[182:183], -v[154:155]
	v_fmac_f64_e32 v[144:145], v[12:13], v[134:135]
	v_fma_f64 v[10:11], v[10:11], v[134:135], -v[136:137]
	v_add_f64_e32 v[6:7], v[140:141], v[138:139]
	v_add_f64_e32 v[138:139], v[142:143], v[148:149]
	s_delay_alu instid0(VALU_DEP_2) | instskip(NEXT) | instid1(VALU_DEP_2)
	v_add_f64_e32 v[4:5], v[6:7], v[4:5]
	v_add_f64_e32 v[2:3], v[138:139], v[2:3]
	s_delay_alu instid0(VALU_DEP_2) | instskip(NEXT) | instid1(VALU_DEP_2)
	;; [unrolled: 3-line block ×3, first 2 shown]
	v_add_f64_e64 v[2:3], v[178:179], -v[4:5]
	v_add_f64_e64 v[4:5], v[180:181], -v[6:7]
	scratch_store_b128 off, v[2:5], off offset:272
	s_wait_xcnt 0x0
	v_cmpx_lt_u32_e32 16, v1
	s_cbranch_execz .LBB59_341
; %bb.340:
	scratch_load_b128 v[2:5], off, s57
	v_mov_b32_e32 v10, 0
	s_delay_alu instid0(VALU_DEP_1)
	v_dual_mov_b32 v11, v10 :: v_dual_mov_b32 v12, v10
	v_mov_b32_e32 v13, v10
	scratch_store_b128 off, v[10:13], off offset:256
	s_wait_loadcnt 0x0
	ds_store_b128 v8, v[2:5]
.LBB59_341:
	s_wait_xcnt 0x0
	s_or_b32 exec_lo, exec_lo, s2
	s_wait_storecnt_dscnt 0x0
	s_barrier_signal -1
	s_barrier_wait -1
	s_clause 0x9
	scratch_load_b128 v[4:7], off, off offset:272
	scratch_load_b128 v[10:13], off, off offset:288
	;; [unrolled: 1-line block ×10, first 2 shown]
	v_mov_b32_e32 v2, 0
	s_mov_b32 s2, exec_lo
	ds_load_b128 v[166:169], v2 offset:1232
	s_clause 0x2
	scratch_load_b128 v[170:173], off, off offset:432
	scratch_load_b128 v[174:177], off, off offset:256
	;; [unrolled: 1-line block ×3, first 2 shown]
	s_wait_loadcnt_dscnt 0xc00
	v_mul_f64_e32 v[186:187], v[168:169], v[6:7]
	v_mul_f64_e32 v[190:191], v[166:167], v[6:7]
	ds_load_b128 v[178:181], v2 offset:1248
	v_fma_f64 v[194:195], v[166:167], v[4:5], -v[186:187]
	v_fmac_f64_e32 v[190:191], v[168:169], v[4:5]
	ds_load_b128 v[4:7], v2 offset:1264
	s_wait_loadcnt_dscnt 0xb01
	v_mul_f64_e32 v[192:193], v[178:179], v[12:13]
	v_mul_f64_e32 v[12:13], v[180:181], v[12:13]
	scratch_load_b128 v[166:169], off, off offset:464
	ds_load_b128 v[186:189], v2 offset:1280
	s_wait_loadcnt_dscnt 0xb01
	v_mul_f64_e32 v[196:197], v[4:5], v[136:137]
	v_mul_f64_e32 v[136:137], v[6:7], v[136:137]
	v_add_f64_e32 v[190:191], 0, v[190:191]
	v_fmac_f64_e32 v[192:193], v[180:181], v[10:11]
	v_fma_f64 v[178:179], v[178:179], v[10:11], -v[12:13]
	v_add_f64_e32 v[180:181], 0, v[194:195]
	scratch_load_b128 v[10:13], off, off offset:480
	v_fmac_f64_e32 v[196:197], v[6:7], v[134:135]
	v_fma_f64 v[198:199], v[4:5], v[134:135], -v[136:137]
	ds_load_b128 v[4:7], v2 offset:1296
	s_wait_loadcnt_dscnt 0xb01
	v_mul_f64_e32 v[194:195], v[186:187], v[140:141]
	v_mul_f64_e32 v[140:141], v[188:189], v[140:141]
	scratch_load_b128 v[134:137], off, off offset:496
	v_add_f64_e32 v[190:191], v[190:191], v[192:193]
	v_add_f64_e32 v[200:201], v[180:181], v[178:179]
	ds_load_b128 v[178:181], v2 offset:1312
	s_wait_loadcnt_dscnt 0xb01
	v_mul_f64_e32 v[192:193], v[4:5], v[144:145]
	v_mul_f64_e32 v[144:145], v[6:7], v[144:145]
	v_fmac_f64_e32 v[194:195], v[188:189], v[138:139]
	v_fma_f64 v[186:187], v[186:187], v[138:139], -v[140:141]
	scratch_load_b128 v[138:141], off, off offset:512
	v_add_f64_e32 v[190:191], v[190:191], v[196:197]
	v_add_f64_e32 v[188:189], v[200:201], v[198:199]
	v_fmac_f64_e32 v[192:193], v[6:7], v[142:143]
	v_fma_f64 v[198:199], v[4:5], v[142:143], -v[144:145]
	ds_load_b128 v[4:7], v2 offset:1328
	s_wait_loadcnt_dscnt 0xb01
	v_mul_f64_e32 v[196:197], v[178:179], v[148:149]
	v_mul_f64_e32 v[148:149], v[180:181], v[148:149]
	scratch_load_b128 v[142:145], off, off offset:528
	v_add_f64_e32 v[190:191], v[190:191], v[194:195]
	s_wait_loadcnt_dscnt 0xb00
	v_mul_f64_e32 v[194:195], v[4:5], v[152:153]
	v_add_f64_e32 v[200:201], v[188:189], v[186:187]
	v_mul_f64_e32 v[152:153], v[6:7], v[152:153]
	ds_load_b128 v[186:189], v2 offset:1344
	v_fmac_f64_e32 v[196:197], v[180:181], v[146:147]
	v_fma_f64 v[178:179], v[178:179], v[146:147], -v[148:149]
	scratch_load_b128 v[146:149], off, off offset:544
	v_add_f64_e32 v[190:191], v[190:191], v[192:193]
	v_fmac_f64_e32 v[194:195], v[6:7], v[150:151]
	v_add_f64_e32 v[180:181], v[200:201], v[198:199]
	v_fma_f64 v[198:199], v[4:5], v[150:151], -v[152:153]
	ds_load_b128 v[4:7], v2 offset:1360
	s_wait_loadcnt_dscnt 0xb01
	v_mul_f64_e32 v[192:193], v[186:187], v[156:157]
	v_mul_f64_e32 v[156:157], v[188:189], v[156:157]
	scratch_load_b128 v[150:153], off, off offset:560
	v_add_f64_e32 v[190:191], v[190:191], v[196:197]
	s_wait_loadcnt_dscnt 0xb00
	v_mul_f64_e32 v[196:197], v[4:5], v[160:161]
	v_add_f64_e32 v[200:201], v[180:181], v[178:179]
	v_mul_f64_e32 v[160:161], v[6:7], v[160:161]
	ds_load_b128 v[178:181], v2 offset:1376
	v_fmac_f64_e32 v[192:193], v[188:189], v[154:155]
	v_fma_f64 v[186:187], v[186:187], v[154:155], -v[156:157]
	scratch_load_b128 v[154:157], off, off offset:576
	v_add_f64_e32 v[190:191], v[190:191], v[194:195]
	v_fmac_f64_e32 v[196:197], v[6:7], v[158:159]
	v_add_f64_e32 v[188:189], v[200:201], v[198:199]
	;; [unrolled: 18-line block ×3, first 2 shown]
	v_fma_f64 v[198:199], v[4:5], v[170:171], -v[172:173]
	ds_load_b128 v[4:7], v2 offset:1424
	s_wait_loadcnt_dscnt 0xa01
	v_mul_f64_e32 v[196:197], v[186:187], v[184:185]
	v_mul_f64_e32 v[184:185], v[188:189], v[184:185]
	scratch_load_b128 v[170:173], off, off offset:624
	v_add_f64_e32 v[190:191], v[190:191], v[194:195]
	v_add_f64_e32 v[200:201], v[180:181], v[178:179]
	s_wait_loadcnt_dscnt 0xa00
	v_mul_f64_e32 v[194:195], v[4:5], v[168:169]
	v_mul_f64_e32 v[168:169], v[6:7], v[168:169]
	v_fmac_f64_e32 v[196:197], v[188:189], v[182:183]
	v_fma_f64 v[186:187], v[186:187], v[182:183], -v[184:185]
	ds_load_b128 v[178:181], v2 offset:1440
	scratch_load_b128 v[182:185], off, off offset:640
	v_add_f64_e32 v[190:191], v[190:191], v[192:193]
	v_add_f64_e32 v[188:189], v[200:201], v[198:199]
	v_fmac_f64_e32 v[194:195], v[6:7], v[166:167]
	v_fma_f64 v[198:199], v[4:5], v[166:167], -v[168:169]
	ds_load_b128 v[4:7], v2 offset:1456
	s_wait_loadcnt_dscnt 0xa01
	v_mul_f64_e32 v[192:193], v[178:179], v[12:13]
	v_mul_f64_e32 v[12:13], v[180:181], v[12:13]
	scratch_load_b128 v[166:169], off, off offset:656
	v_add_f64_e32 v[190:191], v[190:191], v[196:197]
	s_wait_loadcnt_dscnt 0xa00
	v_mul_f64_e32 v[196:197], v[4:5], v[136:137]
	v_add_f64_e32 v[200:201], v[188:189], v[186:187]
	v_mul_f64_e32 v[136:137], v[6:7], v[136:137]
	ds_load_b128 v[186:189], v2 offset:1472
	v_fmac_f64_e32 v[192:193], v[180:181], v[10:11]
	v_fma_f64 v[178:179], v[178:179], v[10:11], -v[12:13]
	scratch_load_b128 v[10:13], off, off offset:672
	v_add_f64_e32 v[190:191], v[190:191], v[194:195]
	v_fmac_f64_e32 v[196:197], v[6:7], v[134:135]
	v_add_f64_e32 v[180:181], v[200:201], v[198:199]
	v_fma_f64 v[198:199], v[4:5], v[134:135], -v[136:137]
	ds_load_b128 v[4:7], v2 offset:1488
	s_wait_loadcnt_dscnt 0xa01
	v_mul_f64_e32 v[194:195], v[186:187], v[140:141]
	v_mul_f64_e32 v[140:141], v[188:189], v[140:141]
	scratch_load_b128 v[134:137], off, off offset:688
	v_add_f64_e32 v[190:191], v[190:191], v[192:193]
	s_wait_loadcnt_dscnt 0xa00
	v_mul_f64_e32 v[192:193], v[4:5], v[144:145]
	v_add_f64_e32 v[200:201], v[180:181], v[178:179]
	v_mul_f64_e32 v[144:145], v[6:7], v[144:145]
	ds_load_b128 v[178:181], v2 offset:1504
	v_fmac_f64_e32 v[194:195], v[188:189], v[138:139]
	v_fma_f64 v[186:187], v[186:187], v[138:139], -v[140:141]
	scratch_load_b128 v[138:141], off, off offset:704
	v_add_f64_e32 v[190:191], v[190:191], v[196:197]
	v_fmac_f64_e32 v[192:193], v[6:7], v[142:143]
	v_add_f64_e32 v[188:189], v[200:201], v[198:199]
	;; [unrolled: 18-line block ×9, first 2 shown]
	v_fma_f64 v[198:199], v[4:5], v[150:151], -v[152:153]
	ds_load_b128 v[4:7], v2 offset:1744
	s_wait_loadcnt_dscnt 0xa01
	v_mul_f64_e32 v[192:193], v[186:187], v[156:157]
	v_mul_f64_e32 v[156:157], v[188:189], v[156:157]
	scratch_load_b128 v[150:153], off, off offset:944
	v_add_f64_e32 v[190:191], v[190:191], v[196:197]
	s_wait_loadcnt_dscnt 0xa00
	v_mul_f64_e32 v[196:197], v[4:5], v[160:161]
	v_add_f64_e32 v[200:201], v[180:181], v[178:179]
	v_mul_f64_e32 v[160:161], v[6:7], v[160:161]
	ds_load_b128 v[178:181], v2 offset:1760
	v_fmac_f64_e32 v[192:193], v[188:189], v[154:155]
	v_fma_f64 v[154:155], v[186:187], v[154:155], -v[156:157]
	s_wait_loadcnt_dscnt 0x900
	v_mul_f64_e32 v[188:189], v[178:179], v[164:165]
	v_mul_f64_e32 v[164:165], v[180:181], v[164:165]
	v_add_f64_e32 v[186:187], v[190:191], v[194:195]
	v_fmac_f64_e32 v[196:197], v[6:7], v[158:159]
	v_add_f64_e32 v[156:157], v[200:201], v[198:199]
	v_fma_f64 v[158:159], v[4:5], v[158:159], -v[160:161]
	v_fmac_f64_e32 v[188:189], v[180:181], v[162:163]
	v_fma_f64 v[162:163], v[178:179], v[162:163], -v[164:165]
	v_add_f64_e32 v[186:187], v[186:187], v[192:193]
	v_add_f64_e32 v[160:161], v[156:157], v[154:155]
	ds_load_b128 v[4:7], v2 offset:1776
	ds_load_b128 v[154:157], v2 offset:1792
	s_wait_loadcnt_dscnt 0x801
	v_mul_f64_e32 v[190:191], v[4:5], v[172:173]
	v_mul_f64_e32 v[172:173], v[6:7], v[172:173]
	s_wait_loadcnt_dscnt 0x700
	v_mul_f64_e32 v[164:165], v[154:155], v[184:185]
	v_mul_f64_e32 v[178:179], v[156:157], v[184:185]
	v_add_f64_e32 v[158:159], v[160:161], v[158:159]
	v_add_f64_e32 v[160:161], v[186:187], v[196:197]
	v_fmac_f64_e32 v[190:191], v[6:7], v[170:171]
	v_fma_f64 v[170:171], v[4:5], v[170:171], -v[172:173]
	v_fmac_f64_e32 v[164:165], v[156:157], v[182:183]
	v_fma_f64 v[154:155], v[154:155], v[182:183], -v[178:179]
	v_add_f64_e32 v[162:163], v[158:159], v[162:163]
	v_add_f64_e32 v[172:173], v[160:161], v[188:189]
	ds_load_b128 v[4:7], v2 offset:1808
	ds_load_b128 v[158:161], v2 offset:1824
	s_wait_loadcnt_dscnt 0x601
	v_mul_f64_e32 v[180:181], v[4:5], v[168:169]
	v_mul_f64_e32 v[168:169], v[6:7], v[168:169]
	v_add_f64_e32 v[156:157], v[162:163], v[170:171]
	v_add_f64_e32 v[162:163], v[172:173], v[190:191]
	s_wait_loadcnt_dscnt 0x500
	v_mul_f64_e32 v[170:171], v[158:159], v[12:13]
	v_mul_f64_e32 v[12:13], v[160:161], v[12:13]
	v_fmac_f64_e32 v[180:181], v[6:7], v[166:167]
	v_fma_f64 v[166:167], v[4:5], v[166:167], -v[168:169]
	v_add_f64_e32 v[168:169], v[156:157], v[154:155]
	v_add_f64_e32 v[162:163], v[162:163], v[164:165]
	ds_load_b128 v[4:7], v2 offset:1840
	ds_load_b128 v[154:157], v2 offset:1856
	v_fmac_f64_e32 v[170:171], v[160:161], v[10:11]
	v_fma_f64 v[10:11], v[158:159], v[10:11], -v[12:13]
	s_wait_loadcnt_dscnt 0x401
	v_mul_f64_e32 v[164:165], v[4:5], v[136:137]
	v_mul_f64_e32 v[136:137], v[6:7], v[136:137]
	s_wait_loadcnt_dscnt 0x300
	v_mul_f64_e32 v[160:161], v[154:155], v[140:141]
	v_mul_f64_e32 v[140:141], v[156:157], v[140:141]
	v_add_f64_e32 v[12:13], v[168:169], v[166:167]
	v_add_f64_e32 v[158:159], v[162:163], v[180:181]
	v_fmac_f64_e32 v[164:165], v[6:7], v[134:135]
	v_fma_f64 v[134:135], v[4:5], v[134:135], -v[136:137]
	v_fmac_f64_e32 v[160:161], v[156:157], v[138:139]
	v_fma_f64 v[138:139], v[154:155], v[138:139], -v[140:141]
	v_add_f64_e32 v[136:137], v[12:13], v[10:11]
	v_add_f64_e32 v[158:159], v[158:159], v[170:171]
	ds_load_b128 v[4:7], v2 offset:1872
	ds_load_b128 v[10:13], v2 offset:1888
	s_wait_loadcnt_dscnt 0x201
	v_mul_f64_e32 v[162:163], v[4:5], v[144:145]
	v_mul_f64_e32 v[144:145], v[6:7], v[144:145]
	s_wait_loadcnt_dscnt 0x100
	v_mul_f64_e32 v[140:141], v[10:11], v[148:149]
	v_mul_f64_e32 v[148:149], v[12:13], v[148:149]
	v_add_f64_e32 v[134:135], v[136:137], v[134:135]
	v_add_f64_e32 v[136:137], v[158:159], v[164:165]
	v_fmac_f64_e32 v[162:163], v[6:7], v[142:143]
	v_fma_f64 v[142:143], v[4:5], v[142:143], -v[144:145]
	ds_load_b128 v[4:7], v2 offset:1904
	v_fmac_f64_e32 v[140:141], v[12:13], v[146:147]
	v_fma_f64 v[10:11], v[10:11], v[146:147], -v[148:149]
	v_add_f64_e32 v[134:135], v[134:135], v[138:139]
	v_add_f64_e32 v[136:137], v[136:137], v[160:161]
	s_wait_loadcnt_dscnt 0x0
	v_mul_f64_e32 v[138:139], v[4:5], v[152:153]
	v_mul_f64_e32 v[144:145], v[6:7], v[152:153]
	s_delay_alu instid0(VALU_DEP_4) | instskip(NEXT) | instid1(VALU_DEP_4)
	v_add_f64_e32 v[12:13], v[134:135], v[142:143]
	v_add_f64_e32 v[134:135], v[136:137], v[162:163]
	s_delay_alu instid0(VALU_DEP_4) | instskip(NEXT) | instid1(VALU_DEP_4)
	v_fmac_f64_e32 v[138:139], v[6:7], v[150:151]
	v_fma_f64 v[4:5], v[4:5], v[150:151], -v[144:145]
	s_delay_alu instid0(VALU_DEP_4) | instskip(NEXT) | instid1(VALU_DEP_4)
	v_add_f64_e32 v[6:7], v[12:13], v[10:11]
	v_add_f64_e32 v[10:11], v[134:135], v[140:141]
	s_delay_alu instid0(VALU_DEP_2) | instskip(NEXT) | instid1(VALU_DEP_2)
	v_add_f64_e32 v[4:5], v[6:7], v[4:5]
	v_add_f64_e32 v[6:7], v[10:11], v[138:139]
	s_delay_alu instid0(VALU_DEP_2) | instskip(NEXT) | instid1(VALU_DEP_2)
	v_add_f64_e64 v[4:5], v[174:175], -v[4:5]
	v_add_f64_e64 v[6:7], v[176:177], -v[6:7]
	scratch_store_b128 off, v[4:7], off offset:256
	s_wait_xcnt 0x0
	v_cmpx_lt_u32_e32 15, v1
	s_cbranch_execz .LBB59_343
; %bb.342:
	scratch_load_b128 v[10:13], off, s55
	v_dual_mov_b32 v3, v2 :: v_dual_mov_b32 v4, v2
	v_mov_b32_e32 v5, v2
	scratch_store_b128 off, v[2:5], off offset:240
	s_wait_loadcnt 0x0
	ds_store_b128 v8, v[10:13]
.LBB59_343:
	s_wait_xcnt 0x0
	s_or_b32 exec_lo, exec_lo, s2
	s_wait_storecnt_dscnt 0x0
	s_barrier_signal -1
	s_barrier_wait -1
	s_clause 0x9
	scratch_load_b128 v[4:7], off, off offset:256
	scratch_load_b128 v[10:13], off, off offset:272
	;; [unrolled: 1-line block ×10, first 2 shown]
	ds_load_b128 v[166:169], v2 offset:1216
	ds_load_b128 v[174:177], v2 offset:1232
	s_clause 0x2
	scratch_load_b128 v[170:173], off, off offset:416
	scratch_load_b128 v[178:181], off, off offset:240
	;; [unrolled: 1-line block ×3, first 2 shown]
	s_mov_b32 s2, exec_lo
	s_wait_loadcnt_dscnt 0xc01
	v_mul_f64_e32 v[186:187], v[168:169], v[6:7]
	v_mul_f64_e32 v[190:191], v[166:167], v[6:7]
	s_wait_loadcnt_dscnt 0xb00
	v_mul_f64_e32 v[192:193], v[174:175], v[12:13]
	v_mul_f64_e32 v[12:13], v[176:177], v[12:13]
	s_delay_alu instid0(VALU_DEP_4) | instskip(NEXT) | instid1(VALU_DEP_4)
	v_fma_f64 v[194:195], v[166:167], v[4:5], -v[186:187]
	v_fmac_f64_e32 v[190:191], v[168:169], v[4:5]
	ds_load_b128 v[4:7], v2 offset:1248
	ds_load_b128 v[166:169], v2 offset:1264
	scratch_load_b128 v[186:189], off, off offset:448
	v_fmac_f64_e32 v[192:193], v[176:177], v[10:11]
	v_fma_f64 v[174:175], v[174:175], v[10:11], -v[12:13]
	scratch_load_b128 v[10:13], off, off offset:464
	s_wait_loadcnt_dscnt 0xc01
	v_mul_f64_e32 v[196:197], v[4:5], v[136:137]
	v_mul_f64_e32 v[136:137], v[6:7], v[136:137]
	v_add_f64_e32 v[176:177], 0, v[194:195]
	v_add_f64_e32 v[190:191], 0, v[190:191]
	s_wait_loadcnt_dscnt 0xb00
	v_mul_f64_e32 v[194:195], v[166:167], v[140:141]
	v_mul_f64_e32 v[140:141], v[168:169], v[140:141]
	v_fmac_f64_e32 v[196:197], v[6:7], v[134:135]
	v_fma_f64 v[198:199], v[4:5], v[134:135], -v[136:137]
	ds_load_b128 v[4:7], v2 offset:1280
	ds_load_b128 v[134:137], v2 offset:1296
	v_add_f64_e32 v[200:201], v[176:177], v[174:175]
	v_add_f64_e32 v[190:191], v[190:191], v[192:193]
	scratch_load_b128 v[174:177], off, off offset:480
	v_fmac_f64_e32 v[194:195], v[168:169], v[138:139]
	v_fma_f64 v[166:167], v[166:167], v[138:139], -v[140:141]
	scratch_load_b128 v[138:141], off, off offset:496
	s_wait_loadcnt_dscnt 0xc01
	v_mul_f64_e32 v[192:193], v[4:5], v[144:145]
	v_mul_f64_e32 v[144:145], v[6:7], v[144:145]
	v_add_f64_e32 v[168:169], v[200:201], v[198:199]
	v_add_f64_e32 v[190:191], v[190:191], v[196:197]
	s_wait_loadcnt_dscnt 0xb00
	v_mul_f64_e32 v[196:197], v[134:135], v[148:149]
	v_mul_f64_e32 v[148:149], v[136:137], v[148:149]
	v_fmac_f64_e32 v[192:193], v[6:7], v[142:143]
	v_fma_f64 v[198:199], v[4:5], v[142:143], -v[144:145]
	ds_load_b128 v[4:7], v2 offset:1312
	ds_load_b128 v[142:145], v2 offset:1328
	v_add_f64_e32 v[200:201], v[168:169], v[166:167]
	v_add_f64_e32 v[190:191], v[190:191], v[194:195]
	scratch_load_b128 v[166:169], off, off offset:512
	s_wait_loadcnt_dscnt 0xb01
	v_mul_f64_e32 v[194:195], v[4:5], v[152:153]
	v_mul_f64_e32 v[152:153], v[6:7], v[152:153]
	v_fmac_f64_e32 v[196:197], v[136:137], v[146:147]
	v_fma_f64 v[146:147], v[134:135], v[146:147], -v[148:149]
	scratch_load_b128 v[134:137], off, off offset:528
	v_add_f64_e32 v[148:149], v[200:201], v[198:199]
	v_add_f64_e32 v[190:191], v[190:191], v[192:193]
	s_wait_loadcnt_dscnt 0xb00
	v_mul_f64_e32 v[192:193], v[142:143], v[156:157]
	v_mul_f64_e32 v[156:157], v[144:145], v[156:157]
	v_fmac_f64_e32 v[194:195], v[6:7], v[150:151]
	v_fma_f64 v[198:199], v[4:5], v[150:151], -v[152:153]
	v_add_f64_e32 v[200:201], v[148:149], v[146:147]
	v_add_f64_e32 v[190:191], v[190:191], v[196:197]
	ds_load_b128 v[4:7], v2 offset:1344
	ds_load_b128 v[146:149], v2 offset:1360
	scratch_load_b128 v[150:153], off, off offset:544
	v_fmac_f64_e32 v[192:193], v[144:145], v[154:155]
	v_fma_f64 v[154:155], v[142:143], v[154:155], -v[156:157]
	scratch_load_b128 v[142:145], off, off offset:560
	s_wait_loadcnt_dscnt 0xc01
	v_mul_f64_e32 v[196:197], v[4:5], v[160:161]
	v_mul_f64_e32 v[160:161], v[6:7], v[160:161]
	v_add_f64_e32 v[156:157], v[200:201], v[198:199]
	v_add_f64_e32 v[190:191], v[190:191], v[194:195]
	s_wait_loadcnt_dscnt 0xb00
	v_mul_f64_e32 v[194:195], v[146:147], v[164:165]
	v_mul_f64_e32 v[164:165], v[148:149], v[164:165]
	v_fmac_f64_e32 v[196:197], v[6:7], v[158:159]
	v_fma_f64 v[198:199], v[4:5], v[158:159], -v[160:161]
	v_add_f64_e32 v[200:201], v[156:157], v[154:155]
	v_add_f64_e32 v[190:191], v[190:191], v[192:193]
	ds_load_b128 v[4:7], v2 offset:1376
	ds_load_b128 v[154:157], v2 offset:1392
	scratch_load_b128 v[158:161], off, off offset:576
	v_fmac_f64_e32 v[194:195], v[148:149], v[162:163]
	v_fma_f64 v[162:163], v[146:147], v[162:163], -v[164:165]
	scratch_load_b128 v[146:149], off, off offset:592
	s_wait_loadcnt_dscnt 0xc01
	v_mul_f64_e32 v[192:193], v[4:5], v[172:173]
	v_mul_f64_e32 v[172:173], v[6:7], v[172:173]
	;; [unrolled: 18-line block ×5, first 2 shown]
	v_add_f64_e32 v[184:185], v[200:201], v[198:199]
	v_add_f64_e32 v[190:191], v[190:191], v[196:197]
	s_wait_loadcnt_dscnt 0xa00
	v_mul_f64_e32 v[196:197], v[162:163], v[136:137]
	v_mul_f64_e32 v[136:137], v[164:165], v[136:137]
	v_fmac_f64_e32 v[192:193], v[6:7], v[166:167]
	v_fma_f64 v[198:199], v[4:5], v[166:167], -v[168:169]
	ds_load_b128 v[4:7], v2 offset:1504
	ds_load_b128 v[166:169], v2 offset:1520
	v_add_f64_e32 v[200:201], v[184:185], v[182:183]
	v_add_f64_e32 v[190:191], v[190:191], v[194:195]
	scratch_load_b128 v[182:185], off, off offset:704
	v_fmac_f64_e32 v[196:197], v[164:165], v[134:135]
	v_fma_f64 v[162:163], v[162:163], v[134:135], -v[136:137]
	scratch_load_b128 v[134:137], off, off offset:720
	s_wait_loadcnt_dscnt 0xb01
	v_mul_f64_e32 v[194:195], v[4:5], v[152:153]
	v_mul_f64_e32 v[152:153], v[6:7], v[152:153]
	v_add_f64_e32 v[164:165], v[200:201], v[198:199]
	v_add_f64_e32 v[190:191], v[190:191], v[192:193]
	s_wait_loadcnt_dscnt 0xa00
	v_mul_f64_e32 v[192:193], v[166:167], v[144:145]
	v_mul_f64_e32 v[144:145], v[168:169], v[144:145]
	v_fmac_f64_e32 v[194:195], v[6:7], v[150:151]
	v_fma_f64 v[198:199], v[4:5], v[150:151], -v[152:153]
	ds_load_b128 v[4:7], v2 offset:1536
	ds_load_b128 v[150:153], v2 offset:1552
	v_add_f64_e32 v[200:201], v[164:165], v[162:163]
	v_add_f64_e32 v[190:191], v[190:191], v[196:197]
	scratch_load_b128 v[162:165], off, off offset:736
	s_wait_loadcnt_dscnt 0xa01
	v_mul_f64_e32 v[196:197], v[4:5], v[160:161]
	v_mul_f64_e32 v[160:161], v[6:7], v[160:161]
	v_fmac_f64_e32 v[192:193], v[168:169], v[142:143]
	v_fma_f64 v[166:167], v[166:167], v[142:143], -v[144:145]
	scratch_load_b128 v[142:145], off, off offset:752
	v_add_f64_e32 v[168:169], v[200:201], v[198:199]
	v_add_f64_e32 v[190:191], v[190:191], v[194:195]
	s_wait_loadcnt_dscnt 0xa00
	v_mul_f64_e32 v[194:195], v[150:151], v[148:149]
	v_mul_f64_e32 v[148:149], v[152:153], v[148:149]
	v_fmac_f64_e32 v[196:197], v[6:7], v[158:159]
	v_fma_f64 v[198:199], v[4:5], v[158:159], -v[160:161]
	ds_load_b128 v[4:7], v2 offset:1568
	ds_load_b128 v[158:161], v2 offset:1584
	v_add_f64_e32 v[200:201], v[168:169], v[166:167]
	v_add_f64_e32 v[190:191], v[190:191], v[192:193]
	scratch_load_b128 v[166:169], off, off offset:768
	s_wait_loadcnt_dscnt 0xa01
	v_mul_f64_e32 v[192:193], v[4:5], v[172:173]
	v_mul_f64_e32 v[172:173], v[6:7], v[172:173]
	v_fmac_f64_e32 v[194:195], v[152:153], v[146:147]
	v_fma_f64 v[150:151], v[150:151], v[146:147], -v[148:149]
	scratch_load_b128 v[146:149], off, off offset:784
	v_add_f64_e32 v[152:153], v[200:201], v[198:199]
	v_add_f64_e32 v[190:191], v[190:191], v[196:197]
	s_wait_loadcnt_dscnt 0xa00
	v_mul_f64_e32 v[196:197], v[158:159], v[156:157]
	v_mul_f64_e32 v[156:157], v[160:161], v[156:157]
	v_fmac_f64_e32 v[192:193], v[6:7], v[170:171]
	v_fma_f64 v[198:199], v[4:5], v[170:171], -v[172:173]
	v_add_f64_e32 v[200:201], v[152:153], v[150:151]
	v_add_f64_e32 v[190:191], v[190:191], v[194:195]
	ds_load_b128 v[4:7], v2 offset:1600
	ds_load_b128 v[150:153], v2 offset:1616
	scratch_load_b128 v[170:173], off, off offset:800
	v_fmac_f64_e32 v[196:197], v[160:161], v[154:155]
	v_fma_f64 v[158:159], v[158:159], v[154:155], -v[156:157]
	scratch_load_b128 v[154:157], off, off offset:816
	s_wait_loadcnt_dscnt 0xb01
	v_mul_f64_e32 v[194:195], v[4:5], v[188:189]
	v_mul_f64_e32 v[188:189], v[6:7], v[188:189]
	v_add_f64_e32 v[160:161], v[200:201], v[198:199]
	v_add_f64_e32 v[190:191], v[190:191], v[192:193]
	s_wait_loadcnt_dscnt 0xa00
	v_mul_f64_e32 v[192:193], v[150:151], v[12:13]
	v_mul_f64_e32 v[12:13], v[152:153], v[12:13]
	v_fmac_f64_e32 v[194:195], v[6:7], v[186:187]
	v_fma_f64 v[198:199], v[4:5], v[186:187], -v[188:189]
	v_add_f64_e32 v[200:201], v[160:161], v[158:159]
	v_add_f64_e32 v[190:191], v[190:191], v[196:197]
	ds_load_b128 v[4:7], v2 offset:1632
	ds_load_b128 v[158:161], v2 offset:1648
	scratch_load_b128 v[186:189], off, off offset:832
	v_fmac_f64_e32 v[192:193], v[152:153], v[10:11]
	v_fma_f64 v[150:151], v[150:151], v[10:11], -v[12:13]
	scratch_load_b128 v[10:13], off, off offset:848
	s_wait_loadcnt_dscnt 0xb01
	v_mul_f64_e32 v[196:197], v[4:5], v[176:177]
	v_mul_f64_e32 v[176:177], v[6:7], v[176:177]
	;; [unrolled: 18-line block ×5, first 2 shown]
	v_add_f64_e32 v[160:161], v[200:201], v[198:199]
	v_add_f64_e32 v[190:191], v[190:191], v[194:195]
	s_wait_loadcnt_dscnt 0xa00
	v_mul_f64_e32 v[194:195], v[150:151], v[148:149]
	v_mul_f64_e32 v[148:149], v[152:153], v[148:149]
	v_fmac_f64_e32 v[196:197], v[6:7], v[166:167]
	v_fma_f64 v[166:167], v[4:5], v[166:167], -v[168:169]
	v_add_f64_e32 v[168:169], v[160:161], v[158:159]
	v_add_f64_e32 v[190:191], v[190:191], v[192:193]
	ds_load_b128 v[4:7], v2 offset:1760
	ds_load_b128 v[158:161], v2 offset:1776
	v_fmac_f64_e32 v[194:195], v[152:153], v[146:147]
	v_fma_f64 v[146:147], v[150:151], v[146:147], -v[148:149]
	s_wait_loadcnt_dscnt 0x901
	v_mul_f64_e32 v[192:193], v[4:5], v[172:173]
	v_mul_f64_e32 v[172:173], v[6:7], v[172:173]
	s_wait_loadcnt_dscnt 0x800
	v_mul_f64_e32 v[152:153], v[158:159], v[156:157]
	v_mul_f64_e32 v[156:157], v[160:161], v[156:157]
	v_add_f64_e32 v[148:149], v[168:169], v[166:167]
	v_add_f64_e32 v[150:151], v[190:191], v[196:197]
	v_fmac_f64_e32 v[192:193], v[6:7], v[170:171]
	v_fma_f64 v[166:167], v[4:5], v[170:171], -v[172:173]
	v_fmac_f64_e32 v[152:153], v[160:161], v[154:155]
	v_fma_f64 v[154:155], v[158:159], v[154:155], -v[156:157]
	v_add_f64_e32 v[168:169], v[148:149], v[146:147]
	v_add_f64_e32 v[150:151], v[150:151], v[194:195]
	ds_load_b128 v[4:7], v2 offset:1792
	ds_load_b128 v[146:149], v2 offset:1808
	s_wait_loadcnt_dscnt 0x701
	v_mul_f64_e32 v[170:171], v[4:5], v[188:189]
	v_mul_f64_e32 v[172:173], v[6:7], v[188:189]
	s_wait_loadcnt_dscnt 0x600
	v_mul_f64_e32 v[158:159], v[146:147], v[12:13]
	v_mul_f64_e32 v[12:13], v[148:149], v[12:13]
	v_add_f64_e32 v[156:157], v[168:169], v[166:167]
	v_add_f64_e32 v[150:151], v[150:151], v[192:193]
	v_fmac_f64_e32 v[170:171], v[6:7], v[186:187]
	v_fma_f64 v[160:161], v[4:5], v[186:187], -v[172:173]
	v_fmac_f64_e32 v[158:159], v[148:149], v[10:11]
	v_fma_f64 v[10:11], v[146:147], v[10:11], -v[12:13]
	v_add_f64_e32 v[154:155], v[156:157], v[154:155]
	v_add_f64_e32 v[156:157], v[150:151], v[152:153]
	ds_load_b128 v[4:7], v2 offset:1824
	ds_load_b128 v[150:153], v2 offset:1840
	;; [unrolled: 16-line block ×4, first 2 shown]
	s_wait_loadcnt_dscnt 0x101
	v_mul_f64_e32 v[2:3], v[4:5], v[164:165]
	v_mul_f64_e32 v[148:149], v[6:7], v[164:165]
	v_add_f64_e32 v[12:13], v[140:141], v[154:155]
	v_add_f64_e32 v[134:135], v[146:147], v[158:159]
	s_wait_loadcnt_dscnt 0x0
	v_mul_f64_e32 v[140:141], v[136:137], v[144:145]
	v_mul_f64_e32 v[144:145], v[138:139], v[144:145]
	v_fmac_f64_e32 v[2:3], v[6:7], v[162:163]
	v_fma_f64 v[4:5], v[4:5], v[162:163], -v[148:149]
	v_add_f64_e32 v[6:7], v[12:13], v[10:11]
	v_add_f64_e32 v[10:11], v[134:135], v[150:151]
	v_fmac_f64_e32 v[140:141], v[138:139], v[142:143]
	v_fma_f64 v[12:13], v[136:137], v[142:143], -v[144:145]
	s_delay_alu instid0(VALU_DEP_4) | instskip(NEXT) | instid1(VALU_DEP_4)
	v_add_f64_e32 v[4:5], v[6:7], v[4:5]
	v_add_f64_e32 v[2:3], v[10:11], v[2:3]
	s_delay_alu instid0(VALU_DEP_2) | instskip(NEXT) | instid1(VALU_DEP_2)
	v_add_f64_e32 v[4:5], v[4:5], v[12:13]
	v_add_f64_e32 v[6:7], v[2:3], v[140:141]
	s_delay_alu instid0(VALU_DEP_2) | instskip(NEXT) | instid1(VALU_DEP_2)
	v_add_f64_e64 v[2:3], v[178:179], -v[4:5]
	v_add_f64_e64 v[4:5], v[180:181], -v[6:7]
	scratch_store_b128 off, v[2:5], off offset:240
	s_wait_xcnt 0x0
	v_cmpx_lt_u32_e32 14, v1
	s_cbranch_execz .LBB59_345
; %bb.344:
	scratch_load_b128 v[2:5], off, s64
	v_mov_b32_e32 v10, 0
	s_delay_alu instid0(VALU_DEP_1)
	v_dual_mov_b32 v11, v10 :: v_dual_mov_b32 v12, v10
	v_mov_b32_e32 v13, v10
	scratch_store_b128 off, v[10:13], off offset:224
	s_wait_loadcnt 0x0
	ds_store_b128 v8, v[2:5]
.LBB59_345:
	s_wait_xcnt 0x0
	s_or_b32 exec_lo, exec_lo, s2
	s_wait_storecnt_dscnt 0x0
	s_barrier_signal -1
	s_barrier_wait -1
	s_clause 0x9
	scratch_load_b128 v[4:7], off, off offset:240
	scratch_load_b128 v[10:13], off, off offset:256
	;; [unrolled: 1-line block ×10, first 2 shown]
	v_mov_b32_e32 v2, 0
	s_mov_b32 s2, exec_lo
	ds_load_b128 v[166:169], v2 offset:1200
	s_clause 0x2
	scratch_load_b128 v[170:173], off, off offset:400
	scratch_load_b128 v[174:177], off, off offset:224
	;; [unrolled: 1-line block ×3, first 2 shown]
	s_wait_loadcnt_dscnt 0xc00
	v_mul_f64_e32 v[186:187], v[168:169], v[6:7]
	v_mul_f64_e32 v[190:191], v[166:167], v[6:7]
	ds_load_b128 v[178:181], v2 offset:1216
	v_fma_f64 v[194:195], v[166:167], v[4:5], -v[186:187]
	v_fmac_f64_e32 v[190:191], v[168:169], v[4:5]
	ds_load_b128 v[4:7], v2 offset:1232
	s_wait_loadcnt_dscnt 0xb01
	v_mul_f64_e32 v[192:193], v[178:179], v[12:13]
	v_mul_f64_e32 v[12:13], v[180:181], v[12:13]
	scratch_load_b128 v[166:169], off, off offset:432
	ds_load_b128 v[186:189], v2 offset:1248
	s_wait_loadcnt_dscnt 0xb01
	v_mul_f64_e32 v[196:197], v[4:5], v[136:137]
	v_mul_f64_e32 v[136:137], v[6:7], v[136:137]
	v_add_f64_e32 v[190:191], 0, v[190:191]
	v_fmac_f64_e32 v[192:193], v[180:181], v[10:11]
	v_fma_f64 v[178:179], v[178:179], v[10:11], -v[12:13]
	v_add_f64_e32 v[180:181], 0, v[194:195]
	scratch_load_b128 v[10:13], off, off offset:448
	v_fmac_f64_e32 v[196:197], v[6:7], v[134:135]
	v_fma_f64 v[198:199], v[4:5], v[134:135], -v[136:137]
	ds_load_b128 v[4:7], v2 offset:1264
	s_wait_loadcnt_dscnt 0xb01
	v_mul_f64_e32 v[194:195], v[186:187], v[140:141]
	v_mul_f64_e32 v[140:141], v[188:189], v[140:141]
	scratch_load_b128 v[134:137], off, off offset:464
	v_add_f64_e32 v[190:191], v[190:191], v[192:193]
	v_add_f64_e32 v[200:201], v[180:181], v[178:179]
	ds_load_b128 v[178:181], v2 offset:1280
	s_wait_loadcnt_dscnt 0xb01
	v_mul_f64_e32 v[192:193], v[4:5], v[144:145]
	v_mul_f64_e32 v[144:145], v[6:7], v[144:145]
	v_fmac_f64_e32 v[194:195], v[188:189], v[138:139]
	v_fma_f64 v[186:187], v[186:187], v[138:139], -v[140:141]
	scratch_load_b128 v[138:141], off, off offset:480
	v_add_f64_e32 v[190:191], v[190:191], v[196:197]
	v_add_f64_e32 v[188:189], v[200:201], v[198:199]
	v_fmac_f64_e32 v[192:193], v[6:7], v[142:143]
	v_fma_f64 v[198:199], v[4:5], v[142:143], -v[144:145]
	ds_load_b128 v[4:7], v2 offset:1296
	s_wait_loadcnt_dscnt 0xb01
	v_mul_f64_e32 v[196:197], v[178:179], v[148:149]
	v_mul_f64_e32 v[148:149], v[180:181], v[148:149]
	scratch_load_b128 v[142:145], off, off offset:496
	v_add_f64_e32 v[190:191], v[190:191], v[194:195]
	s_wait_loadcnt_dscnt 0xb00
	v_mul_f64_e32 v[194:195], v[4:5], v[152:153]
	v_add_f64_e32 v[200:201], v[188:189], v[186:187]
	v_mul_f64_e32 v[152:153], v[6:7], v[152:153]
	ds_load_b128 v[186:189], v2 offset:1312
	v_fmac_f64_e32 v[196:197], v[180:181], v[146:147]
	v_fma_f64 v[178:179], v[178:179], v[146:147], -v[148:149]
	scratch_load_b128 v[146:149], off, off offset:512
	v_add_f64_e32 v[190:191], v[190:191], v[192:193]
	v_fmac_f64_e32 v[194:195], v[6:7], v[150:151]
	v_add_f64_e32 v[180:181], v[200:201], v[198:199]
	v_fma_f64 v[198:199], v[4:5], v[150:151], -v[152:153]
	ds_load_b128 v[4:7], v2 offset:1328
	s_wait_loadcnt_dscnt 0xb01
	v_mul_f64_e32 v[192:193], v[186:187], v[156:157]
	v_mul_f64_e32 v[156:157], v[188:189], v[156:157]
	scratch_load_b128 v[150:153], off, off offset:528
	v_add_f64_e32 v[190:191], v[190:191], v[196:197]
	s_wait_loadcnt_dscnt 0xb00
	v_mul_f64_e32 v[196:197], v[4:5], v[160:161]
	v_add_f64_e32 v[200:201], v[180:181], v[178:179]
	v_mul_f64_e32 v[160:161], v[6:7], v[160:161]
	ds_load_b128 v[178:181], v2 offset:1344
	v_fmac_f64_e32 v[192:193], v[188:189], v[154:155]
	v_fma_f64 v[186:187], v[186:187], v[154:155], -v[156:157]
	scratch_load_b128 v[154:157], off, off offset:544
	v_add_f64_e32 v[190:191], v[190:191], v[194:195]
	v_fmac_f64_e32 v[196:197], v[6:7], v[158:159]
	v_add_f64_e32 v[188:189], v[200:201], v[198:199]
	;; [unrolled: 18-line block ×3, first 2 shown]
	v_fma_f64 v[198:199], v[4:5], v[170:171], -v[172:173]
	ds_load_b128 v[4:7], v2 offset:1392
	s_wait_loadcnt_dscnt 0xa01
	v_mul_f64_e32 v[196:197], v[186:187], v[184:185]
	v_mul_f64_e32 v[184:185], v[188:189], v[184:185]
	scratch_load_b128 v[170:173], off, off offset:592
	v_add_f64_e32 v[190:191], v[190:191], v[194:195]
	v_add_f64_e32 v[200:201], v[180:181], v[178:179]
	s_wait_loadcnt_dscnt 0xa00
	v_mul_f64_e32 v[194:195], v[4:5], v[168:169]
	v_mul_f64_e32 v[168:169], v[6:7], v[168:169]
	v_fmac_f64_e32 v[196:197], v[188:189], v[182:183]
	v_fma_f64 v[186:187], v[186:187], v[182:183], -v[184:185]
	ds_load_b128 v[178:181], v2 offset:1408
	scratch_load_b128 v[182:185], off, off offset:608
	v_add_f64_e32 v[190:191], v[190:191], v[192:193]
	v_add_f64_e32 v[188:189], v[200:201], v[198:199]
	v_fmac_f64_e32 v[194:195], v[6:7], v[166:167]
	v_fma_f64 v[198:199], v[4:5], v[166:167], -v[168:169]
	ds_load_b128 v[4:7], v2 offset:1424
	s_wait_loadcnt_dscnt 0xa01
	v_mul_f64_e32 v[192:193], v[178:179], v[12:13]
	v_mul_f64_e32 v[12:13], v[180:181], v[12:13]
	scratch_load_b128 v[166:169], off, off offset:624
	v_add_f64_e32 v[190:191], v[190:191], v[196:197]
	s_wait_loadcnt_dscnt 0xa00
	v_mul_f64_e32 v[196:197], v[4:5], v[136:137]
	v_add_f64_e32 v[200:201], v[188:189], v[186:187]
	v_mul_f64_e32 v[136:137], v[6:7], v[136:137]
	ds_load_b128 v[186:189], v2 offset:1440
	v_fmac_f64_e32 v[192:193], v[180:181], v[10:11]
	v_fma_f64 v[178:179], v[178:179], v[10:11], -v[12:13]
	scratch_load_b128 v[10:13], off, off offset:640
	v_add_f64_e32 v[190:191], v[190:191], v[194:195]
	v_fmac_f64_e32 v[196:197], v[6:7], v[134:135]
	v_add_f64_e32 v[180:181], v[200:201], v[198:199]
	v_fma_f64 v[198:199], v[4:5], v[134:135], -v[136:137]
	ds_load_b128 v[4:7], v2 offset:1456
	s_wait_loadcnt_dscnt 0xa01
	v_mul_f64_e32 v[194:195], v[186:187], v[140:141]
	v_mul_f64_e32 v[140:141], v[188:189], v[140:141]
	scratch_load_b128 v[134:137], off, off offset:656
	v_add_f64_e32 v[190:191], v[190:191], v[192:193]
	s_wait_loadcnt_dscnt 0xa00
	v_mul_f64_e32 v[192:193], v[4:5], v[144:145]
	v_add_f64_e32 v[200:201], v[180:181], v[178:179]
	v_mul_f64_e32 v[144:145], v[6:7], v[144:145]
	ds_load_b128 v[178:181], v2 offset:1472
	v_fmac_f64_e32 v[194:195], v[188:189], v[138:139]
	v_fma_f64 v[186:187], v[186:187], v[138:139], -v[140:141]
	scratch_load_b128 v[138:141], off, off offset:672
	v_add_f64_e32 v[190:191], v[190:191], v[196:197]
	v_fmac_f64_e32 v[192:193], v[6:7], v[142:143]
	v_add_f64_e32 v[188:189], v[200:201], v[198:199]
	;; [unrolled: 18-line block ×10, first 2 shown]
	v_fma_f64 v[198:199], v[4:5], v[158:159], -v[160:161]
	ds_load_b128 v[4:7], v2 offset:1744
	s_wait_loadcnt_dscnt 0xa01
	v_mul_f64_e32 v[194:195], v[178:179], v[164:165]
	v_mul_f64_e32 v[164:165], v[180:181], v[164:165]
	scratch_load_b128 v[158:161], off, off offset:944
	v_add_f64_e32 v[190:191], v[190:191], v[192:193]
	s_wait_loadcnt_dscnt 0xa00
	v_mul_f64_e32 v[192:193], v[4:5], v[172:173]
	v_add_f64_e32 v[200:201], v[188:189], v[186:187]
	v_mul_f64_e32 v[172:173], v[6:7], v[172:173]
	ds_load_b128 v[186:189], v2 offset:1760
	v_fmac_f64_e32 v[194:195], v[180:181], v[162:163]
	v_fma_f64 v[162:163], v[178:179], v[162:163], -v[164:165]
	s_wait_loadcnt_dscnt 0x900
	v_mul_f64_e32 v[180:181], v[186:187], v[184:185]
	v_mul_f64_e32 v[184:185], v[188:189], v[184:185]
	v_add_f64_e32 v[178:179], v[190:191], v[196:197]
	v_fmac_f64_e32 v[192:193], v[6:7], v[170:171]
	v_add_f64_e32 v[164:165], v[200:201], v[198:199]
	v_fma_f64 v[170:171], v[4:5], v[170:171], -v[172:173]
	v_fmac_f64_e32 v[180:181], v[188:189], v[182:183]
	v_fma_f64 v[182:183], v[186:187], v[182:183], -v[184:185]
	v_add_f64_e32 v[178:179], v[178:179], v[194:195]
	v_add_f64_e32 v[172:173], v[164:165], v[162:163]
	ds_load_b128 v[4:7], v2 offset:1776
	ds_load_b128 v[162:165], v2 offset:1792
	s_wait_loadcnt_dscnt 0x801
	v_mul_f64_e32 v[190:191], v[4:5], v[168:169]
	v_mul_f64_e32 v[168:169], v[6:7], v[168:169]
	v_add_f64_e32 v[170:171], v[172:173], v[170:171]
	v_add_f64_e32 v[172:173], v[178:179], v[192:193]
	s_wait_loadcnt_dscnt 0x700
	v_mul_f64_e32 v[178:179], v[162:163], v[12:13]
	v_mul_f64_e32 v[12:13], v[164:165], v[12:13]
	v_fmac_f64_e32 v[190:191], v[6:7], v[166:167]
	v_fma_f64 v[184:185], v[4:5], v[166:167], -v[168:169]
	ds_load_b128 v[4:7], v2 offset:1808
	ds_load_b128 v[166:169], v2 offset:1824
	v_add_f64_e32 v[170:171], v[170:171], v[182:183]
	v_add_f64_e32 v[172:173], v[172:173], v[180:181]
	v_fmac_f64_e32 v[178:179], v[164:165], v[10:11]
	v_fma_f64 v[10:11], v[162:163], v[10:11], -v[12:13]
	s_wait_loadcnt_dscnt 0x601
	v_mul_f64_e32 v[180:181], v[4:5], v[136:137]
	v_mul_f64_e32 v[136:137], v[6:7], v[136:137]
	s_wait_loadcnt_dscnt 0x500
	v_mul_f64_e32 v[164:165], v[166:167], v[140:141]
	v_mul_f64_e32 v[140:141], v[168:169], v[140:141]
	v_add_f64_e32 v[12:13], v[170:171], v[184:185]
	v_add_f64_e32 v[162:163], v[172:173], v[190:191]
	v_fmac_f64_e32 v[180:181], v[6:7], v[134:135]
	v_fma_f64 v[134:135], v[4:5], v[134:135], -v[136:137]
	v_fmac_f64_e32 v[164:165], v[168:169], v[138:139]
	v_fma_f64 v[138:139], v[166:167], v[138:139], -v[140:141]
	v_add_f64_e32 v[136:137], v[12:13], v[10:11]
	v_add_f64_e32 v[162:163], v[162:163], v[178:179]
	ds_load_b128 v[4:7], v2 offset:1840
	ds_load_b128 v[10:13], v2 offset:1856
	s_wait_loadcnt_dscnt 0x401
	v_mul_f64_e32 v[170:171], v[4:5], v[144:145]
	v_mul_f64_e32 v[144:145], v[6:7], v[144:145]
	s_wait_loadcnt_dscnt 0x300
	v_mul_f64_e32 v[140:141], v[10:11], v[148:149]
	v_mul_f64_e32 v[148:149], v[12:13], v[148:149]
	v_add_f64_e32 v[134:135], v[136:137], v[134:135]
	v_add_f64_e32 v[136:137], v[162:163], v[180:181]
	v_fmac_f64_e32 v[170:171], v[6:7], v[142:143]
	v_fma_f64 v[142:143], v[4:5], v[142:143], -v[144:145]
	v_fmac_f64_e32 v[140:141], v[12:13], v[146:147]
	v_fma_f64 v[10:11], v[10:11], v[146:147], -v[148:149]
	v_add_f64_e32 v[138:139], v[134:135], v[138:139]
	v_add_f64_e32 v[144:145], v[136:137], v[164:165]
	ds_load_b128 v[4:7], v2 offset:1872
	ds_load_b128 v[134:137], v2 offset:1888
	s_wait_loadcnt_dscnt 0x201
	v_mul_f64_e32 v[162:163], v[4:5], v[152:153]
	v_mul_f64_e32 v[152:153], v[6:7], v[152:153]
	v_add_f64_e32 v[12:13], v[138:139], v[142:143]
	v_add_f64_e32 v[138:139], v[144:145], v[170:171]
	s_wait_loadcnt_dscnt 0x100
	v_mul_f64_e32 v[142:143], v[134:135], v[156:157]
	v_mul_f64_e32 v[144:145], v[136:137], v[156:157]
	v_fmac_f64_e32 v[162:163], v[6:7], v[150:151]
	v_fma_f64 v[146:147], v[4:5], v[150:151], -v[152:153]
	ds_load_b128 v[4:7], v2 offset:1904
	v_add_f64_e32 v[10:11], v[12:13], v[10:11]
	v_add_f64_e32 v[12:13], v[138:139], v[140:141]
	v_fmac_f64_e32 v[142:143], v[136:137], v[154:155]
	v_fma_f64 v[134:135], v[134:135], v[154:155], -v[144:145]
	s_wait_loadcnt_dscnt 0x0
	v_mul_f64_e32 v[138:139], v[4:5], v[160:161]
	v_mul_f64_e32 v[140:141], v[6:7], v[160:161]
	v_add_f64_e32 v[10:11], v[10:11], v[146:147]
	v_add_f64_e32 v[12:13], v[12:13], v[162:163]
	s_delay_alu instid0(VALU_DEP_4) | instskip(NEXT) | instid1(VALU_DEP_4)
	v_fmac_f64_e32 v[138:139], v[6:7], v[158:159]
	v_fma_f64 v[4:5], v[4:5], v[158:159], -v[140:141]
	s_delay_alu instid0(VALU_DEP_4) | instskip(NEXT) | instid1(VALU_DEP_4)
	v_add_f64_e32 v[6:7], v[10:11], v[134:135]
	v_add_f64_e32 v[10:11], v[12:13], v[142:143]
	s_delay_alu instid0(VALU_DEP_2) | instskip(NEXT) | instid1(VALU_DEP_2)
	v_add_f64_e32 v[4:5], v[6:7], v[4:5]
	v_add_f64_e32 v[6:7], v[10:11], v[138:139]
	s_delay_alu instid0(VALU_DEP_2) | instskip(NEXT) | instid1(VALU_DEP_2)
	v_add_f64_e64 v[4:5], v[174:175], -v[4:5]
	v_add_f64_e64 v[6:7], v[176:177], -v[6:7]
	scratch_store_b128 off, v[4:7], off offset:224
	s_wait_xcnt 0x0
	v_cmpx_lt_u32_e32 13, v1
	s_cbranch_execz .LBB59_347
; %bb.346:
	scratch_load_b128 v[10:13], off, s61
	v_dual_mov_b32 v3, v2 :: v_dual_mov_b32 v4, v2
	v_mov_b32_e32 v5, v2
	scratch_store_b128 off, v[2:5], off offset:208
	s_wait_loadcnt 0x0
	ds_store_b128 v8, v[10:13]
.LBB59_347:
	s_wait_xcnt 0x0
	s_or_b32 exec_lo, exec_lo, s2
	s_wait_storecnt_dscnt 0x0
	s_barrier_signal -1
	s_barrier_wait -1
	s_clause 0x9
	scratch_load_b128 v[4:7], off, off offset:224
	scratch_load_b128 v[10:13], off, off offset:240
	scratch_load_b128 v[134:137], off, off offset:256
	scratch_load_b128 v[138:141], off, off offset:272
	scratch_load_b128 v[142:145], off, off offset:288
	scratch_load_b128 v[146:149], off, off offset:304
	scratch_load_b128 v[150:153], off, off offset:320
	scratch_load_b128 v[154:157], off, off offset:336
	scratch_load_b128 v[158:161], off, off offset:352
	scratch_load_b128 v[162:165], off, off offset:368
	ds_load_b128 v[166:169], v2 offset:1184
	ds_load_b128 v[174:177], v2 offset:1200
	s_clause 0x2
	scratch_load_b128 v[170:173], off, off offset:384
	scratch_load_b128 v[178:181], off, off offset:208
	;; [unrolled: 1-line block ×3, first 2 shown]
	s_mov_b32 s2, exec_lo
	s_wait_loadcnt_dscnt 0xc01
	v_mul_f64_e32 v[186:187], v[168:169], v[6:7]
	v_mul_f64_e32 v[190:191], v[166:167], v[6:7]
	s_wait_loadcnt_dscnt 0xb00
	v_mul_f64_e32 v[192:193], v[174:175], v[12:13]
	v_mul_f64_e32 v[12:13], v[176:177], v[12:13]
	s_delay_alu instid0(VALU_DEP_4) | instskip(NEXT) | instid1(VALU_DEP_4)
	v_fma_f64 v[194:195], v[166:167], v[4:5], -v[186:187]
	v_fmac_f64_e32 v[190:191], v[168:169], v[4:5]
	ds_load_b128 v[4:7], v2 offset:1216
	ds_load_b128 v[166:169], v2 offset:1232
	scratch_load_b128 v[186:189], off, off offset:416
	v_fmac_f64_e32 v[192:193], v[176:177], v[10:11]
	v_fma_f64 v[174:175], v[174:175], v[10:11], -v[12:13]
	scratch_load_b128 v[10:13], off, off offset:432
	s_wait_loadcnt_dscnt 0xc01
	v_mul_f64_e32 v[196:197], v[4:5], v[136:137]
	v_mul_f64_e32 v[136:137], v[6:7], v[136:137]
	v_add_f64_e32 v[176:177], 0, v[194:195]
	v_add_f64_e32 v[190:191], 0, v[190:191]
	s_wait_loadcnt_dscnt 0xb00
	v_mul_f64_e32 v[194:195], v[166:167], v[140:141]
	v_mul_f64_e32 v[140:141], v[168:169], v[140:141]
	v_fmac_f64_e32 v[196:197], v[6:7], v[134:135]
	v_fma_f64 v[198:199], v[4:5], v[134:135], -v[136:137]
	ds_load_b128 v[4:7], v2 offset:1248
	ds_load_b128 v[134:137], v2 offset:1264
	v_add_f64_e32 v[200:201], v[176:177], v[174:175]
	v_add_f64_e32 v[190:191], v[190:191], v[192:193]
	scratch_load_b128 v[174:177], off, off offset:448
	v_fmac_f64_e32 v[194:195], v[168:169], v[138:139]
	v_fma_f64 v[166:167], v[166:167], v[138:139], -v[140:141]
	scratch_load_b128 v[138:141], off, off offset:464
	s_wait_loadcnt_dscnt 0xc01
	v_mul_f64_e32 v[192:193], v[4:5], v[144:145]
	v_mul_f64_e32 v[144:145], v[6:7], v[144:145]
	v_add_f64_e32 v[168:169], v[200:201], v[198:199]
	v_add_f64_e32 v[190:191], v[190:191], v[196:197]
	s_wait_loadcnt_dscnt 0xb00
	v_mul_f64_e32 v[196:197], v[134:135], v[148:149]
	v_mul_f64_e32 v[148:149], v[136:137], v[148:149]
	v_fmac_f64_e32 v[192:193], v[6:7], v[142:143]
	v_fma_f64 v[198:199], v[4:5], v[142:143], -v[144:145]
	ds_load_b128 v[4:7], v2 offset:1280
	ds_load_b128 v[142:145], v2 offset:1296
	v_add_f64_e32 v[200:201], v[168:169], v[166:167]
	v_add_f64_e32 v[190:191], v[190:191], v[194:195]
	scratch_load_b128 v[166:169], off, off offset:480
	s_wait_loadcnt_dscnt 0xb01
	v_mul_f64_e32 v[194:195], v[4:5], v[152:153]
	v_mul_f64_e32 v[152:153], v[6:7], v[152:153]
	v_fmac_f64_e32 v[196:197], v[136:137], v[146:147]
	v_fma_f64 v[146:147], v[134:135], v[146:147], -v[148:149]
	scratch_load_b128 v[134:137], off, off offset:496
	v_add_f64_e32 v[148:149], v[200:201], v[198:199]
	v_add_f64_e32 v[190:191], v[190:191], v[192:193]
	s_wait_loadcnt_dscnt 0xb00
	v_mul_f64_e32 v[192:193], v[142:143], v[156:157]
	v_mul_f64_e32 v[156:157], v[144:145], v[156:157]
	v_fmac_f64_e32 v[194:195], v[6:7], v[150:151]
	v_fma_f64 v[198:199], v[4:5], v[150:151], -v[152:153]
	v_add_f64_e32 v[200:201], v[148:149], v[146:147]
	v_add_f64_e32 v[190:191], v[190:191], v[196:197]
	ds_load_b128 v[4:7], v2 offset:1312
	ds_load_b128 v[146:149], v2 offset:1328
	scratch_load_b128 v[150:153], off, off offset:512
	v_fmac_f64_e32 v[192:193], v[144:145], v[154:155]
	v_fma_f64 v[154:155], v[142:143], v[154:155], -v[156:157]
	scratch_load_b128 v[142:145], off, off offset:528
	s_wait_loadcnt_dscnt 0xc01
	v_mul_f64_e32 v[196:197], v[4:5], v[160:161]
	v_mul_f64_e32 v[160:161], v[6:7], v[160:161]
	v_add_f64_e32 v[156:157], v[200:201], v[198:199]
	v_add_f64_e32 v[190:191], v[190:191], v[194:195]
	s_wait_loadcnt_dscnt 0xb00
	v_mul_f64_e32 v[194:195], v[146:147], v[164:165]
	v_mul_f64_e32 v[164:165], v[148:149], v[164:165]
	v_fmac_f64_e32 v[196:197], v[6:7], v[158:159]
	v_fma_f64 v[198:199], v[4:5], v[158:159], -v[160:161]
	v_add_f64_e32 v[200:201], v[156:157], v[154:155]
	v_add_f64_e32 v[190:191], v[190:191], v[192:193]
	ds_load_b128 v[4:7], v2 offset:1344
	ds_load_b128 v[154:157], v2 offset:1360
	scratch_load_b128 v[158:161], off, off offset:544
	v_fmac_f64_e32 v[194:195], v[148:149], v[162:163]
	v_fma_f64 v[162:163], v[146:147], v[162:163], -v[164:165]
	scratch_load_b128 v[146:149], off, off offset:560
	s_wait_loadcnt_dscnt 0xc01
	v_mul_f64_e32 v[192:193], v[4:5], v[172:173]
	v_mul_f64_e32 v[172:173], v[6:7], v[172:173]
	;; [unrolled: 18-line block ×5, first 2 shown]
	v_add_f64_e32 v[184:185], v[200:201], v[198:199]
	v_add_f64_e32 v[190:191], v[190:191], v[196:197]
	s_wait_loadcnt_dscnt 0xa00
	v_mul_f64_e32 v[196:197], v[162:163], v[136:137]
	v_mul_f64_e32 v[136:137], v[164:165], v[136:137]
	v_fmac_f64_e32 v[192:193], v[6:7], v[166:167]
	v_fma_f64 v[198:199], v[4:5], v[166:167], -v[168:169]
	ds_load_b128 v[4:7], v2 offset:1472
	ds_load_b128 v[166:169], v2 offset:1488
	v_add_f64_e32 v[200:201], v[184:185], v[182:183]
	v_add_f64_e32 v[190:191], v[190:191], v[194:195]
	scratch_load_b128 v[182:185], off, off offset:672
	v_fmac_f64_e32 v[196:197], v[164:165], v[134:135]
	v_fma_f64 v[162:163], v[162:163], v[134:135], -v[136:137]
	scratch_load_b128 v[134:137], off, off offset:688
	s_wait_loadcnt_dscnt 0xb01
	v_mul_f64_e32 v[194:195], v[4:5], v[152:153]
	v_mul_f64_e32 v[152:153], v[6:7], v[152:153]
	v_add_f64_e32 v[164:165], v[200:201], v[198:199]
	v_add_f64_e32 v[190:191], v[190:191], v[192:193]
	s_wait_loadcnt_dscnt 0xa00
	v_mul_f64_e32 v[192:193], v[166:167], v[144:145]
	v_mul_f64_e32 v[144:145], v[168:169], v[144:145]
	v_fmac_f64_e32 v[194:195], v[6:7], v[150:151]
	v_fma_f64 v[198:199], v[4:5], v[150:151], -v[152:153]
	ds_load_b128 v[4:7], v2 offset:1504
	ds_load_b128 v[150:153], v2 offset:1520
	v_add_f64_e32 v[200:201], v[164:165], v[162:163]
	v_add_f64_e32 v[190:191], v[190:191], v[196:197]
	scratch_load_b128 v[162:165], off, off offset:704
	s_wait_loadcnt_dscnt 0xa01
	v_mul_f64_e32 v[196:197], v[4:5], v[160:161]
	v_mul_f64_e32 v[160:161], v[6:7], v[160:161]
	v_fmac_f64_e32 v[192:193], v[168:169], v[142:143]
	v_fma_f64 v[166:167], v[166:167], v[142:143], -v[144:145]
	scratch_load_b128 v[142:145], off, off offset:720
	v_add_f64_e32 v[168:169], v[200:201], v[198:199]
	v_add_f64_e32 v[190:191], v[190:191], v[194:195]
	s_wait_loadcnt_dscnt 0xa00
	v_mul_f64_e32 v[194:195], v[150:151], v[148:149]
	v_mul_f64_e32 v[148:149], v[152:153], v[148:149]
	v_fmac_f64_e32 v[196:197], v[6:7], v[158:159]
	v_fma_f64 v[198:199], v[4:5], v[158:159], -v[160:161]
	ds_load_b128 v[4:7], v2 offset:1536
	ds_load_b128 v[158:161], v2 offset:1552
	v_add_f64_e32 v[200:201], v[168:169], v[166:167]
	v_add_f64_e32 v[190:191], v[190:191], v[192:193]
	scratch_load_b128 v[166:169], off, off offset:736
	s_wait_loadcnt_dscnt 0xa01
	v_mul_f64_e32 v[192:193], v[4:5], v[172:173]
	v_mul_f64_e32 v[172:173], v[6:7], v[172:173]
	v_fmac_f64_e32 v[194:195], v[152:153], v[146:147]
	v_fma_f64 v[150:151], v[150:151], v[146:147], -v[148:149]
	scratch_load_b128 v[146:149], off, off offset:752
	v_add_f64_e32 v[152:153], v[200:201], v[198:199]
	v_add_f64_e32 v[190:191], v[190:191], v[196:197]
	s_wait_loadcnt_dscnt 0xa00
	v_mul_f64_e32 v[196:197], v[158:159], v[156:157]
	v_mul_f64_e32 v[156:157], v[160:161], v[156:157]
	v_fmac_f64_e32 v[192:193], v[6:7], v[170:171]
	v_fma_f64 v[198:199], v[4:5], v[170:171], -v[172:173]
	v_add_f64_e32 v[200:201], v[152:153], v[150:151]
	v_add_f64_e32 v[190:191], v[190:191], v[194:195]
	ds_load_b128 v[4:7], v2 offset:1568
	ds_load_b128 v[150:153], v2 offset:1584
	scratch_load_b128 v[170:173], off, off offset:768
	v_fmac_f64_e32 v[196:197], v[160:161], v[154:155]
	v_fma_f64 v[158:159], v[158:159], v[154:155], -v[156:157]
	scratch_load_b128 v[154:157], off, off offset:784
	s_wait_loadcnt_dscnt 0xb01
	v_mul_f64_e32 v[194:195], v[4:5], v[188:189]
	v_mul_f64_e32 v[188:189], v[6:7], v[188:189]
	v_add_f64_e32 v[160:161], v[200:201], v[198:199]
	v_add_f64_e32 v[190:191], v[190:191], v[192:193]
	s_wait_loadcnt_dscnt 0xa00
	v_mul_f64_e32 v[192:193], v[150:151], v[12:13]
	v_mul_f64_e32 v[12:13], v[152:153], v[12:13]
	v_fmac_f64_e32 v[194:195], v[6:7], v[186:187]
	v_fma_f64 v[198:199], v[4:5], v[186:187], -v[188:189]
	v_add_f64_e32 v[200:201], v[160:161], v[158:159]
	v_add_f64_e32 v[190:191], v[190:191], v[196:197]
	ds_load_b128 v[4:7], v2 offset:1600
	ds_load_b128 v[158:161], v2 offset:1616
	scratch_load_b128 v[186:189], off, off offset:800
	v_fmac_f64_e32 v[192:193], v[152:153], v[10:11]
	v_fma_f64 v[150:151], v[150:151], v[10:11], -v[12:13]
	scratch_load_b128 v[10:13], off, off offset:816
	s_wait_loadcnt_dscnt 0xb01
	v_mul_f64_e32 v[196:197], v[4:5], v[176:177]
	v_mul_f64_e32 v[176:177], v[6:7], v[176:177]
	;; [unrolled: 18-line block ×6, first 2 shown]
	v_add_f64_e32 v[152:153], v[200:201], v[198:199]
	v_add_f64_e32 v[190:191], v[190:191], v[196:197]
	s_wait_loadcnt_dscnt 0xa00
	v_mul_f64_e32 v[196:197], v[158:159], v[156:157]
	v_mul_f64_e32 v[156:157], v[160:161], v[156:157]
	v_fmac_f64_e32 v[192:193], v[6:7], v[170:171]
	v_fma_f64 v[170:171], v[4:5], v[170:171], -v[172:173]
	v_add_f64_e32 v[172:173], v[152:153], v[150:151]
	v_add_f64_e32 v[190:191], v[190:191], v[194:195]
	ds_load_b128 v[4:7], v2 offset:1760
	ds_load_b128 v[150:153], v2 offset:1776
	v_fmac_f64_e32 v[196:197], v[160:161], v[154:155]
	v_fma_f64 v[154:155], v[158:159], v[154:155], -v[156:157]
	s_wait_loadcnt_dscnt 0x901
	v_mul_f64_e32 v[194:195], v[4:5], v[188:189]
	v_mul_f64_e32 v[188:189], v[6:7], v[188:189]
	s_wait_loadcnt_dscnt 0x800
	v_mul_f64_e32 v[160:161], v[150:151], v[12:13]
	v_mul_f64_e32 v[12:13], v[152:153], v[12:13]
	v_add_f64_e32 v[156:157], v[172:173], v[170:171]
	v_add_f64_e32 v[158:159], v[190:191], v[192:193]
	v_fmac_f64_e32 v[194:195], v[6:7], v[186:187]
	v_fma_f64 v[170:171], v[4:5], v[186:187], -v[188:189]
	v_fmac_f64_e32 v[160:161], v[152:153], v[10:11]
	v_fma_f64 v[10:11], v[150:151], v[10:11], -v[12:13]
	v_add_f64_e32 v[172:173], v[156:157], v[154:155]
	v_add_f64_e32 v[158:159], v[158:159], v[196:197]
	ds_load_b128 v[4:7], v2 offset:1792
	ds_load_b128 v[154:157], v2 offset:1808
	s_wait_loadcnt_dscnt 0x701
	v_mul_f64_e32 v[186:187], v[4:5], v[176:177]
	v_mul_f64_e32 v[176:177], v[6:7], v[176:177]
	s_wait_loadcnt_dscnt 0x600
	v_mul_f64_e32 v[152:153], v[154:155], v[140:141]
	v_mul_f64_e32 v[140:141], v[156:157], v[140:141]
	v_add_f64_e32 v[12:13], v[172:173], v[170:171]
	v_add_f64_e32 v[150:151], v[158:159], v[194:195]
	v_fmac_f64_e32 v[186:187], v[6:7], v[174:175]
	v_fma_f64 v[158:159], v[4:5], v[174:175], -v[176:177]
	v_fmac_f64_e32 v[152:153], v[156:157], v[138:139]
	v_fma_f64 v[138:139], v[154:155], v[138:139], -v[140:141]
	v_add_f64_e32 v[170:171], v[12:13], v[10:11]
	v_add_f64_e32 v[150:151], v[150:151], v[160:161]
	ds_load_b128 v[4:7], v2 offset:1824
	ds_load_b128 v[10:13], v2 offset:1840
	;; [unrolled: 16-line block ×3, first 2 shown]
	s_wait_loadcnt_dscnt 0x301
	v_mul_f64_e32 v[152:153], v[4:5], v[164:165]
	v_mul_f64_e32 v[164:165], v[6:7], v[164:165]
	v_add_f64_e32 v[12:13], v[140:141], v[158:159]
	v_add_f64_e32 v[134:135], v[150:151], v[160:161]
	s_wait_loadcnt_dscnt 0x200
	v_mul_f64_e32 v[140:141], v[136:137], v[144:145]
	v_mul_f64_e32 v[144:145], v[138:139], v[144:145]
	v_fmac_f64_e32 v[152:153], v[6:7], v[162:163]
	v_fma_f64 v[150:151], v[4:5], v[162:163], -v[164:165]
	v_add_f64_e32 v[156:157], v[12:13], v[10:11]
	v_add_f64_e32 v[134:135], v[134:135], v[154:155]
	ds_load_b128 v[4:7], v2 offset:1888
	ds_load_b128 v[10:13], v2 offset:1904
	v_fmac_f64_e32 v[140:141], v[138:139], v[142:143]
	v_fma_f64 v[136:137], v[136:137], v[142:143], -v[144:145]
	s_wait_loadcnt_dscnt 0x101
	v_mul_f64_e32 v[2:3], v[4:5], v[168:169]
	v_mul_f64_e32 v[154:155], v[6:7], v[168:169]
	s_wait_loadcnt_dscnt 0x0
	v_mul_f64_e32 v[142:143], v[10:11], v[148:149]
	v_mul_f64_e32 v[144:145], v[12:13], v[148:149]
	v_add_f64_e32 v[138:139], v[156:157], v[150:151]
	v_add_f64_e32 v[134:135], v[134:135], v[152:153]
	v_fmac_f64_e32 v[2:3], v[6:7], v[166:167]
	v_fma_f64 v[4:5], v[4:5], v[166:167], -v[154:155]
	v_fmac_f64_e32 v[142:143], v[12:13], v[146:147]
	v_fma_f64 v[10:11], v[10:11], v[146:147], -v[144:145]
	v_add_f64_e32 v[6:7], v[138:139], v[136:137]
	v_add_f64_e32 v[134:135], v[134:135], v[140:141]
	s_delay_alu instid0(VALU_DEP_2) | instskip(NEXT) | instid1(VALU_DEP_2)
	v_add_f64_e32 v[4:5], v[6:7], v[4:5]
	v_add_f64_e32 v[2:3], v[134:135], v[2:3]
	s_delay_alu instid0(VALU_DEP_2) | instskip(NEXT) | instid1(VALU_DEP_2)
	;; [unrolled: 3-line block ×3, first 2 shown]
	v_add_f64_e64 v[2:3], v[178:179], -v[4:5]
	v_add_f64_e64 v[4:5], v[180:181], -v[6:7]
	scratch_store_b128 off, v[2:5], off offset:208
	s_wait_xcnt 0x0
	v_cmpx_lt_u32_e32 12, v1
	s_cbranch_execz .LBB59_349
; %bb.348:
	scratch_load_b128 v[2:5], off, s59
	v_mov_b32_e32 v10, 0
	s_delay_alu instid0(VALU_DEP_1)
	v_dual_mov_b32 v11, v10 :: v_dual_mov_b32 v12, v10
	v_mov_b32_e32 v13, v10
	scratch_store_b128 off, v[10:13], off offset:192
	s_wait_loadcnt 0x0
	ds_store_b128 v8, v[2:5]
.LBB59_349:
	s_wait_xcnt 0x0
	s_or_b32 exec_lo, exec_lo, s2
	s_wait_storecnt_dscnt 0x0
	s_barrier_signal -1
	s_barrier_wait -1
	s_clause 0x9
	scratch_load_b128 v[4:7], off, off offset:208
	scratch_load_b128 v[10:13], off, off offset:224
	;; [unrolled: 1-line block ×10, first 2 shown]
	v_mov_b32_e32 v2, 0
	s_mov_b32 s2, exec_lo
	ds_load_b128 v[166:169], v2 offset:1168
	s_clause 0x2
	scratch_load_b128 v[170:173], off, off offset:368
	scratch_load_b128 v[174:177], off, off offset:192
	;; [unrolled: 1-line block ×3, first 2 shown]
	s_wait_loadcnt_dscnt 0xc00
	v_mul_f64_e32 v[186:187], v[168:169], v[6:7]
	v_mul_f64_e32 v[190:191], v[166:167], v[6:7]
	ds_load_b128 v[178:181], v2 offset:1184
	v_fma_f64 v[194:195], v[166:167], v[4:5], -v[186:187]
	v_fmac_f64_e32 v[190:191], v[168:169], v[4:5]
	ds_load_b128 v[4:7], v2 offset:1200
	s_wait_loadcnt_dscnt 0xb01
	v_mul_f64_e32 v[192:193], v[178:179], v[12:13]
	v_mul_f64_e32 v[12:13], v[180:181], v[12:13]
	scratch_load_b128 v[166:169], off, off offset:400
	ds_load_b128 v[186:189], v2 offset:1216
	s_wait_loadcnt_dscnt 0xb01
	v_mul_f64_e32 v[196:197], v[4:5], v[136:137]
	v_mul_f64_e32 v[136:137], v[6:7], v[136:137]
	v_add_f64_e32 v[190:191], 0, v[190:191]
	v_fmac_f64_e32 v[192:193], v[180:181], v[10:11]
	v_fma_f64 v[178:179], v[178:179], v[10:11], -v[12:13]
	v_add_f64_e32 v[180:181], 0, v[194:195]
	scratch_load_b128 v[10:13], off, off offset:416
	v_fmac_f64_e32 v[196:197], v[6:7], v[134:135]
	v_fma_f64 v[198:199], v[4:5], v[134:135], -v[136:137]
	ds_load_b128 v[4:7], v2 offset:1232
	s_wait_loadcnt_dscnt 0xb01
	v_mul_f64_e32 v[194:195], v[186:187], v[140:141]
	v_mul_f64_e32 v[140:141], v[188:189], v[140:141]
	scratch_load_b128 v[134:137], off, off offset:432
	v_add_f64_e32 v[190:191], v[190:191], v[192:193]
	v_add_f64_e32 v[200:201], v[180:181], v[178:179]
	ds_load_b128 v[178:181], v2 offset:1248
	s_wait_loadcnt_dscnt 0xb01
	v_mul_f64_e32 v[192:193], v[4:5], v[144:145]
	v_mul_f64_e32 v[144:145], v[6:7], v[144:145]
	v_fmac_f64_e32 v[194:195], v[188:189], v[138:139]
	v_fma_f64 v[186:187], v[186:187], v[138:139], -v[140:141]
	scratch_load_b128 v[138:141], off, off offset:448
	v_add_f64_e32 v[190:191], v[190:191], v[196:197]
	v_add_f64_e32 v[188:189], v[200:201], v[198:199]
	v_fmac_f64_e32 v[192:193], v[6:7], v[142:143]
	v_fma_f64 v[198:199], v[4:5], v[142:143], -v[144:145]
	ds_load_b128 v[4:7], v2 offset:1264
	s_wait_loadcnt_dscnt 0xb01
	v_mul_f64_e32 v[196:197], v[178:179], v[148:149]
	v_mul_f64_e32 v[148:149], v[180:181], v[148:149]
	scratch_load_b128 v[142:145], off, off offset:464
	v_add_f64_e32 v[190:191], v[190:191], v[194:195]
	s_wait_loadcnt_dscnt 0xb00
	v_mul_f64_e32 v[194:195], v[4:5], v[152:153]
	v_add_f64_e32 v[200:201], v[188:189], v[186:187]
	v_mul_f64_e32 v[152:153], v[6:7], v[152:153]
	ds_load_b128 v[186:189], v2 offset:1280
	v_fmac_f64_e32 v[196:197], v[180:181], v[146:147]
	v_fma_f64 v[178:179], v[178:179], v[146:147], -v[148:149]
	scratch_load_b128 v[146:149], off, off offset:480
	v_add_f64_e32 v[190:191], v[190:191], v[192:193]
	v_fmac_f64_e32 v[194:195], v[6:7], v[150:151]
	v_add_f64_e32 v[180:181], v[200:201], v[198:199]
	v_fma_f64 v[198:199], v[4:5], v[150:151], -v[152:153]
	ds_load_b128 v[4:7], v2 offset:1296
	s_wait_loadcnt_dscnt 0xb01
	v_mul_f64_e32 v[192:193], v[186:187], v[156:157]
	v_mul_f64_e32 v[156:157], v[188:189], v[156:157]
	scratch_load_b128 v[150:153], off, off offset:496
	v_add_f64_e32 v[190:191], v[190:191], v[196:197]
	s_wait_loadcnt_dscnt 0xb00
	v_mul_f64_e32 v[196:197], v[4:5], v[160:161]
	v_add_f64_e32 v[200:201], v[180:181], v[178:179]
	v_mul_f64_e32 v[160:161], v[6:7], v[160:161]
	ds_load_b128 v[178:181], v2 offset:1312
	v_fmac_f64_e32 v[192:193], v[188:189], v[154:155]
	v_fma_f64 v[186:187], v[186:187], v[154:155], -v[156:157]
	scratch_load_b128 v[154:157], off, off offset:512
	v_add_f64_e32 v[190:191], v[190:191], v[194:195]
	v_fmac_f64_e32 v[196:197], v[6:7], v[158:159]
	v_add_f64_e32 v[188:189], v[200:201], v[198:199]
	;; [unrolled: 18-line block ×3, first 2 shown]
	v_fma_f64 v[198:199], v[4:5], v[170:171], -v[172:173]
	ds_load_b128 v[4:7], v2 offset:1360
	s_wait_loadcnt_dscnt 0xa01
	v_mul_f64_e32 v[196:197], v[186:187], v[184:185]
	v_mul_f64_e32 v[184:185], v[188:189], v[184:185]
	scratch_load_b128 v[170:173], off, off offset:560
	v_add_f64_e32 v[190:191], v[190:191], v[194:195]
	v_add_f64_e32 v[200:201], v[180:181], v[178:179]
	s_wait_loadcnt_dscnt 0xa00
	v_mul_f64_e32 v[194:195], v[4:5], v[168:169]
	v_mul_f64_e32 v[168:169], v[6:7], v[168:169]
	v_fmac_f64_e32 v[196:197], v[188:189], v[182:183]
	v_fma_f64 v[186:187], v[186:187], v[182:183], -v[184:185]
	ds_load_b128 v[178:181], v2 offset:1376
	scratch_load_b128 v[182:185], off, off offset:576
	v_add_f64_e32 v[190:191], v[190:191], v[192:193]
	v_add_f64_e32 v[188:189], v[200:201], v[198:199]
	v_fmac_f64_e32 v[194:195], v[6:7], v[166:167]
	v_fma_f64 v[198:199], v[4:5], v[166:167], -v[168:169]
	ds_load_b128 v[4:7], v2 offset:1392
	s_wait_loadcnt_dscnt 0xa01
	v_mul_f64_e32 v[192:193], v[178:179], v[12:13]
	v_mul_f64_e32 v[12:13], v[180:181], v[12:13]
	scratch_load_b128 v[166:169], off, off offset:592
	v_add_f64_e32 v[190:191], v[190:191], v[196:197]
	s_wait_loadcnt_dscnt 0xa00
	v_mul_f64_e32 v[196:197], v[4:5], v[136:137]
	v_add_f64_e32 v[200:201], v[188:189], v[186:187]
	v_mul_f64_e32 v[136:137], v[6:7], v[136:137]
	ds_load_b128 v[186:189], v2 offset:1408
	v_fmac_f64_e32 v[192:193], v[180:181], v[10:11]
	v_fma_f64 v[178:179], v[178:179], v[10:11], -v[12:13]
	scratch_load_b128 v[10:13], off, off offset:608
	v_add_f64_e32 v[190:191], v[190:191], v[194:195]
	v_fmac_f64_e32 v[196:197], v[6:7], v[134:135]
	v_add_f64_e32 v[180:181], v[200:201], v[198:199]
	v_fma_f64 v[198:199], v[4:5], v[134:135], -v[136:137]
	ds_load_b128 v[4:7], v2 offset:1424
	s_wait_loadcnt_dscnt 0xa01
	v_mul_f64_e32 v[194:195], v[186:187], v[140:141]
	v_mul_f64_e32 v[140:141], v[188:189], v[140:141]
	scratch_load_b128 v[134:137], off, off offset:624
	v_add_f64_e32 v[190:191], v[190:191], v[192:193]
	s_wait_loadcnt_dscnt 0xa00
	v_mul_f64_e32 v[192:193], v[4:5], v[144:145]
	v_add_f64_e32 v[200:201], v[180:181], v[178:179]
	v_mul_f64_e32 v[144:145], v[6:7], v[144:145]
	ds_load_b128 v[178:181], v2 offset:1440
	v_fmac_f64_e32 v[194:195], v[188:189], v[138:139]
	v_fma_f64 v[186:187], v[186:187], v[138:139], -v[140:141]
	scratch_load_b128 v[138:141], off, off offset:640
	v_add_f64_e32 v[190:191], v[190:191], v[196:197]
	v_fmac_f64_e32 v[192:193], v[6:7], v[142:143]
	v_add_f64_e32 v[188:189], v[200:201], v[198:199]
	;; [unrolled: 18-line block ×11, first 2 shown]
	v_fma_f64 v[198:199], v[4:5], v[170:171], -v[172:173]
	ds_load_b128 v[4:7], v2 offset:1744
	s_wait_loadcnt_dscnt 0xa01
	v_mul_f64_e32 v[196:197], v[186:187], v[184:185]
	v_mul_f64_e32 v[184:185], v[188:189], v[184:185]
	scratch_load_b128 v[170:173], off, off offset:944
	v_add_f64_e32 v[190:191], v[190:191], v[194:195]
	s_wait_loadcnt_dscnt 0xa00
	v_mul_f64_e32 v[194:195], v[4:5], v[168:169]
	v_add_f64_e32 v[200:201], v[180:181], v[178:179]
	v_mul_f64_e32 v[168:169], v[6:7], v[168:169]
	ds_load_b128 v[178:181], v2 offset:1760
	v_fmac_f64_e32 v[196:197], v[188:189], v[182:183]
	v_fma_f64 v[182:183], v[186:187], v[182:183], -v[184:185]
	s_wait_loadcnt_dscnt 0x900
	v_mul_f64_e32 v[188:189], v[178:179], v[12:13]
	v_mul_f64_e32 v[12:13], v[180:181], v[12:13]
	v_add_f64_e32 v[186:187], v[190:191], v[192:193]
	v_fmac_f64_e32 v[194:195], v[6:7], v[166:167]
	v_add_f64_e32 v[184:185], v[200:201], v[198:199]
	v_fma_f64 v[190:191], v[4:5], v[166:167], -v[168:169]
	ds_load_b128 v[4:7], v2 offset:1776
	ds_load_b128 v[166:169], v2 offset:1792
	v_fmac_f64_e32 v[188:189], v[180:181], v[10:11]
	v_fma_f64 v[10:11], v[178:179], v[10:11], -v[12:13]
	v_add_f64_e32 v[182:183], v[184:185], v[182:183]
	v_add_f64_e32 v[184:185], v[186:187], v[196:197]
	s_wait_loadcnt_dscnt 0x801
	v_mul_f64_e32 v[186:187], v[4:5], v[136:137]
	v_mul_f64_e32 v[136:137], v[6:7], v[136:137]
	s_wait_loadcnt_dscnt 0x700
	v_mul_f64_e32 v[180:181], v[166:167], v[140:141]
	v_mul_f64_e32 v[140:141], v[168:169], v[140:141]
	v_add_f64_e32 v[12:13], v[182:183], v[190:191]
	v_add_f64_e32 v[178:179], v[184:185], v[194:195]
	v_fmac_f64_e32 v[186:187], v[6:7], v[134:135]
	v_fma_f64 v[134:135], v[4:5], v[134:135], -v[136:137]
	v_fmac_f64_e32 v[180:181], v[168:169], v[138:139]
	v_fma_f64 v[138:139], v[166:167], v[138:139], -v[140:141]
	v_add_f64_e32 v[136:137], v[12:13], v[10:11]
	v_add_f64_e32 v[178:179], v[178:179], v[188:189]
	ds_load_b128 v[4:7], v2 offset:1808
	ds_load_b128 v[10:13], v2 offset:1824
	s_wait_loadcnt_dscnt 0x601
	v_mul_f64_e32 v[182:183], v[4:5], v[144:145]
	v_mul_f64_e32 v[144:145], v[6:7], v[144:145]
	s_wait_loadcnt_dscnt 0x500
	v_mul_f64_e32 v[140:141], v[10:11], v[148:149]
	v_mul_f64_e32 v[148:149], v[12:13], v[148:149]
	v_add_f64_e32 v[134:135], v[136:137], v[134:135]
	v_add_f64_e32 v[136:137], v[178:179], v[186:187]
	v_fmac_f64_e32 v[182:183], v[6:7], v[142:143]
	v_fma_f64 v[142:143], v[4:5], v[142:143], -v[144:145]
	v_fmac_f64_e32 v[140:141], v[12:13], v[146:147]
	v_fma_f64 v[10:11], v[10:11], v[146:147], -v[148:149]
	v_add_f64_e32 v[138:139], v[134:135], v[138:139]
	v_add_f64_e32 v[144:145], v[136:137], v[180:181]
	ds_load_b128 v[4:7], v2 offset:1840
	ds_load_b128 v[134:137], v2 offset:1856
	s_wait_loadcnt_dscnt 0x401
	v_mul_f64_e32 v[166:167], v[4:5], v[152:153]
	v_mul_f64_e32 v[152:153], v[6:7], v[152:153]
	v_add_f64_e32 v[12:13], v[138:139], v[142:143]
	v_add_f64_e32 v[138:139], v[144:145], v[182:183]
	s_wait_loadcnt_dscnt 0x300
	v_mul_f64_e32 v[142:143], v[134:135], v[156:157]
	v_mul_f64_e32 v[144:145], v[136:137], v[156:157]
	v_fmac_f64_e32 v[166:167], v[6:7], v[150:151]
	v_fma_f64 v[146:147], v[4:5], v[150:151], -v[152:153]
	v_add_f64_e32 v[148:149], v[12:13], v[10:11]
	v_add_f64_e32 v[138:139], v[138:139], v[140:141]
	ds_load_b128 v[4:7], v2 offset:1872
	ds_load_b128 v[10:13], v2 offset:1888
	v_fmac_f64_e32 v[142:143], v[136:137], v[154:155]
	v_fma_f64 v[134:135], v[134:135], v[154:155], -v[144:145]
	s_wait_loadcnt_dscnt 0x201
	v_mul_f64_e32 v[140:141], v[4:5], v[160:161]
	v_mul_f64_e32 v[150:151], v[6:7], v[160:161]
	s_wait_loadcnt_dscnt 0x100
	v_mul_f64_e32 v[144:145], v[10:11], v[164:165]
	v_add_f64_e32 v[136:137], v[148:149], v[146:147]
	v_add_f64_e32 v[138:139], v[138:139], v[166:167]
	v_mul_f64_e32 v[146:147], v[12:13], v[164:165]
	v_fmac_f64_e32 v[140:141], v[6:7], v[158:159]
	v_fma_f64 v[148:149], v[4:5], v[158:159], -v[150:151]
	ds_load_b128 v[4:7], v2 offset:1904
	v_fmac_f64_e32 v[144:145], v[12:13], v[162:163]
	v_add_f64_e32 v[134:135], v[136:137], v[134:135]
	v_add_f64_e32 v[136:137], v[138:139], v[142:143]
	v_fma_f64 v[10:11], v[10:11], v[162:163], -v[146:147]
	s_wait_loadcnt_dscnt 0x0
	v_mul_f64_e32 v[138:139], v[4:5], v[172:173]
	v_mul_f64_e32 v[142:143], v[6:7], v[172:173]
	v_add_f64_e32 v[12:13], v[134:135], v[148:149]
	v_add_f64_e32 v[134:135], v[136:137], v[140:141]
	s_delay_alu instid0(VALU_DEP_4) | instskip(NEXT) | instid1(VALU_DEP_4)
	v_fmac_f64_e32 v[138:139], v[6:7], v[170:171]
	v_fma_f64 v[4:5], v[4:5], v[170:171], -v[142:143]
	s_delay_alu instid0(VALU_DEP_4) | instskip(NEXT) | instid1(VALU_DEP_4)
	v_add_f64_e32 v[6:7], v[12:13], v[10:11]
	v_add_f64_e32 v[10:11], v[134:135], v[144:145]
	s_delay_alu instid0(VALU_DEP_2) | instskip(NEXT) | instid1(VALU_DEP_2)
	v_add_f64_e32 v[4:5], v[6:7], v[4:5]
	v_add_f64_e32 v[6:7], v[10:11], v[138:139]
	s_delay_alu instid0(VALU_DEP_2) | instskip(NEXT) | instid1(VALU_DEP_2)
	v_add_f64_e64 v[4:5], v[174:175], -v[4:5]
	v_add_f64_e64 v[6:7], v[176:177], -v[6:7]
	scratch_store_b128 off, v[4:7], off offset:192
	s_wait_xcnt 0x0
	v_cmpx_lt_u32_e32 11, v1
	s_cbranch_execz .LBB59_351
; %bb.350:
	scratch_load_b128 v[10:13], off, s56
	v_dual_mov_b32 v3, v2 :: v_dual_mov_b32 v4, v2
	v_mov_b32_e32 v5, v2
	scratch_store_b128 off, v[2:5], off offset:176
	s_wait_loadcnt 0x0
	ds_store_b128 v8, v[10:13]
.LBB59_351:
	s_wait_xcnt 0x0
	s_or_b32 exec_lo, exec_lo, s2
	s_wait_storecnt_dscnt 0x0
	s_barrier_signal -1
	s_barrier_wait -1
	s_clause 0x9
	scratch_load_b128 v[4:7], off, off offset:192
	scratch_load_b128 v[10:13], off, off offset:208
	;; [unrolled: 1-line block ×10, first 2 shown]
	ds_load_b128 v[166:169], v2 offset:1152
	ds_load_b128 v[174:177], v2 offset:1168
	s_clause 0x2
	scratch_load_b128 v[170:173], off, off offset:352
	scratch_load_b128 v[178:181], off, off offset:176
	;; [unrolled: 1-line block ×3, first 2 shown]
	s_mov_b32 s2, exec_lo
	s_wait_loadcnt_dscnt 0xc01
	v_mul_f64_e32 v[186:187], v[168:169], v[6:7]
	v_mul_f64_e32 v[190:191], v[166:167], v[6:7]
	s_wait_loadcnt_dscnt 0xb00
	v_mul_f64_e32 v[192:193], v[174:175], v[12:13]
	v_mul_f64_e32 v[12:13], v[176:177], v[12:13]
	s_delay_alu instid0(VALU_DEP_4) | instskip(NEXT) | instid1(VALU_DEP_4)
	v_fma_f64 v[194:195], v[166:167], v[4:5], -v[186:187]
	v_fmac_f64_e32 v[190:191], v[168:169], v[4:5]
	ds_load_b128 v[4:7], v2 offset:1184
	ds_load_b128 v[166:169], v2 offset:1200
	scratch_load_b128 v[186:189], off, off offset:384
	v_fmac_f64_e32 v[192:193], v[176:177], v[10:11]
	v_fma_f64 v[174:175], v[174:175], v[10:11], -v[12:13]
	scratch_load_b128 v[10:13], off, off offset:400
	s_wait_loadcnt_dscnt 0xc01
	v_mul_f64_e32 v[196:197], v[4:5], v[136:137]
	v_mul_f64_e32 v[136:137], v[6:7], v[136:137]
	v_add_f64_e32 v[176:177], 0, v[194:195]
	v_add_f64_e32 v[190:191], 0, v[190:191]
	s_wait_loadcnt_dscnt 0xb00
	v_mul_f64_e32 v[194:195], v[166:167], v[140:141]
	v_mul_f64_e32 v[140:141], v[168:169], v[140:141]
	v_fmac_f64_e32 v[196:197], v[6:7], v[134:135]
	v_fma_f64 v[198:199], v[4:5], v[134:135], -v[136:137]
	ds_load_b128 v[4:7], v2 offset:1216
	ds_load_b128 v[134:137], v2 offset:1232
	v_add_f64_e32 v[200:201], v[176:177], v[174:175]
	v_add_f64_e32 v[190:191], v[190:191], v[192:193]
	scratch_load_b128 v[174:177], off, off offset:416
	v_fmac_f64_e32 v[194:195], v[168:169], v[138:139]
	v_fma_f64 v[166:167], v[166:167], v[138:139], -v[140:141]
	scratch_load_b128 v[138:141], off, off offset:432
	s_wait_loadcnt_dscnt 0xc01
	v_mul_f64_e32 v[192:193], v[4:5], v[144:145]
	v_mul_f64_e32 v[144:145], v[6:7], v[144:145]
	v_add_f64_e32 v[168:169], v[200:201], v[198:199]
	v_add_f64_e32 v[190:191], v[190:191], v[196:197]
	s_wait_loadcnt_dscnt 0xb00
	v_mul_f64_e32 v[196:197], v[134:135], v[148:149]
	v_mul_f64_e32 v[148:149], v[136:137], v[148:149]
	v_fmac_f64_e32 v[192:193], v[6:7], v[142:143]
	v_fma_f64 v[198:199], v[4:5], v[142:143], -v[144:145]
	ds_load_b128 v[4:7], v2 offset:1248
	ds_load_b128 v[142:145], v2 offset:1264
	v_add_f64_e32 v[200:201], v[168:169], v[166:167]
	v_add_f64_e32 v[190:191], v[190:191], v[194:195]
	scratch_load_b128 v[166:169], off, off offset:448
	s_wait_loadcnt_dscnt 0xb01
	v_mul_f64_e32 v[194:195], v[4:5], v[152:153]
	v_mul_f64_e32 v[152:153], v[6:7], v[152:153]
	v_fmac_f64_e32 v[196:197], v[136:137], v[146:147]
	v_fma_f64 v[146:147], v[134:135], v[146:147], -v[148:149]
	scratch_load_b128 v[134:137], off, off offset:464
	v_add_f64_e32 v[148:149], v[200:201], v[198:199]
	v_add_f64_e32 v[190:191], v[190:191], v[192:193]
	s_wait_loadcnt_dscnt 0xb00
	v_mul_f64_e32 v[192:193], v[142:143], v[156:157]
	v_mul_f64_e32 v[156:157], v[144:145], v[156:157]
	v_fmac_f64_e32 v[194:195], v[6:7], v[150:151]
	v_fma_f64 v[198:199], v[4:5], v[150:151], -v[152:153]
	v_add_f64_e32 v[200:201], v[148:149], v[146:147]
	v_add_f64_e32 v[190:191], v[190:191], v[196:197]
	ds_load_b128 v[4:7], v2 offset:1280
	ds_load_b128 v[146:149], v2 offset:1296
	scratch_load_b128 v[150:153], off, off offset:480
	v_fmac_f64_e32 v[192:193], v[144:145], v[154:155]
	v_fma_f64 v[154:155], v[142:143], v[154:155], -v[156:157]
	scratch_load_b128 v[142:145], off, off offset:496
	s_wait_loadcnt_dscnt 0xc01
	v_mul_f64_e32 v[196:197], v[4:5], v[160:161]
	v_mul_f64_e32 v[160:161], v[6:7], v[160:161]
	v_add_f64_e32 v[156:157], v[200:201], v[198:199]
	v_add_f64_e32 v[190:191], v[190:191], v[194:195]
	s_wait_loadcnt_dscnt 0xb00
	v_mul_f64_e32 v[194:195], v[146:147], v[164:165]
	v_mul_f64_e32 v[164:165], v[148:149], v[164:165]
	v_fmac_f64_e32 v[196:197], v[6:7], v[158:159]
	v_fma_f64 v[198:199], v[4:5], v[158:159], -v[160:161]
	v_add_f64_e32 v[200:201], v[156:157], v[154:155]
	v_add_f64_e32 v[190:191], v[190:191], v[192:193]
	ds_load_b128 v[4:7], v2 offset:1312
	ds_load_b128 v[154:157], v2 offset:1328
	scratch_load_b128 v[158:161], off, off offset:512
	v_fmac_f64_e32 v[194:195], v[148:149], v[162:163]
	v_fma_f64 v[162:163], v[146:147], v[162:163], -v[164:165]
	scratch_load_b128 v[146:149], off, off offset:528
	s_wait_loadcnt_dscnt 0xc01
	v_mul_f64_e32 v[192:193], v[4:5], v[172:173]
	v_mul_f64_e32 v[172:173], v[6:7], v[172:173]
	v_add_f64_e32 v[164:165], v[200:201], v[198:199]
	v_add_f64_e32 v[190:191], v[190:191], v[196:197]
	s_wait_loadcnt_dscnt 0xa00
	v_mul_f64_e32 v[196:197], v[154:155], v[184:185]
	v_mul_f64_e32 v[184:185], v[156:157], v[184:185]
	v_fmac_f64_e32 v[192:193], v[6:7], v[170:171]
	v_fma_f64 v[198:199], v[4:5], v[170:171], -v[172:173]
	v_add_f64_e32 v[200:201], v[164:165], v[162:163]
	v_add_f64_e32 v[190:191], v[190:191], v[194:195]
	ds_load_b128 v[4:7], v2 offset:1344
	ds_load_b128 v[162:165], v2 offset:1360
	scratch_load_b128 v[170:173], off, off offset:544
	v_fmac_f64_e32 v[196:197], v[156:157], v[182:183]
	v_fma_f64 v[182:183], v[154:155], v[182:183], -v[184:185]
	scratch_load_b128 v[154:157], off, off offset:560
	s_wait_loadcnt_dscnt 0xb01
	v_mul_f64_e32 v[194:195], v[4:5], v[188:189]
	v_mul_f64_e32 v[188:189], v[6:7], v[188:189]
	v_add_f64_e32 v[184:185], v[200:201], v[198:199]
	v_add_f64_e32 v[190:191], v[190:191], v[192:193]
	s_wait_loadcnt_dscnt 0xa00
	v_mul_f64_e32 v[192:193], v[162:163], v[12:13]
	v_mul_f64_e32 v[12:13], v[164:165], v[12:13]
	v_fmac_f64_e32 v[194:195], v[6:7], v[186:187]
	v_fma_f64 v[198:199], v[4:5], v[186:187], -v[188:189]
	v_add_f64_e32 v[200:201], v[184:185], v[182:183]
	v_add_f64_e32 v[190:191], v[190:191], v[196:197]
	ds_load_b128 v[4:7], v2 offset:1376
	ds_load_b128 v[182:185], v2 offset:1392
	scratch_load_b128 v[186:189], off, off offset:576
	v_fmac_f64_e32 v[192:193], v[164:165], v[10:11]
	v_fma_f64 v[162:163], v[162:163], v[10:11], -v[12:13]
	scratch_load_b128 v[10:13], off, off offset:592
	s_wait_loadcnt_dscnt 0xb01
	v_mul_f64_e32 v[196:197], v[4:5], v[176:177]
	v_mul_f64_e32 v[176:177], v[6:7], v[176:177]
	v_add_f64_e32 v[164:165], v[200:201], v[198:199]
	v_add_f64_e32 v[190:191], v[190:191], v[194:195]
	s_wait_loadcnt_dscnt 0xa00
	v_mul_f64_e32 v[194:195], v[182:183], v[140:141]
	v_mul_f64_e32 v[140:141], v[184:185], v[140:141]
	v_fmac_f64_e32 v[196:197], v[6:7], v[174:175]
	v_fma_f64 v[198:199], v[4:5], v[174:175], -v[176:177]
	v_add_f64_e32 v[200:201], v[164:165], v[162:163]
	v_add_f64_e32 v[190:191], v[190:191], v[192:193]
	ds_load_b128 v[4:7], v2 offset:1408
	ds_load_b128 v[162:165], v2 offset:1424
	scratch_load_b128 v[174:177], off, off offset:608
	v_fmac_f64_e32 v[194:195], v[184:185], v[138:139]
	v_fma_f64 v[182:183], v[182:183], v[138:139], -v[140:141]
	scratch_load_b128 v[138:141], off, off offset:624
	s_wait_loadcnt_dscnt 0xb01
	v_mul_f64_e32 v[192:193], v[4:5], v[168:169]
	v_mul_f64_e32 v[168:169], v[6:7], v[168:169]
	v_add_f64_e32 v[184:185], v[200:201], v[198:199]
	v_add_f64_e32 v[190:191], v[190:191], v[196:197]
	s_wait_loadcnt_dscnt 0xa00
	v_mul_f64_e32 v[196:197], v[162:163], v[136:137]
	v_mul_f64_e32 v[136:137], v[164:165], v[136:137]
	v_fmac_f64_e32 v[192:193], v[6:7], v[166:167]
	v_fma_f64 v[198:199], v[4:5], v[166:167], -v[168:169]
	ds_load_b128 v[4:7], v2 offset:1440
	ds_load_b128 v[166:169], v2 offset:1456
	v_add_f64_e32 v[200:201], v[184:185], v[182:183]
	v_add_f64_e32 v[190:191], v[190:191], v[194:195]
	scratch_load_b128 v[182:185], off, off offset:640
	v_fmac_f64_e32 v[196:197], v[164:165], v[134:135]
	v_fma_f64 v[162:163], v[162:163], v[134:135], -v[136:137]
	scratch_load_b128 v[134:137], off, off offset:656
	s_wait_loadcnt_dscnt 0xb01
	v_mul_f64_e32 v[194:195], v[4:5], v[152:153]
	v_mul_f64_e32 v[152:153], v[6:7], v[152:153]
	v_add_f64_e32 v[164:165], v[200:201], v[198:199]
	v_add_f64_e32 v[190:191], v[190:191], v[192:193]
	s_wait_loadcnt_dscnt 0xa00
	v_mul_f64_e32 v[192:193], v[166:167], v[144:145]
	v_mul_f64_e32 v[144:145], v[168:169], v[144:145]
	v_fmac_f64_e32 v[194:195], v[6:7], v[150:151]
	v_fma_f64 v[198:199], v[4:5], v[150:151], -v[152:153]
	ds_load_b128 v[4:7], v2 offset:1472
	ds_load_b128 v[150:153], v2 offset:1488
	v_add_f64_e32 v[200:201], v[164:165], v[162:163]
	v_add_f64_e32 v[190:191], v[190:191], v[196:197]
	scratch_load_b128 v[162:165], off, off offset:672
	s_wait_loadcnt_dscnt 0xa01
	v_mul_f64_e32 v[196:197], v[4:5], v[160:161]
	v_mul_f64_e32 v[160:161], v[6:7], v[160:161]
	v_fmac_f64_e32 v[192:193], v[168:169], v[142:143]
	v_fma_f64 v[166:167], v[166:167], v[142:143], -v[144:145]
	scratch_load_b128 v[142:145], off, off offset:688
	v_add_f64_e32 v[168:169], v[200:201], v[198:199]
	v_add_f64_e32 v[190:191], v[190:191], v[194:195]
	s_wait_loadcnt_dscnt 0xa00
	v_mul_f64_e32 v[194:195], v[150:151], v[148:149]
	v_mul_f64_e32 v[148:149], v[152:153], v[148:149]
	v_fmac_f64_e32 v[196:197], v[6:7], v[158:159]
	v_fma_f64 v[198:199], v[4:5], v[158:159], -v[160:161]
	ds_load_b128 v[4:7], v2 offset:1504
	ds_load_b128 v[158:161], v2 offset:1520
	v_add_f64_e32 v[200:201], v[168:169], v[166:167]
	v_add_f64_e32 v[190:191], v[190:191], v[192:193]
	scratch_load_b128 v[166:169], off, off offset:704
	s_wait_loadcnt_dscnt 0xa01
	v_mul_f64_e32 v[192:193], v[4:5], v[172:173]
	v_mul_f64_e32 v[172:173], v[6:7], v[172:173]
	v_fmac_f64_e32 v[194:195], v[152:153], v[146:147]
	v_fma_f64 v[150:151], v[150:151], v[146:147], -v[148:149]
	scratch_load_b128 v[146:149], off, off offset:720
	v_add_f64_e32 v[152:153], v[200:201], v[198:199]
	v_add_f64_e32 v[190:191], v[190:191], v[196:197]
	s_wait_loadcnt_dscnt 0xa00
	v_mul_f64_e32 v[196:197], v[158:159], v[156:157]
	v_mul_f64_e32 v[156:157], v[160:161], v[156:157]
	v_fmac_f64_e32 v[192:193], v[6:7], v[170:171]
	v_fma_f64 v[198:199], v[4:5], v[170:171], -v[172:173]
	v_add_f64_e32 v[200:201], v[152:153], v[150:151]
	v_add_f64_e32 v[190:191], v[190:191], v[194:195]
	ds_load_b128 v[4:7], v2 offset:1536
	ds_load_b128 v[150:153], v2 offset:1552
	scratch_load_b128 v[170:173], off, off offset:736
	v_fmac_f64_e32 v[196:197], v[160:161], v[154:155]
	v_fma_f64 v[158:159], v[158:159], v[154:155], -v[156:157]
	scratch_load_b128 v[154:157], off, off offset:752
	s_wait_loadcnt_dscnt 0xb01
	v_mul_f64_e32 v[194:195], v[4:5], v[188:189]
	v_mul_f64_e32 v[188:189], v[6:7], v[188:189]
	v_add_f64_e32 v[160:161], v[200:201], v[198:199]
	v_add_f64_e32 v[190:191], v[190:191], v[192:193]
	s_wait_loadcnt_dscnt 0xa00
	v_mul_f64_e32 v[192:193], v[150:151], v[12:13]
	v_mul_f64_e32 v[12:13], v[152:153], v[12:13]
	v_fmac_f64_e32 v[194:195], v[6:7], v[186:187]
	v_fma_f64 v[198:199], v[4:5], v[186:187], -v[188:189]
	v_add_f64_e32 v[200:201], v[160:161], v[158:159]
	v_add_f64_e32 v[190:191], v[190:191], v[196:197]
	ds_load_b128 v[4:7], v2 offset:1568
	ds_load_b128 v[158:161], v2 offset:1584
	scratch_load_b128 v[186:189], off, off offset:768
	v_fmac_f64_e32 v[192:193], v[152:153], v[10:11]
	v_fma_f64 v[150:151], v[150:151], v[10:11], -v[12:13]
	scratch_load_b128 v[10:13], off, off offset:784
	s_wait_loadcnt_dscnt 0xb01
	v_mul_f64_e32 v[196:197], v[4:5], v[176:177]
	v_mul_f64_e32 v[176:177], v[6:7], v[176:177]
	;; [unrolled: 18-line block ×7, first 2 shown]
	v_add_f64_e32 v[160:161], v[200:201], v[198:199]
	v_add_f64_e32 v[190:191], v[190:191], v[192:193]
	s_wait_loadcnt_dscnt 0xa00
	v_mul_f64_e32 v[192:193], v[150:151], v[12:13]
	v_mul_f64_e32 v[12:13], v[152:153], v[12:13]
	v_fmac_f64_e32 v[194:195], v[6:7], v[186:187]
	v_fma_f64 v[186:187], v[4:5], v[186:187], -v[188:189]
	v_add_f64_e32 v[188:189], v[160:161], v[158:159]
	v_add_f64_e32 v[190:191], v[190:191], v[196:197]
	ds_load_b128 v[4:7], v2 offset:1760
	ds_load_b128 v[158:161], v2 offset:1776
	v_fmac_f64_e32 v[192:193], v[152:153], v[10:11]
	v_fma_f64 v[10:11], v[150:151], v[10:11], -v[12:13]
	s_wait_loadcnt_dscnt 0x901
	v_mul_f64_e32 v[196:197], v[4:5], v[176:177]
	v_mul_f64_e32 v[176:177], v[6:7], v[176:177]
	s_wait_loadcnt_dscnt 0x800
	v_mul_f64_e32 v[152:153], v[158:159], v[140:141]
	v_mul_f64_e32 v[140:141], v[160:161], v[140:141]
	v_add_f64_e32 v[12:13], v[188:189], v[186:187]
	v_add_f64_e32 v[150:151], v[190:191], v[194:195]
	v_fmac_f64_e32 v[196:197], v[6:7], v[174:175]
	v_fma_f64 v[174:175], v[4:5], v[174:175], -v[176:177]
	v_fmac_f64_e32 v[152:153], v[160:161], v[138:139]
	v_fma_f64 v[138:139], v[158:159], v[138:139], -v[140:141]
	v_add_f64_e32 v[176:177], v[12:13], v[10:11]
	v_add_f64_e32 v[150:151], v[150:151], v[192:193]
	ds_load_b128 v[4:7], v2 offset:1792
	ds_load_b128 v[10:13], v2 offset:1808
	s_wait_loadcnt_dscnt 0x701
	v_mul_f64_e32 v[186:187], v[4:5], v[184:185]
	v_mul_f64_e32 v[184:185], v[6:7], v[184:185]
	s_wait_loadcnt_dscnt 0x600
	v_mul_f64_e32 v[158:159], v[10:11], v[136:137]
	v_mul_f64_e32 v[160:161], v[12:13], v[136:137]
	v_add_f64_e32 v[140:141], v[176:177], v[174:175]
	v_add_f64_e32 v[150:151], v[150:151], v[196:197]
	v_fmac_f64_e32 v[186:187], v[6:7], v[182:183]
	v_fma_f64 v[174:175], v[4:5], v[182:183], -v[184:185]
	v_fmac_f64_e32 v[158:159], v[12:13], v[134:135]
	v_fma_f64 v[10:11], v[10:11], v[134:135], -v[160:161]
	v_add_f64_e32 v[140:141], v[140:141], v[138:139]
	v_add_f64_e32 v[150:151], v[150:151], v[152:153]
	ds_load_b128 v[4:7], v2 offset:1824
	ds_load_b128 v[136:139], v2 offset:1840
	s_wait_loadcnt_dscnt 0x501
	v_mul_f64_e32 v[152:153], v[4:5], v[164:165]
	v_mul_f64_e32 v[164:165], v[6:7], v[164:165]
	v_add_f64_e32 v[12:13], v[140:141], v[174:175]
	v_add_f64_e32 v[134:135], v[150:151], v[186:187]
	s_wait_loadcnt_dscnt 0x400
	v_mul_f64_e32 v[140:141], v[136:137], v[144:145]
	v_mul_f64_e32 v[144:145], v[138:139], v[144:145]
	v_fmac_f64_e32 v[152:153], v[6:7], v[162:163]
	v_fma_f64 v[150:151], v[4:5], v[162:163], -v[164:165]
	v_add_f64_e32 v[160:161], v[12:13], v[10:11]
	v_add_f64_e32 v[134:135], v[134:135], v[158:159]
	ds_load_b128 v[4:7], v2 offset:1856
	ds_load_b128 v[10:13], v2 offset:1872
	v_fmac_f64_e32 v[140:141], v[138:139], v[142:143]
	v_fma_f64 v[136:137], v[136:137], v[142:143], -v[144:145]
	s_wait_loadcnt_dscnt 0x301
	v_mul_f64_e32 v[158:159], v[4:5], v[168:169]
	v_mul_f64_e32 v[162:163], v[6:7], v[168:169]
	s_wait_loadcnt_dscnt 0x200
	v_mul_f64_e32 v[142:143], v[10:11], v[148:149]
	v_mul_f64_e32 v[144:145], v[12:13], v[148:149]
	v_add_f64_e32 v[138:139], v[160:161], v[150:151]
	v_add_f64_e32 v[134:135], v[134:135], v[152:153]
	v_fmac_f64_e32 v[158:159], v[6:7], v[166:167]
	v_fma_f64 v[148:149], v[4:5], v[166:167], -v[162:163]
	v_fmac_f64_e32 v[142:143], v[12:13], v[146:147]
	v_fma_f64 v[10:11], v[10:11], v[146:147], -v[144:145]
	v_add_f64_e32 v[138:139], v[138:139], v[136:137]
	v_add_f64_e32 v[140:141], v[134:135], v[140:141]
	ds_load_b128 v[4:7], v2 offset:1888
	ds_load_b128 v[134:137], v2 offset:1904
	s_wait_loadcnt_dscnt 0x101
	v_mul_f64_e32 v[2:3], v[4:5], v[172:173]
	v_mul_f64_e32 v[150:151], v[6:7], v[172:173]
	s_wait_loadcnt_dscnt 0x0
	v_mul_f64_e32 v[144:145], v[136:137], v[156:157]
	v_add_f64_e32 v[12:13], v[138:139], v[148:149]
	v_add_f64_e32 v[138:139], v[140:141], v[158:159]
	v_mul_f64_e32 v[140:141], v[134:135], v[156:157]
	v_fmac_f64_e32 v[2:3], v[6:7], v[170:171]
	v_fma_f64 v[4:5], v[4:5], v[170:171], -v[150:151]
	v_add_f64_e32 v[6:7], v[12:13], v[10:11]
	v_add_f64_e32 v[10:11], v[138:139], v[142:143]
	v_fmac_f64_e32 v[140:141], v[136:137], v[154:155]
	v_fma_f64 v[12:13], v[134:135], v[154:155], -v[144:145]
	s_delay_alu instid0(VALU_DEP_4) | instskip(NEXT) | instid1(VALU_DEP_4)
	v_add_f64_e32 v[4:5], v[6:7], v[4:5]
	v_add_f64_e32 v[2:3], v[10:11], v[2:3]
	s_delay_alu instid0(VALU_DEP_2) | instskip(NEXT) | instid1(VALU_DEP_2)
	v_add_f64_e32 v[4:5], v[4:5], v[12:13]
	v_add_f64_e32 v[6:7], v[2:3], v[140:141]
	s_delay_alu instid0(VALU_DEP_2) | instskip(NEXT) | instid1(VALU_DEP_2)
	v_add_f64_e64 v[2:3], v[178:179], -v[4:5]
	v_add_f64_e64 v[4:5], v[180:181], -v[6:7]
	scratch_store_b128 off, v[2:5], off offset:176
	s_wait_xcnt 0x0
	v_cmpx_lt_u32_e32 10, v1
	s_cbranch_execz .LBB59_353
; %bb.352:
	scratch_load_b128 v[2:5], off, s54
	v_mov_b32_e32 v10, 0
	s_delay_alu instid0(VALU_DEP_1)
	v_dual_mov_b32 v11, v10 :: v_dual_mov_b32 v12, v10
	v_mov_b32_e32 v13, v10
	scratch_store_b128 off, v[10:13], off offset:160
	s_wait_loadcnt 0x0
	ds_store_b128 v8, v[2:5]
.LBB59_353:
	s_wait_xcnt 0x0
	s_or_b32 exec_lo, exec_lo, s2
	s_wait_storecnt_dscnt 0x0
	s_barrier_signal -1
	s_barrier_wait -1
	s_clause 0x9
	scratch_load_b128 v[4:7], off, off offset:176
	scratch_load_b128 v[10:13], off, off offset:192
	;; [unrolled: 1-line block ×10, first 2 shown]
	v_mov_b32_e32 v2, 0
	s_mov_b32 s2, exec_lo
	ds_load_b128 v[166:169], v2 offset:1136
	s_clause 0x2
	scratch_load_b128 v[170:173], off, off offset:336
	scratch_load_b128 v[174:177], off, off offset:160
	;; [unrolled: 1-line block ×3, first 2 shown]
	s_wait_loadcnt_dscnt 0xc00
	v_mul_f64_e32 v[186:187], v[168:169], v[6:7]
	v_mul_f64_e32 v[190:191], v[166:167], v[6:7]
	ds_load_b128 v[178:181], v2 offset:1152
	v_fma_f64 v[194:195], v[166:167], v[4:5], -v[186:187]
	v_fmac_f64_e32 v[190:191], v[168:169], v[4:5]
	ds_load_b128 v[4:7], v2 offset:1168
	s_wait_loadcnt_dscnt 0xb01
	v_mul_f64_e32 v[192:193], v[178:179], v[12:13]
	v_mul_f64_e32 v[12:13], v[180:181], v[12:13]
	scratch_load_b128 v[166:169], off, off offset:368
	ds_load_b128 v[186:189], v2 offset:1184
	s_wait_loadcnt_dscnt 0xb01
	v_mul_f64_e32 v[196:197], v[4:5], v[136:137]
	v_mul_f64_e32 v[136:137], v[6:7], v[136:137]
	v_add_f64_e32 v[190:191], 0, v[190:191]
	v_fmac_f64_e32 v[192:193], v[180:181], v[10:11]
	v_fma_f64 v[178:179], v[178:179], v[10:11], -v[12:13]
	v_add_f64_e32 v[180:181], 0, v[194:195]
	scratch_load_b128 v[10:13], off, off offset:384
	v_fmac_f64_e32 v[196:197], v[6:7], v[134:135]
	v_fma_f64 v[198:199], v[4:5], v[134:135], -v[136:137]
	ds_load_b128 v[4:7], v2 offset:1200
	s_wait_loadcnt_dscnt 0xb01
	v_mul_f64_e32 v[194:195], v[186:187], v[140:141]
	v_mul_f64_e32 v[140:141], v[188:189], v[140:141]
	scratch_load_b128 v[134:137], off, off offset:400
	v_add_f64_e32 v[190:191], v[190:191], v[192:193]
	v_add_f64_e32 v[200:201], v[180:181], v[178:179]
	ds_load_b128 v[178:181], v2 offset:1216
	s_wait_loadcnt_dscnt 0xb01
	v_mul_f64_e32 v[192:193], v[4:5], v[144:145]
	v_mul_f64_e32 v[144:145], v[6:7], v[144:145]
	v_fmac_f64_e32 v[194:195], v[188:189], v[138:139]
	v_fma_f64 v[186:187], v[186:187], v[138:139], -v[140:141]
	scratch_load_b128 v[138:141], off, off offset:416
	v_add_f64_e32 v[190:191], v[190:191], v[196:197]
	v_add_f64_e32 v[188:189], v[200:201], v[198:199]
	v_fmac_f64_e32 v[192:193], v[6:7], v[142:143]
	v_fma_f64 v[198:199], v[4:5], v[142:143], -v[144:145]
	ds_load_b128 v[4:7], v2 offset:1232
	s_wait_loadcnt_dscnt 0xb01
	v_mul_f64_e32 v[196:197], v[178:179], v[148:149]
	v_mul_f64_e32 v[148:149], v[180:181], v[148:149]
	scratch_load_b128 v[142:145], off, off offset:432
	v_add_f64_e32 v[190:191], v[190:191], v[194:195]
	s_wait_loadcnt_dscnt 0xb00
	v_mul_f64_e32 v[194:195], v[4:5], v[152:153]
	v_add_f64_e32 v[200:201], v[188:189], v[186:187]
	v_mul_f64_e32 v[152:153], v[6:7], v[152:153]
	ds_load_b128 v[186:189], v2 offset:1248
	v_fmac_f64_e32 v[196:197], v[180:181], v[146:147]
	v_fma_f64 v[178:179], v[178:179], v[146:147], -v[148:149]
	scratch_load_b128 v[146:149], off, off offset:448
	v_add_f64_e32 v[190:191], v[190:191], v[192:193]
	v_fmac_f64_e32 v[194:195], v[6:7], v[150:151]
	v_add_f64_e32 v[180:181], v[200:201], v[198:199]
	v_fma_f64 v[198:199], v[4:5], v[150:151], -v[152:153]
	ds_load_b128 v[4:7], v2 offset:1264
	s_wait_loadcnt_dscnt 0xb01
	v_mul_f64_e32 v[192:193], v[186:187], v[156:157]
	v_mul_f64_e32 v[156:157], v[188:189], v[156:157]
	scratch_load_b128 v[150:153], off, off offset:464
	v_add_f64_e32 v[190:191], v[190:191], v[196:197]
	s_wait_loadcnt_dscnt 0xb00
	v_mul_f64_e32 v[196:197], v[4:5], v[160:161]
	v_add_f64_e32 v[200:201], v[180:181], v[178:179]
	v_mul_f64_e32 v[160:161], v[6:7], v[160:161]
	ds_load_b128 v[178:181], v2 offset:1280
	v_fmac_f64_e32 v[192:193], v[188:189], v[154:155]
	v_fma_f64 v[186:187], v[186:187], v[154:155], -v[156:157]
	scratch_load_b128 v[154:157], off, off offset:480
	v_add_f64_e32 v[190:191], v[190:191], v[194:195]
	v_fmac_f64_e32 v[196:197], v[6:7], v[158:159]
	v_add_f64_e32 v[188:189], v[200:201], v[198:199]
	;; [unrolled: 18-line block ×3, first 2 shown]
	v_fma_f64 v[198:199], v[4:5], v[170:171], -v[172:173]
	ds_load_b128 v[4:7], v2 offset:1328
	s_wait_loadcnt_dscnt 0xa01
	v_mul_f64_e32 v[196:197], v[186:187], v[184:185]
	v_mul_f64_e32 v[184:185], v[188:189], v[184:185]
	scratch_load_b128 v[170:173], off, off offset:528
	v_add_f64_e32 v[190:191], v[190:191], v[194:195]
	v_add_f64_e32 v[200:201], v[180:181], v[178:179]
	s_wait_loadcnt_dscnt 0xa00
	v_mul_f64_e32 v[194:195], v[4:5], v[168:169]
	v_mul_f64_e32 v[168:169], v[6:7], v[168:169]
	v_fmac_f64_e32 v[196:197], v[188:189], v[182:183]
	v_fma_f64 v[186:187], v[186:187], v[182:183], -v[184:185]
	ds_load_b128 v[178:181], v2 offset:1344
	scratch_load_b128 v[182:185], off, off offset:544
	v_add_f64_e32 v[190:191], v[190:191], v[192:193]
	v_add_f64_e32 v[188:189], v[200:201], v[198:199]
	v_fmac_f64_e32 v[194:195], v[6:7], v[166:167]
	v_fma_f64 v[198:199], v[4:5], v[166:167], -v[168:169]
	ds_load_b128 v[4:7], v2 offset:1360
	s_wait_loadcnt_dscnt 0xa01
	v_mul_f64_e32 v[192:193], v[178:179], v[12:13]
	v_mul_f64_e32 v[12:13], v[180:181], v[12:13]
	scratch_load_b128 v[166:169], off, off offset:560
	v_add_f64_e32 v[190:191], v[190:191], v[196:197]
	s_wait_loadcnt_dscnt 0xa00
	v_mul_f64_e32 v[196:197], v[4:5], v[136:137]
	v_add_f64_e32 v[200:201], v[188:189], v[186:187]
	v_mul_f64_e32 v[136:137], v[6:7], v[136:137]
	ds_load_b128 v[186:189], v2 offset:1376
	v_fmac_f64_e32 v[192:193], v[180:181], v[10:11]
	v_fma_f64 v[178:179], v[178:179], v[10:11], -v[12:13]
	scratch_load_b128 v[10:13], off, off offset:576
	v_add_f64_e32 v[190:191], v[190:191], v[194:195]
	v_fmac_f64_e32 v[196:197], v[6:7], v[134:135]
	v_add_f64_e32 v[180:181], v[200:201], v[198:199]
	v_fma_f64 v[198:199], v[4:5], v[134:135], -v[136:137]
	ds_load_b128 v[4:7], v2 offset:1392
	s_wait_loadcnt_dscnt 0xa01
	v_mul_f64_e32 v[194:195], v[186:187], v[140:141]
	v_mul_f64_e32 v[140:141], v[188:189], v[140:141]
	scratch_load_b128 v[134:137], off, off offset:592
	v_add_f64_e32 v[190:191], v[190:191], v[192:193]
	s_wait_loadcnt_dscnt 0xa00
	v_mul_f64_e32 v[192:193], v[4:5], v[144:145]
	v_add_f64_e32 v[200:201], v[180:181], v[178:179]
	v_mul_f64_e32 v[144:145], v[6:7], v[144:145]
	ds_load_b128 v[178:181], v2 offset:1408
	v_fmac_f64_e32 v[194:195], v[188:189], v[138:139]
	v_fma_f64 v[186:187], v[186:187], v[138:139], -v[140:141]
	scratch_load_b128 v[138:141], off, off offset:608
	v_add_f64_e32 v[190:191], v[190:191], v[196:197]
	v_fmac_f64_e32 v[192:193], v[6:7], v[142:143]
	v_add_f64_e32 v[188:189], v[200:201], v[198:199]
	;; [unrolled: 18-line block ×12, first 2 shown]
	v_fma_f64 v[198:199], v[4:5], v[166:167], -v[168:169]
	ds_load_b128 v[4:7], v2 offset:1744
	s_wait_loadcnt_dscnt 0xa01
	v_mul_f64_e32 v[192:193], v[178:179], v[12:13]
	v_mul_f64_e32 v[12:13], v[180:181], v[12:13]
	scratch_load_b128 v[166:169], off, off offset:944
	v_add_f64_e32 v[190:191], v[190:191], v[196:197]
	s_wait_loadcnt_dscnt 0xa00
	v_mul_f64_e32 v[196:197], v[4:5], v[136:137]
	v_add_f64_e32 v[200:201], v[188:189], v[186:187]
	v_mul_f64_e32 v[136:137], v[6:7], v[136:137]
	ds_load_b128 v[186:189], v2 offset:1760
	v_fmac_f64_e32 v[192:193], v[180:181], v[10:11]
	v_fma_f64 v[10:11], v[178:179], v[10:11], -v[12:13]
	s_wait_loadcnt_dscnt 0x900
	v_mul_f64_e32 v[180:181], v[186:187], v[140:141]
	v_mul_f64_e32 v[140:141], v[188:189], v[140:141]
	v_add_f64_e32 v[178:179], v[190:191], v[194:195]
	v_fmac_f64_e32 v[196:197], v[6:7], v[134:135]
	v_add_f64_e32 v[12:13], v[200:201], v[198:199]
	v_fma_f64 v[134:135], v[4:5], v[134:135], -v[136:137]
	v_fmac_f64_e32 v[180:181], v[188:189], v[138:139]
	v_fma_f64 v[138:139], v[186:187], v[138:139], -v[140:141]
	v_add_f64_e32 v[178:179], v[178:179], v[192:193]
	v_add_f64_e32 v[136:137], v[12:13], v[10:11]
	ds_load_b128 v[4:7], v2 offset:1776
	ds_load_b128 v[10:13], v2 offset:1792
	s_wait_loadcnt_dscnt 0x801
	v_mul_f64_e32 v[190:191], v[4:5], v[144:145]
	v_mul_f64_e32 v[144:145], v[6:7], v[144:145]
	s_wait_loadcnt_dscnt 0x700
	v_mul_f64_e32 v[140:141], v[10:11], v[148:149]
	v_mul_f64_e32 v[148:149], v[12:13], v[148:149]
	v_add_f64_e32 v[134:135], v[136:137], v[134:135]
	v_add_f64_e32 v[136:137], v[178:179], v[196:197]
	v_fmac_f64_e32 v[190:191], v[6:7], v[142:143]
	v_fma_f64 v[142:143], v[4:5], v[142:143], -v[144:145]
	v_fmac_f64_e32 v[140:141], v[12:13], v[146:147]
	v_fma_f64 v[10:11], v[10:11], v[146:147], -v[148:149]
	v_add_f64_e32 v[138:139], v[134:135], v[138:139]
	v_add_f64_e32 v[144:145], v[136:137], v[180:181]
	ds_load_b128 v[4:7], v2 offset:1808
	ds_load_b128 v[134:137], v2 offset:1824
	s_wait_loadcnt_dscnt 0x601
	v_mul_f64_e32 v[178:179], v[4:5], v[152:153]
	v_mul_f64_e32 v[152:153], v[6:7], v[152:153]
	v_add_f64_e32 v[12:13], v[138:139], v[142:143]
	v_add_f64_e32 v[138:139], v[144:145], v[190:191]
	s_wait_loadcnt_dscnt 0x500
	v_mul_f64_e32 v[142:143], v[134:135], v[156:157]
	v_mul_f64_e32 v[144:145], v[136:137], v[156:157]
	v_fmac_f64_e32 v[178:179], v[6:7], v[150:151]
	v_fma_f64 v[146:147], v[4:5], v[150:151], -v[152:153]
	v_add_f64_e32 v[148:149], v[12:13], v[10:11]
	v_add_f64_e32 v[138:139], v[138:139], v[140:141]
	ds_load_b128 v[4:7], v2 offset:1840
	ds_load_b128 v[10:13], v2 offset:1856
	v_fmac_f64_e32 v[142:143], v[136:137], v[154:155]
	v_fma_f64 v[134:135], v[134:135], v[154:155], -v[144:145]
	s_wait_loadcnt_dscnt 0x401
	v_mul_f64_e32 v[140:141], v[4:5], v[160:161]
	v_mul_f64_e32 v[150:151], v[6:7], v[160:161]
	s_wait_loadcnt_dscnt 0x300
	v_mul_f64_e32 v[144:145], v[10:11], v[164:165]
	v_add_f64_e32 v[136:137], v[148:149], v[146:147]
	v_add_f64_e32 v[138:139], v[138:139], v[178:179]
	v_mul_f64_e32 v[146:147], v[12:13], v[164:165]
	v_fmac_f64_e32 v[140:141], v[6:7], v[158:159]
	v_fma_f64 v[148:149], v[4:5], v[158:159], -v[150:151]
	v_fmac_f64_e32 v[144:145], v[12:13], v[162:163]
	v_add_f64_e32 v[150:151], v[136:137], v[134:135]
	v_add_f64_e32 v[138:139], v[138:139], v[142:143]
	ds_load_b128 v[4:7], v2 offset:1872
	ds_load_b128 v[134:137], v2 offset:1888
	v_fma_f64 v[10:11], v[10:11], v[162:163], -v[146:147]
	s_wait_loadcnt_dscnt 0x201
	v_mul_f64_e32 v[142:143], v[4:5], v[172:173]
	v_mul_f64_e32 v[152:153], v[6:7], v[172:173]
	s_wait_loadcnt_dscnt 0x100
	v_mul_f64_e32 v[146:147], v[136:137], v[184:185]
	v_add_f64_e32 v[12:13], v[150:151], v[148:149]
	v_add_f64_e32 v[138:139], v[138:139], v[140:141]
	v_mul_f64_e32 v[140:141], v[134:135], v[184:185]
	v_fmac_f64_e32 v[142:143], v[6:7], v[170:171]
	v_fma_f64 v[148:149], v[4:5], v[170:171], -v[152:153]
	ds_load_b128 v[4:7], v2 offset:1904
	v_fma_f64 v[134:135], v[134:135], v[182:183], -v[146:147]
	v_add_f64_e32 v[10:11], v[12:13], v[10:11]
	v_add_f64_e32 v[12:13], v[138:139], v[144:145]
	v_fmac_f64_e32 v[140:141], v[136:137], v[182:183]
	s_wait_loadcnt_dscnt 0x0
	v_mul_f64_e32 v[138:139], v[4:5], v[168:169]
	v_mul_f64_e32 v[144:145], v[6:7], v[168:169]
	v_add_f64_e32 v[10:11], v[10:11], v[148:149]
	v_add_f64_e32 v[12:13], v[12:13], v[142:143]
	s_delay_alu instid0(VALU_DEP_4) | instskip(NEXT) | instid1(VALU_DEP_4)
	v_fmac_f64_e32 v[138:139], v[6:7], v[166:167]
	v_fma_f64 v[4:5], v[4:5], v[166:167], -v[144:145]
	s_delay_alu instid0(VALU_DEP_4) | instskip(NEXT) | instid1(VALU_DEP_4)
	v_add_f64_e32 v[6:7], v[10:11], v[134:135]
	v_add_f64_e32 v[10:11], v[12:13], v[140:141]
	s_delay_alu instid0(VALU_DEP_2) | instskip(NEXT) | instid1(VALU_DEP_2)
	v_add_f64_e32 v[4:5], v[6:7], v[4:5]
	v_add_f64_e32 v[6:7], v[10:11], v[138:139]
	s_delay_alu instid0(VALU_DEP_2) | instskip(NEXT) | instid1(VALU_DEP_2)
	v_add_f64_e64 v[4:5], v[174:175], -v[4:5]
	v_add_f64_e64 v[6:7], v[176:177], -v[6:7]
	scratch_store_b128 off, v[4:7], off offset:160
	s_wait_xcnt 0x0
	v_cmpx_lt_u32_e32 9, v1
	s_cbranch_execz .LBB59_355
; %bb.354:
	scratch_load_b128 v[10:13], off, s53
	v_dual_mov_b32 v3, v2 :: v_dual_mov_b32 v4, v2
	v_mov_b32_e32 v5, v2
	scratch_store_b128 off, v[2:5], off offset:144
	s_wait_loadcnt 0x0
	ds_store_b128 v8, v[10:13]
.LBB59_355:
	s_wait_xcnt 0x0
	s_or_b32 exec_lo, exec_lo, s2
	s_wait_storecnt_dscnt 0x0
	s_barrier_signal -1
	s_barrier_wait -1
	s_clause 0x9
	scratch_load_b128 v[4:7], off, off offset:160
	scratch_load_b128 v[10:13], off, off offset:176
	;; [unrolled: 1-line block ×10, first 2 shown]
	ds_load_b128 v[166:169], v2 offset:1120
	ds_load_b128 v[174:177], v2 offset:1136
	s_clause 0x2
	scratch_load_b128 v[170:173], off, off offset:320
	scratch_load_b128 v[178:181], off, off offset:144
	;; [unrolled: 1-line block ×3, first 2 shown]
	s_mov_b32 s2, exec_lo
	s_wait_loadcnt_dscnt 0xc01
	v_mul_f64_e32 v[186:187], v[168:169], v[6:7]
	v_mul_f64_e32 v[190:191], v[166:167], v[6:7]
	s_wait_loadcnt_dscnt 0xb00
	v_mul_f64_e32 v[192:193], v[174:175], v[12:13]
	v_mul_f64_e32 v[12:13], v[176:177], v[12:13]
	s_delay_alu instid0(VALU_DEP_4) | instskip(NEXT) | instid1(VALU_DEP_4)
	v_fma_f64 v[194:195], v[166:167], v[4:5], -v[186:187]
	v_fmac_f64_e32 v[190:191], v[168:169], v[4:5]
	ds_load_b128 v[4:7], v2 offset:1152
	ds_load_b128 v[166:169], v2 offset:1168
	scratch_load_b128 v[186:189], off, off offset:352
	v_fmac_f64_e32 v[192:193], v[176:177], v[10:11]
	v_fma_f64 v[174:175], v[174:175], v[10:11], -v[12:13]
	scratch_load_b128 v[10:13], off, off offset:368
	s_wait_loadcnt_dscnt 0xc01
	v_mul_f64_e32 v[196:197], v[4:5], v[136:137]
	v_mul_f64_e32 v[136:137], v[6:7], v[136:137]
	v_add_f64_e32 v[176:177], 0, v[194:195]
	v_add_f64_e32 v[190:191], 0, v[190:191]
	s_wait_loadcnt_dscnt 0xb00
	v_mul_f64_e32 v[194:195], v[166:167], v[140:141]
	v_mul_f64_e32 v[140:141], v[168:169], v[140:141]
	v_fmac_f64_e32 v[196:197], v[6:7], v[134:135]
	v_fma_f64 v[198:199], v[4:5], v[134:135], -v[136:137]
	ds_load_b128 v[4:7], v2 offset:1184
	ds_load_b128 v[134:137], v2 offset:1200
	v_add_f64_e32 v[200:201], v[176:177], v[174:175]
	v_add_f64_e32 v[190:191], v[190:191], v[192:193]
	scratch_load_b128 v[174:177], off, off offset:384
	v_fmac_f64_e32 v[194:195], v[168:169], v[138:139]
	v_fma_f64 v[166:167], v[166:167], v[138:139], -v[140:141]
	scratch_load_b128 v[138:141], off, off offset:400
	s_wait_loadcnt_dscnt 0xc01
	v_mul_f64_e32 v[192:193], v[4:5], v[144:145]
	v_mul_f64_e32 v[144:145], v[6:7], v[144:145]
	v_add_f64_e32 v[168:169], v[200:201], v[198:199]
	v_add_f64_e32 v[190:191], v[190:191], v[196:197]
	s_wait_loadcnt_dscnt 0xb00
	v_mul_f64_e32 v[196:197], v[134:135], v[148:149]
	v_mul_f64_e32 v[148:149], v[136:137], v[148:149]
	v_fmac_f64_e32 v[192:193], v[6:7], v[142:143]
	v_fma_f64 v[198:199], v[4:5], v[142:143], -v[144:145]
	ds_load_b128 v[4:7], v2 offset:1216
	ds_load_b128 v[142:145], v2 offset:1232
	v_add_f64_e32 v[200:201], v[168:169], v[166:167]
	v_add_f64_e32 v[190:191], v[190:191], v[194:195]
	scratch_load_b128 v[166:169], off, off offset:416
	s_wait_loadcnt_dscnt 0xb01
	v_mul_f64_e32 v[194:195], v[4:5], v[152:153]
	v_mul_f64_e32 v[152:153], v[6:7], v[152:153]
	v_fmac_f64_e32 v[196:197], v[136:137], v[146:147]
	v_fma_f64 v[146:147], v[134:135], v[146:147], -v[148:149]
	scratch_load_b128 v[134:137], off, off offset:432
	v_add_f64_e32 v[148:149], v[200:201], v[198:199]
	v_add_f64_e32 v[190:191], v[190:191], v[192:193]
	s_wait_loadcnt_dscnt 0xb00
	v_mul_f64_e32 v[192:193], v[142:143], v[156:157]
	v_mul_f64_e32 v[156:157], v[144:145], v[156:157]
	v_fmac_f64_e32 v[194:195], v[6:7], v[150:151]
	v_fma_f64 v[198:199], v[4:5], v[150:151], -v[152:153]
	v_add_f64_e32 v[200:201], v[148:149], v[146:147]
	v_add_f64_e32 v[190:191], v[190:191], v[196:197]
	ds_load_b128 v[4:7], v2 offset:1248
	ds_load_b128 v[146:149], v2 offset:1264
	scratch_load_b128 v[150:153], off, off offset:448
	v_fmac_f64_e32 v[192:193], v[144:145], v[154:155]
	v_fma_f64 v[154:155], v[142:143], v[154:155], -v[156:157]
	scratch_load_b128 v[142:145], off, off offset:464
	s_wait_loadcnt_dscnt 0xc01
	v_mul_f64_e32 v[196:197], v[4:5], v[160:161]
	v_mul_f64_e32 v[160:161], v[6:7], v[160:161]
	v_add_f64_e32 v[156:157], v[200:201], v[198:199]
	v_add_f64_e32 v[190:191], v[190:191], v[194:195]
	s_wait_loadcnt_dscnt 0xb00
	v_mul_f64_e32 v[194:195], v[146:147], v[164:165]
	v_mul_f64_e32 v[164:165], v[148:149], v[164:165]
	v_fmac_f64_e32 v[196:197], v[6:7], v[158:159]
	v_fma_f64 v[198:199], v[4:5], v[158:159], -v[160:161]
	v_add_f64_e32 v[200:201], v[156:157], v[154:155]
	v_add_f64_e32 v[190:191], v[190:191], v[192:193]
	ds_load_b128 v[4:7], v2 offset:1280
	ds_load_b128 v[154:157], v2 offset:1296
	scratch_load_b128 v[158:161], off, off offset:480
	v_fmac_f64_e32 v[194:195], v[148:149], v[162:163]
	v_fma_f64 v[162:163], v[146:147], v[162:163], -v[164:165]
	scratch_load_b128 v[146:149], off, off offset:496
	s_wait_loadcnt_dscnt 0xc01
	v_mul_f64_e32 v[192:193], v[4:5], v[172:173]
	v_mul_f64_e32 v[172:173], v[6:7], v[172:173]
	;; [unrolled: 18-line block ×5, first 2 shown]
	v_add_f64_e32 v[184:185], v[200:201], v[198:199]
	v_add_f64_e32 v[190:191], v[190:191], v[196:197]
	s_wait_loadcnt_dscnt 0xa00
	v_mul_f64_e32 v[196:197], v[162:163], v[136:137]
	v_mul_f64_e32 v[136:137], v[164:165], v[136:137]
	v_fmac_f64_e32 v[192:193], v[6:7], v[166:167]
	v_fma_f64 v[198:199], v[4:5], v[166:167], -v[168:169]
	ds_load_b128 v[4:7], v2 offset:1408
	ds_load_b128 v[166:169], v2 offset:1424
	v_add_f64_e32 v[200:201], v[184:185], v[182:183]
	v_add_f64_e32 v[190:191], v[190:191], v[194:195]
	scratch_load_b128 v[182:185], off, off offset:608
	v_fmac_f64_e32 v[196:197], v[164:165], v[134:135]
	v_fma_f64 v[162:163], v[162:163], v[134:135], -v[136:137]
	scratch_load_b128 v[134:137], off, off offset:624
	s_wait_loadcnt_dscnt 0xb01
	v_mul_f64_e32 v[194:195], v[4:5], v[152:153]
	v_mul_f64_e32 v[152:153], v[6:7], v[152:153]
	v_add_f64_e32 v[164:165], v[200:201], v[198:199]
	v_add_f64_e32 v[190:191], v[190:191], v[192:193]
	s_wait_loadcnt_dscnt 0xa00
	v_mul_f64_e32 v[192:193], v[166:167], v[144:145]
	v_mul_f64_e32 v[144:145], v[168:169], v[144:145]
	v_fmac_f64_e32 v[194:195], v[6:7], v[150:151]
	v_fma_f64 v[198:199], v[4:5], v[150:151], -v[152:153]
	ds_load_b128 v[4:7], v2 offset:1440
	ds_load_b128 v[150:153], v2 offset:1456
	v_add_f64_e32 v[200:201], v[164:165], v[162:163]
	v_add_f64_e32 v[190:191], v[190:191], v[196:197]
	scratch_load_b128 v[162:165], off, off offset:640
	s_wait_loadcnt_dscnt 0xa01
	v_mul_f64_e32 v[196:197], v[4:5], v[160:161]
	v_mul_f64_e32 v[160:161], v[6:7], v[160:161]
	v_fmac_f64_e32 v[192:193], v[168:169], v[142:143]
	v_fma_f64 v[166:167], v[166:167], v[142:143], -v[144:145]
	scratch_load_b128 v[142:145], off, off offset:656
	v_add_f64_e32 v[168:169], v[200:201], v[198:199]
	v_add_f64_e32 v[190:191], v[190:191], v[194:195]
	s_wait_loadcnt_dscnt 0xa00
	v_mul_f64_e32 v[194:195], v[150:151], v[148:149]
	v_mul_f64_e32 v[148:149], v[152:153], v[148:149]
	v_fmac_f64_e32 v[196:197], v[6:7], v[158:159]
	v_fma_f64 v[198:199], v[4:5], v[158:159], -v[160:161]
	ds_load_b128 v[4:7], v2 offset:1472
	ds_load_b128 v[158:161], v2 offset:1488
	v_add_f64_e32 v[200:201], v[168:169], v[166:167]
	v_add_f64_e32 v[190:191], v[190:191], v[192:193]
	scratch_load_b128 v[166:169], off, off offset:672
	s_wait_loadcnt_dscnt 0xa01
	v_mul_f64_e32 v[192:193], v[4:5], v[172:173]
	v_mul_f64_e32 v[172:173], v[6:7], v[172:173]
	v_fmac_f64_e32 v[194:195], v[152:153], v[146:147]
	v_fma_f64 v[150:151], v[150:151], v[146:147], -v[148:149]
	scratch_load_b128 v[146:149], off, off offset:688
	v_add_f64_e32 v[152:153], v[200:201], v[198:199]
	v_add_f64_e32 v[190:191], v[190:191], v[196:197]
	s_wait_loadcnt_dscnt 0xa00
	v_mul_f64_e32 v[196:197], v[158:159], v[156:157]
	v_mul_f64_e32 v[156:157], v[160:161], v[156:157]
	v_fmac_f64_e32 v[192:193], v[6:7], v[170:171]
	v_fma_f64 v[198:199], v[4:5], v[170:171], -v[172:173]
	v_add_f64_e32 v[200:201], v[152:153], v[150:151]
	v_add_f64_e32 v[190:191], v[190:191], v[194:195]
	ds_load_b128 v[4:7], v2 offset:1504
	ds_load_b128 v[150:153], v2 offset:1520
	scratch_load_b128 v[170:173], off, off offset:704
	v_fmac_f64_e32 v[196:197], v[160:161], v[154:155]
	v_fma_f64 v[158:159], v[158:159], v[154:155], -v[156:157]
	scratch_load_b128 v[154:157], off, off offset:720
	s_wait_loadcnt_dscnt 0xb01
	v_mul_f64_e32 v[194:195], v[4:5], v[188:189]
	v_mul_f64_e32 v[188:189], v[6:7], v[188:189]
	v_add_f64_e32 v[160:161], v[200:201], v[198:199]
	v_add_f64_e32 v[190:191], v[190:191], v[192:193]
	s_wait_loadcnt_dscnt 0xa00
	v_mul_f64_e32 v[192:193], v[150:151], v[12:13]
	v_mul_f64_e32 v[12:13], v[152:153], v[12:13]
	v_fmac_f64_e32 v[194:195], v[6:7], v[186:187]
	v_fma_f64 v[198:199], v[4:5], v[186:187], -v[188:189]
	v_add_f64_e32 v[200:201], v[160:161], v[158:159]
	v_add_f64_e32 v[190:191], v[190:191], v[196:197]
	ds_load_b128 v[4:7], v2 offset:1536
	ds_load_b128 v[158:161], v2 offset:1552
	scratch_load_b128 v[186:189], off, off offset:736
	v_fmac_f64_e32 v[192:193], v[152:153], v[10:11]
	v_fma_f64 v[150:151], v[150:151], v[10:11], -v[12:13]
	scratch_load_b128 v[10:13], off, off offset:752
	s_wait_loadcnt_dscnt 0xb01
	v_mul_f64_e32 v[196:197], v[4:5], v[176:177]
	v_mul_f64_e32 v[176:177], v[6:7], v[176:177]
	;; [unrolled: 18-line block ×8, first 2 shown]
	v_add_f64_e32 v[152:153], v[200:201], v[198:199]
	v_add_f64_e32 v[190:191], v[190:191], v[194:195]
	s_wait_loadcnt_dscnt 0xa00
	v_mul_f64_e32 v[194:195], v[158:159], v[140:141]
	v_mul_f64_e32 v[140:141], v[160:161], v[140:141]
	v_fmac_f64_e32 v[196:197], v[6:7], v[174:175]
	v_fma_f64 v[174:175], v[4:5], v[174:175], -v[176:177]
	v_add_f64_e32 v[176:177], v[152:153], v[150:151]
	v_add_f64_e32 v[190:191], v[190:191], v[192:193]
	ds_load_b128 v[4:7], v2 offset:1760
	ds_load_b128 v[150:153], v2 offset:1776
	v_fmac_f64_e32 v[194:195], v[160:161], v[138:139]
	v_fma_f64 v[138:139], v[158:159], v[138:139], -v[140:141]
	s_wait_loadcnt_dscnt 0x901
	v_mul_f64_e32 v[192:193], v[4:5], v[184:185]
	v_mul_f64_e32 v[184:185], v[6:7], v[184:185]
	s_wait_loadcnt_dscnt 0x800
	v_mul_f64_e32 v[160:161], v[150:151], v[136:137]
	v_add_f64_e32 v[140:141], v[176:177], v[174:175]
	v_add_f64_e32 v[158:159], v[190:191], v[196:197]
	v_mul_f64_e32 v[174:175], v[152:153], v[136:137]
	v_fmac_f64_e32 v[192:193], v[6:7], v[182:183]
	v_fma_f64 v[176:177], v[4:5], v[182:183], -v[184:185]
	v_fmac_f64_e32 v[160:161], v[152:153], v[134:135]
	v_add_f64_e32 v[140:141], v[140:141], v[138:139]
	v_add_f64_e32 v[158:159], v[158:159], v[194:195]
	ds_load_b128 v[4:7], v2 offset:1792
	ds_load_b128 v[136:139], v2 offset:1808
	v_fma_f64 v[134:135], v[150:151], v[134:135], -v[174:175]
	s_wait_loadcnt_dscnt 0x701
	v_mul_f64_e32 v[182:183], v[4:5], v[164:165]
	v_mul_f64_e32 v[164:165], v[6:7], v[164:165]
	v_add_f64_e32 v[140:141], v[140:141], v[176:177]
	v_add_f64_e32 v[150:151], v[158:159], v[192:193]
	s_wait_loadcnt_dscnt 0x600
	v_mul_f64_e32 v[158:159], v[136:137], v[144:145]
	v_mul_f64_e32 v[144:145], v[138:139], v[144:145]
	v_fmac_f64_e32 v[182:183], v[6:7], v[162:163]
	v_fma_f64 v[162:163], v[4:5], v[162:163], -v[164:165]
	v_add_f64_e32 v[134:135], v[140:141], v[134:135]
	v_add_f64_e32 v[140:141], v[150:151], v[160:161]
	ds_load_b128 v[4:7], v2 offset:1824
	ds_load_b128 v[150:153], v2 offset:1840
	v_fmac_f64_e32 v[158:159], v[138:139], v[142:143]
	v_fma_f64 v[136:137], v[136:137], v[142:143], -v[144:145]
	s_wait_loadcnt_dscnt 0x501
	v_mul_f64_e32 v[160:161], v[4:5], v[168:169]
	v_mul_f64_e32 v[164:165], v[6:7], v[168:169]
	s_wait_loadcnt_dscnt 0x400
	v_mul_f64_e32 v[142:143], v[152:153], v[148:149]
	v_add_f64_e32 v[134:135], v[134:135], v[162:163]
	v_add_f64_e32 v[138:139], v[140:141], v[182:183]
	v_mul_f64_e32 v[140:141], v[150:151], v[148:149]
	v_fmac_f64_e32 v[160:161], v[6:7], v[166:167]
	v_fma_f64 v[144:145], v[4:5], v[166:167], -v[164:165]
	v_fma_f64 v[142:143], v[150:151], v[146:147], -v[142:143]
	v_add_f64_e32 v[148:149], v[134:135], v[136:137]
	v_add_f64_e32 v[138:139], v[138:139], v[158:159]
	ds_load_b128 v[4:7], v2 offset:1856
	ds_load_b128 v[134:137], v2 offset:1872
	v_fmac_f64_e32 v[140:141], v[152:153], v[146:147]
	s_wait_loadcnt_dscnt 0x301
	v_mul_f64_e32 v[158:159], v[4:5], v[172:173]
	v_mul_f64_e32 v[162:163], v[6:7], v[172:173]
	s_wait_loadcnt_dscnt 0x200
	v_mul_f64_e32 v[146:147], v[134:135], v[156:157]
	v_add_f64_e32 v[144:145], v[148:149], v[144:145]
	v_add_f64_e32 v[138:139], v[138:139], v[160:161]
	v_mul_f64_e32 v[148:149], v[136:137], v[156:157]
	v_fmac_f64_e32 v[158:159], v[6:7], v[170:171]
	v_fma_f64 v[150:151], v[4:5], v[170:171], -v[162:163]
	v_fmac_f64_e32 v[146:147], v[136:137], v[154:155]
	v_add_f64_e32 v[142:143], v[144:145], v[142:143]
	v_add_f64_e32 v[144:145], v[138:139], v[140:141]
	ds_load_b128 v[4:7], v2 offset:1888
	ds_load_b128 v[138:141], v2 offset:1904
	v_fma_f64 v[134:135], v[134:135], v[154:155], -v[148:149]
	s_wait_loadcnt_dscnt 0x101
	v_mul_f64_e32 v[2:3], v[4:5], v[188:189]
	v_mul_f64_e32 v[152:153], v[6:7], v[188:189]
	v_add_f64_e32 v[136:137], v[142:143], v[150:151]
	v_add_f64_e32 v[142:143], v[144:145], v[158:159]
	s_wait_loadcnt_dscnt 0x0
	v_mul_f64_e32 v[144:145], v[138:139], v[12:13]
	v_mul_f64_e32 v[12:13], v[140:141], v[12:13]
	v_fmac_f64_e32 v[2:3], v[6:7], v[186:187]
	v_fma_f64 v[4:5], v[4:5], v[186:187], -v[152:153]
	v_add_f64_e32 v[6:7], v[136:137], v[134:135]
	v_add_f64_e32 v[134:135], v[142:143], v[146:147]
	v_fmac_f64_e32 v[144:145], v[140:141], v[10:11]
	v_fma_f64 v[10:11], v[138:139], v[10:11], -v[12:13]
	s_delay_alu instid0(VALU_DEP_4) | instskip(NEXT) | instid1(VALU_DEP_4)
	v_add_f64_e32 v[4:5], v[6:7], v[4:5]
	v_add_f64_e32 v[2:3], v[134:135], v[2:3]
	s_delay_alu instid0(VALU_DEP_2) | instskip(NEXT) | instid1(VALU_DEP_2)
	v_add_f64_e32 v[4:5], v[4:5], v[10:11]
	v_add_f64_e32 v[6:7], v[2:3], v[144:145]
	s_delay_alu instid0(VALU_DEP_2) | instskip(NEXT) | instid1(VALU_DEP_2)
	v_add_f64_e64 v[2:3], v[178:179], -v[4:5]
	v_add_f64_e64 v[4:5], v[180:181], -v[6:7]
	scratch_store_b128 off, v[2:5], off offset:144
	s_wait_xcnt 0x0
	v_cmpx_lt_u32_e32 8, v1
	s_cbranch_execz .LBB59_357
; %bb.356:
	scratch_load_b128 v[2:5], off, s68
	v_mov_b32_e32 v10, 0
	s_delay_alu instid0(VALU_DEP_1)
	v_dual_mov_b32 v11, v10 :: v_dual_mov_b32 v12, v10
	v_mov_b32_e32 v13, v10
	scratch_store_b128 off, v[10:13], off offset:128
	s_wait_loadcnt 0x0
	ds_store_b128 v8, v[2:5]
.LBB59_357:
	s_wait_xcnt 0x0
	s_or_b32 exec_lo, exec_lo, s2
	s_wait_storecnt_dscnt 0x0
	s_barrier_signal -1
	s_barrier_wait -1
	s_clause 0x9
	scratch_load_b128 v[4:7], off, off offset:144
	scratch_load_b128 v[10:13], off, off offset:160
	;; [unrolled: 1-line block ×10, first 2 shown]
	v_mov_b32_e32 v2, 0
	s_mov_b32 s2, exec_lo
	ds_load_b128 v[166:169], v2 offset:1104
	s_clause 0x2
	scratch_load_b128 v[170:173], off, off offset:304
	scratch_load_b128 v[174:177], off, off offset:128
	;; [unrolled: 1-line block ×3, first 2 shown]
	s_wait_loadcnt_dscnt 0xc00
	v_mul_f64_e32 v[186:187], v[168:169], v[6:7]
	v_mul_f64_e32 v[190:191], v[166:167], v[6:7]
	ds_load_b128 v[178:181], v2 offset:1120
	v_fma_f64 v[194:195], v[166:167], v[4:5], -v[186:187]
	v_fmac_f64_e32 v[190:191], v[168:169], v[4:5]
	ds_load_b128 v[4:7], v2 offset:1136
	s_wait_loadcnt_dscnt 0xb01
	v_mul_f64_e32 v[192:193], v[178:179], v[12:13]
	v_mul_f64_e32 v[12:13], v[180:181], v[12:13]
	scratch_load_b128 v[166:169], off, off offset:336
	ds_load_b128 v[186:189], v2 offset:1152
	s_wait_loadcnt_dscnt 0xb01
	v_mul_f64_e32 v[196:197], v[4:5], v[136:137]
	v_mul_f64_e32 v[136:137], v[6:7], v[136:137]
	v_add_f64_e32 v[190:191], 0, v[190:191]
	v_fmac_f64_e32 v[192:193], v[180:181], v[10:11]
	v_fma_f64 v[178:179], v[178:179], v[10:11], -v[12:13]
	v_add_f64_e32 v[180:181], 0, v[194:195]
	scratch_load_b128 v[10:13], off, off offset:352
	v_fmac_f64_e32 v[196:197], v[6:7], v[134:135]
	v_fma_f64 v[198:199], v[4:5], v[134:135], -v[136:137]
	ds_load_b128 v[4:7], v2 offset:1168
	s_wait_loadcnt_dscnt 0xb01
	v_mul_f64_e32 v[194:195], v[186:187], v[140:141]
	v_mul_f64_e32 v[140:141], v[188:189], v[140:141]
	scratch_load_b128 v[134:137], off, off offset:368
	v_add_f64_e32 v[190:191], v[190:191], v[192:193]
	v_add_f64_e32 v[200:201], v[180:181], v[178:179]
	ds_load_b128 v[178:181], v2 offset:1184
	s_wait_loadcnt_dscnt 0xb01
	v_mul_f64_e32 v[192:193], v[4:5], v[144:145]
	v_mul_f64_e32 v[144:145], v[6:7], v[144:145]
	v_fmac_f64_e32 v[194:195], v[188:189], v[138:139]
	v_fma_f64 v[186:187], v[186:187], v[138:139], -v[140:141]
	scratch_load_b128 v[138:141], off, off offset:384
	v_add_f64_e32 v[190:191], v[190:191], v[196:197]
	v_add_f64_e32 v[188:189], v[200:201], v[198:199]
	v_fmac_f64_e32 v[192:193], v[6:7], v[142:143]
	v_fma_f64 v[198:199], v[4:5], v[142:143], -v[144:145]
	ds_load_b128 v[4:7], v2 offset:1200
	s_wait_loadcnt_dscnt 0xb01
	v_mul_f64_e32 v[196:197], v[178:179], v[148:149]
	v_mul_f64_e32 v[148:149], v[180:181], v[148:149]
	scratch_load_b128 v[142:145], off, off offset:400
	v_add_f64_e32 v[190:191], v[190:191], v[194:195]
	s_wait_loadcnt_dscnt 0xb00
	v_mul_f64_e32 v[194:195], v[4:5], v[152:153]
	v_add_f64_e32 v[200:201], v[188:189], v[186:187]
	v_mul_f64_e32 v[152:153], v[6:7], v[152:153]
	ds_load_b128 v[186:189], v2 offset:1216
	v_fmac_f64_e32 v[196:197], v[180:181], v[146:147]
	v_fma_f64 v[178:179], v[178:179], v[146:147], -v[148:149]
	scratch_load_b128 v[146:149], off, off offset:416
	v_add_f64_e32 v[190:191], v[190:191], v[192:193]
	v_fmac_f64_e32 v[194:195], v[6:7], v[150:151]
	v_add_f64_e32 v[180:181], v[200:201], v[198:199]
	v_fma_f64 v[198:199], v[4:5], v[150:151], -v[152:153]
	ds_load_b128 v[4:7], v2 offset:1232
	s_wait_loadcnt_dscnt 0xb01
	v_mul_f64_e32 v[192:193], v[186:187], v[156:157]
	v_mul_f64_e32 v[156:157], v[188:189], v[156:157]
	scratch_load_b128 v[150:153], off, off offset:432
	v_add_f64_e32 v[190:191], v[190:191], v[196:197]
	s_wait_loadcnt_dscnt 0xb00
	v_mul_f64_e32 v[196:197], v[4:5], v[160:161]
	v_add_f64_e32 v[200:201], v[180:181], v[178:179]
	v_mul_f64_e32 v[160:161], v[6:7], v[160:161]
	ds_load_b128 v[178:181], v2 offset:1248
	v_fmac_f64_e32 v[192:193], v[188:189], v[154:155]
	v_fma_f64 v[186:187], v[186:187], v[154:155], -v[156:157]
	scratch_load_b128 v[154:157], off, off offset:448
	v_add_f64_e32 v[190:191], v[190:191], v[194:195]
	v_fmac_f64_e32 v[196:197], v[6:7], v[158:159]
	v_add_f64_e32 v[188:189], v[200:201], v[198:199]
	;; [unrolled: 18-line block ×3, first 2 shown]
	v_fma_f64 v[198:199], v[4:5], v[170:171], -v[172:173]
	ds_load_b128 v[4:7], v2 offset:1296
	s_wait_loadcnt_dscnt 0xa01
	v_mul_f64_e32 v[196:197], v[186:187], v[184:185]
	v_mul_f64_e32 v[184:185], v[188:189], v[184:185]
	scratch_load_b128 v[170:173], off, off offset:496
	v_add_f64_e32 v[190:191], v[190:191], v[194:195]
	v_add_f64_e32 v[200:201], v[180:181], v[178:179]
	s_wait_loadcnt_dscnt 0xa00
	v_mul_f64_e32 v[194:195], v[4:5], v[168:169]
	v_mul_f64_e32 v[168:169], v[6:7], v[168:169]
	v_fmac_f64_e32 v[196:197], v[188:189], v[182:183]
	v_fma_f64 v[186:187], v[186:187], v[182:183], -v[184:185]
	ds_load_b128 v[178:181], v2 offset:1312
	scratch_load_b128 v[182:185], off, off offset:512
	v_add_f64_e32 v[190:191], v[190:191], v[192:193]
	v_add_f64_e32 v[188:189], v[200:201], v[198:199]
	v_fmac_f64_e32 v[194:195], v[6:7], v[166:167]
	v_fma_f64 v[198:199], v[4:5], v[166:167], -v[168:169]
	ds_load_b128 v[4:7], v2 offset:1328
	s_wait_loadcnt_dscnt 0xa01
	v_mul_f64_e32 v[192:193], v[178:179], v[12:13]
	v_mul_f64_e32 v[12:13], v[180:181], v[12:13]
	scratch_load_b128 v[166:169], off, off offset:528
	v_add_f64_e32 v[190:191], v[190:191], v[196:197]
	s_wait_loadcnt_dscnt 0xa00
	v_mul_f64_e32 v[196:197], v[4:5], v[136:137]
	v_add_f64_e32 v[200:201], v[188:189], v[186:187]
	v_mul_f64_e32 v[136:137], v[6:7], v[136:137]
	ds_load_b128 v[186:189], v2 offset:1344
	v_fmac_f64_e32 v[192:193], v[180:181], v[10:11]
	v_fma_f64 v[178:179], v[178:179], v[10:11], -v[12:13]
	scratch_load_b128 v[10:13], off, off offset:544
	v_add_f64_e32 v[190:191], v[190:191], v[194:195]
	v_fmac_f64_e32 v[196:197], v[6:7], v[134:135]
	v_add_f64_e32 v[180:181], v[200:201], v[198:199]
	v_fma_f64 v[198:199], v[4:5], v[134:135], -v[136:137]
	ds_load_b128 v[4:7], v2 offset:1360
	s_wait_loadcnt_dscnt 0xa01
	v_mul_f64_e32 v[194:195], v[186:187], v[140:141]
	v_mul_f64_e32 v[140:141], v[188:189], v[140:141]
	scratch_load_b128 v[134:137], off, off offset:560
	v_add_f64_e32 v[190:191], v[190:191], v[192:193]
	s_wait_loadcnt_dscnt 0xa00
	v_mul_f64_e32 v[192:193], v[4:5], v[144:145]
	v_add_f64_e32 v[200:201], v[180:181], v[178:179]
	v_mul_f64_e32 v[144:145], v[6:7], v[144:145]
	ds_load_b128 v[178:181], v2 offset:1376
	v_fmac_f64_e32 v[194:195], v[188:189], v[138:139]
	v_fma_f64 v[186:187], v[186:187], v[138:139], -v[140:141]
	scratch_load_b128 v[138:141], off, off offset:576
	v_add_f64_e32 v[190:191], v[190:191], v[196:197]
	v_fmac_f64_e32 v[192:193], v[6:7], v[142:143]
	v_add_f64_e32 v[188:189], v[200:201], v[198:199]
	;; [unrolled: 18-line block ×13, first 2 shown]
	v_fma_f64 v[198:199], v[4:5], v[134:135], -v[136:137]
	ds_load_b128 v[4:7], v2 offset:1744
	s_wait_loadcnt_dscnt 0xa01
	v_mul_f64_e32 v[194:195], v[186:187], v[140:141]
	v_mul_f64_e32 v[140:141], v[188:189], v[140:141]
	scratch_load_b128 v[134:137], off, off offset:944
	v_add_f64_e32 v[190:191], v[190:191], v[192:193]
	s_wait_loadcnt_dscnt 0xa00
	v_mul_f64_e32 v[192:193], v[4:5], v[144:145]
	v_add_f64_e32 v[200:201], v[180:181], v[178:179]
	v_mul_f64_e32 v[144:145], v[6:7], v[144:145]
	ds_load_b128 v[178:181], v2 offset:1760
	v_fmac_f64_e32 v[194:195], v[188:189], v[138:139]
	v_fma_f64 v[138:139], v[186:187], v[138:139], -v[140:141]
	s_wait_loadcnt_dscnt 0x900
	v_mul_f64_e32 v[188:189], v[178:179], v[148:149]
	v_mul_f64_e32 v[148:149], v[180:181], v[148:149]
	v_add_f64_e32 v[186:187], v[190:191], v[196:197]
	v_fmac_f64_e32 v[192:193], v[6:7], v[142:143]
	v_add_f64_e32 v[140:141], v[200:201], v[198:199]
	v_fma_f64 v[142:143], v[4:5], v[142:143], -v[144:145]
	v_fmac_f64_e32 v[188:189], v[180:181], v[146:147]
	v_fma_f64 v[146:147], v[178:179], v[146:147], -v[148:149]
	v_add_f64_e32 v[186:187], v[186:187], v[194:195]
	v_add_f64_e32 v[144:145], v[140:141], v[138:139]
	ds_load_b128 v[4:7], v2 offset:1776
	ds_load_b128 v[138:141], v2 offset:1792
	s_wait_loadcnt_dscnt 0x801
	v_mul_f64_e32 v[190:191], v[4:5], v[152:153]
	v_mul_f64_e32 v[152:153], v[6:7], v[152:153]
	s_wait_loadcnt_dscnt 0x700
	v_mul_f64_e32 v[148:149], v[138:139], v[156:157]
	v_mul_f64_e32 v[156:157], v[140:141], v[156:157]
	v_add_f64_e32 v[142:143], v[144:145], v[142:143]
	v_add_f64_e32 v[144:145], v[186:187], v[192:193]
	v_fmac_f64_e32 v[190:191], v[6:7], v[150:151]
	v_fma_f64 v[150:151], v[4:5], v[150:151], -v[152:153]
	v_fmac_f64_e32 v[148:149], v[140:141], v[154:155]
	v_fma_f64 v[138:139], v[138:139], v[154:155], -v[156:157]
	v_add_f64_e32 v[146:147], v[142:143], v[146:147]
	v_add_f64_e32 v[152:153], v[144:145], v[188:189]
	ds_load_b128 v[4:7], v2 offset:1808
	ds_load_b128 v[142:145], v2 offset:1824
	s_wait_loadcnt_dscnt 0x601
	v_mul_f64_e32 v[178:179], v[4:5], v[160:161]
	v_mul_f64_e32 v[160:161], v[6:7], v[160:161]
	v_add_f64_e32 v[140:141], v[146:147], v[150:151]
	v_add_f64_e32 v[146:147], v[152:153], v[190:191]
	s_wait_loadcnt_dscnt 0x500
	v_mul_f64_e32 v[150:151], v[142:143], v[164:165]
	v_mul_f64_e32 v[152:153], v[144:145], v[164:165]
	v_fmac_f64_e32 v[178:179], v[6:7], v[158:159]
	v_fma_f64 v[154:155], v[4:5], v[158:159], -v[160:161]
	v_add_f64_e32 v[156:157], v[140:141], v[138:139]
	v_add_f64_e32 v[146:147], v[146:147], v[148:149]
	ds_load_b128 v[4:7], v2 offset:1840
	ds_load_b128 v[138:141], v2 offset:1856
	v_fmac_f64_e32 v[150:151], v[144:145], v[162:163]
	v_fma_f64 v[142:143], v[142:143], v[162:163], -v[152:153]
	s_wait_loadcnt_dscnt 0x401
	v_mul_f64_e32 v[148:149], v[4:5], v[172:173]
	v_mul_f64_e32 v[158:159], v[6:7], v[172:173]
	s_wait_loadcnt_dscnt 0x300
	v_mul_f64_e32 v[152:153], v[138:139], v[184:185]
	v_add_f64_e32 v[144:145], v[156:157], v[154:155]
	v_add_f64_e32 v[146:147], v[146:147], v[178:179]
	v_mul_f64_e32 v[154:155], v[140:141], v[184:185]
	v_fmac_f64_e32 v[148:149], v[6:7], v[170:171]
	v_fma_f64 v[156:157], v[4:5], v[170:171], -v[158:159]
	v_fmac_f64_e32 v[152:153], v[140:141], v[182:183]
	v_add_f64_e32 v[158:159], v[144:145], v[142:143]
	v_add_f64_e32 v[146:147], v[146:147], v[150:151]
	ds_load_b128 v[4:7], v2 offset:1872
	ds_load_b128 v[142:145], v2 offset:1888
	v_fma_f64 v[138:139], v[138:139], v[182:183], -v[154:155]
	s_wait_loadcnt_dscnt 0x201
	v_mul_f64_e32 v[150:151], v[4:5], v[168:169]
	v_mul_f64_e32 v[160:161], v[6:7], v[168:169]
	v_add_f64_e32 v[140:141], v[158:159], v[156:157]
	v_add_f64_e32 v[146:147], v[146:147], v[148:149]
	s_wait_loadcnt_dscnt 0x100
	v_mul_f64_e32 v[148:149], v[142:143], v[12:13]
	v_mul_f64_e32 v[12:13], v[144:145], v[12:13]
	v_fmac_f64_e32 v[150:151], v[6:7], v[166:167]
	v_fma_f64 v[154:155], v[4:5], v[166:167], -v[160:161]
	ds_load_b128 v[4:7], v2 offset:1904
	v_add_f64_e32 v[138:139], v[140:141], v[138:139]
	v_add_f64_e32 v[140:141], v[146:147], v[152:153]
	v_fmac_f64_e32 v[148:149], v[144:145], v[10:11]
	v_fma_f64 v[10:11], v[142:143], v[10:11], -v[12:13]
	s_wait_loadcnt_dscnt 0x0
	v_mul_f64_e32 v[146:147], v[4:5], v[136:137]
	v_mul_f64_e32 v[136:137], v[6:7], v[136:137]
	v_add_f64_e32 v[12:13], v[138:139], v[154:155]
	v_add_f64_e32 v[138:139], v[140:141], v[150:151]
	s_delay_alu instid0(VALU_DEP_4) | instskip(NEXT) | instid1(VALU_DEP_4)
	v_fmac_f64_e32 v[146:147], v[6:7], v[134:135]
	v_fma_f64 v[4:5], v[4:5], v[134:135], -v[136:137]
	s_delay_alu instid0(VALU_DEP_4) | instskip(NEXT) | instid1(VALU_DEP_4)
	v_add_f64_e32 v[6:7], v[12:13], v[10:11]
	v_add_f64_e32 v[10:11], v[138:139], v[148:149]
	s_delay_alu instid0(VALU_DEP_2) | instskip(NEXT) | instid1(VALU_DEP_2)
	v_add_f64_e32 v[4:5], v[6:7], v[4:5]
	v_add_f64_e32 v[6:7], v[10:11], v[146:147]
	s_delay_alu instid0(VALU_DEP_2) | instskip(NEXT) | instid1(VALU_DEP_2)
	v_add_f64_e64 v[4:5], v[174:175], -v[4:5]
	v_add_f64_e64 v[6:7], v[176:177], -v[6:7]
	scratch_store_b128 off, v[4:7], off offset:128
	s_wait_xcnt 0x0
	v_cmpx_lt_u32_e32 7, v1
	s_cbranch_execz .LBB59_359
; %bb.358:
	scratch_load_b128 v[10:13], off, s69
	v_dual_mov_b32 v3, v2 :: v_dual_mov_b32 v4, v2
	v_mov_b32_e32 v5, v2
	scratch_store_b128 off, v[2:5], off offset:112
	s_wait_loadcnt 0x0
	ds_store_b128 v8, v[10:13]
.LBB59_359:
	s_wait_xcnt 0x0
	s_or_b32 exec_lo, exec_lo, s2
	s_wait_storecnt_dscnt 0x0
	s_barrier_signal -1
	s_barrier_wait -1
	s_clause 0x9
	scratch_load_b128 v[4:7], off, off offset:128
	scratch_load_b128 v[10:13], off, off offset:144
	;; [unrolled: 1-line block ×10, first 2 shown]
	ds_load_b128 v[166:169], v2 offset:1088
	ds_load_b128 v[174:177], v2 offset:1104
	s_clause 0x2
	scratch_load_b128 v[170:173], off, off offset:288
	scratch_load_b128 v[178:181], off, off offset:112
	;; [unrolled: 1-line block ×3, first 2 shown]
	s_mov_b32 s2, exec_lo
	s_wait_loadcnt_dscnt 0xc01
	v_mul_f64_e32 v[186:187], v[168:169], v[6:7]
	v_mul_f64_e32 v[190:191], v[166:167], v[6:7]
	s_wait_loadcnt_dscnt 0xb00
	v_mul_f64_e32 v[192:193], v[174:175], v[12:13]
	v_mul_f64_e32 v[12:13], v[176:177], v[12:13]
	s_delay_alu instid0(VALU_DEP_4) | instskip(NEXT) | instid1(VALU_DEP_4)
	v_fma_f64 v[194:195], v[166:167], v[4:5], -v[186:187]
	v_fmac_f64_e32 v[190:191], v[168:169], v[4:5]
	ds_load_b128 v[4:7], v2 offset:1120
	ds_load_b128 v[166:169], v2 offset:1136
	scratch_load_b128 v[186:189], off, off offset:320
	v_fmac_f64_e32 v[192:193], v[176:177], v[10:11]
	v_fma_f64 v[174:175], v[174:175], v[10:11], -v[12:13]
	scratch_load_b128 v[10:13], off, off offset:336
	s_wait_loadcnt_dscnt 0xc01
	v_mul_f64_e32 v[196:197], v[4:5], v[136:137]
	v_mul_f64_e32 v[136:137], v[6:7], v[136:137]
	v_add_f64_e32 v[176:177], 0, v[194:195]
	v_add_f64_e32 v[190:191], 0, v[190:191]
	s_wait_loadcnt_dscnt 0xb00
	v_mul_f64_e32 v[194:195], v[166:167], v[140:141]
	v_mul_f64_e32 v[140:141], v[168:169], v[140:141]
	v_fmac_f64_e32 v[196:197], v[6:7], v[134:135]
	v_fma_f64 v[198:199], v[4:5], v[134:135], -v[136:137]
	ds_load_b128 v[4:7], v2 offset:1152
	ds_load_b128 v[134:137], v2 offset:1168
	v_add_f64_e32 v[200:201], v[176:177], v[174:175]
	v_add_f64_e32 v[190:191], v[190:191], v[192:193]
	scratch_load_b128 v[174:177], off, off offset:352
	v_fmac_f64_e32 v[194:195], v[168:169], v[138:139]
	v_fma_f64 v[166:167], v[166:167], v[138:139], -v[140:141]
	scratch_load_b128 v[138:141], off, off offset:368
	s_wait_loadcnt_dscnt 0xc01
	v_mul_f64_e32 v[192:193], v[4:5], v[144:145]
	v_mul_f64_e32 v[144:145], v[6:7], v[144:145]
	v_add_f64_e32 v[168:169], v[200:201], v[198:199]
	v_add_f64_e32 v[190:191], v[190:191], v[196:197]
	s_wait_loadcnt_dscnt 0xb00
	v_mul_f64_e32 v[196:197], v[134:135], v[148:149]
	v_mul_f64_e32 v[148:149], v[136:137], v[148:149]
	v_fmac_f64_e32 v[192:193], v[6:7], v[142:143]
	v_fma_f64 v[198:199], v[4:5], v[142:143], -v[144:145]
	ds_load_b128 v[4:7], v2 offset:1184
	ds_load_b128 v[142:145], v2 offset:1200
	v_add_f64_e32 v[200:201], v[168:169], v[166:167]
	v_add_f64_e32 v[190:191], v[190:191], v[194:195]
	scratch_load_b128 v[166:169], off, off offset:384
	s_wait_loadcnt_dscnt 0xb01
	v_mul_f64_e32 v[194:195], v[4:5], v[152:153]
	v_mul_f64_e32 v[152:153], v[6:7], v[152:153]
	v_fmac_f64_e32 v[196:197], v[136:137], v[146:147]
	v_fma_f64 v[146:147], v[134:135], v[146:147], -v[148:149]
	scratch_load_b128 v[134:137], off, off offset:400
	v_add_f64_e32 v[148:149], v[200:201], v[198:199]
	v_add_f64_e32 v[190:191], v[190:191], v[192:193]
	s_wait_loadcnt_dscnt 0xb00
	v_mul_f64_e32 v[192:193], v[142:143], v[156:157]
	v_mul_f64_e32 v[156:157], v[144:145], v[156:157]
	v_fmac_f64_e32 v[194:195], v[6:7], v[150:151]
	v_fma_f64 v[198:199], v[4:5], v[150:151], -v[152:153]
	v_add_f64_e32 v[200:201], v[148:149], v[146:147]
	v_add_f64_e32 v[190:191], v[190:191], v[196:197]
	ds_load_b128 v[4:7], v2 offset:1216
	ds_load_b128 v[146:149], v2 offset:1232
	scratch_load_b128 v[150:153], off, off offset:416
	v_fmac_f64_e32 v[192:193], v[144:145], v[154:155]
	v_fma_f64 v[154:155], v[142:143], v[154:155], -v[156:157]
	scratch_load_b128 v[142:145], off, off offset:432
	s_wait_loadcnt_dscnt 0xc01
	v_mul_f64_e32 v[196:197], v[4:5], v[160:161]
	v_mul_f64_e32 v[160:161], v[6:7], v[160:161]
	v_add_f64_e32 v[156:157], v[200:201], v[198:199]
	v_add_f64_e32 v[190:191], v[190:191], v[194:195]
	s_wait_loadcnt_dscnt 0xb00
	v_mul_f64_e32 v[194:195], v[146:147], v[164:165]
	v_mul_f64_e32 v[164:165], v[148:149], v[164:165]
	v_fmac_f64_e32 v[196:197], v[6:7], v[158:159]
	v_fma_f64 v[198:199], v[4:5], v[158:159], -v[160:161]
	v_add_f64_e32 v[200:201], v[156:157], v[154:155]
	v_add_f64_e32 v[190:191], v[190:191], v[192:193]
	ds_load_b128 v[4:7], v2 offset:1248
	ds_load_b128 v[154:157], v2 offset:1264
	scratch_load_b128 v[158:161], off, off offset:448
	v_fmac_f64_e32 v[194:195], v[148:149], v[162:163]
	v_fma_f64 v[162:163], v[146:147], v[162:163], -v[164:165]
	scratch_load_b128 v[146:149], off, off offset:464
	s_wait_loadcnt_dscnt 0xc01
	v_mul_f64_e32 v[192:193], v[4:5], v[172:173]
	v_mul_f64_e32 v[172:173], v[6:7], v[172:173]
	;; [unrolled: 18-line block ×5, first 2 shown]
	v_add_f64_e32 v[184:185], v[200:201], v[198:199]
	v_add_f64_e32 v[190:191], v[190:191], v[196:197]
	s_wait_loadcnt_dscnt 0xa00
	v_mul_f64_e32 v[196:197], v[162:163], v[136:137]
	v_mul_f64_e32 v[136:137], v[164:165], v[136:137]
	v_fmac_f64_e32 v[192:193], v[6:7], v[166:167]
	v_fma_f64 v[198:199], v[4:5], v[166:167], -v[168:169]
	ds_load_b128 v[4:7], v2 offset:1376
	ds_load_b128 v[166:169], v2 offset:1392
	v_add_f64_e32 v[200:201], v[184:185], v[182:183]
	v_add_f64_e32 v[190:191], v[190:191], v[194:195]
	scratch_load_b128 v[182:185], off, off offset:576
	v_fmac_f64_e32 v[196:197], v[164:165], v[134:135]
	v_fma_f64 v[162:163], v[162:163], v[134:135], -v[136:137]
	scratch_load_b128 v[134:137], off, off offset:592
	s_wait_loadcnt_dscnt 0xb01
	v_mul_f64_e32 v[194:195], v[4:5], v[152:153]
	v_mul_f64_e32 v[152:153], v[6:7], v[152:153]
	v_add_f64_e32 v[164:165], v[200:201], v[198:199]
	v_add_f64_e32 v[190:191], v[190:191], v[192:193]
	s_wait_loadcnt_dscnt 0xa00
	v_mul_f64_e32 v[192:193], v[166:167], v[144:145]
	v_mul_f64_e32 v[144:145], v[168:169], v[144:145]
	v_fmac_f64_e32 v[194:195], v[6:7], v[150:151]
	v_fma_f64 v[198:199], v[4:5], v[150:151], -v[152:153]
	ds_load_b128 v[4:7], v2 offset:1408
	ds_load_b128 v[150:153], v2 offset:1424
	v_add_f64_e32 v[200:201], v[164:165], v[162:163]
	v_add_f64_e32 v[190:191], v[190:191], v[196:197]
	scratch_load_b128 v[162:165], off, off offset:608
	s_wait_loadcnt_dscnt 0xa01
	v_mul_f64_e32 v[196:197], v[4:5], v[160:161]
	v_mul_f64_e32 v[160:161], v[6:7], v[160:161]
	v_fmac_f64_e32 v[192:193], v[168:169], v[142:143]
	v_fma_f64 v[166:167], v[166:167], v[142:143], -v[144:145]
	scratch_load_b128 v[142:145], off, off offset:624
	v_add_f64_e32 v[168:169], v[200:201], v[198:199]
	v_add_f64_e32 v[190:191], v[190:191], v[194:195]
	s_wait_loadcnt_dscnt 0xa00
	v_mul_f64_e32 v[194:195], v[150:151], v[148:149]
	v_mul_f64_e32 v[148:149], v[152:153], v[148:149]
	v_fmac_f64_e32 v[196:197], v[6:7], v[158:159]
	v_fma_f64 v[198:199], v[4:5], v[158:159], -v[160:161]
	ds_load_b128 v[4:7], v2 offset:1440
	ds_load_b128 v[158:161], v2 offset:1456
	v_add_f64_e32 v[200:201], v[168:169], v[166:167]
	v_add_f64_e32 v[190:191], v[190:191], v[192:193]
	scratch_load_b128 v[166:169], off, off offset:640
	s_wait_loadcnt_dscnt 0xa01
	v_mul_f64_e32 v[192:193], v[4:5], v[172:173]
	v_mul_f64_e32 v[172:173], v[6:7], v[172:173]
	v_fmac_f64_e32 v[194:195], v[152:153], v[146:147]
	v_fma_f64 v[150:151], v[150:151], v[146:147], -v[148:149]
	scratch_load_b128 v[146:149], off, off offset:656
	v_add_f64_e32 v[152:153], v[200:201], v[198:199]
	v_add_f64_e32 v[190:191], v[190:191], v[196:197]
	s_wait_loadcnt_dscnt 0xa00
	v_mul_f64_e32 v[196:197], v[158:159], v[156:157]
	v_mul_f64_e32 v[156:157], v[160:161], v[156:157]
	v_fmac_f64_e32 v[192:193], v[6:7], v[170:171]
	v_fma_f64 v[198:199], v[4:5], v[170:171], -v[172:173]
	v_add_f64_e32 v[200:201], v[152:153], v[150:151]
	v_add_f64_e32 v[190:191], v[190:191], v[194:195]
	ds_load_b128 v[4:7], v2 offset:1472
	ds_load_b128 v[150:153], v2 offset:1488
	scratch_load_b128 v[170:173], off, off offset:672
	v_fmac_f64_e32 v[196:197], v[160:161], v[154:155]
	v_fma_f64 v[158:159], v[158:159], v[154:155], -v[156:157]
	scratch_load_b128 v[154:157], off, off offset:688
	s_wait_loadcnt_dscnt 0xb01
	v_mul_f64_e32 v[194:195], v[4:5], v[188:189]
	v_mul_f64_e32 v[188:189], v[6:7], v[188:189]
	v_add_f64_e32 v[160:161], v[200:201], v[198:199]
	v_add_f64_e32 v[190:191], v[190:191], v[192:193]
	s_wait_loadcnt_dscnt 0xa00
	v_mul_f64_e32 v[192:193], v[150:151], v[12:13]
	v_mul_f64_e32 v[12:13], v[152:153], v[12:13]
	v_fmac_f64_e32 v[194:195], v[6:7], v[186:187]
	v_fma_f64 v[198:199], v[4:5], v[186:187], -v[188:189]
	v_add_f64_e32 v[200:201], v[160:161], v[158:159]
	v_add_f64_e32 v[190:191], v[190:191], v[196:197]
	ds_load_b128 v[4:7], v2 offset:1504
	ds_load_b128 v[158:161], v2 offset:1520
	scratch_load_b128 v[186:189], off, off offset:704
	v_fmac_f64_e32 v[192:193], v[152:153], v[10:11]
	v_fma_f64 v[150:151], v[150:151], v[10:11], -v[12:13]
	scratch_load_b128 v[10:13], off, off offset:720
	s_wait_loadcnt_dscnt 0xb01
	v_mul_f64_e32 v[196:197], v[4:5], v[176:177]
	v_mul_f64_e32 v[176:177], v[6:7], v[176:177]
	;; [unrolled: 18-line block ×9, first 2 shown]
	v_add_f64_e32 v[160:161], v[200:201], v[198:199]
	v_add_f64_e32 v[190:191], v[190:191], v[196:197]
	s_wait_loadcnt_dscnt 0xa00
	v_mul_f64_e32 v[196:197], v[150:151], v[136:137]
	v_mul_f64_e32 v[136:137], v[152:153], v[136:137]
	v_fmac_f64_e32 v[192:193], v[6:7], v[182:183]
	v_fma_f64 v[182:183], v[4:5], v[182:183], -v[184:185]
	v_add_f64_e32 v[184:185], v[160:161], v[158:159]
	v_add_f64_e32 v[190:191], v[190:191], v[194:195]
	ds_load_b128 v[4:7], v2 offset:1760
	ds_load_b128 v[158:161], v2 offset:1776
	v_fmac_f64_e32 v[196:197], v[152:153], v[134:135]
	v_fma_f64 v[134:135], v[150:151], v[134:135], -v[136:137]
	s_wait_loadcnt_dscnt 0x901
	v_mul_f64_e32 v[194:195], v[4:5], v[164:165]
	v_mul_f64_e32 v[164:165], v[6:7], v[164:165]
	s_wait_loadcnt_dscnt 0x800
	v_mul_f64_e32 v[152:153], v[158:159], v[144:145]
	v_mul_f64_e32 v[144:145], v[160:161], v[144:145]
	v_add_f64_e32 v[136:137], v[184:185], v[182:183]
	v_add_f64_e32 v[150:151], v[190:191], v[192:193]
	v_fmac_f64_e32 v[194:195], v[6:7], v[162:163]
	v_fma_f64 v[162:163], v[4:5], v[162:163], -v[164:165]
	v_fmac_f64_e32 v[152:153], v[160:161], v[142:143]
	v_fma_f64 v[142:143], v[158:159], v[142:143], -v[144:145]
	v_add_f64_e32 v[164:165], v[136:137], v[134:135]
	v_add_f64_e32 v[150:151], v[150:151], v[196:197]
	ds_load_b128 v[4:7], v2 offset:1792
	ds_load_b128 v[134:137], v2 offset:1808
	s_wait_loadcnt_dscnt 0x701
	v_mul_f64_e32 v[182:183], v[4:5], v[168:169]
	v_mul_f64_e32 v[168:169], v[6:7], v[168:169]
	s_wait_loadcnt_dscnt 0x600
	v_mul_f64_e32 v[158:159], v[134:135], v[148:149]
	v_mul_f64_e32 v[148:149], v[136:137], v[148:149]
	v_add_f64_e32 v[144:145], v[164:165], v[162:163]
	v_add_f64_e32 v[150:151], v[150:151], v[194:195]
	v_fmac_f64_e32 v[182:183], v[6:7], v[166:167]
	v_fma_f64 v[160:161], v[4:5], v[166:167], -v[168:169]
	v_fmac_f64_e32 v[158:159], v[136:137], v[146:147]
	v_fma_f64 v[134:135], v[134:135], v[146:147], -v[148:149]
	v_add_f64_e32 v[162:163], v[144:145], v[142:143]
	v_add_f64_e32 v[150:151], v[150:151], v[152:153]
	ds_load_b128 v[4:7], v2 offset:1824
	ds_load_b128 v[142:145], v2 offset:1840
	s_wait_loadcnt_dscnt 0x501
	v_mul_f64_e32 v[152:153], v[4:5], v[172:173]
	v_mul_f64_e32 v[164:165], v[6:7], v[172:173]
	s_wait_loadcnt_dscnt 0x400
	v_mul_f64_e32 v[148:149], v[142:143], v[156:157]
	v_add_f64_e32 v[136:137], v[162:163], v[160:161]
	v_add_f64_e32 v[146:147], v[150:151], v[182:183]
	v_mul_f64_e32 v[150:151], v[144:145], v[156:157]
	v_fmac_f64_e32 v[152:153], v[6:7], v[170:171]
	v_fma_f64 v[156:157], v[4:5], v[170:171], -v[164:165]
	v_fmac_f64_e32 v[148:149], v[144:145], v[154:155]
	v_add_f64_e32 v[160:161], v[136:137], v[134:135]
	v_add_f64_e32 v[146:147], v[146:147], v[158:159]
	ds_load_b128 v[4:7], v2 offset:1856
	ds_load_b128 v[134:137], v2 offset:1872
	v_fma_f64 v[142:143], v[142:143], v[154:155], -v[150:151]
	s_wait_loadcnt_dscnt 0x301
	v_mul_f64_e32 v[158:159], v[4:5], v[188:189]
	v_mul_f64_e32 v[162:163], v[6:7], v[188:189]
	s_wait_loadcnt_dscnt 0x200
	v_mul_f64_e32 v[150:151], v[134:135], v[12:13]
	v_mul_f64_e32 v[12:13], v[136:137], v[12:13]
	v_add_f64_e32 v[144:145], v[160:161], v[156:157]
	v_add_f64_e32 v[146:147], v[146:147], v[152:153]
	v_fmac_f64_e32 v[158:159], v[6:7], v[186:187]
	v_fma_f64 v[152:153], v[4:5], v[186:187], -v[162:163]
	v_fmac_f64_e32 v[150:151], v[136:137], v[10:11]
	v_fma_f64 v[10:11], v[134:135], v[10:11], -v[12:13]
	v_add_f64_e32 v[154:155], v[144:145], v[142:143]
	v_add_f64_e32 v[146:147], v[146:147], v[148:149]
	ds_load_b128 v[4:7], v2 offset:1888
	ds_load_b128 v[142:145], v2 offset:1904
	s_wait_loadcnt_dscnt 0x101
	v_mul_f64_e32 v[2:3], v[4:5], v[176:177]
	v_mul_f64_e32 v[148:149], v[6:7], v[176:177]
	s_wait_loadcnt_dscnt 0x0
	v_mul_f64_e32 v[136:137], v[142:143], v[140:141]
	v_mul_f64_e32 v[140:141], v[144:145], v[140:141]
	v_add_f64_e32 v[12:13], v[154:155], v[152:153]
	v_add_f64_e32 v[134:135], v[146:147], v[158:159]
	v_fmac_f64_e32 v[2:3], v[6:7], v[174:175]
	v_fma_f64 v[4:5], v[4:5], v[174:175], -v[148:149]
	v_fmac_f64_e32 v[136:137], v[144:145], v[138:139]
	v_add_f64_e32 v[6:7], v[12:13], v[10:11]
	v_add_f64_e32 v[10:11], v[134:135], v[150:151]
	v_fma_f64 v[12:13], v[142:143], v[138:139], -v[140:141]
	s_delay_alu instid0(VALU_DEP_3) | instskip(NEXT) | instid1(VALU_DEP_3)
	v_add_f64_e32 v[4:5], v[6:7], v[4:5]
	v_add_f64_e32 v[2:3], v[10:11], v[2:3]
	s_delay_alu instid0(VALU_DEP_2) | instskip(NEXT) | instid1(VALU_DEP_2)
	v_add_f64_e32 v[4:5], v[4:5], v[12:13]
	v_add_f64_e32 v[6:7], v[2:3], v[136:137]
	s_delay_alu instid0(VALU_DEP_2) | instskip(NEXT) | instid1(VALU_DEP_2)
	v_add_f64_e64 v[2:3], v[178:179], -v[4:5]
	v_add_f64_e64 v[4:5], v[180:181], -v[6:7]
	scratch_store_b128 off, v[2:5], off offset:112
	s_wait_xcnt 0x0
	v_cmpx_lt_u32_e32 6, v1
	s_cbranch_execz .LBB59_361
; %bb.360:
	scratch_load_b128 v[2:5], off, s70
	v_mov_b32_e32 v10, 0
	s_delay_alu instid0(VALU_DEP_1)
	v_dual_mov_b32 v11, v10 :: v_dual_mov_b32 v12, v10
	v_mov_b32_e32 v13, v10
	scratch_store_b128 off, v[10:13], off offset:96
	s_wait_loadcnt 0x0
	ds_store_b128 v8, v[2:5]
.LBB59_361:
	s_wait_xcnt 0x0
	s_or_b32 exec_lo, exec_lo, s2
	s_wait_storecnt_dscnt 0x0
	s_barrier_signal -1
	s_barrier_wait -1
	s_clause 0x9
	scratch_load_b128 v[4:7], off, off offset:112
	scratch_load_b128 v[10:13], off, off offset:128
	;; [unrolled: 1-line block ×10, first 2 shown]
	v_mov_b32_e32 v2, 0
	s_mov_b32 s2, exec_lo
	ds_load_b128 v[166:169], v2 offset:1072
	s_clause 0x2
	scratch_load_b128 v[170:173], off, off offset:272
	scratch_load_b128 v[174:177], off, off offset:96
	;; [unrolled: 1-line block ×3, first 2 shown]
	s_wait_loadcnt_dscnt 0xc00
	v_mul_f64_e32 v[186:187], v[168:169], v[6:7]
	v_mul_f64_e32 v[190:191], v[166:167], v[6:7]
	ds_load_b128 v[178:181], v2 offset:1088
	v_fma_f64 v[194:195], v[166:167], v[4:5], -v[186:187]
	v_fmac_f64_e32 v[190:191], v[168:169], v[4:5]
	ds_load_b128 v[4:7], v2 offset:1104
	s_wait_loadcnt_dscnt 0xb01
	v_mul_f64_e32 v[192:193], v[178:179], v[12:13]
	v_mul_f64_e32 v[12:13], v[180:181], v[12:13]
	scratch_load_b128 v[166:169], off, off offset:304
	ds_load_b128 v[186:189], v2 offset:1120
	s_wait_loadcnt_dscnt 0xb01
	v_mul_f64_e32 v[196:197], v[4:5], v[136:137]
	v_mul_f64_e32 v[136:137], v[6:7], v[136:137]
	v_add_f64_e32 v[190:191], 0, v[190:191]
	v_fmac_f64_e32 v[192:193], v[180:181], v[10:11]
	v_fma_f64 v[178:179], v[178:179], v[10:11], -v[12:13]
	v_add_f64_e32 v[180:181], 0, v[194:195]
	scratch_load_b128 v[10:13], off, off offset:320
	v_fmac_f64_e32 v[196:197], v[6:7], v[134:135]
	v_fma_f64 v[198:199], v[4:5], v[134:135], -v[136:137]
	ds_load_b128 v[4:7], v2 offset:1136
	s_wait_loadcnt_dscnt 0xb01
	v_mul_f64_e32 v[194:195], v[186:187], v[140:141]
	v_mul_f64_e32 v[140:141], v[188:189], v[140:141]
	scratch_load_b128 v[134:137], off, off offset:336
	v_add_f64_e32 v[190:191], v[190:191], v[192:193]
	v_add_f64_e32 v[200:201], v[180:181], v[178:179]
	ds_load_b128 v[178:181], v2 offset:1152
	s_wait_loadcnt_dscnt 0xb01
	v_mul_f64_e32 v[192:193], v[4:5], v[144:145]
	v_mul_f64_e32 v[144:145], v[6:7], v[144:145]
	v_fmac_f64_e32 v[194:195], v[188:189], v[138:139]
	v_fma_f64 v[186:187], v[186:187], v[138:139], -v[140:141]
	scratch_load_b128 v[138:141], off, off offset:352
	v_add_f64_e32 v[190:191], v[190:191], v[196:197]
	v_add_f64_e32 v[188:189], v[200:201], v[198:199]
	v_fmac_f64_e32 v[192:193], v[6:7], v[142:143]
	v_fma_f64 v[198:199], v[4:5], v[142:143], -v[144:145]
	ds_load_b128 v[4:7], v2 offset:1168
	s_wait_loadcnt_dscnt 0xb01
	v_mul_f64_e32 v[196:197], v[178:179], v[148:149]
	v_mul_f64_e32 v[148:149], v[180:181], v[148:149]
	scratch_load_b128 v[142:145], off, off offset:368
	v_add_f64_e32 v[190:191], v[190:191], v[194:195]
	s_wait_loadcnt_dscnt 0xb00
	v_mul_f64_e32 v[194:195], v[4:5], v[152:153]
	v_add_f64_e32 v[200:201], v[188:189], v[186:187]
	v_mul_f64_e32 v[152:153], v[6:7], v[152:153]
	ds_load_b128 v[186:189], v2 offset:1184
	v_fmac_f64_e32 v[196:197], v[180:181], v[146:147]
	v_fma_f64 v[178:179], v[178:179], v[146:147], -v[148:149]
	scratch_load_b128 v[146:149], off, off offset:384
	v_add_f64_e32 v[190:191], v[190:191], v[192:193]
	v_fmac_f64_e32 v[194:195], v[6:7], v[150:151]
	v_add_f64_e32 v[180:181], v[200:201], v[198:199]
	v_fma_f64 v[198:199], v[4:5], v[150:151], -v[152:153]
	ds_load_b128 v[4:7], v2 offset:1200
	s_wait_loadcnt_dscnt 0xb01
	v_mul_f64_e32 v[192:193], v[186:187], v[156:157]
	v_mul_f64_e32 v[156:157], v[188:189], v[156:157]
	scratch_load_b128 v[150:153], off, off offset:400
	v_add_f64_e32 v[190:191], v[190:191], v[196:197]
	s_wait_loadcnt_dscnt 0xb00
	v_mul_f64_e32 v[196:197], v[4:5], v[160:161]
	v_add_f64_e32 v[200:201], v[180:181], v[178:179]
	v_mul_f64_e32 v[160:161], v[6:7], v[160:161]
	ds_load_b128 v[178:181], v2 offset:1216
	v_fmac_f64_e32 v[192:193], v[188:189], v[154:155]
	v_fma_f64 v[186:187], v[186:187], v[154:155], -v[156:157]
	scratch_load_b128 v[154:157], off, off offset:416
	v_add_f64_e32 v[190:191], v[190:191], v[194:195]
	v_fmac_f64_e32 v[196:197], v[6:7], v[158:159]
	v_add_f64_e32 v[188:189], v[200:201], v[198:199]
	;; [unrolled: 18-line block ×3, first 2 shown]
	v_fma_f64 v[198:199], v[4:5], v[170:171], -v[172:173]
	ds_load_b128 v[4:7], v2 offset:1264
	s_wait_loadcnt_dscnt 0xa01
	v_mul_f64_e32 v[196:197], v[186:187], v[184:185]
	v_mul_f64_e32 v[184:185], v[188:189], v[184:185]
	scratch_load_b128 v[170:173], off, off offset:464
	v_add_f64_e32 v[190:191], v[190:191], v[194:195]
	v_add_f64_e32 v[200:201], v[180:181], v[178:179]
	s_wait_loadcnt_dscnt 0xa00
	v_mul_f64_e32 v[194:195], v[4:5], v[168:169]
	v_mul_f64_e32 v[168:169], v[6:7], v[168:169]
	v_fmac_f64_e32 v[196:197], v[188:189], v[182:183]
	v_fma_f64 v[186:187], v[186:187], v[182:183], -v[184:185]
	ds_load_b128 v[178:181], v2 offset:1280
	scratch_load_b128 v[182:185], off, off offset:480
	v_add_f64_e32 v[190:191], v[190:191], v[192:193]
	v_add_f64_e32 v[188:189], v[200:201], v[198:199]
	v_fmac_f64_e32 v[194:195], v[6:7], v[166:167]
	v_fma_f64 v[198:199], v[4:5], v[166:167], -v[168:169]
	ds_load_b128 v[4:7], v2 offset:1296
	s_wait_loadcnt_dscnt 0xa01
	v_mul_f64_e32 v[192:193], v[178:179], v[12:13]
	v_mul_f64_e32 v[12:13], v[180:181], v[12:13]
	scratch_load_b128 v[166:169], off, off offset:496
	v_add_f64_e32 v[190:191], v[190:191], v[196:197]
	s_wait_loadcnt_dscnt 0xa00
	v_mul_f64_e32 v[196:197], v[4:5], v[136:137]
	v_add_f64_e32 v[200:201], v[188:189], v[186:187]
	v_mul_f64_e32 v[136:137], v[6:7], v[136:137]
	ds_load_b128 v[186:189], v2 offset:1312
	v_fmac_f64_e32 v[192:193], v[180:181], v[10:11]
	v_fma_f64 v[178:179], v[178:179], v[10:11], -v[12:13]
	scratch_load_b128 v[10:13], off, off offset:512
	v_add_f64_e32 v[190:191], v[190:191], v[194:195]
	v_fmac_f64_e32 v[196:197], v[6:7], v[134:135]
	v_add_f64_e32 v[180:181], v[200:201], v[198:199]
	v_fma_f64 v[198:199], v[4:5], v[134:135], -v[136:137]
	ds_load_b128 v[4:7], v2 offset:1328
	s_wait_loadcnt_dscnt 0xa01
	v_mul_f64_e32 v[194:195], v[186:187], v[140:141]
	v_mul_f64_e32 v[140:141], v[188:189], v[140:141]
	scratch_load_b128 v[134:137], off, off offset:528
	v_add_f64_e32 v[190:191], v[190:191], v[192:193]
	s_wait_loadcnt_dscnt 0xa00
	v_mul_f64_e32 v[192:193], v[4:5], v[144:145]
	v_add_f64_e32 v[200:201], v[180:181], v[178:179]
	v_mul_f64_e32 v[144:145], v[6:7], v[144:145]
	ds_load_b128 v[178:181], v2 offset:1344
	v_fmac_f64_e32 v[194:195], v[188:189], v[138:139]
	v_fma_f64 v[186:187], v[186:187], v[138:139], -v[140:141]
	scratch_load_b128 v[138:141], off, off offset:544
	v_add_f64_e32 v[190:191], v[190:191], v[196:197]
	v_fmac_f64_e32 v[192:193], v[6:7], v[142:143]
	v_add_f64_e32 v[188:189], v[200:201], v[198:199]
	;; [unrolled: 18-line block ×14, first 2 shown]
	v_fma_f64 v[198:199], v[4:5], v[142:143], -v[144:145]
	ds_load_b128 v[4:7], v2 offset:1744
	s_wait_loadcnt_dscnt 0xa01
	v_mul_f64_e32 v[196:197], v[178:179], v[148:149]
	v_mul_f64_e32 v[148:149], v[180:181], v[148:149]
	scratch_load_b128 v[142:145], off, off offset:944
	v_add_f64_e32 v[190:191], v[190:191], v[194:195]
	s_wait_loadcnt_dscnt 0xa00
	v_mul_f64_e32 v[194:195], v[4:5], v[152:153]
	v_add_f64_e32 v[200:201], v[188:189], v[186:187]
	v_mul_f64_e32 v[152:153], v[6:7], v[152:153]
	ds_load_b128 v[186:189], v2 offset:1760
	v_fmac_f64_e32 v[196:197], v[180:181], v[146:147]
	v_fma_f64 v[146:147], v[178:179], v[146:147], -v[148:149]
	s_wait_loadcnt_dscnt 0x900
	v_mul_f64_e32 v[180:181], v[186:187], v[156:157]
	v_mul_f64_e32 v[156:157], v[188:189], v[156:157]
	v_add_f64_e32 v[178:179], v[190:191], v[192:193]
	v_fmac_f64_e32 v[194:195], v[6:7], v[150:151]
	v_add_f64_e32 v[148:149], v[200:201], v[198:199]
	v_fma_f64 v[150:151], v[4:5], v[150:151], -v[152:153]
	v_fmac_f64_e32 v[180:181], v[188:189], v[154:155]
	v_fma_f64 v[154:155], v[186:187], v[154:155], -v[156:157]
	v_add_f64_e32 v[178:179], v[178:179], v[196:197]
	v_add_f64_e32 v[152:153], v[148:149], v[146:147]
	ds_load_b128 v[4:7], v2 offset:1776
	ds_load_b128 v[146:149], v2 offset:1792
	s_wait_loadcnt_dscnt 0x801
	v_mul_f64_e32 v[190:191], v[4:5], v[160:161]
	v_mul_f64_e32 v[160:161], v[6:7], v[160:161]
	s_wait_loadcnt_dscnt 0x700
	v_mul_f64_e32 v[156:157], v[146:147], v[164:165]
	v_mul_f64_e32 v[164:165], v[148:149], v[164:165]
	v_add_f64_e32 v[150:151], v[152:153], v[150:151]
	v_add_f64_e32 v[152:153], v[178:179], v[194:195]
	v_fmac_f64_e32 v[190:191], v[6:7], v[158:159]
	v_fma_f64 v[158:159], v[4:5], v[158:159], -v[160:161]
	v_fmac_f64_e32 v[156:157], v[148:149], v[162:163]
	v_fma_f64 v[146:147], v[146:147], v[162:163], -v[164:165]
	v_add_f64_e32 v[154:155], v[150:151], v[154:155]
	v_add_f64_e32 v[160:161], v[152:153], v[180:181]
	ds_load_b128 v[4:7], v2 offset:1808
	ds_load_b128 v[150:153], v2 offset:1824
	s_wait_loadcnt_dscnt 0x601
	v_mul_f64_e32 v[178:179], v[4:5], v[172:173]
	v_mul_f64_e32 v[172:173], v[6:7], v[172:173]
	v_add_f64_e32 v[148:149], v[154:155], v[158:159]
	v_add_f64_e32 v[154:155], v[160:161], v[190:191]
	s_wait_loadcnt_dscnt 0x500
	v_mul_f64_e32 v[158:159], v[150:151], v[184:185]
	v_mul_f64_e32 v[160:161], v[152:153], v[184:185]
	v_fmac_f64_e32 v[178:179], v[6:7], v[170:171]
	v_fma_f64 v[162:163], v[4:5], v[170:171], -v[172:173]
	v_add_f64_e32 v[164:165], v[148:149], v[146:147]
	v_add_f64_e32 v[154:155], v[154:155], v[156:157]
	ds_load_b128 v[4:7], v2 offset:1840
	ds_load_b128 v[146:149], v2 offset:1856
	v_fmac_f64_e32 v[158:159], v[152:153], v[182:183]
	v_fma_f64 v[150:151], v[150:151], v[182:183], -v[160:161]
	s_wait_loadcnt_dscnt 0x401
	v_mul_f64_e32 v[156:157], v[4:5], v[168:169]
	v_mul_f64_e32 v[168:169], v[6:7], v[168:169]
	s_wait_loadcnt_dscnt 0x300
	v_mul_f64_e32 v[160:161], v[146:147], v[12:13]
	v_mul_f64_e32 v[12:13], v[148:149], v[12:13]
	v_add_f64_e32 v[152:153], v[164:165], v[162:163]
	v_add_f64_e32 v[154:155], v[154:155], v[178:179]
	v_fmac_f64_e32 v[156:157], v[6:7], v[166:167]
	v_fma_f64 v[162:163], v[4:5], v[166:167], -v[168:169]
	v_fmac_f64_e32 v[160:161], v[148:149], v[10:11]
	v_fma_f64 v[10:11], v[146:147], v[10:11], -v[12:13]
	v_add_f64_e32 v[164:165], v[152:153], v[150:151]
	v_add_f64_e32 v[154:155], v[154:155], v[158:159]
	ds_load_b128 v[4:7], v2 offset:1872
	ds_load_b128 v[150:153], v2 offset:1888
	s_wait_loadcnt_dscnt 0x201
	v_mul_f64_e32 v[158:159], v[4:5], v[136:137]
	v_mul_f64_e32 v[136:137], v[6:7], v[136:137]
	s_wait_loadcnt_dscnt 0x100
	v_mul_f64_e32 v[148:149], v[150:151], v[140:141]
	v_mul_f64_e32 v[140:141], v[152:153], v[140:141]
	v_add_f64_e32 v[12:13], v[164:165], v[162:163]
	v_add_f64_e32 v[146:147], v[154:155], v[156:157]
	v_fmac_f64_e32 v[158:159], v[6:7], v[134:135]
	v_fma_f64 v[134:135], v[4:5], v[134:135], -v[136:137]
	ds_load_b128 v[4:7], v2 offset:1904
	v_fmac_f64_e32 v[148:149], v[152:153], v[138:139]
	v_fma_f64 v[138:139], v[150:151], v[138:139], -v[140:141]
	v_add_f64_e32 v[10:11], v[12:13], v[10:11]
	v_add_f64_e32 v[12:13], v[146:147], v[160:161]
	s_wait_loadcnt_dscnt 0x0
	v_mul_f64_e32 v[136:137], v[4:5], v[144:145]
	v_mul_f64_e32 v[144:145], v[6:7], v[144:145]
	s_delay_alu instid0(VALU_DEP_4) | instskip(NEXT) | instid1(VALU_DEP_4)
	v_add_f64_e32 v[10:11], v[10:11], v[134:135]
	v_add_f64_e32 v[12:13], v[12:13], v[158:159]
	s_delay_alu instid0(VALU_DEP_4) | instskip(NEXT) | instid1(VALU_DEP_4)
	v_fmac_f64_e32 v[136:137], v[6:7], v[142:143]
	v_fma_f64 v[4:5], v[4:5], v[142:143], -v[144:145]
	s_delay_alu instid0(VALU_DEP_4) | instskip(NEXT) | instid1(VALU_DEP_4)
	v_add_f64_e32 v[6:7], v[10:11], v[138:139]
	v_add_f64_e32 v[10:11], v[12:13], v[148:149]
	s_delay_alu instid0(VALU_DEP_2) | instskip(NEXT) | instid1(VALU_DEP_2)
	v_add_f64_e32 v[4:5], v[6:7], v[4:5]
	v_add_f64_e32 v[6:7], v[10:11], v[136:137]
	s_delay_alu instid0(VALU_DEP_2) | instskip(NEXT) | instid1(VALU_DEP_2)
	v_add_f64_e64 v[4:5], v[174:175], -v[4:5]
	v_add_f64_e64 v[6:7], v[176:177], -v[6:7]
	scratch_store_b128 off, v[4:7], off offset:96
	s_wait_xcnt 0x0
	v_cmpx_lt_u32_e32 5, v1
	s_cbranch_execz .LBB59_363
; %bb.362:
	scratch_load_b128 v[10:13], off, s71
	v_dual_mov_b32 v3, v2 :: v_dual_mov_b32 v4, v2
	v_mov_b32_e32 v5, v2
	scratch_store_b128 off, v[2:5], off offset:80
	s_wait_loadcnt 0x0
	ds_store_b128 v8, v[10:13]
.LBB59_363:
	s_wait_xcnt 0x0
	s_or_b32 exec_lo, exec_lo, s2
	s_wait_storecnt_dscnt 0x0
	s_barrier_signal -1
	s_barrier_wait -1
	s_clause 0x9
	scratch_load_b128 v[4:7], off, off offset:96
	scratch_load_b128 v[10:13], off, off offset:112
	;; [unrolled: 1-line block ×10, first 2 shown]
	ds_load_b128 v[166:169], v2 offset:1056
	ds_load_b128 v[174:177], v2 offset:1072
	s_clause 0x2
	scratch_load_b128 v[170:173], off, off offset:256
	scratch_load_b128 v[178:181], off, off offset:80
	;; [unrolled: 1-line block ×3, first 2 shown]
	s_mov_b32 s2, exec_lo
	s_wait_loadcnt_dscnt 0xc01
	v_mul_f64_e32 v[186:187], v[168:169], v[6:7]
	v_mul_f64_e32 v[190:191], v[166:167], v[6:7]
	s_wait_loadcnt_dscnt 0xb00
	v_mul_f64_e32 v[192:193], v[174:175], v[12:13]
	v_mul_f64_e32 v[12:13], v[176:177], v[12:13]
	s_delay_alu instid0(VALU_DEP_4) | instskip(NEXT) | instid1(VALU_DEP_4)
	v_fma_f64 v[194:195], v[166:167], v[4:5], -v[186:187]
	v_fmac_f64_e32 v[190:191], v[168:169], v[4:5]
	ds_load_b128 v[4:7], v2 offset:1088
	ds_load_b128 v[166:169], v2 offset:1104
	scratch_load_b128 v[186:189], off, off offset:288
	v_fmac_f64_e32 v[192:193], v[176:177], v[10:11]
	v_fma_f64 v[174:175], v[174:175], v[10:11], -v[12:13]
	scratch_load_b128 v[10:13], off, off offset:304
	s_wait_loadcnt_dscnt 0xc01
	v_mul_f64_e32 v[196:197], v[4:5], v[136:137]
	v_mul_f64_e32 v[136:137], v[6:7], v[136:137]
	v_add_f64_e32 v[176:177], 0, v[194:195]
	v_add_f64_e32 v[190:191], 0, v[190:191]
	s_wait_loadcnt_dscnt 0xb00
	v_mul_f64_e32 v[194:195], v[166:167], v[140:141]
	v_mul_f64_e32 v[140:141], v[168:169], v[140:141]
	v_fmac_f64_e32 v[196:197], v[6:7], v[134:135]
	v_fma_f64 v[198:199], v[4:5], v[134:135], -v[136:137]
	ds_load_b128 v[4:7], v2 offset:1120
	ds_load_b128 v[134:137], v2 offset:1136
	v_add_f64_e32 v[200:201], v[176:177], v[174:175]
	v_add_f64_e32 v[190:191], v[190:191], v[192:193]
	scratch_load_b128 v[174:177], off, off offset:320
	v_fmac_f64_e32 v[194:195], v[168:169], v[138:139]
	v_fma_f64 v[166:167], v[166:167], v[138:139], -v[140:141]
	scratch_load_b128 v[138:141], off, off offset:336
	s_wait_loadcnt_dscnt 0xc01
	v_mul_f64_e32 v[192:193], v[4:5], v[144:145]
	v_mul_f64_e32 v[144:145], v[6:7], v[144:145]
	v_add_f64_e32 v[168:169], v[200:201], v[198:199]
	v_add_f64_e32 v[190:191], v[190:191], v[196:197]
	s_wait_loadcnt_dscnt 0xb00
	v_mul_f64_e32 v[196:197], v[134:135], v[148:149]
	v_mul_f64_e32 v[148:149], v[136:137], v[148:149]
	v_fmac_f64_e32 v[192:193], v[6:7], v[142:143]
	v_fma_f64 v[198:199], v[4:5], v[142:143], -v[144:145]
	ds_load_b128 v[4:7], v2 offset:1152
	ds_load_b128 v[142:145], v2 offset:1168
	v_add_f64_e32 v[200:201], v[168:169], v[166:167]
	v_add_f64_e32 v[190:191], v[190:191], v[194:195]
	scratch_load_b128 v[166:169], off, off offset:352
	s_wait_loadcnt_dscnt 0xb01
	v_mul_f64_e32 v[194:195], v[4:5], v[152:153]
	v_mul_f64_e32 v[152:153], v[6:7], v[152:153]
	v_fmac_f64_e32 v[196:197], v[136:137], v[146:147]
	v_fma_f64 v[146:147], v[134:135], v[146:147], -v[148:149]
	scratch_load_b128 v[134:137], off, off offset:368
	v_add_f64_e32 v[148:149], v[200:201], v[198:199]
	v_add_f64_e32 v[190:191], v[190:191], v[192:193]
	s_wait_loadcnt_dscnt 0xb00
	v_mul_f64_e32 v[192:193], v[142:143], v[156:157]
	v_mul_f64_e32 v[156:157], v[144:145], v[156:157]
	v_fmac_f64_e32 v[194:195], v[6:7], v[150:151]
	v_fma_f64 v[198:199], v[4:5], v[150:151], -v[152:153]
	v_add_f64_e32 v[200:201], v[148:149], v[146:147]
	v_add_f64_e32 v[190:191], v[190:191], v[196:197]
	ds_load_b128 v[4:7], v2 offset:1184
	ds_load_b128 v[146:149], v2 offset:1200
	scratch_load_b128 v[150:153], off, off offset:384
	v_fmac_f64_e32 v[192:193], v[144:145], v[154:155]
	v_fma_f64 v[154:155], v[142:143], v[154:155], -v[156:157]
	scratch_load_b128 v[142:145], off, off offset:400
	s_wait_loadcnt_dscnt 0xc01
	v_mul_f64_e32 v[196:197], v[4:5], v[160:161]
	v_mul_f64_e32 v[160:161], v[6:7], v[160:161]
	v_add_f64_e32 v[156:157], v[200:201], v[198:199]
	v_add_f64_e32 v[190:191], v[190:191], v[194:195]
	s_wait_loadcnt_dscnt 0xb00
	v_mul_f64_e32 v[194:195], v[146:147], v[164:165]
	v_mul_f64_e32 v[164:165], v[148:149], v[164:165]
	v_fmac_f64_e32 v[196:197], v[6:7], v[158:159]
	v_fma_f64 v[198:199], v[4:5], v[158:159], -v[160:161]
	v_add_f64_e32 v[200:201], v[156:157], v[154:155]
	v_add_f64_e32 v[190:191], v[190:191], v[192:193]
	ds_load_b128 v[4:7], v2 offset:1216
	ds_load_b128 v[154:157], v2 offset:1232
	scratch_load_b128 v[158:161], off, off offset:416
	v_fmac_f64_e32 v[194:195], v[148:149], v[162:163]
	v_fma_f64 v[162:163], v[146:147], v[162:163], -v[164:165]
	scratch_load_b128 v[146:149], off, off offset:432
	s_wait_loadcnt_dscnt 0xc01
	v_mul_f64_e32 v[192:193], v[4:5], v[172:173]
	v_mul_f64_e32 v[172:173], v[6:7], v[172:173]
	;; [unrolled: 18-line block ×5, first 2 shown]
	v_add_f64_e32 v[184:185], v[200:201], v[198:199]
	v_add_f64_e32 v[190:191], v[190:191], v[196:197]
	s_wait_loadcnt_dscnt 0xa00
	v_mul_f64_e32 v[196:197], v[162:163], v[136:137]
	v_mul_f64_e32 v[136:137], v[164:165], v[136:137]
	v_fmac_f64_e32 v[192:193], v[6:7], v[166:167]
	v_fma_f64 v[198:199], v[4:5], v[166:167], -v[168:169]
	ds_load_b128 v[4:7], v2 offset:1344
	ds_load_b128 v[166:169], v2 offset:1360
	v_add_f64_e32 v[200:201], v[184:185], v[182:183]
	v_add_f64_e32 v[190:191], v[190:191], v[194:195]
	scratch_load_b128 v[182:185], off, off offset:544
	v_fmac_f64_e32 v[196:197], v[164:165], v[134:135]
	v_fma_f64 v[162:163], v[162:163], v[134:135], -v[136:137]
	scratch_load_b128 v[134:137], off, off offset:560
	s_wait_loadcnt_dscnt 0xb01
	v_mul_f64_e32 v[194:195], v[4:5], v[152:153]
	v_mul_f64_e32 v[152:153], v[6:7], v[152:153]
	v_add_f64_e32 v[164:165], v[200:201], v[198:199]
	v_add_f64_e32 v[190:191], v[190:191], v[192:193]
	s_wait_loadcnt_dscnt 0xa00
	v_mul_f64_e32 v[192:193], v[166:167], v[144:145]
	v_mul_f64_e32 v[144:145], v[168:169], v[144:145]
	v_fmac_f64_e32 v[194:195], v[6:7], v[150:151]
	v_fma_f64 v[198:199], v[4:5], v[150:151], -v[152:153]
	ds_load_b128 v[4:7], v2 offset:1376
	ds_load_b128 v[150:153], v2 offset:1392
	v_add_f64_e32 v[200:201], v[164:165], v[162:163]
	v_add_f64_e32 v[190:191], v[190:191], v[196:197]
	scratch_load_b128 v[162:165], off, off offset:576
	s_wait_loadcnt_dscnt 0xa01
	v_mul_f64_e32 v[196:197], v[4:5], v[160:161]
	v_mul_f64_e32 v[160:161], v[6:7], v[160:161]
	v_fmac_f64_e32 v[192:193], v[168:169], v[142:143]
	v_fma_f64 v[166:167], v[166:167], v[142:143], -v[144:145]
	scratch_load_b128 v[142:145], off, off offset:592
	v_add_f64_e32 v[168:169], v[200:201], v[198:199]
	v_add_f64_e32 v[190:191], v[190:191], v[194:195]
	s_wait_loadcnt_dscnt 0xa00
	v_mul_f64_e32 v[194:195], v[150:151], v[148:149]
	v_mul_f64_e32 v[148:149], v[152:153], v[148:149]
	v_fmac_f64_e32 v[196:197], v[6:7], v[158:159]
	v_fma_f64 v[198:199], v[4:5], v[158:159], -v[160:161]
	ds_load_b128 v[4:7], v2 offset:1408
	ds_load_b128 v[158:161], v2 offset:1424
	v_add_f64_e32 v[200:201], v[168:169], v[166:167]
	v_add_f64_e32 v[190:191], v[190:191], v[192:193]
	scratch_load_b128 v[166:169], off, off offset:608
	s_wait_loadcnt_dscnt 0xa01
	v_mul_f64_e32 v[192:193], v[4:5], v[172:173]
	v_mul_f64_e32 v[172:173], v[6:7], v[172:173]
	v_fmac_f64_e32 v[194:195], v[152:153], v[146:147]
	v_fma_f64 v[150:151], v[150:151], v[146:147], -v[148:149]
	scratch_load_b128 v[146:149], off, off offset:624
	v_add_f64_e32 v[152:153], v[200:201], v[198:199]
	v_add_f64_e32 v[190:191], v[190:191], v[196:197]
	s_wait_loadcnt_dscnt 0xa00
	v_mul_f64_e32 v[196:197], v[158:159], v[156:157]
	v_mul_f64_e32 v[156:157], v[160:161], v[156:157]
	v_fmac_f64_e32 v[192:193], v[6:7], v[170:171]
	v_fma_f64 v[198:199], v[4:5], v[170:171], -v[172:173]
	v_add_f64_e32 v[200:201], v[152:153], v[150:151]
	v_add_f64_e32 v[190:191], v[190:191], v[194:195]
	ds_load_b128 v[4:7], v2 offset:1440
	ds_load_b128 v[150:153], v2 offset:1456
	scratch_load_b128 v[170:173], off, off offset:640
	v_fmac_f64_e32 v[196:197], v[160:161], v[154:155]
	v_fma_f64 v[158:159], v[158:159], v[154:155], -v[156:157]
	scratch_load_b128 v[154:157], off, off offset:656
	s_wait_loadcnt_dscnt 0xb01
	v_mul_f64_e32 v[194:195], v[4:5], v[188:189]
	v_mul_f64_e32 v[188:189], v[6:7], v[188:189]
	v_add_f64_e32 v[160:161], v[200:201], v[198:199]
	v_add_f64_e32 v[190:191], v[190:191], v[192:193]
	s_wait_loadcnt_dscnt 0xa00
	v_mul_f64_e32 v[192:193], v[150:151], v[12:13]
	v_mul_f64_e32 v[12:13], v[152:153], v[12:13]
	v_fmac_f64_e32 v[194:195], v[6:7], v[186:187]
	v_fma_f64 v[198:199], v[4:5], v[186:187], -v[188:189]
	v_add_f64_e32 v[200:201], v[160:161], v[158:159]
	v_add_f64_e32 v[190:191], v[190:191], v[196:197]
	ds_load_b128 v[4:7], v2 offset:1472
	ds_load_b128 v[158:161], v2 offset:1488
	scratch_load_b128 v[186:189], off, off offset:672
	v_fmac_f64_e32 v[192:193], v[152:153], v[10:11]
	v_fma_f64 v[150:151], v[150:151], v[10:11], -v[12:13]
	scratch_load_b128 v[10:13], off, off offset:688
	s_wait_loadcnt_dscnt 0xb01
	v_mul_f64_e32 v[196:197], v[4:5], v[176:177]
	v_mul_f64_e32 v[176:177], v[6:7], v[176:177]
	v_add_f64_e32 v[152:153], v[200:201], v[198:199]
	v_add_f64_e32 v[190:191], v[190:191], v[194:195]
	s_wait_loadcnt_dscnt 0xa00
	v_mul_f64_e32 v[194:195], v[158:159], v[140:141]
	v_mul_f64_e32 v[140:141], v[160:161], v[140:141]
	v_fmac_f64_e32 v[196:197], v[6:7], v[174:175]
	v_fma_f64 v[198:199], v[4:5], v[174:175], -v[176:177]
	v_add_f64_e32 v[200:201], v[152:153], v[150:151]
	v_add_f64_e32 v[190:191], v[190:191], v[192:193]
	ds_load_b128 v[4:7], v2 offset:1504
	ds_load_b128 v[150:153], v2 offset:1520
	scratch_load_b128 v[174:177], off, off offset:704
	v_fmac_f64_e32 v[194:195], v[160:161], v[138:139]
	v_fma_f64 v[158:159], v[158:159], v[138:139], -v[140:141]
	scratch_load_b128 v[138:141], off, off offset:720
	s_wait_loadcnt_dscnt 0xb01
	v_mul_f64_e32 v[192:193], v[4:5], v[184:185]
	v_mul_f64_e32 v[184:185], v[6:7], v[184:185]
	v_add_f64_e32 v[160:161], v[200:201], v[198:199]
	v_add_f64_e32 v[190:191], v[190:191], v[196:197]
	s_wait_loadcnt_dscnt 0xa00
	v_mul_f64_e32 v[196:197], v[150:151], v[136:137]
	v_mul_f64_e32 v[136:137], v[152:153], v[136:137]
	v_fmac_f64_e32 v[192:193], v[6:7], v[182:183]
	v_fma_f64 v[198:199], v[4:5], v[182:183], -v[184:185]
	v_add_f64_e32 v[200:201], v[160:161], v[158:159]
	v_add_f64_e32 v[190:191], v[190:191], v[194:195]
	ds_load_b128 v[4:7], v2 offset:1536
	ds_load_b128 v[158:161], v2 offset:1552
	scratch_load_b128 v[182:185], off, off offset:736
	v_fmac_f64_e32 v[196:197], v[152:153], v[134:135]
	v_fma_f64 v[150:151], v[150:151], v[134:135], -v[136:137]
	scratch_load_b128 v[134:137], off, off offset:752
	s_wait_loadcnt_dscnt 0xb01
	v_mul_f64_e32 v[194:195], v[4:5], v[164:165]
	v_mul_f64_e32 v[164:165], v[6:7], v[164:165]
	v_add_f64_e32 v[152:153], v[200:201], v[198:199]
	v_add_f64_e32 v[190:191], v[190:191], v[192:193]
	s_wait_loadcnt_dscnt 0xa00
	v_mul_f64_e32 v[192:193], v[158:159], v[144:145]
	v_mul_f64_e32 v[144:145], v[160:161], v[144:145]
	v_fmac_f64_e32 v[194:195], v[6:7], v[162:163]
	v_fma_f64 v[198:199], v[4:5], v[162:163], -v[164:165]
	v_add_f64_e32 v[200:201], v[152:153], v[150:151]
	v_add_f64_e32 v[190:191], v[190:191], v[196:197]
	ds_load_b128 v[4:7], v2 offset:1568
	ds_load_b128 v[150:153], v2 offset:1584
	scratch_load_b128 v[162:165], off, off offset:768
	v_fmac_f64_e32 v[192:193], v[160:161], v[142:143]
	v_fma_f64 v[158:159], v[158:159], v[142:143], -v[144:145]
	scratch_load_b128 v[142:145], off, off offset:784
	s_wait_loadcnt_dscnt 0xb01
	v_mul_f64_e32 v[196:197], v[4:5], v[168:169]
	v_mul_f64_e32 v[168:169], v[6:7], v[168:169]
	v_add_f64_e32 v[160:161], v[200:201], v[198:199]
	v_add_f64_e32 v[190:191], v[190:191], v[194:195]
	s_wait_loadcnt_dscnt 0xa00
	v_mul_f64_e32 v[194:195], v[150:151], v[148:149]
	v_mul_f64_e32 v[148:149], v[152:153], v[148:149]
	v_fmac_f64_e32 v[196:197], v[6:7], v[166:167]
	v_fma_f64 v[198:199], v[4:5], v[166:167], -v[168:169]
	v_add_f64_e32 v[200:201], v[160:161], v[158:159]
	v_add_f64_e32 v[190:191], v[190:191], v[192:193]
	ds_load_b128 v[4:7], v2 offset:1600
	ds_load_b128 v[158:161], v2 offset:1616
	scratch_load_b128 v[166:169], off, off offset:800
	v_fmac_f64_e32 v[194:195], v[152:153], v[146:147]
	v_fma_f64 v[150:151], v[150:151], v[146:147], -v[148:149]
	scratch_load_b128 v[146:149], off, off offset:816
	s_wait_loadcnt_dscnt 0xb01
	v_mul_f64_e32 v[192:193], v[4:5], v[172:173]
	v_mul_f64_e32 v[172:173], v[6:7], v[172:173]
	v_add_f64_e32 v[152:153], v[200:201], v[198:199]
	v_add_f64_e32 v[190:191], v[190:191], v[196:197]
	s_wait_loadcnt_dscnt 0xa00
	v_mul_f64_e32 v[196:197], v[158:159], v[156:157]
	v_mul_f64_e32 v[156:157], v[160:161], v[156:157]
	v_fmac_f64_e32 v[192:193], v[6:7], v[170:171]
	v_fma_f64 v[198:199], v[4:5], v[170:171], -v[172:173]
	v_add_f64_e32 v[200:201], v[152:153], v[150:151]
	v_add_f64_e32 v[190:191], v[190:191], v[194:195]
	ds_load_b128 v[4:7], v2 offset:1632
	ds_load_b128 v[150:153], v2 offset:1648
	scratch_load_b128 v[170:173], off, off offset:832
	v_fmac_f64_e32 v[196:197], v[160:161], v[154:155]
	v_fma_f64 v[158:159], v[158:159], v[154:155], -v[156:157]
	scratch_load_b128 v[154:157], off, off offset:848
	s_wait_loadcnt_dscnt 0xb01
	v_mul_f64_e32 v[194:195], v[4:5], v[188:189]
	v_mul_f64_e32 v[188:189], v[6:7], v[188:189]
	v_add_f64_e32 v[160:161], v[200:201], v[198:199]
	v_add_f64_e32 v[190:191], v[190:191], v[192:193]
	s_wait_loadcnt_dscnt 0xa00
	v_mul_f64_e32 v[192:193], v[150:151], v[12:13]
	v_mul_f64_e32 v[12:13], v[152:153], v[12:13]
	v_fmac_f64_e32 v[194:195], v[6:7], v[186:187]
	v_fma_f64 v[198:199], v[4:5], v[186:187], -v[188:189]
	v_add_f64_e32 v[200:201], v[160:161], v[158:159]
	v_add_f64_e32 v[190:191], v[190:191], v[196:197]
	ds_load_b128 v[4:7], v2 offset:1664
	ds_load_b128 v[158:161], v2 offset:1680
	scratch_load_b128 v[186:189], off, off offset:864
	v_fmac_f64_e32 v[192:193], v[152:153], v[10:11]
	v_fma_f64 v[150:151], v[150:151], v[10:11], -v[12:13]
	scratch_load_b128 v[10:13], off, off offset:880
	s_wait_loadcnt_dscnt 0xb01
	v_mul_f64_e32 v[196:197], v[4:5], v[176:177]
	v_mul_f64_e32 v[176:177], v[6:7], v[176:177]
	v_add_f64_e32 v[152:153], v[200:201], v[198:199]
	v_add_f64_e32 v[190:191], v[190:191], v[194:195]
	s_wait_loadcnt_dscnt 0xa00
	v_mul_f64_e32 v[194:195], v[158:159], v[140:141]
	v_mul_f64_e32 v[140:141], v[160:161], v[140:141]
	v_fmac_f64_e32 v[196:197], v[6:7], v[174:175]
	v_fma_f64 v[198:199], v[4:5], v[174:175], -v[176:177]
	v_add_f64_e32 v[200:201], v[152:153], v[150:151]
	v_add_f64_e32 v[190:191], v[190:191], v[192:193]
	ds_load_b128 v[4:7], v2 offset:1696
	ds_load_b128 v[150:153], v2 offset:1712
	scratch_load_b128 v[174:177], off, off offset:896
	v_fmac_f64_e32 v[194:195], v[160:161], v[138:139]
	v_fma_f64 v[158:159], v[158:159], v[138:139], -v[140:141]
	scratch_load_b128 v[138:141], off, off offset:912
	s_wait_loadcnt_dscnt 0xb01
	v_mul_f64_e32 v[192:193], v[4:5], v[184:185]
	v_mul_f64_e32 v[184:185], v[6:7], v[184:185]
	v_add_f64_e32 v[160:161], v[200:201], v[198:199]
	v_add_f64_e32 v[190:191], v[190:191], v[196:197]
	s_wait_loadcnt_dscnt 0xa00
	v_mul_f64_e32 v[196:197], v[150:151], v[136:137]
	v_mul_f64_e32 v[136:137], v[152:153], v[136:137]
	v_fmac_f64_e32 v[192:193], v[6:7], v[182:183]
	v_fma_f64 v[198:199], v[4:5], v[182:183], -v[184:185]
	v_add_f64_e32 v[200:201], v[160:161], v[158:159]
	v_add_f64_e32 v[190:191], v[190:191], v[194:195]
	ds_load_b128 v[4:7], v2 offset:1728
	ds_load_b128 v[158:161], v2 offset:1744
	scratch_load_b128 v[182:185], off, off offset:928
	v_fmac_f64_e32 v[196:197], v[152:153], v[134:135]
	v_fma_f64 v[150:151], v[150:151], v[134:135], -v[136:137]
	scratch_load_b128 v[134:137], off, off offset:944
	s_wait_loadcnt_dscnt 0xb01
	v_mul_f64_e32 v[194:195], v[4:5], v[164:165]
	v_mul_f64_e32 v[164:165], v[6:7], v[164:165]
	v_add_f64_e32 v[152:153], v[200:201], v[198:199]
	v_add_f64_e32 v[190:191], v[190:191], v[192:193]
	s_wait_loadcnt_dscnt 0xa00
	v_mul_f64_e32 v[192:193], v[158:159], v[144:145]
	v_mul_f64_e32 v[144:145], v[160:161], v[144:145]
	v_fmac_f64_e32 v[194:195], v[6:7], v[162:163]
	v_fma_f64 v[162:163], v[4:5], v[162:163], -v[164:165]
	v_add_f64_e32 v[164:165], v[152:153], v[150:151]
	v_add_f64_e32 v[190:191], v[190:191], v[196:197]
	ds_load_b128 v[4:7], v2 offset:1760
	ds_load_b128 v[150:153], v2 offset:1776
	v_fmac_f64_e32 v[192:193], v[160:161], v[142:143]
	v_fma_f64 v[142:143], v[158:159], v[142:143], -v[144:145]
	s_wait_loadcnt_dscnt 0x901
	v_mul_f64_e32 v[196:197], v[4:5], v[168:169]
	v_mul_f64_e32 v[168:169], v[6:7], v[168:169]
	s_wait_loadcnt_dscnt 0x800
	v_mul_f64_e32 v[160:161], v[150:151], v[148:149]
	v_mul_f64_e32 v[148:149], v[152:153], v[148:149]
	v_add_f64_e32 v[144:145], v[164:165], v[162:163]
	v_add_f64_e32 v[158:159], v[190:191], v[194:195]
	v_fmac_f64_e32 v[196:197], v[6:7], v[166:167]
	v_fma_f64 v[162:163], v[4:5], v[166:167], -v[168:169]
	v_fmac_f64_e32 v[160:161], v[152:153], v[146:147]
	v_fma_f64 v[146:147], v[150:151], v[146:147], -v[148:149]
	v_add_f64_e32 v[164:165], v[144:145], v[142:143]
	v_add_f64_e32 v[158:159], v[158:159], v[192:193]
	ds_load_b128 v[4:7], v2 offset:1792
	ds_load_b128 v[142:145], v2 offset:1808
	s_wait_loadcnt_dscnt 0x701
	v_mul_f64_e32 v[166:167], v[4:5], v[172:173]
	v_mul_f64_e32 v[168:169], v[6:7], v[172:173]
	s_wait_loadcnt_dscnt 0x600
	v_mul_f64_e32 v[152:153], v[142:143], v[156:157]
	v_mul_f64_e32 v[156:157], v[144:145], v[156:157]
	v_add_f64_e32 v[148:149], v[164:165], v[162:163]
	v_add_f64_e32 v[150:151], v[158:159], v[196:197]
	v_fmac_f64_e32 v[166:167], v[6:7], v[170:171]
	v_fma_f64 v[158:159], v[4:5], v[170:171], -v[168:169]
	v_fmac_f64_e32 v[152:153], v[144:145], v[154:155]
	v_fma_f64 v[142:143], v[142:143], v[154:155], -v[156:157]
	v_add_f64_e32 v[162:163], v[148:149], v[146:147]
	v_add_f64_e32 v[150:151], v[150:151], v[160:161]
	ds_load_b128 v[4:7], v2 offset:1824
	ds_load_b128 v[146:149], v2 offset:1840
	;; [unrolled: 16-line block ×4, first 2 shown]
	s_wait_loadcnt_dscnt 0x101
	v_mul_f64_e32 v[2:3], v[4:5], v[184:185]
	v_mul_f64_e32 v[154:155], v[6:7], v[184:185]
	s_wait_loadcnt_dscnt 0x0
	v_mul_f64_e32 v[144:145], v[10:11], v[136:137]
	v_mul_f64_e32 v[136:137], v[12:13], v[136:137]
	v_add_f64_e32 v[140:141], v[156:157], v[150:151]
	v_add_f64_e32 v[142:143], v[146:147], v[152:153]
	v_fmac_f64_e32 v[2:3], v[6:7], v[182:183]
	v_fma_f64 v[4:5], v[4:5], v[182:183], -v[154:155]
	v_fmac_f64_e32 v[144:145], v[12:13], v[134:135]
	v_fma_f64 v[10:11], v[10:11], v[134:135], -v[136:137]
	v_add_f64_e32 v[6:7], v[140:141], v[138:139]
	v_add_f64_e32 v[138:139], v[142:143], v[148:149]
	s_delay_alu instid0(VALU_DEP_2) | instskip(NEXT) | instid1(VALU_DEP_2)
	v_add_f64_e32 v[4:5], v[6:7], v[4:5]
	v_add_f64_e32 v[2:3], v[138:139], v[2:3]
	s_delay_alu instid0(VALU_DEP_2) | instskip(NEXT) | instid1(VALU_DEP_2)
	;; [unrolled: 3-line block ×3, first 2 shown]
	v_add_f64_e64 v[2:3], v[178:179], -v[4:5]
	v_add_f64_e64 v[4:5], v[180:181], -v[6:7]
	scratch_store_b128 off, v[2:5], off offset:80
	s_wait_xcnt 0x0
	v_cmpx_lt_u32_e32 4, v1
	s_cbranch_execz .LBB59_365
; %bb.364:
	scratch_load_b128 v[2:5], off, s49
	v_mov_b32_e32 v10, 0
	s_delay_alu instid0(VALU_DEP_1)
	v_dual_mov_b32 v11, v10 :: v_dual_mov_b32 v12, v10
	v_mov_b32_e32 v13, v10
	scratch_store_b128 off, v[10:13], off offset:64
	s_wait_loadcnt 0x0
	ds_store_b128 v8, v[2:5]
.LBB59_365:
	s_wait_xcnt 0x0
	s_or_b32 exec_lo, exec_lo, s2
	s_wait_storecnt_dscnt 0x0
	s_barrier_signal -1
	s_barrier_wait -1
	s_clause 0x9
	scratch_load_b128 v[4:7], off, off offset:80
	scratch_load_b128 v[10:13], off, off offset:96
	;; [unrolled: 1-line block ×10, first 2 shown]
	v_mov_b32_e32 v2, 0
	s_mov_b32 s2, exec_lo
	ds_load_b128 v[166:169], v2 offset:1040
	s_clause 0x2
	scratch_load_b128 v[170:173], off, off offset:240
	scratch_load_b128 v[174:177], off, off offset:64
	;; [unrolled: 1-line block ×3, first 2 shown]
	s_wait_loadcnt_dscnt 0xc00
	v_mul_f64_e32 v[186:187], v[168:169], v[6:7]
	v_mul_f64_e32 v[190:191], v[166:167], v[6:7]
	ds_load_b128 v[178:181], v2 offset:1056
	v_fma_f64 v[194:195], v[166:167], v[4:5], -v[186:187]
	v_fmac_f64_e32 v[190:191], v[168:169], v[4:5]
	ds_load_b128 v[4:7], v2 offset:1072
	s_wait_loadcnt_dscnt 0xb01
	v_mul_f64_e32 v[192:193], v[178:179], v[12:13]
	v_mul_f64_e32 v[12:13], v[180:181], v[12:13]
	scratch_load_b128 v[166:169], off, off offset:272
	ds_load_b128 v[186:189], v2 offset:1088
	s_wait_loadcnt_dscnt 0xb01
	v_mul_f64_e32 v[196:197], v[4:5], v[136:137]
	v_mul_f64_e32 v[136:137], v[6:7], v[136:137]
	v_add_f64_e32 v[190:191], 0, v[190:191]
	v_fmac_f64_e32 v[192:193], v[180:181], v[10:11]
	v_fma_f64 v[178:179], v[178:179], v[10:11], -v[12:13]
	v_add_f64_e32 v[180:181], 0, v[194:195]
	scratch_load_b128 v[10:13], off, off offset:288
	v_fmac_f64_e32 v[196:197], v[6:7], v[134:135]
	v_fma_f64 v[198:199], v[4:5], v[134:135], -v[136:137]
	ds_load_b128 v[4:7], v2 offset:1104
	s_wait_loadcnt_dscnt 0xb01
	v_mul_f64_e32 v[194:195], v[186:187], v[140:141]
	v_mul_f64_e32 v[140:141], v[188:189], v[140:141]
	scratch_load_b128 v[134:137], off, off offset:304
	v_add_f64_e32 v[190:191], v[190:191], v[192:193]
	v_add_f64_e32 v[200:201], v[180:181], v[178:179]
	ds_load_b128 v[178:181], v2 offset:1120
	s_wait_loadcnt_dscnt 0xb01
	v_mul_f64_e32 v[192:193], v[4:5], v[144:145]
	v_mul_f64_e32 v[144:145], v[6:7], v[144:145]
	v_fmac_f64_e32 v[194:195], v[188:189], v[138:139]
	v_fma_f64 v[186:187], v[186:187], v[138:139], -v[140:141]
	scratch_load_b128 v[138:141], off, off offset:320
	v_add_f64_e32 v[190:191], v[190:191], v[196:197]
	v_add_f64_e32 v[188:189], v[200:201], v[198:199]
	v_fmac_f64_e32 v[192:193], v[6:7], v[142:143]
	v_fma_f64 v[198:199], v[4:5], v[142:143], -v[144:145]
	ds_load_b128 v[4:7], v2 offset:1136
	s_wait_loadcnt_dscnt 0xb01
	v_mul_f64_e32 v[196:197], v[178:179], v[148:149]
	v_mul_f64_e32 v[148:149], v[180:181], v[148:149]
	scratch_load_b128 v[142:145], off, off offset:336
	v_add_f64_e32 v[190:191], v[190:191], v[194:195]
	s_wait_loadcnt_dscnt 0xb00
	v_mul_f64_e32 v[194:195], v[4:5], v[152:153]
	v_add_f64_e32 v[200:201], v[188:189], v[186:187]
	v_mul_f64_e32 v[152:153], v[6:7], v[152:153]
	ds_load_b128 v[186:189], v2 offset:1152
	v_fmac_f64_e32 v[196:197], v[180:181], v[146:147]
	v_fma_f64 v[178:179], v[178:179], v[146:147], -v[148:149]
	scratch_load_b128 v[146:149], off, off offset:352
	v_add_f64_e32 v[190:191], v[190:191], v[192:193]
	v_fmac_f64_e32 v[194:195], v[6:7], v[150:151]
	v_add_f64_e32 v[180:181], v[200:201], v[198:199]
	v_fma_f64 v[198:199], v[4:5], v[150:151], -v[152:153]
	ds_load_b128 v[4:7], v2 offset:1168
	s_wait_loadcnt_dscnt 0xb01
	v_mul_f64_e32 v[192:193], v[186:187], v[156:157]
	v_mul_f64_e32 v[156:157], v[188:189], v[156:157]
	scratch_load_b128 v[150:153], off, off offset:368
	v_add_f64_e32 v[190:191], v[190:191], v[196:197]
	s_wait_loadcnt_dscnt 0xb00
	v_mul_f64_e32 v[196:197], v[4:5], v[160:161]
	v_add_f64_e32 v[200:201], v[180:181], v[178:179]
	v_mul_f64_e32 v[160:161], v[6:7], v[160:161]
	ds_load_b128 v[178:181], v2 offset:1184
	v_fmac_f64_e32 v[192:193], v[188:189], v[154:155]
	v_fma_f64 v[186:187], v[186:187], v[154:155], -v[156:157]
	scratch_load_b128 v[154:157], off, off offset:384
	v_add_f64_e32 v[190:191], v[190:191], v[194:195]
	v_fmac_f64_e32 v[196:197], v[6:7], v[158:159]
	v_add_f64_e32 v[188:189], v[200:201], v[198:199]
	;; [unrolled: 18-line block ×3, first 2 shown]
	v_fma_f64 v[198:199], v[4:5], v[170:171], -v[172:173]
	ds_load_b128 v[4:7], v2 offset:1232
	s_wait_loadcnt_dscnt 0xa01
	v_mul_f64_e32 v[196:197], v[186:187], v[184:185]
	v_mul_f64_e32 v[184:185], v[188:189], v[184:185]
	scratch_load_b128 v[170:173], off, off offset:432
	v_add_f64_e32 v[190:191], v[190:191], v[194:195]
	v_add_f64_e32 v[200:201], v[180:181], v[178:179]
	s_wait_loadcnt_dscnt 0xa00
	v_mul_f64_e32 v[194:195], v[4:5], v[168:169]
	v_mul_f64_e32 v[168:169], v[6:7], v[168:169]
	v_fmac_f64_e32 v[196:197], v[188:189], v[182:183]
	v_fma_f64 v[186:187], v[186:187], v[182:183], -v[184:185]
	ds_load_b128 v[178:181], v2 offset:1248
	scratch_load_b128 v[182:185], off, off offset:448
	v_add_f64_e32 v[190:191], v[190:191], v[192:193]
	v_add_f64_e32 v[188:189], v[200:201], v[198:199]
	v_fmac_f64_e32 v[194:195], v[6:7], v[166:167]
	v_fma_f64 v[198:199], v[4:5], v[166:167], -v[168:169]
	ds_load_b128 v[4:7], v2 offset:1264
	s_wait_loadcnt_dscnt 0xa01
	v_mul_f64_e32 v[192:193], v[178:179], v[12:13]
	v_mul_f64_e32 v[12:13], v[180:181], v[12:13]
	scratch_load_b128 v[166:169], off, off offset:464
	v_add_f64_e32 v[190:191], v[190:191], v[196:197]
	s_wait_loadcnt_dscnt 0xa00
	v_mul_f64_e32 v[196:197], v[4:5], v[136:137]
	v_add_f64_e32 v[200:201], v[188:189], v[186:187]
	v_mul_f64_e32 v[136:137], v[6:7], v[136:137]
	ds_load_b128 v[186:189], v2 offset:1280
	v_fmac_f64_e32 v[192:193], v[180:181], v[10:11]
	v_fma_f64 v[178:179], v[178:179], v[10:11], -v[12:13]
	scratch_load_b128 v[10:13], off, off offset:480
	v_add_f64_e32 v[190:191], v[190:191], v[194:195]
	v_fmac_f64_e32 v[196:197], v[6:7], v[134:135]
	v_add_f64_e32 v[180:181], v[200:201], v[198:199]
	v_fma_f64 v[198:199], v[4:5], v[134:135], -v[136:137]
	ds_load_b128 v[4:7], v2 offset:1296
	s_wait_loadcnt_dscnt 0xa01
	v_mul_f64_e32 v[194:195], v[186:187], v[140:141]
	v_mul_f64_e32 v[140:141], v[188:189], v[140:141]
	scratch_load_b128 v[134:137], off, off offset:496
	v_add_f64_e32 v[190:191], v[190:191], v[192:193]
	s_wait_loadcnt_dscnt 0xa00
	v_mul_f64_e32 v[192:193], v[4:5], v[144:145]
	v_add_f64_e32 v[200:201], v[180:181], v[178:179]
	v_mul_f64_e32 v[144:145], v[6:7], v[144:145]
	ds_load_b128 v[178:181], v2 offset:1312
	v_fmac_f64_e32 v[194:195], v[188:189], v[138:139]
	v_fma_f64 v[186:187], v[186:187], v[138:139], -v[140:141]
	scratch_load_b128 v[138:141], off, off offset:512
	v_add_f64_e32 v[190:191], v[190:191], v[196:197]
	v_fmac_f64_e32 v[192:193], v[6:7], v[142:143]
	v_add_f64_e32 v[188:189], v[200:201], v[198:199]
	;; [unrolled: 18-line block ×15, first 2 shown]
	v_fma_f64 v[198:199], v[4:5], v[150:151], -v[152:153]
	ds_load_b128 v[4:7], v2 offset:1744
	s_wait_loadcnt_dscnt 0xa01
	v_mul_f64_e32 v[192:193], v[186:187], v[156:157]
	v_mul_f64_e32 v[156:157], v[188:189], v[156:157]
	scratch_load_b128 v[150:153], off, off offset:944
	v_add_f64_e32 v[190:191], v[190:191], v[196:197]
	s_wait_loadcnt_dscnt 0xa00
	v_mul_f64_e32 v[196:197], v[4:5], v[160:161]
	v_add_f64_e32 v[200:201], v[180:181], v[178:179]
	v_mul_f64_e32 v[160:161], v[6:7], v[160:161]
	ds_load_b128 v[178:181], v2 offset:1760
	v_fmac_f64_e32 v[192:193], v[188:189], v[154:155]
	v_fma_f64 v[154:155], v[186:187], v[154:155], -v[156:157]
	s_wait_loadcnt_dscnt 0x900
	v_mul_f64_e32 v[188:189], v[178:179], v[164:165]
	v_mul_f64_e32 v[164:165], v[180:181], v[164:165]
	v_add_f64_e32 v[186:187], v[190:191], v[194:195]
	v_fmac_f64_e32 v[196:197], v[6:7], v[158:159]
	v_add_f64_e32 v[156:157], v[200:201], v[198:199]
	v_fma_f64 v[158:159], v[4:5], v[158:159], -v[160:161]
	v_fmac_f64_e32 v[188:189], v[180:181], v[162:163]
	v_fma_f64 v[162:163], v[178:179], v[162:163], -v[164:165]
	v_add_f64_e32 v[186:187], v[186:187], v[192:193]
	v_add_f64_e32 v[160:161], v[156:157], v[154:155]
	ds_load_b128 v[4:7], v2 offset:1776
	ds_load_b128 v[154:157], v2 offset:1792
	s_wait_loadcnt_dscnt 0x801
	v_mul_f64_e32 v[190:191], v[4:5], v[172:173]
	v_mul_f64_e32 v[172:173], v[6:7], v[172:173]
	s_wait_loadcnt_dscnt 0x700
	v_mul_f64_e32 v[164:165], v[154:155], v[184:185]
	v_mul_f64_e32 v[178:179], v[156:157], v[184:185]
	v_add_f64_e32 v[158:159], v[160:161], v[158:159]
	v_add_f64_e32 v[160:161], v[186:187], v[196:197]
	v_fmac_f64_e32 v[190:191], v[6:7], v[170:171]
	v_fma_f64 v[170:171], v[4:5], v[170:171], -v[172:173]
	v_fmac_f64_e32 v[164:165], v[156:157], v[182:183]
	v_fma_f64 v[154:155], v[154:155], v[182:183], -v[178:179]
	v_add_f64_e32 v[162:163], v[158:159], v[162:163]
	v_add_f64_e32 v[172:173], v[160:161], v[188:189]
	ds_load_b128 v[4:7], v2 offset:1808
	ds_load_b128 v[158:161], v2 offset:1824
	s_wait_loadcnt_dscnt 0x601
	v_mul_f64_e32 v[180:181], v[4:5], v[168:169]
	v_mul_f64_e32 v[168:169], v[6:7], v[168:169]
	v_add_f64_e32 v[156:157], v[162:163], v[170:171]
	v_add_f64_e32 v[162:163], v[172:173], v[190:191]
	s_wait_loadcnt_dscnt 0x500
	v_mul_f64_e32 v[170:171], v[158:159], v[12:13]
	v_mul_f64_e32 v[12:13], v[160:161], v[12:13]
	v_fmac_f64_e32 v[180:181], v[6:7], v[166:167]
	v_fma_f64 v[166:167], v[4:5], v[166:167], -v[168:169]
	v_add_f64_e32 v[168:169], v[156:157], v[154:155]
	v_add_f64_e32 v[162:163], v[162:163], v[164:165]
	ds_load_b128 v[4:7], v2 offset:1840
	ds_load_b128 v[154:157], v2 offset:1856
	v_fmac_f64_e32 v[170:171], v[160:161], v[10:11]
	v_fma_f64 v[10:11], v[158:159], v[10:11], -v[12:13]
	s_wait_loadcnt_dscnt 0x401
	v_mul_f64_e32 v[164:165], v[4:5], v[136:137]
	v_mul_f64_e32 v[136:137], v[6:7], v[136:137]
	s_wait_loadcnt_dscnt 0x300
	v_mul_f64_e32 v[160:161], v[154:155], v[140:141]
	v_mul_f64_e32 v[140:141], v[156:157], v[140:141]
	v_add_f64_e32 v[12:13], v[168:169], v[166:167]
	v_add_f64_e32 v[158:159], v[162:163], v[180:181]
	v_fmac_f64_e32 v[164:165], v[6:7], v[134:135]
	v_fma_f64 v[134:135], v[4:5], v[134:135], -v[136:137]
	v_fmac_f64_e32 v[160:161], v[156:157], v[138:139]
	v_fma_f64 v[138:139], v[154:155], v[138:139], -v[140:141]
	v_add_f64_e32 v[136:137], v[12:13], v[10:11]
	v_add_f64_e32 v[158:159], v[158:159], v[170:171]
	ds_load_b128 v[4:7], v2 offset:1872
	ds_load_b128 v[10:13], v2 offset:1888
	s_wait_loadcnt_dscnt 0x201
	v_mul_f64_e32 v[162:163], v[4:5], v[144:145]
	v_mul_f64_e32 v[144:145], v[6:7], v[144:145]
	s_wait_loadcnt_dscnt 0x100
	v_mul_f64_e32 v[140:141], v[10:11], v[148:149]
	v_mul_f64_e32 v[148:149], v[12:13], v[148:149]
	v_add_f64_e32 v[134:135], v[136:137], v[134:135]
	v_add_f64_e32 v[136:137], v[158:159], v[164:165]
	v_fmac_f64_e32 v[162:163], v[6:7], v[142:143]
	v_fma_f64 v[142:143], v[4:5], v[142:143], -v[144:145]
	ds_load_b128 v[4:7], v2 offset:1904
	v_fmac_f64_e32 v[140:141], v[12:13], v[146:147]
	v_fma_f64 v[10:11], v[10:11], v[146:147], -v[148:149]
	v_add_f64_e32 v[134:135], v[134:135], v[138:139]
	v_add_f64_e32 v[136:137], v[136:137], v[160:161]
	s_wait_loadcnt_dscnt 0x0
	v_mul_f64_e32 v[138:139], v[4:5], v[152:153]
	v_mul_f64_e32 v[144:145], v[6:7], v[152:153]
	s_delay_alu instid0(VALU_DEP_4) | instskip(NEXT) | instid1(VALU_DEP_4)
	v_add_f64_e32 v[12:13], v[134:135], v[142:143]
	v_add_f64_e32 v[134:135], v[136:137], v[162:163]
	s_delay_alu instid0(VALU_DEP_4) | instskip(NEXT) | instid1(VALU_DEP_4)
	v_fmac_f64_e32 v[138:139], v[6:7], v[150:151]
	v_fma_f64 v[4:5], v[4:5], v[150:151], -v[144:145]
	s_delay_alu instid0(VALU_DEP_4) | instskip(NEXT) | instid1(VALU_DEP_4)
	v_add_f64_e32 v[6:7], v[12:13], v[10:11]
	v_add_f64_e32 v[10:11], v[134:135], v[140:141]
	s_delay_alu instid0(VALU_DEP_2) | instskip(NEXT) | instid1(VALU_DEP_2)
	v_add_f64_e32 v[4:5], v[6:7], v[4:5]
	v_add_f64_e32 v[6:7], v[10:11], v[138:139]
	s_delay_alu instid0(VALU_DEP_2) | instskip(NEXT) | instid1(VALU_DEP_2)
	v_add_f64_e64 v[4:5], v[174:175], -v[4:5]
	v_add_f64_e64 v[6:7], v[176:177], -v[6:7]
	scratch_store_b128 off, v[4:7], off offset:64
	s_wait_xcnt 0x0
	v_cmpx_lt_u32_e32 3, v1
	s_cbranch_execz .LBB59_367
; %bb.366:
	scratch_load_b128 v[10:13], off, s50
	v_dual_mov_b32 v3, v2 :: v_dual_mov_b32 v4, v2
	v_mov_b32_e32 v5, v2
	scratch_store_b128 off, v[2:5], off offset:48
	s_wait_loadcnt 0x0
	ds_store_b128 v8, v[10:13]
.LBB59_367:
	s_wait_xcnt 0x0
	s_or_b32 exec_lo, exec_lo, s2
	s_wait_storecnt_dscnt 0x0
	s_barrier_signal -1
	s_barrier_wait -1
	s_clause 0x9
	scratch_load_b128 v[4:7], off, off offset:64
	scratch_load_b128 v[10:13], off, off offset:80
	;; [unrolled: 1-line block ×10, first 2 shown]
	ds_load_b128 v[166:169], v2 offset:1024
	ds_load_b128 v[174:177], v2 offset:1040
	s_clause 0x2
	scratch_load_b128 v[170:173], off, off offset:224
	scratch_load_b128 v[178:181], off, off offset:48
	;; [unrolled: 1-line block ×3, first 2 shown]
	s_mov_b32 s2, exec_lo
	s_wait_loadcnt_dscnt 0xc01
	v_mul_f64_e32 v[186:187], v[168:169], v[6:7]
	v_mul_f64_e32 v[190:191], v[166:167], v[6:7]
	s_wait_loadcnt_dscnt 0xb00
	v_mul_f64_e32 v[192:193], v[174:175], v[12:13]
	v_mul_f64_e32 v[12:13], v[176:177], v[12:13]
	s_delay_alu instid0(VALU_DEP_4) | instskip(NEXT) | instid1(VALU_DEP_4)
	v_fma_f64 v[194:195], v[166:167], v[4:5], -v[186:187]
	v_fmac_f64_e32 v[190:191], v[168:169], v[4:5]
	ds_load_b128 v[4:7], v2 offset:1056
	ds_load_b128 v[166:169], v2 offset:1072
	scratch_load_b128 v[186:189], off, off offset:256
	v_fmac_f64_e32 v[192:193], v[176:177], v[10:11]
	v_fma_f64 v[174:175], v[174:175], v[10:11], -v[12:13]
	scratch_load_b128 v[10:13], off, off offset:272
	s_wait_loadcnt_dscnt 0xc01
	v_mul_f64_e32 v[196:197], v[4:5], v[136:137]
	v_mul_f64_e32 v[136:137], v[6:7], v[136:137]
	v_add_f64_e32 v[176:177], 0, v[194:195]
	v_add_f64_e32 v[190:191], 0, v[190:191]
	s_wait_loadcnt_dscnt 0xb00
	v_mul_f64_e32 v[194:195], v[166:167], v[140:141]
	v_mul_f64_e32 v[140:141], v[168:169], v[140:141]
	v_fmac_f64_e32 v[196:197], v[6:7], v[134:135]
	v_fma_f64 v[198:199], v[4:5], v[134:135], -v[136:137]
	ds_load_b128 v[4:7], v2 offset:1088
	ds_load_b128 v[134:137], v2 offset:1104
	v_add_f64_e32 v[200:201], v[176:177], v[174:175]
	v_add_f64_e32 v[190:191], v[190:191], v[192:193]
	scratch_load_b128 v[174:177], off, off offset:288
	v_fmac_f64_e32 v[194:195], v[168:169], v[138:139]
	v_fma_f64 v[166:167], v[166:167], v[138:139], -v[140:141]
	scratch_load_b128 v[138:141], off, off offset:304
	s_wait_loadcnt_dscnt 0xc01
	v_mul_f64_e32 v[192:193], v[4:5], v[144:145]
	v_mul_f64_e32 v[144:145], v[6:7], v[144:145]
	v_add_f64_e32 v[168:169], v[200:201], v[198:199]
	v_add_f64_e32 v[190:191], v[190:191], v[196:197]
	s_wait_loadcnt_dscnt 0xb00
	v_mul_f64_e32 v[196:197], v[134:135], v[148:149]
	v_mul_f64_e32 v[148:149], v[136:137], v[148:149]
	v_fmac_f64_e32 v[192:193], v[6:7], v[142:143]
	v_fma_f64 v[198:199], v[4:5], v[142:143], -v[144:145]
	ds_load_b128 v[4:7], v2 offset:1120
	ds_load_b128 v[142:145], v2 offset:1136
	v_add_f64_e32 v[200:201], v[168:169], v[166:167]
	v_add_f64_e32 v[190:191], v[190:191], v[194:195]
	scratch_load_b128 v[166:169], off, off offset:320
	s_wait_loadcnt_dscnt 0xb01
	v_mul_f64_e32 v[194:195], v[4:5], v[152:153]
	v_mul_f64_e32 v[152:153], v[6:7], v[152:153]
	v_fmac_f64_e32 v[196:197], v[136:137], v[146:147]
	v_fma_f64 v[146:147], v[134:135], v[146:147], -v[148:149]
	scratch_load_b128 v[134:137], off, off offset:336
	v_add_f64_e32 v[148:149], v[200:201], v[198:199]
	v_add_f64_e32 v[190:191], v[190:191], v[192:193]
	s_wait_loadcnt_dscnt 0xb00
	v_mul_f64_e32 v[192:193], v[142:143], v[156:157]
	v_mul_f64_e32 v[156:157], v[144:145], v[156:157]
	v_fmac_f64_e32 v[194:195], v[6:7], v[150:151]
	v_fma_f64 v[198:199], v[4:5], v[150:151], -v[152:153]
	v_add_f64_e32 v[200:201], v[148:149], v[146:147]
	v_add_f64_e32 v[190:191], v[190:191], v[196:197]
	ds_load_b128 v[4:7], v2 offset:1152
	ds_load_b128 v[146:149], v2 offset:1168
	scratch_load_b128 v[150:153], off, off offset:352
	v_fmac_f64_e32 v[192:193], v[144:145], v[154:155]
	v_fma_f64 v[154:155], v[142:143], v[154:155], -v[156:157]
	scratch_load_b128 v[142:145], off, off offset:368
	s_wait_loadcnt_dscnt 0xc01
	v_mul_f64_e32 v[196:197], v[4:5], v[160:161]
	v_mul_f64_e32 v[160:161], v[6:7], v[160:161]
	v_add_f64_e32 v[156:157], v[200:201], v[198:199]
	v_add_f64_e32 v[190:191], v[190:191], v[194:195]
	s_wait_loadcnt_dscnt 0xb00
	v_mul_f64_e32 v[194:195], v[146:147], v[164:165]
	v_mul_f64_e32 v[164:165], v[148:149], v[164:165]
	v_fmac_f64_e32 v[196:197], v[6:7], v[158:159]
	v_fma_f64 v[198:199], v[4:5], v[158:159], -v[160:161]
	v_add_f64_e32 v[200:201], v[156:157], v[154:155]
	v_add_f64_e32 v[190:191], v[190:191], v[192:193]
	ds_load_b128 v[4:7], v2 offset:1184
	ds_load_b128 v[154:157], v2 offset:1200
	scratch_load_b128 v[158:161], off, off offset:384
	v_fmac_f64_e32 v[194:195], v[148:149], v[162:163]
	v_fma_f64 v[162:163], v[146:147], v[162:163], -v[164:165]
	scratch_load_b128 v[146:149], off, off offset:400
	s_wait_loadcnt_dscnt 0xc01
	v_mul_f64_e32 v[192:193], v[4:5], v[172:173]
	v_mul_f64_e32 v[172:173], v[6:7], v[172:173]
	v_add_f64_e32 v[164:165], v[200:201], v[198:199]
	v_add_f64_e32 v[190:191], v[190:191], v[196:197]
	s_wait_loadcnt_dscnt 0xa00
	v_mul_f64_e32 v[196:197], v[154:155], v[184:185]
	v_mul_f64_e32 v[184:185], v[156:157], v[184:185]
	v_fmac_f64_e32 v[192:193], v[6:7], v[170:171]
	v_fma_f64 v[198:199], v[4:5], v[170:171], -v[172:173]
	v_add_f64_e32 v[200:201], v[164:165], v[162:163]
	v_add_f64_e32 v[190:191], v[190:191], v[194:195]
	ds_load_b128 v[4:7], v2 offset:1216
	ds_load_b128 v[162:165], v2 offset:1232
	scratch_load_b128 v[170:173], off, off offset:416
	v_fmac_f64_e32 v[196:197], v[156:157], v[182:183]
	v_fma_f64 v[182:183], v[154:155], v[182:183], -v[184:185]
	scratch_load_b128 v[154:157], off, off offset:432
	s_wait_loadcnt_dscnt 0xb01
	v_mul_f64_e32 v[194:195], v[4:5], v[188:189]
	v_mul_f64_e32 v[188:189], v[6:7], v[188:189]
	v_add_f64_e32 v[184:185], v[200:201], v[198:199]
	v_add_f64_e32 v[190:191], v[190:191], v[192:193]
	s_wait_loadcnt_dscnt 0xa00
	v_mul_f64_e32 v[192:193], v[162:163], v[12:13]
	v_mul_f64_e32 v[12:13], v[164:165], v[12:13]
	v_fmac_f64_e32 v[194:195], v[6:7], v[186:187]
	v_fma_f64 v[198:199], v[4:5], v[186:187], -v[188:189]
	v_add_f64_e32 v[200:201], v[184:185], v[182:183]
	v_add_f64_e32 v[190:191], v[190:191], v[196:197]
	ds_load_b128 v[4:7], v2 offset:1248
	ds_load_b128 v[182:185], v2 offset:1264
	scratch_load_b128 v[186:189], off, off offset:448
	v_fmac_f64_e32 v[192:193], v[164:165], v[10:11]
	v_fma_f64 v[162:163], v[162:163], v[10:11], -v[12:13]
	scratch_load_b128 v[10:13], off, off offset:464
	s_wait_loadcnt_dscnt 0xb01
	v_mul_f64_e32 v[196:197], v[4:5], v[176:177]
	v_mul_f64_e32 v[176:177], v[6:7], v[176:177]
	v_add_f64_e32 v[164:165], v[200:201], v[198:199]
	v_add_f64_e32 v[190:191], v[190:191], v[194:195]
	s_wait_loadcnt_dscnt 0xa00
	v_mul_f64_e32 v[194:195], v[182:183], v[140:141]
	v_mul_f64_e32 v[140:141], v[184:185], v[140:141]
	v_fmac_f64_e32 v[196:197], v[6:7], v[174:175]
	v_fma_f64 v[198:199], v[4:5], v[174:175], -v[176:177]
	v_add_f64_e32 v[200:201], v[164:165], v[162:163]
	v_add_f64_e32 v[190:191], v[190:191], v[192:193]
	ds_load_b128 v[4:7], v2 offset:1280
	ds_load_b128 v[162:165], v2 offset:1296
	scratch_load_b128 v[174:177], off, off offset:480
	v_fmac_f64_e32 v[194:195], v[184:185], v[138:139]
	v_fma_f64 v[182:183], v[182:183], v[138:139], -v[140:141]
	scratch_load_b128 v[138:141], off, off offset:496
	s_wait_loadcnt_dscnt 0xb01
	v_mul_f64_e32 v[192:193], v[4:5], v[168:169]
	v_mul_f64_e32 v[168:169], v[6:7], v[168:169]
	v_add_f64_e32 v[184:185], v[200:201], v[198:199]
	v_add_f64_e32 v[190:191], v[190:191], v[196:197]
	s_wait_loadcnt_dscnt 0xa00
	v_mul_f64_e32 v[196:197], v[162:163], v[136:137]
	v_mul_f64_e32 v[136:137], v[164:165], v[136:137]
	v_fmac_f64_e32 v[192:193], v[6:7], v[166:167]
	v_fma_f64 v[198:199], v[4:5], v[166:167], -v[168:169]
	ds_load_b128 v[4:7], v2 offset:1312
	ds_load_b128 v[166:169], v2 offset:1328
	v_add_f64_e32 v[200:201], v[184:185], v[182:183]
	v_add_f64_e32 v[190:191], v[190:191], v[194:195]
	scratch_load_b128 v[182:185], off, off offset:512
	v_fmac_f64_e32 v[196:197], v[164:165], v[134:135]
	v_fma_f64 v[162:163], v[162:163], v[134:135], -v[136:137]
	scratch_load_b128 v[134:137], off, off offset:528
	s_wait_loadcnt_dscnt 0xb01
	v_mul_f64_e32 v[194:195], v[4:5], v[152:153]
	v_mul_f64_e32 v[152:153], v[6:7], v[152:153]
	v_add_f64_e32 v[164:165], v[200:201], v[198:199]
	v_add_f64_e32 v[190:191], v[190:191], v[192:193]
	s_wait_loadcnt_dscnt 0xa00
	v_mul_f64_e32 v[192:193], v[166:167], v[144:145]
	v_mul_f64_e32 v[144:145], v[168:169], v[144:145]
	v_fmac_f64_e32 v[194:195], v[6:7], v[150:151]
	v_fma_f64 v[198:199], v[4:5], v[150:151], -v[152:153]
	ds_load_b128 v[4:7], v2 offset:1344
	ds_load_b128 v[150:153], v2 offset:1360
	v_add_f64_e32 v[200:201], v[164:165], v[162:163]
	v_add_f64_e32 v[190:191], v[190:191], v[196:197]
	scratch_load_b128 v[162:165], off, off offset:544
	s_wait_loadcnt_dscnt 0xa01
	v_mul_f64_e32 v[196:197], v[4:5], v[160:161]
	v_mul_f64_e32 v[160:161], v[6:7], v[160:161]
	v_fmac_f64_e32 v[192:193], v[168:169], v[142:143]
	v_fma_f64 v[166:167], v[166:167], v[142:143], -v[144:145]
	scratch_load_b128 v[142:145], off, off offset:560
	v_add_f64_e32 v[168:169], v[200:201], v[198:199]
	v_add_f64_e32 v[190:191], v[190:191], v[194:195]
	s_wait_loadcnt_dscnt 0xa00
	v_mul_f64_e32 v[194:195], v[150:151], v[148:149]
	v_mul_f64_e32 v[148:149], v[152:153], v[148:149]
	v_fmac_f64_e32 v[196:197], v[6:7], v[158:159]
	v_fma_f64 v[198:199], v[4:5], v[158:159], -v[160:161]
	ds_load_b128 v[4:7], v2 offset:1376
	ds_load_b128 v[158:161], v2 offset:1392
	v_add_f64_e32 v[200:201], v[168:169], v[166:167]
	v_add_f64_e32 v[190:191], v[190:191], v[192:193]
	scratch_load_b128 v[166:169], off, off offset:576
	s_wait_loadcnt_dscnt 0xa01
	v_mul_f64_e32 v[192:193], v[4:5], v[172:173]
	v_mul_f64_e32 v[172:173], v[6:7], v[172:173]
	v_fmac_f64_e32 v[194:195], v[152:153], v[146:147]
	v_fma_f64 v[150:151], v[150:151], v[146:147], -v[148:149]
	scratch_load_b128 v[146:149], off, off offset:592
	v_add_f64_e32 v[152:153], v[200:201], v[198:199]
	v_add_f64_e32 v[190:191], v[190:191], v[196:197]
	s_wait_loadcnt_dscnt 0xa00
	v_mul_f64_e32 v[196:197], v[158:159], v[156:157]
	v_mul_f64_e32 v[156:157], v[160:161], v[156:157]
	v_fmac_f64_e32 v[192:193], v[6:7], v[170:171]
	v_fma_f64 v[198:199], v[4:5], v[170:171], -v[172:173]
	v_add_f64_e32 v[200:201], v[152:153], v[150:151]
	v_add_f64_e32 v[190:191], v[190:191], v[194:195]
	ds_load_b128 v[4:7], v2 offset:1408
	ds_load_b128 v[150:153], v2 offset:1424
	scratch_load_b128 v[170:173], off, off offset:608
	v_fmac_f64_e32 v[196:197], v[160:161], v[154:155]
	v_fma_f64 v[158:159], v[158:159], v[154:155], -v[156:157]
	scratch_load_b128 v[154:157], off, off offset:624
	s_wait_loadcnt_dscnt 0xb01
	v_mul_f64_e32 v[194:195], v[4:5], v[188:189]
	v_mul_f64_e32 v[188:189], v[6:7], v[188:189]
	v_add_f64_e32 v[160:161], v[200:201], v[198:199]
	v_add_f64_e32 v[190:191], v[190:191], v[192:193]
	s_wait_loadcnt_dscnt 0xa00
	v_mul_f64_e32 v[192:193], v[150:151], v[12:13]
	v_mul_f64_e32 v[12:13], v[152:153], v[12:13]
	v_fmac_f64_e32 v[194:195], v[6:7], v[186:187]
	v_fma_f64 v[198:199], v[4:5], v[186:187], -v[188:189]
	v_add_f64_e32 v[200:201], v[160:161], v[158:159]
	v_add_f64_e32 v[190:191], v[190:191], v[196:197]
	ds_load_b128 v[4:7], v2 offset:1440
	ds_load_b128 v[158:161], v2 offset:1456
	scratch_load_b128 v[186:189], off, off offset:640
	v_fmac_f64_e32 v[192:193], v[152:153], v[10:11]
	v_fma_f64 v[150:151], v[150:151], v[10:11], -v[12:13]
	scratch_load_b128 v[10:13], off, off offset:656
	s_wait_loadcnt_dscnt 0xb01
	v_mul_f64_e32 v[196:197], v[4:5], v[176:177]
	v_mul_f64_e32 v[176:177], v[6:7], v[176:177]
	;; [unrolled: 18-line block ×11, first 2 shown]
	v_add_f64_e32 v[160:161], v[200:201], v[198:199]
	v_add_f64_e32 v[190:191], v[190:191], v[194:195]
	s_wait_loadcnt_dscnt 0xa00
	v_mul_f64_e32 v[194:195], v[150:151], v[148:149]
	v_mul_f64_e32 v[148:149], v[152:153], v[148:149]
	v_fmac_f64_e32 v[196:197], v[6:7], v[166:167]
	v_fma_f64 v[166:167], v[4:5], v[166:167], -v[168:169]
	v_add_f64_e32 v[168:169], v[160:161], v[158:159]
	v_add_f64_e32 v[190:191], v[190:191], v[192:193]
	ds_load_b128 v[4:7], v2 offset:1760
	ds_load_b128 v[158:161], v2 offset:1776
	v_fmac_f64_e32 v[194:195], v[152:153], v[146:147]
	v_fma_f64 v[146:147], v[150:151], v[146:147], -v[148:149]
	s_wait_loadcnt_dscnt 0x901
	v_mul_f64_e32 v[192:193], v[4:5], v[172:173]
	v_mul_f64_e32 v[172:173], v[6:7], v[172:173]
	s_wait_loadcnt_dscnt 0x800
	v_mul_f64_e32 v[152:153], v[158:159], v[156:157]
	v_mul_f64_e32 v[156:157], v[160:161], v[156:157]
	v_add_f64_e32 v[148:149], v[168:169], v[166:167]
	v_add_f64_e32 v[150:151], v[190:191], v[196:197]
	v_fmac_f64_e32 v[192:193], v[6:7], v[170:171]
	v_fma_f64 v[166:167], v[4:5], v[170:171], -v[172:173]
	v_fmac_f64_e32 v[152:153], v[160:161], v[154:155]
	v_fma_f64 v[154:155], v[158:159], v[154:155], -v[156:157]
	v_add_f64_e32 v[168:169], v[148:149], v[146:147]
	v_add_f64_e32 v[150:151], v[150:151], v[194:195]
	ds_load_b128 v[4:7], v2 offset:1792
	ds_load_b128 v[146:149], v2 offset:1808
	s_wait_loadcnt_dscnt 0x701
	v_mul_f64_e32 v[170:171], v[4:5], v[188:189]
	v_mul_f64_e32 v[172:173], v[6:7], v[188:189]
	s_wait_loadcnt_dscnt 0x600
	v_mul_f64_e32 v[158:159], v[146:147], v[12:13]
	v_mul_f64_e32 v[12:13], v[148:149], v[12:13]
	v_add_f64_e32 v[156:157], v[168:169], v[166:167]
	v_add_f64_e32 v[150:151], v[150:151], v[192:193]
	v_fmac_f64_e32 v[170:171], v[6:7], v[186:187]
	v_fma_f64 v[160:161], v[4:5], v[186:187], -v[172:173]
	v_fmac_f64_e32 v[158:159], v[148:149], v[10:11]
	v_fma_f64 v[10:11], v[146:147], v[10:11], -v[12:13]
	v_add_f64_e32 v[154:155], v[156:157], v[154:155]
	v_add_f64_e32 v[156:157], v[150:151], v[152:153]
	ds_load_b128 v[4:7], v2 offset:1824
	ds_load_b128 v[150:153], v2 offset:1840
	;; [unrolled: 16-line block ×4, first 2 shown]
	s_wait_loadcnt_dscnt 0x101
	v_mul_f64_e32 v[2:3], v[4:5], v[164:165]
	v_mul_f64_e32 v[148:149], v[6:7], v[164:165]
	v_add_f64_e32 v[12:13], v[140:141], v[154:155]
	v_add_f64_e32 v[134:135], v[146:147], v[158:159]
	s_wait_loadcnt_dscnt 0x0
	v_mul_f64_e32 v[140:141], v[136:137], v[144:145]
	v_mul_f64_e32 v[144:145], v[138:139], v[144:145]
	v_fmac_f64_e32 v[2:3], v[6:7], v[162:163]
	v_fma_f64 v[4:5], v[4:5], v[162:163], -v[148:149]
	v_add_f64_e32 v[6:7], v[12:13], v[10:11]
	v_add_f64_e32 v[10:11], v[134:135], v[150:151]
	v_fmac_f64_e32 v[140:141], v[138:139], v[142:143]
	v_fma_f64 v[12:13], v[136:137], v[142:143], -v[144:145]
	s_delay_alu instid0(VALU_DEP_4) | instskip(NEXT) | instid1(VALU_DEP_4)
	v_add_f64_e32 v[4:5], v[6:7], v[4:5]
	v_add_f64_e32 v[2:3], v[10:11], v[2:3]
	s_delay_alu instid0(VALU_DEP_2) | instskip(NEXT) | instid1(VALU_DEP_2)
	v_add_f64_e32 v[4:5], v[4:5], v[12:13]
	v_add_f64_e32 v[6:7], v[2:3], v[140:141]
	s_delay_alu instid0(VALU_DEP_2) | instskip(NEXT) | instid1(VALU_DEP_2)
	v_add_f64_e64 v[2:3], v[178:179], -v[4:5]
	v_add_f64_e64 v[4:5], v[180:181], -v[6:7]
	scratch_store_b128 off, v[2:5], off offset:48
	s_wait_xcnt 0x0
	v_cmpx_lt_u32_e32 2, v1
	s_cbranch_execz .LBB59_369
; %bb.368:
	scratch_load_b128 v[2:5], off, s51
	v_mov_b32_e32 v10, 0
	s_delay_alu instid0(VALU_DEP_1)
	v_dual_mov_b32 v11, v10 :: v_dual_mov_b32 v12, v10
	v_mov_b32_e32 v13, v10
	scratch_store_b128 off, v[10:13], off offset:32
	s_wait_loadcnt 0x0
	ds_store_b128 v8, v[2:5]
.LBB59_369:
	s_wait_xcnt 0x0
	s_or_b32 exec_lo, exec_lo, s2
	s_wait_storecnt_dscnt 0x0
	s_barrier_signal -1
	s_barrier_wait -1
	s_clause 0x9
	scratch_load_b128 v[4:7], off, off offset:48
	scratch_load_b128 v[10:13], off, off offset:64
	;; [unrolled: 1-line block ×10, first 2 shown]
	v_mov_b32_e32 v2, 0
	s_mov_b32 s2, exec_lo
	v_dual_ashrrev_i32 v21, 31, v20 :: v_dual_ashrrev_i32 v19, 31, v18
	v_ashrrev_i32_e32 v23, 31, v22
	ds_load_b128 v[166:169], v2 offset:1008
	s_clause 0x2
	scratch_load_b128 v[170:173], off, off offset:208
	scratch_load_b128 v[174:177], off, off offset:32
	;; [unrolled: 1-line block ×3, first 2 shown]
	v_ashrrev_i32_e32 v27, 31, v26
	v_ashrrev_i32_e32 v31, 31, v30
	v_dual_ashrrev_i32 v35, 31, v34 :: v_dual_ashrrev_i32 v25, 31, v24
	v_ashrrev_i32_e32 v29, 31, v28
	v_ashrrev_i32_e32 v33, 31, v32
	v_dual_ashrrev_i32 v37, 31, v36 :: v_dual_ashrrev_i32 v39, 31, v38
	v_dual_ashrrev_i32 v43, 31, v42 :: v_dual_ashrrev_i32 v41, 31, v40
	v_ashrrev_i32_e32 v47, 31, v46
	v_ashrrev_i32_e32 v51, 31, v50
	v_dual_ashrrev_i32 v55, 31, v54 :: v_dual_ashrrev_i32 v45, 31, v44
	v_dual_ashrrev_i32 v49, 31, v48 :: v_dual_ashrrev_i32 v59, 31, v58
	;; [unrolled: 1-line block ×10, first 2 shown]
	v_ashrrev_i32_e32 v95, 31, v94
	v_dual_ashrrev_i32 v99, 31, v98 :: v_dual_ashrrev_i32 v85, 31, v84
	v_ashrrev_i32_e32 v89, 31, v88
	v_dual_ashrrev_i32 v93, 31, v92 :: v_dual_ashrrev_i32 v103, 31, v102
	v_dual_ashrrev_i32 v107, 31, v106 :: v_dual_ashrrev_i32 v97, 31, v96
	;; [unrolled: 1-line block ×3, first 2 shown]
	v_ashrrev_i32_e32 v115, 31, v114
	v_dual_ashrrev_i32 v119, 31, v118 :: v_dual_ashrrev_i32 v105, 31, v104
	v_dual_ashrrev_i32 v123, 31, v122 :: v_dual_ashrrev_i32 v109, 31, v108
	v_ashrrev_i32_e32 v127, 31, v126
	v_dual_ashrrev_i32 v131, 31, v130 :: v_dual_ashrrev_i32 v113, 31, v112
	v_ashrrev_i32_e32 v117, 31, v116
	v_ashrrev_i32_e32 v121, 31, v120
	;; [unrolled: 1-line block ×4, first 2 shown]
	s_wait_loadcnt_dscnt 0xc00
	v_dual_mul_f64 v[186:187], v[168:169], v[6:7] :: v_dual_ashrrev_i32 v133, 31, v132
	v_mul_f64_e32 v[190:191], v[166:167], v[6:7]
	ds_load_b128 v[178:181], v2 offset:1024
	v_fma_f64 v[194:195], v[166:167], v[4:5], -v[186:187]
	v_fmac_f64_e32 v[190:191], v[168:169], v[4:5]
	ds_load_b128 v[4:7], v2 offset:1040
	s_wait_loadcnt_dscnt 0xb01
	v_mul_f64_e32 v[192:193], v[178:179], v[12:13]
	v_mul_f64_e32 v[12:13], v[180:181], v[12:13]
	scratch_load_b128 v[166:169], off, off offset:240
	ds_load_b128 v[186:189], v2 offset:1056
	s_wait_loadcnt_dscnt 0xb01
	v_mul_f64_e32 v[196:197], v[4:5], v[136:137]
	v_mul_f64_e32 v[136:137], v[6:7], v[136:137]
	v_add_f64_e32 v[190:191], 0, v[190:191]
	v_fmac_f64_e32 v[192:193], v[180:181], v[10:11]
	v_fma_f64 v[178:179], v[178:179], v[10:11], -v[12:13]
	v_add_f64_e32 v[180:181], 0, v[194:195]
	scratch_load_b128 v[10:13], off, off offset:256
	v_fmac_f64_e32 v[196:197], v[6:7], v[134:135]
	v_fma_f64 v[198:199], v[4:5], v[134:135], -v[136:137]
	ds_load_b128 v[4:7], v2 offset:1072
	s_wait_loadcnt_dscnt 0xb01
	v_mul_f64_e32 v[194:195], v[186:187], v[140:141]
	v_mul_f64_e32 v[140:141], v[188:189], v[140:141]
	scratch_load_b128 v[134:137], off, off offset:272
	v_add_f64_e32 v[190:191], v[190:191], v[192:193]
	v_add_f64_e32 v[200:201], v[180:181], v[178:179]
	ds_load_b128 v[178:181], v2 offset:1088
	s_wait_loadcnt_dscnt 0xb01
	v_mul_f64_e32 v[192:193], v[4:5], v[144:145]
	v_mul_f64_e32 v[144:145], v[6:7], v[144:145]
	v_fmac_f64_e32 v[194:195], v[188:189], v[138:139]
	v_fma_f64 v[186:187], v[186:187], v[138:139], -v[140:141]
	scratch_load_b128 v[138:141], off, off offset:288
	v_add_f64_e32 v[190:191], v[190:191], v[196:197]
	v_add_f64_e32 v[188:189], v[200:201], v[198:199]
	v_fmac_f64_e32 v[192:193], v[6:7], v[142:143]
	v_fma_f64 v[198:199], v[4:5], v[142:143], -v[144:145]
	ds_load_b128 v[4:7], v2 offset:1104
	s_wait_loadcnt_dscnt 0xb01
	v_mul_f64_e32 v[196:197], v[178:179], v[148:149]
	v_mul_f64_e32 v[148:149], v[180:181], v[148:149]
	scratch_load_b128 v[142:145], off, off offset:304
	v_add_f64_e32 v[190:191], v[190:191], v[194:195]
	s_wait_loadcnt_dscnt 0xb00
	v_mul_f64_e32 v[194:195], v[4:5], v[152:153]
	v_add_f64_e32 v[200:201], v[188:189], v[186:187]
	v_mul_f64_e32 v[152:153], v[6:7], v[152:153]
	ds_load_b128 v[186:189], v2 offset:1120
	v_fmac_f64_e32 v[196:197], v[180:181], v[146:147]
	v_fma_f64 v[178:179], v[178:179], v[146:147], -v[148:149]
	scratch_load_b128 v[146:149], off, off offset:320
	v_add_f64_e32 v[190:191], v[190:191], v[192:193]
	v_fmac_f64_e32 v[194:195], v[6:7], v[150:151]
	v_add_f64_e32 v[180:181], v[200:201], v[198:199]
	v_fma_f64 v[198:199], v[4:5], v[150:151], -v[152:153]
	ds_load_b128 v[4:7], v2 offset:1136
	s_wait_loadcnt_dscnt 0xb01
	v_mul_f64_e32 v[192:193], v[186:187], v[156:157]
	v_mul_f64_e32 v[156:157], v[188:189], v[156:157]
	scratch_load_b128 v[150:153], off, off offset:336
	v_add_f64_e32 v[190:191], v[190:191], v[196:197]
	s_wait_loadcnt_dscnt 0xb00
	v_mul_f64_e32 v[196:197], v[4:5], v[160:161]
	v_add_f64_e32 v[200:201], v[180:181], v[178:179]
	v_mul_f64_e32 v[160:161], v[6:7], v[160:161]
	ds_load_b128 v[178:181], v2 offset:1152
	v_fmac_f64_e32 v[192:193], v[188:189], v[154:155]
	v_fma_f64 v[186:187], v[186:187], v[154:155], -v[156:157]
	scratch_load_b128 v[154:157], off, off offset:352
	v_add_f64_e32 v[190:191], v[190:191], v[194:195]
	v_fmac_f64_e32 v[196:197], v[6:7], v[158:159]
	v_add_f64_e32 v[188:189], v[200:201], v[198:199]
	;; [unrolled: 18-line block ×3, first 2 shown]
	v_fma_f64 v[198:199], v[4:5], v[170:171], -v[172:173]
	ds_load_b128 v[4:7], v2 offset:1200
	s_wait_loadcnt_dscnt 0xa01
	v_mul_f64_e32 v[196:197], v[186:187], v[184:185]
	v_mul_f64_e32 v[184:185], v[188:189], v[184:185]
	scratch_load_b128 v[170:173], off, off offset:400
	v_add_f64_e32 v[190:191], v[190:191], v[194:195]
	v_add_f64_e32 v[200:201], v[180:181], v[178:179]
	s_wait_loadcnt_dscnt 0xa00
	v_mul_f64_e32 v[194:195], v[4:5], v[168:169]
	v_mul_f64_e32 v[168:169], v[6:7], v[168:169]
	v_fmac_f64_e32 v[196:197], v[188:189], v[182:183]
	v_fma_f64 v[186:187], v[186:187], v[182:183], -v[184:185]
	ds_load_b128 v[178:181], v2 offset:1216
	scratch_load_b128 v[182:185], off, off offset:416
	v_add_f64_e32 v[190:191], v[190:191], v[192:193]
	v_add_f64_e32 v[188:189], v[200:201], v[198:199]
	v_fmac_f64_e32 v[194:195], v[6:7], v[166:167]
	v_fma_f64 v[198:199], v[4:5], v[166:167], -v[168:169]
	ds_load_b128 v[4:7], v2 offset:1232
	s_wait_loadcnt_dscnt 0xa01
	v_mul_f64_e32 v[192:193], v[178:179], v[12:13]
	v_mul_f64_e32 v[12:13], v[180:181], v[12:13]
	scratch_load_b128 v[166:169], off, off offset:432
	v_add_f64_e32 v[190:191], v[190:191], v[196:197]
	s_wait_loadcnt_dscnt 0xa00
	v_mul_f64_e32 v[196:197], v[4:5], v[136:137]
	v_add_f64_e32 v[200:201], v[188:189], v[186:187]
	v_mul_f64_e32 v[136:137], v[6:7], v[136:137]
	ds_load_b128 v[186:189], v2 offset:1248
	v_fmac_f64_e32 v[192:193], v[180:181], v[10:11]
	v_fma_f64 v[178:179], v[178:179], v[10:11], -v[12:13]
	scratch_load_b128 v[10:13], off, off offset:448
	v_add_f64_e32 v[190:191], v[190:191], v[194:195]
	v_fmac_f64_e32 v[196:197], v[6:7], v[134:135]
	v_add_f64_e32 v[180:181], v[200:201], v[198:199]
	v_fma_f64 v[198:199], v[4:5], v[134:135], -v[136:137]
	ds_load_b128 v[4:7], v2 offset:1264
	s_wait_loadcnt_dscnt 0xa01
	v_mul_f64_e32 v[194:195], v[186:187], v[140:141]
	v_mul_f64_e32 v[140:141], v[188:189], v[140:141]
	scratch_load_b128 v[134:137], off, off offset:464
	v_add_f64_e32 v[190:191], v[190:191], v[192:193]
	s_wait_loadcnt_dscnt 0xa00
	v_mul_f64_e32 v[192:193], v[4:5], v[144:145]
	v_add_f64_e32 v[200:201], v[180:181], v[178:179]
	v_mul_f64_e32 v[144:145], v[6:7], v[144:145]
	ds_load_b128 v[178:181], v2 offset:1280
	v_fmac_f64_e32 v[194:195], v[188:189], v[138:139]
	v_fma_f64 v[186:187], v[186:187], v[138:139], -v[140:141]
	scratch_load_b128 v[138:141], off, off offset:480
	v_add_f64_e32 v[190:191], v[190:191], v[196:197]
	v_fmac_f64_e32 v[192:193], v[6:7], v[142:143]
	v_add_f64_e32 v[188:189], v[200:201], v[198:199]
	;; [unrolled: 18-line block ×16, first 2 shown]
	v_fma_f64 v[198:199], v[4:5], v[158:159], -v[160:161]
	ds_load_b128 v[4:7], v2 offset:1744
	s_wait_loadcnt_dscnt 0xa01
	v_mul_f64_e32 v[194:195], v[178:179], v[164:165]
	v_mul_f64_e32 v[164:165], v[180:181], v[164:165]
	scratch_load_b128 v[158:161], off, off offset:944
	v_add_f64_e32 v[190:191], v[190:191], v[192:193]
	s_wait_loadcnt_dscnt 0xa00
	v_mul_f64_e32 v[192:193], v[4:5], v[172:173]
	v_add_f64_e32 v[200:201], v[188:189], v[186:187]
	v_mul_f64_e32 v[172:173], v[6:7], v[172:173]
	ds_load_b128 v[186:189], v2 offset:1760
	v_fmac_f64_e32 v[194:195], v[180:181], v[162:163]
	v_fma_f64 v[162:163], v[178:179], v[162:163], -v[164:165]
	s_wait_loadcnt_dscnt 0x900
	v_mul_f64_e32 v[180:181], v[186:187], v[184:185]
	v_mul_f64_e32 v[184:185], v[188:189], v[184:185]
	v_add_f64_e32 v[178:179], v[190:191], v[196:197]
	v_fmac_f64_e32 v[192:193], v[6:7], v[170:171]
	v_add_f64_e32 v[164:165], v[200:201], v[198:199]
	v_fma_f64 v[170:171], v[4:5], v[170:171], -v[172:173]
	v_fmac_f64_e32 v[180:181], v[188:189], v[182:183]
	v_fma_f64 v[182:183], v[186:187], v[182:183], -v[184:185]
	v_add_f64_e32 v[178:179], v[178:179], v[194:195]
	v_add_f64_e32 v[172:173], v[164:165], v[162:163]
	ds_load_b128 v[4:7], v2 offset:1776
	ds_load_b128 v[162:165], v2 offset:1792
	s_wait_loadcnt_dscnt 0x801
	v_mul_f64_e32 v[190:191], v[4:5], v[168:169]
	v_mul_f64_e32 v[168:169], v[6:7], v[168:169]
	v_add_f64_e32 v[170:171], v[172:173], v[170:171]
	v_add_f64_e32 v[172:173], v[178:179], v[192:193]
	s_wait_loadcnt_dscnt 0x700
	v_mul_f64_e32 v[178:179], v[162:163], v[12:13]
	v_mul_f64_e32 v[12:13], v[164:165], v[12:13]
	v_fmac_f64_e32 v[190:191], v[6:7], v[166:167]
	v_fma_f64 v[184:185], v[4:5], v[166:167], -v[168:169]
	ds_load_b128 v[4:7], v2 offset:1808
	ds_load_b128 v[166:169], v2 offset:1824
	v_add_f64_e32 v[170:171], v[170:171], v[182:183]
	v_add_f64_e32 v[172:173], v[172:173], v[180:181]
	v_fmac_f64_e32 v[178:179], v[164:165], v[10:11]
	v_fma_f64 v[10:11], v[162:163], v[10:11], -v[12:13]
	s_wait_loadcnt_dscnt 0x601
	v_mul_f64_e32 v[180:181], v[4:5], v[136:137]
	v_mul_f64_e32 v[136:137], v[6:7], v[136:137]
	s_wait_loadcnt_dscnt 0x500
	v_mul_f64_e32 v[164:165], v[166:167], v[140:141]
	v_mul_f64_e32 v[140:141], v[168:169], v[140:141]
	v_add_f64_e32 v[12:13], v[170:171], v[184:185]
	v_add_f64_e32 v[162:163], v[172:173], v[190:191]
	v_fmac_f64_e32 v[180:181], v[6:7], v[134:135]
	v_fma_f64 v[134:135], v[4:5], v[134:135], -v[136:137]
	v_fmac_f64_e32 v[164:165], v[168:169], v[138:139]
	v_fma_f64 v[138:139], v[166:167], v[138:139], -v[140:141]
	v_add_f64_e32 v[136:137], v[12:13], v[10:11]
	v_add_f64_e32 v[162:163], v[162:163], v[178:179]
	ds_load_b128 v[4:7], v2 offset:1840
	ds_load_b128 v[10:13], v2 offset:1856
	s_wait_loadcnt_dscnt 0x401
	v_mul_f64_e32 v[170:171], v[4:5], v[144:145]
	v_mul_f64_e32 v[144:145], v[6:7], v[144:145]
	s_wait_loadcnt_dscnt 0x300
	v_mul_f64_e32 v[140:141], v[10:11], v[148:149]
	v_mul_f64_e32 v[148:149], v[12:13], v[148:149]
	v_add_f64_e32 v[134:135], v[136:137], v[134:135]
	v_add_f64_e32 v[136:137], v[162:163], v[180:181]
	v_fmac_f64_e32 v[170:171], v[6:7], v[142:143]
	v_fma_f64 v[142:143], v[4:5], v[142:143], -v[144:145]
	v_fmac_f64_e32 v[140:141], v[12:13], v[146:147]
	v_fma_f64 v[10:11], v[10:11], v[146:147], -v[148:149]
	v_add_f64_e32 v[138:139], v[134:135], v[138:139]
	v_add_f64_e32 v[144:145], v[136:137], v[164:165]
	ds_load_b128 v[4:7], v2 offset:1872
	ds_load_b128 v[134:137], v2 offset:1888
	s_wait_loadcnt_dscnt 0x201
	v_mul_f64_e32 v[162:163], v[4:5], v[152:153]
	v_mul_f64_e32 v[152:153], v[6:7], v[152:153]
	v_add_f64_e32 v[12:13], v[138:139], v[142:143]
	v_add_f64_e32 v[138:139], v[144:145], v[170:171]
	s_wait_loadcnt_dscnt 0x100
	v_mul_f64_e32 v[142:143], v[134:135], v[156:157]
	v_mul_f64_e32 v[144:145], v[136:137], v[156:157]
	v_fmac_f64_e32 v[162:163], v[6:7], v[150:151]
	v_fma_f64 v[146:147], v[4:5], v[150:151], -v[152:153]
	ds_load_b128 v[4:7], v2 offset:1904
	v_add_f64_e32 v[10:11], v[12:13], v[10:11]
	v_add_f64_e32 v[12:13], v[138:139], v[140:141]
	v_fmac_f64_e32 v[142:143], v[136:137], v[154:155]
	v_fma_f64 v[134:135], v[134:135], v[154:155], -v[144:145]
	s_wait_loadcnt_dscnt 0x0
	v_mul_f64_e32 v[138:139], v[4:5], v[160:161]
	v_mul_f64_e32 v[140:141], v[6:7], v[160:161]
	v_add_f64_e32 v[10:11], v[10:11], v[146:147]
	v_add_f64_e32 v[12:13], v[12:13], v[162:163]
	s_delay_alu instid0(VALU_DEP_4) | instskip(NEXT) | instid1(VALU_DEP_4)
	v_fmac_f64_e32 v[138:139], v[6:7], v[158:159]
	v_fma_f64 v[4:5], v[4:5], v[158:159], -v[140:141]
	s_delay_alu instid0(VALU_DEP_4) | instskip(NEXT) | instid1(VALU_DEP_4)
	v_add_f64_e32 v[6:7], v[10:11], v[134:135]
	v_add_f64_e32 v[10:11], v[12:13], v[142:143]
	s_delay_alu instid0(VALU_DEP_2) | instskip(NEXT) | instid1(VALU_DEP_2)
	v_add_f64_e32 v[4:5], v[6:7], v[4:5]
	v_add_f64_e32 v[6:7], v[10:11], v[138:139]
	s_delay_alu instid0(VALU_DEP_2) | instskip(NEXT) | instid1(VALU_DEP_2)
	v_add_f64_e64 v[4:5], v[174:175], -v[4:5]
	v_add_f64_e64 v[6:7], v[176:177], -v[6:7]
	scratch_store_b128 off, v[4:7], off offset:32
	s_wait_xcnt 0x0
	v_cmpx_lt_u32_e32 1, v1
	s_cbranch_execz .LBB59_371
; %bb.370:
	scratch_load_b128 v[10:13], off, s52
	v_dual_mov_b32 v3, v2 :: v_dual_mov_b32 v4, v2
	v_mov_b32_e32 v5, v2
	scratch_store_b128 off, v[2:5], off offset:16
	s_wait_loadcnt 0x0
	ds_store_b128 v8, v[10:13]
.LBB59_371:
	s_wait_xcnt 0x0
	s_or_b32 exec_lo, exec_lo, s2
	s_wait_storecnt_dscnt 0x0
	s_barrier_signal -1
	s_barrier_wait -1
	s_clause 0x9
	scratch_load_b128 v[4:7], off, off offset:32
	scratch_load_b128 v[10:13], off, off offset:48
	scratch_load_b128 v[134:137], off, off offset:64
	scratch_load_b128 v[138:141], off, off offset:80
	scratch_load_b128 v[142:145], off, off offset:96
	scratch_load_b128 v[146:149], off, off offset:112
	scratch_load_b128 v[150:153], off, off offset:128
	scratch_load_b128 v[154:157], off, off offset:144
	scratch_load_b128 v[158:161], off, off offset:160
	scratch_load_b128 v[162:165], off, off offset:176
	ds_load_b128 v[166:169], v2 offset:992
	ds_load_b128 v[174:177], v2 offset:1008
	s_clause 0x2
	scratch_load_b128 v[170:173], off, off offset:192
	scratch_load_b128 v[178:181], off, off offset:16
	;; [unrolled: 1-line block ×3, first 2 shown]
	s_mov_b32 s2, exec_lo
	s_wait_loadcnt_dscnt 0xc01
	v_mul_f64_e32 v[186:187], v[168:169], v[6:7]
	v_mul_f64_e32 v[190:191], v[166:167], v[6:7]
	s_wait_loadcnt_dscnt 0xb00
	v_mul_f64_e32 v[192:193], v[174:175], v[12:13]
	v_mul_f64_e32 v[12:13], v[176:177], v[12:13]
	s_delay_alu instid0(VALU_DEP_4) | instskip(NEXT) | instid1(VALU_DEP_4)
	v_fma_f64 v[194:195], v[166:167], v[4:5], -v[186:187]
	v_fmac_f64_e32 v[190:191], v[168:169], v[4:5]
	ds_load_b128 v[4:7], v2 offset:1024
	ds_load_b128 v[166:169], v2 offset:1040
	scratch_load_b128 v[186:189], off, off offset:224
	v_fmac_f64_e32 v[192:193], v[176:177], v[10:11]
	v_fma_f64 v[174:175], v[174:175], v[10:11], -v[12:13]
	scratch_load_b128 v[10:13], off, off offset:240
	s_wait_loadcnt_dscnt 0xc01
	v_mul_f64_e32 v[196:197], v[4:5], v[136:137]
	v_mul_f64_e32 v[136:137], v[6:7], v[136:137]
	v_add_f64_e32 v[176:177], 0, v[194:195]
	v_add_f64_e32 v[190:191], 0, v[190:191]
	s_wait_loadcnt_dscnt 0xb00
	v_mul_f64_e32 v[194:195], v[166:167], v[140:141]
	v_mul_f64_e32 v[140:141], v[168:169], v[140:141]
	v_fmac_f64_e32 v[196:197], v[6:7], v[134:135]
	v_fma_f64 v[198:199], v[4:5], v[134:135], -v[136:137]
	ds_load_b128 v[4:7], v2 offset:1056
	ds_load_b128 v[134:137], v2 offset:1072
	v_add_f64_e32 v[200:201], v[176:177], v[174:175]
	v_add_f64_e32 v[190:191], v[190:191], v[192:193]
	scratch_load_b128 v[174:177], off, off offset:256
	v_fmac_f64_e32 v[194:195], v[168:169], v[138:139]
	v_fma_f64 v[166:167], v[166:167], v[138:139], -v[140:141]
	scratch_load_b128 v[138:141], off, off offset:272
	s_wait_loadcnt_dscnt 0xc01
	v_mul_f64_e32 v[192:193], v[4:5], v[144:145]
	v_mul_f64_e32 v[144:145], v[6:7], v[144:145]
	v_add_f64_e32 v[168:169], v[200:201], v[198:199]
	v_add_f64_e32 v[190:191], v[190:191], v[196:197]
	s_wait_loadcnt_dscnt 0xb00
	v_mul_f64_e32 v[196:197], v[134:135], v[148:149]
	v_mul_f64_e32 v[148:149], v[136:137], v[148:149]
	v_fmac_f64_e32 v[192:193], v[6:7], v[142:143]
	v_fma_f64 v[198:199], v[4:5], v[142:143], -v[144:145]
	ds_load_b128 v[4:7], v2 offset:1088
	ds_load_b128 v[142:145], v2 offset:1104
	v_add_f64_e32 v[200:201], v[168:169], v[166:167]
	v_add_f64_e32 v[190:191], v[190:191], v[194:195]
	scratch_load_b128 v[166:169], off, off offset:288
	s_wait_loadcnt_dscnt 0xb01
	v_mul_f64_e32 v[194:195], v[4:5], v[152:153]
	v_mul_f64_e32 v[152:153], v[6:7], v[152:153]
	v_fmac_f64_e32 v[196:197], v[136:137], v[146:147]
	v_fma_f64 v[146:147], v[134:135], v[146:147], -v[148:149]
	scratch_load_b128 v[134:137], off, off offset:304
	v_add_f64_e32 v[148:149], v[200:201], v[198:199]
	v_add_f64_e32 v[190:191], v[190:191], v[192:193]
	s_wait_loadcnt_dscnt 0xb00
	v_mul_f64_e32 v[192:193], v[142:143], v[156:157]
	v_mul_f64_e32 v[156:157], v[144:145], v[156:157]
	v_fmac_f64_e32 v[194:195], v[6:7], v[150:151]
	v_fma_f64 v[198:199], v[4:5], v[150:151], -v[152:153]
	v_add_f64_e32 v[200:201], v[148:149], v[146:147]
	v_add_f64_e32 v[190:191], v[190:191], v[196:197]
	ds_load_b128 v[4:7], v2 offset:1120
	ds_load_b128 v[146:149], v2 offset:1136
	scratch_load_b128 v[150:153], off, off offset:320
	v_fmac_f64_e32 v[192:193], v[144:145], v[154:155]
	v_fma_f64 v[154:155], v[142:143], v[154:155], -v[156:157]
	scratch_load_b128 v[142:145], off, off offset:336
	s_wait_loadcnt_dscnt 0xc01
	v_mul_f64_e32 v[196:197], v[4:5], v[160:161]
	v_mul_f64_e32 v[160:161], v[6:7], v[160:161]
	v_add_f64_e32 v[156:157], v[200:201], v[198:199]
	v_add_f64_e32 v[190:191], v[190:191], v[194:195]
	s_wait_loadcnt_dscnt 0xb00
	v_mul_f64_e32 v[194:195], v[146:147], v[164:165]
	v_mul_f64_e32 v[164:165], v[148:149], v[164:165]
	v_fmac_f64_e32 v[196:197], v[6:7], v[158:159]
	v_fma_f64 v[198:199], v[4:5], v[158:159], -v[160:161]
	v_add_f64_e32 v[200:201], v[156:157], v[154:155]
	v_add_f64_e32 v[190:191], v[190:191], v[192:193]
	ds_load_b128 v[4:7], v2 offset:1152
	ds_load_b128 v[154:157], v2 offset:1168
	scratch_load_b128 v[158:161], off, off offset:352
	v_fmac_f64_e32 v[194:195], v[148:149], v[162:163]
	v_fma_f64 v[162:163], v[146:147], v[162:163], -v[164:165]
	scratch_load_b128 v[146:149], off, off offset:368
	s_wait_loadcnt_dscnt 0xc01
	v_mul_f64_e32 v[192:193], v[4:5], v[172:173]
	v_mul_f64_e32 v[172:173], v[6:7], v[172:173]
	;; [unrolled: 18-line block ×5, first 2 shown]
	v_add_f64_e32 v[184:185], v[200:201], v[198:199]
	v_add_f64_e32 v[190:191], v[190:191], v[196:197]
	s_wait_loadcnt_dscnt 0xa00
	v_mul_f64_e32 v[196:197], v[162:163], v[136:137]
	v_mul_f64_e32 v[136:137], v[164:165], v[136:137]
	v_fmac_f64_e32 v[192:193], v[6:7], v[166:167]
	v_fma_f64 v[198:199], v[4:5], v[166:167], -v[168:169]
	ds_load_b128 v[4:7], v2 offset:1280
	ds_load_b128 v[166:169], v2 offset:1296
	v_add_f64_e32 v[200:201], v[184:185], v[182:183]
	v_add_f64_e32 v[190:191], v[190:191], v[194:195]
	scratch_load_b128 v[182:185], off, off offset:480
	v_fmac_f64_e32 v[196:197], v[164:165], v[134:135]
	v_fma_f64 v[162:163], v[162:163], v[134:135], -v[136:137]
	scratch_load_b128 v[134:137], off, off offset:496
	s_wait_loadcnt_dscnt 0xb01
	v_mul_f64_e32 v[194:195], v[4:5], v[152:153]
	v_mul_f64_e32 v[152:153], v[6:7], v[152:153]
	v_add_f64_e32 v[164:165], v[200:201], v[198:199]
	v_add_f64_e32 v[190:191], v[190:191], v[192:193]
	s_wait_loadcnt_dscnt 0xa00
	v_mul_f64_e32 v[192:193], v[166:167], v[144:145]
	v_mul_f64_e32 v[144:145], v[168:169], v[144:145]
	v_fmac_f64_e32 v[194:195], v[6:7], v[150:151]
	v_fma_f64 v[198:199], v[4:5], v[150:151], -v[152:153]
	ds_load_b128 v[4:7], v2 offset:1312
	ds_load_b128 v[150:153], v2 offset:1328
	v_add_f64_e32 v[200:201], v[164:165], v[162:163]
	v_add_f64_e32 v[190:191], v[190:191], v[196:197]
	scratch_load_b128 v[162:165], off, off offset:512
	s_wait_loadcnt_dscnt 0xa01
	v_mul_f64_e32 v[196:197], v[4:5], v[160:161]
	v_mul_f64_e32 v[160:161], v[6:7], v[160:161]
	v_fmac_f64_e32 v[192:193], v[168:169], v[142:143]
	v_fma_f64 v[166:167], v[166:167], v[142:143], -v[144:145]
	scratch_load_b128 v[142:145], off, off offset:528
	v_add_f64_e32 v[168:169], v[200:201], v[198:199]
	v_add_f64_e32 v[190:191], v[190:191], v[194:195]
	s_wait_loadcnt_dscnt 0xa00
	v_mul_f64_e32 v[194:195], v[150:151], v[148:149]
	v_mul_f64_e32 v[148:149], v[152:153], v[148:149]
	v_fmac_f64_e32 v[196:197], v[6:7], v[158:159]
	v_fma_f64 v[198:199], v[4:5], v[158:159], -v[160:161]
	ds_load_b128 v[4:7], v2 offset:1344
	ds_load_b128 v[158:161], v2 offset:1360
	v_add_f64_e32 v[200:201], v[168:169], v[166:167]
	v_add_f64_e32 v[190:191], v[190:191], v[192:193]
	scratch_load_b128 v[166:169], off, off offset:544
	s_wait_loadcnt_dscnt 0xa01
	v_mul_f64_e32 v[192:193], v[4:5], v[172:173]
	v_mul_f64_e32 v[172:173], v[6:7], v[172:173]
	v_fmac_f64_e32 v[194:195], v[152:153], v[146:147]
	v_fma_f64 v[150:151], v[150:151], v[146:147], -v[148:149]
	scratch_load_b128 v[146:149], off, off offset:560
	v_add_f64_e32 v[152:153], v[200:201], v[198:199]
	v_add_f64_e32 v[190:191], v[190:191], v[196:197]
	s_wait_loadcnt_dscnt 0xa00
	v_mul_f64_e32 v[196:197], v[158:159], v[156:157]
	v_mul_f64_e32 v[156:157], v[160:161], v[156:157]
	v_fmac_f64_e32 v[192:193], v[6:7], v[170:171]
	v_fma_f64 v[198:199], v[4:5], v[170:171], -v[172:173]
	v_add_f64_e32 v[200:201], v[152:153], v[150:151]
	v_add_f64_e32 v[190:191], v[190:191], v[194:195]
	ds_load_b128 v[4:7], v2 offset:1376
	ds_load_b128 v[150:153], v2 offset:1392
	scratch_load_b128 v[170:173], off, off offset:576
	v_fmac_f64_e32 v[196:197], v[160:161], v[154:155]
	v_fma_f64 v[158:159], v[158:159], v[154:155], -v[156:157]
	scratch_load_b128 v[154:157], off, off offset:592
	s_wait_loadcnt_dscnt 0xb01
	v_mul_f64_e32 v[194:195], v[4:5], v[188:189]
	v_mul_f64_e32 v[188:189], v[6:7], v[188:189]
	v_add_f64_e32 v[160:161], v[200:201], v[198:199]
	v_add_f64_e32 v[190:191], v[190:191], v[192:193]
	s_wait_loadcnt_dscnt 0xa00
	v_mul_f64_e32 v[192:193], v[150:151], v[12:13]
	v_mul_f64_e32 v[12:13], v[152:153], v[12:13]
	v_fmac_f64_e32 v[194:195], v[6:7], v[186:187]
	v_fma_f64 v[198:199], v[4:5], v[186:187], -v[188:189]
	v_add_f64_e32 v[200:201], v[160:161], v[158:159]
	v_add_f64_e32 v[190:191], v[190:191], v[196:197]
	ds_load_b128 v[4:7], v2 offset:1408
	ds_load_b128 v[158:161], v2 offset:1424
	scratch_load_b128 v[186:189], off, off offset:608
	v_fmac_f64_e32 v[192:193], v[152:153], v[10:11]
	v_fma_f64 v[150:151], v[150:151], v[10:11], -v[12:13]
	scratch_load_b128 v[10:13], off, off offset:624
	s_wait_loadcnt_dscnt 0xb01
	v_mul_f64_e32 v[196:197], v[4:5], v[176:177]
	v_mul_f64_e32 v[176:177], v[6:7], v[176:177]
	;; [unrolled: 18-line block ×12, first 2 shown]
	v_add_f64_e32 v[152:153], v[200:201], v[198:199]
	v_add_f64_e32 v[190:191], v[190:191], v[196:197]
	s_wait_loadcnt_dscnt 0xa00
	v_mul_f64_e32 v[196:197], v[158:159], v[156:157]
	v_mul_f64_e32 v[156:157], v[160:161], v[156:157]
	v_fmac_f64_e32 v[192:193], v[6:7], v[170:171]
	v_fma_f64 v[170:171], v[4:5], v[170:171], -v[172:173]
	v_add_f64_e32 v[172:173], v[152:153], v[150:151]
	v_add_f64_e32 v[190:191], v[190:191], v[194:195]
	ds_load_b128 v[4:7], v2 offset:1760
	ds_load_b128 v[150:153], v2 offset:1776
	v_fmac_f64_e32 v[196:197], v[160:161], v[154:155]
	v_fma_f64 v[154:155], v[158:159], v[154:155], -v[156:157]
	s_wait_loadcnt_dscnt 0x901
	v_mul_f64_e32 v[194:195], v[4:5], v[188:189]
	v_mul_f64_e32 v[188:189], v[6:7], v[188:189]
	s_wait_loadcnt_dscnt 0x800
	v_mul_f64_e32 v[160:161], v[150:151], v[12:13]
	v_mul_f64_e32 v[12:13], v[152:153], v[12:13]
	v_add_f64_e32 v[156:157], v[172:173], v[170:171]
	v_add_f64_e32 v[158:159], v[190:191], v[192:193]
	v_fmac_f64_e32 v[194:195], v[6:7], v[186:187]
	v_fma_f64 v[170:171], v[4:5], v[186:187], -v[188:189]
	v_fmac_f64_e32 v[160:161], v[152:153], v[10:11]
	v_fma_f64 v[10:11], v[150:151], v[10:11], -v[12:13]
	v_add_f64_e32 v[172:173], v[156:157], v[154:155]
	v_add_f64_e32 v[158:159], v[158:159], v[196:197]
	ds_load_b128 v[4:7], v2 offset:1792
	ds_load_b128 v[154:157], v2 offset:1808
	s_wait_loadcnt_dscnt 0x701
	v_mul_f64_e32 v[186:187], v[4:5], v[176:177]
	v_mul_f64_e32 v[176:177], v[6:7], v[176:177]
	s_wait_loadcnt_dscnt 0x600
	v_mul_f64_e32 v[152:153], v[154:155], v[140:141]
	v_mul_f64_e32 v[140:141], v[156:157], v[140:141]
	v_add_f64_e32 v[12:13], v[172:173], v[170:171]
	v_add_f64_e32 v[150:151], v[158:159], v[194:195]
	v_fmac_f64_e32 v[186:187], v[6:7], v[174:175]
	v_fma_f64 v[158:159], v[4:5], v[174:175], -v[176:177]
	v_fmac_f64_e32 v[152:153], v[156:157], v[138:139]
	v_fma_f64 v[138:139], v[154:155], v[138:139], -v[140:141]
	v_add_f64_e32 v[170:171], v[12:13], v[10:11]
	v_add_f64_e32 v[150:151], v[150:151], v[160:161]
	ds_load_b128 v[4:7], v2 offset:1824
	ds_load_b128 v[10:13], v2 offset:1840
	;; [unrolled: 16-line block ×3, first 2 shown]
	s_wait_loadcnt_dscnt 0x301
	v_mul_f64_e32 v[152:153], v[4:5], v[164:165]
	v_mul_f64_e32 v[164:165], v[6:7], v[164:165]
	v_add_f64_e32 v[12:13], v[140:141], v[158:159]
	v_add_f64_e32 v[134:135], v[150:151], v[160:161]
	s_wait_loadcnt_dscnt 0x200
	v_mul_f64_e32 v[140:141], v[136:137], v[144:145]
	v_mul_f64_e32 v[144:145], v[138:139], v[144:145]
	v_fmac_f64_e32 v[152:153], v[6:7], v[162:163]
	v_fma_f64 v[150:151], v[4:5], v[162:163], -v[164:165]
	v_add_f64_e32 v[156:157], v[12:13], v[10:11]
	v_add_f64_e32 v[134:135], v[134:135], v[154:155]
	ds_load_b128 v[4:7], v2 offset:1888
	ds_load_b128 v[10:13], v2 offset:1904
	v_fmac_f64_e32 v[140:141], v[138:139], v[142:143]
	v_fma_f64 v[136:137], v[136:137], v[142:143], -v[144:145]
	s_wait_loadcnt_dscnt 0x101
	v_mul_f64_e32 v[2:3], v[4:5], v[168:169]
	v_mul_f64_e32 v[154:155], v[6:7], v[168:169]
	s_wait_loadcnt_dscnt 0x0
	v_mul_f64_e32 v[142:143], v[10:11], v[148:149]
	v_mul_f64_e32 v[144:145], v[12:13], v[148:149]
	v_add_f64_e32 v[138:139], v[156:157], v[150:151]
	v_add_f64_e32 v[134:135], v[134:135], v[152:153]
	v_fmac_f64_e32 v[2:3], v[6:7], v[166:167]
	v_fma_f64 v[4:5], v[4:5], v[166:167], -v[154:155]
	v_fmac_f64_e32 v[142:143], v[12:13], v[146:147]
	v_fma_f64 v[10:11], v[10:11], v[146:147], -v[144:145]
	v_add_f64_e32 v[6:7], v[138:139], v[136:137]
	v_add_f64_e32 v[134:135], v[134:135], v[140:141]
	s_delay_alu instid0(VALU_DEP_2) | instskip(NEXT) | instid1(VALU_DEP_2)
	v_add_f64_e32 v[4:5], v[6:7], v[4:5]
	v_add_f64_e32 v[2:3], v[134:135], v[2:3]
	s_delay_alu instid0(VALU_DEP_2) | instskip(NEXT) | instid1(VALU_DEP_2)
	v_add_f64_e32 v[4:5], v[4:5], v[10:11]
	v_add_f64_e32 v[6:7], v[2:3], v[142:143]
	s_delay_alu instid0(VALU_DEP_2) | instskip(NEXT) | instid1(VALU_DEP_2)
	v_add_f64_e64 v[2:3], v[178:179], -v[4:5]
	v_add_f64_e64 v[4:5], v[180:181], -v[6:7]
	scratch_store_b128 off, v[2:5], off offset:16
	s_wait_xcnt 0x0
	v_cmpx_ne_u32_e32 0, v1
	s_cbranch_execz .LBB59_373
; %bb.372:
	scratch_load_b128 v[2:5], off, off
	v_mov_b32_e32 v10, 0
	s_delay_alu instid0(VALU_DEP_1)
	v_dual_mov_b32 v11, v10 :: v_dual_mov_b32 v12, v10
	v_mov_b32_e32 v13, v10
	scratch_store_b128 off, v[10:13], off
	s_wait_loadcnt 0x0
	ds_store_b128 v8, v[2:5]
.LBB59_373:
	s_wait_xcnt 0x0
	s_or_b32 exec_lo, exec_lo, s2
	s_wait_storecnt_dscnt 0x0
	s_barrier_signal -1
	s_barrier_wait -1
	s_clause 0x9
	scratch_load_b128 v[2:5], off, off offset:16
	scratch_load_b128 v[6:9], off, off offset:32
	;; [unrolled: 1-line block ×10, first 2 shown]
	v_mov_b32_e32 v164, 0
	s_and_b32 vcc_lo, exec_lo, s72
	ds_load_b128 v[166:169], v164 offset:976
	s_clause 0x2
	scratch_load_b128 v[170:173], off, off offset:176
	scratch_load_b128 v[174:177], off, off
	scratch_load_b128 v[182:185], off, off offset:192
	s_wait_loadcnt_dscnt 0xc00
	v_mul_f64_e32 v[162:163], v[168:169], v[4:5]
	v_mul_f64_e32 v[190:191], v[166:167], v[4:5]
	ds_load_b128 v[178:181], v164 offset:992
	ds_load_b128 v[186:189], v164 offset:1024
	v_fma_f64 v[162:163], v[166:167], v[2:3], -v[162:163]
	v_fmac_f64_e32 v[190:191], v[168:169], v[2:3]
	ds_load_b128 v[2:5], v164 offset:1008
	s_wait_loadcnt_dscnt 0xb02
	v_mul_f64_e32 v[192:193], v[178:179], v[8:9]
	v_mul_f64_e32 v[8:9], v[180:181], v[8:9]
	scratch_load_b128 v[166:169], off, off offset:208
	s_wait_loadcnt_dscnt 0xb00
	v_mul_f64_e32 v[194:195], v[2:3], v[12:13]
	v_mul_f64_e32 v[12:13], v[4:5], v[12:13]
	v_add_f64_e32 v[162:163], 0, v[162:163]
	v_fmac_f64_e32 v[192:193], v[180:181], v[6:7]
	v_fma_f64 v[178:179], v[178:179], v[6:7], -v[8:9]
	v_add_f64_e32 v[180:181], 0, v[190:191]
	scratch_load_b128 v[6:9], off, off offset:224
	v_fmac_f64_e32 v[194:195], v[4:5], v[10:11]
	v_fma_f64 v[196:197], v[2:3], v[10:11], -v[12:13]
	ds_load_b128 v[2:5], v164 offset:1040
	s_wait_loadcnt 0xb
	v_mul_f64_e32 v[190:191], v[186:187], v[136:137]
	v_mul_f64_e32 v[136:137], v[188:189], v[136:137]
	scratch_load_b128 v[10:13], off, off offset:240
	v_add_f64_e32 v[162:163], v[162:163], v[178:179]
	v_add_f64_e32 v[192:193], v[180:181], v[192:193]
	ds_load_b128 v[178:181], v164 offset:1056
	s_wait_loadcnt_dscnt 0xb01
	v_mul_f64_e32 v[198:199], v[2:3], v[140:141]
	v_mul_f64_e32 v[140:141], v[4:5], v[140:141]
	v_fmac_f64_e32 v[190:191], v[188:189], v[134:135]
	v_fma_f64 v[186:187], v[186:187], v[134:135], -v[136:137]
	scratch_load_b128 v[134:137], off, off offset:256
	v_add_f64_e32 v[162:163], v[162:163], v[196:197]
	v_add_f64_e32 v[188:189], v[192:193], v[194:195]
	v_fmac_f64_e32 v[198:199], v[4:5], v[138:139]
	v_fma_f64 v[194:195], v[2:3], v[138:139], -v[140:141]
	ds_load_b128 v[2:5], v164 offset:1072
	s_wait_loadcnt_dscnt 0xb01
	v_mul_f64_e32 v[192:193], v[178:179], v[144:145]
	v_mul_f64_e32 v[144:145], v[180:181], v[144:145]
	scratch_load_b128 v[138:141], off, off offset:272
	s_wait_loadcnt_dscnt 0xb00
	v_mul_f64_e32 v[196:197], v[2:3], v[148:149]
	v_mul_f64_e32 v[148:149], v[4:5], v[148:149]
	v_add_f64_e32 v[162:163], v[162:163], v[186:187]
	v_add_f64_e32 v[190:191], v[188:189], v[190:191]
	ds_load_b128 v[186:189], v164 offset:1088
	v_fmac_f64_e32 v[192:193], v[180:181], v[142:143]
	v_fma_f64 v[178:179], v[178:179], v[142:143], -v[144:145]
	scratch_load_b128 v[142:145], off, off offset:288
	v_fmac_f64_e32 v[196:197], v[4:5], v[146:147]
	v_add_f64_e32 v[162:163], v[162:163], v[194:195]
	v_add_f64_e32 v[180:181], v[190:191], v[198:199]
	v_fma_f64 v[194:195], v[2:3], v[146:147], -v[148:149]
	ds_load_b128 v[2:5], v164 offset:1104
	s_wait_loadcnt_dscnt 0xb01
	v_mul_f64_e32 v[190:191], v[186:187], v[152:153]
	v_mul_f64_e32 v[152:153], v[188:189], v[152:153]
	scratch_load_b128 v[146:149], off, off offset:304
	s_wait_loadcnt_dscnt 0xb00
	v_mul_f64_e32 v[198:199], v[2:3], v[156:157]
	v_mul_f64_e32 v[156:157], v[4:5], v[156:157]
	v_add_f64_e32 v[162:163], v[162:163], v[178:179]
	v_add_f64_e32 v[192:193], v[180:181], v[192:193]
	ds_load_b128 v[178:181], v164 offset:1120
	v_fmac_f64_e32 v[190:191], v[188:189], v[150:151]
	v_fma_f64 v[186:187], v[186:187], v[150:151], -v[152:153]
	scratch_load_b128 v[150:153], off, off offset:320
	v_fmac_f64_e32 v[198:199], v[4:5], v[154:155]
	v_add_f64_e32 v[162:163], v[162:163], v[194:195]
	v_add_f64_e32 v[188:189], v[192:193], v[196:197]
	v_fma_f64 v[196:197], v[2:3], v[154:155], -v[156:157]
	ds_load_b128 v[2:5], v164 offset:1136
	s_wait_loadcnt_dscnt 0xb01
	v_mul_f64_e32 v[192:193], v[178:179], v[160:161]
	v_mul_f64_e32 v[194:195], v[180:181], v[160:161]
	scratch_load_b128 v[154:157], off, off offset:336
	v_add_f64_e32 v[186:187], v[162:163], v[186:187]
	v_add_f64_e32 v[188:189], v[188:189], v[190:191]
	s_wait_loadcnt_dscnt 0xb00
	v_mul_f64_e32 v[190:191], v[2:3], v[172:173]
	v_mul_f64_e32 v[172:173], v[4:5], v[172:173]
	v_fmac_f64_e32 v[192:193], v[180:181], v[158:159]
	v_fma_f64 v[158:159], v[178:179], v[158:159], -v[194:195]
	ds_load_b128 v[160:163], v164 offset:1152
	scratch_load_b128 v[178:181], off, off offset:352
	v_add_f64_e32 v[186:187], v[186:187], v[196:197]
	v_add_f64_e32 v[188:189], v[188:189], v[198:199]
	v_fmac_f64_e32 v[190:191], v[4:5], v[170:171]
	v_fma_f64 v[198:199], v[2:3], v[170:171], -v[172:173]
	ds_load_b128 v[2:5], v164 offset:1168
	s_wait_loadcnt_dscnt 0xa01
	v_mul_f64_e32 v[194:195], v[160:161], v[184:185]
	v_mul_f64_e32 v[196:197], v[162:163], v[184:185]
	scratch_load_b128 v[170:173], off, off offset:368
	v_add_f64_e32 v[158:159], v[186:187], v[158:159]
	v_add_f64_e32 v[188:189], v[188:189], v[192:193]
	s_wait_loadcnt_dscnt 0xa00
	v_mul_f64_e32 v[192:193], v[2:3], v[168:169]
	v_mul_f64_e32 v[168:169], v[4:5], v[168:169]
	ds_load_b128 v[184:187], v164 offset:1184
	v_fmac_f64_e32 v[194:195], v[162:163], v[182:183]
	v_fma_f64 v[162:163], v[160:161], v[182:183], -v[196:197]
	v_add_f64_e32 v[182:183], v[158:159], v[198:199]
	v_add_f64_e32 v[188:189], v[188:189], v[190:191]
	scratch_load_b128 v[158:161], off, off offset:384
	v_fmac_f64_e32 v[192:193], v[4:5], v[166:167]
	v_fma_f64 v[198:199], v[2:3], v[166:167], -v[168:169]
	ds_load_b128 v[2:5], v164 offset:1200
	s_wait_loadcnt_dscnt 0xa01
	v_mul_f64_e32 v[196:197], v[184:185], v[8:9]
	v_mul_f64_e32 v[8:9], v[186:187], v[8:9]
	scratch_load_b128 v[166:169], off, off offset:400
	v_add_f64_e32 v[162:163], v[182:183], v[162:163]
	v_add_f64_e32 v[182:183], v[188:189], v[194:195]
	s_wait_loadcnt_dscnt 0xa00
	v_mul_f64_e32 v[194:195], v[2:3], v[12:13]
	v_mul_f64_e32 v[12:13], v[4:5], v[12:13]
	ds_load_b128 v[188:191], v164 offset:1216
	v_fmac_f64_e32 v[196:197], v[186:187], v[6:7]
	v_fma_f64 v[184:185], v[184:185], v[6:7], -v[8:9]
	scratch_load_b128 v[6:9], off, off offset:416
	v_add_f64_e32 v[162:163], v[162:163], v[198:199]
	v_add_f64_e32 v[182:183], v[182:183], v[192:193]
	v_fmac_f64_e32 v[194:195], v[4:5], v[10:11]
	v_fma_f64 v[192:193], v[2:3], v[10:11], -v[12:13]
	ds_load_b128 v[2:5], v164 offset:1232
	s_wait_loadcnt_dscnt 0xa01
	v_mul_f64_e32 v[186:187], v[188:189], v[136:137]
	v_mul_f64_e32 v[136:137], v[190:191], v[136:137]
	scratch_load_b128 v[10:13], off, off offset:432
	s_wait_loadcnt_dscnt 0xa00
	v_mul_f64_e32 v[198:199], v[2:3], v[140:141]
	v_mul_f64_e32 v[140:141], v[4:5], v[140:141]
	v_add_f64_e32 v[162:163], v[162:163], v[184:185]
	v_add_f64_e32 v[196:197], v[182:183], v[196:197]
	ds_load_b128 v[182:185], v164 offset:1248
	v_fmac_f64_e32 v[186:187], v[190:191], v[134:135]
	v_fma_f64 v[188:189], v[188:189], v[134:135], -v[136:137]
	scratch_load_b128 v[134:137], off, off offset:448
	v_fmac_f64_e32 v[198:199], v[4:5], v[138:139]
	v_add_f64_e32 v[162:163], v[162:163], v[192:193]
	v_add_f64_e32 v[190:191], v[196:197], v[194:195]
	v_fma_f64 v[194:195], v[2:3], v[138:139], -v[140:141]
	ds_load_b128 v[2:5], v164 offset:1264
	s_wait_loadcnt_dscnt 0xa01
	v_mul_f64_e32 v[192:193], v[182:183], v[144:145]
	v_mul_f64_e32 v[144:145], v[184:185], v[144:145]
	scratch_load_b128 v[138:141], off, off offset:464
	s_wait_loadcnt_dscnt 0xa00
	v_mul_f64_e32 v[196:197], v[2:3], v[148:149]
	v_mul_f64_e32 v[148:149], v[4:5], v[148:149]
	v_add_f64_e32 v[162:163], v[162:163], v[188:189]
	v_add_f64_e32 v[190:191], v[190:191], v[186:187]
	ds_load_b128 v[186:189], v164 offset:1280
	v_fmac_f64_e32 v[192:193], v[184:185], v[142:143]
	v_fma_f64 v[182:183], v[182:183], v[142:143], -v[144:145]
	scratch_load_b128 v[142:145], off, off offset:480
	v_fmac_f64_e32 v[196:197], v[4:5], v[146:147]
	v_add_f64_e32 v[162:163], v[162:163], v[194:195]
	v_add_f64_e32 v[184:185], v[190:191], v[198:199]
	;; [unrolled: 18-line block ×4, first 2 shown]
	v_fma_f64 v[198:199], v[2:3], v[170:171], -v[172:173]
	ds_load_b128 v[2:5], v164 offset:1360
	s_wait_loadcnt_dscnt 0xa01
	v_mul_f64_e32 v[190:191], v[186:187], v[160:161]
	v_mul_f64_e32 v[194:195], v[188:189], v[160:161]
	ds_load_b128 v[170:173], v164 offset:1376
	v_add_f64_e32 v[182:183], v[162:163], v[182:183]
	v_add_f64_e32 v[184:185], v[184:185], v[192:193]
	scratch_load_b128 v[160:163], off, off offset:560
	s_wait_loadcnt_dscnt 0xa01
	v_mul_f64_e32 v[192:193], v[2:3], v[168:169]
	v_mul_f64_e32 v[168:169], v[4:5], v[168:169]
	v_fmac_f64_e32 v[190:191], v[188:189], v[158:159]
	v_fma_f64 v[158:159], v[186:187], v[158:159], -v[194:195]
	v_add_f64_e32 v[186:187], v[182:183], v[198:199]
	v_add_f64_e32 v[188:189], v[184:185], v[196:197]
	scratch_load_b128 v[182:185], off, off offset:576
	v_fmac_f64_e32 v[192:193], v[4:5], v[166:167]
	v_fma_f64 v[196:197], v[2:3], v[166:167], -v[168:169]
	ds_load_b128 v[2:5], v164 offset:1392
	s_wait_loadcnt_dscnt 0xa01
	v_mul_f64_e32 v[194:195], v[170:171], v[8:9]
	v_mul_f64_e32 v[8:9], v[172:173], v[8:9]
	scratch_load_b128 v[166:169], off, off offset:592
	s_wait_loadcnt_dscnt 0xa00
	v_mul_f64_e32 v[198:199], v[2:3], v[12:13]
	v_mul_f64_e32 v[12:13], v[4:5], v[12:13]
	v_add_f64_e32 v[158:159], v[186:187], v[158:159]
	v_add_f64_e32 v[190:191], v[188:189], v[190:191]
	ds_load_b128 v[186:189], v164 offset:1408
	v_fmac_f64_e32 v[194:195], v[172:173], v[6:7]
	v_fma_f64 v[170:171], v[170:171], v[6:7], -v[8:9]
	scratch_load_b128 v[6:9], off, off offset:608
	v_fmac_f64_e32 v[198:199], v[4:5], v[10:11]
	v_add_f64_e32 v[158:159], v[158:159], v[196:197]
	v_add_f64_e32 v[172:173], v[190:191], v[192:193]
	v_fma_f64 v[192:193], v[2:3], v[10:11], -v[12:13]
	ds_load_b128 v[2:5], v164 offset:1424
	s_wait_loadcnt_dscnt 0xa01
	v_mul_f64_e32 v[190:191], v[186:187], v[136:137]
	v_mul_f64_e32 v[136:137], v[188:189], v[136:137]
	scratch_load_b128 v[10:13], off, off offset:624
	s_wait_loadcnt_dscnt 0xa00
	v_mul_f64_e32 v[196:197], v[2:3], v[140:141]
	v_mul_f64_e32 v[140:141], v[4:5], v[140:141]
	v_add_f64_e32 v[158:159], v[158:159], v[170:171]
	v_add_f64_e32 v[194:195], v[172:173], v[194:195]
	ds_load_b128 v[170:173], v164 offset:1440
	v_fmac_f64_e32 v[190:191], v[188:189], v[134:135]
	v_fma_f64 v[186:187], v[186:187], v[134:135], -v[136:137]
	scratch_load_b128 v[134:137], off, off offset:640
	v_fmac_f64_e32 v[196:197], v[4:5], v[138:139]
	v_add_f64_e32 v[158:159], v[158:159], v[192:193]
	v_add_f64_e32 v[188:189], v[194:195], v[198:199]
	;; [unrolled: 18-line block ×4, first 2 shown]
	v_fma_f64 v[194:195], v[2:3], v[154:155], -v[156:157]
	ds_load_b128 v[2:5], v164 offset:1520
	s_wait_loadcnt_dscnt 0xa01
	v_mul_f64_e32 v[192:193], v[170:171], v[180:181]
	v_mul_f64_e32 v[180:181], v[172:173], v[180:181]
	scratch_load_b128 v[154:157], off, off offset:720
	v_add_f64_e32 v[158:159], v[158:159], v[186:187]
	v_add_f64_e32 v[190:191], v[188:189], v[190:191]
	s_wait_loadcnt_dscnt 0xa00
	v_mul_f64_e32 v[198:199], v[2:3], v[162:163]
	v_mul_f64_e32 v[162:163], v[4:5], v[162:163]
	v_fmac_f64_e32 v[192:193], v[172:173], v[178:179]
	v_fma_f64 v[178:179], v[170:171], v[178:179], -v[180:181]
	ds_load_b128 v[186:189], v164 offset:1536
	scratch_load_b128 v[170:173], off, off offset:736
	v_add_f64_e32 v[158:159], v[158:159], v[194:195]
	v_add_f64_e32 v[180:181], v[190:191], v[196:197]
	v_fmac_f64_e32 v[198:199], v[4:5], v[160:161]
	v_fma_f64 v[162:163], v[2:3], v[160:161], -v[162:163]
	ds_load_b128 v[2:5], v164 offset:1552
	s_wait_loadcnt_dscnt 0xa01
	v_mul_f64_e32 v[190:191], v[186:187], v[184:185]
	v_mul_f64_e32 v[184:185], v[188:189], v[184:185]
	s_wait_loadcnt_dscnt 0x900
	v_mul_f64_e32 v[196:197], v[2:3], v[168:169]
	v_mul_f64_e32 v[168:169], v[4:5], v[168:169]
	v_add_f64_e32 v[194:195], v[158:159], v[178:179]
	v_add_f64_e32 v[192:193], v[180:181], v[192:193]
	scratch_load_b128 v[158:161], off, off offset:752
	ds_load_b128 v[178:181], v164 offset:1568
	v_fmac_f64_e32 v[190:191], v[188:189], v[182:183]
	v_fma_f64 v[186:187], v[186:187], v[182:183], -v[184:185]
	scratch_load_b128 v[182:185], off, off offset:768
	v_fmac_f64_e32 v[196:197], v[4:5], v[166:167]
	v_add_f64_e32 v[162:163], v[194:195], v[162:163]
	v_add_f64_e32 v[188:189], v[192:193], v[198:199]
	v_fma_f64 v[194:195], v[2:3], v[166:167], -v[168:169]
	ds_load_b128 v[2:5], v164 offset:1584
	s_wait_loadcnt_dscnt 0xa01
	v_mul_f64_e32 v[192:193], v[178:179], v[8:9]
	v_mul_f64_e32 v[8:9], v[180:181], v[8:9]
	scratch_load_b128 v[166:169], off, off offset:784
	s_wait_loadcnt_dscnt 0xa00
	v_mul_f64_e32 v[198:199], v[2:3], v[12:13]
	v_mul_f64_e32 v[12:13], v[4:5], v[12:13]
	v_add_f64_e32 v[162:163], v[162:163], v[186:187]
	v_add_f64_e32 v[190:191], v[188:189], v[190:191]
	ds_load_b128 v[186:189], v164 offset:1600
	v_fmac_f64_e32 v[192:193], v[180:181], v[6:7]
	v_fma_f64 v[178:179], v[178:179], v[6:7], -v[8:9]
	scratch_load_b128 v[6:9], off, off offset:800
	v_fmac_f64_e32 v[198:199], v[4:5], v[10:11]
	v_add_f64_e32 v[162:163], v[162:163], v[194:195]
	v_add_f64_e32 v[180:181], v[190:191], v[196:197]
	v_fma_f64 v[194:195], v[2:3], v[10:11], -v[12:13]
	ds_load_b128 v[2:5], v164 offset:1616
	s_wait_loadcnt_dscnt 0xa01
	v_mul_f64_e32 v[190:191], v[186:187], v[136:137]
	v_mul_f64_e32 v[136:137], v[188:189], v[136:137]
	scratch_load_b128 v[10:13], off, off offset:816
	s_wait_loadcnt_dscnt 0xa00
	v_mul_f64_e32 v[196:197], v[2:3], v[140:141]
	v_mul_f64_e32 v[140:141], v[4:5], v[140:141]
	v_add_f64_e32 v[162:163], v[162:163], v[178:179]
	v_add_f64_e32 v[192:193], v[180:181], v[192:193]
	;; [unrolled: 18-line block ×4, first 2 shown]
	ds_load_b128 v[178:181], v164 offset:1696
	v_fmac_f64_e32 v[190:191], v[188:189], v[150:151]
	v_fma_f64 v[186:187], v[186:187], v[150:151], -v[152:153]
	scratch_load_b128 v[150:153], off, off offset:896
	v_fmac_f64_e32 v[196:197], v[4:5], v[154:155]
	v_add_f64_e32 v[162:163], v[162:163], v[194:195]
	v_add_f64_e32 v[188:189], v[192:193], v[198:199]
	v_fma_f64 v[194:195], v[2:3], v[154:155], -v[156:157]
	ds_load_b128 v[2:5], v164 offset:1712
	s_wait_loadcnt_dscnt 0xa01
	v_mul_f64_e32 v[192:193], v[178:179], v[172:173]
	v_mul_f64_e32 v[172:173], v[180:181], v[172:173]
	scratch_load_b128 v[154:157], off, off offset:912
	v_add_f64_e32 v[162:163], v[162:163], v[186:187]
	v_add_f64_e32 v[190:191], v[188:189], v[190:191]
	s_wait_loadcnt_dscnt 0xa00
	v_mul_f64_e32 v[198:199], v[2:3], v[160:161]
	v_mul_f64_e32 v[200:201], v[4:5], v[160:161]
	v_fmac_f64_e32 v[192:193], v[180:181], v[170:171]
	v_fma_f64 v[170:171], v[178:179], v[170:171], -v[172:173]
	ds_load_b128 v[186:189], v164 offset:1728
	v_add_f64_e32 v[172:173], v[162:163], v[194:195]
	v_add_f64_e32 v[178:179], v[190:191], v[196:197]
	scratch_load_b128 v[160:163], off, off offset:928
	v_fmac_f64_e32 v[198:199], v[4:5], v[158:159]
	v_fma_f64 v[158:159], v[2:3], v[158:159], -v[200:201]
	ds_load_b128 v[2:5], v164 offset:1744
	s_wait_loadcnt_dscnt 0xa01
	v_mul_f64_e32 v[190:191], v[186:187], v[184:185]
	v_mul_f64_e32 v[184:185], v[188:189], v[184:185]
	s_wait_loadcnt_dscnt 0x900
	v_mul_f64_e32 v[196:197], v[2:3], v[168:169]
	v_mul_f64_e32 v[168:169], v[4:5], v[168:169]
	v_add_f64_e32 v[194:195], v[172:173], v[170:171]
	v_add_f64_e32 v[192:193], v[178:179], v[192:193]
	scratch_load_b128 v[170:173], off, off offset:944
	ds_load_b128 v[178:181], v164 offset:1760
	v_fmac_f64_e32 v[190:191], v[188:189], v[182:183]
	v_fma_f64 v[182:183], v[186:187], v[182:183], -v[184:185]
	s_wait_loadcnt_dscnt 0x900
	v_mul_f64_e32 v[186:187], v[178:179], v[8:9]
	v_mul_f64_e32 v[8:9], v[180:181], v[8:9]
	v_fmac_f64_e32 v[196:197], v[4:5], v[166:167]
	v_fma_f64 v[188:189], v[2:3], v[166:167], -v[168:169]
	ds_load_b128 v[2:5], v164 offset:1776
	ds_load_b128 v[166:169], v164 offset:1792
	v_add_f64_e32 v[158:159], v[194:195], v[158:159]
	v_add_f64_e32 v[184:185], v[192:193], v[198:199]
	v_fmac_f64_e32 v[186:187], v[180:181], v[6:7]
	v_fma_f64 v[6:7], v[178:179], v[6:7], -v[8:9]
	s_delay_alu instid0(VALU_DEP_4) | instskip(NEXT) | instid1(VALU_DEP_4)
	v_add_f64_e32 v[158:159], v[158:159], v[182:183]
	v_add_f64_e32 v[182:183], v[184:185], v[190:191]
	s_wait_loadcnt_dscnt 0x801
	v_mul_f64_e32 v[184:185], v[2:3], v[12:13]
	v_mul_f64_e32 v[12:13], v[4:5], v[12:13]
	s_wait_loadcnt_dscnt 0x700
	v_mul_f64_e32 v[178:179], v[166:167], v[136:137]
	v_mul_f64_e32 v[136:137], v[168:169], v[136:137]
	v_add_f64_e32 v[8:9], v[158:159], v[188:189]
	v_add_f64_e32 v[158:159], v[182:183], v[196:197]
	v_fmac_f64_e32 v[184:185], v[4:5], v[10:11]
	v_fma_f64 v[10:11], v[2:3], v[10:11], -v[12:13]
	v_fmac_f64_e32 v[178:179], v[168:169], v[134:135]
	v_fma_f64 v[134:135], v[166:167], v[134:135], -v[136:137]
	v_add_f64_e32 v[12:13], v[8:9], v[6:7]
	v_add_f64_e32 v[158:159], v[158:159], v[186:187]
	ds_load_b128 v[2:5], v164 offset:1808
	ds_load_b128 v[6:9], v164 offset:1824
	s_wait_loadcnt_dscnt 0x601
	v_mul_f64_e32 v[180:181], v[2:3], v[140:141]
	v_mul_f64_e32 v[140:141], v[4:5], v[140:141]
	s_wait_loadcnt_dscnt 0x500
	v_mul_f64_e32 v[136:137], v[6:7], v[144:145]
	v_mul_f64_e32 v[144:145], v[8:9], v[144:145]
	v_add_f64_e32 v[10:11], v[12:13], v[10:11]
	v_add_f64_e32 v[12:13], v[158:159], v[184:185]
	v_fmac_f64_e32 v[180:181], v[4:5], v[138:139]
	v_fma_f64 v[138:139], v[2:3], v[138:139], -v[140:141]
	v_fmac_f64_e32 v[136:137], v[8:9], v[142:143]
	v_fma_f64 v[6:7], v[6:7], v[142:143], -v[144:145]
	v_add_f64_e32 v[134:135], v[10:11], v[134:135]
	v_add_f64_e32 v[140:141], v[12:13], v[178:179]
	ds_load_b128 v[2:5], v164 offset:1840
	ds_load_b128 v[10:13], v164 offset:1856
	s_wait_loadcnt_dscnt 0x401
	v_mul_f64_e32 v[158:159], v[2:3], v[148:149]
	v_mul_f64_e32 v[148:149], v[4:5], v[148:149]
	v_add_f64_e32 v[8:9], v[134:135], v[138:139]
	v_add_f64_e32 v[134:135], v[140:141], v[180:181]
	s_wait_loadcnt_dscnt 0x300
	v_mul_f64_e32 v[138:139], v[10:11], v[152:153]
	v_mul_f64_e32 v[140:141], v[12:13], v[152:153]
	v_lshl_add_u64 v[152:153], v[26:27], 4, s[4:5]
	v_lshl_add_u64 v[26:27], v[70:71], 4, s[4:5]
	;; [unrolled: 1-line block ×3, first 2 shown]
	v_fmac_f64_e32 v[158:159], v[4:5], v[146:147]
	v_fma_f64 v[142:143], v[2:3], v[146:147], -v[148:149]
	v_lshl_add_u64 v[148:149], v[32:33], 4, s[4:5]
	v_lshl_add_u64 v[32:33], v[74:75], 4, s[4:5]
	;; [unrolled: 1-line block ×3, first 2 shown]
	v_add_f64_e32 v[144:145], v[8:9], v[6:7]
	v_add_f64_e32 v[134:135], v[134:135], v[136:137]
	ds_load_b128 v[2:5], v164 offset:1872
	ds_load_b128 v[6:9], v164 offset:1888
	v_fmac_f64_e32 v[138:139], v[12:13], v[150:151]
	v_fma_f64 v[10:11], v[10:11], v[150:151], -v[140:141]
	v_lshl_add_u64 v[150:151], v[30:31], 4, s[4:5]
	v_lshl_add_u64 v[30:31], v[48:49], 4, s[4:5]
	;; [unrolled: 1-line block ×4, first 2 shown]
	s_wait_loadcnt_dscnt 0x201
	v_mul_f64_e32 v[136:137], v[2:3], v[156:157]
	v_mul_f64_e32 v[146:147], v[4:5], v[156:157]
	v_lshl_add_u64 v[156:157], v[24:25], 4, s[4:5]
	v_lshl_add_u64 v[24:25], v[68:69], 4, s[4:5]
	;; [unrolled: 1-line block ×3, first 2 shown]
	v_add_f64_e32 v[12:13], v[144:145], v[142:143]
	v_add_f64_e32 v[134:135], v[134:135], v[158:159]
	s_wait_loadcnt_dscnt 0x100
	v_mul_f64_e32 v[140:141], v[6:7], v[162:163]
	v_mul_f64_e32 v[142:143], v[8:9], v[162:163]
	v_lshl_add_u64 v[162:163], v[20:21], 4, s[4:5]
	v_lshl_add_u64 v[158:159], v[22:23], 4, s[4:5]
	;; [unrolled: 1-line block ×6, first 2 shown]
	v_fmac_f64_e32 v[136:137], v[4:5], v[154:155]
	v_fma_f64 v[144:145], v[2:3], v[154:155], -v[146:147]
	ds_load_b128 v[2:5], v164 offset:1904
	v_lshl_add_u64 v[154:155], v[28:29], 4, s[4:5]
	v_lshl_add_u64 v[146:147], v[36:37], 4, s[4:5]
	;; [unrolled: 1-line block ×6, first 2 shown]
	v_add_f64_e32 v[10:11], v[12:13], v[10:11]
	v_add_f64_e32 v[12:13], v[134:135], v[138:139]
	v_fmac_f64_e32 v[140:141], v[8:9], v[160:161]
	v_fma_f64 v[6:7], v[6:7], v[160:161], -v[142:143]
	v_lshl_add_u64 v[160:161], v[18:19], 4, s[4:5]
	v_lshl_add_u64 v[142:143], v[38:39], 4, s[4:5]
	;; [unrolled: 1-line block ×6, first 2 shown]
	s_wait_loadcnt_dscnt 0x0
	v_mul_f64_e32 v[134:135], v[2:3], v[172:173]
	v_mul_f64_e32 v[138:139], v[4:5], v[172:173]
	v_add_f64_e32 v[8:9], v[10:11], v[144:145]
	v_add_f64_e32 v[10:11], v[12:13], v[136:137]
	v_lshl_add_u64 v[144:145], v[34:35], 4, s[4:5]
	v_lshl_add_u64 v[136:137], v[42:43], 4, s[4:5]
	;; [unrolled: 1-line block ×8, first 2 shown]
	v_fmac_f64_e32 v[134:135], v[4:5], v[170:171]
	v_fma_f64 v[2:3], v[2:3], v[170:171], -v[138:139]
	v_lshl_add_u64 v[138:139], v[44:45], 4, s[4:5]
	v_lshl_add_u64 v[44:45], v[86:87], 4, s[4:5]
	;; [unrolled: 1-line block ×3, first 2 shown]
	v_add_f64_e32 v[4:5], v[8:9], v[6:7]
	v_add_f64_e32 v[6:7], v[10:11], v[140:141]
	v_lshl_add_u64 v[140:141], v[40:41], 4, s[4:5]
	v_lshl_add_u64 v[8:9], v[56:57], 4, s[4:5]
	;; [unrolled: 1-line block ×7, first 2 shown]
	v_add_f64_e32 v[166:167], v[4:5], v[2:3]
	v_add_f64_e32 v[168:169], v[6:7], v[134:135]
	v_lshl_add_u64 v[134:135], v[46:47], 4, s[4:5]
	v_lshl_add_u64 v[2:3], v[50:51], 4, s[4:5]
	;; [unrolled: 1-line block ×9, first 2 shown]
	v_add_f64_e64 v[166:167], v[174:175], -v[166:167]
	v_add_f64_e64 v[168:169], v[176:177], -v[168:169]
	scratch_store_b128 off, v[166:169], off
	s_cbranch_vccz .LBB59_492
; %bb.374:
	global_load_b32 v92, v164, s[16:17] offset:232
	s_load_b64 s[2:3], s[0:1], 0x4
	v_bfe_u32 v93, v0, 10, 10
	v_bfe_u32 v0, v0, 20, 10
	s_wait_kmcnt 0x0
	s_lshr_b32 s0, s2, 16
	s_delay_alu instid0(VALU_DEP_2) | instskip(SKIP_1) | instid1(SALU_CYCLE_1)
	v_mul_u32_u24_e32 v93, s3, v93
	s_mul_i32 s0, s0, s3
	v_mul_u32_u24_e32 v1, s0, v1
	s_delay_alu instid0(VALU_DEP_1) | instskip(NEXT) | instid1(VALU_DEP_1)
	v_add3_u32 v0, v1, v93, v0
	v_lshl_add_u32 v0, v0, 4, 0x788
	s_wait_loadcnt 0x0
	v_cmp_ne_u32_e32 vcc_lo, 59, v92
	s_cbranch_vccz .LBB59_376
; %bb.375:
	v_lshlrev_b32_e32 v1, 4, v92
	s_clause 0x1
	scratch_load_b128 v[92:95], off, s27
	scratch_load_b128 v[96:99], v1, off offset:-16
	s_wait_loadcnt 0x1
	ds_store_2addr_b64 v0, v[92:93], v[94:95] offset1:1
	s_wait_loadcnt 0x0
	s_clause 0x1
	scratch_store_b128 off, v[96:99], s27
	scratch_store_b128 v1, v[92:95], off offset:-16
.LBB59_376:
	s_wait_xcnt 0x0
	v_mov_b32_e32 v1, 0
	global_load_b32 v92, v1, s[16:17] offset:228
	s_wait_loadcnt 0x0
	v_cmp_eq_u32_e32 vcc_lo, 58, v92
	s_cbranch_vccnz .LBB59_378
; %bb.377:
	v_lshlrev_b32_e32 v92, 4, v92
	s_delay_alu instid0(VALU_DEP_1)
	v_mov_b32_e32 v100, v92
	s_clause 0x1
	scratch_load_b128 v[92:95], off, s24
	scratch_load_b128 v[96:99], v100, off offset:-16
	s_wait_loadcnt 0x1
	ds_store_2addr_b64 v0, v[92:93], v[94:95] offset1:1
	s_wait_loadcnt 0x0
	s_clause 0x1
	scratch_store_b128 off, v[96:99], s24
	scratch_store_b128 v100, v[92:95], off offset:-16
.LBB59_378:
	global_load_b32 v1, v1, s[16:17] offset:224
	s_wait_loadcnt 0x0
	v_cmp_eq_u32_e32 vcc_lo, 57, v1
	s_cbranch_vccnz .LBB59_380
; %bb.379:
	s_wait_xcnt 0x0
	v_lshlrev_b32_e32 v1, 4, v1
	s_clause 0x1
	scratch_load_b128 v[92:95], off, s31
	scratch_load_b128 v[96:99], v1, off offset:-16
	s_wait_loadcnt 0x1
	ds_store_2addr_b64 v0, v[92:93], v[94:95] offset1:1
	s_wait_loadcnt 0x0
	s_clause 0x1
	scratch_store_b128 off, v[96:99], s31
	scratch_store_b128 v1, v[92:95], off offset:-16
.LBB59_380:
	s_wait_xcnt 0x0
	v_mov_b32_e32 v1, 0
	global_load_b32 v92, v1, s[16:17] offset:220
	s_wait_loadcnt 0x0
	v_cmp_eq_u32_e32 vcc_lo, 56, v92
	s_cbranch_vccnz .LBB59_382
; %bb.381:
	v_lshlrev_b32_e32 v92, 4, v92
	s_delay_alu instid0(VALU_DEP_1)
	v_mov_b32_e32 v100, v92
	s_clause 0x1
	scratch_load_b128 v[92:95], off, s29
	scratch_load_b128 v[96:99], v100, off offset:-16
	s_wait_loadcnt 0x1
	ds_store_2addr_b64 v0, v[92:93], v[94:95] offset1:1
	s_wait_loadcnt 0x0
	s_clause 0x1
	scratch_store_b128 off, v[96:99], s29
	scratch_store_b128 v100, v[92:95], off offset:-16
.LBB59_382:
	global_load_b32 v1, v1, s[16:17] offset:216
	s_wait_loadcnt 0x0
	v_cmp_eq_u32_e32 vcc_lo, 55, v1
	s_cbranch_vccnz .LBB59_384
; %bb.383:
	s_wait_xcnt 0x0
	v_lshlrev_b32_e32 v1, 4, v1
	s_clause 0x1
	scratch_load_b128 v[92:95], off, s36
	scratch_load_b128 v[96:99], v1, off offset:-16
	s_wait_loadcnt 0x1
	ds_store_2addr_b64 v0, v[92:93], v[94:95] offset1:1
	s_wait_loadcnt 0x0
	s_clause 0x1
	scratch_store_b128 off, v[96:99], s36
	scratch_store_b128 v1, v[92:95], off offset:-16
.LBB59_384:
	s_wait_xcnt 0x0
	v_mov_b32_e32 v1, 0
	global_load_b32 v92, v1, s[16:17] offset:212
	s_wait_loadcnt 0x0
	v_cmp_eq_u32_e32 vcc_lo, 54, v92
	s_cbranch_vccnz .LBB59_386
; %bb.385:
	v_lshlrev_b32_e32 v92, 4, v92
	s_delay_alu instid0(VALU_DEP_1)
	v_mov_b32_e32 v100, v92
	s_clause 0x1
	scratch_load_b128 v[92:95], off, s34
	scratch_load_b128 v[96:99], v100, off offset:-16
	s_wait_loadcnt 0x1
	ds_store_2addr_b64 v0, v[92:93], v[94:95] offset1:1
	s_wait_loadcnt 0x0
	s_clause 0x1
	scratch_store_b128 off, v[96:99], s34
	scratch_store_b128 v100, v[92:95], off offset:-16
.LBB59_386:
	global_load_b32 v1, v1, s[16:17] offset:208
	s_wait_loadcnt 0x0
	v_cmp_eq_u32_e32 vcc_lo, 53, v1
	s_cbranch_vccnz .LBB59_388
; %bb.387:
	s_wait_xcnt 0x0
	v_lshlrev_b32_e32 v1, 4, v1
	s_clause 0x1
	scratch_load_b128 v[92:95], off, s9
	scratch_load_b128 v[96:99], v1, off offset:-16
	s_wait_loadcnt 0x1
	ds_store_2addr_b64 v0, v[92:93], v[94:95] offset1:1
	s_wait_loadcnt 0x0
	s_clause 0x1
	scratch_store_b128 off, v[96:99], s9
	scratch_store_b128 v1, v[92:95], off offset:-16
.LBB59_388:
	s_wait_xcnt 0x0
	v_mov_b32_e32 v1, 0
	global_load_b32 v92, v1, s[16:17] offset:204
	s_wait_loadcnt 0x0
	v_cmp_eq_u32_e32 vcc_lo, 52, v92
	s_cbranch_vccnz .LBB59_390
; %bb.389:
	v_lshlrev_b32_e32 v92, 4, v92
	s_delay_alu instid0(VALU_DEP_1)
	v_mov_b32_e32 v100, v92
	s_clause 0x1
	scratch_load_b128 v[92:95], off, s8
	scratch_load_b128 v[96:99], v100, off offset:-16
	s_wait_loadcnt 0x1
	ds_store_2addr_b64 v0, v[92:93], v[94:95] offset1:1
	s_wait_loadcnt 0x0
	s_clause 0x1
	scratch_store_b128 off, v[96:99], s8
	scratch_store_b128 v100, v[92:95], off offset:-16
.LBB59_390:
	global_load_b32 v1, v1, s[16:17] offset:200
	s_wait_loadcnt 0x0
	v_cmp_eq_u32_e32 vcc_lo, 51, v1
	s_cbranch_vccnz .LBB59_392
; %bb.391:
	s_wait_xcnt 0x0
	v_lshlrev_b32_e32 v1, 4, v1
	s_clause 0x1
	scratch_load_b128 v[92:95], off, s11
	scratch_load_b128 v[96:99], v1, off offset:-16
	s_wait_loadcnt 0x1
	ds_store_2addr_b64 v0, v[92:93], v[94:95] offset1:1
	s_wait_loadcnt 0x0
	s_clause 0x1
	scratch_store_b128 off, v[96:99], s11
	scratch_store_b128 v1, v[92:95], off offset:-16
.LBB59_392:
	s_wait_xcnt 0x0
	v_mov_b32_e32 v1, 0
	global_load_b32 v92, v1, s[16:17] offset:196
	s_wait_loadcnt 0x0
	v_cmp_eq_u32_e32 vcc_lo, 50, v92
	s_cbranch_vccnz .LBB59_394
; %bb.393:
	v_lshlrev_b32_e32 v92, 4, v92
	s_delay_alu instid0(VALU_DEP_1)
	v_mov_b32_e32 v100, v92
	s_clause 0x1
	scratch_load_b128 v[92:95], off, s10
	scratch_load_b128 v[96:99], v100, off offset:-16
	s_wait_loadcnt 0x1
	ds_store_2addr_b64 v0, v[92:93], v[94:95] offset1:1
	s_wait_loadcnt 0x0
	s_clause 0x1
	scratch_store_b128 off, v[96:99], s10
	scratch_store_b128 v100, v[92:95], off offset:-16
.LBB59_394:
	global_load_b32 v1, v1, s[16:17] offset:192
	s_wait_loadcnt 0x0
	v_cmp_eq_u32_e32 vcc_lo, 49, v1
	s_cbranch_vccnz .LBB59_396
; %bb.395:
	s_wait_xcnt 0x0
	v_lshlrev_b32_e32 v1, 4, v1
	s_clause 0x1
	scratch_load_b128 v[92:95], off, s13
	scratch_load_b128 v[96:99], v1, off offset:-16
	s_wait_loadcnt 0x1
	ds_store_2addr_b64 v0, v[92:93], v[94:95] offset1:1
	s_wait_loadcnt 0x0
	s_clause 0x1
	scratch_store_b128 off, v[96:99], s13
	scratch_store_b128 v1, v[92:95], off offset:-16
.LBB59_396:
	s_wait_xcnt 0x0
	v_mov_b32_e32 v1, 0
	global_load_b32 v92, v1, s[16:17] offset:188
	s_wait_loadcnt 0x0
	v_cmp_eq_u32_e32 vcc_lo, 48, v92
	s_cbranch_vccnz .LBB59_398
; %bb.397:
	v_lshlrev_b32_e32 v92, 4, v92
	s_delay_alu instid0(VALU_DEP_1)
	v_mov_b32_e32 v100, v92
	s_clause 0x1
	scratch_load_b128 v[92:95], off, s12
	scratch_load_b128 v[96:99], v100, off offset:-16
	s_wait_loadcnt 0x1
	ds_store_2addr_b64 v0, v[92:93], v[94:95] offset1:1
	s_wait_loadcnt 0x0
	s_clause 0x1
	scratch_store_b128 off, v[96:99], s12
	scratch_store_b128 v100, v[92:95], off offset:-16
.LBB59_398:
	global_load_b32 v1, v1, s[16:17] offset:184
	s_wait_loadcnt 0x0
	v_cmp_eq_u32_e32 vcc_lo, 47, v1
	s_cbranch_vccnz .LBB59_400
; %bb.399:
	s_wait_xcnt 0x0
	v_lshlrev_b32_e32 v1, 4, v1
	s_clause 0x1
	scratch_load_b128 v[92:95], off, s15
	scratch_load_b128 v[96:99], v1, off offset:-16
	s_wait_loadcnt 0x1
	ds_store_2addr_b64 v0, v[92:93], v[94:95] offset1:1
	s_wait_loadcnt 0x0
	s_clause 0x1
	scratch_store_b128 off, v[96:99], s15
	scratch_store_b128 v1, v[92:95], off offset:-16
.LBB59_400:
	s_wait_xcnt 0x0
	v_mov_b32_e32 v1, 0
	global_load_b32 v92, v1, s[16:17] offset:180
	s_wait_loadcnt 0x0
	v_cmp_eq_u32_e32 vcc_lo, 46, v92
	s_cbranch_vccnz .LBB59_402
; %bb.401:
	v_lshlrev_b32_e32 v92, 4, v92
	s_delay_alu instid0(VALU_DEP_1)
	v_mov_b32_e32 v100, v92
	s_clause 0x1
	scratch_load_b128 v[92:95], off, s14
	scratch_load_b128 v[96:99], v100, off offset:-16
	s_wait_loadcnt 0x1
	ds_store_2addr_b64 v0, v[92:93], v[94:95] offset1:1
	s_wait_loadcnt 0x0
	s_clause 0x1
	scratch_store_b128 off, v[96:99], s14
	scratch_store_b128 v100, v[92:95], off offset:-16
.LBB59_402:
	global_load_b32 v1, v1, s[16:17] offset:176
	s_wait_loadcnt 0x0
	v_cmp_eq_u32_e32 vcc_lo, 45, v1
	s_cbranch_vccnz .LBB59_404
; %bb.403:
	s_wait_xcnt 0x0
	v_lshlrev_b32_e32 v1, 4, v1
	s_clause 0x1
	scratch_load_b128 v[92:95], off, s21
	scratch_load_b128 v[96:99], v1, off offset:-16
	s_wait_loadcnt 0x1
	ds_store_2addr_b64 v0, v[92:93], v[94:95] offset1:1
	s_wait_loadcnt 0x0
	s_clause 0x1
	scratch_store_b128 off, v[96:99], s21
	scratch_store_b128 v1, v[92:95], off offset:-16
.LBB59_404:
	s_wait_xcnt 0x0
	v_mov_b32_e32 v1, 0
	global_load_b32 v92, v1, s[16:17] offset:172
	s_wait_loadcnt 0x0
	v_cmp_eq_u32_e32 vcc_lo, 44, v92
	s_cbranch_vccnz .LBB59_406
; %bb.405:
	v_lshlrev_b32_e32 v92, 4, v92
	s_delay_alu instid0(VALU_DEP_1)
	v_mov_b32_e32 v100, v92
	s_clause 0x1
	scratch_load_b128 v[92:95], off, s20
	scratch_load_b128 v[96:99], v100, off offset:-16
	s_wait_loadcnt 0x1
	ds_store_2addr_b64 v0, v[92:93], v[94:95] offset1:1
	s_wait_loadcnt 0x0
	s_clause 0x1
	scratch_store_b128 off, v[96:99], s20
	scratch_store_b128 v100, v[92:95], off offset:-16
.LBB59_406:
	global_load_b32 v1, v1, s[16:17] offset:168
	s_wait_loadcnt 0x0
	v_cmp_eq_u32_e32 vcc_lo, 43, v1
	s_cbranch_vccnz .LBB59_408
; %bb.407:
	s_wait_xcnt 0x0
	v_lshlrev_b32_e32 v1, 4, v1
	s_clause 0x1
	scratch_load_b128 v[92:95], off, s23
	scratch_load_b128 v[96:99], v1, off offset:-16
	s_wait_loadcnt 0x1
	ds_store_2addr_b64 v0, v[92:93], v[94:95] offset1:1
	s_wait_loadcnt 0x0
	s_clause 0x1
	scratch_store_b128 off, v[96:99], s23
	scratch_store_b128 v1, v[92:95], off offset:-16
.LBB59_408:
	s_wait_xcnt 0x0
	v_mov_b32_e32 v1, 0
	global_load_b32 v92, v1, s[16:17] offset:164
	s_wait_loadcnt 0x0
	v_cmp_eq_u32_e32 vcc_lo, 42, v92
	s_cbranch_vccnz .LBB59_410
; %bb.409:
	v_lshlrev_b32_e32 v92, 4, v92
	s_delay_alu instid0(VALU_DEP_1)
	v_mov_b32_e32 v100, v92
	s_clause 0x1
	scratch_load_b128 v[92:95], off, s22
	scratch_load_b128 v[96:99], v100, off offset:-16
	s_wait_loadcnt 0x1
	ds_store_2addr_b64 v0, v[92:93], v[94:95] offset1:1
	s_wait_loadcnt 0x0
	s_clause 0x1
	scratch_store_b128 off, v[96:99], s22
	scratch_store_b128 v100, v[92:95], off offset:-16
.LBB59_410:
	global_load_b32 v1, v1, s[16:17] offset:160
	s_wait_loadcnt 0x0
	v_cmp_eq_u32_e32 vcc_lo, 41, v1
	s_cbranch_vccnz .LBB59_412
; %bb.411:
	s_wait_xcnt 0x0
	v_lshlrev_b32_e32 v1, 4, v1
	s_clause 0x1
	scratch_load_b128 v[92:95], off, s26
	scratch_load_b128 v[96:99], v1, off offset:-16
	s_wait_loadcnt 0x1
	ds_store_2addr_b64 v0, v[92:93], v[94:95] offset1:1
	s_wait_loadcnt 0x0
	s_clause 0x1
	scratch_store_b128 off, v[96:99], s26
	scratch_store_b128 v1, v[92:95], off offset:-16
.LBB59_412:
	s_wait_xcnt 0x0
	v_mov_b32_e32 v1, 0
	global_load_b32 v92, v1, s[16:17] offset:156
	s_wait_loadcnt 0x0
	v_cmp_eq_u32_e32 vcc_lo, 40, v92
	s_cbranch_vccnz .LBB59_414
; %bb.413:
	v_lshlrev_b32_e32 v92, 4, v92
	s_delay_alu instid0(VALU_DEP_1)
	v_mov_b32_e32 v100, v92
	s_clause 0x1
	scratch_load_b128 v[92:95], off, s25
	scratch_load_b128 v[96:99], v100, off offset:-16
	s_wait_loadcnt 0x1
	ds_store_2addr_b64 v0, v[92:93], v[94:95] offset1:1
	s_wait_loadcnt 0x0
	s_clause 0x1
	scratch_store_b128 off, v[96:99], s25
	scratch_store_b128 v100, v[92:95], off offset:-16
.LBB59_414:
	global_load_b32 v1, v1, s[16:17] offset:152
	s_wait_loadcnt 0x0
	v_cmp_eq_u32_e32 vcc_lo, 39, v1
	s_cbranch_vccnz .LBB59_416
; %bb.415:
	s_wait_xcnt 0x0
	v_lshlrev_b32_e32 v1, 4, v1
	s_clause 0x1
	scratch_load_b128 v[92:95], off, s30
	scratch_load_b128 v[96:99], v1, off offset:-16
	s_wait_loadcnt 0x1
	ds_store_2addr_b64 v0, v[92:93], v[94:95] offset1:1
	s_wait_loadcnt 0x0
	s_clause 0x1
	scratch_store_b128 off, v[96:99], s30
	scratch_store_b128 v1, v[92:95], off offset:-16
.LBB59_416:
	s_wait_xcnt 0x0
	v_mov_b32_e32 v1, 0
	global_load_b32 v92, v1, s[16:17] offset:148
	s_wait_loadcnt 0x0
	v_cmp_eq_u32_e32 vcc_lo, 38, v92
	s_cbranch_vccnz .LBB59_418
; %bb.417:
	v_lshlrev_b32_e32 v92, 4, v92
	s_delay_alu instid0(VALU_DEP_1)
	v_mov_b32_e32 v100, v92
	s_clause 0x1
	scratch_load_b128 v[92:95], off, s28
	scratch_load_b128 v[96:99], v100, off offset:-16
	s_wait_loadcnt 0x1
	ds_store_2addr_b64 v0, v[92:93], v[94:95] offset1:1
	s_wait_loadcnt 0x0
	s_clause 0x1
	scratch_store_b128 off, v[96:99], s28
	scratch_store_b128 v100, v[92:95], off offset:-16
.LBB59_418:
	global_load_b32 v1, v1, s[16:17] offset:144
	s_wait_loadcnt 0x0
	v_cmp_eq_u32_e32 vcc_lo, 37, v1
	s_cbranch_vccnz .LBB59_420
; %bb.419:
	s_wait_xcnt 0x0
	v_lshlrev_b32_e32 v1, 4, v1
	s_clause 0x1
	scratch_load_b128 v[92:95], off, s35
	scratch_load_b128 v[96:99], v1, off offset:-16
	s_wait_loadcnt 0x1
	ds_store_2addr_b64 v0, v[92:93], v[94:95] offset1:1
	s_wait_loadcnt 0x0
	s_clause 0x1
	scratch_store_b128 off, v[96:99], s35
	scratch_store_b128 v1, v[92:95], off offset:-16
.LBB59_420:
	s_wait_xcnt 0x0
	v_mov_b32_e32 v1, 0
	global_load_b32 v92, v1, s[16:17] offset:140
	s_wait_loadcnt 0x0
	v_cmp_eq_u32_e32 vcc_lo, 36, v92
	s_cbranch_vccnz .LBB59_422
; %bb.421:
	v_lshlrev_b32_e32 v92, 4, v92
	s_delay_alu instid0(VALU_DEP_1)
	v_mov_b32_e32 v100, v92
	s_clause 0x1
	scratch_load_b128 v[92:95], off, s33
	scratch_load_b128 v[96:99], v100, off offset:-16
	s_wait_loadcnt 0x1
	ds_store_2addr_b64 v0, v[92:93], v[94:95] offset1:1
	s_wait_loadcnt 0x0
	s_clause 0x1
	scratch_store_b128 off, v[96:99], s33
	scratch_store_b128 v100, v[92:95], off offset:-16
.LBB59_422:
	global_load_b32 v1, v1, s[16:17] offset:136
	s_wait_loadcnt 0x0
	v_cmp_eq_u32_e32 vcc_lo, 35, v1
	s_cbranch_vccnz .LBB59_424
; %bb.423:
	s_wait_xcnt 0x0
	v_lshlrev_b32_e32 v1, 4, v1
	s_clause 0x1
	scratch_load_b128 v[92:95], off, s38
	scratch_load_b128 v[96:99], v1, off offset:-16
	s_wait_loadcnt 0x1
	ds_store_2addr_b64 v0, v[92:93], v[94:95] offset1:1
	s_wait_loadcnt 0x0
	s_clause 0x1
	scratch_store_b128 off, v[96:99], s38
	scratch_store_b128 v1, v[92:95], off offset:-16
.LBB59_424:
	s_wait_xcnt 0x0
	v_mov_b32_e32 v1, 0
	global_load_b32 v92, v1, s[16:17] offset:132
	s_wait_loadcnt 0x0
	v_cmp_eq_u32_e32 vcc_lo, 34, v92
	s_cbranch_vccnz .LBB59_426
; %bb.425:
	v_lshlrev_b32_e32 v92, 4, v92
	s_delay_alu instid0(VALU_DEP_1)
	v_mov_b32_e32 v100, v92
	s_clause 0x1
	scratch_load_b128 v[92:95], off, s37
	scratch_load_b128 v[96:99], v100, off offset:-16
	s_wait_loadcnt 0x1
	ds_store_2addr_b64 v0, v[92:93], v[94:95] offset1:1
	s_wait_loadcnt 0x0
	s_clause 0x1
	scratch_store_b128 off, v[96:99], s37
	scratch_store_b128 v100, v[92:95], off offset:-16
.LBB59_426:
	global_load_b32 v1, v1, s[16:17] offset:128
	s_wait_loadcnt 0x0
	v_cmp_eq_u32_e32 vcc_lo, 33, v1
	s_cbranch_vccnz .LBB59_428
; %bb.427:
	s_wait_xcnt 0x0
	v_lshlrev_b32_e32 v1, 4, v1
	s_clause 0x1
	scratch_load_b128 v[92:95], off, s41
	scratch_load_b128 v[96:99], v1, off offset:-16
	s_wait_loadcnt 0x1
	ds_store_2addr_b64 v0, v[92:93], v[94:95] offset1:1
	s_wait_loadcnt 0x0
	s_clause 0x1
	scratch_store_b128 off, v[96:99], s41
	scratch_store_b128 v1, v[92:95], off offset:-16
.LBB59_428:
	s_wait_xcnt 0x0
	v_mov_b32_e32 v1, 0
	global_load_b32 v92, v1, s[16:17] offset:124
	s_wait_loadcnt 0x0
	v_cmp_eq_u32_e32 vcc_lo, 32, v92
	s_cbranch_vccnz .LBB59_430
; %bb.429:
	v_lshlrev_b32_e32 v92, 4, v92
	s_delay_alu instid0(VALU_DEP_1)
	v_mov_b32_e32 v100, v92
	s_clause 0x1
	scratch_load_b128 v[92:95], off, s39
	scratch_load_b128 v[96:99], v100, off offset:-16
	s_wait_loadcnt 0x1
	ds_store_2addr_b64 v0, v[92:93], v[94:95] offset1:1
	s_wait_loadcnt 0x0
	s_clause 0x1
	scratch_store_b128 off, v[96:99], s39
	scratch_store_b128 v100, v[92:95], off offset:-16
.LBB59_430:
	global_load_b32 v1, v1, s[16:17] offset:120
	s_wait_loadcnt 0x0
	v_cmp_eq_u32_e32 vcc_lo, 31, v1
	s_cbranch_vccnz .LBB59_432
; %bb.431:
	s_wait_xcnt 0x0
	v_lshlrev_b32_e32 v1, 4, v1
	s_clause 0x1
	scratch_load_b128 v[92:95], off, s47
	scratch_load_b128 v[96:99], v1, off offset:-16
	s_wait_loadcnt 0x1
	ds_store_2addr_b64 v0, v[92:93], v[94:95] offset1:1
	s_wait_loadcnt 0x0
	s_clause 0x1
	scratch_store_b128 off, v[96:99], s47
	scratch_store_b128 v1, v[92:95], off offset:-16
.LBB59_432:
	s_wait_xcnt 0x0
	v_mov_b32_e32 v1, 0
	global_load_b32 v92, v1, s[16:17] offset:116
	s_wait_loadcnt 0x0
	v_cmp_eq_u32_e32 vcc_lo, 30, v92
	s_cbranch_vccnz .LBB59_434
; %bb.433:
	v_lshlrev_b32_e32 v92, 4, v92
	s_delay_alu instid0(VALU_DEP_1)
	v_mov_b32_e32 v100, v92
	s_clause 0x1
	scratch_load_b128 v[92:95], off, s45
	scratch_load_b128 v[96:99], v100, off offset:-16
	s_wait_loadcnt 0x1
	ds_store_2addr_b64 v0, v[92:93], v[94:95] offset1:1
	s_wait_loadcnt 0x0
	s_clause 0x1
	scratch_store_b128 off, v[96:99], s45
	scratch_store_b128 v100, v[92:95], off offset:-16
.LBB59_434:
	global_load_b32 v1, v1, s[16:17] offset:112
	s_wait_loadcnt 0x0
	v_cmp_eq_u32_e32 vcc_lo, 29, v1
	s_cbranch_vccnz .LBB59_436
; %bb.435:
	s_wait_xcnt 0x0
	v_lshlrev_b32_e32 v1, 4, v1
	s_clause 0x1
	scratch_load_b128 v[92:95], off, s43
	scratch_load_b128 v[96:99], v1, off offset:-16
	s_wait_loadcnt 0x1
	ds_store_2addr_b64 v0, v[92:93], v[94:95] offset1:1
	s_wait_loadcnt 0x0
	s_clause 0x1
	scratch_store_b128 off, v[96:99], s43
	scratch_store_b128 v1, v[92:95], off offset:-16
.LBB59_436:
	s_wait_xcnt 0x0
	v_mov_b32_e32 v1, 0
	global_load_b32 v92, v1, s[16:17] offset:108
	s_wait_loadcnt 0x0
	v_cmp_eq_u32_e32 vcc_lo, 28, v92
	s_cbranch_vccnz .LBB59_438
; %bb.437:
	v_lshlrev_b32_e32 v92, 4, v92
	s_delay_alu instid0(VALU_DEP_1)
	v_mov_b32_e32 v100, v92
	s_clause 0x1
	scratch_load_b128 v[92:95], off, s40
	scratch_load_b128 v[96:99], v100, off offset:-16
	s_wait_loadcnt 0x1
	ds_store_2addr_b64 v0, v[92:93], v[94:95] offset1:1
	s_wait_loadcnt 0x0
	s_clause 0x1
	scratch_store_b128 off, v[96:99], s40
	scratch_store_b128 v100, v[92:95], off offset:-16
.LBB59_438:
	global_load_b32 v1, v1, s[16:17] offset:104
	s_wait_loadcnt 0x0
	v_cmp_eq_u32_e32 vcc_lo, 27, v1
	s_cbranch_vccnz .LBB59_440
; %bb.439:
	s_wait_xcnt 0x0
	v_lshlrev_b32_e32 v1, 4, v1
	s_clause 0x1
	scratch_load_b128 v[92:95], off, s46
	scratch_load_b128 v[96:99], v1, off offset:-16
	s_wait_loadcnt 0x1
	ds_store_2addr_b64 v0, v[92:93], v[94:95] offset1:1
	s_wait_loadcnt 0x0
	s_clause 0x1
	scratch_store_b128 off, v[96:99], s46
	scratch_store_b128 v1, v[92:95], off offset:-16
.LBB59_440:
	s_wait_xcnt 0x0
	v_mov_b32_e32 v1, 0
	global_load_b32 v92, v1, s[16:17] offset:100
	s_wait_loadcnt 0x0
	v_cmp_eq_u32_e32 vcc_lo, 26, v92
	s_cbranch_vccnz .LBB59_442
; %bb.441:
	v_lshlrev_b32_e32 v92, 4, v92
	s_delay_alu instid0(VALU_DEP_1)
	v_mov_b32_e32 v100, v92
	s_clause 0x1
	scratch_load_b128 v[92:95], off, s44
	scratch_load_b128 v[96:99], v100, off offset:-16
	s_wait_loadcnt 0x1
	ds_store_2addr_b64 v0, v[92:93], v[94:95] offset1:1
	s_wait_loadcnt 0x0
	s_clause 0x1
	scratch_store_b128 off, v[96:99], s44
	scratch_store_b128 v100, v[92:95], off offset:-16
.LBB59_442:
	global_load_b32 v1, v1, s[16:17] offset:96
	s_wait_loadcnt 0x0
	v_cmp_eq_u32_e32 vcc_lo, 25, v1
	s_cbranch_vccnz .LBB59_444
; %bb.443:
	s_wait_xcnt 0x0
	v_lshlrev_b32_e32 v1, 4, v1
	s_clause 0x1
	scratch_load_b128 v[92:95], off, s42
	scratch_load_b128 v[96:99], v1, off offset:-16
	s_wait_loadcnt 0x1
	ds_store_2addr_b64 v0, v[92:93], v[94:95] offset1:1
	s_wait_loadcnt 0x0
	s_clause 0x1
	scratch_store_b128 off, v[96:99], s42
	scratch_store_b128 v1, v[92:95], off offset:-16
.LBB59_444:
	s_wait_xcnt 0x0
	v_mov_b32_e32 v1, 0
	global_load_b32 v92, v1, s[16:17] offset:92
	s_wait_loadcnt 0x0
	v_cmp_eq_u32_e32 vcc_lo, 24, v92
	s_cbranch_vccnz .LBB59_446
; %bb.445:
	v_lshlrev_b32_e32 v92, 4, v92
	s_delay_alu instid0(VALU_DEP_1)
	v_mov_b32_e32 v100, v92
	s_clause 0x1
	scratch_load_b128 v[92:95], off, s65
	scratch_load_b128 v[96:99], v100, off offset:-16
	s_wait_loadcnt 0x1
	ds_store_2addr_b64 v0, v[92:93], v[94:95] offset1:1
	s_wait_loadcnt 0x0
	s_clause 0x1
	scratch_store_b128 off, v[96:99], s65
	scratch_store_b128 v100, v[92:95], off offset:-16
.LBB59_446:
	global_load_b32 v1, v1, s[16:17] offset:88
	s_wait_loadcnt 0x0
	v_cmp_eq_u32_e32 vcc_lo, 23, v1
	s_cbranch_vccnz .LBB59_448
; %bb.447:
	s_wait_xcnt 0x0
	v_lshlrev_b32_e32 v1, 4, v1
	s_clause 0x1
	scratch_load_b128 v[92:95], off, s62
	scratch_load_b128 v[96:99], v1, off offset:-16
	s_wait_loadcnt 0x1
	ds_store_2addr_b64 v0, v[92:93], v[94:95] offset1:1
	s_wait_loadcnt 0x0
	s_clause 0x1
	scratch_store_b128 off, v[96:99], s62
	scratch_store_b128 v1, v[92:95], off offset:-16
.LBB59_448:
	s_wait_xcnt 0x0
	v_mov_b32_e32 v1, 0
	global_load_b32 v92, v1, s[16:17] offset:84
	s_wait_loadcnt 0x0
	v_cmp_eq_u32_e32 vcc_lo, 22, v92
	s_cbranch_vccnz .LBB59_450
; %bb.449:
	v_lshlrev_b32_e32 v92, 4, v92
	s_delay_alu instid0(VALU_DEP_1)
	v_mov_b32_e32 v100, v92
	s_clause 0x1
	scratch_load_b128 v[92:95], off, s58
	scratch_load_b128 v[96:99], v100, off offset:-16
	s_wait_loadcnt 0x1
	ds_store_2addr_b64 v0, v[92:93], v[94:95] offset1:1
	s_wait_loadcnt 0x0
	s_clause 0x1
	scratch_store_b128 off, v[96:99], s58
	scratch_store_b128 v100, v[92:95], off offset:-16
.LBB59_450:
	global_load_b32 v1, v1, s[16:17] offset:80
	s_wait_loadcnt 0x0
	v_cmp_eq_u32_e32 vcc_lo, 21, v1
	s_cbranch_vccnz .LBB59_452
; %bb.451:
	s_wait_xcnt 0x0
	v_lshlrev_b32_e32 v1, 4, v1
	s_clause 0x1
	scratch_load_b128 v[92:95], off, s67
	scratch_load_b128 v[96:99], v1, off offset:-16
	s_wait_loadcnt 0x1
	ds_store_2addr_b64 v0, v[92:93], v[94:95] offset1:1
	s_wait_loadcnt 0x0
	s_clause 0x1
	scratch_store_b128 off, v[96:99], s67
	scratch_store_b128 v1, v[92:95], off offset:-16
.LBB59_452:
	s_wait_xcnt 0x0
	v_mov_b32_e32 v1, 0
	global_load_b32 v92, v1, s[16:17] offset:76
	s_wait_loadcnt 0x0
	v_cmp_eq_u32_e32 vcc_lo, 20, v92
	s_cbranch_vccnz .LBB59_454
; %bb.453:
	v_lshlrev_b32_e32 v92, 4, v92
	s_delay_alu instid0(VALU_DEP_1)
	v_mov_b32_e32 v100, v92
	s_clause 0x1
	scratch_load_b128 v[92:95], off, s66
	scratch_load_b128 v[96:99], v100, off offset:-16
	s_wait_loadcnt 0x1
	ds_store_2addr_b64 v0, v[92:93], v[94:95] offset1:1
	s_wait_loadcnt 0x0
	s_clause 0x1
	scratch_store_b128 off, v[96:99], s66
	scratch_store_b128 v100, v[92:95], off offset:-16
.LBB59_454:
	global_load_b32 v1, v1, s[16:17] offset:72
	s_wait_loadcnt 0x0
	v_cmp_eq_u32_e32 vcc_lo, 19, v1
	s_cbranch_vccnz .LBB59_456
; %bb.455:
	s_wait_xcnt 0x0
	v_lshlrev_b32_e32 v1, 4, v1
	s_clause 0x1
	scratch_load_b128 v[92:95], off, s63
	scratch_load_b128 v[96:99], v1, off offset:-16
	s_wait_loadcnt 0x1
	ds_store_2addr_b64 v0, v[92:93], v[94:95] offset1:1
	s_wait_loadcnt 0x0
	s_clause 0x1
	scratch_store_b128 off, v[96:99], s63
	scratch_store_b128 v1, v[92:95], off offset:-16
.LBB59_456:
	s_wait_xcnt 0x0
	v_mov_b32_e32 v1, 0
	global_load_b32 v92, v1, s[16:17] offset:68
	s_wait_loadcnt 0x0
	v_cmp_eq_u32_e32 vcc_lo, 18, v92
	s_cbranch_vccnz .LBB59_458
; %bb.457:
	v_lshlrev_b32_e32 v92, 4, v92
	s_delay_alu instid0(VALU_DEP_1)
	v_mov_b32_e32 v100, v92
	s_clause 0x1
	scratch_load_b128 v[92:95], off, s60
	scratch_load_b128 v[96:99], v100, off offset:-16
	s_wait_loadcnt 0x1
	ds_store_2addr_b64 v0, v[92:93], v[94:95] offset1:1
	s_wait_loadcnt 0x0
	s_clause 0x1
	scratch_store_b128 off, v[96:99], s60
	scratch_store_b128 v100, v[92:95], off offset:-16
.LBB59_458:
	global_load_b32 v1, v1, s[16:17] offset:64
	s_wait_loadcnt 0x0
	v_cmp_eq_u32_e32 vcc_lo, 17, v1
	s_cbranch_vccnz .LBB59_460
; %bb.459:
	s_wait_xcnt 0x0
	v_lshlrev_b32_e32 v1, 4, v1
	s_clause 0x1
	scratch_load_b128 v[92:95], off, s57
	scratch_load_b128 v[96:99], v1, off offset:-16
	s_wait_loadcnt 0x1
	ds_store_2addr_b64 v0, v[92:93], v[94:95] offset1:1
	s_wait_loadcnt 0x0
	s_clause 0x1
	scratch_store_b128 off, v[96:99], s57
	scratch_store_b128 v1, v[92:95], off offset:-16
.LBB59_460:
	s_wait_xcnt 0x0
	v_mov_b32_e32 v1, 0
	global_load_b32 v92, v1, s[16:17] offset:60
	s_wait_loadcnt 0x0
	v_cmp_eq_u32_e32 vcc_lo, 16, v92
	s_cbranch_vccnz .LBB59_462
; %bb.461:
	v_lshlrev_b32_e32 v92, 4, v92
	s_delay_alu instid0(VALU_DEP_1)
	v_mov_b32_e32 v100, v92
	s_clause 0x1
	scratch_load_b128 v[92:95], off, s55
	scratch_load_b128 v[96:99], v100, off offset:-16
	s_wait_loadcnt 0x1
	ds_store_2addr_b64 v0, v[92:93], v[94:95] offset1:1
	s_wait_loadcnt 0x0
	s_clause 0x1
	scratch_store_b128 off, v[96:99], s55
	scratch_store_b128 v100, v[92:95], off offset:-16
.LBB59_462:
	global_load_b32 v1, v1, s[16:17] offset:56
	s_wait_loadcnt 0x0
	v_cmp_eq_u32_e32 vcc_lo, 15, v1
	s_cbranch_vccnz .LBB59_464
; %bb.463:
	s_wait_xcnt 0x0
	v_lshlrev_b32_e32 v1, 4, v1
	s_clause 0x1
	scratch_load_b128 v[92:95], off, s64
	scratch_load_b128 v[96:99], v1, off offset:-16
	s_wait_loadcnt 0x1
	ds_store_2addr_b64 v0, v[92:93], v[94:95] offset1:1
	s_wait_loadcnt 0x0
	s_clause 0x1
	scratch_store_b128 off, v[96:99], s64
	scratch_store_b128 v1, v[92:95], off offset:-16
.LBB59_464:
	s_wait_xcnt 0x0
	v_mov_b32_e32 v1, 0
	global_load_b32 v92, v1, s[16:17] offset:52
	s_wait_loadcnt 0x0
	v_cmp_eq_u32_e32 vcc_lo, 14, v92
	s_cbranch_vccnz .LBB59_466
; %bb.465:
	v_lshlrev_b32_e32 v92, 4, v92
	s_delay_alu instid0(VALU_DEP_1)
	v_mov_b32_e32 v100, v92
	s_clause 0x1
	scratch_load_b128 v[92:95], off, s61
	scratch_load_b128 v[96:99], v100, off offset:-16
	s_wait_loadcnt 0x1
	ds_store_2addr_b64 v0, v[92:93], v[94:95] offset1:1
	s_wait_loadcnt 0x0
	s_clause 0x1
	scratch_store_b128 off, v[96:99], s61
	scratch_store_b128 v100, v[92:95], off offset:-16
.LBB59_466:
	global_load_b32 v1, v1, s[16:17] offset:48
	s_wait_loadcnt 0x0
	v_cmp_eq_u32_e32 vcc_lo, 13, v1
	s_cbranch_vccnz .LBB59_468
; %bb.467:
	s_wait_xcnt 0x0
	v_lshlrev_b32_e32 v1, 4, v1
	s_clause 0x1
	scratch_load_b128 v[92:95], off, s59
	scratch_load_b128 v[96:99], v1, off offset:-16
	s_wait_loadcnt 0x1
	ds_store_2addr_b64 v0, v[92:93], v[94:95] offset1:1
	s_wait_loadcnt 0x0
	s_clause 0x1
	scratch_store_b128 off, v[96:99], s59
	scratch_store_b128 v1, v[92:95], off offset:-16
.LBB59_468:
	s_wait_xcnt 0x0
	v_mov_b32_e32 v1, 0
	global_load_b32 v92, v1, s[16:17] offset:44
	s_wait_loadcnt 0x0
	v_cmp_eq_u32_e32 vcc_lo, 12, v92
	s_cbranch_vccnz .LBB59_470
; %bb.469:
	v_lshlrev_b32_e32 v92, 4, v92
	s_delay_alu instid0(VALU_DEP_1)
	v_mov_b32_e32 v100, v92
	s_clause 0x1
	scratch_load_b128 v[92:95], off, s56
	scratch_load_b128 v[96:99], v100, off offset:-16
	s_wait_loadcnt 0x1
	ds_store_2addr_b64 v0, v[92:93], v[94:95] offset1:1
	s_wait_loadcnt 0x0
	s_clause 0x1
	scratch_store_b128 off, v[96:99], s56
	scratch_store_b128 v100, v[92:95], off offset:-16
.LBB59_470:
	global_load_b32 v1, v1, s[16:17] offset:40
	s_wait_loadcnt 0x0
	v_cmp_eq_u32_e32 vcc_lo, 11, v1
	s_cbranch_vccnz .LBB59_472
; %bb.471:
	s_wait_xcnt 0x0
	v_lshlrev_b32_e32 v1, 4, v1
	s_clause 0x1
	scratch_load_b128 v[92:95], off, s54
	scratch_load_b128 v[96:99], v1, off offset:-16
	s_wait_loadcnt 0x1
	ds_store_2addr_b64 v0, v[92:93], v[94:95] offset1:1
	s_wait_loadcnt 0x0
	s_clause 0x1
	scratch_store_b128 off, v[96:99], s54
	scratch_store_b128 v1, v[92:95], off offset:-16
.LBB59_472:
	s_wait_xcnt 0x0
	v_mov_b32_e32 v1, 0
	global_load_b32 v92, v1, s[16:17] offset:36
	s_wait_loadcnt 0x0
	v_cmp_eq_u32_e32 vcc_lo, 10, v92
	s_cbranch_vccnz .LBB59_474
; %bb.473:
	v_lshlrev_b32_e32 v92, 4, v92
	s_delay_alu instid0(VALU_DEP_1)
	v_mov_b32_e32 v100, v92
	s_clause 0x1
	scratch_load_b128 v[92:95], off, s53
	scratch_load_b128 v[96:99], v100, off offset:-16
	s_wait_loadcnt 0x1
	ds_store_2addr_b64 v0, v[92:93], v[94:95] offset1:1
	s_wait_loadcnt 0x0
	s_clause 0x1
	scratch_store_b128 off, v[96:99], s53
	scratch_store_b128 v100, v[92:95], off offset:-16
.LBB59_474:
	global_load_b32 v1, v1, s[16:17] offset:32
	s_wait_loadcnt 0x0
	v_cmp_eq_u32_e32 vcc_lo, 9, v1
	s_cbranch_vccnz .LBB59_476
; %bb.475:
	s_wait_xcnt 0x0
	v_lshlrev_b32_e32 v1, 4, v1
	s_clause 0x1
	scratch_load_b128 v[92:95], off, s68
	scratch_load_b128 v[96:99], v1, off offset:-16
	s_wait_loadcnt 0x1
	ds_store_2addr_b64 v0, v[92:93], v[94:95] offset1:1
	s_wait_loadcnt 0x0
	s_clause 0x1
	scratch_store_b128 off, v[96:99], s68
	scratch_store_b128 v1, v[92:95], off offset:-16
.LBB59_476:
	s_wait_xcnt 0x0
	v_mov_b32_e32 v1, 0
	global_load_b32 v92, v1, s[16:17] offset:28
	s_wait_loadcnt 0x0
	v_cmp_eq_u32_e32 vcc_lo, 8, v92
	s_cbranch_vccnz .LBB59_478
; %bb.477:
	v_lshlrev_b32_e32 v92, 4, v92
	s_delay_alu instid0(VALU_DEP_1)
	v_mov_b32_e32 v100, v92
	s_clause 0x1
	scratch_load_b128 v[92:95], off, s69
	scratch_load_b128 v[96:99], v100, off offset:-16
	s_wait_loadcnt 0x1
	ds_store_2addr_b64 v0, v[92:93], v[94:95] offset1:1
	s_wait_loadcnt 0x0
	s_clause 0x1
	scratch_store_b128 off, v[96:99], s69
	scratch_store_b128 v100, v[92:95], off offset:-16
.LBB59_478:
	global_load_b32 v1, v1, s[16:17] offset:24
	s_wait_loadcnt 0x0
	v_cmp_eq_u32_e32 vcc_lo, 7, v1
	s_cbranch_vccnz .LBB59_480
; %bb.479:
	s_wait_xcnt 0x0
	v_lshlrev_b32_e32 v1, 4, v1
	s_clause 0x1
	scratch_load_b128 v[92:95], off, s70
	scratch_load_b128 v[96:99], v1, off offset:-16
	s_wait_loadcnt 0x1
	ds_store_2addr_b64 v0, v[92:93], v[94:95] offset1:1
	s_wait_loadcnt 0x0
	s_clause 0x1
	scratch_store_b128 off, v[96:99], s70
	scratch_store_b128 v1, v[92:95], off offset:-16
.LBB59_480:
	s_wait_xcnt 0x0
	v_mov_b32_e32 v1, 0
	global_load_b32 v92, v1, s[16:17] offset:20
	s_wait_loadcnt 0x0
	v_cmp_eq_u32_e32 vcc_lo, 6, v92
	s_cbranch_vccnz .LBB59_482
; %bb.481:
	v_lshlrev_b32_e32 v92, 4, v92
	s_delay_alu instid0(VALU_DEP_1)
	v_mov_b32_e32 v100, v92
	s_clause 0x1
	scratch_load_b128 v[92:95], off, s71
	scratch_load_b128 v[96:99], v100, off offset:-16
	s_wait_loadcnt 0x1
	ds_store_2addr_b64 v0, v[92:93], v[94:95] offset1:1
	s_wait_loadcnt 0x0
	s_clause 0x1
	scratch_store_b128 off, v[96:99], s71
	scratch_store_b128 v100, v[92:95], off offset:-16
.LBB59_482:
	global_load_b32 v1, v1, s[16:17] offset:16
	s_wait_loadcnt 0x0
	v_cmp_eq_u32_e32 vcc_lo, 5, v1
	s_cbranch_vccnz .LBB59_484
; %bb.483:
	s_wait_xcnt 0x0
	v_lshlrev_b32_e32 v1, 4, v1
	s_clause 0x1
	scratch_load_b128 v[92:95], off, s49
	scratch_load_b128 v[96:99], v1, off offset:-16
	s_wait_loadcnt 0x1
	ds_store_2addr_b64 v0, v[92:93], v[94:95] offset1:1
	s_wait_loadcnt 0x0
	s_clause 0x1
	scratch_store_b128 off, v[96:99], s49
	scratch_store_b128 v1, v[92:95], off offset:-16
.LBB59_484:
	s_wait_xcnt 0x0
	v_mov_b32_e32 v1, 0
	global_load_b32 v92, v1, s[16:17] offset:12
	s_wait_loadcnt 0x0
	v_cmp_eq_u32_e32 vcc_lo, 4, v92
	s_cbranch_vccnz .LBB59_486
; %bb.485:
	v_lshlrev_b32_e32 v92, 4, v92
	s_delay_alu instid0(VALU_DEP_1)
	v_mov_b32_e32 v100, v92
	s_clause 0x1
	scratch_load_b128 v[92:95], off, s50
	scratch_load_b128 v[96:99], v100, off offset:-16
	s_wait_loadcnt 0x1
	ds_store_2addr_b64 v0, v[92:93], v[94:95] offset1:1
	s_wait_loadcnt 0x0
	s_clause 0x1
	scratch_store_b128 off, v[96:99], s50
	scratch_store_b128 v100, v[92:95], off offset:-16
.LBB59_486:
	global_load_b32 v1, v1, s[16:17] offset:8
	s_wait_loadcnt 0x0
	v_cmp_eq_u32_e32 vcc_lo, 3, v1
	s_cbranch_vccnz .LBB59_488
; %bb.487:
	s_wait_xcnt 0x0
	v_lshlrev_b32_e32 v1, 4, v1
	s_clause 0x1
	scratch_load_b128 v[92:95], off, s51
	scratch_load_b128 v[96:99], v1, off offset:-16
	s_wait_loadcnt 0x1
	ds_store_2addr_b64 v0, v[92:93], v[94:95] offset1:1
	s_wait_loadcnt 0x0
	s_clause 0x1
	scratch_store_b128 off, v[96:99], s51
	scratch_store_b128 v1, v[92:95], off offset:-16
.LBB59_488:
	s_wait_xcnt 0x0
	v_mov_b32_e32 v1, 0
	global_load_b32 v92, v1, s[16:17] offset:4
	s_wait_loadcnt 0x0
	v_cmp_eq_u32_e32 vcc_lo, 2, v92
	s_cbranch_vccnz .LBB59_490
; %bb.489:
	v_lshlrev_b32_e32 v92, 4, v92
	s_delay_alu instid0(VALU_DEP_1)
	v_mov_b32_e32 v100, v92
	s_clause 0x1
	scratch_load_b128 v[92:95], off, s52
	scratch_load_b128 v[96:99], v100, off offset:-16
	s_wait_loadcnt 0x1
	ds_store_2addr_b64 v0, v[92:93], v[94:95] offset1:1
	s_wait_loadcnt 0x0
	s_clause 0x1
	scratch_store_b128 off, v[96:99], s52
	scratch_store_b128 v100, v[92:95], off offset:-16
.LBB59_490:
	global_load_b32 v1, v1, s[16:17]
	s_wait_loadcnt 0x0
	v_cmp_eq_u32_e32 vcc_lo, 1, v1
	s_cbranch_vccnz .LBB59_492
; %bb.491:
	s_wait_xcnt 0x0
	v_lshlrev_b32_e32 v1, 4, v1
	scratch_load_b128 v[92:95], off, off
	scratch_load_b128 v[96:99], v1, off offset:-16
	s_wait_loadcnt 0x1
	ds_store_2addr_b64 v0, v[92:93], v[94:95] offset1:1
	s_wait_loadcnt 0x0
	scratch_store_b128 off, v[96:99], off
	scratch_store_b128 v1, v[92:95], off offset:-16
.LBB59_492:
	scratch_load_b128 v[92:95], off, off
	s_clause 0x1e
	scratch_load_b128 v[96:99], off, s52
	scratch_load_b128 v[100:103], off, s51
	;; [unrolled: 1-line block ×23, first 2 shown]
	; meta instruction
	; meta instruction
	;; [unrolled: 1-line block ×15, first 2 shown]
	scratch_load_b128 v[220:223], off, s42
	scratch_load_b128 v[224:227], off, s44
	;; [unrolled: 1-line block ×8, first 2 shown]
	s_wait_loadcnt 0x1f
	global_store_b128 v[14:15], v[92:95], off
	s_clause 0x1
	scratch_load_b128 v[92:95], off, s39
	scratch_load_b128 v[252:255], off, s41
	s_wait_loadcnt 0x20
	global_store_b128 v[16:17], v[96:99], off
	s_clause 0x1
	scratch_load_b128 v[14:17], off, s37
	scratch_load_b128 v[96:99], off, s38
	s_wait_loadcnt 0x21
	global_store_b128 v[160:161], v[100:103], off
	s_wait_loadcnt 0x20
	global_store_b128 v[162:163], v[104:107], off
	s_clause 0x1
	scratch_load_b128 v[100:103], off, s33
	scratch_load_b128 v[104:107], off, s35
	s_wait_loadcnt 0x21
	global_store_b128 v[158:159], v[108:111], off
	s_clause 0x1
	scratch_load_b128 v[108:111], off, s28
	scratch_load_b128 v[158:161], off, s30
	s_wait_loadcnt 0x22
	global_store_b128 v[156:157], v[112:115], off
	s_clause 0x2
	scratch_load_b128 v[112:115], off, s25
	s_set_vgpr_msb 64                       ;  msbs: dst=1 src0=0 src1=0 src2=0
	scratch_load_b128 v[0:3] /*v[256:259]*/, off, s26
	s_wait_loadcnt 0x23
	global_store_b128 v[152:153], v[116:119], off
	s_wait_loadcnt 0x22
	global_store_b128 v[154:155], v[120:123], off
	s_set_vgpr_msb 0                        ;  msbs: dst=0 src0=0 src1=0 src2=0
	s_clause 0x1
	scratch_load_b128 v[116:119], off, s22
	scratch_load_b128 v[120:123], off, s23
	s_wait_loadcnt 0x23
	global_store_b128 v[150:151], v[124:127], off
	s_clause 0x1
	scratch_load_b128 v[124:127], off, s20
	scratch_load_b128 v[150:153], off, s21
	s_wait_loadcnt 0x24
	global_store_b128 v[148:149], v[128:131], off
	s_clause 0x1
	scratch_load_b128 v[128:131], off, s14
	scratch_load_b128 v[154:157], off, s15
	s_wait_loadcnt 0x25
	global_store_b128 v[144:145], v[164:167], off
	s_wait_loadcnt 0x24
	global_store_b128 v[146:147], v[168:171], off
	s_clause 0x1
	scratch_load_b128 v[144:147], off, s12
	scratch_load_b128 v[162:165], off, s13
	s_wait_loadcnt 0x25
	global_store_b128 v[142:143], v[172:175], off
	s_clause 0x1
	scratch_load_b128 v[166:169], off, s10
	scratch_load_b128 v[170:173], off, s11
	s_wait_loadcnt 0x26
	global_store_b128 v[140:141], v[176:179], off
	s_clause 0x1
	scratch_load_b128 v[140:143], off, s8
	scratch_load_b128 v[174:177], off, s9
	s_wait_loadcnt 0x27
	global_store_b128 v[136:137], v[180:183], off
	s_wait_loadcnt 0x26
	global_store_b128 v[138:139], v[184:187], off
	;; [unrolled: 17-line block ×3, first 2 shown]
	s_wait_loadcnt 0x27
	global_store_b128 v[6:7], v[204:207], off
	s_wait_loadcnt 0x26
	global_store_b128 v[8:9], v[208:211], off
	;; [unrolled: 2-line block ×20, first 2 shown]
	s_wait_loadcnt 0x12
	s_set_vgpr_msb 4                        ;  msbs: dst=0 src0=0 src1=1 src2=0
	global_store_b128 v[52:53], v[0:3] /*v[256:259]*/, off
	s_wait_loadcnt 0x11
	s_set_vgpr_msb 0                        ;  msbs: dst=0 src0=0 src1=0 src2=0
	global_store_b128 v[54:55], v[116:119], off
	s_wait_loadcnt 0x10
	global_store_b128 v[56:57], v[120:123], off
	s_wait_loadcnt 0xf
	global_store_b128 v[58:59], v[124:127], off
	s_wait_loadcnt 0xe
	global_store_b128 v[60:61], v[150:153], off
	s_wait_loadcnt 0xd
	global_store_b128 v[62:63], v[128:131], off
	s_wait_loadcnt 0xc
	global_store_b128 v[64:65], v[154:157], off
	s_wait_loadcnt 0xb
	global_store_b128 v[66:67], v[144:147], off
	s_wait_loadcnt 0xa
	global_store_b128 v[68:69], v[162:165], off
	s_wait_loadcnt 0x9
	global_store_b128 v[70:71], v[166:169], off
	s_wait_loadcnt 0x8
	global_store_b128 v[72:73], v[170:173], off
	s_wait_loadcnt 0x7
	global_store_b128 v[74:75], v[140:143], off
	s_wait_loadcnt 0x6
	global_store_b128 v[76:77], v[174:177], off
	s_wait_loadcnt 0x5
	global_store_b128 v[78:79], v[136:139], off
	s_wait_loadcnt 0x4
	global_store_b128 v[80:81], v[178:181], off
	s_wait_loadcnt 0x3
	global_store_b128 v[82:83], v[132:135], off
	s_wait_loadcnt 0x2
	global_store_b128 v[84:85], v[182:185], off
	s_wait_loadcnt 0x1
	global_store_b128 v[86:87], v[186:189], off
	s_wait_loadcnt 0x0
	s_clause 0x1
	global_store_b128 v[88:89], v[190:193], off
	global_store_b128 v[90:91], v[248:251], off
	s_sendmsg sendmsg(MSG_DEALLOC_VGPRS)
	s_endpgm
	.section	.rodata,"a",@progbits
	.p2align	6, 0x0
	.amdhsa_kernel _ZN9rocsolver6v33100L18getri_kernel_smallILi60E19rocblas_complex_numIdEPS3_EEvT1_iilPiilS6_bb
		.amdhsa_group_segment_fixed_size 2952
		.amdhsa_private_segment_fixed_size 976
		.amdhsa_kernarg_size 60
		.amdhsa_user_sgpr_count 4
		.amdhsa_user_sgpr_dispatch_ptr 1
		.amdhsa_user_sgpr_queue_ptr 0
		.amdhsa_user_sgpr_kernarg_segment_ptr 1
		.amdhsa_user_sgpr_dispatch_id 0
		.amdhsa_user_sgpr_kernarg_preload_length 0
		.amdhsa_user_sgpr_kernarg_preload_offset 0
		.amdhsa_user_sgpr_private_segment_size 0
		.amdhsa_wavefront_size32 1
		.amdhsa_uses_dynamic_stack 0
		.amdhsa_enable_private_segment 1
		.amdhsa_system_sgpr_workgroup_id_x 1
		.amdhsa_system_sgpr_workgroup_id_y 0
		.amdhsa_system_sgpr_workgroup_id_z 0
		.amdhsa_system_sgpr_workgroup_info 0
		.amdhsa_system_vgpr_workitem_id 2
		.amdhsa_next_free_vgpr 268
		.amdhsa_next_free_sgpr 100
		.amdhsa_named_barrier_count 0
		.amdhsa_reserve_vcc 1
		.amdhsa_float_round_mode_32 0
		.amdhsa_float_round_mode_16_64 0
		.amdhsa_float_denorm_mode_32 3
		.amdhsa_float_denorm_mode_16_64 3
		.amdhsa_fp16_overflow 0
		.amdhsa_memory_ordered 1
		.amdhsa_forward_progress 1
		.amdhsa_inst_pref_size 255
		.amdhsa_round_robin_scheduling 0
		.amdhsa_exception_fp_ieee_invalid_op 0
		.amdhsa_exception_fp_denorm_src 0
		.amdhsa_exception_fp_ieee_div_zero 0
		.amdhsa_exception_fp_ieee_overflow 0
		.amdhsa_exception_fp_ieee_underflow 0
		.amdhsa_exception_fp_ieee_inexact 0
		.amdhsa_exception_int_div_zero 0
	.end_amdhsa_kernel
	.section	.text._ZN9rocsolver6v33100L18getri_kernel_smallILi60E19rocblas_complex_numIdEPS3_EEvT1_iilPiilS6_bb,"axG",@progbits,_ZN9rocsolver6v33100L18getri_kernel_smallILi60E19rocblas_complex_numIdEPS3_EEvT1_iilPiilS6_bb,comdat
.Lfunc_end59:
	.size	_ZN9rocsolver6v33100L18getri_kernel_smallILi60E19rocblas_complex_numIdEPS3_EEvT1_iilPiilS6_bb, .Lfunc_end59-_ZN9rocsolver6v33100L18getri_kernel_smallILi60E19rocblas_complex_numIdEPS3_EEvT1_iilPiilS6_bb
                                        ; -- End function
	.set _ZN9rocsolver6v33100L18getri_kernel_smallILi60E19rocblas_complex_numIdEPS3_EEvT1_iilPiilS6_bb.num_vgpr, 268
	.set _ZN9rocsolver6v33100L18getri_kernel_smallILi60E19rocblas_complex_numIdEPS3_EEvT1_iilPiilS6_bb.num_agpr, 0
	.set _ZN9rocsolver6v33100L18getri_kernel_smallILi60E19rocblas_complex_numIdEPS3_EEvT1_iilPiilS6_bb.numbered_sgpr, 100
	.set _ZN9rocsolver6v33100L18getri_kernel_smallILi60E19rocblas_complex_numIdEPS3_EEvT1_iilPiilS6_bb.num_named_barrier, 0
	.set _ZN9rocsolver6v33100L18getri_kernel_smallILi60E19rocblas_complex_numIdEPS3_EEvT1_iilPiilS6_bb.private_seg_size, 976
	.set _ZN9rocsolver6v33100L18getri_kernel_smallILi60E19rocblas_complex_numIdEPS3_EEvT1_iilPiilS6_bb.uses_vcc, 1
	.set _ZN9rocsolver6v33100L18getri_kernel_smallILi60E19rocblas_complex_numIdEPS3_EEvT1_iilPiilS6_bb.uses_flat_scratch, 1
	.set _ZN9rocsolver6v33100L18getri_kernel_smallILi60E19rocblas_complex_numIdEPS3_EEvT1_iilPiilS6_bb.has_dyn_sized_stack, 0
	.set _ZN9rocsolver6v33100L18getri_kernel_smallILi60E19rocblas_complex_numIdEPS3_EEvT1_iilPiilS6_bb.has_recursion, 0
	.set _ZN9rocsolver6v33100L18getri_kernel_smallILi60E19rocblas_complex_numIdEPS3_EEvT1_iilPiilS6_bb.has_indirect_call, 0
	.section	.AMDGPU.csdata,"",@progbits
; Kernel info:
; codeLenInByte = 129368
; TotalNumSgprs: 102
; NumVgprs: 268
; ScratchSize: 976
; MemoryBound: 0
; FloatMode: 240
; IeeeMode: 1
; LDSByteSize: 2952 bytes/workgroup (compile time only)
; SGPRBlocks: 0
; VGPRBlocks: 16
; NumSGPRsForWavesPerEU: 102
; NumVGPRsForWavesPerEU: 268
; NamedBarCnt: 0
; Occupancy: 3
; WaveLimiterHint : 1
; COMPUTE_PGM_RSRC2:SCRATCH_EN: 1
; COMPUTE_PGM_RSRC2:USER_SGPR: 4
; COMPUTE_PGM_RSRC2:TRAP_HANDLER: 0
; COMPUTE_PGM_RSRC2:TGID_X_EN: 1
; COMPUTE_PGM_RSRC2:TGID_Y_EN: 0
; COMPUTE_PGM_RSRC2:TGID_Z_EN: 0
; COMPUTE_PGM_RSRC2:TIDIG_COMP_CNT: 2
	.section	.text._ZN9rocsolver6v33100L18getri_kernel_smallILi61E19rocblas_complex_numIdEPS3_EEvT1_iilPiilS6_bb,"axG",@progbits,_ZN9rocsolver6v33100L18getri_kernel_smallILi61E19rocblas_complex_numIdEPS3_EEvT1_iilPiilS6_bb,comdat
	.globl	_ZN9rocsolver6v33100L18getri_kernel_smallILi61E19rocblas_complex_numIdEPS3_EEvT1_iilPiilS6_bb ; -- Begin function _ZN9rocsolver6v33100L18getri_kernel_smallILi61E19rocblas_complex_numIdEPS3_EEvT1_iilPiilS6_bb
	.p2align	8
	.type	_ZN9rocsolver6v33100L18getri_kernel_smallILi61E19rocblas_complex_numIdEPS3_EEvT1_iilPiilS6_bb,@function
_ZN9rocsolver6v33100L18getri_kernel_smallILi61E19rocblas_complex_numIdEPS3_EEvT1_iilPiilS6_bb: ; @_ZN9rocsolver6v33100L18getri_kernel_smallILi61E19rocblas_complex_numIdEPS3_EEvT1_iilPiilS6_bb
; %bb.0:
	v_and_b32_e32 v1, 0x3ff, v0
	s_mov_b32 s4, exec_lo
	s_delay_alu instid0(VALU_DEP_1)
	v_cmpx_gt_u32_e32 61, v1
	s_cbranch_execz .LBB60_270
; %bb.1:
	s_clause 0x2
	s_load_b32 s8, s[2:3], 0x38
	s_load_b128 s[12:15], s[2:3], 0x10
	s_load_b128 s[4:7], s[2:3], 0x28
	s_getreg_b32 s11, hwreg(HW_REG_IB_STS2, 6, 4)
                                        ; implicit-def: $sgpr16_sgpr17
	s_wait_kmcnt 0x0
	s_bitcmp1_b32 s8, 8
	s_cselect_b32 s75, -1, 0
	s_bfe_u32 s9, ttmp6, 0x4000c
	s_and_b32 s10, ttmp6, 15
	s_add_co_i32 s9, s9, 1
	s_delay_alu instid0(SALU_CYCLE_1) | instskip(NEXT) | instid1(SALU_CYCLE_1)
	s_mul_i32 s9, ttmp9, s9
	s_add_co_i32 s10, s10, s9
	s_cmp_eq_u32 s11, 0
	s_cselect_b32 s18, ttmp9, s10
	s_bfe_u32 s8, s8, 0x10008
	s_ashr_i32 s19, s18, 31
	s_cmp_eq_u32 s8, 0
	s_cbranch_scc1 .LBB60_3
; %bb.2:
	s_load_b32 s8, s[2:3], 0x20
	s_mul_u64 s[4:5], s[4:5], s[18:19]
	s_delay_alu instid0(SALU_CYCLE_1) | instskip(NEXT) | instid1(SALU_CYCLE_1)
	s_lshl_b64 s[4:5], s[4:5], 2
	s_add_nc_u64 s[4:5], s[14:15], s[4:5]
	s_wait_kmcnt 0x0
	s_ashr_i32 s9, s8, 31
	s_delay_alu instid0(SALU_CYCLE_1) | instskip(NEXT) | instid1(SALU_CYCLE_1)
	s_lshl_b64 s[8:9], s[8:9], 2
	s_add_nc_u64 s[16:17], s[4:5], s[8:9]
.LBB60_3:
	s_clause 0x1
	s_load_b128 s[8:11], s[2:3], 0x0
	s_load_b32 s4, s[2:3], 0x38
	s_wait_xcnt 0x0
	s_mul_u64 s[2:3], s[12:13], s[18:19]
	s_movk_i32 s76, 0x230
	s_lshl_b64 s[2:3], s[2:3], 4
	s_movk_i32 s77, 0x240
	s_movk_i32 s78, 0x250
	;; [unrolled: 1-line block ×15, first 2 shown]
	s_wait_kmcnt 0x0
	v_add3_u32 v20, s11, s11, v1
	s_ashr_i32 s13, s10, 31
	s_mov_b32 s12, s10
	s_add_nc_u64 s[2:3], s[8:9], s[2:3]
	s_lshl_b64 s[8:9], s[12:13], 4
	v_add_nc_u32_e32 v22, s11, v20
	s_add_nc_u64 s[8:9], s[2:3], s[8:9]
	s_ashr_i32 s3, s11, 31
	s_mov_b32 s2, s11
	global_load_b128 v[2:5], v20, s[8:9] scale_offset
	v_add_nc_u32_e32 v24, s11, v22
	s_movk_i32 s92, 0x330
	s_movk_i32 s93, 0x340
	;; [unrolled: 1-line block ×4, first 2 shown]
	v_add_nc_u32_e32 v26, s11, v24
	s_movk_i32 s96, 0x370
	s_movk_i32 s97, 0x380
	;; [unrolled: 1-line block ×4, first 2 shown]
	v_add_nc_u32_e32 v28, s11, v26
	global_load_b128 v[6:9], v22, s[8:9] scale_offset
	s_movk_i32 s100, 0x3b0
	s_movk_i32 s101, 0x3c0
	s_mov_b32 s54, 16
	v_add_nc_u32_e32 v30, s11, v28
	s_mov_b32 s53, 32
	s_mov_b32 s52, 48
	;; [unrolled: 1-line block ×3, first 2 shown]
	s_movk_i32 s74, 0x50
	v_add_nc_u32_e32 v32, s11, v30
	s_movk_i32 s73, 0x60
	s_movk_i32 s72, 0x70
	s_movk_i32 s71, 0x80
	s_movk_i32 s70, 0x90
	v_add_nc_u32_e32 v34, s11, v32
	s_movk_i32 s55, 0xa0
	s_movk_i32 s57, 0xb0
	s_movk_i32 s60, 0xc0
	;; [unrolled: 5-line block ×3, first 2 shown]
	s_movk_i32 s61, 0x110
	v_dual_add_nc_u32 v38, s11, v36 :: v_dual_lshlrev_b32 v14, 4, v1
	s_movk_i32 s64, 0x120
	s_movk_i32 s67, 0x130
	;; [unrolled: 1-line block ×3, first 2 shown]
	s_delay_alu instid0(VALU_DEP_1)
	v_add_nc_u32_e32 v40, s11, v38
	s_movk_i32 s59, 0x150
	s_movk_i32 s62, 0x160
	;; [unrolled: 1-line block ×4, first 2 shown]
	v_dual_mov_b32 v15, 0 :: v_dual_add_nc_u32 v42, s11, v40
	s_movk_i32 s46, 0x190
	s_movk_i32 s48, 0x1a0
	;; [unrolled: 1-line block ×3, first 2 shown]
	s_delay_alu instid0(VALU_DEP_1)
	v_add_nc_u32_e32 v44, s11, v42
	v_add_nc_u64_e32 v[16:17], s[8:9], v[14:15]
	s_movk_i32 s47, 0x1c0
	s_movk_i32 s49, 0x1d0
	;; [unrolled: 1-line block ×3, first 2 shown]
	v_add_nc_u32_e32 v46, s11, v44
	s_movk_i32 s43, 0x1f0
	s_movk_i32 s44, 0x200
	v_lshl_add_u64 v[18:19], s[2:3], 4, v[16:17]
	s_movk_i32 s41, 0x210
	v_add_nc_u32_e32 v48, s11, v46
	s_clause 0x6
	global_load_b128 v[10:13], v1, s[8:9] scale_offset
	global_load_b128 v[118:121], v[18:19], off
	global_load_b128 v[122:125], v24, s[8:9] scale_offset
	global_load_b128 v[126:129], v26, s[8:9] scale_offset
	;; [unrolled: 1-line block ×5, first 2 shown]
	v_add_nc_u32_e32 v50, s11, v48
	s_clause 0x4
	global_load_b128 v[142:145], v34, s[8:9] scale_offset
	global_load_b128 v[146:149], v36, s[8:9] scale_offset
	global_load_b128 v[150:153], v38, s[8:9] scale_offset
	global_load_b128 v[154:157], v40, s[8:9] scale_offset
	global_load_b128 v[158:161], v42, s[8:9] scale_offset
	s_movk_i32 s42, 0x220
	s_mov_b32 s39, s76
	v_add_nc_u32_e32 v52, s11, v50
	s_clause 0x1
	global_load_b128 v[162:165], v44, s[8:9] scale_offset
	global_load_b128 v[166:169], v46, s[8:9] scale_offset
	s_mov_b32 s40, s77
	s_mov_b32 s37, s78
	s_mov_b32 s38, s79
	v_add_nc_u32_e32 v54, s11, v52
	s_mov_b32 s35, s80
	s_mov_b32 s36, s81
	;; [unrolled: 1-line block ×4, first 2 shown]
	v_add_nc_u32_e32 v56, s11, v54
	s_clause 0x2
	global_load_b128 v[170:173], v48, s[8:9] scale_offset
	global_load_b128 v[174:177], v50, s[8:9] scale_offset
	;; [unrolled: 1-line block ×3, first 2 shown]
	s_mov_b32 s29, s84
	s_mov_b32 s31, s85
	s_clause 0x1
	global_load_b128 v[182:185], v54, s[8:9] scale_offset
	global_load_b128 v[186:189], v56, s[8:9] scale_offset
	v_add_nc_u32_e32 v58, s11, v56
	s_mov_b32 s27, s86
	s_mov_b32 s28, s87
	s_mov_b32 s23, s88
	s_mov_b32 s24, s89
	v_add_nc_u32_e32 v60, s11, v58
	s_mov_b32 s21, s90
	s_mov_b32 s22, s91
	s_mov_b32 s15, s92
	s_mov_b32 s20, s93
	;; [unrolled: 5-line block ×3, first 2 shown]
	v_add_nc_u32_e32 v64, s11, v62
	s_mov_b32 s30, s99
	s_mov_b32 s25, s100
	;; [unrolled: 1-line block ×3, first 2 shown]
	s_bitcmp0_b32 s4, 0
	v_add_nc_u32_e32 v66, s11, v64
	s_mov_b32 s3, -1
	s_delay_alu instid0(VALU_DEP_1)
	v_add_nc_u32_e32 v68, s11, v66
	s_clause 0x4
	global_load_b128 v[190:193], v58, s[8:9] scale_offset
	global_load_b128 v[194:197], v60, s[8:9] scale_offset
	;; [unrolled: 1-line block ×5, first 2 shown]
	v_add_nc_u32_e32 v70, s11, v68
	s_delay_alu instid0(VALU_DEP_1) | instskip(NEXT) | instid1(VALU_DEP_1)
	v_add_nc_u32_e32 v72, s11, v70
	v_add_nc_u32_e32 v74, s11, v72
	s_delay_alu instid0(VALU_DEP_1) | instskip(SKIP_4) | instid1(VALU_DEP_1)
	v_add_nc_u32_e32 v78, s11, v74
	s_clause 0x1
	global_load_b128 v[210:213], v68, s[8:9] scale_offset
	global_load_b128 v[214:217], v70, s[8:9] scale_offset
	v_add_nc_u32_e32 v76, s11, v78
	v_add_nc_u32_e32 v80, s11, v76
	s_clause 0x3
	global_load_b128 v[218:221], v72, s[8:9] scale_offset
	global_load_b128 v[222:225], v74, s[8:9] scale_offset
	;; [unrolled: 1-line block ×4, first 2 shown]
	v_add_nc_u32_e32 v82, s11, v80
	s_delay_alu instid0(VALU_DEP_1) | instskip(NEXT) | instid1(VALU_DEP_1)
	v_add_nc_u32_e32 v84, s11, v82
	v_add_nc_u32_e32 v86, s11, v84
	s_delay_alu instid0(VALU_DEP_1) | instskip(NEXT) | instid1(VALU_DEP_1)
	v_add_nc_u32_e32 v88, s11, v86
	v_add_nc_u32_e32 v90, s11, v88
	s_delay_alu instid0(VALU_DEP_1)
	v_add_nc_u32_e32 v92, s11, v90
	s_clause 0x3
	global_load_b128 v[234:237], v80, s[8:9] scale_offset
	global_load_b128 v[238:241], v82, s[8:9] scale_offset
	;; [unrolled: 1-line block ×4, first 2 shown]
	v_add_nc_u32_e32 v94, s11, v92
	s_delay_alu instid0(VALU_DEP_1) | instskip(NEXT) | instid1(VALU_DEP_1)
	v_add_nc_u32_e32 v96, s11, v94
	v_add_nc_u32_e32 v98, s11, v96
	s_delay_alu instid0(VALU_DEP_1) | instskip(NEXT) | instid1(VALU_DEP_1)
	v_add_nc_u32_e32 v100, s11, v98
	;; [unrolled: 3-line block ×5, first 2 shown]
	v_add_nc_u32_e32 v114, s11, v112
	s_delay_alu instid0(VALU_DEP_1)
	v_add_nc_u32_e32 v116, s11, v114
	s_wait_loadcnt 0x23
	scratch_store_b128 off, v[2:5], off offset:32
	s_clause 0x1
	global_load_b128 v[2:5], v88, s[8:9] scale_offset
	global_load_b128 v[250:253], v90, s[8:9] scale_offset
	s_wait_loadcnt 0x24
	scratch_store_b128 off, v[6:9], off offset:48
	s_wait_loadcnt 0x23
	scratch_store_b128 off, v[10:13], off
	s_wait_loadcnt 0x22
	scratch_store_b128 off, v[118:121], off offset:16
	s_wait_xcnt 0x0
	v_add_nc_u32_e32 v118, s11, v116
	s_clause 0x1
	global_load_b128 v[6:9], v92, s[8:9] scale_offset
	global_load_b128 v[10:13], v94, s[8:9] scale_offset
	s_wait_loadcnt 0x23
	scratch_store_b128 off, v[122:125], off offset:64
	s_wait_loadcnt 0x22
	scratch_store_b128 off, v[126:129], off offset:80
	s_clause 0x2
	global_load_b128 v[254:257], v96, s[8:9] scale_offset
	s_set_vgpr_msb 64                       ;  msbs: dst=1 src0=0 src1=0 src2=0
	global_load_b128 v[2:5] /*v[258:261]*/, v98, s[8:9] scale_offset
	s_wait_loadcnt 0x23
	scratch_store_b128 off, v[130:133], off offset:96
	s_set_vgpr_msb 0                        ;  msbs: dst=0 src0=0 src1=0 src2=0
	v_add_nc_u32_e32 v120, s11, v118
	s_wait_loadcnt 0x22
	scratch_store_b128 off, v[134:137], off offset:112
	s_wait_loadcnt 0x21
	scratch_store_b128 off, v[138:141], off offset:128
	s_clause 0x2
	global_load_b128 v[138:141], v100, s[8:9] scale_offset
	s_set_vgpr_msb 64                       ;  msbs: dst=1 src0=0 src1=0 src2=0
	global_load_b128 v[6:9] /*v[262:265]*/, v102, s[8:9] scale_offset
	s_wait_loadcnt 0x22
	scratch_store_b128 off, v[142:145], off offset:144
	s_wait_loadcnt 0x21
	scratch_store_b128 off, v[146:149], off offset:160
	s_set_vgpr_msb 0                        ;  msbs: dst=0 src0=0 src1=0 src2=0
	s_clause 0x1
	global_load_b128 v[142:145], v104, s[8:9] scale_offset
	global_load_b128 v[146:149], v106, s[8:9] scale_offset
	v_add_nc_u32_e32 v122, s11, v120
	s_wait_loadcnt 0x22
	scratch_store_b128 off, v[150:153], off offset:176
	s_wait_loadcnt 0x21
	scratch_store_b128 off, v[154:157], off offset:192
	;; [unrolled: 2-line block ×3, first 2 shown]
	s_clause 0x1
	global_load_b128 v[150:153], v108, s[8:9] scale_offset
	global_load_b128 v[154:157], v110, s[8:9] scale_offset
	s_wait_loadcnt 0x21
	scratch_store_b128 off, v[162:165], off offset:224
	s_wait_loadcnt 0x20
	scratch_store_b128 off, v[166:169], off offset:240
	v_add_nc_u32_e32 v124, s11, v122
	s_clause 0x1
	global_load_b128 v[158:161], v112, s[8:9] scale_offset
	global_load_b128 v[162:165], v114, s[8:9] scale_offset
	s_wait_loadcnt 0x21
	scratch_store_b128 off, v[170:173], off offset:256
	s_wait_loadcnt 0x20
	scratch_store_b128 off, v[174:177], off offset:272
	;; [unrolled: 2-line block ×3, first 2 shown]
	s_clause 0x1
	global_load_b128 v[166:169], v116, s[8:9] scale_offset
	global_load_b128 v[170:173], v118, s[8:9] scale_offset
	v_add_nc_u32_e32 v126, s11, v124
	s_wait_loadcnt 0x20
	scratch_store_b128 off, v[182:185], off offset:304
	s_wait_loadcnt 0x1f
	scratch_store_b128 off, v[186:189], off offset:320
	v_add_nc_u32_e32 v128, s11, v126
	s_clause 0x1
	global_load_b128 v[174:177], v120, s[8:9] scale_offset
	global_load_b128 v[178:181], v122, s[8:9] scale_offset
	v_add_nc_u32_e32 v130, s11, v128
	s_delay_alu instid0(VALU_DEP_1) | instskip(NEXT) | instid1(VALU_DEP_1)
	v_add_nc_u32_e32 v132, s11, v130
	v_add_nc_u32_e32 v134, s11, v132
	s_delay_alu instid0(VALU_DEP_1)
	v_add_nc_u32_e32 v136, s11, v134
	s_wait_loadcnt 0x20
	scratch_store_b128 off, v[190:193], off offset:336
	s_wait_loadcnt 0x1f
	scratch_store_b128 off, v[194:197], off offset:352
	;; [unrolled: 2-line block ×3, first 2 shown]
	s_clause 0x1
	global_load_b128 v[182:185], v124, s[8:9] scale_offset
	global_load_b128 v[186:189], v126, s[8:9] scale_offset
	s_wait_loadcnt 0x1f
	scratch_store_b128 off, v[202:205], off offset:384
	s_wait_loadcnt 0x1e
	scratch_store_b128 off, v[206:209], off offset:400
	s_clause 0x1
	global_load_b128 v[190:193], v128, s[8:9] scale_offset
	global_load_b128 v[194:197], v130, s[8:9] scale_offset
	s_mov_b32 s11, s96
	s_wait_loadcnt 0x1f
	scratch_store_b128 off, v[210:213], off offset:416
	s_wait_loadcnt 0x1e
	scratch_store_b128 off, v[214:217], off offset:432
	s_clause 0x2
	global_load_b128 v[198:201], v132, s[8:9] scale_offset
	global_load_b128 v[202:205], v134, s[8:9] scale_offset
	;; [unrolled: 1-line block ×3, first 2 shown]
	s_wait_loadcnt 0x20
	scratch_store_b128 off, v[218:221], off offset:448
	s_wait_loadcnt 0x1f
	scratch_store_b128 off, v[222:225], off offset:464
	;; [unrolled: 2-line block ×13, first 2 shown]
	s_wait_loadcnt 0x13
	s_set_vgpr_msb 4                        ;  msbs: dst=0 src0=0 src1=1 src2=0
	scratch_store_b128 off, v[2:5] /*v[258:261]*/, off offset:656
	s_wait_loadcnt 0x12
	s_set_vgpr_msb 0                        ;  msbs: dst=0 src0=0 src1=0 src2=0
	scratch_store_b128 off, v[138:141], off offset:672
	s_wait_loadcnt 0x11
	s_set_vgpr_msb 4                        ;  msbs: dst=0 src0=0 src1=1 src2=0
	scratch_store_b128 off, v[6:9] /*v[262:265]*/, off offset:688
	s_wait_loadcnt 0x10
	s_set_vgpr_msb 0                        ;  msbs: dst=0 src0=0 src1=0 src2=0
	scratch_store_b128 off, v[142:145], off offset:704
	s_wait_loadcnt 0xf
	scratch_store_b128 off, v[146:149], off offset:720
	s_wait_loadcnt 0xe
	scratch_store_b128 off, v[150:153], off offset:736
	s_wait_loadcnt 0xd
	scratch_store_b128 off, v[154:157], off offset:752
	s_wait_loadcnt 0xc
	scratch_store_b128 off, v[158:161], off offset:768
	s_wait_loadcnt 0xb
	scratch_store_b128 off, v[162:165], off offset:784
	s_wait_loadcnt 0xa
	scratch_store_b128 off, v[166:169], off offset:800
	s_wait_loadcnt 0x9
	scratch_store_b128 off, v[170:173], off offset:816
	s_wait_loadcnt 0x8
	scratch_store_b128 off, v[174:177], off offset:832
	s_wait_loadcnt 0x7
	scratch_store_b128 off, v[178:181], off offset:848
	s_wait_loadcnt 0x6
	scratch_store_b128 off, v[182:185], off offset:864
	s_wait_loadcnt 0x5
	scratch_store_b128 off, v[186:189], off offset:880
	s_wait_loadcnt 0x4
	scratch_store_b128 off, v[190:193], off offset:896
	s_wait_loadcnt 0x3
	scratch_store_b128 off, v[194:197], off offset:912
	s_wait_loadcnt 0x2
	scratch_store_b128 off, v[198:201], off offset:928
	s_wait_loadcnt 0x1
	scratch_store_b128 off, v[202:205], off offset:944
	s_wait_loadcnt 0x0
	scratch_store_b128 off, v[206:209], off offset:960
	s_cbranch_scc1 .LBB60_268
; %bb.4:
	v_cmp_eq_u32_e64 s2, 0, v1
	s_wait_xcnt 0x0
	s_and_saveexec_b32 s3, s2
; %bb.5:
	v_mov_b32_e32 v2, 0
	ds_store_b32 v2, v2 offset:1952
; %bb.6:
	s_or_b32 exec_lo, exec_lo, s3
	s_wait_storecnt_dscnt 0x0
	s_barrier_signal -1
	s_barrier_wait -1
	scratch_load_b128 v[2:5], v1, off scale_offset
	s_wait_loadcnt 0x0
	v_cmp_eq_f64_e32 vcc_lo, 0, v[2:3]
	v_cmp_eq_f64_e64 s3, 0, v[4:5]
	s_and_b32 s3, vcc_lo, s3
	s_delay_alu instid0(SALU_CYCLE_1)
	s_and_saveexec_b32 s4, s3
	s_cbranch_execz .LBB60_10
; %bb.7:
	v_mov_b32_e32 v2, 0
	s_mov_b32 s5, 0
	ds_load_b32 v3, v2 offset:1952
	s_wait_dscnt 0x0
	v_readfirstlane_b32 s3, v3
	v_add_nc_u32_e32 v3, 1, v1
	s_cmp_eq_u32 s3, 0
	s_delay_alu instid0(VALU_DEP_1) | instskip(SKIP_1) | instid1(SALU_CYCLE_1)
	v_cmp_gt_i32_e32 vcc_lo, s3, v3
	s_cselect_b32 s76, -1, 0
	s_or_b32 s76, s76, vcc_lo
	s_delay_alu instid0(SALU_CYCLE_1)
	s_and_b32 exec_lo, exec_lo, s76
	s_cbranch_execz .LBB60_10
; %bb.8:
	v_mov_b32_e32 v4, s3
.LBB60_9:                               ; =>This Inner Loop Header: Depth=1
	ds_cmpstore_rtn_b32 v4, v2, v3, v4 offset:1952
	s_wait_dscnt 0x0
	v_cmp_ne_u32_e32 vcc_lo, 0, v4
	v_cmp_le_i32_e64 s3, v4, v3
	s_and_b32 s3, vcc_lo, s3
	s_delay_alu instid0(SALU_CYCLE_1) | instskip(NEXT) | instid1(SALU_CYCLE_1)
	s_and_b32 s3, exec_lo, s3
	s_or_b32 s5, s3, s5
	s_delay_alu instid0(SALU_CYCLE_1)
	s_and_not1_b32 exec_lo, exec_lo, s5
	s_cbranch_execnz .LBB60_9
.LBB60_10:
	s_or_b32 exec_lo, exec_lo, s4
	v_mov_b32_e32 v2, 0
	s_barrier_signal -1
	s_barrier_wait -1
	ds_load_b32 v3, v2 offset:1952
	s_and_saveexec_b32 s3, s2
	s_cbranch_execz .LBB60_12
; %bb.11:
	s_lshl_b64 s[4:5], s[18:19], 2
	s_delay_alu instid0(SALU_CYCLE_1)
	s_add_nc_u64 s[4:5], s[6:7], s[4:5]
	s_wait_dscnt 0x0
	global_store_b32 v2, v3, s[4:5]
.LBB60_12:
	s_wait_xcnt 0x0
	s_or_b32 exec_lo, exec_lo, s3
	s_wait_dscnt 0x0
	v_cmp_ne_u32_e32 vcc_lo, 0, v3
	s_mov_b32 s3, 0
	s_cbranch_vccnz .LBB60_268
; %bb.13:
	v_lshl_add_u32 v15, v1, 4, 0
                                        ; implicit-def: $vgpr6_vgpr7
                                        ; implicit-def: $vgpr10_vgpr11
	scratch_load_b128 v[2:5], v15, off
	s_wait_loadcnt 0x0
	v_cmp_ngt_f64_e64 s3, |v[2:3]|, |v[4:5]|
	s_wait_xcnt 0x0
	s_and_saveexec_b32 s4, s3
	s_delay_alu instid0(SALU_CYCLE_1)
	s_xor_b32 s3, exec_lo, s4
	s_cbranch_execz .LBB60_15
; %bb.14:
	v_div_scale_f64 v[6:7], null, v[4:5], v[4:5], v[2:3]
	v_div_scale_f64 v[12:13], vcc_lo, v[2:3], v[4:5], v[2:3]
	s_delay_alu instid0(VALU_DEP_2) | instskip(SKIP_1) | instid1(TRANS32_DEP_1)
	v_rcp_f64_e32 v[8:9], v[6:7]
	v_nop
	v_fma_f64 v[10:11], -v[6:7], v[8:9], 1.0
	s_delay_alu instid0(VALU_DEP_1) | instskip(NEXT) | instid1(VALU_DEP_1)
	v_fmac_f64_e32 v[8:9], v[8:9], v[10:11]
	v_fma_f64 v[10:11], -v[6:7], v[8:9], 1.0
	s_delay_alu instid0(VALU_DEP_1) | instskip(NEXT) | instid1(VALU_DEP_1)
	v_fmac_f64_e32 v[8:9], v[8:9], v[10:11]
	v_mul_f64_e32 v[10:11], v[12:13], v[8:9]
	s_delay_alu instid0(VALU_DEP_1) | instskip(NEXT) | instid1(VALU_DEP_1)
	v_fma_f64 v[6:7], -v[6:7], v[10:11], v[12:13]
	v_div_fmas_f64 v[6:7], v[6:7], v[8:9], v[10:11]
	s_delay_alu instid0(VALU_DEP_1) | instskip(NEXT) | instid1(VALU_DEP_1)
	v_div_fixup_f64 v[6:7], v[6:7], v[4:5], v[2:3]
	v_fmac_f64_e32 v[4:5], v[2:3], v[6:7]
	s_delay_alu instid0(VALU_DEP_1) | instskip(SKIP_1) | instid1(VALU_DEP_2)
	v_div_scale_f64 v[2:3], null, v[4:5], v[4:5], 1.0
	v_div_scale_f64 v[12:13], vcc_lo, 1.0, v[4:5], 1.0
	v_rcp_f64_e32 v[8:9], v[2:3]
	v_nop
	s_delay_alu instid0(TRANS32_DEP_1) | instskip(NEXT) | instid1(VALU_DEP_1)
	v_fma_f64 v[10:11], -v[2:3], v[8:9], 1.0
	v_fmac_f64_e32 v[8:9], v[8:9], v[10:11]
	s_delay_alu instid0(VALU_DEP_1) | instskip(NEXT) | instid1(VALU_DEP_1)
	v_fma_f64 v[10:11], -v[2:3], v[8:9], 1.0
	v_fmac_f64_e32 v[8:9], v[8:9], v[10:11]
	s_delay_alu instid0(VALU_DEP_1) | instskip(NEXT) | instid1(VALU_DEP_1)
	v_mul_f64_e32 v[10:11], v[12:13], v[8:9]
	v_fma_f64 v[2:3], -v[2:3], v[10:11], v[12:13]
	s_delay_alu instid0(VALU_DEP_1) | instskip(NEXT) | instid1(VALU_DEP_1)
	v_div_fmas_f64 v[2:3], v[2:3], v[8:9], v[10:11]
	v_div_fixup_f64 v[8:9], v[2:3], v[4:5], 1.0
                                        ; implicit-def: $vgpr2_vgpr3
	s_delay_alu instid0(VALU_DEP_1) | instskip(SKIP_1) | instid1(VALU_DEP_2)
	v_mul_f64_e32 v[6:7], v[6:7], v[8:9]
	v_xor_b32_e32 v9, 0x80000000, v9
	v_xor_b32_e32 v11, 0x80000000, v7
	s_delay_alu instid0(VALU_DEP_3)
	v_mov_b32_e32 v10, v6
.LBB60_15:
	s_and_not1_saveexec_b32 s3, s3
	s_cbranch_execz .LBB60_17
; %bb.16:
	v_div_scale_f64 v[6:7], null, v[2:3], v[2:3], v[4:5]
	v_div_scale_f64 v[12:13], vcc_lo, v[4:5], v[2:3], v[4:5]
	s_delay_alu instid0(VALU_DEP_2) | instskip(SKIP_1) | instid1(TRANS32_DEP_1)
	v_rcp_f64_e32 v[8:9], v[6:7]
	v_nop
	v_fma_f64 v[10:11], -v[6:7], v[8:9], 1.0
	s_delay_alu instid0(VALU_DEP_1) | instskip(NEXT) | instid1(VALU_DEP_1)
	v_fmac_f64_e32 v[8:9], v[8:9], v[10:11]
	v_fma_f64 v[10:11], -v[6:7], v[8:9], 1.0
	s_delay_alu instid0(VALU_DEP_1) | instskip(NEXT) | instid1(VALU_DEP_1)
	v_fmac_f64_e32 v[8:9], v[8:9], v[10:11]
	v_mul_f64_e32 v[10:11], v[12:13], v[8:9]
	s_delay_alu instid0(VALU_DEP_1) | instskip(NEXT) | instid1(VALU_DEP_1)
	v_fma_f64 v[6:7], -v[6:7], v[10:11], v[12:13]
	v_div_fmas_f64 v[6:7], v[6:7], v[8:9], v[10:11]
	s_delay_alu instid0(VALU_DEP_1) | instskip(NEXT) | instid1(VALU_DEP_1)
	v_div_fixup_f64 v[8:9], v[6:7], v[2:3], v[4:5]
	v_fmac_f64_e32 v[2:3], v[4:5], v[8:9]
	s_delay_alu instid0(VALU_DEP_1) | instskip(NEXT) | instid1(VALU_DEP_1)
	v_div_scale_f64 v[4:5], null, v[2:3], v[2:3], 1.0
	v_rcp_f64_e32 v[6:7], v[4:5]
	v_nop
	s_delay_alu instid0(TRANS32_DEP_1) | instskip(NEXT) | instid1(VALU_DEP_1)
	v_fma_f64 v[10:11], -v[4:5], v[6:7], 1.0
	v_fmac_f64_e32 v[6:7], v[6:7], v[10:11]
	s_delay_alu instid0(VALU_DEP_1) | instskip(NEXT) | instid1(VALU_DEP_1)
	v_fma_f64 v[10:11], -v[4:5], v[6:7], 1.0
	v_fmac_f64_e32 v[6:7], v[6:7], v[10:11]
	v_div_scale_f64 v[10:11], vcc_lo, 1.0, v[2:3], 1.0
	s_delay_alu instid0(VALU_DEP_1) | instskip(NEXT) | instid1(VALU_DEP_1)
	v_mul_f64_e32 v[12:13], v[10:11], v[6:7]
	v_fma_f64 v[4:5], -v[4:5], v[12:13], v[10:11]
	s_delay_alu instid0(VALU_DEP_1) | instskip(NEXT) | instid1(VALU_DEP_1)
	v_div_fmas_f64 v[4:5], v[4:5], v[6:7], v[12:13]
	v_div_fixup_f64 v[6:7], v[4:5], v[2:3], 1.0
	s_delay_alu instid0(VALU_DEP_1)
	v_mul_f64_e64 v[8:9], v[8:9], -v[6:7]
	v_xor_b32_e32 v11, 0x80000000, v7
	v_mov_b32_e32 v10, v6
.LBB60_17:
	s_or_b32 exec_lo, exec_lo, s3
	s_clause 0x1
	scratch_store_b128 v15, v[6:9], off
	scratch_load_b128 v[2:5], off, s54
	v_xor_b32_e32 v13, 0x80000000, v9
	v_mov_b32_e32 v12, v8
	s_wait_xcnt 0x1
	v_add_nc_u32_e32 v6, 0x3d0, v14
	ds_store_b128 v14, v[10:13]
	s_wait_loadcnt 0x0
	ds_store_b128 v14, v[2:5] offset:976
	s_wait_storecnt_dscnt 0x0
	s_barrier_signal -1
	s_barrier_wait -1
	s_wait_xcnt 0x0
	s_and_saveexec_b32 s3, s2
	s_cbranch_execz .LBB60_19
; %bb.18:
	scratch_load_b128 v[2:5], v15, off
	ds_load_b128 v[8:11], v6
	v_mov_b32_e32 v7, 0
	ds_load_b128 v[138:141], v7 offset:16
	s_wait_loadcnt_dscnt 0x1
	v_mul_f64_e32 v[12:13], v[8:9], v[4:5]
	v_mul_f64_e32 v[4:5], v[10:11], v[4:5]
	s_delay_alu instid0(VALU_DEP_2) | instskip(NEXT) | instid1(VALU_DEP_2)
	v_fmac_f64_e32 v[12:13], v[10:11], v[2:3]
	v_fma_f64 v[2:3], v[8:9], v[2:3], -v[4:5]
	s_delay_alu instid0(VALU_DEP_2) | instskip(NEXT) | instid1(VALU_DEP_2)
	v_add_f64_e32 v[8:9], 0, v[12:13]
	v_add_f64_e32 v[2:3], 0, v[2:3]
	s_wait_dscnt 0x0
	s_delay_alu instid0(VALU_DEP_2) | instskip(NEXT) | instid1(VALU_DEP_2)
	v_mul_f64_e32 v[10:11], v[8:9], v[140:141]
	v_mul_f64_e32 v[4:5], v[2:3], v[140:141]
	s_delay_alu instid0(VALU_DEP_2) | instskip(NEXT) | instid1(VALU_DEP_2)
	v_fma_f64 v[2:3], v[2:3], v[138:139], -v[10:11]
	v_fmac_f64_e32 v[4:5], v[8:9], v[138:139]
	scratch_store_b128 off, v[2:5], off offset:16
.LBB60_19:
	s_wait_xcnt 0x0
	s_or_b32 exec_lo, exec_lo, s3
	s_wait_storecnt 0x0
	s_barrier_signal -1
	s_barrier_wait -1
	scratch_load_b128 v[2:5], off, s53
	v_cmp_gt_u32_e32 vcc_lo, 2, v1
	s_wait_loadcnt 0x0
	ds_store_b128 v6, v[2:5]
	s_wait_dscnt 0x0
	s_barrier_signal -1
	s_barrier_wait -1
	s_and_saveexec_b32 s3, vcc_lo
	s_cbranch_execz .LBB60_23
; %bb.20:
	scratch_load_b128 v[2:5], v15, off
	ds_load_b128 v[8:11], v6
	s_wait_loadcnt_dscnt 0x0
	v_mul_f64_e32 v[12:13], v[10:11], v[4:5]
	v_mul_f64_e32 v[138:139], v[8:9], v[4:5]
	s_delay_alu instid0(VALU_DEP_2) | instskip(NEXT) | instid1(VALU_DEP_2)
	v_fma_f64 v[4:5], v[8:9], v[2:3], -v[12:13]
	v_fmac_f64_e32 v[138:139], v[10:11], v[2:3]
	s_delay_alu instid0(VALU_DEP_2) | instskip(NEXT) | instid1(VALU_DEP_2)
	v_add_f64_e32 v[4:5], 0, v[4:5]
	v_add_f64_e32 v[2:3], 0, v[138:139]
	s_and_saveexec_b32 s4, s2
	s_cbranch_execz .LBB60_22
; %bb.21:
	scratch_load_b128 v[8:11], off, off offset:16
	v_mov_b32_e32 v7, 0
	ds_load_b128 v[138:141], v7 offset:992
	s_wait_loadcnt_dscnt 0x0
	v_mul_f64_e32 v[12:13], v[138:139], v[10:11]
	v_mul_f64_e32 v[10:11], v[140:141], v[10:11]
	s_delay_alu instid0(VALU_DEP_2) | instskip(NEXT) | instid1(VALU_DEP_2)
	v_fmac_f64_e32 v[12:13], v[140:141], v[8:9]
	v_fma_f64 v[8:9], v[138:139], v[8:9], -v[10:11]
	s_delay_alu instid0(VALU_DEP_2) | instskip(NEXT) | instid1(VALU_DEP_2)
	v_add_f64_e32 v[2:3], v[2:3], v[12:13]
	v_add_f64_e32 v[4:5], v[4:5], v[8:9]
.LBB60_22:
	s_or_b32 exec_lo, exec_lo, s4
	v_mov_b32_e32 v7, 0
	ds_load_b128 v[8:11], v7 offset:32
	s_wait_dscnt 0x0
	v_mul_f64_e32 v[138:139], v[2:3], v[10:11]
	v_mul_f64_e32 v[12:13], v[4:5], v[10:11]
	s_delay_alu instid0(VALU_DEP_2) | instskip(NEXT) | instid1(VALU_DEP_2)
	v_fma_f64 v[10:11], v[4:5], v[8:9], -v[138:139]
	v_fmac_f64_e32 v[12:13], v[2:3], v[8:9]
	scratch_store_b128 off, v[10:13], off offset:32
.LBB60_23:
	s_wait_xcnt 0x0
	s_or_b32 exec_lo, exec_lo, s3
	s_wait_storecnt 0x0
	s_barrier_signal -1
	s_barrier_wait -1
	scratch_load_b128 v[2:5], off, s52
	v_add_nc_u32_e32 v7, -1, v1
	s_mov_b32 s4, exec_lo
	s_wait_loadcnt 0x0
	ds_store_b128 v6, v[2:5]
	s_wait_dscnt 0x0
	s_barrier_signal -1
	s_barrier_wait -1
	v_cmpx_gt_u32_e32 3, v1
	s_cbranch_execz .LBB60_27
; %bb.24:
	v_dual_mov_b32 v10, v14 :: v_dual_add_nc_u32 v8, -1, v1
	v_mov_b64_e32 v[2:3], 0
	v_mov_b64_e32 v[4:5], 0
	v_add_nc_u32_e32 v9, 0x3d0, v14
	s_delay_alu instid0(VALU_DEP_4)
	v_or_b32_e32 v10, 8, v10
	s_mov_b32 s5, 0
.LBB60_25:                              ; =>This Inner Loop Header: Depth=1
	scratch_load_b128 v[138:141], v10, off offset:-8
	ds_load_b128 v[142:145], v9
	s_wait_xcnt 0x0
	v_dual_add_nc_u32 v9, 16, v9 :: v_dual_add_nc_u32 v10, 16, v10
	v_add_nc_u32_e32 v8, 1, v8
	s_delay_alu instid0(VALU_DEP_1) | instskip(SKIP_4) | instid1(VALU_DEP_2)
	v_cmp_lt_u32_e64 s3, 1, v8
	s_or_b32 s5, s3, s5
	s_wait_loadcnt_dscnt 0x0
	v_mul_f64_e32 v[12:13], v[144:145], v[140:141]
	v_mul_f64_e32 v[140:141], v[142:143], v[140:141]
	v_fma_f64 v[12:13], v[142:143], v[138:139], -v[12:13]
	s_delay_alu instid0(VALU_DEP_2) | instskip(NEXT) | instid1(VALU_DEP_2)
	v_fmac_f64_e32 v[140:141], v[144:145], v[138:139]
	v_add_f64_e32 v[4:5], v[4:5], v[12:13]
	s_delay_alu instid0(VALU_DEP_2)
	v_add_f64_e32 v[2:3], v[2:3], v[140:141]
	s_and_not1_b32 exec_lo, exec_lo, s5
	s_cbranch_execnz .LBB60_25
; %bb.26:
	s_or_b32 exec_lo, exec_lo, s5
	v_mov_b32_e32 v8, 0
	ds_load_b128 v[8:11], v8 offset:48
	s_wait_dscnt 0x0
	v_mul_f64_e32 v[138:139], v[2:3], v[10:11]
	v_mul_f64_e32 v[12:13], v[4:5], v[10:11]
	s_delay_alu instid0(VALU_DEP_2) | instskip(NEXT) | instid1(VALU_DEP_2)
	v_fma_f64 v[10:11], v[4:5], v[8:9], -v[138:139]
	v_fmac_f64_e32 v[12:13], v[2:3], v[8:9]
	scratch_store_b128 off, v[10:13], off offset:48
.LBB60_27:
	s_wait_xcnt 0x0
	s_or_b32 exec_lo, exec_lo, s4
	s_wait_storecnt 0x0
	s_barrier_signal -1
	s_barrier_wait -1
	scratch_load_b128 v[2:5], off, s51
	v_cmp_gt_u32_e64 s3, 4, v1
	s_wait_loadcnt 0x0
	ds_store_b128 v6, v[2:5]
	s_wait_dscnt 0x0
	s_barrier_signal -1
	s_barrier_wait -1
	s_and_saveexec_b32 s5, s3
	s_cbranch_execz .LBB60_31
; %bb.28:
	v_dual_mov_b32 v10, v14 :: v_dual_add_nc_u32 v8, -1, v1
	v_mov_b64_e32 v[2:3], 0
	v_mov_b64_e32 v[4:5], 0
	v_add_nc_u32_e32 v9, 0x3d0, v14
	s_delay_alu instid0(VALU_DEP_4)
	v_or_b32_e32 v10, 8, v10
	s_mov_b32 s76, 0
.LBB60_29:                              ; =>This Inner Loop Header: Depth=1
	scratch_load_b128 v[138:141], v10, off offset:-8
	ds_load_b128 v[142:145], v9
	s_wait_xcnt 0x0
	v_dual_add_nc_u32 v9, 16, v9 :: v_dual_add_nc_u32 v10, 16, v10
	v_add_nc_u32_e32 v8, 1, v8
	s_delay_alu instid0(VALU_DEP_1) | instskip(SKIP_4) | instid1(VALU_DEP_2)
	v_cmp_lt_u32_e64 s4, 2, v8
	s_or_b32 s76, s4, s76
	s_wait_loadcnt_dscnt 0x0
	v_mul_f64_e32 v[12:13], v[144:145], v[140:141]
	v_mul_f64_e32 v[140:141], v[142:143], v[140:141]
	v_fma_f64 v[12:13], v[142:143], v[138:139], -v[12:13]
	s_delay_alu instid0(VALU_DEP_2) | instskip(NEXT) | instid1(VALU_DEP_2)
	v_fmac_f64_e32 v[140:141], v[144:145], v[138:139]
	v_add_f64_e32 v[4:5], v[4:5], v[12:13]
	s_delay_alu instid0(VALU_DEP_2)
	v_add_f64_e32 v[2:3], v[2:3], v[140:141]
	s_and_not1_b32 exec_lo, exec_lo, s76
	s_cbranch_execnz .LBB60_29
; %bb.30:
	s_or_b32 exec_lo, exec_lo, s76
	v_mov_b32_e32 v8, 0
	ds_load_b128 v[8:11], v8 offset:64
	s_wait_dscnt 0x0
	v_mul_f64_e32 v[138:139], v[2:3], v[10:11]
	v_mul_f64_e32 v[12:13], v[4:5], v[10:11]
	s_delay_alu instid0(VALU_DEP_2) | instskip(NEXT) | instid1(VALU_DEP_2)
	v_fma_f64 v[10:11], v[4:5], v[8:9], -v[138:139]
	v_fmac_f64_e32 v[12:13], v[2:3], v[8:9]
	scratch_store_b128 off, v[10:13], off offset:64
.LBB60_31:
	s_wait_xcnt 0x0
	s_or_b32 exec_lo, exec_lo, s5
	s_wait_storecnt 0x0
	s_barrier_signal -1
	s_barrier_wait -1
	scratch_load_b128 v[2:5], off, s74
	s_mov_b32 s5, exec_lo
	s_wait_loadcnt 0x0
	ds_store_b128 v6, v[2:5]
	s_wait_dscnt 0x0
	s_barrier_signal -1
	s_barrier_wait -1
	v_cmpx_gt_u32_e32 5, v1
	s_cbranch_execz .LBB60_35
; %bb.32:
	v_dual_mov_b32 v10, v14 :: v_dual_add_nc_u32 v8, -1, v1
	v_mov_b64_e32 v[2:3], 0
	v_mov_b64_e32 v[4:5], 0
	v_add_nc_u32_e32 v9, 0x3d0, v14
	s_delay_alu instid0(VALU_DEP_4)
	v_or_b32_e32 v10, 8, v10
	s_mov_b32 s76, 0
.LBB60_33:                              ; =>This Inner Loop Header: Depth=1
	scratch_load_b128 v[138:141], v10, off offset:-8
	ds_load_b128 v[142:145], v9
	s_wait_xcnt 0x0
	v_dual_add_nc_u32 v9, 16, v9 :: v_dual_add_nc_u32 v10, 16, v10
	v_add_nc_u32_e32 v8, 1, v8
	s_delay_alu instid0(VALU_DEP_1) | instskip(SKIP_4) | instid1(VALU_DEP_2)
	v_cmp_lt_u32_e64 s4, 3, v8
	s_or_b32 s76, s4, s76
	s_wait_loadcnt_dscnt 0x0
	v_mul_f64_e32 v[12:13], v[144:145], v[140:141]
	v_mul_f64_e32 v[140:141], v[142:143], v[140:141]
	v_fma_f64 v[12:13], v[142:143], v[138:139], -v[12:13]
	s_delay_alu instid0(VALU_DEP_2) | instskip(NEXT) | instid1(VALU_DEP_2)
	v_fmac_f64_e32 v[140:141], v[144:145], v[138:139]
	v_add_f64_e32 v[4:5], v[4:5], v[12:13]
	s_delay_alu instid0(VALU_DEP_2)
	v_add_f64_e32 v[2:3], v[2:3], v[140:141]
	s_and_not1_b32 exec_lo, exec_lo, s76
	s_cbranch_execnz .LBB60_33
; %bb.34:
	s_or_b32 exec_lo, exec_lo, s76
	v_mov_b32_e32 v8, 0
	ds_load_b128 v[8:11], v8 offset:80
	s_wait_dscnt 0x0
	v_mul_f64_e32 v[138:139], v[2:3], v[10:11]
	v_mul_f64_e32 v[12:13], v[4:5], v[10:11]
	s_delay_alu instid0(VALU_DEP_2) | instskip(NEXT) | instid1(VALU_DEP_2)
	v_fma_f64 v[10:11], v[4:5], v[8:9], -v[138:139]
	v_fmac_f64_e32 v[12:13], v[2:3], v[8:9]
	scratch_store_b128 off, v[10:13], off offset:80
.LBB60_35:
	s_wait_xcnt 0x0
	s_or_b32 exec_lo, exec_lo, s5
	s_wait_storecnt 0x0
	s_barrier_signal -1
	s_barrier_wait -1
	scratch_load_b128 v[2:5], off, s73
	v_cmp_gt_u32_e64 s4, 6, v1
	s_wait_loadcnt 0x0
	ds_store_b128 v6, v[2:5]
	s_wait_dscnt 0x0
	s_barrier_signal -1
	s_barrier_wait -1
	s_and_saveexec_b32 s76, s4
	s_cbranch_execz .LBB60_39
; %bb.36:
	v_dual_mov_b32 v10, v14 :: v_dual_add_nc_u32 v8, -1, v1
	v_mov_b64_e32 v[2:3], 0
	v_mov_b64_e32 v[4:5], 0
	v_add_nc_u32_e32 v9, 0x3d0, v14
	s_delay_alu instid0(VALU_DEP_4)
	v_or_b32_e32 v10, 8, v10
	s_mov_b32 s77, 0
.LBB60_37:                              ; =>This Inner Loop Header: Depth=1
	scratch_load_b128 v[138:141], v10, off offset:-8
	ds_load_b128 v[142:145], v9
	s_wait_xcnt 0x0
	v_dual_add_nc_u32 v9, 16, v9 :: v_dual_add_nc_u32 v10, 16, v10
	v_add_nc_u32_e32 v8, 1, v8
	s_delay_alu instid0(VALU_DEP_1) | instskip(SKIP_4) | instid1(VALU_DEP_2)
	v_cmp_lt_u32_e64 s5, 4, v8
	s_or_b32 s77, s5, s77
	s_wait_loadcnt_dscnt 0x0
	v_mul_f64_e32 v[12:13], v[144:145], v[140:141]
	v_mul_f64_e32 v[140:141], v[142:143], v[140:141]
	v_fma_f64 v[12:13], v[142:143], v[138:139], -v[12:13]
	s_delay_alu instid0(VALU_DEP_2) | instskip(NEXT) | instid1(VALU_DEP_2)
	v_fmac_f64_e32 v[140:141], v[144:145], v[138:139]
	v_add_f64_e32 v[4:5], v[4:5], v[12:13]
	s_delay_alu instid0(VALU_DEP_2)
	v_add_f64_e32 v[2:3], v[2:3], v[140:141]
	s_and_not1_b32 exec_lo, exec_lo, s77
	s_cbranch_execnz .LBB60_37
; %bb.38:
	s_or_b32 exec_lo, exec_lo, s77
	v_mov_b32_e32 v8, 0
	ds_load_b128 v[8:11], v8 offset:96
	s_wait_dscnt 0x0
	v_mul_f64_e32 v[138:139], v[2:3], v[10:11]
	v_mul_f64_e32 v[12:13], v[4:5], v[10:11]
	s_delay_alu instid0(VALU_DEP_2) | instskip(NEXT) | instid1(VALU_DEP_2)
	v_fma_f64 v[10:11], v[4:5], v[8:9], -v[138:139]
	v_fmac_f64_e32 v[12:13], v[2:3], v[8:9]
	scratch_store_b128 off, v[10:13], off offset:96
.LBB60_39:
	s_wait_xcnt 0x0
	s_or_b32 exec_lo, exec_lo, s76
	s_wait_storecnt 0x0
	s_barrier_signal -1
	s_barrier_wait -1
	scratch_load_b128 v[2:5], off, s72
	s_mov_b32 s76, exec_lo
	s_wait_loadcnt 0x0
	ds_store_b128 v6, v[2:5]
	s_wait_dscnt 0x0
	s_barrier_signal -1
	s_barrier_wait -1
	v_cmpx_gt_u32_e32 7, v1
	s_cbranch_execz .LBB60_43
; %bb.40:
	v_dual_mov_b32 v10, v14 :: v_dual_add_nc_u32 v8, -1, v1
	v_mov_b64_e32 v[2:3], 0
	v_mov_b64_e32 v[4:5], 0
	v_add_nc_u32_e32 v9, 0x3d0, v14
	s_delay_alu instid0(VALU_DEP_4)
	v_or_b32_e32 v10, 8, v10
	s_mov_b32 s77, 0
.LBB60_41:                              ; =>This Inner Loop Header: Depth=1
	scratch_load_b128 v[138:141], v10, off offset:-8
	ds_load_b128 v[142:145], v9
	s_wait_xcnt 0x0
	v_dual_add_nc_u32 v9, 16, v9 :: v_dual_add_nc_u32 v10, 16, v10
	v_add_nc_u32_e32 v8, 1, v8
	s_delay_alu instid0(VALU_DEP_1) | instskip(SKIP_4) | instid1(VALU_DEP_2)
	v_cmp_lt_u32_e64 s5, 5, v8
	s_or_b32 s77, s5, s77
	s_wait_loadcnt_dscnt 0x0
	v_mul_f64_e32 v[12:13], v[144:145], v[140:141]
	v_mul_f64_e32 v[140:141], v[142:143], v[140:141]
	v_fma_f64 v[12:13], v[142:143], v[138:139], -v[12:13]
	s_delay_alu instid0(VALU_DEP_2) | instskip(NEXT) | instid1(VALU_DEP_2)
	v_fmac_f64_e32 v[140:141], v[144:145], v[138:139]
	v_add_f64_e32 v[4:5], v[4:5], v[12:13]
	s_delay_alu instid0(VALU_DEP_2)
	v_add_f64_e32 v[2:3], v[2:3], v[140:141]
	s_and_not1_b32 exec_lo, exec_lo, s77
	s_cbranch_execnz .LBB60_41
; %bb.42:
	s_or_b32 exec_lo, exec_lo, s77
	v_mov_b32_e32 v8, 0
	ds_load_b128 v[8:11], v8 offset:112
	s_wait_dscnt 0x0
	v_mul_f64_e32 v[138:139], v[2:3], v[10:11]
	v_mul_f64_e32 v[12:13], v[4:5], v[10:11]
	s_delay_alu instid0(VALU_DEP_2) | instskip(NEXT) | instid1(VALU_DEP_2)
	v_fma_f64 v[10:11], v[4:5], v[8:9], -v[138:139]
	v_fmac_f64_e32 v[12:13], v[2:3], v[8:9]
	scratch_store_b128 off, v[10:13], off offset:112
.LBB60_43:
	s_wait_xcnt 0x0
	s_or_b32 exec_lo, exec_lo, s76
	s_wait_storecnt 0x0
	s_barrier_signal -1
	s_barrier_wait -1
	scratch_load_b128 v[2:5], off, s71
	s_mov_b32 s76, exec_lo
	s_wait_loadcnt 0x0
	ds_store_b128 v6, v[2:5]
	s_wait_dscnt 0x0
	s_barrier_signal -1
	s_barrier_wait -1
	v_cmpx_gt_u32_e32 8, v1
	s_cbranch_execz .LBB60_59
; %bb.44:
	scratch_load_b128 v[2:5], v15, off
	ds_load_b128 v[8:11], v6
	s_mov_b32 s77, exec_lo
	s_wait_loadcnt_dscnt 0x0
	v_mul_f64_e32 v[12:13], v[10:11], v[4:5]
	v_mul_f64_e32 v[138:139], v[8:9], v[4:5]
	s_delay_alu instid0(VALU_DEP_2) | instskip(NEXT) | instid1(VALU_DEP_2)
	v_fma_f64 v[4:5], v[8:9], v[2:3], -v[12:13]
	v_fmac_f64_e32 v[138:139], v[10:11], v[2:3]
	s_delay_alu instid0(VALU_DEP_2) | instskip(NEXT) | instid1(VALU_DEP_2)
	v_add_f64_e32 v[4:5], 0, v[4:5]
	v_add_f64_e32 v[2:3], 0, v[138:139]
	v_cmpx_ne_u32_e32 7, v1
	s_cbranch_execz .LBB60_58
; %bb.45:
	scratch_load_b128 v[8:11], v15, off offset:16
	ds_load_b128 v[138:141], v6 offset:16
	s_wait_loadcnt_dscnt 0x0
	v_mul_f64_e32 v[12:13], v[140:141], v[10:11]
	v_mul_f64_e32 v[10:11], v[138:139], v[10:11]
	s_delay_alu instid0(VALU_DEP_2) | instskip(NEXT) | instid1(VALU_DEP_2)
	v_fma_f64 v[12:13], v[138:139], v[8:9], -v[12:13]
	v_fmac_f64_e32 v[10:11], v[140:141], v[8:9]
	s_delay_alu instid0(VALU_DEP_2) | instskip(NEXT) | instid1(VALU_DEP_2)
	v_add_f64_e32 v[4:5], v[4:5], v[12:13]
	v_add_f64_e32 v[2:3], v[2:3], v[10:11]
	s_and_saveexec_b32 s5, s4
	s_cbranch_execz .LBB60_57
; %bb.46:
	scratch_load_b128 v[8:11], v15, off offset:32
	ds_load_b128 v[138:141], v6 offset:32
	s_mov_b32 s78, exec_lo
	s_wait_loadcnt_dscnt 0x0
	v_mul_f64_e32 v[12:13], v[140:141], v[10:11]
	v_mul_f64_e32 v[10:11], v[138:139], v[10:11]
	s_delay_alu instid0(VALU_DEP_2) | instskip(NEXT) | instid1(VALU_DEP_2)
	v_fma_f64 v[12:13], v[138:139], v[8:9], -v[12:13]
	v_fmac_f64_e32 v[10:11], v[140:141], v[8:9]
	s_delay_alu instid0(VALU_DEP_2) | instskip(NEXT) | instid1(VALU_DEP_2)
	v_add_f64_e32 v[4:5], v[4:5], v[12:13]
	v_add_f64_e32 v[2:3], v[2:3], v[10:11]
	v_cmpx_ne_u32_e32 5, v1
	s_cbranch_execz .LBB60_56
; %bb.47:
	scratch_load_b128 v[8:11], v15, off offset:48
	ds_load_b128 v[138:141], v6 offset:48
	s_wait_loadcnt_dscnt 0x0
	v_mul_f64_e32 v[12:13], v[140:141], v[10:11]
	v_mul_f64_e32 v[10:11], v[138:139], v[10:11]
	s_delay_alu instid0(VALU_DEP_2) | instskip(NEXT) | instid1(VALU_DEP_2)
	v_fma_f64 v[12:13], v[138:139], v[8:9], -v[12:13]
	v_fmac_f64_e32 v[10:11], v[140:141], v[8:9]
	s_delay_alu instid0(VALU_DEP_2) | instskip(NEXT) | instid1(VALU_DEP_2)
	v_add_f64_e32 v[4:5], v[4:5], v[12:13]
	v_add_f64_e32 v[2:3], v[2:3], v[10:11]
	s_and_saveexec_b32 s4, s3
	s_cbranch_execz .LBB60_55
; %bb.48:
	scratch_load_b128 v[8:11], v15, off offset:64
	ds_load_b128 v[138:141], v6 offset:64
	s_mov_b32 s79, exec_lo
	s_wait_loadcnt_dscnt 0x0
	v_mul_f64_e32 v[12:13], v[140:141], v[10:11]
	v_mul_f64_e32 v[10:11], v[138:139], v[10:11]
	s_delay_alu instid0(VALU_DEP_2) | instskip(NEXT) | instid1(VALU_DEP_2)
	v_fma_f64 v[12:13], v[138:139], v[8:9], -v[12:13]
	v_fmac_f64_e32 v[10:11], v[140:141], v[8:9]
	s_delay_alu instid0(VALU_DEP_2) | instskip(NEXT) | instid1(VALU_DEP_2)
	v_add_f64_e32 v[4:5], v[4:5], v[12:13]
	v_add_f64_e32 v[2:3], v[2:3], v[10:11]
	v_cmpx_ne_u32_e32 3, v1
	s_cbranch_execz .LBB60_54
; %bb.49:
	scratch_load_b128 v[8:11], v15, off offset:80
	ds_load_b128 v[138:141], v6 offset:80
	s_wait_loadcnt_dscnt 0x0
	v_mul_f64_e32 v[12:13], v[140:141], v[10:11]
	v_mul_f64_e32 v[10:11], v[138:139], v[10:11]
	s_delay_alu instid0(VALU_DEP_2) | instskip(NEXT) | instid1(VALU_DEP_2)
	v_fma_f64 v[12:13], v[138:139], v[8:9], -v[12:13]
	v_fmac_f64_e32 v[10:11], v[140:141], v[8:9]
	s_delay_alu instid0(VALU_DEP_2) | instskip(NEXT) | instid1(VALU_DEP_2)
	v_add_f64_e32 v[4:5], v[4:5], v[12:13]
	v_add_f64_e32 v[2:3], v[2:3], v[10:11]
	s_and_saveexec_b32 s3, vcc_lo
	s_cbranch_execz .LBB60_53
; %bb.50:
	scratch_load_b128 v[8:11], v15, off offset:96
	ds_load_b128 v[138:141], v6 offset:96
	s_wait_loadcnt_dscnt 0x0
	v_mul_f64_e32 v[12:13], v[140:141], v[10:11]
	v_mul_f64_e32 v[10:11], v[138:139], v[10:11]
	s_delay_alu instid0(VALU_DEP_2) | instskip(NEXT) | instid1(VALU_DEP_2)
	v_fma_f64 v[12:13], v[138:139], v[8:9], -v[12:13]
	v_fmac_f64_e32 v[10:11], v[140:141], v[8:9]
	s_delay_alu instid0(VALU_DEP_2) | instskip(NEXT) | instid1(VALU_DEP_2)
	v_add_f64_e32 v[4:5], v[4:5], v[12:13]
	v_add_f64_e32 v[2:3], v[2:3], v[10:11]
	s_and_saveexec_b32 s80, s2
	s_cbranch_execz .LBB60_52
; %bb.51:
	scratch_load_b128 v[8:11], v15, off offset:112
	ds_load_b128 v[138:141], v6 offset:112
	s_wait_loadcnt_dscnt 0x0
	v_mul_f64_e32 v[12:13], v[140:141], v[10:11]
	v_mul_f64_e32 v[10:11], v[138:139], v[10:11]
	s_delay_alu instid0(VALU_DEP_2) | instskip(NEXT) | instid1(VALU_DEP_2)
	v_fma_f64 v[12:13], v[138:139], v[8:9], -v[12:13]
	v_fmac_f64_e32 v[10:11], v[140:141], v[8:9]
	s_delay_alu instid0(VALU_DEP_2) | instskip(NEXT) | instid1(VALU_DEP_2)
	v_add_f64_e32 v[4:5], v[4:5], v[12:13]
	v_add_f64_e32 v[2:3], v[2:3], v[10:11]
.LBB60_52:
	s_or_b32 exec_lo, exec_lo, s80
.LBB60_53:
	s_delay_alu instid0(SALU_CYCLE_1)
	s_or_b32 exec_lo, exec_lo, s3
.LBB60_54:
	s_delay_alu instid0(SALU_CYCLE_1)
	s_or_b32 exec_lo, exec_lo, s79
.LBB60_55:
	s_delay_alu instid0(SALU_CYCLE_1)
	s_or_b32 exec_lo, exec_lo, s4
.LBB60_56:
	s_delay_alu instid0(SALU_CYCLE_1)
	s_or_b32 exec_lo, exec_lo, s78
.LBB60_57:
	s_delay_alu instid0(SALU_CYCLE_1)
	s_or_b32 exec_lo, exec_lo, s5
.LBB60_58:
	s_delay_alu instid0(SALU_CYCLE_1)
	s_or_b32 exec_lo, exec_lo, s77
	v_mov_b32_e32 v8, 0
	ds_load_b128 v[8:11], v8 offset:128
	s_wait_dscnt 0x0
	v_mul_f64_e32 v[138:139], v[2:3], v[10:11]
	v_mul_f64_e32 v[12:13], v[4:5], v[10:11]
	s_delay_alu instid0(VALU_DEP_2) | instskip(NEXT) | instid1(VALU_DEP_2)
	v_fma_f64 v[10:11], v[4:5], v[8:9], -v[138:139]
	v_fmac_f64_e32 v[12:13], v[2:3], v[8:9]
	scratch_store_b128 off, v[10:13], off offset:128
.LBB60_59:
	s_wait_xcnt 0x0
	s_or_b32 exec_lo, exec_lo, s76
	s_wait_storecnt 0x0
	s_barrier_signal -1
	s_barrier_wait -1
	scratch_load_b128 v[2:5], off, s70
	s_mov_b32 s2, exec_lo
	s_wait_loadcnt 0x0
	ds_store_b128 v6, v[2:5]
	s_wait_dscnt 0x0
	s_barrier_signal -1
	s_barrier_wait -1
	v_cmpx_gt_u32_e32 9, v1
	s_cbranch_execz .LBB60_63
; %bb.60:
	v_dual_mov_b32 v10, v14 :: v_dual_add_nc_u32 v8, -1, v1
	v_mov_b64_e32 v[2:3], 0
	v_mov_b64_e32 v[4:5], 0
	v_add_nc_u32_e32 v9, 0x3d0, v14
	s_delay_alu instid0(VALU_DEP_4)
	v_or_b32_e32 v10, 8, v10
	s_mov_b32 s3, 0
.LBB60_61:                              ; =>This Inner Loop Header: Depth=1
	scratch_load_b128 v[138:141], v10, off offset:-8
	ds_load_b128 v[142:145], v9
	s_wait_xcnt 0x0
	v_dual_add_nc_u32 v9, 16, v9 :: v_dual_add_nc_u32 v10, 16, v10
	v_add_nc_u32_e32 v8, 1, v8
	s_delay_alu instid0(VALU_DEP_1) | instskip(SKIP_4) | instid1(VALU_DEP_2)
	v_cmp_lt_u32_e32 vcc_lo, 7, v8
	s_or_b32 s3, vcc_lo, s3
	s_wait_loadcnt_dscnt 0x0
	v_mul_f64_e32 v[12:13], v[144:145], v[140:141]
	v_mul_f64_e32 v[140:141], v[142:143], v[140:141]
	v_fma_f64 v[12:13], v[142:143], v[138:139], -v[12:13]
	s_delay_alu instid0(VALU_DEP_2) | instskip(NEXT) | instid1(VALU_DEP_2)
	v_fmac_f64_e32 v[140:141], v[144:145], v[138:139]
	v_add_f64_e32 v[4:5], v[4:5], v[12:13]
	s_delay_alu instid0(VALU_DEP_2)
	v_add_f64_e32 v[2:3], v[2:3], v[140:141]
	s_and_not1_b32 exec_lo, exec_lo, s3
	s_cbranch_execnz .LBB60_61
; %bb.62:
	s_or_b32 exec_lo, exec_lo, s3
	v_mov_b32_e32 v8, 0
	ds_load_b128 v[8:11], v8 offset:144
	s_wait_dscnt 0x0
	v_mul_f64_e32 v[138:139], v[2:3], v[10:11]
	v_mul_f64_e32 v[12:13], v[4:5], v[10:11]
	s_delay_alu instid0(VALU_DEP_2) | instskip(NEXT) | instid1(VALU_DEP_2)
	v_fma_f64 v[10:11], v[4:5], v[8:9], -v[138:139]
	v_fmac_f64_e32 v[12:13], v[2:3], v[8:9]
	scratch_store_b128 off, v[10:13], off offset:144
.LBB60_63:
	s_wait_xcnt 0x0
	s_or_b32 exec_lo, exec_lo, s2
	s_wait_storecnt 0x0
	s_barrier_signal -1
	s_barrier_wait -1
	scratch_load_b128 v[2:5], off, s55
	s_mov_b32 s2, exec_lo
	s_wait_loadcnt 0x0
	ds_store_b128 v6, v[2:5]
	s_wait_dscnt 0x0
	s_barrier_signal -1
	s_barrier_wait -1
	v_cmpx_gt_u32_e32 10, v1
	s_cbranch_execz .LBB60_67
; %bb.64:
	v_dual_mov_b32 v10, v14 :: v_dual_add_nc_u32 v8, -1, v1
	v_mov_b64_e32 v[2:3], 0
	v_mov_b64_e32 v[4:5], 0
	v_add_nc_u32_e32 v9, 0x3d0, v14
	s_delay_alu instid0(VALU_DEP_4)
	v_or_b32_e32 v10, 8, v10
	s_mov_b32 s3, 0
.LBB60_65:                              ; =>This Inner Loop Header: Depth=1
	scratch_load_b128 v[138:141], v10, off offset:-8
	ds_load_b128 v[142:145], v9
	s_wait_xcnt 0x0
	v_dual_add_nc_u32 v9, 16, v9 :: v_dual_add_nc_u32 v10, 16, v10
	v_add_nc_u32_e32 v8, 1, v8
	s_delay_alu instid0(VALU_DEP_1) | instskip(SKIP_4) | instid1(VALU_DEP_2)
	v_cmp_lt_u32_e32 vcc_lo, 8, v8
	s_or_b32 s3, vcc_lo, s3
	s_wait_loadcnt_dscnt 0x0
	v_mul_f64_e32 v[12:13], v[144:145], v[140:141]
	v_mul_f64_e32 v[140:141], v[142:143], v[140:141]
	v_fma_f64 v[12:13], v[142:143], v[138:139], -v[12:13]
	s_delay_alu instid0(VALU_DEP_2) | instskip(NEXT) | instid1(VALU_DEP_2)
	v_fmac_f64_e32 v[140:141], v[144:145], v[138:139]
	v_add_f64_e32 v[4:5], v[4:5], v[12:13]
	s_delay_alu instid0(VALU_DEP_2)
	v_add_f64_e32 v[2:3], v[2:3], v[140:141]
	s_and_not1_b32 exec_lo, exec_lo, s3
	s_cbranch_execnz .LBB60_65
; %bb.66:
	s_or_b32 exec_lo, exec_lo, s3
	v_mov_b32_e32 v8, 0
	ds_load_b128 v[8:11], v8 offset:160
	s_wait_dscnt 0x0
	v_mul_f64_e32 v[138:139], v[2:3], v[10:11]
	v_mul_f64_e32 v[12:13], v[4:5], v[10:11]
	s_delay_alu instid0(VALU_DEP_2) | instskip(NEXT) | instid1(VALU_DEP_2)
	v_fma_f64 v[10:11], v[4:5], v[8:9], -v[138:139]
	v_fmac_f64_e32 v[12:13], v[2:3], v[8:9]
	scratch_store_b128 off, v[10:13], off offset:160
.LBB60_67:
	;; [unrolled: 54-line block ×10, first 2 shown]
	s_wait_xcnt 0x0
	s_or_b32 exec_lo, exec_lo, s2
	s_wait_storecnt 0x0
	s_barrier_signal -1
	s_barrier_wait -1
	scratch_load_b128 v[2:5], off, s67
	s_mov_b32 s2, exec_lo
	s_wait_loadcnt 0x0
	ds_store_b128 v6, v[2:5]
	s_wait_dscnt 0x0
	s_barrier_signal -1
	s_barrier_wait -1
	v_cmpx_gt_u32_e32 19, v1
	s_cbranch_execz .LBB60_103
; %bb.100:
	v_dual_mov_b32 v10, v14 :: v_dual_add_nc_u32 v8, -1, v1
	v_mov_b64_e32 v[2:3], 0
	v_mov_b64_e32 v[4:5], 0
	v_add_nc_u32_e32 v9, 0x3d0, v14
	s_delay_alu instid0(VALU_DEP_4)
	v_or_b32_e32 v10, 8, v10
	s_mov_b32 s3, 0
.LBB60_101:                             ; =>This Inner Loop Header: Depth=1
	scratch_load_b128 v[138:141], v10, off offset:-8
	ds_load_b128 v[142:145], v9
	s_wait_xcnt 0x0
	v_dual_add_nc_u32 v9, 16, v9 :: v_dual_add_nc_u32 v10, 16, v10
	v_add_nc_u32_e32 v8, 1, v8
	s_delay_alu instid0(VALU_DEP_1) | instskip(SKIP_4) | instid1(VALU_DEP_2)
	v_cmp_lt_u32_e32 vcc_lo, 17, v8
	s_or_b32 s3, vcc_lo, s3
	s_wait_loadcnt_dscnt 0x0
	v_mul_f64_e32 v[12:13], v[144:145], v[140:141]
	v_mul_f64_e32 v[140:141], v[142:143], v[140:141]
	v_fma_f64 v[12:13], v[142:143], v[138:139], -v[12:13]
	s_delay_alu instid0(VALU_DEP_2) | instskip(NEXT) | instid1(VALU_DEP_2)
	v_fmac_f64_e32 v[140:141], v[144:145], v[138:139]
	v_add_f64_e32 v[4:5], v[4:5], v[12:13]
	s_delay_alu instid0(VALU_DEP_2)
	v_add_f64_e32 v[2:3], v[2:3], v[140:141]
	s_and_not1_b32 exec_lo, exec_lo, s3
	s_cbranch_execnz .LBB60_101
; %bb.102:
	s_or_b32 exec_lo, exec_lo, s3
	v_mov_b32_e32 v8, 0
	ds_load_b128 v[8:11], v8 offset:304
	s_wait_dscnt 0x0
	v_mul_f64_e32 v[138:139], v[2:3], v[10:11]
	v_mul_f64_e32 v[12:13], v[4:5], v[10:11]
	s_delay_alu instid0(VALU_DEP_2) | instskip(NEXT) | instid1(VALU_DEP_2)
	v_fma_f64 v[10:11], v[4:5], v[8:9], -v[138:139]
	v_fmac_f64_e32 v[12:13], v[2:3], v[8:9]
	scratch_store_b128 off, v[10:13], off offset:304
.LBB60_103:
	s_wait_xcnt 0x0
	s_or_b32 exec_lo, exec_lo, s2
	s_wait_storecnt 0x0
	s_barrier_signal -1
	s_barrier_wait -1
	scratch_load_b128 v[2:5], off, s69
	s_mov_b32 s2, exec_lo
	s_wait_loadcnt 0x0
	ds_store_b128 v6, v[2:5]
	s_wait_dscnt 0x0
	s_barrier_signal -1
	s_barrier_wait -1
	v_cmpx_gt_u32_e32 20, v1
	s_cbranch_execz .LBB60_107
; %bb.104:
	v_dual_mov_b32 v10, v14 :: v_dual_add_nc_u32 v8, -1, v1
	v_mov_b64_e32 v[2:3], 0
	v_mov_b64_e32 v[4:5], 0
	v_add_nc_u32_e32 v9, 0x3d0, v14
	s_delay_alu instid0(VALU_DEP_4)
	v_or_b32_e32 v10, 8, v10
	s_mov_b32 s3, 0
.LBB60_105:                             ; =>This Inner Loop Header: Depth=1
	scratch_load_b128 v[138:141], v10, off offset:-8
	ds_load_b128 v[142:145], v9
	s_wait_xcnt 0x0
	v_dual_add_nc_u32 v9, 16, v9 :: v_dual_add_nc_u32 v10, 16, v10
	v_add_nc_u32_e32 v8, 1, v8
	s_delay_alu instid0(VALU_DEP_1) | instskip(SKIP_4) | instid1(VALU_DEP_2)
	v_cmp_lt_u32_e32 vcc_lo, 18, v8
	s_or_b32 s3, vcc_lo, s3
	s_wait_loadcnt_dscnt 0x0
	v_mul_f64_e32 v[12:13], v[144:145], v[140:141]
	v_mul_f64_e32 v[140:141], v[142:143], v[140:141]
	v_fma_f64 v[12:13], v[142:143], v[138:139], -v[12:13]
	s_delay_alu instid0(VALU_DEP_2) | instskip(NEXT) | instid1(VALU_DEP_2)
	v_fmac_f64_e32 v[140:141], v[144:145], v[138:139]
	v_add_f64_e32 v[4:5], v[4:5], v[12:13]
	s_delay_alu instid0(VALU_DEP_2)
	v_add_f64_e32 v[2:3], v[2:3], v[140:141]
	s_and_not1_b32 exec_lo, exec_lo, s3
	s_cbranch_execnz .LBB60_105
; %bb.106:
	s_or_b32 exec_lo, exec_lo, s3
	v_mov_b32_e32 v8, 0
	ds_load_b128 v[8:11], v8 offset:320
	s_wait_dscnt 0x0
	v_mul_f64_e32 v[138:139], v[2:3], v[10:11]
	v_mul_f64_e32 v[12:13], v[4:5], v[10:11]
	s_delay_alu instid0(VALU_DEP_2) | instskip(NEXT) | instid1(VALU_DEP_2)
	v_fma_f64 v[10:11], v[4:5], v[8:9], -v[138:139]
	v_fmac_f64_e32 v[12:13], v[2:3], v[8:9]
	scratch_store_b128 off, v[10:13], off offset:320
.LBB60_107:
	;; [unrolled: 54-line block ×41, first 2 shown]
	s_wait_xcnt 0x0
	s_or_b32 exec_lo, exec_lo, s2
	s_wait_storecnt 0x0
	s_barrier_signal -1
	s_barrier_wait -1
	scratch_load_b128 v[2:5], off, s26
	s_mov_b32 s2, exec_lo
	s_wait_loadcnt 0x0
	ds_store_b128 v6, v[2:5]
	s_wait_dscnt 0x0
	s_barrier_signal -1
	s_barrier_wait -1
	v_cmpx_ne_u32_e32 60, v1
	s_cbranch_execz .LBB60_267
; %bb.264:
	v_mov_b32_e32 v8, v14
	v_mov_b64_e32 v[2:3], 0
	v_mov_b64_e32 v[4:5], 0
	s_mov_b32 s3, 0
	s_delay_alu instid0(VALU_DEP_3)
	v_or_b32_e32 v8, 8, v8
.LBB60_265:                             ; =>This Inner Loop Header: Depth=1
	scratch_load_b128 v[10:13], v8, off offset:-8
	ds_load_b128 v[138:141], v6
	v_dual_add_nc_u32 v7, 1, v7 :: v_dual_add_nc_u32 v6, 16, v6
	s_wait_xcnt 0x0
	v_add_nc_u32_e32 v8, 16, v8
	s_delay_alu instid0(VALU_DEP_2) | instskip(SKIP_4) | instid1(VALU_DEP_2)
	v_cmp_lt_u32_e32 vcc_lo, 58, v7
	s_or_b32 s3, vcc_lo, s3
	s_wait_loadcnt_dscnt 0x0
	v_mul_f64_e32 v[14:15], v[140:141], v[12:13]
	v_mul_f64_e32 v[12:13], v[138:139], v[12:13]
	v_fma_f64 v[14:15], v[138:139], v[10:11], -v[14:15]
	s_delay_alu instid0(VALU_DEP_2) | instskip(NEXT) | instid1(VALU_DEP_2)
	v_fmac_f64_e32 v[12:13], v[140:141], v[10:11]
	v_add_f64_e32 v[4:5], v[4:5], v[14:15]
	s_delay_alu instid0(VALU_DEP_2)
	v_add_f64_e32 v[2:3], v[2:3], v[12:13]
	s_and_not1_b32 exec_lo, exec_lo, s3
	s_cbranch_execnz .LBB60_265
; %bb.266:
	s_or_b32 exec_lo, exec_lo, s3
	v_mov_b32_e32 v6, 0
	ds_load_b128 v[6:9], v6 offset:960
	s_wait_dscnt 0x0
	v_mul_f64_e32 v[12:13], v[2:3], v[8:9]
	v_mul_f64_e32 v[10:11], v[4:5], v[8:9]
	s_delay_alu instid0(VALU_DEP_2) | instskip(NEXT) | instid1(VALU_DEP_2)
	v_fma_f64 v[8:9], v[4:5], v[6:7], -v[12:13]
	v_fmac_f64_e32 v[10:11], v[2:3], v[6:7]
	scratch_store_b128 off, v[8:11], off offset:960
.LBB60_267:
	s_wait_xcnt 0x0
	s_or_b32 exec_lo, exec_lo, s2
	s_mov_b32 s3, -1
	s_wait_storecnt 0x0
	s_barrier_signal -1
	s_barrier_wait -1
.LBB60_268:
	s_and_b32 vcc_lo, exec_lo, s3
	s_cbranch_vccz .LBB60_270
; %bb.269:
	s_wait_xcnt 0x18
	v_mov_b32_e32 v2, 0
	s_lshl_b64 s[2:3], s[18:19], 2
	s_delay_alu instid0(SALU_CYCLE_1)
	s_add_nc_u64 s[2:3], s[6:7], s[2:3]
	global_load_b32 v2, v2, s[2:3]
	s_wait_loadcnt 0x0
	v_cmp_ne_u32_e32 vcc_lo, 0, v2
	s_cbranch_vccz .LBB60_271
.LBB60_270:
	s_sendmsg sendmsg(MSG_DEALLOC_VGPRS)
	s_endpgm
.LBB60_271:
	s_wait_xcnt 0x13
	v_lshl_add_u32 v138, v1, 4, 0x3d0
	s_wait_xcnt 0x0
	s_mov_b32 s2, exec_lo
	v_cmpx_eq_u32_e32 60, v1
	s_cbranch_execz .LBB60_273
; %bb.272:
	scratch_load_b128 v[2:5], off, s25
	v_mov_b32_e32 v6, 0
	s_delay_alu instid0(VALU_DEP_1)
	v_dual_mov_b32 v7, v6 :: v_dual_mov_b32 v8, v6
	v_mov_b32_e32 v9, v6
	scratch_store_b128 off, v[6:9], off offset:944
	s_wait_loadcnt 0x0
	ds_store_b128 v138, v[2:5]
.LBB60_273:
	s_wait_xcnt 0x0
	s_or_b32 exec_lo, exec_lo, s2
	s_wait_storecnt_dscnt 0x0
	s_barrier_signal -1
	s_barrier_wait -1
	s_clause 0x1
	scratch_load_b128 v[4:7], off, off offset:960
	scratch_load_b128 v[8:11], off, off offset:944
	v_mov_b32_e32 v2, 0
	s_mov_b32 s2, exec_lo
	ds_load_b128 v[12:15], v2 offset:1936
	s_wait_loadcnt_dscnt 0x100
	v_mul_f64_e32 v[140:141], v[14:15], v[6:7]
	v_mul_f64_e32 v[6:7], v[12:13], v[6:7]
	s_delay_alu instid0(VALU_DEP_2) | instskip(NEXT) | instid1(VALU_DEP_2)
	v_fma_f64 v[12:13], v[12:13], v[4:5], -v[140:141]
	v_fmac_f64_e32 v[6:7], v[14:15], v[4:5]
	s_delay_alu instid0(VALU_DEP_2) | instskip(NEXT) | instid1(VALU_DEP_2)
	v_add_f64_e32 v[4:5], 0, v[12:13]
	v_add_f64_e32 v[6:7], 0, v[6:7]
	s_wait_loadcnt 0x0
	s_delay_alu instid0(VALU_DEP_2) | instskip(NEXT) | instid1(VALU_DEP_2)
	v_add_f64_e64 v[4:5], v[8:9], -v[4:5]
	v_add_f64_e64 v[6:7], v[10:11], -v[6:7]
	scratch_store_b128 off, v[4:7], off offset:944
	s_wait_xcnt 0x0
	v_cmpx_lt_u32_e32 58, v1
	s_cbranch_execz .LBB60_275
; %bb.274:
	scratch_load_b128 v[6:9], off, s30
	v_dual_mov_b32 v3, v2 :: v_dual_mov_b32 v4, v2
	v_mov_b32_e32 v5, v2
	scratch_store_b128 off, v[2:5], off offset:928
	s_wait_loadcnt 0x0
	ds_store_b128 v138, v[6:9]
.LBB60_275:
	s_wait_xcnt 0x0
	s_or_b32 exec_lo, exec_lo, s2
	s_wait_storecnt_dscnt 0x0
	s_barrier_signal -1
	s_barrier_wait -1
	s_clause 0x2
	scratch_load_b128 v[4:7], off, off offset:944
	scratch_load_b128 v[8:11], off, off offset:960
	;; [unrolled: 1-line block ×3, first 2 shown]
	ds_load_b128 v[140:143], v2 offset:1920
	ds_load_b128 v[144:147], v2 offset:1936
	s_mov_b32 s2, exec_lo
	s_wait_loadcnt_dscnt 0x201
	v_mul_f64_e32 v[2:3], v[142:143], v[6:7]
	v_mul_f64_e32 v[6:7], v[140:141], v[6:7]
	s_wait_loadcnt_dscnt 0x100
	v_mul_f64_e32 v[148:149], v[144:145], v[10:11]
	v_mul_f64_e32 v[10:11], v[146:147], v[10:11]
	s_delay_alu instid0(VALU_DEP_4) | instskip(NEXT) | instid1(VALU_DEP_4)
	v_fma_f64 v[2:3], v[140:141], v[4:5], -v[2:3]
	v_fmac_f64_e32 v[6:7], v[142:143], v[4:5]
	s_delay_alu instid0(VALU_DEP_4) | instskip(NEXT) | instid1(VALU_DEP_4)
	v_fmac_f64_e32 v[148:149], v[146:147], v[8:9]
	v_fma_f64 v[4:5], v[144:145], v[8:9], -v[10:11]
	s_delay_alu instid0(VALU_DEP_4) | instskip(NEXT) | instid1(VALU_DEP_4)
	v_add_f64_e32 v[2:3], 0, v[2:3]
	v_add_f64_e32 v[6:7], 0, v[6:7]
	s_delay_alu instid0(VALU_DEP_2) | instskip(NEXT) | instid1(VALU_DEP_2)
	v_add_f64_e32 v[2:3], v[2:3], v[4:5]
	v_add_f64_e32 v[4:5], v[6:7], v[148:149]
	s_wait_loadcnt 0x0
	s_delay_alu instid0(VALU_DEP_2) | instskip(NEXT) | instid1(VALU_DEP_2)
	v_add_f64_e64 v[2:3], v[12:13], -v[2:3]
	v_add_f64_e64 v[4:5], v[14:15], -v[4:5]
	scratch_store_b128 off, v[2:5], off offset:928
	s_wait_xcnt 0x0
	v_cmpx_lt_u32_e32 57, v1
	s_cbranch_execz .LBB60_277
; %bb.276:
	scratch_load_b128 v[2:5], off, s10
	v_mov_b32_e32 v6, 0
	s_delay_alu instid0(VALU_DEP_1)
	v_dual_mov_b32 v7, v6 :: v_dual_mov_b32 v8, v6
	v_mov_b32_e32 v9, v6
	scratch_store_b128 off, v[6:9], off offset:912
	s_wait_loadcnt 0x0
	ds_store_b128 v138, v[2:5]
.LBB60_277:
	s_wait_xcnt 0x0
	s_or_b32 exec_lo, exec_lo, s2
	s_wait_storecnt_dscnt 0x0
	s_barrier_signal -1
	s_barrier_wait -1
	s_clause 0x3
	scratch_load_b128 v[4:7], off, off offset:928
	scratch_load_b128 v[8:11], off, off offset:944
	;; [unrolled: 1-line block ×4, first 2 shown]
	v_mov_b32_e32 v2, 0
	ds_load_b128 v[144:147], v2 offset:1904
	ds_load_b128 v[148:151], v2 offset:1920
	s_mov_b32 s2, exec_lo
	s_wait_loadcnt_dscnt 0x301
	v_mul_f64_e32 v[152:153], v[146:147], v[6:7]
	v_mul_f64_e32 v[154:155], v[144:145], v[6:7]
	s_wait_loadcnt_dscnt 0x200
	v_mul_f64_e32 v[156:157], v[148:149], v[10:11]
	v_mul_f64_e32 v[10:11], v[150:151], v[10:11]
	s_delay_alu instid0(VALU_DEP_4) | instskip(NEXT) | instid1(VALU_DEP_4)
	v_fma_f64 v[144:145], v[144:145], v[4:5], -v[152:153]
	v_fmac_f64_e32 v[154:155], v[146:147], v[4:5]
	ds_load_b128 v[4:7], v2 offset:1936
	v_fmac_f64_e32 v[156:157], v[150:151], v[8:9]
	v_fma_f64 v[8:9], v[148:149], v[8:9], -v[10:11]
	s_wait_loadcnt_dscnt 0x100
	v_mul_f64_e32 v[146:147], v[4:5], v[14:15]
	v_mul_f64_e32 v[14:15], v[6:7], v[14:15]
	v_add_f64_e32 v[10:11], 0, v[144:145]
	v_add_f64_e32 v[144:145], 0, v[154:155]
	s_delay_alu instid0(VALU_DEP_4) | instskip(NEXT) | instid1(VALU_DEP_4)
	v_fmac_f64_e32 v[146:147], v[6:7], v[12:13]
	v_fma_f64 v[4:5], v[4:5], v[12:13], -v[14:15]
	s_delay_alu instid0(VALU_DEP_4) | instskip(NEXT) | instid1(VALU_DEP_4)
	v_add_f64_e32 v[6:7], v[10:11], v[8:9]
	v_add_f64_e32 v[8:9], v[144:145], v[156:157]
	s_delay_alu instid0(VALU_DEP_2) | instskip(NEXT) | instid1(VALU_DEP_2)
	v_add_f64_e32 v[4:5], v[6:7], v[4:5]
	v_add_f64_e32 v[6:7], v[8:9], v[146:147]
	s_wait_loadcnt 0x0
	s_delay_alu instid0(VALU_DEP_2) | instskip(NEXT) | instid1(VALU_DEP_2)
	v_add_f64_e64 v[4:5], v[140:141], -v[4:5]
	v_add_f64_e64 v[6:7], v[142:143], -v[6:7]
	scratch_store_b128 off, v[4:7], off offset:912
	s_wait_xcnt 0x0
	v_cmpx_lt_u32_e32 56, v1
	s_cbranch_execz .LBB60_279
; %bb.278:
	scratch_load_b128 v[6:9], off, s12
	v_dual_mov_b32 v3, v2 :: v_dual_mov_b32 v4, v2
	v_mov_b32_e32 v5, v2
	scratch_store_b128 off, v[2:5], off offset:896
	s_wait_loadcnt 0x0
	ds_store_b128 v138, v[6:9]
.LBB60_279:
	s_wait_xcnt 0x0
	s_or_b32 exec_lo, exec_lo, s2
	s_wait_storecnt_dscnt 0x0
	s_barrier_signal -1
	s_barrier_wait -1
	s_clause 0x4
	scratch_load_b128 v[4:7], off, off offset:912
	scratch_load_b128 v[8:11], off, off offset:928
	;; [unrolled: 1-line block ×5, first 2 shown]
	ds_load_b128 v[148:151], v2 offset:1888
	ds_load_b128 v[152:155], v2 offset:1904
	s_mov_b32 s2, exec_lo
	s_wait_loadcnt_dscnt 0x401
	v_mul_f64_e32 v[156:157], v[150:151], v[6:7]
	v_mul_f64_e32 v[158:159], v[148:149], v[6:7]
	s_wait_loadcnt_dscnt 0x300
	v_mul_f64_e32 v[160:161], v[152:153], v[10:11]
	v_mul_f64_e32 v[10:11], v[154:155], v[10:11]
	s_delay_alu instid0(VALU_DEP_4) | instskip(NEXT) | instid1(VALU_DEP_4)
	v_fma_f64 v[156:157], v[148:149], v[4:5], -v[156:157]
	v_fmac_f64_e32 v[158:159], v[150:151], v[4:5]
	ds_load_b128 v[4:7], v2 offset:1920
	ds_load_b128 v[148:151], v2 offset:1936
	v_fmac_f64_e32 v[160:161], v[154:155], v[8:9]
	v_fma_f64 v[8:9], v[152:153], v[8:9], -v[10:11]
	s_wait_loadcnt_dscnt 0x201
	v_mul_f64_e32 v[2:3], v[4:5], v[14:15]
	v_mul_f64_e32 v[14:15], v[6:7], v[14:15]
	s_wait_loadcnt_dscnt 0x100
	v_mul_f64_e32 v[154:155], v[148:149], v[142:143]
	v_mul_f64_e32 v[142:143], v[150:151], v[142:143]
	v_add_f64_e32 v[10:11], 0, v[156:157]
	v_add_f64_e32 v[152:153], 0, v[158:159]
	v_fmac_f64_e32 v[2:3], v[6:7], v[12:13]
	v_fma_f64 v[4:5], v[4:5], v[12:13], -v[14:15]
	v_fmac_f64_e32 v[154:155], v[150:151], v[140:141]
	v_add_f64_e32 v[6:7], v[10:11], v[8:9]
	v_add_f64_e32 v[8:9], v[152:153], v[160:161]
	v_fma_f64 v[10:11], v[148:149], v[140:141], -v[142:143]
	s_delay_alu instid0(VALU_DEP_3) | instskip(NEXT) | instid1(VALU_DEP_3)
	v_add_f64_e32 v[4:5], v[6:7], v[4:5]
	v_add_f64_e32 v[2:3], v[8:9], v[2:3]
	s_delay_alu instid0(VALU_DEP_2) | instskip(NEXT) | instid1(VALU_DEP_2)
	v_add_f64_e32 v[4:5], v[4:5], v[10:11]
	v_add_f64_e32 v[6:7], v[2:3], v[154:155]
	s_wait_loadcnt 0x0
	s_delay_alu instid0(VALU_DEP_2) | instskip(NEXT) | instid1(VALU_DEP_2)
	v_add_f64_e64 v[2:3], v[144:145], -v[4:5]
	v_add_f64_e64 v[4:5], v[146:147], -v[6:7]
	scratch_store_b128 off, v[2:5], off offset:896
	s_wait_xcnt 0x0
	v_cmpx_lt_u32_e32 55, v1
	s_cbranch_execz .LBB60_281
; %bb.280:
	scratch_load_b128 v[2:5], off, s11
	v_mov_b32_e32 v6, 0
	s_delay_alu instid0(VALU_DEP_1)
	v_dual_mov_b32 v7, v6 :: v_dual_mov_b32 v8, v6
	v_mov_b32_e32 v9, v6
	scratch_store_b128 off, v[6:9], off offset:880
	s_wait_loadcnt 0x0
	ds_store_b128 v138, v[2:5]
.LBB60_281:
	s_wait_xcnt 0x0
	s_or_b32 exec_lo, exec_lo, s2
	s_wait_storecnt_dscnt 0x0
	s_barrier_signal -1
	s_barrier_wait -1
	s_clause 0x5
	scratch_load_b128 v[4:7], off, off offset:896
	scratch_load_b128 v[8:11], off, off offset:912
	;; [unrolled: 1-line block ×6, first 2 shown]
	v_mov_b32_e32 v2, 0
	ds_load_b128 v[152:155], v2 offset:1872
	ds_load_b128 v[156:159], v2 offset:1888
	s_mov_b32 s2, exec_lo
	s_wait_loadcnt_dscnt 0x501
	v_mul_f64_e32 v[160:161], v[154:155], v[6:7]
	v_mul_f64_e32 v[162:163], v[152:153], v[6:7]
	s_wait_loadcnt_dscnt 0x400
	v_mul_f64_e32 v[164:165], v[156:157], v[10:11]
	v_mul_f64_e32 v[10:11], v[158:159], v[10:11]
	s_delay_alu instid0(VALU_DEP_4) | instskip(NEXT) | instid1(VALU_DEP_4)
	v_fma_f64 v[160:161], v[152:153], v[4:5], -v[160:161]
	v_fmac_f64_e32 v[162:163], v[154:155], v[4:5]
	ds_load_b128 v[4:7], v2 offset:1904
	ds_load_b128 v[152:155], v2 offset:1920
	v_fmac_f64_e32 v[164:165], v[158:159], v[8:9]
	v_fma_f64 v[8:9], v[156:157], v[8:9], -v[10:11]
	s_wait_loadcnt_dscnt 0x301
	v_mul_f64_e32 v[166:167], v[4:5], v[14:15]
	v_mul_f64_e32 v[14:15], v[6:7], v[14:15]
	s_wait_loadcnt_dscnt 0x200
	v_mul_f64_e32 v[158:159], v[152:153], v[142:143]
	v_mul_f64_e32 v[142:143], v[154:155], v[142:143]
	v_add_f64_e32 v[10:11], 0, v[160:161]
	v_add_f64_e32 v[156:157], 0, v[162:163]
	v_fmac_f64_e32 v[166:167], v[6:7], v[12:13]
	v_fma_f64 v[12:13], v[4:5], v[12:13], -v[14:15]
	ds_load_b128 v[4:7], v2 offset:1936
	v_fmac_f64_e32 v[158:159], v[154:155], v[140:141]
	v_fma_f64 v[140:141], v[152:153], v[140:141], -v[142:143]
	v_add_f64_e32 v[8:9], v[10:11], v[8:9]
	v_add_f64_e32 v[10:11], v[156:157], v[164:165]
	s_wait_loadcnt_dscnt 0x100
	v_mul_f64_e32 v[14:15], v[4:5], v[146:147]
	v_mul_f64_e32 v[146:147], v[6:7], v[146:147]
	s_delay_alu instid0(VALU_DEP_4) | instskip(NEXT) | instid1(VALU_DEP_4)
	v_add_f64_e32 v[8:9], v[8:9], v[12:13]
	v_add_f64_e32 v[10:11], v[10:11], v[166:167]
	s_delay_alu instid0(VALU_DEP_4) | instskip(NEXT) | instid1(VALU_DEP_4)
	v_fmac_f64_e32 v[14:15], v[6:7], v[144:145]
	v_fma_f64 v[4:5], v[4:5], v[144:145], -v[146:147]
	s_delay_alu instid0(VALU_DEP_4) | instskip(NEXT) | instid1(VALU_DEP_4)
	v_add_f64_e32 v[6:7], v[8:9], v[140:141]
	v_add_f64_e32 v[8:9], v[10:11], v[158:159]
	s_delay_alu instid0(VALU_DEP_2) | instskip(NEXT) | instid1(VALU_DEP_2)
	v_add_f64_e32 v[4:5], v[6:7], v[4:5]
	v_add_f64_e32 v[6:7], v[8:9], v[14:15]
	s_wait_loadcnt 0x0
	s_delay_alu instid0(VALU_DEP_2) | instskip(NEXT) | instid1(VALU_DEP_2)
	v_add_f64_e64 v[4:5], v[148:149], -v[4:5]
	v_add_f64_e64 v[6:7], v[150:151], -v[6:7]
	scratch_store_b128 off, v[4:7], off offset:880
	s_wait_xcnt 0x0
	v_cmpx_lt_u32_e32 54, v1
	s_cbranch_execz .LBB60_283
; %bb.282:
	scratch_load_b128 v[6:9], off, s14
	v_dual_mov_b32 v3, v2 :: v_dual_mov_b32 v4, v2
	v_mov_b32_e32 v5, v2
	scratch_store_b128 off, v[2:5], off offset:864
	s_wait_loadcnt 0x0
	ds_store_b128 v138, v[6:9]
.LBB60_283:
	s_wait_xcnt 0x0
	s_or_b32 exec_lo, exec_lo, s2
	s_wait_storecnt_dscnt 0x0
	s_barrier_signal -1
	s_barrier_wait -1
	s_clause 0x6
	scratch_load_b128 v[4:7], off, off offset:880
	scratch_load_b128 v[8:11], off, off offset:896
	;; [unrolled: 1-line block ×7, first 2 shown]
	ds_load_b128 v[156:159], v2 offset:1856
	ds_load_b128 v[160:163], v2 offset:1872
	s_mov_b32 s2, exec_lo
	s_wait_loadcnt_dscnt 0x601
	v_mul_f64_e32 v[164:165], v[158:159], v[6:7]
	v_mul_f64_e32 v[166:167], v[156:157], v[6:7]
	s_wait_loadcnt_dscnt 0x500
	v_mul_f64_e32 v[168:169], v[160:161], v[10:11]
	v_mul_f64_e32 v[10:11], v[162:163], v[10:11]
	s_delay_alu instid0(VALU_DEP_4) | instskip(NEXT) | instid1(VALU_DEP_4)
	v_fma_f64 v[164:165], v[156:157], v[4:5], -v[164:165]
	v_fmac_f64_e32 v[166:167], v[158:159], v[4:5]
	ds_load_b128 v[4:7], v2 offset:1888
	ds_load_b128 v[156:159], v2 offset:1904
	v_fmac_f64_e32 v[168:169], v[162:163], v[8:9]
	v_fma_f64 v[8:9], v[160:161], v[8:9], -v[10:11]
	s_wait_loadcnt_dscnt 0x401
	v_mul_f64_e32 v[170:171], v[4:5], v[14:15]
	v_mul_f64_e32 v[14:15], v[6:7], v[14:15]
	s_wait_loadcnt_dscnt 0x300
	v_mul_f64_e32 v[162:163], v[156:157], v[142:143]
	v_mul_f64_e32 v[142:143], v[158:159], v[142:143]
	v_add_f64_e32 v[10:11], 0, v[164:165]
	v_add_f64_e32 v[160:161], 0, v[166:167]
	v_fmac_f64_e32 v[170:171], v[6:7], v[12:13]
	v_fma_f64 v[12:13], v[4:5], v[12:13], -v[14:15]
	v_fmac_f64_e32 v[162:163], v[158:159], v[140:141]
	v_fma_f64 v[140:141], v[156:157], v[140:141], -v[142:143]
	v_add_f64_e32 v[14:15], v[10:11], v[8:9]
	v_add_f64_e32 v[160:161], v[160:161], v[168:169]
	ds_load_b128 v[4:7], v2 offset:1920
	ds_load_b128 v[8:11], v2 offset:1936
	s_wait_loadcnt_dscnt 0x201
	v_mul_f64_e32 v[2:3], v[4:5], v[146:147]
	v_mul_f64_e32 v[146:147], v[6:7], v[146:147]
	s_wait_loadcnt_dscnt 0x100
	v_mul_f64_e32 v[142:143], v[8:9], v[150:151]
	v_mul_f64_e32 v[150:151], v[10:11], v[150:151]
	v_add_f64_e32 v[12:13], v[14:15], v[12:13]
	v_add_f64_e32 v[14:15], v[160:161], v[170:171]
	v_fmac_f64_e32 v[2:3], v[6:7], v[144:145]
	v_fma_f64 v[4:5], v[4:5], v[144:145], -v[146:147]
	v_fmac_f64_e32 v[142:143], v[10:11], v[148:149]
	v_fma_f64 v[8:9], v[8:9], v[148:149], -v[150:151]
	v_add_f64_e32 v[6:7], v[12:13], v[140:141]
	v_add_f64_e32 v[12:13], v[14:15], v[162:163]
	s_delay_alu instid0(VALU_DEP_2) | instskip(NEXT) | instid1(VALU_DEP_2)
	v_add_f64_e32 v[4:5], v[6:7], v[4:5]
	v_add_f64_e32 v[2:3], v[12:13], v[2:3]
	s_delay_alu instid0(VALU_DEP_2) | instskip(NEXT) | instid1(VALU_DEP_2)
	v_add_f64_e32 v[4:5], v[4:5], v[8:9]
	v_add_f64_e32 v[6:7], v[2:3], v[142:143]
	s_wait_loadcnt 0x0
	s_delay_alu instid0(VALU_DEP_2) | instskip(NEXT) | instid1(VALU_DEP_2)
	v_add_f64_e64 v[2:3], v[152:153], -v[4:5]
	v_add_f64_e64 v[4:5], v[154:155], -v[6:7]
	scratch_store_b128 off, v[2:5], off offset:864
	s_wait_xcnt 0x0
	v_cmpx_lt_u32_e32 53, v1
	s_cbranch_execz .LBB60_285
; %bb.284:
	scratch_load_b128 v[2:5], off, s13
	v_mov_b32_e32 v6, 0
	s_delay_alu instid0(VALU_DEP_1)
	v_dual_mov_b32 v7, v6 :: v_dual_mov_b32 v8, v6
	v_mov_b32_e32 v9, v6
	scratch_store_b128 off, v[6:9], off offset:848
	s_wait_loadcnt 0x0
	ds_store_b128 v138, v[2:5]
.LBB60_285:
	s_wait_xcnt 0x0
	s_or_b32 exec_lo, exec_lo, s2
	s_wait_storecnt_dscnt 0x0
	s_barrier_signal -1
	s_barrier_wait -1
	s_clause 0x7
	scratch_load_b128 v[4:7], off, off offset:864
	scratch_load_b128 v[8:11], off, off offset:880
	;; [unrolled: 1-line block ×8, first 2 shown]
	v_mov_b32_e32 v2, 0
	ds_load_b128 v[160:163], v2 offset:1840
	ds_load_b128 v[164:167], v2 offset:1856
	s_mov_b32 s2, exec_lo
	s_wait_loadcnt_dscnt 0x701
	v_mul_f64_e32 v[168:169], v[162:163], v[6:7]
	v_mul_f64_e32 v[170:171], v[160:161], v[6:7]
	s_wait_loadcnt_dscnt 0x600
	v_mul_f64_e32 v[172:173], v[164:165], v[10:11]
	v_mul_f64_e32 v[10:11], v[166:167], v[10:11]
	s_delay_alu instid0(VALU_DEP_4) | instskip(NEXT) | instid1(VALU_DEP_4)
	v_fma_f64 v[168:169], v[160:161], v[4:5], -v[168:169]
	v_fmac_f64_e32 v[170:171], v[162:163], v[4:5]
	ds_load_b128 v[4:7], v2 offset:1872
	ds_load_b128 v[160:163], v2 offset:1888
	v_fmac_f64_e32 v[172:173], v[166:167], v[8:9]
	v_fma_f64 v[8:9], v[164:165], v[8:9], -v[10:11]
	s_wait_loadcnt_dscnt 0x501
	v_mul_f64_e32 v[174:175], v[4:5], v[14:15]
	v_mul_f64_e32 v[14:15], v[6:7], v[14:15]
	s_wait_loadcnt_dscnt 0x400
	v_mul_f64_e32 v[166:167], v[160:161], v[142:143]
	v_mul_f64_e32 v[142:143], v[162:163], v[142:143]
	v_add_f64_e32 v[10:11], 0, v[168:169]
	v_add_f64_e32 v[164:165], 0, v[170:171]
	v_fmac_f64_e32 v[174:175], v[6:7], v[12:13]
	v_fma_f64 v[12:13], v[4:5], v[12:13], -v[14:15]
	v_fmac_f64_e32 v[166:167], v[162:163], v[140:141]
	v_fma_f64 v[140:141], v[160:161], v[140:141], -v[142:143]
	v_add_f64_e32 v[14:15], v[10:11], v[8:9]
	v_add_f64_e32 v[164:165], v[164:165], v[172:173]
	ds_load_b128 v[4:7], v2 offset:1904
	ds_load_b128 v[8:11], v2 offset:1920
	s_wait_loadcnt_dscnt 0x301
	v_mul_f64_e32 v[168:169], v[4:5], v[146:147]
	v_mul_f64_e32 v[146:147], v[6:7], v[146:147]
	s_wait_loadcnt_dscnt 0x200
	v_mul_f64_e32 v[142:143], v[8:9], v[150:151]
	v_mul_f64_e32 v[150:151], v[10:11], v[150:151]
	v_add_f64_e32 v[12:13], v[14:15], v[12:13]
	v_add_f64_e32 v[14:15], v[164:165], v[174:175]
	v_fmac_f64_e32 v[168:169], v[6:7], v[144:145]
	v_fma_f64 v[144:145], v[4:5], v[144:145], -v[146:147]
	ds_load_b128 v[4:7], v2 offset:1936
	v_fmac_f64_e32 v[142:143], v[10:11], v[148:149]
	v_fma_f64 v[8:9], v[8:9], v[148:149], -v[150:151]
	v_add_f64_e32 v[12:13], v[12:13], v[140:141]
	v_add_f64_e32 v[14:15], v[14:15], v[166:167]
	s_wait_loadcnt_dscnt 0x100
	v_mul_f64_e32 v[140:141], v[4:5], v[154:155]
	v_mul_f64_e32 v[146:147], v[6:7], v[154:155]
	s_delay_alu instid0(VALU_DEP_4) | instskip(NEXT) | instid1(VALU_DEP_4)
	v_add_f64_e32 v[10:11], v[12:13], v[144:145]
	v_add_f64_e32 v[12:13], v[14:15], v[168:169]
	s_delay_alu instid0(VALU_DEP_4) | instskip(NEXT) | instid1(VALU_DEP_4)
	v_fmac_f64_e32 v[140:141], v[6:7], v[152:153]
	v_fma_f64 v[4:5], v[4:5], v[152:153], -v[146:147]
	s_delay_alu instid0(VALU_DEP_4) | instskip(NEXT) | instid1(VALU_DEP_4)
	v_add_f64_e32 v[6:7], v[10:11], v[8:9]
	v_add_f64_e32 v[8:9], v[12:13], v[142:143]
	s_delay_alu instid0(VALU_DEP_2) | instskip(NEXT) | instid1(VALU_DEP_2)
	v_add_f64_e32 v[4:5], v[6:7], v[4:5]
	v_add_f64_e32 v[6:7], v[8:9], v[140:141]
	s_wait_loadcnt 0x0
	s_delay_alu instid0(VALU_DEP_2) | instskip(NEXT) | instid1(VALU_DEP_2)
	v_add_f64_e64 v[4:5], v[156:157], -v[4:5]
	v_add_f64_e64 v[6:7], v[158:159], -v[6:7]
	scratch_store_b128 off, v[4:7], off offset:848
	s_wait_xcnt 0x0
	v_cmpx_lt_u32_e32 52, v1
	s_cbranch_execz .LBB60_287
; %bb.286:
	scratch_load_b128 v[6:9], off, s20
	v_dual_mov_b32 v3, v2 :: v_dual_mov_b32 v4, v2
	v_mov_b32_e32 v5, v2
	scratch_store_b128 off, v[2:5], off offset:832
	s_wait_loadcnt 0x0
	ds_store_b128 v138, v[6:9]
.LBB60_287:
	s_wait_xcnt 0x0
	s_or_b32 exec_lo, exec_lo, s2
	s_wait_storecnt_dscnt 0x0
	s_barrier_signal -1
	s_barrier_wait -1
	s_clause 0x7
	scratch_load_b128 v[4:7], off, off offset:848
	scratch_load_b128 v[8:11], off, off offset:864
	;; [unrolled: 1-line block ×8, first 2 shown]
	ds_load_b128 v[160:163], v2 offset:1824
	ds_load_b128 v[164:167], v2 offset:1840
	scratch_load_b128 v[168:171], off, off offset:832
	s_mov_b32 s2, exec_lo
	s_wait_loadcnt_dscnt 0x801
	v_mul_f64_e32 v[172:173], v[162:163], v[6:7]
	v_mul_f64_e32 v[174:175], v[160:161], v[6:7]
	s_wait_loadcnt_dscnt 0x700
	v_mul_f64_e32 v[176:177], v[164:165], v[10:11]
	v_mul_f64_e32 v[10:11], v[166:167], v[10:11]
	s_delay_alu instid0(VALU_DEP_4) | instskip(NEXT) | instid1(VALU_DEP_4)
	v_fma_f64 v[172:173], v[160:161], v[4:5], -v[172:173]
	v_fmac_f64_e32 v[174:175], v[162:163], v[4:5]
	ds_load_b128 v[4:7], v2 offset:1856
	ds_load_b128 v[160:163], v2 offset:1872
	v_fmac_f64_e32 v[176:177], v[166:167], v[8:9]
	v_fma_f64 v[8:9], v[164:165], v[8:9], -v[10:11]
	s_wait_loadcnt_dscnt 0x601
	v_mul_f64_e32 v[178:179], v[4:5], v[14:15]
	v_mul_f64_e32 v[14:15], v[6:7], v[14:15]
	s_wait_loadcnt_dscnt 0x500
	v_mul_f64_e32 v[166:167], v[160:161], v[142:143]
	v_mul_f64_e32 v[142:143], v[162:163], v[142:143]
	v_add_f64_e32 v[10:11], 0, v[172:173]
	v_add_f64_e32 v[164:165], 0, v[174:175]
	v_fmac_f64_e32 v[178:179], v[6:7], v[12:13]
	v_fma_f64 v[12:13], v[4:5], v[12:13], -v[14:15]
	v_fmac_f64_e32 v[166:167], v[162:163], v[140:141]
	v_fma_f64 v[140:141], v[160:161], v[140:141], -v[142:143]
	v_add_f64_e32 v[14:15], v[10:11], v[8:9]
	v_add_f64_e32 v[164:165], v[164:165], v[176:177]
	ds_load_b128 v[4:7], v2 offset:1888
	ds_load_b128 v[8:11], v2 offset:1904
	s_wait_loadcnt_dscnt 0x401
	v_mul_f64_e32 v[172:173], v[4:5], v[146:147]
	v_mul_f64_e32 v[146:147], v[6:7], v[146:147]
	s_wait_loadcnt_dscnt 0x300
	v_mul_f64_e32 v[142:143], v[8:9], v[150:151]
	v_mul_f64_e32 v[150:151], v[10:11], v[150:151]
	v_add_f64_e32 v[12:13], v[14:15], v[12:13]
	v_add_f64_e32 v[14:15], v[164:165], v[178:179]
	v_fmac_f64_e32 v[172:173], v[6:7], v[144:145]
	v_fma_f64 v[144:145], v[4:5], v[144:145], -v[146:147]
	v_fmac_f64_e32 v[142:143], v[10:11], v[148:149]
	v_fma_f64 v[8:9], v[8:9], v[148:149], -v[150:151]
	v_add_f64_e32 v[140:141], v[12:13], v[140:141]
	v_add_f64_e32 v[146:147], v[14:15], v[166:167]
	ds_load_b128 v[4:7], v2 offset:1920
	ds_load_b128 v[12:15], v2 offset:1936
	s_wait_loadcnt_dscnt 0x201
	v_mul_f64_e32 v[2:3], v[4:5], v[154:155]
	v_mul_f64_e32 v[154:155], v[6:7], v[154:155]
	v_add_f64_e32 v[10:11], v[140:141], v[144:145]
	v_add_f64_e32 v[140:141], v[146:147], v[172:173]
	s_wait_loadcnt_dscnt 0x100
	v_mul_f64_e32 v[144:145], v[12:13], v[158:159]
	v_mul_f64_e32 v[146:147], v[14:15], v[158:159]
	v_fmac_f64_e32 v[2:3], v[6:7], v[152:153]
	v_fma_f64 v[4:5], v[4:5], v[152:153], -v[154:155]
	v_add_f64_e32 v[6:7], v[10:11], v[8:9]
	v_add_f64_e32 v[8:9], v[140:141], v[142:143]
	v_fmac_f64_e32 v[144:145], v[14:15], v[156:157]
	v_fma_f64 v[10:11], v[12:13], v[156:157], -v[146:147]
	s_delay_alu instid0(VALU_DEP_4) | instskip(NEXT) | instid1(VALU_DEP_4)
	v_add_f64_e32 v[4:5], v[6:7], v[4:5]
	v_add_f64_e32 v[2:3], v[8:9], v[2:3]
	s_delay_alu instid0(VALU_DEP_2) | instskip(NEXT) | instid1(VALU_DEP_2)
	v_add_f64_e32 v[4:5], v[4:5], v[10:11]
	v_add_f64_e32 v[6:7], v[2:3], v[144:145]
	s_wait_loadcnt 0x0
	s_delay_alu instid0(VALU_DEP_2) | instskip(NEXT) | instid1(VALU_DEP_2)
	v_add_f64_e64 v[2:3], v[168:169], -v[4:5]
	v_add_f64_e64 v[4:5], v[170:171], -v[6:7]
	scratch_store_b128 off, v[2:5], off offset:832
	s_wait_xcnt 0x0
	v_cmpx_lt_u32_e32 51, v1
	s_cbranch_execz .LBB60_289
; %bb.288:
	scratch_load_b128 v[2:5], off, s15
	v_mov_b32_e32 v6, 0
	s_delay_alu instid0(VALU_DEP_1)
	v_dual_mov_b32 v7, v6 :: v_dual_mov_b32 v8, v6
	v_mov_b32_e32 v9, v6
	scratch_store_b128 off, v[6:9], off offset:816
	s_wait_loadcnt 0x0
	ds_store_b128 v138, v[2:5]
.LBB60_289:
	s_wait_xcnt 0x0
	s_or_b32 exec_lo, exec_lo, s2
	s_wait_storecnt_dscnt 0x0
	s_barrier_signal -1
	s_barrier_wait -1
	s_clause 0x8
	scratch_load_b128 v[4:7], off, off offset:832
	scratch_load_b128 v[8:11], off, off offset:848
	;; [unrolled: 1-line block ×9, first 2 shown]
	v_mov_b32_e32 v2, 0
	scratch_load_b128 v[168:171], off, off offset:816
	s_mov_b32 s2, exec_lo
	ds_load_b128 v[164:167], v2 offset:1808
	ds_load_b128 v[172:175], v2 offset:1824
	s_wait_loadcnt_dscnt 0x901
	v_mul_f64_e32 v[176:177], v[166:167], v[6:7]
	v_mul_f64_e32 v[178:179], v[164:165], v[6:7]
	s_wait_loadcnt_dscnt 0x800
	v_mul_f64_e32 v[180:181], v[172:173], v[10:11]
	v_mul_f64_e32 v[10:11], v[174:175], v[10:11]
	s_delay_alu instid0(VALU_DEP_4) | instskip(NEXT) | instid1(VALU_DEP_4)
	v_fma_f64 v[176:177], v[164:165], v[4:5], -v[176:177]
	v_fmac_f64_e32 v[178:179], v[166:167], v[4:5]
	ds_load_b128 v[4:7], v2 offset:1840
	ds_load_b128 v[164:167], v2 offset:1856
	v_fmac_f64_e32 v[180:181], v[174:175], v[8:9]
	v_fma_f64 v[8:9], v[172:173], v[8:9], -v[10:11]
	s_wait_loadcnt_dscnt 0x701
	v_mul_f64_e32 v[182:183], v[4:5], v[14:15]
	v_mul_f64_e32 v[14:15], v[6:7], v[14:15]
	s_wait_loadcnt_dscnt 0x600
	v_mul_f64_e32 v[174:175], v[164:165], v[142:143]
	v_mul_f64_e32 v[142:143], v[166:167], v[142:143]
	v_add_f64_e32 v[10:11], 0, v[176:177]
	v_add_f64_e32 v[172:173], 0, v[178:179]
	v_fmac_f64_e32 v[182:183], v[6:7], v[12:13]
	v_fma_f64 v[12:13], v[4:5], v[12:13], -v[14:15]
	v_fmac_f64_e32 v[174:175], v[166:167], v[140:141]
	v_fma_f64 v[140:141], v[164:165], v[140:141], -v[142:143]
	v_add_f64_e32 v[14:15], v[10:11], v[8:9]
	v_add_f64_e32 v[172:173], v[172:173], v[180:181]
	ds_load_b128 v[4:7], v2 offset:1872
	ds_load_b128 v[8:11], v2 offset:1888
	s_wait_loadcnt_dscnt 0x501
	v_mul_f64_e32 v[176:177], v[4:5], v[146:147]
	v_mul_f64_e32 v[146:147], v[6:7], v[146:147]
	s_wait_loadcnt_dscnt 0x400
	v_mul_f64_e32 v[142:143], v[8:9], v[150:151]
	v_mul_f64_e32 v[150:151], v[10:11], v[150:151]
	v_add_f64_e32 v[12:13], v[14:15], v[12:13]
	v_add_f64_e32 v[14:15], v[172:173], v[182:183]
	v_fmac_f64_e32 v[176:177], v[6:7], v[144:145]
	v_fma_f64 v[144:145], v[4:5], v[144:145], -v[146:147]
	v_fmac_f64_e32 v[142:143], v[10:11], v[148:149]
	v_fma_f64 v[8:9], v[8:9], v[148:149], -v[150:151]
	v_add_f64_e32 v[140:141], v[12:13], v[140:141]
	v_add_f64_e32 v[146:147], v[14:15], v[174:175]
	ds_load_b128 v[4:7], v2 offset:1904
	ds_load_b128 v[12:15], v2 offset:1920
	s_wait_loadcnt_dscnt 0x301
	v_mul_f64_e32 v[164:165], v[4:5], v[154:155]
	v_mul_f64_e32 v[154:155], v[6:7], v[154:155]
	v_add_f64_e32 v[10:11], v[140:141], v[144:145]
	v_add_f64_e32 v[140:141], v[146:147], v[176:177]
	s_wait_loadcnt_dscnt 0x200
	v_mul_f64_e32 v[144:145], v[12:13], v[158:159]
	v_mul_f64_e32 v[146:147], v[14:15], v[158:159]
	v_fmac_f64_e32 v[164:165], v[6:7], v[152:153]
	v_fma_f64 v[148:149], v[4:5], v[152:153], -v[154:155]
	ds_load_b128 v[4:7], v2 offset:1936
	v_add_f64_e32 v[8:9], v[10:11], v[8:9]
	v_add_f64_e32 v[10:11], v[140:141], v[142:143]
	v_fmac_f64_e32 v[144:145], v[14:15], v[156:157]
	v_fma_f64 v[12:13], v[12:13], v[156:157], -v[146:147]
	s_wait_loadcnt_dscnt 0x100
	v_mul_f64_e32 v[140:141], v[4:5], v[162:163]
	v_mul_f64_e32 v[142:143], v[6:7], v[162:163]
	v_add_f64_e32 v[8:9], v[8:9], v[148:149]
	v_add_f64_e32 v[10:11], v[10:11], v[164:165]
	s_delay_alu instid0(VALU_DEP_4) | instskip(NEXT) | instid1(VALU_DEP_4)
	v_fmac_f64_e32 v[140:141], v[6:7], v[160:161]
	v_fma_f64 v[4:5], v[4:5], v[160:161], -v[142:143]
	s_delay_alu instid0(VALU_DEP_4) | instskip(NEXT) | instid1(VALU_DEP_4)
	v_add_f64_e32 v[6:7], v[8:9], v[12:13]
	v_add_f64_e32 v[8:9], v[10:11], v[144:145]
	s_delay_alu instid0(VALU_DEP_2) | instskip(NEXT) | instid1(VALU_DEP_2)
	v_add_f64_e32 v[4:5], v[6:7], v[4:5]
	v_add_f64_e32 v[6:7], v[8:9], v[140:141]
	s_wait_loadcnt 0x0
	s_delay_alu instid0(VALU_DEP_2) | instskip(NEXT) | instid1(VALU_DEP_2)
	v_add_f64_e64 v[4:5], v[168:169], -v[4:5]
	v_add_f64_e64 v[6:7], v[170:171], -v[6:7]
	scratch_store_b128 off, v[4:7], off offset:816
	s_wait_xcnt 0x0
	v_cmpx_lt_u32_e32 50, v1
	s_cbranch_execz .LBB60_291
; %bb.290:
	scratch_load_b128 v[6:9], off, s22
	v_dual_mov_b32 v3, v2 :: v_dual_mov_b32 v4, v2
	v_mov_b32_e32 v5, v2
	scratch_store_b128 off, v[2:5], off offset:800
	s_wait_loadcnt 0x0
	ds_store_b128 v138, v[6:9]
.LBB60_291:
	s_wait_xcnt 0x0
	s_or_b32 exec_lo, exec_lo, s2
	s_wait_storecnt_dscnt 0x0
	s_barrier_signal -1
	s_barrier_wait -1
	s_clause 0x9
	scratch_load_b128 v[4:7], off, off offset:816
	scratch_load_b128 v[8:11], off, off offset:832
	;; [unrolled: 1-line block ×10, first 2 shown]
	ds_load_b128 v[168:171], v2 offset:1792
	ds_load_b128 v[172:175], v2 offset:1808
	scratch_load_b128 v[176:179], off, off offset:800
	s_mov_b32 s2, exec_lo
	s_wait_loadcnt_dscnt 0xa01
	v_mul_f64_e32 v[180:181], v[170:171], v[6:7]
	v_mul_f64_e32 v[182:183], v[168:169], v[6:7]
	s_wait_loadcnt_dscnt 0x900
	v_mul_f64_e32 v[184:185], v[172:173], v[10:11]
	v_mul_f64_e32 v[10:11], v[174:175], v[10:11]
	s_delay_alu instid0(VALU_DEP_4) | instskip(NEXT) | instid1(VALU_DEP_4)
	v_fma_f64 v[180:181], v[168:169], v[4:5], -v[180:181]
	v_fmac_f64_e32 v[182:183], v[170:171], v[4:5]
	ds_load_b128 v[4:7], v2 offset:1824
	ds_load_b128 v[168:171], v2 offset:1840
	v_fmac_f64_e32 v[184:185], v[174:175], v[8:9]
	v_fma_f64 v[8:9], v[172:173], v[8:9], -v[10:11]
	s_wait_loadcnt_dscnt 0x801
	v_mul_f64_e32 v[186:187], v[4:5], v[14:15]
	v_mul_f64_e32 v[14:15], v[6:7], v[14:15]
	s_wait_loadcnt_dscnt 0x700
	v_mul_f64_e32 v[174:175], v[168:169], v[142:143]
	v_mul_f64_e32 v[142:143], v[170:171], v[142:143]
	v_add_f64_e32 v[10:11], 0, v[180:181]
	v_add_f64_e32 v[172:173], 0, v[182:183]
	v_fmac_f64_e32 v[186:187], v[6:7], v[12:13]
	v_fma_f64 v[12:13], v[4:5], v[12:13], -v[14:15]
	v_fmac_f64_e32 v[174:175], v[170:171], v[140:141]
	v_fma_f64 v[140:141], v[168:169], v[140:141], -v[142:143]
	v_add_f64_e32 v[14:15], v[10:11], v[8:9]
	v_add_f64_e32 v[172:173], v[172:173], v[184:185]
	ds_load_b128 v[4:7], v2 offset:1856
	ds_load_b128 v[8:11], v2 offset:1872
	s_wait_loadcnt_dscnt 0x601
	v_mul_f64_e32 v[180:181], v[4:5], v[146:147]
	v_mul_f64_e32 v[146:147], v[6:7], v[146:147]
	s_wait_loadcnt_dscnt 0x500
	v_mul_f64_e32 v[142:143], v[8:9], v[150:151]
	v_mul_f64_e32 v[150:151], v[10:11], v[150:151]
	v_add_f64_e32 v[12:13], v[14:15], v[12:13]
	v_add_f64_e32 v[14:15], v[172:173], v[186:187]
	v_fmac_f64_e32 v[180:181], v[6:7], v[144:145]
	v_fma_f64 v[144:145], v[4:5], v[144:145], -v[146:147]
	v_fmac_f64_e32 v[142:143], v[10:11], v[148:149]
	v_fma_f64 v[8:9], v[8:9], v[148:149], -v[150:151]
	v_add_f64_e32 v[140:141], v[12:13], v[140:141]
	v_add_f64_e32 v[146:147], v[14:15], v[174:175]
	ds_load_b128 v[4:7], v2 offset:1888
	ds_load_b128 v[12:15], v2 offset:1904
	s_wait_loadcnt_dscnt 0x401
	v_mul_f64_e32 v[168:169], v[4:5], v[154:155]
	v_mul_f64_e32 v[154:155], v[6:7], v[154:155]
	v_add_f64_e32 v[10:11], v[140:141], v[144:145]
	v_add_f64_e32 v[140:141], v[146:147], v[180:181]
	s_wait_loadcnt_dscnt 0x300
	v_mul_f64_e32 v[144:145], v[12:13], v[158:159]
	v_mul_f64_e32 v[146:147], v[14:15], v[158:159]
	v_fmac_f64_e32 v[168:169], v[6:7], v[152:153]
	v_fma_f64 v[148:149], v[4:5], v[152:153], -v[154:155]
	v_add_f64_e32 v[150:151], v[10:11], v[8:9]
	v_add_f64_e32 v[140:141], v[140:141], v[142:143]
	ds_load_b128 v[4:7], v2 offset:1920
	ds_load_b128 v[8:11], v2 offset:1936
	v_fmac_f64_e32 v[144:145], v[14:15], v[156:157]
	v_fma_f64 v[12:13], v[12:13], v[156:157], -v[146:147]
	s_wait_loadcnt_dscnt 0x201
	v_mul_f64_e32 v[2:3], v[4:5], v[162:163]
	v_mul_f64_e32 v[142:143], v[6:7], v[162:163]
	s_wait_loadcnt_dscnt 0x100
	v_mul_f64_e32 v[146:147], v[8:9], v[166:167]
	v_add_f64_e32 v[14:15], v[150:151], v[148:149]
	v_add_f64_e32 v[140:141], v[140:141], v[168:169]
	v_mul_f64_e32 v[148:149], v[10:11], v[166:167]
	v_fmac_f64_e32 v[2:3], v[6:7], v[160:161]
	v_fma_f64 v[4:5], v[4:5], v[160:161], -v[142:143]
	v_fmac_f64_e32 v[146:147], v[10:11], v[164:165]
	v_add_f64_e32 v[6:7], v[14:15], v[12:13]
	v_add_f64_e32 v[12:13], v[140:141], v[144:145]
	v_fma_f64 v[8:9], v[8:9], v[164:165], -v[148:149]
	s_delay_alu instid0(VALU_DEP_3) | instskip(NEXT) | instid1(VALU_DEP_3)
	v_add_f64_e32 v[4:5], v[6:7], v[4:5]
	v_add_f64_e32 v[2:3], v[12:13], v[2:3]
	s_delay_alu instid0(VALU_DEP_2) | instskip(NEXT) | instid1(VALU_DEP_2)
	v_add_f64_e32 v[4:5], v[4:5], v[8:9]
	v_add_f64_e32 v[6:7], v[2:3], v[146:147]
	s_wait_loadcnt 0x0
	s_delay_alu instid0(VALU_DEP_2) | instskip(NEXT) | instid1(VALU_DEP_2)
	v_add_f64_e64 v[2:3], v[176:177], -v[4:5]
	v_add_f64_e64 v[4:5], v[178:179], -v[6:7]
	scratch_store_b128 off, v[2:5], off offset:800
	s_wait_xcnt 0x0
	v_cmpx_lt_u32_e32 49, v1
	s_cbranch_execz .LBB60_293
; %bb.292:
	scratch_load_b128 v[2:5], off, s21
	v_mov_b32_e32 v6, 0
	s_delay_alu instid0(VALU_DEP_1)
	v_dual_mov_b32 v7, v6 :: v_dual_mov_b32 v8, v6
	v_mov_b32_e32 v9, v6
	scratch_store_b128 off, v[6:9], off offset:784
	s_wait_loadcnt 0x0
	ds_store_b128 v138, v[2:5]
.LBB60_293:
	s_wait_xcnt 0x0
	s_or_b32 exec_lo, exec_lo, s2
	s_wait_storecnt_dscnt 0x0
	s_barrier_signal -1
	s_barrier_wait -1
	s_clause 0x9
	scratch_load_b128 v[4:7], off, off offset:800
	scratch_load_b128 v[8:11], off, off offset:816
	;; [unrolled: 1-line block ×10, first 2 shown]
	v_mov_b32_e32 v2, 0
	s_mov_b32 s2, exec_lo
	ds_load_b128 v[168:171], v2 offset:1776
	s_clause 0x1
	scratch_load_b128 v[172:175], off, off offset:960
	scratch_load_b128 v[176:179], off, off offset:784
	s_wait_loadcnt_dscnt 0xb00
	v_mul_f64_e32 v[184:185], v[170:171], v[6:7]
	v_mul_f64_e32 v[186:187], v[168:169], v[6:7]
	ds_load_b128 v[180:183], v2 offset:1792
	s_wait_loadcnt_dscnt 0xa00
	v_mul_f64_e32 v[188:189], v[180:181], v[10:11]
	v_mul_f64_e32 v[10:11], v[182:183], v[10:11]
	v_fma_f64 v[184:185], v[168:169], v[4:5], -v[184:185]
	v_fmac_f64_e32 v[186:187], v[170:171], v[4:5]
	ds_load_b128 v[4:7], v2 offset:1808
	ds_load_b128 v[168:171], v2 offset:1824
	s_wait_loadcnt_dscnt 0x901
	v_mul_f64_e32 v[190:191], v[4:5], v[14:15]
	v_mul_f64_e32 v[14:15], v[6:7], v[14:15]
	v_fmac_f64_e32 v[188:189], v[182:183], v[8:9]
	v_fma_f64 v[8:9], v[180:181], v[8:9], -v[10:11]
	s_wait_loadcnt_dscnt 0x800
	v_mul_f64_e32 v[182:183], v[168:169], v[142:143]
	v_mul_f64_e32 v[142:143], v[170:171], v[142:143]
	v_add_f64_e32 v[10:11], 0, v[184:185]
	v_add_f64_e32 v[180:181], 0, v[186:187]
	v_fmac_f64_e32 v[190:191], v[6:7], v[12:13]
	v_fma_f64 v[12:13], v[4:5], v[12:13], -v[14:15]
	v_fmac_f64_e32 v[182:183], v[170:171], v[140:141]
	v_fma_f64 v[140:141], v[168:169], v[140:141], -v[142:143]
	v_add_f64_e32 v[14:15], v[10:11], v[8:9]
	v_add_f64_e32 v[180:181], v[180:181], v[188:189]
	ds_load_b128 v[4:7], v2 offset:1840
	ds_load_b128 v[8:11], v2 offset:1856
	s_wait_loadcnt_dscnt 0x701
	v_mul_f64_e32 v[184:185], v[4:5], v[146:147]
	v_mul_f64_e32 v[146:147], v[6:7], v[146:147]
	s_wait_loadcnt_dscnt 0x600
	v_mul_f64_e32 v[142:143], v[8:9], v[150:151]
	v_mul_f64_e32 v[150:151], v[10:11], v[150:151]
	v_add_f64_e32 v[12:13], v[14:15], v[12:13]
	v_add_f64_e32 v[14:15], v[180:181], v[190:191]
	v_fmac_f64_e32 v[184:185], v[6:7], v[144:145]
	v_fma_f64 v[144:145], v[4:5], v[144:145], -v[146:147]
	v_fmac_f64_e32 v[142:143], v[10:11], v[148:149]
	v_fma_f64 v[8:9], v[8:9], v[148:149], -v[150:151]
	v_add_f64_e32 v[140:141], v[12:13], v[140:141]
	v_add_f64_e32 v[146:147], v[14:15], v[182:183]
	ds_load_b128 v[4:7], v2 offset:1872
	ds_load_b128 v[12:15], v2 offset:1888
	s_wait_loadcnt_dscnt 0x501
	v_mul_f64_e32 v[168:169], v[4:5], v[154:155]
	v_mul_f64_e32 v[154:155], v[6:7], v[154:155]
	v_add_f64_e32 v[10:11], v[140:141], v[144:145]
	v_add_f64_e32 v[140:141], v[146:147], v[184:185]
	s_wait_loadcnt_dscnt 0x400
	v_mul_f64_e32 v[144:145], v[12:13], v[158:159]
	v_mul_f64_e32 v[146:147], v[14:15], v[158:159]
	v_fmac_f64_e32 v[168:169], v[6:7], v[152:153]
	v_fma_f64 v[148:149], v[4:5], v[152:153], -v[154:155]
	v_add_f64_e32 v[150:151], v[10:11], v[8:9]
	v_add_f64_e32 v[140:141], v[140:141], v[142:143]
	ds_load_b128 v[4:7], v2 offset:1904
	ds_load_b128 v[8:11], v2 offset:1920
	v_fmac_f64_e32 v[144:145], v[14:15], v[156:157]
	v_fma_f64 v[12:13], v[12:13], v[156:157], -v[146:147]
	s_wait_loadcnt_dscnt 0x301
	v_mul_f64_e32 v[142:143], v[4:5], v[162:163]
	v_mul_f64_e32 v[152:153], v[6:7], v[162:163]
	s_wait_loadcnt_dscnt 0x200
	v_mul_f64_e32 v[146:147], v[8:9], v[166:167]
	v_add_f64_e32 v[14:15], v[150:151], v[148:149]
	v_add_f64_e32 v[140:141], v[140:141], v[168:169]
	v_mul_f64_e32 v[148:149], v[10:11], v[166:167]
	v_fmac_f64_e32 v[142:143], v[6:7], v[160:161]
	v_fma_f64 v[150:151], v[4:5], v[160:161], -v[152:153]
	ds_load_b128 v[4:7], v2 offset:1936
	v_fmac_f64_e32 v[146:147], v[10:11], v[164:165]
	v_add_f64_e32 v[12:13], v[14:15], v[12:13]
	v_add_f64_e32 v[14:15], v[140:141], v[144:145]
	v_fma_f64 v[8:9], v[8:9], v[164:165], -v[148:149]
	s_wait_loadcnt_dscnt 0x100
	v_mul_f64_e32 v[140:141], v[4:5], v[174:175]
	v_mul_f64_e32 v[144:145], v[6:7], v[174:175]
	v_add_f64_e32 v[10:11], v[12:13], v[150:151]
	v_add_f64_e32 v[12:13], v[14:15], v[142:143]
	s_delay_alu instid0(VALU_DEP_4) | instskip(NEXT) | instid1(VALU_DEP_4)
	v_fmac_f64_e32 v[140:141], v[6:7], v[172:173]
	v_fma_f64 v[4:5], v[4:5], v[172:173], -v[144:145]
	s_delay_alu instid0(VALU_DEP_4) | instskip(NEXT) | instid1(VALU_DEP_4)
	v_add_f64_e32 v[6:7], v[10:11], v[8:9]
	v_add_f64_e32 v[8:9], v[12:13], v[146:147]
	s_delay_alu instid0(VALU_DEP_2) | instskip(NEXT) | instid1(VALU_DEP_2)
	v_add_f64_e32 v[4:5], v[6:7], v[4:5]
	v_add_f64_e32 v[6:7], v[8:9], v[140:141]
	s_wait_loadcnt 0x0
	s_delay_alu instid0(VALU_DEP_2) | instskip(NEXT) | instid1(VALU_DEP_2)
	v_add_f64_e64 v[4:5], v[176:177], -v[4:5]
	v_add_f64_e64 v[6:7], v[178:179], -v[6:7]
	scratch_store_b128 off, v[4:7], off offset:784
	s_wait_xcnt 0x0
	v_cmpx_lt_u32_e32 48, v1
	s_cbranch_execz .LBB60_295
; %bb.294:
	scratch_load_b128 v[6:9], off, s24
	v_dual_mov_b32 v3, v2 :: v_dual_mov_b32 v4, v2
	v_mov_b32_e32 v5, v2
	scratch_store_b128 off, v[2:5], off offset:768
	s_wait_loadcnt 0x0
	ds_store_b128 v138, v[6:9]
.LBB60_295:
	s_wait_xcnt 0x0
	s_or_b32 exec_lo, exec_lo, s2
	s_wait_storecnt_dscnt 0x0
	s_barrier_signal -1
	s_barrier_wait -1
	s_clause 0x9
	scratch_load_b128 v[4:7], off, off offset:784
	scratch_load_b128 v[8:11], off, off offset:800
	;; [unrolled: 1-line block ×10, first 2 shown]
	ds_load_b128 v[168:171], v2 offset:1760
	ds_load_b128 v[176:179], v2 offset:1776
	s_clause 0x2
	scratch_load_b128 v[172:175], off, off offset:944
	scratch_load_b128 v[180:183], off, off offset:768
	;; [unrolled: 1-line block ×3, first 2 shown]
	s_mov_b32 s2, exec_lo
	s_wait_loadcnt_dscnt 0xc01
	v_mul_f64_e32 v[188:189], v[170:171], v[6:7]
	v_mul_f64_e32 v[190:191], v[168:169], v[6:7]
	s_wait_loadcnt_dscnt 0xb00
	v_mul_f64_e32 v[192:193], v[176:177], v[10:11]
	v_mul_f64_e32 v[10:11], v[178:179], v[10:11]
	s_delay_alu instid0(VALU_DEP_4) | instskip(NEXT) | instid1(VALU_DEP_4)
	v_fma_f64 v[188:189], v[168:169], v[4:5], -v[188:189]
	v_fmac_f64_e32 v[190:191], v[170:171], v[4:5]
	ds_load_b128 v[4:7], v2 offset:1792
	ds_load_b128 v[168:171], v2 offset:1808
	v_fmac_f64_e32 v[192:193], v[178:179], v[8:9]
	v_fma_f64 v[8:9], v[176:177], v[8:9], -v[10:11]
	s_wait_loadcnt_dscnt 0xa01
	v_mul_f64_e32 v[194:195], v[4:5], v[14:15]
	v_mul_f64_e32 v[14:15], v[6:7], v[14:15]
	s_wait_loadcnt_dscnt 0x900
	v_mul_f64_e32 v[178:179], v[168:169], v[142:143]
	v_mul_f64_e32 v[142:143], v[170:171], v[142:143]
	v_add_f64_e32 v[10:11], 0, v[188:189]
	v_add_f64_e32 v[176:177], 0, v[190:191]
	v_fmac_f64_e32 v[194:195], v[6:7], v[12:13]
	v_fma_f64 v[12:13], v[4:5], v[12:13], -v[14:15]
	v_fmac_f64_e32 v[178:179], v[170:171], v[140:141]
	v_fma_f64 v[140:141], v[168:169], v[140:141], -v[142:143]
	v_add_f64_e32 v[14:15], v[10:11], v[8:9]
	v_add_f64_e32 v[176:177], v[176:177], v[192:193]
	ds_load_b128 v[4:7], v2 offset:1824
	ds_load_b128 v[8:11], v2 offset:1840
	s_wait_loadcnt_dscnt 0x801
	v_mul_f64_e32 v[188:189], v[4:5], v[146:147]
	v_mul_f64_e32 v[146:147], v[6:7], v[146:147]
	s_wait_loadcnt_dscnt 0x700
	v_mul_f64_e32 v[142:143], v[8:9], v[150:151]
	v_mul_f64_e32 v[150:151], v[10:11], v[150:151]
	v_add_f64_e32 v[12:13], v[14:15], v[12:13]
	v_add_f64_e32 v[14:15], v[176:177], v[194:195]
	v_fmac_f64_e32 v[188:189], v[6:7], v[144:145]
	v_fma_f64 v[144:145], v[4:5], v[144:145], -v[146:147]
	v_fmac_f64_e32 v[142:143], v[10:11], v[148:149]
	v_fma_f64 v[8:9], v[8:9], v[148:149], -v[150:151]
	v_add_f64_e32 v[140:141], v[12:13], v[140:141]
	v_add_f64_e32 v[146:147], v[14:15], v[178:179]
	ds_load_b128 v[4:7], v2 offset:1856
	ds_load_b128 v[12:15], v2 offset:1872
	s_wait_loadcnt_dscnt 0x601
	v_mul_f64_e32 v[168:169], v[4:5], v[154:155]
	v_mul_f64_e32 v[154:155], v[6:7], v[154:155]
	v_add_f64_e32 v[10:11], v[140:141], v[144:145]
	v_add_f64_e32 v[140:141], v[146:147], v[188:189]
	s_wait_loadcnt_dscnt 0x500
	v_mul_f64_e32 v[144:145], v[12:13], v[158:159]
	v_mul_f64_e32 v[146:147], v[14:15], v[158:159]
	v_fmac_f64_e32 v[168:169], v[6:7], v[152:153]
	v_fma_f64 v[148:149], v[4:5], v[152:153], -v[154:155]
	v_add_f64_e32 v[150:151], v[10:11], v[8:9]
	v_add_f64_e32 v[140:141], v[140:141], v[142:143]
	ds_load_b128 v[4:7], v2 offset:1888
	ds_load_b128 v[8:11], v2 offset:1904
	v_fmac_f64_e32 v[144:145], v[14:15], v[156:157]
	v_fma_f64 v[12:13], v[12:13], v[156:157], -v[146:147]
	s_wait_loadcnt_dscnt 0x401
	v_mul_f64_e32 v[142:143], v[4:5], v[162:163]
	v_mul_f64_e32 v[152:153], v[6:7], v[162:163]
	s_wait_loadcnt_dscnt 0x300
	v_mul_f64_e32 v[146:147], v[8:9], v[166:167]
	v_add_f64_e32 v[14:15], v[150:151], v[148:149]
	v_add_f64_e32 v[140:141], v[140:141], v[168:169]
	v_mul_f64_e32 v[148:149], v[10:11], v[166:167]
	v_fmac_f64_e32 v[142:143], v[6:7], v[160:161]
	v_fma_f64 v[150:151], v[4:5], v[160:161], -v[152:153]
	v_fmac_f64_e32 v[146:147], v[10:11], v[164:165]
	v_add_f64_e32 v[152:153], v[14:15], v[12:13]
	v_add_f64_e32 v[140:141], v[140:141], v[144:145]
	ds_load_b128 v[4:7], v2 offset:1920
	ds_load_b128 v[12:15], v2 offset:1936
	v_fma_f64 v[8:9], v[8:9], v[164:165], -v[148:149]
	s_wait_loadcnt_dscnt 0x201
	v_mul_f64_e32 v[2:3], v[4:5], v[174:175]
	v_mul_f64_e32 v[144:145], v[6:7], v[174:175]
	s_wait_loadcnt_dscnt 0x0
	v_mul_f64_e32 v[148:149], v[14:15], v[186:187]
	v_add_f64_e32 v[10:11], v[152:153], v[150:151]
	v_add_f64_e32 v[140:141], v[140:141], v[142:143]
	v_mul_f64_e32 v[142:143], v[12:13], v[186:187]
	v_fmac_f64_e32 v[2:3], v[6:7], v[172:173]
	v_fma_f64 v[4:5], v[4:5], v[172:173], -v[144:145]
	v_add_f64_e32 v[6:7], v[10:11], v[8:9]
	v_add_f64_e32 v[8:9], v[140:141], v[146:147]
	v_fmac_f64_e32 v[142:143], v[14:15], v[184:185]
	v_fma_f64 v[10:11], v[12:13], v[184:185], -v[148:149]
	s_delay_alu instid0(VALU_DEP_4) | instskip(NEXT) | instid1(VALU_DEP_4)
	v_add_f64_e32 v[4:5], v[6:7], v[4:5]
	v_add_f64_e32 v[2:3], v[8:9], v[2:3]
	s_delay_alu instid0(VALU_DEP_2) | instskip(NEXT) | instid1(VALU_DEP_2)
	v_add_f64_e32 v[4:5], v[4:5], v[10:11]
	v_add_f64_e32 v[6:7], v[2:3], v[142:143]
	s_delay_alu instid0(VALU_DEP_2) | instskip(NEXT) | instid1(VALU_DEP_2)
	v_add_f64_e64 v[2:3], v[180:181], -v[4:5]
	v_add_f64_e64 v[4:5], v[182:183], -v[6:7]
	scratch_store_b128 off, v[2:5], off offset:768
	s_wait_xcnt 0x0
	v_cmpx_lt_u32_e32 47, v1
	s_cbranch_execz .LBB60_297
; %bb.296:
	scratch_load_b128 v[2:5], off, s23
	v_mov_b32_e32 v6, 0
	s_delay_alu instid0(VALU_DEP_1)
	v_dual_mov_b32 v7, v6 :: v_dual_mov_b32 v8, v6
	v_mov_b32_e32 v9, v6
	scratch_store_b128 off, v[6:9], off offset:752
	s_wait_loadcnt 0x0
	ds_store_b128 v138, v[2:5]
.LBB60_297:
	s_wait_xcnt 0x0
	s_or_b32 exec_lo, exec_lo, s2
	s_wait_storecnt_dscnt 0x0
	s_barrier_signal -1
	s_barrier_wait -1
	s_clause 0x9
	scratch_load_b128 v[4:7], off, off offset:768
	scratch_load_b128 v[8:11], off, off offset:784
	;; [unrolled: 1-line block ×10, first 2 shown]
	v_mov_b32_e32 v2, 0
	s_mov_b32 s2, exec_lo
	ds_load_b128 v[168:171], v2 offset:1744
	s_clause 0x2
	scratch_load_b128 v[172:175], off, off offset:928
	scratch_load_b128 v[176:179], off, off offset:752
	;; [unrolled: 1-line block ×3, first 2 shown]
	s_wait_loadcnt_dscnt 0xc00
	v_mul_f64_e32 v[188:189], v[170:171], v[6:7]
	v_mul_f64_e32 v[192:193], v[168:169], v[6:7]
	ds_load_b128 v[180:183], v2 offset:1760
	v_fma_f64 v[196:197], v[168:169], v[4:5], -v[188:189]
	v_fmac_f64_e32 v[192:193], v[170:171], v[4:5]
	ds_load_b128 v[4:7], v2 offset:1776
	s_wait_loadcnt_dscnt 0xb01
	v_mul_f64_e32 v[194:195], v[180:181], v[10:11]
	v_mul_f64_e32 v[10:11], v[182:183], v[10:11]
	scratch_load_b128 v[168:171], off, off offset:960
	ds_load_b128 v[188:191], v2 offset:1792
	s_wait_loadcnt_dscnt 0xb01
	v_mul_f64_e32 v[198:199], v[4:5], v[14:15]
	v_mul_f64_e32 v[14:15], v[6:7], v[14:15]
	v_fmac_f64_e32 v[194:195], v[182:183], v[8:9]
	v_fma_f64 v[8:9], v[180:181], v[8:9], -v[10:11]
	v_add_f64_e32 v[10:11], 0, v[196:197]
	v_add_f64_e32 v[180:181], 0, v[192:193]
	s_wait_loadcnt_dscnt 0xa00
	v_mul_f64_e32 v[182:183], v[188:189], v[142:143]
	v_mul_f64_e32 v[142:143], v[190:191], v[142:143]
	v_fmac_f64_e32 v[198:199], v[6:7], v[12:13]
	v_fma_f64 v[12:13], v[4:5], v[12:13], -v[14:15]
	v_add_f64_e32 v[14:15], v[10:11], v[8:9]
	v_add_f64_e32 v[180:181], v[180:181], v[194:195]
	ds_load_b128 v[4:7], v2 offset:1808
	ds_load_b128 v[8:11], v2 offset:1824
	v_fmac_f64_e32 v[182:183], v[190:191], v[140:141]
	v_fma_f64 v[140:141], v[188:189], v[140:141], -v[142:143]
	s_wait_loadcnt_dscnt 0x901
	v_mul_f64_e32 v[192:193], v[4:5], v[146:147]
	v_mul_f64_e32 v[146:147], v[6:7], v[146:147]
	s_wait_loadcnt_dscnt 0x800
	v_mul_f64_e32 v[142:143], v[8:9], v[150:151]
	v_mul_f64_e32 v[150:151], v[10:11], v[150:151]
	v_add_f64_e32 v[12:13], v[14:15], v[12:13]
	v_add_f64_e32 v[14:15], v[180:181], v[198:199]
	v_fmac_f64_e32 v[192:193], v[6:7], v[144:145]
	v_fma_f64 v[144:145], v[4:5], v[144:145], -v[146:147]
	v_fmac_f64_e32 v[142:143], v[10:11], v[148:149]
	v_fma_f64 v[8:9], v[8:9], v[148:149], -v[150:151]
	v_add_f64_e32 v[140:141], v[12:13], v[140:141]
	v_add_f64_e32 v[146:147], v[14:15], v[182:183]
	ds_load_b128 v[4:7], v2 offset:1840
	ds_load_b128 v[12:15], v2 offset:1856
	s_wait_loadcnt_dscnt 0x701
	v_mul_f64_e32 v[180:181], v[4:5], v[154:155]
	v_mul_f64_e32 v[154:155], v[6:7], v[154:155]
	v_add_f64_e32 v[10:11], v[140:141], v[144:145]
	v_add_f64_e32 v[140:141], v[146:147], v[192:193]
	s_wait_loadcnt_dscnt 0x600
	v_mul_f64_e32 v[144:145], v[12:13], v[158:159]
	v_mul_f64_e32 v[146:147], v[14:15], v[158:159]
	v_fmac_f64_e32 v[180:181], v[6:7], v[152:153]
	v_fma_f64 v[148:149], v[4:5], v[152:153], -v[154:155]
	v_add_f64_e32 v[150:151], v[10:11], v[8:9]
	v_add_f64_e32 v[140:141], v[140:141], v[142:143]
	ds_load_b128 v[4:7], v2 offset:1872
	ds_load_b128 v[8:11], v2 offset:1888
	v_fmac_f64_e32 v[144:145], v[14:15], v[156:157]
	v_fma_f64 v[12:13], v[12:13], v[156:157], -v[146:147]
	s_wait_loadcnt_dscnt 0x501
	v_mul_f64_e32 v[142:143], v[4:5], v[162:163]
	v_mul_f64_e32 v[152:153], v[6:7], v[162:163]
	s_wait_loadcnt_dscnt 0x400
	v_mul_f64_e32 v[146:147], v[8:9], v[166:167]
	v_add_f64_e32 v[14:15], v[150:151], v[148:149]
	v_add_f64_e32 v[140:141], v[140:141], v[180:181]
	v_mul_f64_e32 v[148:149], v[10:11], v[166:167]
	v_fmac_f64_e32 v[142:143], v[6:7], v[160:161]
	v_fma_f64 v[150:151], v[4:5], v[160:161], -v[152:153]
	v_fmac_f64_e32 v[146:147], v[10:11], v[164:165]
	v_add_f64_e32 v[152:153], v[14:15], v[12:13]
	v_add_f64_e32 v[140:141], v[140:141], v[144:145]
	ds_load_b128 v[4:7], v2 offset:1904
	ds_load_b128 v[12:15], v2 offset:1920
	v_fma_f64 v[8:9], v[8:9], v[164:165], -v[148:149]
	s_wait_loadcnt_dscnt 0x301
	v_mul_f64_e32 v[144:145], v[4:5], v[174:175]
	v_mul_f64_e32 v[154:155], v[6:7], v[174:175]
	s_wait_loadcnt_dscnt 0x100
	v_mul_f64_e32 v[148:149], v[14:15], v[186:187]
	v_add_f64_e32 v[10:11], v[152:153], v[150:151]
	v_add_f64_e32 v[140:141], v[140:141], v[142:143]
	v_mul_f64_e32 v[142:143], v[12:13], v[186:187]
	v_fmac_f64_e32 v[144:145], v[6:7], v[172:173]
	v_fma_f64 v[150:151], v[4:5], v[172:173], -v[154:155]
	ds_load_b128 v[4:7], v2 offset:1936
	v_fma_f64 v[12:13], v[12:13], v[184:185], -v[148:149]
	v_add_f64_e32 v[8:9], v[10:11], v[8:9]
	v_add_f64_e32 v[10:11], v[140:141], v[146:147]
	v_fmac_f64_e32 v[142:143], v[14:15], v[184:185]
	s_wait_loadcnt_dscnt 0x0
	v_mul_f64_e32 v[140:141], v[4:5], v[170:171]
	v_mul_f64_e32 v[146:147], v[6:7], v[170:171]
	v_add_f64_e32 v[8:9], v[8:9], v[150:151]
	v_add_f64_e32 v[10:11], v[10:11], v[144:145]
	s_delay_alu instid0(VALU_DEP_4) | instskip(NEXT) | instid1(VALU_DEP_4)
	v_fmac_f64_e32 v[140:141], v[6:7], v[168:169]
	v_fma_f64 v[4:5], v[4:5], v[168:169], -v[146:147]
	s_delay_alu instid0(VALU_DEP_4) | instskip(NEXT) | instid1(VALU_DEP_4)
	v_add_f64_e32 v[6:7], v[8:9], v[12:13]
	v_add_f64_e32 v[8:9], v[10:11], v[142:143]
	s_delay_alu instid0(VALU_DEP_2) | instskip(NEXT) | instid1(VALU_DEP_2)
	v_add_f64_e32 v[4:5], v[6:7], v[4:5]
	v_add_f64_e32 v[6:7], v[8:9], v[140:141]
	s_delay_alu instid0(VALU_DEP_2) | instskip(NEXT) | instid1(VALU_DEP_2)
	v_add_f64_e64 v[4:5], v[176:177], -v[4:5]
	v_add_f64_e64 v[6:7], v[178:179], -v[6:7]
	scratch_store_b128 off, v[4:7], off offset:752
	s_wait_xcnt 0x0
	v_cmpx_lt_u32_e32 46, v1
	s_cbranch_execz .LBB60_299
; %bb.298:
	scratch_load_b128 v[6:9], off, s28
	v_dual_mov_b32 v3, v2 :: v_dual_mov_b32 v4, v2
	v_mov_b32_e32 v5, v2
	scratch_store_b128 off, v[2:5], off offset:736
	s_wait_loadcnt 0x0
	ds_store_b128 v138, v[6:9]
.LBB60_299:
	s_wait_xcnt 0x0
	s_or_b32 exec_lo, exec_lo, s2
	s_wait_storecnt_dscnt 0x0
	s_barrier_signal -1
	s_barrier_wait -1
	s_clause 0x9
	scratch_load_b128 v[4:7], off, off offset:752
	scratch_load_b128 v[8:11], off, off offset:768
	;; [unrolled: 1-line block ×10, first 2 shown]
	ds_load_b128 v[168:171], v2 offset:1728
	ds_load_b128 v[176:179], v2 offset:1744
	s_clause 0x2
	scratch_load_b128 v[172:175], off, off offset:912
	scratch_load_b128 v[180:183], off, off offset:736
	;; [unrolled: 1-line block ×3, first 2 shown]
	s_mov_b32 s2, exec_lo
	s_wait_loadcnt_dscnt 0xc01
	v_mul_f64_e32 v[188:189], v[170:171], v[6:7]
	v_mul_f64_e32 v[192:193], v[168:169], v[6:7]
	s_wait_loadcnt_dscnt 0xb00
	v_mul_f64_e32 v[194:195], v[176:177], v[10:11]
	v_mul_f64_e32 v[10:11], v[178:179], v[10:11]
	s_delay_alu instid0(VALU_DEP_4) | instskip(NEXT) | instid1(VALU_DEP_4)
	v_fma_f64 v[196:197], v[168:169], v[4:5], -v[188:189]
	v_fmac_f64_e32 v[192:193], v[170:171], v[4:5]
	ds_load_b128 v[4:7], v2 offset:1760
	ds_load_b128 v[168:171], v2 offset:1776
	scratch_load_b128 v[188:191], off, off offset:944
	v_fmac_f64_e32 v[194:195], v[178:179], v[8:9]
	v_fma_f64 v[176:177], v[176:177], v[8:9], -v[10:11]
	scratch_load_b128 v[8:11], off, off offset:960
	s_wait_loadcnt_dscnt 0xc01
	v_mul_f64_e32 v[198:199], v[4:5], v[14:15]
	v_mul_f64_e32 v[14:15], v[6:7], v[14:15]
	v_add_f64_e32 v[178:179], 0, v[196:197]
	v_add_f64_e32 v[192:193], 0, v[192:193]
	s_wait_loadcnt_dscnt 0xb00
	v_mul_f64_e32 v[196:197], v[168:169], v[142:143]
	v_mul_f64_e32 v[142:143], v[170:171], v[142:143]
	v_fmac_f64_e32 v[198:199], v[6:7], v[12:13]
	v_fma_f64 v[200:201], v[4:5], v[12:13], -v[14:15]
	ds_load_b128 v[4:7], v2 offset:1792
	ds_load_b128 v[12:15], v2 offset:1808
	v_add_f64_e32 v[176:177], v[178:179], v[176:177]
	v_add_f64_e32 v[178:179], v[192:193], v[194:195]
	v_fmac_f64_e32 v[196:197], v[170:171], v[140:141]
	v_fma_f64 v[140:141], v[168:169], v[140:141], -v[142:143]
	s_wait_loadcnt_dscnt 0xa01
	v_mul_f64_e32 v[192:193], v[4:5], v[146:147]
	v_mul_f64_e32 v[146:147], v[6:7], v[146:147]
	s_wait_loadcnt_dscnt 0x900
	v_mul_f64_e32 v[170:171], v[12:13], v[150:151]
	v_mul_f64_e32 v[150:151], v[14:15], v[150:151]
	v_add_f64_e32 v[142:143], v[176:177], v[200:201]
	v_add_f64_e32 v[168:169], v[178:179], v[198:199]
	v_fmac_f64_e32 v[192:193], v[6:7], v[144:145]
	v_fma_f64 v[144:145], v[4:5], v[144:145], -v[146:147]
	v_fmac_f64_e32 v[170:171], v[14:15], v[148:149]
	v_fma_f64 v[12:13], v[12:13], v[148:149], -v[150:151]
	v_add_f64_e32 v[146:147], v[142:143], v[140:141]
	v_add_f64_e32 v[168:169], v[168:169], v[196:197]
	ds_load_b128 v[4:7], v2 offset:1824
	ds_load_b128 v[140:143], v2 offset:1840
	s_wait_loadcnt_dscnt 0x801
	v_mul_f64_e32 v[176:177], v[4:5], v[154:155]
	v_mul_f64_e32 v[154:155], v[6:7], v[154:155]
	s_wait_loadcnt_dscnt 0x700
	v_mul_f64_e32 v[148:149], v[142:143], v[158:159]
	v_add_f64_e32 v[14:15], v[146:147], v[144:145]
	v_add_f64_e32 v[144:145], v[168:169], v[192:193]
	v_mul_f64_e32 v[146:147], v[140:141], v[158:159]
	v_fmac_f64_e32 v[176:177], v[6:7], v[152:153]
	v_fma_f64 v[150:151], v[4:5], v[152:153], -v[154:155]
	v_fma_f64 v[140:141], v[140:141], v[156:157], -v[148:149]
	v_add_f64_e32 v[152:153], v[14:15], v[12:13]
	v_add_f64_e32 v[144:145], v[144:145], v[170:171]
	ds_load_b128 v[4:7], v2 offset:1856
	ds_load_b128 v[12:15], v2 offset:1872
	v_fmac_f64_e32 v[146:147], v[142:143], v[156:157]
	s_wait_loadcnt_dscnt 0x601
	v_mul_f64_e32 v[154:155], v[4:5], v[162:163]
	v_mul_f64_e32 v[158:159], v[6:7], v[162:163]
	s_wait_loadcnt_dscnt 0x500
	v_mul_f64_e32 v[148:149], v[12:13], v[166:167]
	v_add_f64_e32 v[142:143], v[152:153], v[150:151]
	v_add_f64_e32 v[144:145], v[144:145], v[176:177]
	v_mul_f64_e32 v[150:151], v[14:15], v[166:167]
	v_fmac_f64_e32 v[154:155], v[6:7], v[160:161]
	v_fma_f64 v[152:153], v[4:5], v[160:161], -v[158:159]
	v_fmac_f64_e32 v[148:149], v[14:15], v[164:165]
	v_add_f64_e32 v[156:157], v[142:143], v[140:141]
	v_add_f64_e32 v[144:145], v[144:145], v[146:147]
	ds_load_b128 v[4:7], v2 offset:1888
	ds_load_b128 v[140:143], v2 offset:1904
	v_fma_f64 v[12:13], v[12:13], v[164:165], -v[150:151]
	s_wait_loadcnt_dscnt 0x401
	v_mul_f64_e32 v[146:147], v[4:5], v[174:175]
	v_mul_f64_e32 v[158:159], v[6:7], v[174:175]
	s_wait_loadcnt_dscnt 0x200
	v_mul_f64_e32 v[150:151], v[140:141], v[186:187]
	v_add_f64_e32 v[14:15], v[156:157], v[152:153]
	v_add_f64_e32 v[144:145], v[144:145], v[154:155]
	v_mul_f64_e32 v[152:153], v[142:143], v[186:187]
	v_fmac_f64_e32 v[146:147], v[6:7], v[172:173]
	v_fma_f64 v[154:155], v[4:5], v[172:173], -v[158:159]
	v_fmac_f64_e32 v[150:151], v[142:143], v[184:185]
	v_add_f64_e32 v[156:157], v[14:15], v[12:13]
	v_add_f64_e32 v[144:145], v[144:145], v[148:149]
	ds_load_b128 v[4:7], v2 offset:1920
	ds_load_b128 v[12:15], v2 offset:1936
	v_fma_f64 v[140:141], v[140:141], v[184:185], -v[152:153]
	s_wait_loadcnt_dscnt 0x101
	v_mul_f64_e32 v[2:3], v[4:5], v[190:191]
	v_mul_f64_e32 v[148:149], v[6:7], v[190:191]
	v_add_f64_e32 v[142:143], v[156:157], v[154:155]
	v_add_f64_e32 v[144:145], v[144:145], v[146:147]
	s_wait_loadcnt_dscnt 0x0
	v_mul_f64_e32 v[146:147], v[12:13], v[10:11]
	v_mul_f64_e32 v[10:11], v[14:15], v[10:11]
	v_fmac_f64_e32 v[2:3], v[6:7], v[188:189]
	v_fma_f64 v[4:5], v[4:5], v[188:189], -v[148:149]
	v_add_f64_e32 v[6:7], v[142:143], v[140:141]
	v_add_f64_e32 v[140:141], v[144:145], v[150:151]
	v_fmac_f64_e32 v[146:147], v[14:15], v[8:9]
	v_fma_f64 v[8:9], v[12:13], v[8:9], -v[10:11]
	s_delay_alu instid0(VALU_DEP_4) | instskip(NEXT) | instid1(VALU_DEP_4)
	v_add_f64_e32 v[4:5], v[6:7], v[4:5]
	v_add_f64_e32 v[2:3], v[140:141], v[2:3]
	s_delay_alu instid0(VALU_DEP_2) | instskip(NEXT) | instid1(VALU_DEP_2)
	v_add_f64_e32 v[4:5], v[4:5], v[8:9]
	v_add_f64_e32 v[6:7], v[2:3], v[146:147]
	s_delay_alu instid0(VALU_DEP_2) | instskip(NEXT) | instid1(VALU_DEP_2)
	v_add_f64_e64 v[2:3], v[180:181], -v[4:5]
	v_add_f64_e64 v[4:5], v[182:183], -v[6:7]
	scratch_store_b128 off, v[2:5], off offset:736
	s_wait_xcnt 0x0
	v_cmpx_lt_u32_e32 45, v1
	s_cbranch_execz .LBB60_301
; %bb.300:
	scratch_load_b128 v[2:5], off, s27
	v_mov_b32_e32 v6, 0
	s_delay_alu instid0(VALU_DEP_1)
	v_dual_mov_b32 v7, v6 :: v_dual_mov_b32 v8, v6
	v_mov_b32_e32 v9, v6
	scratch_store_b128 off, v[6:9], off offset:720
	s_wait_loadcnt 0x0
	ds_store_b128 v138, v[2:5]
.LBB60_301:
	s_wait_xcnt 0x0
	s_or_b32 exec_lo, exec_lo, s2
	s_wait_storecnt_dscnt 0x0
	s_barrier_signal -1
	s_barrier_wait -1
	s_clause 0x9
	scratch_load_b128 v[4:7], off, off offset:736
	scratch_load_b128 v[8:11], off, off offset:752
	;; [unrolled: 1-line block ×10, first 2 shown]
	v_mov_b32_e32 v2, 0
	s_mov_b32 s2, exec_lo
	ds_load_b128 v[168:171], v2 offset:1712
	s_clause 0x2
	scratch_load_b128 v[172:175], off, off offset:896
	scratch_load_b128 v[176:179], off, off offset:720
	;; [unrolled: 1-line block ×3, first 2 shown]
	s_wait_loadcnt_dscnt 0xc00
	v_mul_f64_e32 v[188:189], v[170:171], v[6:7]
	v_mul_f64_e32 v[192:193], v[168:169], v[6:7]
	ds_load_b128 v[180:183], v2 offset:1728
	v_fma_f64 v[196:197], v[168:169], v[4:5], -v[188:189]
	v_fmac_f64_e32 v[192:193], v[170:171], v[4:5]
	ds_load_b128 v[4:7], v2 offset:1744
	s_wait_loadcnt_dscnt 0xb01
	v_mul_f64_e32 v[194:195], v[180:181], v[10:11]
	v_mul_f64_e32 v[10:11], v[182:183], v[10:11]
	scratch_load_b128 v[168:171], off, off offset:928
	ds_load_b128 v[188:191], v2 offset:1760
	s_wait_loadcnt_dscnt 0xb01
	v_mul_f64_e32 v[198:199], v[4:5], v[14:15]
	v_mul_f64_e32 v[14:15], v[6:7], v[14:15]
	v_add_f64_e32 v[192:193], 0, v[192:193]
	v_fmac_f64_e32 v[194:195], v[182:183], v[8:9]
	v_fma_f64 v[180:181], v[180:181], v[8:9], -v[10:11]
	v_add_f64_e32 v[182:183], 0, v[196:197]
	scratch_load_b128 v[8:11], off, off offset:944
	v_fmac_f64_e32 v[198:199], v[6:7], v[12:13]
	v_fma_f64 v[200:201], v[4:5], v[12:13], -v[14:15]
	ds_load_b128 v[4:7], v2 offset:1776
	s_wait_loadcnt_dscnt 0xb01
	v_mul_f64_e32 v[196:197], v[188:189], v[142:143]
	v_mul_f64_e32 v[142:143], v[190:191], v[142:143]
	scratch_load_b128 v[12:15], off, off offset:960
	v_add_f64_e32 v[192:193], v[192:193], v[194:195]
	v_add_f64_e32 v[202:203], v[182:183], v[180:181]
	ds_load_b128 v[180:183], v2 offset:1792
	s_wait_loadcnt_dscnt 0xb01
	v_mul_f64_e32 v[194:195], v[4:5], v[146:147]
	v_mul_f64_e32 v[146:147], v[6:7], v[146:147]
	v_fmac_f64_e32 v[196:197], v[190:191], v[140:141]
	v_fma_f64 v[140:141], v[188:189], v[140:141], -v[142:143]
	s_wait_loadcnt_dscnt 0xa00
	v_mul_f64_e32 v[190:191], v[180:181], v[150:151]
	v_mul_f64_e32 v[150:151], v[182:183], v[150:151]
	v_add_f64_e32 v[188:189], v[192:193], v[198:199]
	v_add_f64_e32 v[142:143], v[202:203], v[200:201]
	v_fmac_f64_e32 v[194:195], v[6:7], v[144:145]
	v_fma_f64 v[144:145], v[4:5], v[144:145], -v[146:147]
	v_fmac_f64_e32 v[190:191], v[182:183], v[148:149]
	v_fma_f64 v[148:149], v[180:181], v[148:149], -v[150:151]
	v_add_f64_e32 v[188:189], v[188:189], v[196:197]
	v_add_f64_e32 v[146:147], v[142:143], v[140:141]
	ds_load_b128 v[4:7], v2 offset:1808
	ds_load_b128 v[140:143], v2 offset:1824
	s_wait_loadcnt_dscnt 0x901
	v_mul_f64_e32 v[192:193], v[4:5], v[154:155]
	v_mul_f64_e32 v[154:155], v[6:7], v[154:155]
	s_wait_loadcnt_dscnt 0x800
	v_mul_f64_e32 v[150:151], v[140:141], v[158:159]
	v_mul_f64_e32 v[158:159], v[142:143], v[158:159]
	v_add_f64_e32 v[144:145], v[146:147], v[144:145]
	v_add_f64_e32 v[146:147], v[188:189], v[194:195]
	v_fmac_f64_e32 v[192:193], v[6:7], v[152:153]
	v_fma_f64 v[152:153], v[4:5], v[152:153], -v[154:155]
	v_fmac_f64_e32 v[150:151], v[142:143], v[156:157]
	v_fma_f64 v[140:141], v[140:141], v[156:157], -v[158:159]
	v_add_f64_e32 v[148:149], v[144:145], v[148:149]
	v_add_f64_e32 v[154:155], v[146:147], v[190:191]
	ds_load_b128 v[4:7], v2 offset:1840
	ds_load_b128 v[144:147], v2 offset:1856
	s_wait_loadcnt_dscnt 0x701
	v_mul_f64_e32 v[180:181], v[4:5], v[162:163]
	v_mul_f64_e32 v[162:163], v[6:7], v[162:163]
	v_add_f64_e32 v[142:143], v[148:149], v[152:153]
	v_add_f64_e32 v[148:149], v[154:155], v[192:193]
	s_wait_loadcnt_dscnt 0x600
	v_mul_f64_e32 v[152:153], v[144:145], v[166:167]
	v_mul_f64_e32 v[154:155], v[146:147], v[166:167]
	v_fmac_f64_e32 v[180:181], v[6:7], v[160:161]
	v_fma_f64 v[156:157], v[4:5], v[160:161], -v[162:163]
	v_add_f64_e32 v[158:159], v[142:143], v[140:141]
	v_add_f64_e32 v[148:149], v[148:149], v[150:151]
	ds_load_b128 v[4:7], v2 offset:1872
	ds_load_b128 v[140:143], v2 offset:1888
	v_fmac_f64_e32 v[152:153], v[146:147], v[164:165]
	v_fma_f64 v[144:145], v[144:145], v[164:165], -v[154:155]
	s_wait_loadcnt_dscnt 0x501
	v_mul_f64_e32 v[150:151], v[4:5], v[174:175]
	v_mul_f64_e32 v[160:161], v[6:7], v[174:175]
	s_wait_loadcnt_dscnt 0x300
	v_mul_f64_e32 v[154:155], v[140:141], v[186:187]
	v_add_f64_e32 v[146:147], v[158:159], v[156:157]
	v_add_f64_e32 v[148:149], v[148:149], v[180:181]
	v_mul_f64_e32 v[156:157], v[142:143], v[186:187]
	v_fmac_f64_e32 v[150:151], v[6:7], v[172:173]
	v_fma_f64 v[158:159], v[4:5], v[172:173], -v[160:161]
	v_fmac_f64_e32 v[154:155], v[142:143], v[184:185]
	v_add_f64_e32 v[160:161], v[146:147], v[144:145]
	v_add_f64_e32 v[148:149], v[148:149], v[152:153]
	ds_load_b128 v[4:7], v2 offset:1904
	ds_load_b128 v[144:147], v2 offset:1920
	v_fma_f64 v[140:141], v[140:141], v[184:185], -v[156:157]
	s_wait_loadcnt_dscnt 0x201
	v_mul_f64_e32 v[152:153], v[4:5], v[170:171]
	v_mul_f64_e32 v[162:163], v[6:7], v[170:171]
	v_add_f64_e32 v[142:143], v[160:161], v[158:159]
	v_add_f64_e32 v[148:149], v[148:149], v[150:151]
	s_wait_loadcnt_dscnt 0x100
	v_mul_f64_e32 v[150:151], v[144:145], v[10:11]
	v_mul_f64_e32 v[10:11], v[146:147], v[10:11]
	v_fmac_f64_e32 v[152:153], v[6:7], v[168:169]
	v_fma_f64 v[156:157], v[4:5], v[168:169], -v[162:163]
	ds_load_b128 v[4:7], v2 offset:1936
	v_add_f64_e32 v[140:141], v[142:143], v[140:141]
	v_add_f64_e32 v[142:143], v[148:149], v[154:155]
	v_fmac_f64_e32 v[150:151], v[146:147], v[8:9]
	v_fma_f64 v[8:9], v[144:145], v[8:9], -v[10:11]
	s_wait_loadcnt_dscnt 0x0
	v_mul_f64_e32 v[148:149], v[4:5], v[14:15]
	v_mul_f64_e32 v[14:15], v[6:7], v[14:15]
	v_add_f64_e32 v[10:11], v[140:141], v[156:157]
	v_add_f64_e32 v[140:141], v[142:143], v[152:153]
	s_delay_alu instid0(VALU_DEP_4) | instskip(NEXT) | instid1(VALU_DEP_4)
	v_fmac_f64_e32 v[148:149], v[6:7], v[12:13]
	v_fma_f64 v[4:5], v[4:5], v[12:13], -v[14:15]
	s_delay_alu instid0(VALU_DEP_4) | instskip(NEXT) | instid1(VALU_DEP_4)
	v_add_f64_e32 v[6:7], v[10:11], v[8:9]
	v_add_f64_e32 v[8:9], v[140:141], v[150:151]
	s_delay_alu instid0(VALU_DEP_2) | instskip(NEXT) | instid1(VALU_DEP_2)
	v_add_f64_e32 v[4:5], v[6:7], v[4:5]
	v_add_f64_e32 v[6:7], v[8:9], v[148:149]
	s_delay_alu instid0(VALU_DEP_2) | instskip(NEXT) | instid1(VALU_DEP_2)
	v_add_f64_e64 v[4:5], v[176:177], -v[4:5]
	v_add_f64_e64 v[6:7], v[178:179], -v[6:7]
	scratch_store_b128 off, v[4:7], off offset:720
	s_wait_xcnt 0x0
	v_cmpx_lt_u32_e32 44, v1
	s_cbranch_execz .LBB60_303
; %bb.302:
	scratch_load_b128 v[6:9], off, s31
	v_dual_mov_b32 v3, v2 :: v_dual_mov_b32 v4, v2
	v_mov_b32_e32 v5, v2
	scratch_store_b128 off, v[2:5], off offset:704
	s_wait_loadcnt 0x0
	ds_store_b128 v138, v[6:9]
.LBB60_303:
	s_wait_xcnt 0x0
	s_or_b32 exec_lo, exec_lo, s2
	s_wait_storecnt_dscnt 0x0
	s_barrier_signal -1
	s_barrier_wait -1
	s_clause 0x9
	scratch_load_b128 v[4:7], off, off offset:720
	scratch_load_b128 v[8:11], off, off offset:736
	;; [unrolled: 1-line block ×10, first 2 shown]
	ds_load_b128 v[168:171], v2 offset:1696
	ds_load_b128 v[176:179], v2 offset:1712
	s_clause 0x2
	scratch_load_b128 v[172:175], off, off offset:880
	scratch_load_b128 v[180:183], off, off offset:704
	;; [unrolled: 1-line block ×3, first 2 shown]
	s_mov_b32 s2, exec_lo
	s_wait_loadcnt_dscnt 0xc01
	v_mul_f64_e32 v[188:189], v[170:171], v[6:7]
	v_mul_f64_e32 v[192:193], v[168:169], v[6:7]
	s_wait_loadcnt_dscnt 0xb00
	v_mul_f64_e32 v[194:195], v[176:177], v[10:11]
	v_mul_f64_e32 v[10:11], v[178:179], v[10:11]
	s_delay_alu instid0(VALU_DEP_4) | instskip(NEXT) | instid1(VALU_DEP_4)
	v_fma_f64 v[196:197], v[168:169], v[4:5], -v[188:189]
	v_fmac_f64_e32 v[192:193], v[170:171], v[4:5]
	ds_load_b128 v[4:7], v2 offset:1728
	ds_load_b128 v[168:171], v2 offset:1744
	scratch_load_b128 v[188:191], off, off offset:912
	v_fmac_f64_e32 v[194:195], v[178:179], v[8:9]
	v_fma_f64 v[176:177], v[176:177], v[8:9], -v[10:11]
	scratch_load_b128 v[8:11], off, off offset:928
	s_wait_loadcnt_dscnt 0xc01
	v_mul_f64_e32 v[198:199], v[4:5], v[14:15]
	v_mul_f64_e32 v[14:15], v[6:7], v[14:15]
	v_add_f64_e32 v[178:179], 0, v[196:197]
	v_add_f64_e32 v[192:193], 0, v[192:193]
	s_wait_loadcnt_dscnt 0xb00
	v_mul_f64_e32 v[196:197], v[168:169], v[142:143]
	v_mul_f64_e32 v[142:143], v[170:171], v[142:143]
	v_fmac_f64_e32 v[198:199], v[6:7], v[12:13]
	v_fma_f64 v[200:201], v[4:5], v[12:13], -v[14:15]
	ds_load_b128 v[4:7], v2 offset:1760
	ds_load_b128 v[12:15], v2 offset:1776
	v_add_f64_e32 v[202:203], v[178:179], v[176:177]
	v_add_f64_e32 v[192:193], v[192:193], v[194:195]
	scratch_load_b128 v[176:179], off, off offset:944
	v_fmac_f64_e32 v[196:197], v[170:171], v[140:141]
	v_fma_f64 v[168:169], v[168:169], v[140:141], -v[142:143]
	scratch_load_b128 v[140:143], off, off offset:960
	s_wait_loadcnt_dscnt 0xc01
	v_mul_f64_e32 v[194:195], v[4:5], v[146:147]
	v_mul_f64_e32 v[146:147], v[6:7], v[146:147]
	v_add_f64_e32 v[170:171], v[202:203], v[200:201]
	v_add_f64_e32 v[192:193], v[192:193], v[198:199]
	s_wait_loadcnt_dscnt 0xb00
	v_mul_f64_e32 v[198:199], v[12:13], v[150:151]
	v_mul_f64_e32 v[150:151], v[14:15], v[150:151]
	v_fmac_f64_e32 v[194:195], v[6:7], v[144:145]
	v_fma_f64 v[200:201], v[4:5], v[144:145], -v[146:147]
	ds_load_b128 v[4:7], v2 offset:1792
	ds_load_b128 v[144:147], v2 offset:1808
	v_add_f64_e32 v[168:169], v[170:171], v[168:169]
	v_add_f64_e32 v[170:171], v[192:193], v[196:197]
	s_wait_loadcnt_dscnt 0xa01
	v_mul_f64_e32 v[192:193], v[4:5], v[154:155]
	v_mul_f64_e32 v[154:155], v[6:7], v[154:155]
	v_fmac_f64_e32 v[198:199], v[14:15], v[148:149]
	v_fma_f64 v[12:13], v[12:13], v[148:149], -v[150:151]
	s_wait_loadcnt_dscnt 0x900
	v_mul_f64_e32 v[150:151], v[144:145], v[158:159]
	v_mul_f64_e32 v[158:159], v[146:147], v[158:159]
	v_add_f64_e32 v[14:15], v[168:169], v[200:201]
	v_add_f64_e32 v[148:149], v[170:171], v[194:195]
	v_fmac_f64_e32 v[192:193], v[6:7], v[152:153]
	v_fma_f64 v[152:153], v[4:5], v[152:153], -v[154:155]
	v_fmac_f64_e32 v[150:151], v[146:147], v[156:157]
	v_fma_f64 v[144:145], v[144:145], v[156:157], -v[158:159]
	v_add_f64_e32 v[154:155], v[14:15], v[12:13]
	v_add_f64_e32 v[148:149], v[148:149], v[198:199]
	ds_load_b128 v[4:7], v2 offset:1824
	ds_load_b128 v[12:15], v2 offset:1840
	s_wait_loadcnt_dscnt 0x801
	v_mul_f64_e32 v[168:169], v[4:5], v[162:163]
	v_mul_f64_e32 v[162:163], v[6:7], v[162:163]
	v_add_f64_e32 v[146:147], v[154:155], v[152:153]
	v_add_f64_e32 v[148:149], v[148:149], v[192:193]
	s_wait_loadcnt_dscnt 0x700
	v_mul_f64_e32 v[152:153], v[12:13], v[166:167]
	v_mul_f64_e32 v[154:155], v[14:15], v[166:167]
	v_fmac_f64_e32 v[168:169], v[6:7], v[160:161]
	v_fma_f64 v[156:157], v[4:5], v[160:161], -v[162:163]
	v_add_f64_e32 v[158:159], v[146:147], v[144:145]
	v_add_f64_e32 v[148:149], v[148:149], v[150:151]
	ds_load_b128 v[4:7], v2 offset:1856
	ds_load_b128 v[144:147], v2 offset:1872
	v_fmac_f64_e32 v[152:153], v[14:15], v[164:165]
	v_fma_f64 v[12:13], v[12:13], v[164:165], -v[154:155]
	s_wait_loadcnt_dscnt 0x601
	v_mul_f64_e32 v[150:151], v[4:5], v[174:175]
	v_mul_f64_e32 v[160:161], v[6:7], v[174:175]
	s_wait_loadcnt_dscnt 0x400
	v_mul_f64_e32 v[154:155], v[144:145], v[186:187]
	v_add_f64_e32 v[14:15], v[158:159], v[156:157]
	v_add_f64_e32 v[148:149], v[148:149], v[168:169]
	v_mul_f64_e32 v[156:157], v[146:147], v[186:187]
	v_fmac_f64_e32 v[150:151], v[6:7], v[172:173]
	v_fma_f64 v[158:159], v[4:5], v[172:173], -v[160:161]
	v_fmac_f64_e32 v[154:155], v[146:147], v[184:185]
	v_add_f64_e32 v[160:161], v[14:15], v[12:13]
	v_add_f64_e32 v[148:149], v[148:149], v[152:153]
	ds_load_b128 v[4:7], v2 offset:1888
	ds_load_b128 v[12:15], v2 offset:1904
	v_fma_f64 v[144:145], v[144:145], v[184:185], -v[156:157]
	s_wait_loadcnt_dscnt 0x301
	v_mul_f64_e32 v[152:153], v[4:5], v[190:191]
	v_mul_f64_e32 v[162:163], v[6:7], v[190:191]
	v_add_f64_e32 v[146:147], v[160:161], v[158:159]
	v_add_f64_e32 v[148:149], v[148:149], v[150:151]
	s_wait_loadcnt_dscnt 0x200
	v_mul_f64_e32 v[150:151], v[12:13], v[10:11]
	v_mul_f64_e32 v[10:11], v[14:15], v[10:11]
	v_fmac_f64_e32 v[152:153], v[6:7], v[188:189]
	v_fma_f64 v[156:157], v[4:5], v[188:189], -v[162:163]
	v_add_f64_e32 v[158:159], v[146:147], v[144:145]
	v_add_f64_e32 v[148:149], v[148:149], v[154:155]
	ds_load_b128 v[4:7], v2 offset:1920
	ds_load_b128 v[144:147], v2 offset:1936
	v_fmac_f64_e32 v[150:151], v[14:15], v[8:9]
	v_fma_f64 v[8:9], v[12:13], v[8:9], -v[10:11]
	s_wait_loadcnt_dscnt 0x101
	v_mul_f64_e32 v[2:3], v[4:5], v[178:179]
	v_mul_f64_e32 v[154:155], v[6:7], v[178:179]
	s_wait_loadcnt_dscnt 0x0
	v_mul_f64_e32 v[14:15], v[144:145], v[142:143]
	v_mul_f64_e32 v[142:143], v[146:147], v[142:143]
	v_add_f64_e32 v[10:11], v[158:159], v[156:157]
	v_add_f64_e32 v[12:13], v[148:149], v[152:153]
	v_fmac_f64_e32 v[2:3], v[6:7], v[176:177]
	v_fma_f64 v[4:5], v[4:5], v[176:177], -v[154:155]
	v_fmac_f64_e32 v[14:15], v[146:147], v[140:141]
	v_add_f64_e32 v[6:7], v[10:11], v[8:9]
	v_add_f64_e32 v[8:9], v[12:13], v[150:151]
	v_fma_f64 v[10:11], v[144:145], v[140:141], -v[142:143]
	s_delay_alu instid0(VALU_DEP_3) | instskip(NEXT) | instid1(VALU_DEP_3)
	v_add_f64_e32 v[4:5], v[6:7], v[4:5]
	v_add_f64_e32 v[2:3], v[8:9], v[2:3]
	s_delay_alu instid0(VALU_DEP_2) | instskip(NEXT) | instid1(VALU_DEP_2)
	v_add_f64_e32 v[4:5], v[4:5], v[10:11]
	v_add_f64_e32 v[6:7], v[2:3], v[14:15]
	s_delay_alu instid0(VALU_DEP_2) | instskip(NEXT) | instid1(VALU_DEP_2)
	v_add_f64_e64 v[2:3], v[180:181], -v[4:5]
	v_add_f64_e64 v[4:5], v[182:183], -v[6:7]
	scratch_store_b128 off, v[2:5], off offset:704
	s_wait_xcnt 0x0
	v_cmpx_lt_u32_e32 43, v1
	s_cbranch_execz .LBB60_305
; %bb.304:
	scratch_load_b128 v[2:5], off, s29
	v_mov_b32_e32 v6, 0
	s_delay_alu instid0(VALU_DEP_1)
	v_dual_mov_b32 v7, v6 :: v_dual_mov_b32 v8, v6
	v_mov_b32_e32 v9, v6
	scratch_store_b128 off, v[6:9], off offset:688
	s_wait_loadcnt 0x0
	ds_store_b128 v138, v[2:5]
.LBB60_305:
	s_wait_xcnt 0x0
	s_or_b32 exec_lo, exec_lo, s2
	s_wait_storecnt_dscnt 0x0
	s_barrier_signal -1
	s_barrier_wait -1
	s_clause 0x9
	scratch_load_b128 v[4:7], off, off offset:704
	scratch_load_b128 v[8:11], off, off offset:720
	;; [unrolled: 1-line block ×10, first 2 shown]
	v_mov_b32_e32 v2, 0
	s_mov_b32 s2, exec_lo
	ds_load_b128 v[168:171], v2 offset:1680
	s_clause 0x2
	scratch_load_b128 v[172:175], off, off offset:864
	scratch_load_b128 v[176:179], off, off offset:688
	;; [unrolled: 1-line block ×3, first 2 shown]
	s_wait_loadcnt_dscnt 0xc00
	v_mul_f64_e32 v[188:189], v[170:171], v[6:7]
	v_mul_f64_e32 v[192:193], v[168:169], v[6:7]
	ds_load_b128 v[180:183], v2 offset:1696
	v_fma_f64 v[196:197], v[168:169], v[4:5], -v[188:189]
	v_fmac_f64_e32 v[192:193], v[170:171], v[4:5]
	ds_load_b128 v[4:7], v2 offset:1712
	s_wait_loadcnt_dscnt 0xb01
	v_mul_f64_e32 v[194:195], v[180:181], v[10:11]
	v_mul_f64_e32 v[10:11], v[182:183], v[10:11]
	scratch_load_b128 v[168:171], off, off offset:896
	ds_load_b128 v[188:191], v2 offset:1728
	s_wait_loadcnt_dscnt 0xb01
	v_mul_f64_e32 v[198:199], v[4:5], v[14:15]
	v_mul_f64_e32 v[14:15], v[6:7], v[14:15]
	v_add_f64_e32 v[192:193], 0, v[192:193]
	v_fmac_f64_e32 v[194:195], v[182:183], v[8:9]
	v_fma_f64 v[180:181], v[180:181], v[8:9], -v[10:11]
	v_add_f64_e32 v[182:183], 0, v[196:197]
	scratch_load_b128 v[8:11], off, off offset:912
	v_fmac_f64_e32 v[198:199], v[6:7], v[12:13]
	v_fma_f64 v[200:201], v[4:5], v[12:13], -v[14:15]
	ds_load_b128 v[4:7], v2 offset:1744
	s_wait_loadcnt_dscnt 0xb01
	v_mul_f64_e32 v[196:197], v[188:189], v[142:143]
	v_mul_f64_e32 v[142:143], v[190:191], v[142:143]
	scratch_load_b128 v[12:15], off, off offset:928
	v_add_f64_e32 v[192:193], v[192:193], v[194:195]
	v_add_f64_e32 v[202:203], v[182:183], v[180:181]
	ds_load_b128 v[180:183], v2 offset:1760
	s_wait_loadcnt_dscnt 0xb01
	v_mul_f64_e32 v[194:195], v[4:5], v[146:147]
	v_mul_f64_e32 v[146:147], v[6:7], v[146:147]
	v_fmac_f64_e32 v[196:197], v[190:191], v[140:141]
	v_fma_f64 v[188:189], v[188:189], v[140:141], -v[142:143]
	scratch_load_b128 v[140:143], off, off offset:944
	v_add_f64_e32 v[192:193], v[192:193], v[198:199]
	v_add_f64_e32 v[190:191], v[202:203], v[200:201]
	v_fmac_f64_e32 v[194:195], v[6:7], v[144:145]
	v_fma_f64 v[200:201], v[4:5], v[144:145], -v[146:147]
	ds_load_b128 v[4:7], v2 offset:1776
	s_wait_loadcnt_dscnt 0xb01
	v_mul_f64_e32 v[198:199], v[180:181], v[150:151]
	v_mul_f64_e32 v[150:151], v[182:183], v[150:151]
	scratch_load_b128 v[144:147], off, off offset:960
	v_add_f64_e32 v[192:193], v[192:193], v[196:197]
	s_wait_loadcnt_dscnt 0xb00
	v_mul_f64_e32 v[196:197], v[4:5], v[154:155]
	v_add_f64_e32 v[202:203], v[190:191], v[188:189]
	v_mul_f64_e32 v[154:155], v[6:7], v[154:155]
	ds_load_b128 v[188:191], v2 offset:1792
	v_fmac_f64_e32 v[198:199], v[182:183], v[148:149]
	v_fma_f64 v[148:149], v[180:181], v[148:149], -v[150:151]
	s_wait_loadcnt_dscnt 0xa00
	v_mul_f64_e32 v[182:183], v[188:189], v[158:159]
	v_mul_f64_e32 v[158:159], v[190:191], v[158:159]
	v_add_f64_e32 v[180:181], v[192:193], v[194:195]
	v_fmac_f64_e32 v[196:197], v[6:7], v[152:153]
	v_add_f64_e32 v[150:151], v[202:203], v[200:201]
	v_fma_f64 v[152:153], v[4:5], v[152:153], -v[154:155]
	v_fmac_f64_e32 v[182:183], v[190:191], v[156:157]
	v_fma_f64 v[156:157], v[188:189], v[156:157], -v[158:159]
	v_add_f64_e32 v[180:181], v[180:181], v[198:199]
	v_add_f64_e32 v[154:155], v[150:151], v[148:149]
	ds_load_b128 v[4:7], v2 offset:1808
	ds_load_b128 v[148:151], v2 offset:1824
	s_wait_loadcnt_dscnt 0x901
	v_mul_f64_e32 v[192:193], v[4:5], v[162:163]
	v_mul_f64_e32 v[162:163], v[6:7], v[162:163]
	s_wait_loadcnt_dscnt 0x800
	v_mul_f64_e32 v[158:159], v[148:149], v[166:167]
	v_mul_f64_e32 v[166:167], v[150:151], v[166:167]
	v_add_f64_e32 v[152:153], v[154:155], v[152:153]
	v_add_f64_e32 v[154:155], v[180:181], v[196:197]
	v_fmac_f64_e32 v[192:193], v[6:7], v[160:161]
	v_fma_f64 v[160:161], v[4:5], v[160:161], -v[162:163]
	v_fmac_f64_e32 v[158:159], v[150:151], v[164:165]
	v_fma_f64 v[148:149], v[148:149], v[164:165], -v[166:167]
	v_add_f64_e32 v[156:157], v[152:153], v[156:157]
	v_add_f64_e32 v[162:163], v[154:155], v[182:183]
	ds_load_b128 v[4:7], v2 offset:1840
	ds_load_b128 v[152:155], v2 offset:1856
	s_wait_loadcnt_dscnt 0x701
	v_mul_f64_e32 v[180:181], v[4:5], v[174:175]
	v_mul_f64_e32 v[174:175], v[6:7], v[174:175]
	v_add_f64_e32 v[150:151], v[156:157], v[160:161]
	v_add_f64_e32 v[156:157], v[162:163], v[192:193]
	s_wait_loadcnt_dscnt 0x500
	v_mul_f64_e32 v[160:161], v[152:153], v[186:187]
	v_mul_f64_e32 v[162:163], v[154:155], v[186:187]
	v_fmac_f64_e32 v[180:181], v[6:7], v[172:173]
	v_fma_f64 v[164:165], v[4:5], v[172:173], -v[174:175]
	v_add_f64_e32 v[166:167], v[150:151], v[148:149]
	v_add_f64_e32 v[156:157], v[156:157], v[158:159]
	ds_load_b128 v[4:7], v2 offset:1872
	ds_load_b128 v[148:151], v2 offset:1888
	v_fmac_f64_e32 v[160:161], v[154:155], v[184:185]
	v_fma_f64 v[152:153], v[152:153], v[184:185], -v[162:163]
	s_wait_loadcnt_dscnt 0x401
	v_mul_f64_e32 v[158:159], v[4:5], v[170:171]
	v_mul_f64_e32 v[170:171], v[6:7], v[170:171]
	v_add_f64_e32 v[154:155], v[166:167], v[164:165]
	v_add_f64_e32 v[156:157], v[156:157], v[180:181]
	s_wait_loadcnt_dscnt 0x300
	v_mul_f64_e32 v[162:163], v[148:149], v[10:11]
	v_mul_f64_e32 v[10:11], v[150:151], v[10:11]
	v_fmac_f64_e32 v[158:159], v[6:7], v[168:169]
	v_fma_f64 v[164:165], v[4:5], v[168:169], -v[170:171]
	v_add_f64_e32 v[166:167], v[154:155], v[152:153]
	v_add_f64_e32 v[156:157], v[156:157], v[160:161]
	ds_load_b128 v[4:7], v2 offset:1904
	ds_load_b128 v[152:155], v2 offset:1920
	v_fmac_f64_e32 v[162:163], v[150:151], v[8:9]
	v_fma_f64 v[8:9], v[148:149], v[8:9], -v[10:11]
	s_wait_loadcnt_dscnt 0x201
	v_mul_f64_e32 v[160:161], v[4:5], v[14:15]
	v_mul_f64_e32 v[14:15], v[6:7], v[14:15]
	s_wait_loadcnt_dscnt 0x100
	v_mul_f64_e32 v[150:151], v[152:153], v[142:143]
	v_mul_f64_e32 v[142:143], v[154:155], v[142:143]
	v_add_f64_e32 v[10:11], v[166:167], v[164:165]
	v_add_f64_e32 v[148:149], v[156:157], v[158:159]
	v_fmac_f64_e32 v[160:161], v[6:7], v[12:13]
	v_fma_f64 v[12:13], v[4:5], v[12:13], -v[14:15]
	ds_load_b128 v[4:7], v2 offset:1936
	v_fmac_f64_e32 v[150:151], v[154:155], v[140:141]
	v_fma_f64 v[140:141], v[152:153], v[140:141], -v[142:143]
	v_add_f64_e32 v[8:9], v[10:11], v[8:9]
	v_add_f64_e32 v[10:11], v[148:149], v[162:163]
	s_wait_loadcnt_dscnt 0x0
	v_mul_f64_e32 v[14:15], v[4:5], v[146:147]
	v_mul_f64_e32 v[146:147], v[6:7], v[146:147]
	s_delay_alu instid0(VALU_DEP_4) | instskip(NEXT) | instid1(VALU_DEP_4)
	v_add_f64_e32 v[8:9], v[8:9], v[12:13]
	v_add_f64_e32 v[10:11], v[10:11], v[160:161]
	s_delay_alu instid0(VALU_DEP_4) | instskip(NEXT) | instid1(VALU_DEP_4)
	v_fmac_f64_e32 v[14:15], v[6:7], v[144:145]
	v_fma_f64 v[4:5], v[4:5], v[144:145], -v[146:147]
	s_delay_alu instid0(VALU_DEP_4) | instskip(NEXT) | instid1(VALU_DEP_4)
	v_add_f64_e32 v[6:7], v[8:9], v[140:141]
	v_add_f64_e32 v[8:9], v[10:11], v[150:151]
	s_delay_alu instid0(VALU_DEP_2) | instskip(NEXT) | instid1(VALU_DEP_2)
	v_add_f64_e32 v[4:5], v[6:7], v[4:5]
	v_add_f64_e32 v[6:7], v[8:9], v[14:15]
	s_delay_alu instid0(VALU_DEP_2) | instskip(NEXT) | instid1(VALU_DEP_2)
	v_add_f64_e64 v[4:5], v[176:177], -v[4:5]
	v_add_f64_e64 v[6:7], v[178:179], -v[6:7]
	scratch_store_b128 off, v[4:7], off offset:688
	s_wait_xcnt 0x0
	v_cmpx_lt_u32_e32 42, v1
	s_cbranch_execz .LBB60_307
; %bb.306:
	scratch_load_b128 v[6:9], off, s34
	v_dual_mov_b32 v3, v2 :: v_dual_mov_b32 v4, v2
	v_mov_b32_e32 v5, v2
	scratch_store_b128 off, v[2:5], off offset:672
	s_wait_loadcnt 0x0
	ds_store_b128 v138, v[6:9]
.LBB60_307:
	s_wait_xcnt 0x0
	s_or_b32 exec_lo, exec_lo, s2
	s_wait_storecnt_dscnt 0x0
	s_barrier_signal -1
	s_barrier_wait -1
	s_clause 0x9
	scratch_load_b128 v[4:7], off, off offset:688
	scratch_load_b128 v[8:11], off, off offset:704
	;; [unrolled: 1-line block ×10, first 2 shown]
	ds_load_b128 v[168:171], v2 offset:1664
	ds_load_b128 v[176:179], v2 offset:1680
	s_clause 0x2
	scratch_load_b128 v[172:175], off, off offset:848
	scratch_load_b128 v[180:183], off, off offset:672
	scratch_load_b128 v[184:187], off, off offset:864
	s_mov_b32 s2, exec_lo
	s_wait_loadcnt_dscnt 0xc01
	v_mul_f64_e32 v[188:189], v[170:171], v[6:7]
	v_mul_f64_e32 v[192:193], v[168:169], v[6:7]
	s_wait_loadcnt_dscnt 0xb00
	v_mul_f64_e32 v[194:195], v[176:177], v[10:11]
	v_mul_f64_e32 v[10:11], v[178:179], v[10:11]
	s_delay_alu instid0(VALU_DEP_4) | instskip(NEXT) | instid1(VALU_DEP_4)
	v_fma_f64 v[196:197], v[168:169], v[4:5], -v[188:189]
	v_fmac_f64_e32 v[192:193], v[170:171], v[4:5]
	ds_load_b128 v[4:7], v2 offset:1696
	ds_load_b128 v[168:171], v2 offset:1712
	scratch_load_b128 v[188:191], off, off offset:880
	v_fmac_f64_e32 v[194:195], v[178:179], v[8:9]
	v_fma_f64 v[176:177], v[176:177], v[8:9], -v[10:11]
	scratch_load_b128 v[8:11], off, off offset:896
	s_wait_loadcnt_dscnt 0xc01
	v_mul_f64_e32 v[198:199], v[4:5], v[14:15]
	v_mul_f64_e32 v[14:15], v[6:7], v[14:15]
	v_add_f64_e32 v[178:179], 0, v[196:197]
	v_add_f64_e32 v[192:193], 0, v[192:193]
	s_wait_loadcnt_dscnt 0xb00
	v_mul_f64_e32 v[196:197], v[168:169], v[142:143]
	v_mul_f64_e32 v[142:143], v[170:171], v[142:143]
	v_fmac_f64_e32 v[198:199], v[6:7], v[12:13]
	v_fma_f64 v[200:201], v[4:5], v[12:13], -v[14:15]
	ds_load_b128 v[4:7], v2 offset:1728
	ds_load_b128 v[12:15], v2 offset:1744
	v_add_f64_e32 v[202:203], v[178:179], v[176:177]
	v_add_f64_e32 v[192:193], v[192:193], v[194:195]
	scratch_load_b128 v[176:179], off, off offset:912
	v_fmac_f64_e32 v[196:197], v[170:171], v[140:141]
	v_fma_f64 v[168:169], v[168:169], v[140:141], -v[142:143]
	scratch_load_b128 v[140:143], off, off offset:928
	s_wait_loadcnt_dscnt 0xc01
	v_mul_f64_e32 v[194:195], v[4:5], v[146:147]
	v_mul_f64_e32 v[146:147], v[6:7], v[146:147]
	v_add_f64_e32 v[170:171], v[202:203], v[200:201]
	v_add_f64_e32 v[192:193], v[192:193], v[198:199]
	s_wait_loadcnt_dscnt 0xb00
	v_mul_f64_e32 v[198:199], v[12:13], v[150:151]
	v_mul_f64_e32 v[150:151], v[14:15], v[150:151]
	v_fmac_f64_e32 v[194:195], v[6:7], v[144:145]
	v_fma_f64 v[200:201], v[4:5], v[144:145], -v[146:147]
	ds_load_b128 v[4:7], v2 offset:1760
	ds_load_b128 v[144:147], v2 offset:1776
	v_add_f64_e32 v[202:203], v[170:171], v[168:169]
	v_add_f64_e32 v[192:193], v[192:193], v[196:197]
	scratch_load_b128 v[168:171], off, off offset:944
	s_wait_loadcnt_dscnt 0xb01
	v_mul_f64_e32 v[196:197], v[4:5], v[154:155]
	v_mul_f64_e32 v[154:155], v[6:7], v[154:155]
	v_fmac_f64_e32 v[198:199], v[14:15], v[148:149]
	v_fma_f64 v[148:149], v[12:13], v[148:149], -v[150:151]
	scratch_load_b128 v[12:15], off, off offset:960
	v_add_f64_e32 v[150:151], v[202:203], v[200:201]
	v_add_f64_e32 v[192:193], v[192:193], v[194:195]
	s_wait_loadcnt_dscnt 0xb00
	v_mul_f64_e32 v[194:195], v[144:145], v[158:159]
	v_mul_f64_e32 v[158:159], v[146:147], v[158:159]
	v_fmac_f64_e32 v[196:197], v[6:7], v[152:153]
	v_fma_f64 v[152:153], v[4:5], v[152:153], -v[154:155]
	v_add_f64_e32 v[154:155], v[150:151], v[148:149]
	v_add_f64_e32 v[192:193], v[192:193], v[198:199]
	ds_load_b128 v[4:7], v2 offset:1792
	ds_load_b128 v[148:151], v2 offset:1808
	v_fmac_f64_e32 v[194:195], v[146:147], v[156:157]
	v_fma_f64 v[144:145], v[144:145], v[156:157], -v[158:159]
	s_wait_loadcnt_dscnt 0xa01
	v_mul_f64_e32 v[198:199], v[4:5], v[162:163]
	v_mul_f64_e32 v[162:163], v[6:7], v[162:163]
	s_wait_loadcnt_dscnt 0x900
	v_mul_f64_e32 v[156:157], v[150:151], v[166:167]
	v_add_f64_e32 v[146:147], v[154:155], v[152:153]
	v_add_f64_e32 v[152:153], v[192:193], v[196:197]
	v_mul_f64_e32 v[154:155], v[148:149], v[166:167]
	v_fmac_f64_e32 v[198:199], v[6:7], v[160:161]
	v_fma_f64 v[158:159], v[4:5], v[160:161], -v[162:163]
	v_fma_f64 v[148:149], v[148:149], v[164:165], -v[156:157]
	v_add_f64_e32 v[160:161], v[146:147], v[144:145]
	v_add_f64_e32 v[152:153], v[152:153], v[194:195]
	ds_load_b128 v[4:7], v2 offset:1824
	ds_load_b128 v[144:147], v2 offset:1840
	v_fmac_f64_e32 v[154:155], v[150:151], v[164:165]
	s_wait_loadcnt_dscnt 0x801
	v_mul_f64_e32 v[162:163], v[4:5], v[174:175]
	v_mul_f64_e32 v[166:167], v[6:7], v[174:175]
	s_wait_loadcnt_dscnt 0x600
	v_mul_f64_e32 v[156:157], v[144:145], v[186:187]
	v_add_f64_e32 v[150:151], v[160:161], v[158:159]
	v_add_f64_e32 v[152:153], v[152:153], v[198:199]
	v_mul_f64_e32 v[158:159], v[146:147], v[186:187]
	v_fmac_f64_e32 v[162:163], v[6:7], v[172:173]
	v_fma_f64 v[160:161], v[4:5], v[172:173], -v[166:167]
	v_fmac_f64_e32 v[156:157], v[146:147], v[184:185]
	v_add_f64_e32 v[164:165], v[150:151], v[148:149]
	v_add_f64_e32 v[152:153], v[152:153], v[154:155]
	ds_load_b128 v[4:7], v2 offset:1856
	ds_load_b128 v[148:151], v2 offset:1872
	v_fma_f64 v[144:145], v[144:145], v[184:185], -v[158:159]
	s_wait_loadcnt_dscnt 0x501
	v_mul_f64_e32 v[154:155], v[4:5], v[190:191]
	v_mul_f64_e32 v[166:167], v[6:7], v[190:191]
	s_wait_loadcnt_dscnt 0x400
	v_mul_f64_e32 v[158:159], v[148:149], v[10:11]
	v_mul_f64_e32 v[10:11], v[150:151], v[10:11]
	v_add_f64_e32 v[146:147], v[164:165], v[160:161]
	v_add_f64_e32 v[152:153], v[152:153], v[162:163]
	v_fmac_f64_e32 v[154:155], v[6:7], v[188:189]
	v_fma_f64 v[160:161], v[4:5], v[188:189], -v[166:167]
	v_fmac_f64_e32 v[158:159], v[150:151], v[8:9]
	v_fma_f64 v[8:9], v[148:149], v[8:9], -v[10:11]
	v_add_f64_e32 v[162:163], v[146:147], v[144:145]
	v_add_f64_e32 v[152:153], v[152:153], v[156:157]
	ds_load_b128 v[4:7], v2 offset:1888
	ds_load_b128 v[144:147], v2 offset:1904
	s_wait_loadcnt_dscnt 0x301
	v_mul_f64_e32 v[156:157], v[4:5], v[178:179]
	v_mul_f64_e32 v[164:165], v[6:7], v[178:179]
	s_wait_loadcnt_dscnt 0x200
	v_mul_f64_e32 v[150:151], v[144:145], v[142:143]
	v_mul_f64_e32 v[142:143], v[146:147], v[142:143]
	v_add_f64_e32 v[10:11], v[162:163], v[160:161]
	v_add_f64_e32 v[148:149], v[152:153], v[154:155]
	v_fmac_f64_e32 v[156:157], v[6:7], v[176:177]
	v_fma_f64 v[152:153], v[4:5], v[176:177], -v[164:165]
	v_fmac_f64_e32 v[150:151], v[146:147], v[140:141]
	v_fma_f64 v[140:141], v[144:145], v[140:141], -v[142:143]
	v_add_f64_e32 v[154:155], v[10:11], v[8:9]
	v_add_f64_e32 v[148:149], v[148:149], v[158:159]
	ds_load_b128 v[4:7], v2 offset:1920
	ds_load_b128 v[8:11], v2 offset:1936
	s_wait_loadcnt_dscnt 0x101
	v_mul_f64_e32 v[2:3], v[4:5], v[170:171]
	v_mul_f64_e32 v[158:159], v[6:7], v[170:171]
	s_wait_loadcnt_dscnt 0x0
	v_mul_f64_e32 v[146:147], v[8:9], v[14:15]
	v_mul_f64_e32 v[14:15], v[10:11], v[14:15]
	v_add_f64_e32 v[142:143], v[154:155], v[152:153]
	v_add_f64_e32 v[144:145], v[148:149], v[156:157]
	v_fmac_f64_e32 v[2:3], v[6:7], v[168:169]
	v_fma_f64 v[4:5], v[4:5], v[168:169], -v[158:159]
	v_fmac_f64_e32 v[146:147], v[10:11], v[12:13]
	v_fma_f64 v[8:9], v[8:9], v[12:13], -v[14:15]
	v_add_f64_e32 v[6:7], v[142:143], v[140:141]
	v_add_f64_e32 v[140:141], v[144:145], v[150:151]
	s_delay_alu instid0(VALU_DEP_2) | instskip(NEXT) | instid1(VALU_DEP_2)
	v_add_f64_e32 v[4:5], v[6:7], v[4:5]
	v_add_f64_e32 v[2:3], v[140:141], v[2:3]
	s_delay_alu instid0(VALU_DEP_2) | instskip(NEXT) | instid1(VALU_DEP_2)
	v_add_f64_e32 v[4:5], v[4:5], v[8:9]
	v_add_f64_e32 v[6:7], v[2:3], v[146:147]
	s_delay_alu instid0(VALU_DEP_2) | instskip(NEXT) | instid1(VALU_DEP_2)
	v_add_f64_e64 v[2:3], v[180:181], -v[4:5]
	v_add_f64_e64 v[4:5], v[182:183], -v[6:7]
	scratch_store_b128 off, v[2:5], off offset:672
	s_wait_xcnt 0x0
	v_cmpx_lt_u32_e32 41, v1
	s_cbranch_execz .LBB60_309
; %bb.308:
	scratch_load_b128 v[2:5], off, s33
	v_mov_b32_e32 v6, 0
	s_delay_alu instid0(VALU_DEP_1)
	v_dual_mov_b32 v7, v6 :: v_dual_mov_b32 v8, v6
	v_mov_b32_e32 v9, v6
	scratch_store_b128 off, v[6:9], off offset:656
	s_wait_loadcnt 0x0
	ds_store_b128 v138, v[2:5]
.LBB60_309:
	s_wait_xcnt 0x0
	s_or_b32 exec_lo, exec_lo, s2
	s_wait_storecnt_dscnt 0x0
	s_barrier_signal -1
	s_barrier_wait -1
	s_clause 0x9
	scratch_load_b128 v[4:7], off, off offset:672
	scratch_load_b128 v[8:11], off, off offset:688
	;; [unrolled: 1-line block ×10, first 2 shown]
	v_mov_b32_e32 v2, 0
	s_mov_b32 s2, exec_lo
	ds_load_b128 v[168:171], v2 offset:1648
	s_clause 0x2
	scratch_load_b128 v[172:175], off, off offset:832
	scratch_load_b128 v[176:179], off, off offset:656
	;; [unrolled: 1-line block ×3, first 2 shown]
	s_wait_loadcnt_dscnt 0xc00
	v_mul_f64_e32 v[188:189], v[170:171], v[6:7]
	v_mul_f64_e32 v[192:193], v[168:169], v[6:7]
	ds_load_b128 v[180:183], v2 offset:1664
	v_fma_f64 v[196:197], v[168:169], v[4:5], -v[188:189]
	v_fmac_f64_e32 v[192:193], v[170:171], v[4:5]
	ds_load_b128 v[4:7], v2 offset:1680
	s_wait_loadcnt_dscnt 0xb01
	v_mul_f64_e32 v[194:195], v[180:181], v[10:11]
	v_mul_f64_e32 v[10:11], v[182:183], v[10:11]
	scratch_load_b128 v[168:171], off, off offset:864
	ds_load_b128 v[188:191], v2 offset:1696
	s_wait_loadcnt_dscnt 0xb01
	v_mul_f64_e32 v[198:199], v[4:5], v[14:15]
	v_mul_f64_e32 v[14:15], v[6:7], v[14:15]
	v_add_f64_e32 v[192:193], 0, v[192:193]
	v_fmac_f64_e32 v[194:195], v[182:183], v[8:9]
	v_fma_f64 v[180:181], v[180:181], v[8:9], -v[10:11]
	v_add_f64_e32 v[182:183], 0, v[196:197]
	scratch_load_b128 v[8:11], off, off offset:880
	v_fmac_f64_e32 v[198:199], v[6:7], v[12:13]
	v_fma_f64 v[200:201], v[4:5], v[12:13], -v[14:15]
	ds_load_b128 v[4:7], v2 offset:1712
	s_wait_loadcnt_dscnt 0xb01
	v_mul_f64_e32 v[196:197], v[188:189], v[142:143]
	v_mul_f64_e32 v[142:143], v[190:191], v[142:143]
	scratch_load_b128 v[12:15], off, off offset:896
	v_add_f64_e32 v[192:193], v[192:193], v[194:195]
	v_add_f64_e32 v[202:203], v[182:183], v[180:181]
	ds_load_b128 v[180:183], v2 offset:1728
	s_wait_loadcnt_dscnt 0xb01
	v_mul_f64_e32 v[194:195], v[4:5], v[146:147]
	v_mul_f64_e32 v[146:147], v[6:7], v[146:147]
	v_fmac_f64_e32 v[196:197], v[190:191], v[140:141]
	v_fma_f64 v[188:189], v[188:189], v[140:141], -v[142:143]
	scratch_load_b128 v[140:143], off, off offset:912
	v_add_f64_e32 v[192:193], v[192:193], v[198:199]
	v_add_f64_e32 v[190:191], v[202:203], v[200:201]
	v_fmac_f64_e32 v[194:195], v[6:7], v[144:145]
	v_fma_f64 v[200:201], v[4:5], v[144:145], -v[146:147]
	ds_load_b128 v[4:7], v2 offset:1744
	s_wait_loadcnt_dscnt 0xb01
	v_mul_f64_e32 v[198:199], v[180:181], v[150:151]
	v_mul_f64_e32 v[150:151], v[182:183], v[150:151]
	scratch_load_b128 v[144:147], off, off offset:928
	v_add_f64_e32 v[192:193], v[192:193], v[196:197]
	s_wait_loadcnt_dscnt 0xb00
	v_mul_f64_e32 v[196:197], v[4:5], v[154:155]
	v_add_f64_e32 v[202:203], v[190:191], v[188:189]
	v_mul_f64_e32 v[154:155], v[6:7], v[154:155]
	ds_load_b128 v[188:191], v2 offset:1760
	v_fmac_f64_e32 v[198:199], v[182:183], v[148:149]
	v_fma_f64 v[180:181], v[180:181], v[148:149], -v[150:151]
	scratch_load_b128 v[148:151], off, off offset:944
	v_add_f64_e32 v[192:193], v[192:193], v[194:195]
	v_fmac_f64_e32 v[196:197], v[6:7], v[152:153]
	v_add_f64_e32 v[182:183], v[202:203], v[200:201]
	v_fma_f64 v[200:201], v[4:5], v[152:153], -v[154:155]
	ds_load_b128 v[4:7], v2 offset:1776
	s_wait_loadcnt_dscnt 0xb01
	v_mul_f64_e32 v[194:195], v[188:189], v[158:159]
	v_mul_f64_e32 v[158:159], v[190:191], v[158:159]
	scratch_load_b128 v[152:155], off, off offset:960
	v_add_f64_e32 v[192:193], v[192:193], v[198:199]
	s_wait_loadcnt_dscnt 0xb00
	v_mul_f64_e32 v[198:199], v[4:5], v[162:163]
	v_add_f64_e32 v[202:203], v[182:183], v[180:181]
	v_mul_f64_e32 v[162:163], v[6:7], v[162:163]
	ds_load_b128 v[180:183], v2 offset:1792
	v_fmac_f64_e32 v[194:195], v[190:191], v[156:157]
	v_fma_f64 v[156:157], v[188:189], v[156:157], -v[158:159]
	s_wait_loadcnt_dscnt 0xa00
	v_mul_f64_e32 v[190:191], v[180:181], v[166:167]
	v_mul_f64_e32 v[166:167], v[182:183], v[166:167]
	v_add_f64_e32 v[188:189], v[192:193], v[196:197]
	v_fmac_f64_e32 v[198:199], v[6:7], v[160:161]
	v_add_f64_e32 v[158:159], v[202:203], v[200:201]
	v_fma_f64 v[160:161], v[4:5], v[160:161], -v[162:163]
	v_fmac_f64_e32 v[190:191], v[182:183], v[164:165]
	v_fma_f64 v[164:165], v[180:181], v[164:165], -v[166:167]
	v_add_f64_e32 v[188:189], v[188:189], v[194:195]
	v_add_f64_e32 v[162:163], v[158:159], v[156:157]
	ds_load_b128 v[4:7], v2 offset:1808
	ds_load_b128 v[156:159], v2 offset:1824
	s_wait_loadcnt_dscnt 0x901
	v_mul_f64_e32 v[192:193], v[4:5], v[174:175]
	v_mul_f64_e32 v[174:175], v[6:7], v[174:175]
	s_wait_loadcnt_dscnt 0x700
	v_mul_f64_e32 v[166:167], v[156:157], v[186:187]
	v_mul_f64_e32 v[180:181], v[158:159], v[186:187]
	v_add_f64_e32 v[160:161], v[162:163], v[160:161]
	v_add_f64_e32 v[162:163], v[188:189], v[198:199]
	v_fmac_f64_e32 v[192:193], v[6:7], v[172:173]
	v_fma_f64 v[172:173], v[4:5], v[172:173], -v[174:175]
	v_fmac_f64_e32 v[166:167], v[158:159], v[184:185]
	v_fma_f64 v[156:157], v[156:157], v[184:185], -v[180:181]
	v_add_f64_e32 v[164:165], v[160:161], v[164:165]
	v_add_f64_e32 v[174:175], v[162:163], v[190:191]
	ds_load_b128 v[4:7], v2 offset:1840
	ds_load_b128 v[160:163], v2 offset:1856
	s_wait_loadcnt_dscnt 0x601
	v_mul_f64_e32 v[182:183], v[4:5], v[170:171]
	v_mul_f64_e32 v[170:171], v[6:7], v[170:171]
	v_add_f64_e32 v[158:159], v[164:165], v[172:173]
	v_add_f64_e32 v[164:165], v[174:175], v[192:193]
	s_wait_loadcnt_dscnt 0x500
	v_mul_f64_e32 v[172:173], v[160:161], v[10:11]
	v_mul_f64_e32 v[10:11], v[162:163], v[10:11]
	v_fmac_f64_e32 v[182:183], v[6:7], v[168:169]
	v_fma_f64 v[168:169], v[4:5], v[168:169], -v[170:171]
	v_add_f64_e32 v[170:171], v[158:159], v[156:157]
	v_add_f64_e32 v[164:165], v[164:165], v[166:167]
	ds_load_b128 v[4:7], v2 offset:1872
	ds_load_b128 v[156:159], v2 offset:1888
	v_fmac_f64_e32 v[172:173], v[162:163], v[8:9]
	v_fma_f64 v[8:9], v[160:161], v[8:9], -v[10:11]
	s_wait_loadcnt_dscnt 0x401
	v_mul_f64_e32 v[166:167], v[4:5], v[14:15]
	v_mul_f64_e32 v[14:15], v[6:7], v[14:15]
	s_wait_loadcnt_dscnt 0x300
	v_mul_f64_e32 v[162:163], v[156:157], v[142:143]
	v_mul_f64_e32 v[142:143], v[158:159], v[142:143]
	v_add_f64_e32 v[10:11], v[170:171], v[168:169]
	v_add_f64_e32 v[160:161], v[164:165], v[182:183]
	v_fmac_f64_e32 v[166:167], v[6:7], v[12:13]
	v_fma_f64 v[12:13], v[4:5], v[12:13], -v[14:15]
	v_fmac_f64_e32 v[162:163], v[158:159], v[140:141]
	v_fma_f64 v[140:141], v[156:157], v[140:141], -v[142:143]
	v_add_f64_e32 v[14:15], v[10:11], v[8:9]
	v_add_f64_e32 v[160:161], v[160:161], v[172:173]
	ds_load_b128 v[4:7], v2 offset:1904
	ds_load_b128 v[8:11], v2 offset:1920
	s_wait_loadcnt_dscnt 0x201
	v_mul_f64_e32 v[164:165], v[4:5], v[146:147]
	v_mul_f64_e32 v[146:147], v[6:7], v[146:147]
	s_wait_loadcnt_dscnt 0x100
	v_mul_f64_e32 v[142:143], v[8:9], v[150:151]
	v_mul_f64_e32 v[150:151], v[10:11], v[150:151]
	v_add_f64_e32 v[12:13], v[14:15], v[12:13]
	v_add_f64_e32 v[14:15], v[160:161], v[166:167]
	v_fmac_f64_e32 v[164:165], v[6:7], v[144:145]
	v_fma_f64 v[144:145], v[4:5], v[144:145], -v[146:147]
	ds_load_b128 v[4:7], v2 offset:1936
	v_fmac_f64_e32 v[142:143], v[10:11], v[148:149]
	v_fma_f64 v[8:9], v[8:9], v[148:149], -v[150:151]
	v_add_f64_e32 v[12:13], v[12:13], v[140:141]
	v_add_f64_e32 v[14:15], v[14:15], v[162:163]
	s_wait_loadcnt_dscnt 0x0
	v_mul_f64_e32 v[140:141], v[4:5], v[154:155]
	v_mul_f64_e32 v[146:147], v[6:7], v[154:155]
	s_delay_alu instid0(VALU_DEP_4) | instskip(NEXT) | instid1(VALU_DEP_4)
	v_add_f64_e32 v[10:11], v[12:13], v[144:145]
	v_add_f64_e32 v[12:13], v[14:15], v[164:165]
	s_delay_alu instid0(VALU_DEP_4) | instskip(NEXT) | instid1(VALU_DEP_4)
	v_fmac_f64_e32 v[140:141], v[6:7], v[152:153]
	v_fma_f64 v[4:5], v[4:5], v[152:153], -v[146:147]
	s_delay_alu instid0(VALU_DEP_4) | instskip(NEXT) | instid1(VALU_DEP_4)
	v_add_f64_e32 v[6:7], v[10:11], v[8:9]
	v_add_f64_e32 v[8:9], v[12:13], v[142:143]
	s_delay_alu instid0(VALU_DEP_2) | instskip(NEXT) | instid1(VALU_DEP_2)
	v_add_f64_e32 v[4:5], v[6:7], v[4:5]
	v_add_f64_e32 v[6:7], v[8:9], v[140:141]
	s_delay_alu instid0(VALU_DEP_2) | instskip(NEXT) | instid1(VALU_DEP_2)
	v_add_f64_e64 v[4:5], v[176:177], -v[4:5]
	v_add_f64_e64 v[6:7], v[178:179], -v[6:7]
	scratch_store_b128 off, v[4:7], off offset:656
	s_wait_xcnt 0x0
	v_cmpx_lt_u32_e32 40, v1
	s_cbranch_execz .LBB60_311
; %bb.310:
	scratch_load_b128 v[6:9], off, s36
	v_dual_mov_b32 v3, v2 :: v_dual_mov_b32 v4, v2
	v_mov_b32_e32 v5, v2
	scratch_store_b128 off, v[2:5], off offset:640
	s_wait_loadcnt 0x0
	ds_store_b128 v138, v[6:9]
.LBB60_311:
	s_wait_xcnt 0x0
	s_or_b32 exec_lo, exec_lo, s2
	s_wait_storecnt_dscnt 0x0
	s_barrier_signal -1
	s_barrier_wait -1
	s_clause 0x9
	scratch_load_b128 v[4:7], off, off offset:656
	scratch_load_b128 v[8:11], off, off offset:672
	;; [unrolled: 1-line block ×10, first 2 shown]
	ds_load_b128 v[168:171], v2 offset:1632
	ds_load_b128 v[176:179], v2 offset:1648
	s_clause 0x2
	scratch_load_b128 v[172:175], off, off offset:816
	scratch_load_b128 v[180:183], off, off offset:640
	;; [unrolled: 1-line block ×3, first 2 shown]
	s_mov_b32 s2, exec_lo
	s_wait_loadcnt_dscnt 0xc01
	v_mul_f64_e32 v[188:189], v[170:171], v[6:7]
	v_mul_f64_e32 v[192:193], v[168:169], v[6:7]
	s_wait_loadcnt_dscnt 0xb00
	v_mul_f64_e32 v[194:195], v[176:177], v[10:11]
	v_mul_f64_e32 v[10:11], v[178:179], v[10:11]
	s_delay_alu instid0(VALU_DEP_4) | instskip(NEXT) | instid1(VALU_DEP_4)
	v_fma_f64 v[196:197], v[168:169], v[4:5], -v[188:189]
	v_fmac_f64_e32 v[192:193], v[170:171], v[4:5]
	ds_load_b128 v[4:7], v2 offset:1664
	ds_load_b128 v[168:171], v2 offset:1680
	scratch_load_b128 v[188:191], off, off offset:848
	v_fmac_f64_e32 v[194:195], v[178:179], v[8:9]
	v_fma_f64 v[176:177], v[176:177], v[8:9], -v[10:11]
	scratch_load_b128 v[8:11], off, off offset:864
	s_wait_loadcnt_dscnt 0xc01
	v_mul_f64_e32 v[198:199], v[4:5], v[14:15]
	v_mul_f64_e32 v[14:15], v[6:7], v[14:15]
	v_add_f64_e32 v[178:179], 0, v[196:197]
	v_add_f64_e32 v[192:193], 0, v[192:193]
	s_wait_loadcnt_dscnt 0xb00
	v_mul_f64_e32 v[196:197], v[168:169], v[142:143]
	v_mul_f64_e32 v[142:143], v[170:171], v[142:143]
	v_fmac_f64_e32 v[198:199], v[6:7], v[12:13]
	v_fma_f64 v[200:201], v[4:5], v[12:13], -v[14:15]
	ds_load_b128 v[4:7], v2 offset:1696
	ds_load_b128 v[12:15], v2 offset:1712
	v_add_f64_e32 v[202:203], v[178:179], v[176:177]
	v_add_f64_e32 v[192:193], v[192:193], v[194:195]
	scratch_load_b128 v[176:179], off, off offset:880
	v_fmac_f64_e32 v[196:197], v[170:171], v[140:141]
	v_fma_f64 v[168:169], v[168:169], v[140:141], -v[142:143]
	scratch_load_b128 v[140:143], off, off offset:896
	s_wait_loadcnt_dscnt 0xc01
	v_mul_f64_e32 v[194:195], v[4:5], v[146:147]
	v_mul_f64_e32 v[146:147], v[6:7], v[146:147]
	v_add_f64_e32 v[170:171], v[202:203], v[200:201]
	v_add_f64_e32 v[192:193], v[192:193], v[198:199]
	s_wait_loadcnt_dscnt 0xb00
	v_mul_f64_e32 v[198:199], v[12:13], v[150:151]
	v_mul_f64_e32 v[150:151], v[14:15], v[150:151]
	v_fmac_f64_e32 v[194:195], v[6:7], v[144:145]
	v_fma_f64 v[200:201], v[4:5], v[144:145], -v[146:147]
	ds_load_b128 v[4:7], v2 offset:1728
	ds_load_b128 v[144:147], v2 offset:1744
	v_add_f64_e32 v[202:203], v[170:171], v[168:169]
	v_add_f64_e32 v[192:193], v[192:193], v[196:197]
	scratch_load_b128 v[168:171], off, off offset:912
	s_wait_loadcnt_dscnt 0xb01
	v_mul_f64_e32 v[196:197], v[4:5], v[154:155]
	v_mul_f64_e32 v[154:155], v[6:7], v[154:155]
	v_fmac_f64_e32 v[198:199], v[14:15], v[148:149]
	v_fma_f64 v[148:149], v[12:13], v[148:149], -v[150:151]
	scratch_load_b128 v[12:15], off, off offset:928
	v_add_f64_e32 v[150:151], v[202:203], v[200:201]
	v_add_f64_e32 v[192:193], v[192:193], v[194:195]
	s_wait_loadcnt_dscnt 0xb00
	v_mul_f64_e32 v[194:195], v[144:145], v[158:159]
	v_mul_f64_e32 v[158:159], v[146:147], v[158:159]
	v_fmac_f64_e32 v[196:197], v[6:7], v[152:153]
	v_fma_f64 v[200:201], v[4:5], v[152:153], -v[154:155]
	v_add_f64_e32 v[202:203], v[150:151], v[148:149]
	v_add_f64_e32 v[192:193], v[192:193], v[198:199]
	ds_load_b128 v[4:7], v2 offset:1760
	ds_load_b128 v[148:151], v2 offset:1776
	scratch_load_b128 v[152:155], off, off offset:944
	v_fmac_f64_e32 v[194:195], v[146:147], v[156:157]
	v_fma_f64 v[156:157], v[144:145], v[156:157], -v[158:159]
	scratch_load_b128 v[144:147], off, off offset:960
	s_wait_loadcnt_dscnt 0xc01
	v_mul_f64_e32 v[198:199], v[4:5], v[162:163]
	v_mul_f64_e32 v[162:163], v[6:7], v[162:163]
	v_add_f64_e32 v[158:159], v[202:203], v[200:201]
	v_add_f64_e32 v[192:193], v[192:193], v[196:197]
	s_wait_loadcnt_dscnt 0xb00
	v_mul_f64_e32 v[196:197], v[148:149], v[166:167]
	v_mul_f64_e32 v[166:167], v[150:151], v[166:167]
	v_fmac_f64_e32 v[198:199], v[6:7], v[160:161]
	v_fma_f64 v[160:161], v[4:5], v[160:161], -v[162:163]
	v_add_f64_e32 v[162:163], v[158:159], v[156:157]
	v_add_f64_e32 v[192:193], v[192:193], v[194:195]
	ds_load_b128 v[4:7], v2 offset:1792
	ds_load_b128 v[156:159], v2 offset:1808
	v_fmac_f64_e32 v[196:197], v[150:151], v[164:165]
	v_fma_f64 v[148:149], v[148:149], v[164:165], -v[166:167]
	s_wait_loadcnt_dscnt 0xa01
	v_mul_f64_e32 v[194:195], v[4:5], v[174:175]
	v_mul_f64_e32 v[174:175], v[6:7], v[174:175]
	s_wait_loadcnt_dscnt 0x800
	v_mul_f64_e32 v[164:165], v[158:159], v[186:187]
	v_add_f64_e32 v[150:151], v[162:163], v[160:161]
	v_add_f64_e32 v[160:161], v[192:193], v[198:199]
	v_mul_f64_e32 v[162:163], v[156:157], v[186:187]
	v_fmac_f64_e32 v[194:195], v[6:7], v[172:173]
	v_fma_f64 v[166:167], v[4:5], v[172:173], -v[174:175]
	v_fma_f64 v[156:157], v[156:157], v[184:185], -v[164:165]
	v_add_f64_e32 v[172:173], v[150:151], v[148:149]
	v_add_f64_e32 v[160:161], v[160:161], v[196:197]
	ds_load_b128 v[4:7], v2 offset:1824
	ds_load_b128 v[148:151], v2 offset:1840
	v_fmac_f64_e32 v[162:163], v[158:159], v[184:185]
	s_wait_loadcnt_dscnt 0x701
	v_mul_f64_e32 v[174:175], v[4:5], v[190:191]
	v_mul_f64_e32 v[186:187], v[6:7], v[190:191]
	s_wait_loadcnt_dscnt 0x600
	v_mul_f64_e32 v[164:165], v[148:149], v[10:11]
	v_mul_f64_e32 v[10:11], v[150:151], v[10:11]
	v_add_f64_e32 v[158:159], v[172:173], v[166:167]
	v_add_f64_e32 v[160:161], v[160:161], v[194:195]
	v_fmac_f64_e32 v[174:175], v[6:7], v[188:189]
	v_fma_f64 v[166:167], v[4:5], v[188:189], -v[186:187]
	v_fmac_f64_e32 v[164:165], v[150:151], v[8:9]
	v_fma_f64 v[8:9], v[148:149], v[8:9], -v[10:11]
	v_add_f64_e32 v[172:173], v[158:159], v[156:157]
	v_add_f64_e32 v[160:161], v[160:161], v[162:163]
	ds_load_b128 v[4:7], v2 offset:1856
	ds_load_b128 v[156:159], v2 offset:1872
	s_wait_loadcnt_dscnt 0x501
	v_mul_f64_e32 v[162:163], v[4:5], v[178:179]
	v_mul_f64_e32 v[178:179], v[6:7], v[178:179]
	s_wait_loadcnt_dscnt 0x400
	v_mul_f64_e32 v[150:151], v[156:157], v[142:143]
	v_mul_f64_e32 v[142:143], v[158:159], v[142:143]
	v_add_f64_e32 v[10:11], v[172:173], v[166:167]
	v_add_f64_e32 v[148:149], v[160:161], v[174:175]
	v_fmac_f64_e32 v[162:163], v[6:7], v[176:177]
	v_fma_f64 v[160:161], v[4:5], v[176:177], -v[178:179]
	v_fmac_f64_e32 v[150:151], v[158:159], v[140:141]
	v_fma_f64 v[140:141], v[156:157], v[140:141], -v[142:143]
	v_add_f64_e32 v[166:167], v[10:11], v[8:9]
	v_add_f64_e32 v[148:149], v[148:149], v[164:165]
	ds_load_b128 v[4:7], v2 offset:1888
	ds_load_b128 v[8:11], v2 offset:1904
	;; [unrolled: 16-line block ×3, first 2 shown]
	s_wait_loadcnt_dscnt 0x101
	v_mul_f64_e32 v[2:3], v[4:5], v[154:155]
	v_mul_f64_e32 v[150:151], v[6:7], v[154:155]
	s_wait_loadcnt_dscnt 0x0
	v_mul_f64_e32 v[14:15], v[140:141], v[146:147]
	v_mul_f64_e32 v[146:147], v[142:143], v[146:147]
	v_add_f64_e32 v[10:11], v[160:161], v[158:159]
	v_add_f64_e32 v[12:13], v[148:149], v[164:165]
	v_fmac_f64_e32 v[2:3], v[6:7], v[152:153]
	v_fma_f64 v[4:5], v[4:5], v[152:153], -v[150:151]
	v_fmac_f64_e32 v[14:15], v[142:143], v[144:145]
	v_add_f64_e32 v[6:7], v[10:11], v[8:9]
	v_add_f64_e32 v[8:9], v[12:13], v[156:157]
	v_fma_f64 v[10:11], v[140:141], v[144:145], -v[146:147]
	s_delay_alu instid0(VALU_DEP_3) | instskip(NEXT) | instid1(VALU_DEP_3)
	v_add_f64_e32 v[4:5], v[6:7], v[4:5]
	v_add_f64_e32 v[2:3], v[8:9], v[2:3]
	s_delay_alu instid0(VALU_DEP_2) | instskip(NEXT) | instid1(VALU_DEP_2)
	v_add_f64_e32 v[4:5], v[4:5], v[10:11]
	v_add_f64_e32 v[6:7], v[2:3], v[14:15]
	s_delay_alu instid0(VALU_DEP_2) | instskip(NEXT) | instid1(VALU_DEP_2)
	v_add_f64_e64 v[2:3], v[180:181], -v[4:5]
	v_add_f64_e64 v[4:5], v[182:183], -v[6:7]
	scratch_store_b128 off, v[2:5], off offset:640
	s_wait_xcnt 0x0
	v_cmpx_lt_u32_e32 39, v1
	s_cbranch_execz .LBB60_313
; %bb.312:
	scratch_load_b128 v[2:5], off, s35
	v_mov_b32_e32 v6, 0
	s_delay_alu instid0(VALU_DEP_1)
	v_dual_mov_b32 v7, v6 :: v_dual_mov_b32 v8, v6
	v_mov_b32_e32 v9, v6
	scratch_store_b128 off, v[6:9], off offset:624
	s_wait_loadcnt 0x0
	ds_store_b128 v138, v[2:5]
.LBB60_313:
	s_wait_xcnt 0x0
	s_or_b32 exec_lo, exec_lo, s2
	s_wait_storecnt_dscnt 0x0
	s_barrier_signal -1
	s_barrier_wait -1
	s_clause 0x9
	scratch_load_b128 v[4:7], off, off offset:640
	scratch_load_b128 v[8:11], off, off offset:656
	;; [unrolled: 1-line block ×10, first 2 shown]
	v_mov_b32_e32 v2, 0
	s_mov_b32 s2, exec_lo
	ds_load_b128 v[168:171], v2 offset:1616
	s_clause 0x2
	scratch_load_b128 v[172:175], off, off offset:800
	scratch_load_b128 v[176:179], off, off offset:624
	scratch_load_b128 v[184:187], off, off offset:816
	s_wait_loadcnt_dscnt 0xc00
	v_mul_f64_e32 v[188:189], v[170:171], v[6:7]
	v_mul_f64_e32 v[192:193], v[168:169], v[6:7]
	ds_load_b128 v[180:183], v2 offset:1632
	v_fma_f64 v[196:197], v[168:169], v[4:5], -v[188:189]
	v_fmac_f64_e32 v[192:193], v[170:171], v[4:5]
	ds_load_b128 v[4:7], v2 offset:1648
	s_wait_loadcnt_dscnt 0xb01
	v_mul_f64_e32 v[194:195], v[180:181], v[10:11]
	v_mul_f64_e32 v[10:11], v[182:183], v[10:11]
	scratch_load_b128 v[168:171], off, off offset:832
	ds_load_b128 v[188:191], v2 offset:1664
	s_wait_loadcnt_dscnt 0xb01
	v_mul_f64_e32 v[198:199], v[4:5], v[14:15]
	v_mul_f64_e32 v[14:15], v[6:7], v[14:15]
	v_add_f64_e32 v[192:193], 0, v[192:193]
	v_fmac_f64_e32 v[194:195], v[182:183], v[8:9]
	v_fma_f64 v[180:181], v[180:181], v[8:9], -v[10:11]
	v_add_f64_e32 v[182:183], 0, v[196:197]
	scratch_load_b128 v[8:11], off, off offset:848
	v_fmac_f64_e32 v[198:199], v[6:7], v[12:13]
	v_fma_f64 v[200:201], v[4:5], v[12:13], -v[14:15]
	ds_load_b128 v[4:7], v2 offset:1680
	s_wait_loadcnt_dscnt 0xb01
	v_mul_f64_e32 v[196:197], v[188:189], v[142:143]
	v_mul_f64_e32 v[142:143], v[190:191], v[142:143]
	scratch_load_b128 v[12:15], off, off offset:864
	v_add_f64_e32 v[192:193], v[192:193], v[194:195]
	v_add_f64_e32 v[202:203], v[182:183], v[180:181]
	ds_load_b128 v[180:183], v2 offset:1696
	s_wait_loadcnt_dscnt 0xb01
	v_mul_f64_e32 v[194:195], v[4:5], v[146:147]
	v_mul_f64_e32 v[146:147], v[6:7], v[146:147]
	v_fmac_f64_e32 v[196:197], v[190:191], v[140:141]
	v_fma_f64 v[188:189], v[188:189], v[140:141], -v[142:143]
	scratch_load_b128 v[140:143], off, off offset:880
	v_add_f64_e32 v[192:193], v[192:193], v[198:199]
	v_add_f64_e32 v[190:191], v[202:203], v[200:201]
	v_fmac_f64_e32 v[194:195], v[6:7], v[144:145]
	v_fma_f64 v[200:201], v[4:5], v[144:145], -v[146:147]
	ds_load_b128 v[4:7], v2 offset:1712
	s_wait_loadcnt_dscnt 0xb01
	v_mul_f64_e32 v[198:199], v[180:181], v[150:151]
	v_mul_f64_e32 v[150:151], v[182:183], v[150:151]
	scratch_load_b128 v[144:147], off, off offset:896
	v_add_f64_e32 v[192:193], v[192:193], v[196:197]
	s_wait_loadcnt_dscnt 0xb00
	v_mul_f64_e32 v[196:197], v[4:5], v[154:155]
	v_add_f64_e32 v[202:203], v[190:191], v[188:189]
	v_mul_f64_e32 v[154:155], v[6:7], v[154:155]
	ds_load_b128 v[188:191], v2 offset:1728
	v_fmac_f64_e32 v[198:199], v[182:183], v[148:149]
	v_fma_f64 v[180:181], v[180:181], v[148:149], -v[150:151]
	scratch_load_b128 v[148:151], off, off offset:912
	v_add_f64_e32 v[192:193], v[192:193], v[194:195]
	v_fmac_f64_e32 v[196:197], v[6:7], v[152:153]
	v_add_f64_e32 v[182:183], v[202:203], v[200:201]
	v_fma_f64 v[200:201], v[4:5], v[152:153], -v[154:155]
	ds_load_b128 v[4:7], v2 offset:1744
	s_wait_loadcnt_dscnt 0xb01
	v_mul_f64_e32 v[194:195], v[188:189], v[158:159]
	v_mul_f64_e32 v[158:159], v[190:191], v[158:159]
	scratch_load_b128 v[152:155], off, off offset:928
	v_add_f64_e32 v[192:193], v[192:193], v[198:199]
	s_wait_loadcnt_dscnt 0xb00
	v_mul_f64_e32 v[198:199], v[4:5], v[162:163]
	v_add_f64_e32 v[202:203], v[182:183], v[180:181]
	v_mul_f64_e32 v[162:163], v[6:7], v[162:163]
	ds_load_b128 v[180:183], v2 offset:1760
	v_fmac_f64_e32 v[194:195], v[190:191], v[156:157]
	v_fma_f64 v[188:189], v[188:189], v[156:157], -v[158:159]
	scratch_load_b128 v[156:159], off, off offset:944
	v_add_f64_e32 v[192:193], v[192:193], v[196:197]
	v_fmac_f64_e32 v[198:199], v[6:7], v[160:161]
	v_add_f64_e32 v[190:191], v[202:203], v[200:201]
	v_fma_f64 v[200:201], v[4:5], v[160:161], -v[162:163]
	ds_load_b128 v[4:7], v2 offset:1776
	s_wait_loadcnt_dscnt 0xb01
	v_mul_f64_e32 v[196:197], v[180:181], v[166:167]
	v_mul_f64_e32 v[166:167], v[182:183], v[166:167]
	scratch_load_b128 v[160:163], off, off offset:960
	v_add_f64_e32 v[192:193], v[192:193], v[194:195]
	s_wait_loadcnt_dscnt 0xb00
	v_mul_f64_e32 v[194:195], v[4:5], v[174:175]
	v_add_f64_e32 v[202:203], v[190:191], v[188:189]
	v_mul_f64_e32 v[174:175], v[6:7], v[174:175]
	ds_load_b128 v[188:191], v2 offset:1792
	v_fmac_f64_e32 v[196:197], v[182:183], v[164:165]
	v_fma_f64 v[164:165], v[180:181], v[164:165], -v[166:167]
	s_wait_loadcnt_dscnt 0x900
	v_mul_f64_e32 v[182:183], v[188:189], v[186:187]
	v_mul_f64_e32 v[186:187], v[190:191], v[186:187]
	v_add_f64_e32 v[180:181], v[192:193], v[198:199]
	v_fmac_f64_e32 v[194:195], v[6:7], v[172:173]
	v_add_f64_e32 v[166:167], v[202:203], v[200:201]
	v_fma_f64 v[172:173], v[4:5], v[172:173], -v[174:175]
	v_fmac_f64_e32 v[182:183], v[190:191], v[184:185]
	v_fma_f64 v[184:185], v[188:189], v[184:185], -v[186:187]
	v_add_f64_e32 v[180:181], v[180:181], v[196:197]
	v_add_f64_e32 v[174:175], v[166:167], v[164:165]
	ds_load_b128 v[4:7], v2 offset:1808
	ds_load_b128 v[164:167], v2 offset:1824
	s_wait_loadcnt_dscnt 0x801
	v_mul_f64_e32 v[192:193], v[4:5], v[170:171]
	v_mul_f64_e32 v[170:171], v[6:7], v[170:171]
	v_add_f64_e32 v[172:173], v[174:175], v[172:173]
	v_add_f64_e32 v[174:175], v[180:181], v[194:195]
	s_wait_loadcnt_dscnt 0x700
	v_mul_f64_e32 v[180:181], v[164:165], v[10:11]
	v_mul_f64_e32 v[10:11], v[166:167], v[10:11]
	v_fmac_f64_e32 v[192:193], v[6:7], v[168:169]
	v_fma_f64 v[186:187], v[4:5], v[168:169], -v[170:171]
	ds_load_b128 v[4:7], v2 offset:1840
	ds_load_b128 v[168:171], v2 offset:1856
	v_add_f64_e32 v[172:173], v[172:173], v[184:185]
	v_add_f64_e32 v[174:175], v[174:175], v[182:183]
	v_fmac_f64_e32 v[180:181], v[166:167], v[8:9]
	v_fma_f64 v[8:9], v[164:165], v[8:9], -v[10:11]
	s_wait_loadcnt_dscnt 0x601
	v_mul_f64_e32 v[182:183], v[4:5], v[14:15]
	v_mul_f64_e32 v[14:15], v[6:7], v[14:15]
	s_wait_loadcnt_dscnt 0x500
	v_mul_f64_e32 v[166:167], v[168:169], v[142:143]
	v_mul_f64_e32 v[142:143], v[170:171], v[142:143]
	v_add_f64_e32 v[10:11], v[172:173], v[186:187]
	v_add_f64_e32 v[164:165], v[174:175], v[192:193]
	v_fmac_f64_e32 v[182:183], v[6:7], v[12:13]
	v_fma_f64 v[12:13], v[4:5], v[12:13], -v[14:15]
	v_fmac_f64_e32 v[166:167], v[170:171], v[140:141]
	v_fma_f64 v[140:141], v[168:169], v[140:141], -v[142:143]
	v_add_f64_e32 v[14:15], v[10:11], v[8:9]
	v_add_f64_e32 v[164:165], v[164:165], v[180:181]
	ds_load_b128 v[4:7], v2 offset:1872
	ds_load_b128 v[8:11], v2 offset:1888
	s_wait_loadcnt_dscnt 0x401
	v_mul_f64_e32 v[172:173], v[4:5], v[146:147]
	v_mul_f64_e32 v[146:147], v[6:7], v[146:147]
	s_wait_loadcnt_dscnt 0x300
	v_mul_f64_e32 v[142:143], v[8:9], v[150:151]
	v_mul_f64_e32 v[150:151], v[10:11], v[150:151]
	v_add_f64_e32 v[12:13], v[14:15], v[12:13]
	v_add_f64_e32 v[14:15], v[164:165], v[182:183]
	v_fmac_f64_e32 v[172:173], v[6:7], v[144:145]
	v_fma_f64 v[144:145], v[4:5], v[144:145], -v[146:147]
	v_fmac_f64_e32 v[142:143], v[10:11], v[148:149]
	v_fma_f64 v[8:9], v[8:9], v[148:149], -v[150:151]
	v_add_f64_e32 v[140:141], v[12:13], v[140:141]
	v_add_f64_e32 v[146:147], v[14:15], v[166:167]
	ds_load_b128 v[4:7], v2 offset:1904
	ds_load_b128 v[12:15], v2 offset:1920
	s_wait_loadcnt_dscnt 0x201
	v_mul_f64_e32 v[164:165], v[4:5], v[154:155]
	v_mul_f64_e32 v[154:155], v[6:7], v[154:155]
	v_add_f64_e32 v[10:11], v[140:141], v[144:145]
	v_add_f64_e32 v[140:141], v[146:147], v[172:173]
	s_wait_loadcnt_dscnt 0x100
	v_mul_f64_e32 v[144:145], v[12:13], v[158:159]
	v_mul_f64_e32 v[146:147], v[14:15], v[158:159]
	v_fmac_f64_e32 v[164:165], v[6:7], v[152:153]
	v_fma_f64 v[148:149], v[4:5], v[152:153], -v[154:155]
	ds_load_b128 v[4:7], v2 offset:1936
	v_add_f64_e32 v[8:9], v[10:11], v[8:9]
	v_add_f64_e32 v[10:11], v[140:141], v[142:143]
	v_fmac_f64_e32 v[144:145], v[14:15], v[156:157]
	v_fma_f64 v[12:13], v[12:13], v[156:157], -v[146:147]
	s_wait_loadcnt_dscnt 0x0
	v_mul_f64_e32 v[140:141], v[4:5], v[162:163]
	v_mul_f64_e32 v[142:143], v[6:7], v[162:163]
	v_add_f64_e32 v[8:9], v[8:9], v[148:149]
	v_add_f64_e32 v[10:11], v[10:11], v[164:165]
	s_delay_alu instid0(VALU_DEP_4) | instskip(NEXT) | instid1(VALU_DEP_4)
	v_fmac_f64_e32 v[140:141], v[6:7], v[160:161]
	v_fma_f64 v[4:5], v[4:5], v[160:161], -v[142:143]
	s_delay_alu instid0(VALU_DEP_4) | instskip(NEXT) | instid1(VALU_DEP_4)
	v_add_f64_e32 v[6:7], v[8:9], v[12:13]
	v_add_f64_e32 v[8:9], v[10:11], v[144:145]
	s_delay_alu instid0(VALU_DEP_2) | instskip(NEXT) | instid1(VALU_DEP_2)
	v_add_f64_e32 v[4:5], v[6:7], v[4:5]
	v_add_f64_e32 v[6:7], v[8:9], v[140:141]
	s_delay_alu instid0(VALU_DEP_2) | instskip(NEXT) | instid1(VALU_DEP_2)
	v_add_f64_e64 v[4:5], v[176:177], -v[4:5]
	v_add_f64_e64 v[6:7], v[178:179], -v[6:7]
	scratch_store_b128 off, v[4:7], off offset:624
	s_wait_xcnt 0x0
	v_cmpx_lt_u32_e32 38, v1
	s_cbranch_execz .LBB60_315
; %bb.314:
	scratch_load_b128 v[6:9], off, s38
	v_dual_mov_b32 v3, v2 :: v_dual_mov_b32 v4, v2
	v_mov_b32_e32 v5, v2
	scratch_store_b128 off, v[2:5], off offset:608
	s_wait_loadcnt 0x0
	ds_store_b128 v138, v[6:9]
.LBB60_315:
	s_wait_xcnt 0x0
	s_or_b32 exec_lo, exec_lo, s2
	s_wait_storecnt_dscnt 0x0
	s_barrier_signal -1
	s_barrier_wait -1
	s_clause 0x9
	scratch_load_b128 v[4:7], off, off offset:624
	scratch_load_b128 v[8:11], off, off offset:640
	;; [unrolled: 1-line block ×10, first 2 shown]
	ds_load_b128 v[168:171], v2 offset:1600
	ds_load_b128 v[176:179], v2 offset:1616
	s_clause 0x2
	scratch_load_b128 v[172:175], off, off offset:784
	scratch_load_b128 v[180:183], off, off offset:608
	scratch_load_b128 v[184:187], off, off offset:800
	s_mov_b32 s2, exec_lo
	s_wait_loadcnt_dscnt 0xc01
	v_mul_f64_e32 v[188:189], v[170:171], v[6:7]
	v_mul_f64_e32 v[192:193], v[168:169], v[6:7]
	s_wait_loadcnt_dscnt 0xb00
	v_mul_f64_e32 v[194:195], v[176:177], v[10:11]
	v_mul_f64_e32 v[10:11], v[178:179], v[10:11]
	s_delay_alu instid0(VALU_DEP_4) | instskip(NEXT) | instid1(VALU_DEP_4)
	v_fma_f64 v[196:197], v[168:169], v[4:5], -v[188:189]
	v_fmac_f64_e32 v[192:193], v[170:171], v[4:5]
	ds_load_b128 v[4:7], v2 offset:1632
	ds_load_b128 v[168:171], v2 offset:1648
	scratch_load_b128 v[188:191], off, off offset:816
	v_fmac_f64_e32 v[194:195], v[178:179], v[8:9]
	v_fma_f64 v[176:177], v[176:177], v[8:9], -v[10:11]
	scratch_load_b128 v[8:11], off, off offset:832
	s_wait_loadcnt_dscnt 0xc01
	v_mul_f64_e32 v[198:199], v[4:5], v[14:15]
	v_mul_f64_e32 v[14:15], v[6:7], v[14:15]
	v_add_f64_e32 v[178:179], 0, v[196:197]
	v_add_f64_e32 v[192:193], 0, v[192:193]
	s_wait_loadcnt_dscnt 0xb00
	v_mul_f64_e32 v[196:197], v[168:169], v[142:143]
	v_mul_f64_e32 v[142:143], v[170:171], v[142:143]
	v_fmac_f64_e32 v[198:199], v[6:7], v[12:13]
	v_fma_f64 v[200:201], v[4:5], v[12:13], -v[14:15]
	ds_load_b128 v[4:7], v2 offset:1664
	ds_load_b128 v[12:15], v2 offset:1680
	v_add_f64_e32 v[202:203], v[178:179], v[176:177]
	v_add_f64_e32 v[192:193], v[192:193], v[194:195]
	scratch_load_b128 v[176:179], off, off offset:848
	v_fmac_f64_e32 v[196:197], v[170:171], v[140:141]
	v_fma_f64 v[168:169], v[168:169], v[140:141], -v[142:143]
	scratch_load_b128 v[140:143], off, off offset:864
	s_wait_loadcnt_dscnt 0xc01
	v_mul_f64_e32 v[194:195], v[4:5], v[146:147]
	v_mul_f64_e32 v[146:147], v[6:7], v[146:147]
	v_add_f64_e32 v[170:171], v[202:203], v[200:201]
	v_add_f64_e32 v[192:193], v[192:193], v[198:199]
	s_wait_loadcnt_dscnt 0xb00
	v_mul_f64_e32 v[198:199], v[12:13], v[150:151]
	v_mul_f64_e32 v[150:151], v[14:15], v[150:151]
	v_fmac_f64_e32 v[194:195], v[6:7], v[144:145]
	v_fma_f64 v[200:201], v[4:5], v[144:145], -v[146:147]
	ds_load_b128 v[4:7], v2 offset:1696
	ds_load_b128 v[144:147], v2 offset:1712
	v_add_f64_e32 v[202:203], v[170:171], v[168:169]
	v_add_f64_e32 v[192:193], v[192:193], v[196:197]
	scratch_load_b128 v[168:171], off, off offset:880
	s_wait_loadcnt_dscnt 0xb01
	v_mul_f64_e32 v[196:197], v[4:5], v[154:155]
	v_mul_f64_e32 v[154:155], v[6:7], v[154:155]
	v_fmac_f64_e32 v[198:199], v[14:15], v[148:149]
	v_fma_f64 v[148:149], v[12:13], v[148:149], -v[150:151]
	scratch_load_b128 v[12:15], off, off offset:896
	v_add_f64_e32 v[150:151], v[202:203], v[200:201]
	v_add_f64_e32 v[192:193], v[192:193], v[194:195]
	s_wait_loadcnt_dscnt 0xb00
	v_mul_f64_e32 v[194:195], v[144:145], v[158:159]
	v_mul_f64_e32 v[158:159], v[146:147], v[158:159]
	v_fmac_f64_e32 v[196:197], v[6:7], v[152:153]
	v_fma_f64 v[200:201], v[4:5], v[152:153], -v[154:155]
	v_add_f64_e32 v[202:203], v[150:151], v[148:149]
	v_add_f64_e32 v[192:193], v[192:193], v[198:199]
	ds_load_b128 v[4:7], v2 offset:1728
	ds_load_b128 v[148:151], v2 offset:1744
	scratch_load_b128 v[152:155], off, off offset:912
	v_fmac_f64_e32 v[194:195], v[146:147], v[156:157]
	v_fma_f64 v[156:157], v[144:145], v[156:157], -v[158:159]
	scratch_load_b128 v[144:147], off, off offset:928
	s_wait_loadcnt_dscnt 0xc01
	v_mul_f64_e32 v[198:199], v[4:5], v[162:163]
	v_mul_f64_e32 v[162:163], v[6:7], v[162:163]
	v_add_f64_e32 v[158:159], v[202:203], v[200:201]
	v_add_f64_e32 v[192:193], v[192:193], v[196:197]
	s_wait_loadcnt_dscnt 0xb00
	v_mul_f64_e32 v[196:197], v[148:149], v[166:167]
	v_mul_f64_e32 v[166:167], v[150:151], v[166:167]
	v_fmac_f64_e32 v[198:199], v[6:7], v[160:161]
	v_fma_f64 v[200:201], v[4:5], v[160:161], -v[162:163]
	v_add_f64_e32 v[202:203], v[158:159], v[156:157]
	v_add_f64_e32 v[192:193], v[192:193], v[194:195]
	ds_load_b128 v[4:7], v2 offset:1760
	ds_load_b128 v[156:159], v2 offset:1776
	scratch_load_b128 v[160:163], off, off offset:944
	v_fmac_f64_e32 v[196:197], v[150:151], v[164:165]
	v_fma_f64 v[164:165], v[148:149], v[164:165], -v[166:167]
	scratch_load_b128 v[148:151], off, off offset:960
	s_wait_loadcnt_dscnt 0xc01
	v_mul_f64_e32 v[194:195], v[4:5], v[174:175]
	v_mul_f64_e32 v[174:175], v[6:7], v[174:175]
	v_add_f64_e32 v[166:167], v[202:203], v[200:201]
	v_add_f64_e32 v[192:193], v[192:193], v[198:199]
	s_wait_loadcnt_dscnt 0xa00
	v_mul_f64_e32 v[198:199], v[156:157], v[186:187]
	v_mul_f64_e32 v[186:187], v[158:159], v[186:187]
	v_fmac_f64_e32 v[194:195], v[6:7], v[172:173]
	v_fma_f64 v[172:173], v[4:5], v[172:173], -v[174:175]
	v_add_f64_e32 v[174:175], v[166:167], v[164:165]
	v_add_f64_e32 v[192:193], v[192:193], v[196:197]
	ds_load_b128 v[4:7], v2 offset:1792
	ds_load_b128 v[164:167], v2 offset:1808
	v_fmac_f64_e32 v[198:199], v[158:159], v[184:185]
	v_fma_f64 v[156:157], v[156:157], v[184:185], -v[186:187]
	s_wait_loadcnt_dscnt 0x901
	v_mul_f64_e32 v[196:197], v[4:5], v[190:191]
	v_mul_f64_e32 v[190:191], v[6:7], v[190:191]
	v_add_f64_e32 v[158:159], v[174:175], v[172:173]
	v_add_f64_e32 v[172:173], v[192:193], v[194:195]
	s_wait_loadcnt_dscnt 0x800
	v_mul_f64_e32 v[174:175], v[164:165], v[10:11]
	v_mul_f64_e32 v[10:11], v[166:167], v[10:11]
	v_fmac_f64_e32 v[196:197], v[6:7], v[188:189]
	v_fma_f64 v[184:185], v[4:5], v[188:189], -v[190:191]
	v_add_f64_e32 v[186:187], v[158:159], v[156:157]
	v_add_f64_e32 v[172:173], v[172:173], v[198:199]
	ds_load_b128 v[4:7], v2 offset:1824
	ds_load_b128 v[156:159], v2 offset:1840
	v_fmac_f64_e32 v[174:175], v[166:167], v[8:9]
	v_fma_f64 v[8:9], v[164:165], v[8:9], -v[10:11]
	s_wait_loadcnt_dscnt 0x701
	v_mul_f64_e32 v[188:189], v[4:5], v[178:179]
	v_mul_f64_e32 v[178:179], v[6:7], v[178:179]
	s_wait_loadcnt_dscnt 0x600
	v_mul_f64_e32 v[166:167], v[156:157], v[142:143]
	v_mul_f64_e32 v[142:143], v[158:159], v[142:143]
	v_add_f64_e32 v[10:11], v[186:187], v[184:185]
	v_add_f64_e32 v[164:165], v[172:173], v[196:197]
	v_fmac_f64_e32 v[188:189], v[6:7], v[176:177]
	v_fma_f64 v[172:173], v[4:5], v[176:177], -v[178:179]
	v_fmac_f64_e32 v[166:167], v[158:159], v[140:141]
	v_fma_f64 v[140:141], v[156:157], v[140:141], -v[142:143]
	v_add_f64_e32 v[176:177], v[10:11], v[8:9]
	v_add_f64_e32 v[164:165], v[164:165], v[174:175]
	ds_load_b128 v[4:7], v2 offset:1856
	ds_load_b128 v[8:11], v2 offset:1872
	s_wait_loadcnt_dscnt 0x501
	v_mul_f64_e32 v[174:175], v[4:5], v[170:171]
	v_mul_f64_e32 v[170:171], v[6:7], v[170:171]
	s_wait_loadcnt_dscnt 0x400
	v_mul_f64_e32 v[158:159], v[8:9], v[14:15]
	v_mul_f64_e32 v[14:15], v[10:11], v[14:15]
	v_add_f64_e32 v[142:143], v[176:177], v[172:173]
	v_add_f64_e32 v[156:157], v[164:165], v[188:189]
	v_fmac_f64_e32 v[174:175], v[6:7], v[168:169]
	v_fma_f64 v[164:165], v[4:5], v[168:169], -v[170:171]
	v_fmac_f64_e32 v[158:159], v[10:11], v[12:13]
	v_fma_f64 v[8:9], v[8:9], v[12:13], -v[14:15]
	v_add_f64_e32 v[168:169], v[142:143], v[140:141]
	v_add_f64_e32 v[156:157], v[156:157], v[166:167]
	ds_load_b128 v[4:7], v2 offset:1888
	ds_load_b128 v[140:143], v2 offset:1904
	;; [unrolled: 16-line block ×3, first 2 shown]
	s_wait_loadcnt_dscnt 0x101
	v_mul_f64_e32 v[2:3], v[4:5], v[162:163]
	v_mul_f64_e32 v[156:157], v[6:7], v[162:163]
	s_wait_loadcnt_dscnt 0x0
	v_mul_f64_e32 v[144:145], v[8:9], v[150:151]
	v_mul_f64_e32 v[146:147], v[10:11], v[150:151]
	v_add_f64_e32 v[142:143], v[154:155], v[152:153]
	v_add_f64_e32 v[12:13], v[12:13], v[166:167]
	v_fmac_f64_e32 v[2:3], v[6:7], v[160:161]
	v_fma_f64 v[4:5], v[4:5], v[160:161], -v[156:157]
	v_fmac_f64_e32 v[144:145], v[10:11], v[148:149]
	v_fma_f64 v[8:9], v[8:9], v[148:149], -v[146:147]
	v_add_f64_e32 v[6:7], v[142:143], v[140:141]
	v_add_f64_e32 v[12:13], v[12:13], v[14:15]
	s_delay_alu instid0(VALU_DEP_2) | instskip(NEXT) | instid1(VALU_DEP_2)
	v_add_f64_e32 v[4:5], v[6:7], v[4:5]
	v_add_f64_e32 v[2:3], v[12:13], v[2:3]
	s_delay_alu instid0(VALU_DEP_2) | instskip(NEXT) | instid1(VALU_DEP_2)
	;; [unrolled: 3-line block ×3, first 2 shown]
	v_add_f64_e64 v[2:3], v[180:181], -v[4:5]
	v_add_f64_e64 v[4:5], v[182:183], -v[6:7]
	scratch_store_b128 off, v[2:5], off offset:608
	s_wait_xcnt 0x0
	v_cmpx_lt_u32_e32 37, v1
	s_cbranch_execz .LBB60_317
; %bb.316:
	scratch_load_b128 v[2:5], off, s37
	v_mov_b32_e32 v6, 0
	s_delay_alu instid0(VALU_DEP_1)
	v_dual_mov_b32 v7, v6 :: v_dual_mov_b32 v8, v6
	v_mov_b32_e32 v9, v6
	scratch_store_b128 off, v[6:9], off offset:592
	s_wait_loadcnt 0x0
	ds_store_b128 v138, v[2:5]
.LBB60_317:
	s_wait_xcnt 0x0
	s_or_b32 exec_lo, exec_lo, s2
	s_wait_storecnt_dscnt 0x0
	s_barrier_signal -1
	s_barrier_wait -1
	s_clause 0x9
	scratch_load_b128 v[4:7], off, off offset:608
	scratch_load_b128 v[8:11], off, off offset:624
	;; [unrolled: 1-line block ×10, first 2 shown]
	v_mov_b32_e32 v2, 0
	s_mov_b32 s2, exec_lo
	ds_load_b128 v[168:171], v2 offset:1584
	s_clause 0x2
	scratch_load_b128 v[172:175], off, off offset:768
	scratch_load_b128 v[176:179], off, off offset:592
	;; [unrolled: 1-line block ×3, first 2 shown]
	s_wait_loadcnt_dscnt 0xc00
	v_mul_f64_e32 v[188:189], v[170:171], v[6:7]
	v_mul_f64_e32 v[192:193], v[168:169], v[6:7]
	ds_load_b128 v[180:183], v2 offset:1600
	v_fma_f64 v[196:197], v[168:169], v[4:5], -v[188:189]
	v_fmac_f64_e32 v[192:193], v[170:171], v[4:5]
	ds_load_b128 v[4:7], v2 offset:1616
	s_wait_loadcnt_dscnt 0xb01
	v_mul_f64_e32 v[194:195], v[180:181], v[10:11]
	v_mul_f64_e32 v[10:11], v[182:183], v[10:11]
	scratch_load_b128 v[168:171], off, off offset:800
	ds_load_b128 v[188:191], v2 offset:1632
	s_wait_loadcnt_dscnt 0xb01
	v_mul_f64_e32 v[198:199], v[4:5], v[14:15]
	v_mul_f64_e32 v[14:15], v[6:7], v[14:15]
	v_add_f64_e32 v[192:193], 0, v[192:193]
	v_fmac_f64_e32 v[194:195], v[182:183], v[8:9]
	v_fma_f64 v[180:181], v[180:181], v[8:9], -v[10:11]
	v_add_f64_e32 v[182:183], 0, v[196:197]
	scratch_load_b128 v[8:11], off, off offset:816
	v_fmac_f64_e32 v[198:199], v[6:7], v[12:13]
	v_fma_f64 v[200:201], v[4:5], v[12:13], -v[14:15]
	ds_load_b128 v[4:7], v2 offset:1648
	s_wait_loadcnt_dscnt 0xb01
	v_mul_f64_e32 v[196:197], v[188:189], v[142:143]
	v_mul_f64_e32 v[142:143], v[190:191], v[142:143]
	scratch_load_b128 v[12:15], off, off offset:832
	v_add_f64_e32 v[192:193], v[192:193], v[194:195]
	v_add_f64_e32 v[202:203], v[182:183], v[180:181]
	ds_load_b128 v[180:183], v2 offset:1664
	s_wait_loadcnt_dscnt 0xb01
	v_mul_f64_e32 v[194:195], v[4:5], v[146:147]
	v_mul_f64_e32 v[146:147], v[6:7], v[146:147]
	v_fmac_f64_e32 v[196:197], v[190:191], v[140:141]
	v_fma_f64 v[188:189], v[188:189], v[140:141], -v[142:143]
	scratch_load_b128 v[140:143], off, off offset:848
	v_add_f64_e32 v[192:193], v[192:193], v[198:199]
	v_add_f64_e32 v[190:191], v[202:203], v[200:201]
	v_fmac_f64_e32 v[194:195], v[6:7], v[144:145]
	v_fma_f64 v[200:201], v[4:5], v[144:145], -v[146:147]
	ds_load_b128 v[4:7], v2 offset:1680
	s_wait_loadcnt_dscnt 0xb01
	v_mul_f64_e32 v[198:199], v[180:181], v[150:151]
	v_mul_f64_e32 v[150:151], v[182:183], v[150:151]
	scratch_load_b128 v[144:147], off, off offset:864
	v_add_f64_e32 v[192:193], v[192:193], v[196:197]
	s_wait_loadcnt_dscnt 0xb00
	v_mul_f64_e32 v[196:197], v[4:5], v[154:155]
	v_add_f64_e32 v[202:203], v[190:191], v[188:189]
	v_mul_f64_e32 v[154:155], v[6:7], v[154:155]
	ds_load_b128 v[188:191], v2 offset:1696
	v_fmac_f64_e32 v[198:199], v[182:183], v[148:149]
	v_fma_f64 v[180:181], v[180:181], v[148:149], -v[150:151]
	scratch_load_b128 v[148:151], off, off offset:880
	v_add_f64_e32 v[192:193], v[192:193], v[194:195]
	v_fmac_f64_e32 v[196:197], v[6:7], v[152:153]
	v_add_f64_e32 v[182:183], v[202:203], v[200:201]
	v_fma_f64 v[200:201], v[4:5], v[152:153], -v[154:155]
	ds_load_b128 v[4:7], v2 offset:1712
	s_wait_loadcnt_dscnt 0xb01
	v_mul_f64_e32 v[194:195], v[188:189], v[158:159]
	v_mul_f64_e32 v[158:159], v[190:191], v[158:159]
	scratch_load_b128 v[152:155], off, off offset:896
	v_add_f64_e32 v[192:193], v[192:193], v[198:199]
	s_wait_loadcnt_dscnt 0xb00
	v_mul_f64_e32 v[198:199], v[4:5], v[162:163]
	v_add_f64_e32 v[202:203], v[182:183], v[180:181]
	v_mul_f64_e32 v[162:163], v[6:7], v[162:163]
	ds_load_b128 v[180:183], v2 offset:1728
	v_fmac_f64_e32 v[194:195], v[190:191], v[156:157]
	v_fma_f64 v[188:189], v[188:189], v[156:157], -v[158:159]
	scratch_load_b128 v[156:159], off, off offset:912
	v_add_f64_e32 v[192:193], v[192:193], v[196:197]
	v_fmac_f64_e32 v[198:199], v[6:7], v[160:161]
	v_add_f64_e32 v[190:191], v[202:203], v[200:201]
	;; [unrolled: 18-line block ×3, first 2 shown]
	v_fma_f64 v[200:201], v[4:5], v[172:173], -v[174:175]
	ds_load_b128 v[4:7], v2 offset:1776
	s_wait_loadcnt_dscnt 0xa01
	v_mul_f64_e32 v[198:199], v[188:189], v[186:187]
	v_mul_f64_e32 v[186:187], v[190:191], v[186:187]
	scratch_load_b128 v[172:175], off, off offset:960
	v_add_f64_e32 v[192:193], v[192:193], v[196:197]
	v_add_f64_e32 v[202:203], v[182:183], v[180:181]
	s_wait_loadcnt_dscnt 0xa00
	v_mul_f64_e32 v[196:197], v[4:5], v[170:171]
	v_mul_f64_e32 v[170:171], v[6:7], v[170:171]
	v_fmac_f64_e32 v[198:199], v[190:191], v[184:185]
	v_fma_f64 v[184:185], v[188:189], v[184:185], -v[186:187]
	ds_load_b128 v[180:183], v2 offset:1792
	v_add_f64_e32 v[188:189], v[192:193], v[194:195]
	v_add_f64_e32 v[186:187], v[202:203], v[200:201]
	s_wait_loadcnt_dscnt 0x900
	v_mul_f64_e32 v[190:191], v[180:181], v[10:11]
	v_mul_f64_e32 v[10:11], v[182:183], v[10:11]
	v_fmac_f64_e32 v[196:197], v[6:7], v[168:169]
	v_fma_f64 v[192:193], v[4:5], v[168:169], -v[170:171]
	ds_load_b128 v[4:7], v2 offset:1808
	ds_load_b128 v[168:171], v2 offset:1824
	v_add_f64_e32 v[184:185], v[186:187], v[184:185]
	v_add_f64_e32 v[186:187], v[188:189], v[198:199]
	s_wait_loadcnt_dscnt 0x801
	v_mul_f64_e32 v[188:189], v[4:5], v[14:15]
	v_mul_f64_e32 v[14:15], v[6:7], v[14:15]
	v_fmac_f64_e32 v[190:191], v[182:183], v[8:9]
	v_fma_f64 v[8:9], v[180:181], v[8:9], -v[10:11]
	s_wait_loadcnt_dscnt 0x700
	v_mul_f64_e32 v[182:183], v[168:169], v[142:143]
	v_mul_f64_e32 v[142:143], v[170:171], v[142:143]
	v_add_f64_e32 v[10:11], v[184:185], v[192:193]
	v_add_f64_e32 v[180:181], v[186:187], v[196:197]
	v_fmac_f64_e32 v[188:189], v[6:7], v[12:13]
	v_fma_f64 v[12:13], v[4:5], v[12:13], -v[14:15]
	v_fmac_f64_e32 v[182:183], v[170:171], v[140:141]
	v_fma_f64 v[140:141], v[168:169], v[140:141], -v[142:143]
	v_add_f64_e32 v[14:15], v[10:11], v[8:9]
	v_add_f64_e32 v[180:181], v[180:181], v[190:191]
	ds_load_b128 v[4:7], v2 offset:1840
	ds_load_b128 v[8:11], v2 offset:1856
	s_wait_loadcnt_dscnt 0x601
	v_mul_f64_e32 v[184:185], v[4:5], v[146:147]
	v_mul_f64_e32 v[146:147], v[6:7], v[146:147]
	s_wait_loadcnt_dscnt 0x500
	v_mul_f64_e32 v[142:143], v[8:9], v[150:151]
	v_mul_f64_e32 v[150:151], v[10:11], v[150:151]
	v_add_f64_e32 v[12:13], v[14:15], v[12:13]
	v_add_f64_e32 v[14:15], v[180:181], v[188:189]
	v_fmac_f64_e32 v[184:185], v[6:7], v[144:145]
	v_fma_f64 v[144:145], v[4:5], v[144:145], -v[146:147]
	v_fmac_f64_e32 v[142:143], v[10:11], v[148:149]
	v_fma_f64 v[8:9], v[8:9], v[148:149], -v[150:151]
	v_add_f64_e32 v[140:141], v[12:13], v[140:141]
	v_add_f64_e32 v[146:147], v[14:15], v[182:183]
	ds_load_b128 v[4:7], v2 offset:1872
	ds_load_b128 v[12:15], v2 offset:1888
	s_wait_loadcnt_dscnt 0x401
	v_mul_f64_e32 v[168:169], v[4:5], v[154:155]
	v_mul_f64_e32 v[154:155], v[6:7], v[154:155]
	v_add_f64_e32 v[10:11], v[140:141], v[144:145]
	v_add_f64_e32 v[140:141], v[146:147], v[184:185]
	s_wait_loadcnt_dscnt 0x300
	v_mul_f64_e32 v[144:145], v[12:13], v[158:159]
	v_mul_f64_e32 v[146:147], v[14:15], v[158:159]
	v_fmac_f64_e32 v[168:169], v[6:7], v[152:153]
	v_fma_f64 v[148:149], v[4:5], v[152:153], -v[154:155]
	v_add_f64_e32 v[150:151], v[10:11], v[8:9]
	v_add_f64_e32 v[140:141], v[140:141], v[142:143]
	ds_load_b128 v[4:7], v2 offset:1904
	ds_load_b128 v[8:11], v2 offset:1920
	v_fmac_f64_e32 v[144:145], v[14:15], v[156:157]
	v_fma_f64 v[12:13], v[12:13], v[156:157], -v[146:147]
	s_wait_loadcnt_dscnt 0x201
	v_mul_f64_e32 v[142:143], v[4:5], v[162:163]
	v_mul_f64_e32 v[152:153], v[6:7], v[162:163]
	s_wait_loadcnt_dscnt 0x100
	v_mul_f64_e32 v[146:147], v[8:9], v[166:167]
	v_add_f64_e32 v[14:15], v[150:151], v[148:149]
	v_add_f64_e32 v[140:141], v[140:141], v[168:169]
	v_mul_f64_e32 v[148:149], v[10:11], v[166:167]
	v_fmac_f64_e32 v[142:143], v[6:7], v[160:161]
	v_fma_f64 v[150:151], v[4:5], v[160:161], -v[152:153]
	ds_load_b128 v[4:7], v2 offset:1936
	v_fmac_f64_e32 v[146:147], v[10:11], v[164:165]
	v_add_f64_e32 v[12:13], v[14:15], v[12:13]
	v_add_f64_e32 v[14:15], v[140:141], v[144:145]
	v_fma_f64 v[8:9], v[8:9], v[164:165], -v[148:149]
	s_wait_loadcnt_dscnt 0x0
	v_mul_f64_e32 v[140:141], v[4:5], v[174:175]
	v_mul_f64_e32 v[144:145], v[6:7], v[174:175]
	v_add_f64_e32 v[10:11], v[12:13], v[150:151]
	v_add_f64_e32 v[12:13], v[14:15], v[142:143]
	s_delay_alu instid0(VALU_DEP_4) | instskip(NEXT) | instid1(VALU_DEP_4)
	v_fmac_f64_e32 v[140:141], v[6:7], v[172:173]
	v_fma_f64 v[4:5], v[4:5], v[172:173], -v[144:145]
	s_delay_alu instid0(VALU_DEP_4) | instskip(NEXT) | instid1(VALU_DEP_4)
	v_add_f64_e32 v[6:7], v[10:11], v[8:9]
	v_add_f64_e32 v[8:9], v[12:13], v[146:147]
	s_delay_alu instid0(VALU_DEP_2) | instskip(NEXT) | instid1(VALU_DEP_2)
	v_add_f64_e32 v[4:5], v[6:7], v[4:5]
	v_add_f64_e32 v[6:7], v[8:9], v[140:141]
	s_delay_alu instid0(VALU_DEP_2) | instskip(NEXT) | instid1(VALU_DEP_2)
	v_add_f64_e64 v[4:5], v[176:177], -v[4:5]
	v_add_f64_e64 v[6:7], v[178:179], -v[6:7]
	scratch_store_b128 off, v[4:7], off offset:592
	s_wait_xcnt 0x0
	v_cmpx_lt_u32_e32 36, v1
	s_cbranch_execz .LBB60_319
; %bb.318:
	scratch_load_b128 v[6:9], off, s40
	v_dual_mov_b32 v3, v2 :: v_dual_mov_b32 v4, v2
	v_mov_b32_e32 v5, v2
	scratch_store_b128 off, v[2:5], off offset:576
	s_wait_loadcnt 0x0
	ds_store_b128 v138, v[6:9]
.LBB60_319:
	s_wait_xcnt 0x0
	s_or_b32 exec_lo, exec_lo, s2
	s_wait_storecnt_dscnt 0x0
	s_barrier_signal -1
	s_barrier_wait -1
	s_clause 0x9
	scratch_load_b128 v[4:7], off, off offset:592
	scratch_load_b128 v[8:11], off, off offset:608
	;; [unrolled: 1-line block ×10, first 2 shown]
	ds_load_b128 v[168:171], v2 offset:1568
	ds_load_b128 v[176:179], v2 offset:1584
	s_clause 0x2
	scratch_load_b128 v[172:175], off, off offset:752
	scratch_load_b128 v[180:183], off, off offset:576
	;; [unrolled: 1-line block ×3, first 2 shown]
	s_mov_b32 s2, exec_lo
	s_wait_loadcnt_dscnt 0xc01
	v_mul_f64_e32 v[188:189], v[170:171], v[6:7]
	v_mul_f64_e32 v[192:193], v[168:169], v[6:7]
	s_wait_loadcnt_dscnt 0xb00
	v_mul_f64_e32 v[194:195], v[176:177], v[10:11]
	v_mul_f64_e32 v[10:11], v[178:179], v[10:11]
	s_delay_alu instid0(VALU_DEP_4) | instskip(NEXT) | instid1(VALU_DEP_4)
	v_fma_f64 v[196:197], v[168:169], v[4:5], -v[188:189]
	v_fmac_f64_e32 v[192:193], v[170:171], v[4:5]
	ds_load_b128 v[4:7], v2 offset:1600
	ds_load_b128 v[168:171], v2 offset:1616
	scratch_load_b128 v[188:191], off, off offset:784
	v_fmac_f64_e32 v[194:195], v[178:179], v[8:9]
	v_fma_f64 v[176:177], v[176:177], v[8:9], -v[10:11]
	scratch_load_b128 v[8:11], off, off offset:800
	s_wait_loadcnt_dscnt 0xc01
	v_mul_f64_e32 v[198:199], v[4:5], v[14:15]
	v_mul_f64_e32 v[14:15], v[6:7], v[14:15]
	v_add_f64_e32 v[178:179], 0, v[196:197]
	v_add_f64_e32 v[192:193], 0, v[192:193]
	s_wait_loadcnt_dscnt 0xb00
	v_mul_f64_e32 v[196:197], v[168:169], v[142:143]
	v_mul_f64_e32 v[142:143], v[170:171], v[142:143]
	v_fmac_f64_e32 v[198:199], v[6:7], v[12:13]
	v_fma_f64 v[200:201], v[4:5], v[12:13], -v[14:15]
	ds_load_b128 v[4:7], v2 offset:1632
	ds_load_b128 v[12:15], v2 offset:1648
	v_add_f64_e32 v[202:203], v[178:179], v[176:177]
	v_add_f64_e32 v[192:193], v[192:193], v[194:195]
	scratch_load_b128 v[176:179], off, off offset:816
	v_fmac_f64_e32 v[196:197], v[170:171], v[140:141]
	v_fma_f64 v[168:169], v[168:169], v[140:141], -v[142:143]
	scratch_load_b128 v[140:143], off, off offset:832
	s_wait_loadcnt_dscnt 0xc01
	v_mul_f64_e32 v[194:195], v[4:5], v[146:147]
	v_mul_f64_e32 v[146:147], v[6:7], v[146:147]
	v_add_f64_e32 v[170:171], v[202:203], v[200:201]
	v_add_f64_e32 v[192:193], v[192:193], v[198:199]
	s_wait_loadcnt_dscnt 0xb00
	v_mul_f64_e32 v[198:199], v[12:13], v[150:151]
	v_mul_f64_e32 v[150:151], v[14:15], v[150:151]
	v_fmac_f64_e32 v[194:195], v[6:7], v[144:145]
	v_fma_f64 v[200:201], v[4:5], v[144:145], -v[146:147]
	ds_load_b128 v[4:7], v2 offset:1664
	ds_load_b128 v[144:147], v2 offset:1680
	v_add_f64_e32 v[202:203], v[170:171], v[168:169]
	v_add_f64_e32 v[192:193], v[192:193], v[196:197]
	scratch_load_b128 v[168:171], off, off offset:848
	s_wait_loadcnt_dscnt 0xb01
	v_mul_f64_e32 v[196:197], v[4:5], v[154:155]
	v_mul_f64_e32 v[154:155], v[6:7], v[154:155]
	v_fmac_f64_e32 v[198:199], v[14:15], v[148:149]
	v_fma_f64 v[148:149], v[12:13], v[148:149], -v[150:151]
	scratch_load_b128 v[12:15], off, off offset:864
	v_add_f64_e32 v[150:151], v[202:203], v[200:201]
	v_add_f64_e32 v[192:193], v[192:193], v[194:195]
	s_wait_loadcnt_dscnt 0xb00
	v_mul_f64_e32 v[194:195], v[144:145], v[158:159]
	v_mul_f64_e32 v[158:159], v[146:147], v[158:159]
	v_fmac_f64_e32 v[196:197], v[6:7], v[152:153]
	v_fma_f64 v[200:201], v[4:5], v[152:153], -v[154:155]
	v_add_f64_e32 v[202:203], v[150:151], v[148:149]
	v_add_f64_e32 v[192:193], v[192:193], v[198:199]
	ds_load_b128 v[4:7], v2 offset:1696
	ds_load_b128 v[148:151], v2 offset:1712
	scratch_load_b128 v[152:155], off, off offset:880
	v_fmac_f64_e32 v[194:195], v[146:147], v[156:157]
	v_fma_f64 v[156:157], v[144:145], v[156:157], -v[158:159]
	scratch_load_b128 v[144:147], off, off offset:896
	s_wait_loadcnt_dscnt 0xc01
	v_mul_f64_e32 v[198:199], v[4:5], v[162:163]
	v_mul_f64_e32 v[162:163], v[6:7], v[162:163]
	v_add_f64_e32 v[158:159], v[202:203], v[200:201]
	v_add_f64_e32 v[192:193], v[192:193], v[196:197]
	s_wait_loadcnt_dscnt 0xb00
	v_mul_f64_e32 v[196:197], v[148:149], v[166:167]
	v_mul_f64_e32 v[166:167], v[150:151], v[166:167]
	v_fmac_f64_e32 v[198:199], v[6:7], v[160:161]
	v_fma_f64 v[200:201], v[4:5], v[160:161], -v[162:163]
	v_add_f64_e32 v[202:203], v[158:159], v[156:157]
	v_add_f64_e32 v[192:193], v[192:193], v[194:195]
	ds_load_b128 v[4:7], v2 offset:1728
	ds_load_b128 v[156:159], v2 offset:1744
	scratch_load_b128 v[160:163], off, off offset:912
	v_fmac_f64_e32 v[196:197], v[150:151], v[164:165]
	v_fma_f64 v[164:165], v[148:149], v[164:165], -v[166:167]
	scratch_load_b128 v[148:151], off, off offset:928
	s_wait_loadcnt_dscnt 0xc01
	v_mul_f64_e32 v[194:195], v[4:5], v[174:175]
	v_mul_f64_e32 v[174:175], v[6:7], v[174:175]
	v_add_f64_e32 v[166:167], v[202:203], v[200:201]
	v_add_f64_e32 v[192:193], v[192:193], v[198:199]
	s_wait_loadcnt_dscnt 0xa00
	v_mul_f64_e32 v[198:199], v[156:157], v[186:187]
	v_mul_f64_e32 v[186:187], v[158:159], v[186:187]
	v_fmac_f64_e32 v[194:195], v[6:7], v[172:173]
	v_fma_f64 v[200:201], v[4:5], v[172:173], -v[174:175]
	v_add_f64_e32 v[202:203], v[166:167], v[164:165]
	v_add_f64_e32 v[192:193], v[192:193], v[196:197]
	ds_load_b128 v[4:7], v2 offset:1760
	ds_load_b128 v[164:167], v2 offset:1776
	scratch_load_b128 v[172:175], off, off offset:944
	v_fmac_f64_e32 v[198:199], v[158:159], v[184:185]
	v_fma_f64 v[184:185], v[156:157], v[184:185], -v[186:187]
	scratch_load_b128 v[156:159], off, off offset:960
	s_wait_loadcnt_dscnt 0xb01
	v_mul_f64_e32 v[196:197], v[4:5], v[190:191]
	v_mul_f64_e32 v[190:191], v[6:7], v[190:191]
	v_add_f64_e32 v[186:187], v[202:203], v[200:201]
	v_add_f64_e32 v[192:193], v[192:193], v[194:195]
	s_wait_loadcnt_dscnt 0xa00
	v_mul_f64_e32 v[194:195], v[164:165], v[10:11]
	v_mul_f64_e32 v[10:11], v[166:167], v[10:11]
	v_fmac_f64_e32 v[196:197], v[6:7], v[188:189]
	v_fma_f64 v[188:189], v[4:5], v[188:189], -v[190:191]
	v_add_f64_e32 v[190:191], v[186:187], v[184:185]
	v_add_f64_e32 v[192:193], v[192:193], v[198:199]
	ds_load_b128 v[4:7], v2 offset:1792
	ds_load_b128 v[184:187], v2 offset:1808
	v_fmac_f64_e32 v[194:195], v[166:167], v[8:9]
	v_fma_f64 v[8:9], v[164:165], v[8:9], -v[10:11]
	s_wait_loadcnt_dscnt 0x901
	v_mul_f64_e32 v[198:199], v[4:5], v[178:179]
	v_mul_f64_e32 v[178:179], v[6:7], v[178:179]
	s_wait_loadcnt_dscnt 0x800
	v_mul_f64_e32 v[166:167], v[184:185], v[142:143]
	v_mul_f64_e32 v[142:143], v[186:187], v[142:143]
	v_add_f64_e32 v[10:11], v[190:191], v[188:189]
	v_add_f64_e32 v[164:165], v[192:193], v[196:197]
	v_fmac_f64_e32 v[198:199], v[6:7], v[176:177]
	v_fma_f64 v[176:177], v[4:5], v[176:177], -v[178:179]
	v_fmac_f64_e32 v[166:167], v[186:187], v[140:141]
	v_fma_f64 v[140:141], v[184:185], v[140:141], -v[142:143]
	v_add_f64_e32 v[178:179], v[10:11], v[8:9]
	v_add_f64_e32 v[164:165], v[164:165], v[194:195]
	ds_load_b128 v[4:7], v2 offset:1824
	ds_load_b128 v[8:11], v2 offset:1840
	s_wait_loadcnt_dscnt 0x701
	v_mul_f64_e32 v[188:189], v[4:5], v[170:171]
	v_mul_f64_e32 v[170:171], v[6:7], v[170:171]
	v_add_f64_e32 v[142:143], v[178:179], v[176:177]
	v_add_f64_e32 v[164:165], v[164:165], v[198:199]
	s_wait_loadcnt_dscnt 0x600
	v_mul_f64_e32 v[176:177], v[8:9], v[14:15]
	v_mul_f64_e32 v[14:15], v[10:11], v[14:15]
	v_fmac_f64_e32 v[188:189], v[6:7], v[168:169]
	v_fma_f64 v[168:169], v[4:5], v[168:169], -v[170:171]
	v_add_f64_e32 v[170:171], v[142:143], v[140:141]
	v_add_f64_e32 v[164:165], v[164:165], v[166:167]
	ds_load_b128 v[4:7], v2 offset:1856
	ds_load_b128 v[140:143], v2 offset:1872
	v_fmac_f64_e32 v[176:177], v[10:11], v[12:13]
	v_fma_f64 v[8:9], v[8:9], v[12:13], -v[14:15]
	s_wait_loadcnt_dscnt 0x501
	v_mul_f64_e32 v[166:167], v[4:5], v[154:155]
	v_mul_f64_e32 v[154:155], v[6:7], v[154:155]
	s_wait_loadcnt_dscnt 0x400
	v_mul_f64_e32 v[14:15], v[140:141], v[146:147]
	v_mul_f64_e32 v[146:147], v[142:143], v[146:147]
	v_add_f64_e32 v[10:11], v[170:171], v[168:169]
	v_add_f64_e32 v[12:13], v[164:165], v[188:189]
	v_fmac_f64_e32 v[166:167], v[6:7], v[152:153]
	v_fma_f64 v[152:153], v[4:5], v[152:153], -v[154:155]
	v_fmac_f64_e32 v[14:15], v[142:143], v[144:145]
	v_fma_f64 v[140:141], v[140:141], v[144:145], -v[146:147]
	v_add_f64_e32 v[154:155], v[10:11], v[8:9]
	v_add_f64_e32 v[12:13], v[12:13], v[176:177]
	ds_load_b128 v[4:7], v2 offset:1888
	ds_load_b128 v[8:11], v2 offset:1904
	s_wait_loadcnt_dscnt 0x301
	v_mul_f64_e32 v[164:165], v[4:5], v[162:163]
	v_mul_f64_e32 v[162:163], v[6:7], v[162:163]
	s_wait_loadcnt_dscnt 0x200
	v_mul_f64_e32 v[144:145], v[8:9], v[150:151]
	v_mul_f64_e32 v[146:147], v[10:11], v[150:151]
	v_add_f64_e32 v[142:143], v[154:155], v[152:153]
	v_add_f64_e32 v[12:13], v[12:13], v[166:167]
	v_fmac_f64_e32 v[164:165], v[6:7], v[160:161]
	v_fma_f64 v[150:151], v[4:5], v[160:161], -v[162:163]
	v_fmac_f64_e32 v[144:145], v[10:11], v[148:149]
	v_fma_f64 v[8:9], v[8:9], v[148:149], -v[146:147]
	v_add_f64_e32 v[140:141], v[142:143], v[140:141]
	v_add_f64_e32 v[142:143], v[12:13], v[14:15]
	ds_load_b128 v[4:7], v2 offset:1920
	ds_load_b128 v[12:15], v2 offset:1936
	s_wait_loadcnt_dscnt 0x101
	v_mul_f64_e32 v[2:3], v[4:5], v[174:175]
	v_mul_f64_e32 v[152:153], v[6:7], v[174:175]
	s_wait_loadcnt_dscnt 0x0
	v_mul_f64_e32 v[146:147], v[14:15], v[158:159]
	v_add_f64_e32 v[10:11], v[140:141], v[150:151]
	v_add_f64_e32 v[140:141], v[142:143], v[164:165]
	v_mul_f64_e32 v[142:143], v[12:13], v[158:159]
	v_fmac_f64_e32 v[2:3], v[6:7], v[172:173]
	v_fma_f64 v[4:5], v[4:5], v[172:173], -v[152:153]
	v_add_f64_e32 v[6:7], v[10:11], v[8:9]
	v_add_f64_e32 v[8:9], v[140:141], v[144:145]
	v_fmac_f64_e32 v[142:143], v[14:15], v[156:157]
	v_fma_f64 v[10:11], v[12:13], v[156:157], -v[146:147]
	s_delay_alu instid0(VALU_DEP_4) | instskip(NEXT) | instid1(VALU_DEP_4)
	v_add_f64_e32 v[4:5], v[6:7], v[4:5]
	v_add_f64_e32 v[2:3], v[8:9], v[2:3]
	s_delay_alu instid0(VALU_DEP_2) | instskip(NEXT) | instid1(VALU_DEP_2)
	v_add_f64_e32 v[4:5], v[4:5], v[10:11]
	v_add_f64_e32 v[6:7], v[2:3], v[142:143]
	s_delay_alu instid0(VALU_DEP_2) | instskip(NEXT) | instid1(VALU_DEP_2)
	v_add_f64_e64 v[2:3], v[180:181], -v[4:5]
	v_add_f64_e64 v[4:5], v[182:183], -v[6:7]
	scratch_store_b128 off, v[2:5], off offset:576
	s_wait_xcnt 0x0
	v_cmpx_lt_u32_e32 35, v1
	s_cbranch_execz .LBB60_321
; %bb.320:
	scratch_load_b128 v[2:5], off, s39
	v_mov_b32_e32 v6, 0
	s_delay_alu instid0(VALU_DEP_1)
	v_dual_mov_b32 v7, v6 :: v_dual_mov_b32 v8, v6
	v_mov_b32_e32 v9, v6
	scratch_store_b128 off, v[6:9], off offset:560
	s_wait_loadcnt 0x0
	ds_store_b128 v138, v[2:5]
.LBB60_321:
	s_wait_xcnt 0x0
	s_or_b32 exec_lo, exec_lo, s2
	s_wait_storecnt_dscnt 0x0
	s_barrier_signal -1
	s_barrier_wait -1
	s_clause 0x9
	scratch_load_b128 v[4:7], off, off offset:576
	scratch_load_b128 v[8:11], off, off offset:592
	;; [unrolled: 1-line block ×10, first 2 shown]
	v_mov_b32_e32 v2, 0
	s_mov_b32 s2, exec_lo
	ds_load_b128 v[168:171], v2 offset:1552
	s_clause 0x2
	scratch_load_b128 v[172:175], off, off offset:736
	scratch_load_b128 v[176:179], off, off offset:560
	;; [unrolled: 1-line block ×3, first 2 shown]
	s_wait_loadcnt_dscnt 0xc00
	v_mul_f64_e32 v[188:189], v[170:171], v[6:7]
	v_mul_f64_e32 v[192:193], v[168:169], v[6:7]
	ds_load_b128 v[180:183], v2 offset:1568
	v_fma_f64 v[196:197], v[168:169], v[4:5], -v[188:189]
	v_fmac_f64_e32 v[192:193], v[170:171], v[4:5]
	ds_load_b128 v[4:7], v2 offset:1584
	s_wait_loadcnt_dscnt 0xb01
	v_mul_f64_e32 v[194:195], v[180:181], v[10:11]
	v_mul_f64_e32 v[10:11], v[182:183], v[10:11]
	scratch_load_b128 v[168:171], off, off offset:768
	ds_load_b128 v[188:191], v2 offset:1600
	s_wait_loadcnt_dscnt 0xb01
	v_mul_f64_e32 v[198:199], v[4:5], v[14:15]
	v_mul_f64_e32 v[14:15], v[6:7], v[14:15]
	v_add_f64_e32 v[192:193], 0, v[192:193]
	v_fmac_f64_e32 v[194:195], v[182:183], v[8:9]
	v_fma_f64 v[180:181], v[180:181], v[8:9], -v[10:11]
	v_add_f64_e32 v[182:183], 0, v[196:197]
	scratch_load_b128 v[8:11], off, off offset:784
	v_fmac_f64_e32 v[198:199], v[6:7], v[12:13]
	v_fma_f64 v[200:201], v[4:5], v[12:13], -v[14:15]
	ds_load_b128 v[4:7], v2 offset:1616
	s_wait_loadcnt_dscnt 0xb01
	v_mul_f64_e32 v[196:197], v[188:189], v[142:143]
	v_mul_f64_e32 v[142:143], v[190:191], v[142:143]
	scratch_load_b128 v[12:15], off, off offset:800
	v_add_f64_e32 v[192:193], v[192:193], v[194:195]
	v_add_f64_e32 v[202:203], v[182:183], v[180:181]
	ds_load_b128 v[180:183], v2 offset:1632
	s_wait_loadcnt_dscnt 0xb01
	v_mul_f64_e32 v[194:195], v[4:5], v[146:147]
	v_mul_f64_e32 v[146:147], v[6:7], v[146:147]
	v_fmac_f64_e32 v[196:197], v[190:191], v[140:141]
	v_fma_f64 v[188:189], v[188:189], v[140:141], -v[142:143]
	scratch_load_b128 v[140:143], off, off offset:816
	v_add_f64_e32 v[192:193], v[192:193], v[198:199]
	v_add_f64_e32 v[190:191], v[202:203], v[200:201]
	v_fmac_f64_e32 v[194:195], v[6:7], v[144:145]
	v_fma_f64 v[200:201], v[4:5], v[144:145], -v[146:147]
	ds_load_b128 v[4:7], v2 offset:1648
	s_wait_loadcnt_dscnt 0xb01
	v_mul_f64_e32 v[198:199], v[180:181], v[150:151]
	v_mul_f64_e32 v[150:151], v[182:183], v[150:151]
	scratch_load_b128 v[144:147], off, off offset:832
	v_add_f64_e32 v[192:193], v[192:193], v[196:197]
	s_wait_loadcnt_dscnt 0xb00
	v_mul_f64_e32 v[196:197], v[4:5], v[154:155]
	v_add_f64_e32 v[202:203], v[190:191], v[188:189]
	v_mul_f64_e32 v[154:155], v[6:7], v[154:155]
	ds_load_b128 v[188:191], v2 offset:1664
	v_fmac_f64_e32 v[198:199], v[182:183], v[148:149]
	v_fma_f64 v[180:181], v[180:181], v[148:149], -v[150:151]
	scratch_load_b128 v[148:151], off, off offset:848
	v_add_f64_e32 v[192:193], v[192:193], v[194:195]
	v_fmac_f64_e32 v[196:197], v[6:7], v[152:153]
	v_add_f64_e32 v[182:183], v[202:203], v[200:201]
	v_fma_f64 v[200:201], v[4:5], v[152:153], -v[154:155]
	ds_load_b128 v[4:7], v2 offset:1680
	s_wait_loadcnt_dscnt 0xb01
	v_mul_f64_e32 v[194:195], v[188:189], v[158:159]
	v_mul_f64_e32 v[158:159], v[190:191], v[158:159]
	scratch_load_b128 v[152:155], off, off offset:864
	v_add_f64_e32 v[192:193], v[192:193], v[198:199]
	s_wait_loadcnt_dscnt 0xb00
	v_mul_f64_e32 v[198:199], v[4:5], v[162:163]
	v_add_f64_e32 v[202:203], v[182:183], v[180:181]
	v_mul_f64_e32 v[162:163], v[6:7], v[162:163]
	ds_load_b128 v[180:183], v2 offset:1696
	v_fmac_f64_e32 v[194:195], v[190:191], v[156:157]
	v_fma_f64 v[188:189], v[188:189], v[156:157], -v[158:159]
	scratch_load_b128 v[156:159], off, off offset:880
	v_add_f64_e32 v[192:193], v[192:193], v[196:197]
	v_fmac_f64_e32 v[198:199], v[6:7], v[160:161]
	v_add_f64_e32 v[190:191], v[202:203], v[200:201]
	v_fma_f64 v[200:201], v[4:5], v[160:161], -v[162:163]
	ds_load_b128 v[4:7], v2 offset:1712
	s_wait_loadcnt_dscnt 0xb01
	v_mul_f64_e32 v[196:197], v[180:181], v[166:167]
	v_mul_f64_e32 v[166:167], v[182:183], v[166:167]
	scratch_load_b128 v[160:163], off, off offset:896
	v_add_f64_e32 v[192:193], v[192:193], v[194:195]
	s_wait_loadcnt_dscnt 0xb00
	v_mul_f64_e32 v[194:195], v[4:5], v[174:175]
	v_add_f64_e32 v[202:203], v[190:191], v[188:189]
	v_mul_f64_e32 v[174:175], v[6:7], v[174:175]
	ds_load_b128 v[188:191], v2 offset:1728
	v_fmac_f64_e32 v[196:197], v[182:183], v[164:165]
	v_fma_f64 v[180:181], v[180:181], v[164:165], -v[166:167]
	scratch_load_b128 v[164:167], off, off offset:912
	v_add_f64_e32 v[192:193], v[192:193], v[198:199]
	v_fmac_f64_e32 v[194:195], v[6:7], v[172:173]
	v_add_f64_e32 v[182:183], v[202:203], v[200:201]
	v_fma_f64 v[200:201], v[4:5], v[172:173], -v[174:175]
	ds_load_b128 v[4:7], v2 offset:1744
	s_wait_loadcnt_dscnt 0xa01
	v_mul_f64_e32 v[198:199], v[188:189], v[186:187]
	v_mul_f64_e32 v[186:187], v[190:191], v[186:187]
	scratch_load_b128 v[172:175], off, off offset:928
	v_add_f64_e32 v[192:193], v[192:193], v[196:197]
	v_add_f64_e32 v[202:203], v[182:183], v[180:181]
	s_wait_loadcnt_dscnt 0xa00
	v_mul_f64_e32 v[196:197], v[4:5], v[170:171]
	v_mul_f64_e32 v[170:171], v[6:7], v[170:171]
	v_fmac_f64_e32 v[198:199], v[190:191], v[184:185]
	v_fma_f64 v[188:189], v[188:189], v[184:185], -v[186:187]
	ds_load_b128 v[180:183], v2 offset:1760
	scratch_load_b128 v[184:187], off, off offset:944
	v_add_f64_e32 v[192:193], v[192:193], v[194:195]
	v_add_f64_e32 v[190:191], v[202:203], v[200:201]
	v_fmac_f64_e32 v[196:197], v[6:7], v[168:169]
	v_fma_f64 v[200:201], v[4:5], v[168:169], -v[170:171]
	ds_load_b128 v[4:7], v2 offset:1776
	s_wait_loadcnt_dscnt 0xa01
	v_mul_f64_e32 v[194:195], v[180:181], v[10:11]
	v_mul_f64_e32 v[10:11], v[182:183], v[10:11]
	scratch_load_b128 v[168:171], off, off offset:960
	v_add_f64_e32 v[192:193], v[192:193], v[198:199]
	s_wait_loadcnt_dscnt 0xa00
	v_mul_f64_e32 v[198:199], v[4:5], v[14:15]
	v_add_f64_e32 v[202:203], v[190:191], v[188:189]
	v_mul_f64_e32 v[14:15], v[6:7], v[14:15]
	ds_load_b128 v[188:191], v2 offset:1792
	v_fmac_f64_e32 v[194:195], v[182:183], v[8:9]
	v_fma_f64 v[8:9], v[180:181], v[8:9], -v[10:11]
	s_wait_loadcnt_dscnt 0x900
	v_mul_f64_e32 v[182:183], v[188:189], v[142:143]
	v_mul_f64_e32 v[142:143], v[190:191], v[142:143]
	v_add_f64_e32 v[180:181], v[192:193], v[196:197]
	v_fmac_f64_e32 v[198:199], v[6:7], v[12:13]
	v_add_f64_e32 v[10:11], v[202:203], v[200:201]
	v_fma_f64 v[12:13], v[4:5], v[12:13], -v[14:15]
	v_fmac_f64_e32 v[182:183], v[190:191], v[140:141]
	v_fma_f64 v[140:141], v[188:189], v[140:141], -v[142:143]
	v_add_f64_e32 v[180:181], v[180:181], v[194:195]
	v_add_f64_e32 v[14:15], v[10:11], v[8:9]
	ds_load_b128 v[4:7], v2 offset:1808
	ds_load_b128 v[8:11], v2 offset:1824
	s_wait_loadcnt_dscnt 0x801
	v_mul_f64_e32 v[192:193], v[4:5], v[146:147]
	v_mul_f64_e32 v[146:147], v[6:7], v[146:147]
	s_wait_loadcnt_dscnt 0x700
	v_mul_f64_e32 v[142:143], v[8:9], v[150:151]
	v_mul_f64_e32 v[150:151], v[10:11], v[150:151]
	v_add_f64_e32 v[12:13], v[14:15], v[12:13]
	v_add_f64_e32 v[14:15], v[180:181], v[198:199]
	v_fmac_f64_e32 v[192:193], v[6:7], v[144:145]
	v_fma_f64 v[144:145], v[4:5], v[144:145], -v[146:147]
	v_fmac_f64_e32 v[142:143], v[10:11], v[148:149]
	v_fma_f64 v[8:9], v[8:9], v[148:149], -v[150:151]
	v_add_f64_e32 v[140:141], v[12:13], v[140:141]
	v_add_f64_e32 v[146:147], v[14:15], v[182:183]
	ds_load_b128 v[4:7], v2 offset:1840
	ds_load_b128 v[12:15], v2 offset:1856
	s_wait_loadcnt_dscnt 0x601
	v_mul_f64_e32 v[180:181], v[4:5], v[154:155]
	v_mul_f64_e32 v[154:155], v[6:7], v[154:155]
	v_add_f64_e32 v[10:11], v[140:141], v[144:145]
	v_add_f64_e32 v[140:141], v[146:147], v[192:193]
	s_wait_loadcnt_dscnt 0x500
	v_mul_f64_e32 v[144:145], v[12:13], v[158:159]
	v_mul_f64_e32 v[146:147], v[14:15], v[158:159]
	v_fmac_f64_e32 v[180:181], v[6:7], v[152:153]
	v_fma_f64 v[148:149], v[4:5], v[152:153], -v[154:155]
	v_add_f64_e32 v[150:151], v[10:11], v[8:9]
	v_add_f64_e32 v[140:141], v[140:141], v[142:143]
	ds_load_b128 v[4:7], v2 offset:1872
	ds_load_b128 v[8:11], v2 offset:1888
	v_fmac_f64_e32 v[144:145], v[14:15], v[156:157]
	v_fma_f64 v[12:13], v[12:13], v[156:157], -v[146:147]
	s_wait_loadcnt_dscnt 0x401
	v_mul_f64_e32 v[142:143], v[4:5], v[162:163]
	v_mul_f64_e32 v[152:153], v[6:7], v[162:163]
	s_wait_loadcnt_dscnt 0x300
	v_mul_f64_e32 v[146:147], v[8:9], v[166:167]
	v_add_f64_e32 v[14:15], v[150:151], v[148:149]
	v_add_f64_e32 v[140:141], v[140:141], v[180:181]
	v_mul_f64_e32 v[148:149], v[10:11], v[166:167]
	v_fmac_f64_e32 v[142:143], v[6:7], v[160:161]
	v_fma_f64 v[150:151], v[4:5], v[160:161], -v[152:153]
	v_fmac_f64_e32 v[146:147], v[10:11], v[164:165]
	v_add_f64_e32 v[152:153], v[14:15], v[12:13]
	v_add_f64_e32 v[140:141], v[140:141], v[144:145]
	ds_load_b128 v[4:7], v2 offset:1904
	ds_load_b128 v[12:15], v2 offset:1920
	v_fma_f64 v[8:9], v[8:9], v[164:165], -v[148:149]
	s_wait_loadcnt_dscnt 0x201
	v_mul_f64_e32 v[144:145], v[4:5], v[174:175]
	v_mul_f64_e32 v[154:155], v[6:7], v[174:175]
	s_wait_loadcnt_dscnt 0x100
	v_mul_f64_e32 v[148:149], v[14:15], v[186:187]
	v_add_f64_e32 v[10:11], v[152:153], v[150:151]
	v_add_f64_e32 v[140:141], v[140:141], v[142:143]
	v_mul_f64_e32 v[142:143], v[12:13], v[186:187]
	v_fmac_f64_e32 v[144:145], v[6:7], v[172:173]
	v_fma_f64 v[150:151], v[4:5], v[172:173], -v[154:155]
	ds_load_b128 v[4:7], v2 offset:1936
	v_fma_f64 v[12:13], v[12:13], v[184:185], -v[148:149]
	v_add_f64_e32 v[8:9], v[10:11], v[8:9]
	v_add_f64_e32 v[10:11], v[140:141], v[146:147]
	v_fmac_f64_e32 v[142:143], v[14:15], v[184:185]
	s_wait_loadcnt_dscnt 0x0
	v_mul_f64_e32 v[140:141], v[4:5], v[170:171]
	v_mul_f64_e32 v[146:147], v[6:7], v[170:171]
	v_add_f64_e32 v[8:9], v[8:9], v[150:151]
	v_add_f64_e32 v[10:11], v[10:11], v[144:145]
	s_delay_alu instid0(VALU_DEP_4) | instskip(NEXT) | instid1(VALU_DEP_4)
	v_fmac_f64_e32 v[140:141], v[6:7], v[168:169]
	v_fma_f64 v[4:5], v[4:5], v[168:169], -v[146:147]
	s_delay_alu instid0(VALU_DEP_4) | instskip(NEXT) | instid1(VALU_DEP_4)
	v_add_f64_e32 v[6:7], v[8:9], v[12:13]
	v_add_f64_e32 v[8:9], v[10:11], v[142:143]
	s_delay_alu instid0(VALU_DEP_2) | instskip(NEXT) | instid1(VALU_DEP_2)
	v_add_f64_e32 v[4:5], v[6:7], v[4:5]
	v_add_f64_e32 v[6:7], v[8:9], v[140:141]
	s_delay_alu instid0(VALU_DEP_2) | instskip(NEXT) | instid1(VALU_DEP_2)
	v_add_f64_e64 v[4:5], v[176:177], -v[4:5]
	v_add_f64_e64 v[6:7], v[178:179], -v[6:7]
	scratch_store_b128 off, v[4:7], off offset:560
	s_wait_xcnt 0x0
	v_cmpx_lt_u32_e32 34, v1
	s_cbranch_execz .LBB60_323
; %bb.322:
	scratch_load_b128 v[6:9], off, s42
	v_dual_mov_b32 v3, v2 :: v_dual_mov_b32 v4, v2
	v_mov_b32_e32 v5, v2
	scratch_store_b128 off, v[2:5], off offset:544
	s_wait_loadcnt 0x0
	ds_store_b128 v138, v[6:9]
.LBB60_323:
	s_wait_xcnt 0x0
	s_or_b32 exec_lo, exec_lo, s2
	s_wait_storecnt_dscnt 0x0
	s_barrier_signal -1
	s_barrier_wait -1
	s_clause 0x9
	scratch_load_b128 v[4:7], off, off offset:560
	scratch_load_b128 v[8:11], off, off offset:576
	;; [unrolled: 1-line block ×10, first 2 shown]
	ds_load_b128 v[168:171], v2 offset:1536
	ds_load_b128 v[176:179], v2 offset:1552
	s_clause 0x2
	scratch_load_b128 v[172:175], off, off offset:720
	scratch_load_b128 v[180:183], off, off offset:544
	;; [unrolled: 1-line block ×3, first 2 shown]
	s_mov_b32 s2, exec_lo
	s_wait_loadcnt_dscnt 0xc01
	v_mul_f64_e32 v[188:189], v[170:171], v[6:7]
	v_mul_f64_e32 v[192:193], v[168:169], v[6:7]
	s_wait_loadcnt_dscnt 0xb00
	v_mul_f64_e32 v[194:195], v[176:177], v[10:11]
	v_mul_f64_e32 v[10:11], v[178:179], v[10:11]
	s_delay_alu instid0(VALU_DEP_4) | instskip(NEXT) | instid1(VALU_DEP_4)
	v_fma_f64 v[196:197], v[168:169], v[4:5], -v[188:189]
	v_fmac_f64_e32 v[192:193], v[170:171], v[4:5]
	ds_load_b128 v[4:7], v2 offset:1568
	ds_load_b128 v[168:171], v2 offset:1584
	scratch_load_b128 v[188:191], off, off offset:752
	v_fmac_f64_e32 v[194:195], v[178:179], v[8:9]
	v_fma_f64 v[176:177], v[176:177], v[8:9], -v[10:11]
	scratch_load_b128 v[8:11], off, off offset:768
	s_wait_loadcnt_dscnt 0xc01
	v_mul_f64_e32 v[198:199], v[4:5], v[14:15]
	v_mul_f64_e32 v[14:15], v[6:7], v[14:15]
	v_add_f64_e32 v[178:179], 0, v[196:197]
	v_add_f64_e32 v[192:193], 0, v[192:193]
	s_wait_loadcnt_dscnt 0xb00
	v_mul_f64_e32 v[196:197], v[168:169], v[142:143]
	v_mul_f64_e32 v[142:143], v[170:171], v[142:143]
	v_fmac_f64_e32 v[198:199], v[6:7], v[12:13]
	v_fma_f64 v[200:201], v[4:5], v[12:13], -v[14:15]
	ds_load_b128 v[4:7], v2 offset:1600
	ds_load_b128 v[12:15], v2 offset:1616
	v_add_f64_e32 v[202:203], v[178:179], v[176:177]
	v_add_f64_e32 v[192:193], v[192:193], v[194:195]
	scratch_load_b128 v[176:179], off, off offset:784
	v_fmac_f64_e32 v[196:197], v[170:171], v[140:141]
	v_fma_f64 v[168:169], v[168:169], v[140:141], -v[142:143]
	scratch_load_b128 v[140:143], off, off offset:800
	s_wait_loadcnt_dscnt 0xc01
	v_mul_f64_e32 v[194:195], v[4:5], v[146:147]
	v_mul_f64_e32 v[146:147], v[6:7], v[146:147]
	v_add_f64_e32 v[170:171], v[202:203], v[200:201]
	v_add_f64_e32 v[192:193], v[192:193], v[198:199]
	s_wait_loadcnt_dscnt 0xb00
	v_mul_f64_e32 v[198:199], v[12:13], v[150:151]
	v_mul_f64_e32 v[150:151], v[14:15], v[150:151]
	v_fmac_f64_e32 v[194:195], v[6:7], v[144:145]
	v_fma_f64 v[200:201], v[4:5], v[144:145], -v[146:147]
	ds_load_b128 v[4:7], v2 offset:1632
	ds_load_b128 v[144:147], v2 offset:1648
	v_add_f64_e32 v[202:203], v[170:171], v[168:169]
	v_add_f64_e32 v[192:193], v[192:193], v[196:197]
	scratch_load_b128 v[168:171], off, off offset:816
	s_wait_loadcnt_dscnt 0xb01
	v_mul_f64_e32 v[196:197], v[4:5], v[154:155]
	v_mul_f64_e32 v[154:155], v[6:7], v[154:155]
	v_fmac_f64_e32 v[198:199], v[14:15], v[148:149]
	v_fma_f64 v[148:149], v[12:13], v[148:149], -v[150:151]
	scratch_load_b128 v[12:15], off, off offset:832
	v_add_f64_e32 v[150:151], v[202:203], v[200:201]
	v_add_f64_e32 v[192:193], v[192:193], v[194:195]
	s_wait_loadcnt_dscnt 0xb00
	v_mul_f64_e32 v[194:195], v[144:145], v[158:159]
	v_mul_f64_e32 v[158:159], v[146:147], v[158:159]
	v_fmac_f64_e32 v[196:197], v[6:7], v[152:153]
	v_fma_f64 v[200:201], v[4:5], v[152:153], -v[154:155]
	v_add_f64_e32 v[202:203], v[150:151], v[148:149]
	v_add_f64_e32 v[192:193], v[192:193], v[198:199]
	ds_load_b128 v[4:7], v2 offset:1664
	ds_load_b128 v[148:151], v2 offset:1680
	scratch_load_b128 v[152:155], off, off offset:848
	v_fmac_f64_e32 v[194:195], v[146:147], v[156:157]
	v_fma_f64 v[156:157], v[144:145], v[156:157], -v[158:159]
	scratch_load_b128 v[144:147], off, off offset:864
	s_wait_loadcnt_dscnt 0xc01
	v_mul_f64_e32 v[198:199], v[4:5], v[162:163]
	v_mul_f64_e32 v[162:163], v[6:7], v[162:163]
	v_add_f64_e32 v[158:159], v[202:203], v[200:201]
	v_add_f64_e32 v[192:193], v[192:193], v[196:197]
	s_wait_loadcnt_dscnt 0xb00
	v_mul_f64_e32 v[196:197], v[148:149], v[166:167]
	v_mul_f64_e32 v[166:167], v[150:151], v[166:167]
	v_fmac_f64_e32 v[198:199], v[6:7], v[160:161]
	v_fma_f64 v[200:201], v[4:5], v[160:161], -v[162:163]
	v_add_f64_e32 v[202:203], v[158:159], v[156:157]
	v_add_f64_e32 v[192:193], v[192:193], v[194:195]
	ds_load_b128 v[4:7], v2 offset:1696
	ds_load_b128 v[156:159], v2 offset:1712
	scratch_load_b128 v[160:163], off, off offset:880
	v_fmac_f64_e32 v[196:197], v[150:151], v[164:165]
	v_fma_f64 v[164:165], v[148:149], v[164:165], -v[166:167]
	scratch_load_b128 v[148:151], off, off offset:896
	s_wait_loadcnt_dscnt 0xc01
	v_mul_f64_e32 v[194:195], v[4:5], v[174:175]
	v_mul_f64_e32 v[174:175], v[6:7], v[174:175]
	;; [unrolled: 18-line block ×4, first 2 shown]
	v_add_f64_e32 v[166:167], v[202:203], v[200:201]
	v_add_f64_e32 v[192:193], v[192:193], v[196:197]
	s_wait_loadcnt_dscnt 0xa00
	v_mul_f64_e32 v[196:197], v[184:185], v[142:143]
	v_mul_f64_e32 v[142:143], v[186:187], v[142:143]
	v_fmac_f64_e32 v[198:199], v[6:7], v[176:177]
	v_fma_f64 v[176:177], v[4:5], v[176:177], -v[178:179]
	v_add_f64_e32 v[178:179], v[166:167], v[164:165]
	v_add_f64_e32 v[192:193], v[192:193], v[194:195]
	ds_load_b128 v[4:7], v2 offset:1792
	ds_load_b128 v[164:167], v2 offset:1808
	v_fmac_f64_e32 v[196:197], v[186:187], v[140:141]
	v_fma_f64 v[140:141], v[184:185], v[140:141], -v[142:143]
	s_wait_loadcnt_dscnt 0x901
	v_mul_f64_e32 v[194:195], v[4:5], v[170:171]
	v_mul_f64_e32 v[170:171], v[6:7], v[170:171]
	v_add_f64_e32 v[142:143], v[178:179], v[176:177]
	v_add_f64_e32 v[176:177], v[192:193], v[198:199]
	s_wait_loadcnt_dscnt 0x800
	v_mul_f64_e32 v[178:179], v[164:165], v[14:15]
	v_mul_f64_e32 v[14:15], v[166:167], v[14:15]
	v_fmac_f64_e32 v[194:195], v[6:7], v[168:169]
	v_fma_f64 v[168:169], v[4:5], v[168:169], -v[170:171]
	v_add_f64_e32 v[170:171], v[142:143], v[140:141]
	v_add_f64_e32 v[176:177], v[176:177], v[196:197]
	ds_load_b128 v[4:7], v2 offset:1824
	ds_load_b128 v[140:143], v2 offset:1840
	v_fmac_f64_e32 v[178:179], v[166:167], v[12:13]
	v_fma_f64 v[12:13], v[164:165], v[12:13], -v[14:15]
	s_wait_loadcnt_dscnt 0x701
	v_mul_f64_e32 v[184:185], v[4:5], v[154:155]
	v_mul_f64_e32 v[154:155], v[6:7], v[154:155]
	s_wait_loadcnt_dscnt 0x600
	v_mul_f64_e32 v[166:167], v[140:141], v[146:147]
	v_mul_f64_e32 v[146:147], v[142:143], v[146:147]
	v_add_f64_e32 v[14:15], v[170:171], v[168:169]
	v_add_f64_e32 v[164:165], v[176:177], v[194:195]
	v_fmac_f64_e32 v[184:185], v[6:7], v[152:153]
	v_fma_f64 v[152:153], v[4:5], v[152:153], -v[154:155]
	v_fmac_f64_e32 v[166:167], v[142:143], v[144:145]
	v_fma_f64 v[140:141], v[140:141], v[144:145], -v[146:147]
	v_add_f64_e32 v[154:155], v[14:15], v[12:13]
	v_add_f64_e32 v[164:165], v[164:165], v[178:179]
	ds_load_b128 v[4:7], v2 offset:1856
	ds_load_b128 v[12:15], v2 offset:1872
	s_wait_loadcnt_dscnt 0x501
	v_mul_f64_e32 v[168:169], v[4:5], v[162:163]
	v_mul_f64_e32 v[162:163], v[6:7], v[162:163]
	s_wait_loadcnt_dscnt 0x400
	v_mul_f64_e32 v[146:147], v[12:13], v[150:151]
	v_mul_f64_e32 v[150:151], v[14:15], v[150:151]
	v_add_f64_e32 v[142:143], v[154:155], v[152:153]
	v_add_f64_e32 v[144:145], v[164:165], v[184:185]
	v_fmac_f64_e32 v[168:169], v[6:7], v[160:161]
	v_fma_f64 v[152:153], v[4:5], v[160:161], -v[162:163]
	v_fmac_f64_e32 v[146:147], v[14:15], v[148:149]
	v_fma_f64 v[12:13], v[12:13], v[148:149], -v[150:151]
	v_add_f64_e32 v[154:155], v[142:143], v[140:141]
	v_add_f64_e32 v[144:145], v[144:145], v[166:167]
	ds_load_b128 v[4:7], v2 offset:1888
	ds_load_b128 v[140:143], v2 offset:1904
	s_wait_loadcnt_dscnt 0x301
	v_mul_f64_e32 v[160:161], v[4:5], v[174:175]
	v_mul_f64_e32 v[162:163], v[6:7], v[174:175]
	s_wait_loadcnt_dscnt 0x200
	v_mul_f64_e32 v[148:149], v[140:141], v[158:159]
	v_mul_f64_e32 v[150:151], v[142:143], v[158:159]
	v_add_f64_e32 v[14:15], v[154:155], v[152:153]
	v_add_f64_e32 v[144:145], v[144:145], v[168:169]
	v_fmac_f64_e32 v[160:161], v[6:7], v[172:173]
	v_fma_f64 v[152:153], v[4:5], v[172:173], -v[162:163]
	v_fmac_f64_e32 v[148:149], v[142:143], v[156:157]
	v_fma_f64 v[140:141], v[140:141], v[156:157], -v[150:151]
	v_add_f64_e32 v[154:155], v[14:15], v[12:13]
	v_add_f64_e32 v[144:145], v[144:145], v[146:147]
	ds_load_b128 v[4:7], v2 offset:1920
	ds_load_b128 v[12:15], v2 offset:1936
	s_wait_loadcnt_dscnt 0x101
	v_mul_f64_e32 v[2:3], v[4:5], v[190:191]
	v_mul_f64_e32 v[146:147], v[6:7], v[190:191]
	s_wait_loadcnt_dscnt 0x0
	v_mul_f64_e32 v[150:151], v[12:13], v[10:11]
	v_mul_f64_e32 v[10:11], v[14:15], v[10:11]
	v_add_f64_e32 v[142:143], v[154:155], v[152:153]
	v_add_f64_e32 v[144:145], v[144:145], v[160:161]
	v_fmac_f64_e32 v[2:3], v[6:7], v[188:189]
	v_fma_f64 v[4:5], v[4:5], v[188:189], -v[146:147]
	v_fmac_f64_e32 v[150:151], v[14:15], v[8:9]
	v_fma_f64 v[8:9], v[12:13], v[8:9], -v[10:11]
	v_add_f64_e32 v[6:7], v[142:143], v[140:141]
	v_add_f64_e32 v[140:141], v[144:145], v[148:149]
	s_delay_alu instid0(VALU_DEP_2) | instskip(NEXT) | instid1(VALU_DEP_2)
	v_add_f64_e32 v[4:5], v[6:7], v[4:5]
	v_add_f64_e32 v[2:3], v[140:141], v[2:3]
	s_delay_alu instid0(VALU_DEP_2) | instskip(NEXT) | instid1(VALU_DEP_2)
	;; [unrolled: 3-line block ×3, first 2 shown]
	v_add_f64_e64 v[2:3], v[180:181], -v[4:5]
	v_add_f64_e64 v[4:5], v[182:183], -v[6:7]
	scratch_store_b128 off, v[2:5], off offset:544
	s_wait_xcnt 0x0
	v_cmpx_lt_u32_e32 33, v1
	s_cbranch_execz .LBB60_325
; %bb.324:
	scratch_load_b128 v[2:5], off, s41
	v_mov_b32_e32 v6, 0
	s_delay_alu instid0(VALU_DEP_1)
	v_dual_mov_b32 v7, v6 :: v_dual_mov_b32 v8, v6
	v_mov_b32_e32 v9, v6
	scratch_store_b128 off, v[6:9], off offset:528
	s_wait_loadcnt 0x0
	ds_store_b128 v138, v[2:5]
.LBB60_325:
	s_wait_xcnt 0x0
	s_or_b32 exec_lo, exec_lo, s2
	s_wait_storecnt_dscnt 0x0
	s_barrier_signal -1
	s_barrier_wait -1
	s_clause 0x9
	scratch_load_b128 v[4:7], off, off offset:544
	scratch_load_b128 v[8:11], off, off offset:560
	;; [unrolled: 1-line block ×10, first 2 shown]
	v_mov_b32_e32 v2, 0
	s_mov_b32 s2, exec_lo
	ds_load_b128 v[168:171], v2 offset:1520
	s_clause 0x2
	scratch_load_b128 v[172:175], off, off offset:704
	scratch_load_b128 v[176:179], off, off offset:528
	;; [unrolled: 1-line block ×3, first 2 shown]
	s_wait_loadcnt_dscnt 0xc00
	v_mul_f64_e32 v[188:189], v[170:171], v[6:7]
	v_mul_f64_e32 v[192:193], v[168:169], v[6:7]
	ds_load_b128 v[180:183], v2 offset:1536
	v_fma_f64 v[196:197], v[168:169], v[4:5], -v[188:189]
	v_fmac_f64_e32 v[192:193], v[170:171], v[4:5]
	ds_load_b128 v[4:7], v2 offset:1552
	s_wait_loadcnt_dscnt 0xb01
	v_mul_f64_e32 v[194:195], v[180:181], v[10:11]
	v_mul_f64_e32 v[10:11], v[182:183], v[10:11]
	scratch_load_b128 v[168:171], off, off offset:736
	ds_load_b128 v[188:191], v2 offset:1568
	s_wait_loadcnt_dscnt 0xb01
	v_mul_f64_e32 v[198:199], v[4:5], v[14:15]
	v_mul_f64_e32 v[14:15], v[6:7], v[14:15]
	v_add_f64_e32 v[192:193], 0, v[192:193]
	v_fmac_f64_e32 v[194:195], v[182:183], v[8:9]
	v_fma_f64 v[180:181], v[180:181], v[8:9], -v[10:11]
	v_add_f64_e32 v[182:183], 0, v[196:197]
	scratch_load_b128 v[8:11], off, off offset:752
	v_fmac_f64_e32 v[198:199], v[6:7], v[12:13]
	v_fma_f64 v[200:201], v[4:5], v[12:13], -v[14:15]
	ds_load_b128 v[4:7], v2 offset:1584
	s_wait_loadcnt_dscnt 0xb01
	v_mul_f64_e32 v[196:197], v[188:189], v[142:143]
	v_mul_f64_e32 v[142:143], v[190:191], v[142:143]
	scratch_load_b128 v[12:15], off, off offset:768
	v_add_f64_e32 v[192:193], v[192:193], v[194:195]
	v_add_f64_e32 v[202:203], v[182:183], v[180:181]
	ds_load_b128 v[180:183], v2 offset:1600
	s_wait_loadcnt_dscnt 0xb01
	v_mul_f64_e32 v[194:195], v[4:5], v[146:147]
	v_mul_f64_e32 v[146:147], v[6:7], v[146:147]
	v_fmac_f64_e32 v[196:197], v[190:191], v[140:141]
	v_fma_f64 v[188:189], v[188:189], v[140:141], -v[142:143]
	scratch_load_b128 v[140:143], off, off offset:784
	v_add_f64_e32 v[192:193], v[192:193], v[198:199]
	v_add_f64_e32 v[190:191], v[202:203], v[200:201]
	v_fmac_f64_e32 v[194:195], v[6:7], v[144:145]
	v_fma_f64 v[200:201], v[4:5], v[144:145], -v[146:147]
	ds_load_b128 v[4:7], v2 offset:1616
	s_wait_loadcnt_dscnt 0xb01
	v_mul_f64_e32 v[198:199], v[180:181], v[150:151]
	v_mul_f64_e32 v[150:151], v[182:183], v[150:151]
	scratch_load_b128 v[144:147], off, off offset:800
	v_add_f64_e32 v[192:193], v[192:193], v[196:197]
	s_wait_loadcnt_dscnt 0xb00
	v_mul_f64_e32 v[196:197], v[4:5], v[154:155]
	v_add_f64_e32 v[202:203], v[190:191], v[188:189]
	v_mul_f64_e32 v[154:155], v[6:7], v[154:155]
	ds_load_b128 v[188:191], v2 offset:1632
	v_fmac_f64_e32 v[198:199], v[182:183], v[148:149]
	v_fma_f64 v[180:181], v[180:181], v[148:149], -v[150:151]
	scratch_load_b128 v[148:151], off, off offset:816
	v_add_f64_e32 v[192:193], v[192:193], v[194:195]
	v_fmac_f64_e32 v[196:197], v[6:7], v[152:153]
	v_add_f64_e32 v[182:183], v[202:203], v[200:201]
	v_fma_f64 v[200:201], v[4:5], v[152:153], -v[154:155]
	ds_load_b128 v[4:7], v2 offset:1648
	s_wait_loadcnt_dscnt 0xb01
	v_mul_f64_e32 v[194:195], v[188:189], v[158:159]
	v_mul_f64_e32 v[158:159], v[190:191], v[158:159]
	scratch_load_b128 v[152:155], off, off offset:832
	v_add_f64_e32 v[192:193], v[192:193], v[198:199]
	s_wait_loadcnt_dscnt 0xb00
	v_mul_f64_e32 v[198:199], v[4:5], v[162:163]
	v_add_f64_e32 v[202:203], v[182:183], v[180:181]
	v_mul_f64_e32 v[162:163], v[6:7], v[162:163]
	ds_load_b128 v[180:183], v2 offset:1664
	v_fmac_f64_e32 v[194:195], v[190:191], v[156:157]
	v_fma_f64 v[188:189], v[188:189], v[156:157], -v[158:159]
	scratch_load_b128 v[156:159], off, off offset:848
	v_add_f64_e32 v[192:193], v[192:193], v[196:197]
	v_fmac_f64_e32 v[198:199], v[6:7], v[160:161]
	v_add_f64_e32 v[190:191], v[202:203], v[200:201]
	;; [unrolled: 18-line block ×3, first 2 shown]
	v_fma_f64 v[200:201], v[4:5], v[172:173], -v[174:175]
	ds_load_b128 v[4:7], v2 offset:1712
	s_wait_loadcnt_dscnt 0xa01
	v_mul_f64_e32 v[198:199], v[188:189], v[186:187]
	v_mul_f64_e32 v[186:187], v[190:191], v[186:187]
	scratch_load_b128 v[172:175], off, off offset:896
	v_add_f64_e32 v[192:193], v[192:193], v[196:197]
	v_add_f64_e32 v[202:203], v[182:183], v[180:181]
	s_wait_loadcnt_dscnt 0xa00
	v_mul_f64_e32 v[196:197], v[4:5], v[170:171]
	v_mul_f64_e32 v[170:171], v[6:7], v[170:171]
	v_fmac_f64_e32 v[198:199], v[190:191], v[184:185]
	v_fma_f64 v[188:189], v[188:189], v[184:185], -v[186:187]
	ds_load_b128 v[180:183], v2 offset:1728
	scratch_load_b128 v[184:187], off, off offset:912
	v_add_f64_e32 v[192:193], v[192:193], v[194:195]
	v_add_f64_e32 v[190:191], v[202:203], v[200:201]
	v_fmac_f64_e32 v[196:197], v[6:7], v[168:169]
	v_fma_f64 v[200:201], v[4:5], v[168:169], -v[170:171]
	ds_load_b128 v[4:7], v2 offset:1744
	s_wait_loadcnt_dscnt 0xa01
	v_mul_f64_e32 v[194:195], v[180:181], v[10:11]
	v_mul_f64_e32 v[10:11], v[182:183], v[10:11]
	scratch_load_b128 v[168:171], off, off offset:928
	v_add_f64_e32 v[192:193], v[192:193], v[198:199]
	s_wait_loadcnt_dscnt 0xa00
	v_mul_f64_e32 v[198:199], v[4:5], v[14:15]
	v_add_f64_e32 v[202:203], v[190:191], v[188:189]
	v_mul_f64_e32 v[14:15], v[6:7], v[14:15]
	ds_load_b128 v[188:191], v2 offset:1760
	v_fmac_f64_e32 v[194:195], v[182:183], v[8:9]
	v_fma_f64 v[180:181], v[180:181], v[8:9], -v[10:11]
	scratch_load_b128 v[8:11], off, off offset:944
	v_add_f64_e32 v[192:193], v[192:193], v[196:197]
	v_fmac_f64_e32 v[198:199], v[6:7], v[12:13]
	v_add_f64_e32 v[182:183], v[202:203], v[200:201]
	v_fma_f64 v[200:201], v[4:5], v[12:13], -v[14:15]
	ds_load_b128 v[4:7], v2 offset:1776
	s_wait_loadcnt_dscnt 0xa01
	v_mul_f64_e32 v[196:197], v[188:189], v[142:143]
	v_mul_f64_e32 v[142:143], v[190:191], v[142:143]
	scratch_load_b128 v[12:15], off, off offset:960
	v_add_f64_e32 v[192:193], v[192:193], v[194:195]
	s_wait_loadcnt_dscnt 0xa00
	v_mul_f64_e32 v[194:195], v[4:5], v[146:147]
	v_add_f64_e32 v[202:203], v[182:183], v[180:181]
	v_mul_f64_e32 v[146:147], v[6:7], v[146:147]
	ds_load_b128 v[180:183], v2 offset:1792
	v_fmac_f64_e32 v[196:197], v[190:191], v[140:141]
	v_fma_f64 v[140:141], v[188:189], v[140:141], -v[142:143]
	s_wait_loadcnt_dscnt 0x900
	v_mul_f64_e32 v[190:191], v[180:181], v[150:151]
	v_mul_f64_e32 v[150:151], v[182:183], v[150:151]
	v_add_f64_e32 v[188:189], v[192:193], v[198:199]
	v_fmac_f64_e32 v[194:195], v[6:7], v[144:145]
	v_add_f64_e32 v[142:143], v[202:203], v[200:201]
	v_fma_f64 v[144:145], v[4:5], v[144:145], -v[146:147]
	v_fmac_f64_e32 v[190:191], v[182:183], v[148:149]
	v_fma_f64 v[148:149], v[180:181], v[148:149], -v[150:151]
	v_add_f64_e32 v[188:189], v[188:189], v[196:197]
	v_add_f64_e32 v[146:147], v[142:143], v[140:141]
	ds_load_b128 v[4:7], v2 offset:1808
	ds_load_b128 v[140:143], v2 offset:1824
	s_wait_loadcnt_dscnt 0x801
	v_mul_f64_e32 v[192:193], v[4:5], v[154:155]
	v_mul_f64_e32 v[154:155], v[6:7], v[154:155]
	s_wait_loadcnt_dscnt 0x700
	v_mul_f64_e32 v[150:151], v[140:141], v[158:159]
	v_mul_f64_e32 v[158:159], v[142:143], v[158:159]
	v_add_f64_e32 v[144:145], v[146:147], v[144:145]
	v_add_f64_e32 v[146:147], v[188:189], v[194:195]
	v_fmac_f64_e32 v[192:193], v[6:7], v[152:153]
	v_fma_f64 v[152:153], v[4:5], v[152:153], -v[154:155]
	v_fmac_f64_e32 v[150:151], v[142:143], v[156:157]
	v_fma_f64 v[140:141], v[140:141], v[156:157], -v[158:159]
	v_add_f64_e32 v[148:149], v[144:145], v[148:149]
	v_add_f64_e32 v[154:155], v[146:147], v[190:191]
	ds_load_b128 v[4:7], v2 offset:1840
	ds_load_b128 v[144:147], v2 offset:1856
	s_wait_loadcnt_dscnt 0x601
	v_mul_f64_e32 v[180:181], v[4:5], v[162:163]
	v_mul_f64_e32 v[162:163], v[6:7], v[162:163]
	v_add_f64_e32 v[142:143], v[148:149], v[152:153]
	v_add_f64_e32 v[148:149], v[154:155], v[192:193]
	s_wait_loadcnt_dscnt 0x500
	v_mul_f64_e32 v[152:153], v[144:145], v[166:167]
	v_mul_f64_e32 v[154:155], v[146:147], v[166:167]
	v_fmac_f64_e32 v[180:181], v[6:7], v[160:161]
	v_fma_f64 v[156:157], v[4:5], v[160:161], -v[162:163]
	v_add_f64_e32 v[158:159], v[142:143], v[140:141]
	v_add_f64_e32 v[148:149], v[148:149], v[150:151]
	ds_load_b128 v[4:7], v2 offset:1872
	ds_load_b128 v[140:143], v2 offset:1888
	v_fmac_f64_e32 v[152:153], v[146:147], v[164:165]
	v_fma_f64 v[144:145], v[144:145], v[164:165], -v[154:155]
	s_wait_loadcnt_dscnt 0x401
	v_mul_f64_e32 v[150:151], v[4:5], v[174:175]
	v_mul_f64_e32 v[160:161], v[6:7], v[174:175]
	s_wait_loadcnt_dscnt 0x300
	v_mul_f64_e32 v[154:155], v[140:141], v[186:187]
	v_add_f64_e32 v[146:147], v[158:159], v[156:157]
	v_add_f64_e32 v[148:149], v[148:149], v[180:181]
	v_mul_f64_e32 v[156:157], v[142:143], v[186:187]
	v_fmac_f64_e32 v[150:151], v[6:7], v[172:173]
	v_fma_f64 v[158:159], v[4:5], v[172:173], -v[160:161]
	v_fmac_f64_e32 v[154:155], v[142:143], v[184:185]
	v_add_f64_e32 v[160:161], v[146:147], v[144:145]
	v_add_f64_e32 v[148:149], v[148:149], v[152:153]
	ds_load_b128 v[4:7], v2 offset:1904
	ds_load_b128 v[144:147], v2 offset:1920
	v_fma_f64 v[140:141], v[140:141], v[184:185], -v[156:157]
	s_wait_loadcnt_dscnt 0x201
	v_mul_f64_e32 v[152:153], v[4:5], v[170:171]
	v_mul_f64_e32 v[162:163], v[6:7], v[170:171]
	v_add_f64_e32 v[142:143], v[160:161], v[158:159]
	v_add_f64_e32 v[148:149], v[148:149], v[150:151]
	s_wait_loadcnt_dscnt 0x100
	v_mul_f64_e32 v[150:151], v[144:145], v[10:11]
	v_mul_f64_e32 v[10:11], v[146:147], v[10:11]
	v_fmac_f64_e32 v[152:153], v[6:7], v[168:169]
	v_fma_f64 v[156:157], v[4:5], v[168:169], -v[162:163]
	ds_load_b128 v[4:7], v2 offset:1936
	v_add_f64_e32 v[140:141], v[142:143], v[140:141]
	v_add_f64_e32 v[142:143], v[148:149], v[154:155]
	v_fmac_f64_e32 v[150:151], v[146:147], v[8:9]
	v_fma_f64 v[8:9], v[144:145], v[8:9], -v[10:11]
	s_wait_loadcnt_dscnt 0x0
	v_mul_f64_e32 v[148:149], v[4:5], v[14:15]
	v_mul_f64_e32 v[14:15], v[6:7], v[14:15]
	v_add_f64_e32 v[10:11], v[140:141], v[156:157]
	v_add_f64_e32 v[140:141], v[142:143], v[152:153]
	s_delay_alu instid0(VALU_DEP_4) | instskip(NEXT) | instid1(VALU_DEP_4)
	v_fmac_f64_e32 v[148:149], v[6:7], v[12:13]
	v_fma_f64 v[4:5], v[4:5], v[12:13], -v[14:15]
	s_delay_alu instid0(VALU_DEP_4) | instskip(NEXT) | instid1(VALU_DEP_4)
	v_add_f64_e32 v[6:7], v[10:11], v[8:9]
	v_add_f64_e32 v[8:9], v[140:141], v[150:151]
	s_delay_alu instid0(VALU_DEP_2) | instskip(NEXT) | instid1(VALU_DEP_2)
	v_add_f64_e32 v[4:5], v[6:7], v[4:5]
	v_add_f64_e32 v[6:7], v[8:9], v[148:149]
	s_delay_alu instid0(VALU_DEP_2) | instskip(NEXT) | instid1(VALU_DEP_2)
	v_add_f64_e64 v[4:5], v[176:177], -v[4:5]
	v_add_f64_e64 v[6:7], v[178:179], -v[6:7]
	scratch_store_b128 off, v[4:7], off offset:528
	s_wait_xcnt 0x0
	v_cmpx_lt_u32_e32 32, v1
	s_cbranch_execz .LBB60_327
; %bb.326:
	scratch_load_b128 v[6:9], off, s44
	v_dual_mov_b32 v3, v2 :: v_dual_mov_b32 v4, v2
	v_mov_b32_e32 v5, v2
	scratch_store_b128 off, v[2:5], off offset:512
	s_wait_loadcnt 0x0
	ds_store_b128 v138, v[6:9]
.LBB60_327:
	s_wait_xcnt 0x0
	s_or_b32 exec_lo, exec_lo, s2
	s_wait_storecnt_dscnt 0x0
	s_barrier_signal -1
	s_barrier_wait -1
	s_clause 0x9
	scratch_load_b128 v[4:7], off, off offset:528
	scratch_load_b128 v[8:11], off, off offset:544
	;; [unrolled: 1-line block ×10, first 2 shown]
	ds_load_b128 v[168:171], v2 offset:1504
	ds_load_b128 v[176:179], v2 offset:1520
	s_clause 0x2
	scratch_load_b128 v[172:175], off, off offset:688
	scratch_load_b128 v[180:183], off, off offset:512
	;; [unrolled: 1-line block ×3, first 2 shown]
	s_mov_b32 s2, exec_lo
	s_wait_loadcnt_dscnt 0xc01
	v_mul_f64_e32 v[188:189], v[170:171], v[6:7]
	v_mul_f64_e32 v[192:193], v[168:169], v[6:7]
	s_wait_loadcnt_dscnt 0xb00
	v_mul_f64_e32 v[194:195], v[176:177], v[10:11]
	v_mul_f64_e32 v[10:11], v[178:179], v[10:11]
	s_delay_alu instid0(VALU_DEP_4) | instskip(NEXT) | instid1(VALU_DEP_4)
	v_fma_f64 v[196:197], v[168:169], v[4:5], -v[188:189]
	v_fmac_f64_e32 v[192:193], v[170:171], v[4:5]
	ds_load_b128 v[4:7], v2 offset:1536
	ds_load_b128 v[168:171], v2 offset:1552
	scratch_load_b128 v[188:191], off, off offset:720
	v_fmac_f64_e32 v[194:195], v[178:179], v[8:9]
	v_fma_f64 v[176:177], v[176:177], v[8:9], -v[10:11]
	scratch_load_b128 v[8:11], off, off offset:736
	s_wait_loadcnt_dscnt 0xc01
	v_mul_f64_e32 v[198:199], v[4:5], v[14:15]
	v_mul_f64_e32 v[14:15], v[6:7], v[14:15]
	v_add_f64_e32 v[178:179], 0, v[196:197]
	v_add_f64_e32 v[192:193], 0, v[192:193]
	s_wait_loadcnt_dscnt 0xb00
	v_mul_f64_e32 v[196:197], v[168:169], v[142:143]
	v_mul_f64_e32 v[142:143], v[170:171], v[142:143]
	v_fmac_f64_e32 v[198:199], v[6:7], v[12:13]
	v_fma_f64 v[200:201], v[4:5], v[12:13], -v[14:15]
	ds_load_b128 v[4:7], v2 offset:1568
	ds_load_b128 v[12:15], v2 offset:1584
	v_add_f64_e32 v[202:203], v[178:179], v[176:177]
	v_add_f64_e32 v[192:193], v[192:193], v[194:195]
	scratch_load_b128 v[176:179], off, off offset:752
	v_fmac_f64_e32 v[196:197], v[170:171], v[140:141]
	v_fma_f64 v[168:169], v[168:169], v[140:141], -v[142:143]
	scratch_load_b128 v[140:143], off, off offset:768
	s_wait_loadcnt_dscnt 0xc01
	v_mul_f64_e32 v[194:195], v[4:5], v[146:147]
	v_mul_f64_e32 v[146:147], v[6:7], v[146:147]
	v_add_f64_e32 v[170:171], v[202:203], v[200:201]
	v_add_f64_e32 v[192:193], v[192:193], v[198:199]
	s_wait_loadcnt_dscnt 0xb00
	v_mul_f64_e32 v[198:199], v[12:13], v[150:151]
	v_mul_f64_e32 v[150:151], v[14:15], v[150:151]
	v_fmac_f64_e32 v[194:195], v[6:7], v[144:145]
	v_fma_f64 v[200:201], v[4:5], v[144:145], -v[146:147]
	ds_load_b128 v[4:7], v2 offset:1600
	ds_load_b128 v[144:147], v2 offset:1616
	v_add_f64_e32 v[202:203], v[170:171], v[168:169]
	v_add_f64_e32 v[192:193], v[192:193], v[196:197]
	scratch_load_b128 v[168:171], off, off offset:784
	s_wait_loadcnt_dscnt 0xb01
	v_mul_f64_e32 v[196:197], v[4:5], v[154:155]
	v_mul_f64_e32 v[154:155], v[6:7], v[154:155]
	v_fmac_f64_e32 v[198:199], v[14:15], v[148:149]
	v_fma_f64 v[148:149], v[12:13], v[148:149], -v[150:151]
	scratch_load_b128 v[12:15], off, off offset:800
	v_add_f64_e32 v[150:151], v[202:203], v[200:201]
	v_add_f64_e32 v[192:193], v[192:193], v[194:195]
	s_wait_loadcnt_dscnt 0xb00
	v_mul_f64_e32 v[194:195], v[144:145], v[158:159]
	v_mul_f64_e32 v[158:159], v[146:147], v[158:159]
	v_fmac_f64_e32 v[196:197], v[6:7], v[152:153]
	v_fma_f64 v[200:201], v[4:5], v[152:153], -v[154:155]
	v_add_f64_e32 v[202:203], v[150:151], v[148:149]
	v_add_f64_e32 v[192:193], v[192:193], v[198:199]
	ds_load_b128 v[4:7], v2 offset:1632
	ds_load_b128 v[148:151], v2 offset:1648
	scratch_load_b128 v[152:155], off, off offset:816
	v_fmac_f64_e32 v[194:195], v[146:147], v[156:157]
	v_fma_f64 v[156:157], v[144:145], v[156:157], -v[158:159]
	scratch_load_b128 v[144:147], off, off offset:832
	s_wait_loadcnt_dscnt 0xc01
	v_mul_f64_e32 v[198:199], v[4:5], v[162:163]
	v_mul_f64_e32 v[162:163], v[6:7], v[162:163]
	v_add_f64_e32 v[158:159], v[202:203], v[200:201]
	v_add_f64_e32 v[192:193], v[192:193], v[196:197]
	s_wait_loadcnt_dscnt 0xb00
	v_mul_f64_e32 v[196:197], v[148:149], v[166:167]
	v_mul_f64_e32 v[166:167], v[150:151], v[166:167]
	v_fmac_f64_e32 v[198:199], v[6:7], v[160:161]
	v_fma_f64 v[200:201], v[4:5], v[160:161], -v[162:163]
	v_add_f64_e32 v[202:203], v[158:159], v[156:157]
	v_add_f64_e32 v[192:193], v[192:193], v[194:195]
	ds_load_b128 v[4:7], v2 offset:1664
	ds_load_b128 v[156:159], v2 offset:1680
	scratch_load_b128 v[160:163], off, off offset:848
	v_fmac_f64_e32 v[196:197], v[150:151], v[164:165]
	v_fma_f64 v[164:165], v[148:149], v[164:165], -v[166:167]
	scratch_load_b128 v[148:151], off, off offset:864
	s_wait_loadcnt_dscnt 0xc01
	v_mul_f64_e32 v[194:195], v[4:5], v[174:175]
	v_mul_f64_e32 v[174:175], v[6:7], v[174:175]
	;; [unrolled: 18-line block ×5, first 2 shown]
	v_add_f64_e32 v[186:187], v[202:203], v[200:201]
	v_add_f64_e32 v[192:193], v[192:193], v[198:199]
	s_wait_loadcnt_dscnt 0xa00
	v_mul_f64_e32 v[198:199], v[164:165], v[14:15]
	v_mul_f64_e32 v[14:15], v[166:167], v[14:15]
	v_fmac_f64_e32 v[194:195], v[6:7], v[168:169]
	v_fma_f64 v[200:201], v[4:5], v[168:169], -v[170:171]
	ds_load_b128 v[4:7], v2 offset:1792
	ds_load_b128 v[168:171], v2 offset:1808
	v_add_f64_e32 v[184:185], v[186:187], v[184:185]
	v_add_f64_e32 v[186:187], v[192:193], v[196:197]
	v_fmac_f64_e32 v[198:199], v[166:167], v[12:13]
	v_fma_f64 v[12:13], v[164:165], v[12:13], -v[14:15]
	s_wait_loadcnt_dscnt 0x901
	v_mul_f64_e32 v[192:193], v[4:5], v[154:155]
	v_mul_f64_e32 v[154:155], v[6:7], v[154:155]
	s_wait_loadcnt_dscnt 0x800
	v_mul_f64_e32 v[166:167], v[168:169], v[146:147]
	v_mul_f64_e32 v[146:147], v[170:171], v[146:147]
	v_add_f64_e32 v[14:15], v[184:185], v[200:201]
	v_add_f64_e32 v[164:165], v[186:187], v[194:195]
	v_fmac_f64_e32 v[192:193], v[6:7], v[152:153]
	v_fma_f64 v[152:153], v[4:5], v[152:153], -v[154:155]
	v_fmac_f64_e32 v[166:167], v[170:171], v[144:145]
	v_fma_f64 v[144:145], v[168:169], v[144:145], -v[146:147]
	v_add_f64_e32 v[154:155], v[14:15], v[12:13]
	v_add_f64_e32 v[164:165], v[164:165], v[198:199]
	ds_load_b128 v[4:7], v2 offset:1824
	ds_load_b128 v[12:15], v2 offset:1840
	s_wait_loadcnt_dscnt 0x701
	v_mul_f64_e32 v[184:185], v[4:5], v[162:163]
	v_mul_f64_e32 v[162:163], v[6:7], v[162:163]
	v_add_f64_e32 v[146:147], v[154:155], v[152:153]
	v_add_f64_e32 v[152:153], v[164:165], v[192:193]
	s_wait_loadcnt_dscnt 0x600
	v_mul_f64_e32 v[154:155], v[12:13], v[150:151]
	v_mul_f64_e32 v[150:151], v[14:15], v[150:151]
	v_fmac_f64_e32 v[184:185], v[6:7], v[160:161]
	v_fma_f64 v[160:161], v[4:5], v[160:161], -v[162:163]
	v_add_f64_e32 v[162:163], v[146:147], v[144:145]
	v_add_f64_e32 v[152:153], v[152:153], v[166:167]
	ds_load_b128 v[4:7], v2 offset:1856
	ds_load_b128 v[144:147], v2 offset:1872
	v_fmac_f64_e32 v[154:155], v[14:15], v[148:149]
	v_fma_f64 v[12:13], v[12:13], v[148:149], -v[150:151]
	s_wait_loadcnt_dscnt 0x501
	v_mul_f64_e32 v[164:165], v[4:5], v[174:175]
	v_mul_f64_e32 v[166:167], v[6:7], v[174:175]
	s_wait_loadcnt_dscnt 0x400
	v_mul_f64_e32 v[150:151], v[144:145], v[158:159]
	v_add_f64_e32 v[14:15], v[162:163], v[160:161]
	v_add_f64_e32 v[148:149], v[152:153], v[184:185]
	v_mul_f64_e32 v[152:153], v[146:147], v[158:159]
	v_fmac_f64_e32 v[164:165], v[6:7], v[172:173]
	v_fma_f64 v[158:159], v[4:5], v[172:173], -v[166:167]
	v_fmac_f64_e32 v[150:151], v[146:147], v[156:157]
	v_add_f64_e32 v[160:161], v[14:15], v[12:13]
	v_add_f64_e32 v[148:149], v[148:149], v[154:155]
	ds_load_b128 v[4:7], v2 offset:1888
	ds_load_b128 v[12:15], v2 offset:1904
	v_fma_f64 v[144:145], v[144:145], v[156:157], -v[152:153]
	s_wait_loadcnt_dscnt 0x301
	v_mul_f64_e32 v[154:155], v[4:5], v[190:191]
	v_mul_f64_e32 v[162:163], v[6:7], v[190:191]
	s_wait_loadcnt_dscnt 0x200
	v_mul_f64_e32 v[152:153], v[12:13], v[10:11]
	v_mul_f64_e32 v[10:11], v[14:15], v[10:11]
	v_add_f64_e32 v[146:147], v[160:161], v[158:159]
	v_add_f64_e32 v[148:149], v[148:149], v[164:165]
	v_fmac_f64_e32 v[154:155], v[6:7], v[188:189]
	v_fma_f64 v[156:157], v[4:5], v[188:189], -v[162:163]
	v_fmac_f64_e32 v[152:153], v[14:15], v[8:9]
	v_fma_f64 v[8:9], v[12:13], v[8:9], -v[10:11]
	v_add_f64_e32 v[158:159], v[146:147], v[144:145]
	v_add_f64_e32 v[148:149], v[148:149], v[150:151]
	ds_load_b128 v[4:7], v2 offset:1920
	ds_load_b128 v[144:147], v2 offset:1936
	s_wait_loadcnt_dscnt 0x101
	v_mul_f64_e32 v[2:3], v[4:5], v[178:179]
	v_mul_f64_e32 v[150:151], v[6:7], v[178:179]
	s_wait_loadcnt_dscnt 0x0
	v_mul_f64_e32 v[14:15], v[144:145], v[142:143]
	v_mul_f64_e32 v[142:143], v[146:147], v[142:143]
	v_add_f64_e32 v[10:11], v[158:159], v[156:157]
	v_add_f64_e32 v[12:13], v[148:149], v[154:155]
	v_fmac_f64_e32 v[2:3], v[6:7], v[176:177]
	v_fma_f64 v[4:5], v[4:5], v[176:177], -v[150:151]
	v_fmac_f64_e32 v[14:15], v[146:147], v[140:141]
	v_add_f64_e32 v[6:7], v[10:11], v[8:9]
	v_add_f64_e32 v[8:9], v[12:13], v[152:153]
	v_fma_f64 v[10:11], v[144:145], v[140:141], -v[142:143]
	s_delay_alu instid0(VALU_DEP_3) | instskip(NEXT) | instid1(VALU_DEP_3)
	v_add_f64_e32 v[4:5], v[6:7], v[4:5]
	v_add_f64_e32 v[2:3], v[8:9], v[2:3]
	s_delay_alu instid0(VALU_DEP_2) | instskip(NEXT) | instid1(VALU_DEP_2)
	v_add_f64_e32 v[4:5], v[4:5], v[10:11]
	v_add_f64_e32 v[6:7], v[2:3], v[14:15]
	s_delay_alu instid0(VALU_DEP_2) | instskip(NEXT) | instid1(VALU_DEP_2)
	v_add_f64_e64 v[2:3], v[180:181], -v[4:5]
	v_add_f64_e64 v[4:5], v[182:183], -v[6:7]
	scratch_store_b128 off, v[2:5], off offset:512
	s_wait_xcnt 0x0
	v_cmpx_lt_u32_e32 31, v1
	s_cbranch_execz .LBB60_329
; %bb.328:
	scratch_load_b128 v[2:5], off, s43
	v_mov_b32_e32 v6, 0
	s_delay_alu instid0(VALU_DEP_1)
	v_dual_mov_b32 v7, v6 :: v_dual_mov_b32 v8, v6
	v_mov_b32_e32 v9, v6
	scratch_store_b128 off, v[6:9], off offset:496
	s_wait_loadcnt 0x0
	ds_store_b128 v138, v[2:5]
.LBB60_329:
	s_wait_xcnt 0x0
	s_or_b32 exec_lo, exec_lo, s2
	s_wait_storecnt_dscnt 0x0
	s_barrier_signal -1
	s_barrier_wait -1
	s_clause 0x9
	scratch_load_b128 v[4:7], off, off offset:512
	scratch_load_b128 v[8:11], off, off offset:528
	;; [unrolled: 1-line block ×10, first 2 shown]
	v_mov_b32_e32 v2, 0
	s_mov_b32 s2, exec_lo
	ds_load_b128 v[168:171], v2 offset:1488
	s_clause 0x2
	scratch_load_b128 v[172:175], off, off offset:672
	scratch_load_b128 v[176:179], off, off offset:496
	;; [unrolled: 1-line block ×3, first 2 shown]
	s_wait_loadcnt_dscnt 0xc00
	v_mul_f64_e32 v[188:189], v[170:171], v[6:7]
	v_mul_f64_e32 v[192:193], v[168:169], v[6:7]
	ds_load_b128 v[180:183], v2 offset:1504
	v_fma_f64 v[196:197], v[168:169], v[4:5], -v[188:189]
	v_fmac_f64_e32 v[192:193], v[170:171], v[4:5]
	ds_load_b128 v[4:7], v2 offset:1520
	s_wait_loadcnt_dscnt 0xb01
	v_mul_f64_e32 v[194:195], v[180:181], v[10:11]
	v_mul_f64_e32 v[10:11], v[182:183], v[10:11]
	scratch_load_b128 v[168:171], off, off offset:704
	ds_load_b128 v[188:191], v2 offset:1536
	s_wait_loadcnt_dscnt 0xb01
	v_mul_f64_e32 v[198:199], v[4:5], v[14:15]
	v_mul_f64_e32 v[14:15], v[6:7], v[14:15]
	v_add_f64_e32 v[192:193], 0, v[192:193]
	v_fmac_f64_e32 v[194:195], v[182:183], v[8:9]
	v_fma_f64 v[180:181], v[180:181], v[8:9], -v[10:11]
	v_add_f64_e32 v[182:183], 0, v[196:197]
	scratch_load_b128 v[8:11], off, off offset:720
	v_fmac_f64_e32 v[198:199], v[6:7], v[12:13]
	v_fma_f64 v[200:201], v[4:5], v[12:13], -v[14:15]
	ds_load_b128 v[4:7], v2 offset:1552
	s_wait_loadcnt_dscnt 0xb01
	v_mul_f64_e32 v[196:197], v[188:189], v[142:143]
	v_mul_f64_e32 v[142:143], v[190:191], v[142:143]
	scratch_load_b128 v[12:15], off, off offset:736
	v_add_f64_e32 v[192:193], v[192:193], v[194:195]
	v_add_f64_e32 v[202:203], v[182:183], v[180:181]
	ds_load_b128 v[180:183], v2 offset:1568
	s_wait_loadcnt_dscnt 0xb01
	v_mul_f64_e32 v[194:195], v[4:5], v[146:147]
	v_mul_f64_e32 v[146:147], v[6:7], v[146:147]
	v_fmac_f64_e32 v[196:197], v[190:191], v[140:141]
	v_fma_f64 v[188:189], v[188:189], v[140:141], -v[142:143]
	scratch_load_b128 v[140:143], off, off offset:752
	v_add_f64_e32 v[192:193], v[192:193], v[198:199]
	v_add_f64_e32 v[190:191], v[202:203], v[200:201]
	v_fmac_f64_e32 v[194:195], v[6:7], v[144:145]
	v_fma_f64 v[200:201], v[4:5], v[144:145], -v[146:147]
	ds_load_b128 v[4:7], v2 offset:1584
	s_wait_loadcnt_dscnt 0xb01
	v_mul_f64_e32 v[198:199], v[180:181], v[150:151]
	v_mul_f64_e32 v[150:151], v[182:183], v[150:151]
	scratch_load_b128 v[144:147], off, off offset:768
	v_add_f64_e32 v[192:193], v[192:193], v[196:197]
	s_wait_loadcnt_dscnt 0xb00
	v_mul_f64_e32 v[196:197], v[4:5], v[154:155]
	v_add_f64_e32 v[202:203], v[190:191], v[188:189]
	v_mul_f64_e32 v[154:155], v[6:7], v[154:155]
	ds_load_b128 v[188:191], v2 offset:1600
	v_fmac_f64_e32 v[198:199], v[182:183], v[148:149]
	v_fma_f64 v[180:181], v[180:181], v[148:149], -v[150:151]
	scratch_load_b128 v[148:151], off, off offset:784
	v_add_f64_e32 v[192:193], v[192:193], v[194:195]
	v_fmac_f64_e32 v[196:197], v[6:7], v[152:153]
	v_add_f64_e32 v[182:183], v[202:203], v[200:201]
	v_fma_f64 v[200:201], v[4:5], v[152:153], -v[154:155]
	ds_load_b128 v[4:7], v2 offset:1616
	s_wait_loadcnt_dscnt 0xb01
	v_mul_f64_e32 v[194:195], v[188:189], v[158:159]
	v_mul_f64_e32 v[158:159], v[190:191], v[158:159]
	scratch_load_b128 v[152:155], off, off offset:800
	v_add_f64_e32 v[192:193], v[192:193], v[198:199]
	s_wait_loadcnt_dscnt 0xb00
	v_mul_f64_e32 v[198:199], v[4:5], v[162:163]
	v_add_f64_e32 v[202:203], v[182:183], v[180:181]
	v_mul_f64_e32 v[162:163], v[6:7], v[162:163]
	ds_load_b128 v[180:183], v2 offset:1632
	v_fmac_f64_e32 v[194:195], v[190:191], v[156:157]
	v_fma_f64 v[188:189], v[188:189], v[156:157], -v[158:159]
	scratch_load_b128 v[156:159], off, off offset:816
	v_add_f64_e32 v[192:193], v[192:193], v[196:197]
	v_fmac_f64_e32 v[198:199], v[6:7], v[160:161]
	v_add_f64_e32 v[190:191], v[202:203], v[200:201]
	;; [unrolled: 18-line block ×3, first 2 shown]
	v_fma_f64 v[200:201], v[4:5], v[172:173], -v[174:175]
	ds_load_b128 v[4:7], v2 offset:1680
	s_wait_loadcnt_dscnt 0xa01
	v_mul_f64_e32 v[198:199], v[188:189], v[186:187]
	v_mul_f64_e32 v[186:187], v[190:191], v[186:187]
	scratch_load_b128 v[172:175], off, off offset:864
	v_add_f64_e32 v[192:193], v[192:193], v[196:197]
	v_add_f64_e32 v[202:203], v[182:183], v[180:181]
	s_wait_loadcnt_dscnt 0xa00
	v_mul_f64_e32 v[196:197], v[4:5], v[170:171]
	v_mul_f64_e32 v[170:171], v[6:7], v[170:171]
	v_fmac_f64_e32 v[198:199], v[190:191], v[184:185]
	v_fma_f64 v[188:189], v[188:189], v[184:185], -v[186:187]
	ds_load_b128 v[180:183], v2 offset:1696
	scratch_load_b128 v[184:187], off, off offset:880
	v_add_f64_e32 v[192:193], v[192:193], v[194:195]
	v_add_f64_e32 v[190:191], v[202:203], v[200:201]
	v_fmac_f64_e32 v[196:197], v[6:7], v[168:169]
	v_fma_f64 v[200:201], v[4:5], v[168:169], -v[170:171]
	ds_load_b128 v[4:7], v2 offset:1712
	s_wait_loadcnt_dscnt 0xa01
	v_mul_f64_e32 v[194:195], v[180:181], v[10:11]
	v_mul_f64_e32 v[10:11], v[182:183], v[10:11]
	scratch_load_b128 v[168:171], off, off offset:896
	v_add_f64_e32 v[192:193], v[192:193], v[198:199]
	s_wait_loadcnt_dscnt 0xa00
	v_mul_f64_e32 v[198:199], v[4:5], v[14:15]
	v_add_f64_e32 v[202:203], v[190:191], v[188:189]
	v_mul_f64_e32 v[14:15], v[6:7], v[14:15]
	ds_load_b128 v[188:191], v2 offset:1728
	v_fmac_f64_e32 v[194:195], v[182:183], v[8:9]
	v_fma_f64 v[180:181], v[180:181], v[8:9], -v[10:11]
	scratch_load_b128 v[8:11], off, off offset:912
	v_add_f64_e32 v[192:193], v[192:193], v[196:197]
	v_fmac_f64_e32 v[198:199], v[6:7], v[12:13]
	v_add_f64_e32 v[182:183], v[202:203], v[200:201]
	v_fma_f64 v[200:201], v[4:5], v[12:13], -v[14:15]
	ds_load_b128 v[4:7], v2 offset:1744
	s_wait_loadcnt_dscnt 0xa01
	v_mul_f64_e32 v[196:197], v[188:189], v[142:143]
	v_mul_f64_e32 v[142:143], v[190:191], v[142:143]
	scratch_load_b128 v[12:15], off, off offset:928
	v_add_f64_e32 v[192:193], v[192:193], v[194:195]
	s_wait_loadcnt_dscnt 0xa00
	v_mul_f64_e32 v[194:195], v[4:5], v[146:147]
	v_add_f64_e32 v[202:203], v[182:183], v[180:181]
	v_mul_f64_e32 v[146:147], v[6:7], v[146:147]
	ds_load_b128 v[180:183], v2 offset:1760
	v_fmac_f64_e32 v[196:197], v[190:191], v[140:141]
	v_fma_f64 v[188:189], v[188:189], v[140:141], -v[142:143]
	scratch_load_b128 v[140:143], off, off offset:944
	v_add_f64_e32 v[192:193], v[192:193], v[198:199]
	v_fmac_f64_e32 v[194:195], v[6:7], v[144:145]
	v_add_f64_e32 v[190:191], v[202:203], v[200:201]
	v_fma_f64 v[200:201], v[4:5], v[144:145], -v[146:147]
	ds_load_b128 v[4:7], v2 offset:1776
	s_wait_loadcnt_dscnt 0xa01
	v_mul_f64_e32 v[198:199], v[180:181], v[150:151]
	v_mul_f64_e32 v[150:151], v[182:183], v[150:151]
	scratch_load_b128 v[144:147], off, off offset:960
	v_add_f64_e32 v[192:193], v[192:193], v[196:197]
	s_wait_loadcnt_dscnt 0xa00
	v_mul_f64_e32 v[196:197], v[4:5], v[154:155]
	v_add_f64_e32 v[202:203], v[190:191], v[188:189]
	v_mul_f64_e32 v[154:155], v[6:7], v[154:155]
	ds_load_b128 v[188:191], v2 offset:1792
	v_fmac_f64_e32 v[198:199], v[182:183], v[148:149]
	v_fma_f64 v[148:149], v[180:181], v[148:149], -v[150:151]
	s_wait_loadcnt_dscnt 0x900
	v_mul_f64_e32 v[182:183], v[188:189], v[158:159]
	v_mul_f64_e32 v[158:159], v[190:191], v[158:159]
	v_add_f64_e32 v[180:181], v[192:193], v[194:195]
	v_fmac_f64_e32 v[196:197], v[6:7], v[152:153]
	v_add_f64_e32 v[150:151], v[202:203], v[200:201]
	v_fma_f64 v[152:153], v[4:5], v[152:153], -v[154:155]
	v_fmac_f64_e32 v[182:183], v[190:191], v[156:157]
	v_fma_f64 v[156:157], v[188:189], v[156:157], -v[158:159]
	v_add_f64_e32 v[180:181], v[180:181], v[198:199]
	v_add_f64_e32 v[154:155], v[150:151], v[148:149]
	ds_load_b128 v[4:7], v2 offset:1808
	ds_load_b128 v[148:151], v2 offset:1824
	s_wait_loadcnt_dscnt 0x801
	v_mul_f64_e32 v[192:193], v[4:5], v[162:163]
	v_mul_f64_e32 v[162:163], v[6:7], v[162:163]
	s_wait_loadcnt_dscnt 0x700
	v_mul_f64_e32 v[158:159], v[148:149], v[166:167]
	v_mul_f64_e32 v[166:167], v[150:151], v[166:167]
	v_add_f64_e32 v[152:153], v[154:155], v[152:153]
	v_add_f64_e32 v[154:155], v[180:181], v[196:197]
	v_fmac_f64_e32 v[192:193], v[6:7], v[160:161]
	v_fma_f64 v[160:161], v[4:5], v[160:161], -v[162:163]
	v_fmac_f64_e32 v[158:159], v[150:151], v[164:165]
	v_fma_f64 v[148:149], v[148:149], v[164:165], -v[166:167]
	v_add_f64_e32 v[156:157], v[152:153], v[156:157]
	v_add_f64_e32 v[162:163], v[154:155], v[182:183]
	ds_load_b128 v[4:7], v2 offset:1840
	ds_load_b128 v[152:155], v2 offset:1856
	s_wait_loadcnt_dscnt 0x601
	v_mul_f64_e32 v[180:181], v[4:5], v[174:175]
	v_mul_f64_e32 v[174:175], v[6:7], v[174:175]
	v_add_f64_e32 v[150:151], v[156:157], v[160:161]
	v_add_f64_e32 v[156:157], v[162:163], v[192:193]
	s_wait_loadcnt_dscnt 0x500
	v_mul_f64_e32 v[160:161], v[152:153], v[186:187]
	v_mul_f64_e32 v[162:163], v[154:155], v[186:187]
	v_fmac_f64_e32 v[180:181], v[6:7], v[172:173]
	v_fma_f64 v[164:165], v[4:5], v[172:173], -v[174:175]
	v_add_f64_e32 v[166:167], v[150:151], v[148:149]
	v_add_f64_e32 v[156:157], v[156:157], v[158:159]
	ds_load_b128 v[4:7], v2 offset:1872
	ds_load_b128 v[148:151], v2 offset:1888
	v_fmac_f64_e32 v[160:161], v[154:155], v[184:185]
	v_fma_f64 v[152:153], v[152:153], v[184:185], -v[162:163]
	s_wait_loadcnt_dscnt 0x401
	v_mul_f64_e32 v[158:159], v[4:5], v[170:171]
	v_mul_f64_e32 v[170:171], v[6:7], v[170:171]
	s_wait_loadcnt_dscnt 0x300
	v_mul_f64_e32 v[162:163], v[148:149], v[10:11]
	v_mul_f64_e32 v[10:11], v[150:151], v[10:11]
	v_add_f64_e32 v[154:155], v[166:167], v[164:165]
	v_add_f64_e32 v[156:157], v[156:157], v[180:181]
	v_fmac_f64_e32 v[158:159], v[6:7], v[168:169]
	v_fma_f64 v[164:165], v[4:5], v[168:169], -v[170:171]
	v_fmac_f64_e32 v[162:163], v[150:151], v[8:9]
	v_fma_f64 v[8:9], v[148:149], v[8:9], -v[10:11]
	v_add_f64_e32 v[166:167], v[154:155], v[152:153]
	v_add_f64_e32 v[156:157], v[156:157], v[160:161]
	ds_load_b128 v[4:7], v2 offset:1904
	ds_load_b128 v[152:155], v2 offset:1920
	s_wait_loadcnt_dscnt 0x201
	v_mul_f64_e32 v[160:161], v[4:5], v[14:15]
	v_mul_f64_e32 v[14:15], v[6:7], v[14:15]
	s_wait_loadcnt_dscnt 0x100
	v_mul_f64_e32 v[150:151], v[152:153], v[142:143]
	v_mul_f64_e32 v[142:143], v[154:155], v[142:143]
	v_add_f64_e32 v[10:11], v[166:167], v[164:165]
	v_add_f64_e32 v[148:149], v[156:157], v[158:159]
	v_fmac_f64_e32 v[160:161], v[6:7], v[12:13]
	v_fma_f64 v[12:13], v[4:5], v[12:13], -v[14:15]
	ds_load_b128 v[4:7], v2 offset:1936
	v_fmac_f64_e32 v[150:151], v[154:155], v[140:141]
	v_fma_f64 v[140:141], v[152:153], v[140:141], -v[142:143]
	v_add_f64_e32 v[8:9], v[10:11], v[8:9]
	v_add_f64_e32 v[10:11], v[148:149], v[162:163]
	s_wait_loadcnt_dscnt 0x0
	v_mul_f64_e32 v[14:15], v[4:5], v[146:147]
	v_mul_f64_e32 v[146:147], v[6:7], v[146:147]
	s_delay_alu instid0(VALU_DEP_4) | instskip(NEXT) | instid1(VALU_DEP_4)
	v_add_f64_e32 v[8:9], v[8:9], v[12:13]
	v_add_f64_e32 v[10:11], v[10:11], v[160:161]
	s_delay_alu instid0(VALU_DEP_4) | instskip(NEXT) | instid1(VALU_DEP_4)
	v_fmac_f64_e32 v[14:15], v[6:7], v[144:145]
	v_fma_f64 v[4:5], v[4:5], v[144:145], -v[146:147]
	s_delay_alu instid0(VALU_DEP_4) | instskip(NEXT) | instid1(VALU_DEP_4)
	v_add_f64_e32 v[6:7], v[8:9], v[140:141]
	v_add_f64_e32 v[8:9], v[10:11], v[150:151]
	s_delay_alu instid0(VALU_DEP_2) | instskip(NEXT) | instid1(VALU_DEP_2)
	v_add_f64_e32 v[4:5], v[6:7], v[4:5]
	v_add_f64_e32 v[6:7], v[8:9], v[14:15]
	s_delay_alu instid0(VALU_DEP_2) | instskip(NEXT) | instid1(VALU_DEP_2)
	v_add_f64_e64 v[4:5], v[176:177], -v[4:5]
	v_add_f64_e64 v[6:7], v[178:179], -v[6:7]
	scratch_store_b128 off, v[4:7], off offset:496
	s_wait_xcnt 0x0
	v_cmpx_lt_u32_e32 30, v1
	s_cbranch_execz .LBB60_331
; %bb.330:
	scratch_load_b128 v[6:9], off, s50
	v_dual_mov_b32 v3, v2 :: v_dual_mov_b32 v4, v2
	v_mov_b32_e32 v5, v2
	scratch_store_b128 off, v[2:5], off offset:480
	s_wait_loadcnt 0x0
	ds_store_b128 v138, v[6:9]
.LBB60_331:
	s_wait_xcnt 0x0
	s_or_b32 exec_lo, exec_lo, s2
	s_wait_storecnt_dscnt 0x0
	s_barrier_signal -1
	s_barrier_wait -1
	s_clause 0x9
	scratch_load_b128 v[4:7], off, off offset:496
	scratch_load_b128 v[8:11], off, off offset:512
	;; [unrolled: 1-line block ×10, first 2 shown]
	ds_load_b128 v[168:171], v2 offset:1472
	ds_load_b128 v[176:179], v2 offset:1488
	s_clause 0x2
	scratch_load_b128 v[172:175], off, off offset:656
	scratch_load_b128 v[180:183], off, off offset:480
	;; [unrolled: 1-line block ×3, first 2 shown]
	s_mov_b32 s2, exec_lo
	s_wait_loadcnt_dscnt 0xc01
	v_mul_f64_e32 v[188:189], v[170:171], v[6:7]
	v_mul_f64_e32 v[192:193], v[168:169], v[6:7]
	s_wait_loadcnt_dscnt 0xb00
	v_mul_f64_e32 v[194:195], v[176:177], v[10:11]
	v_mul_f64_e32 v[10:11], v[178:179], v[10:11]
	s_delay_alu instid0(VALU_DEP_4) | instskip(NEXT) | instid1(VALU_DEP_4)
	v_fma_f64 v[196:197], v[168:169], v[4:5], -v[188:189]
	v_fmac_f64_e32 v[192:193], v[170:171], v[4:5]
	ds_load_b128 v[4:7], v2 offset:1504
	ds_load_b128 v[168:171], v2 offset:1520
	scratch_load_b128 v[188:191], off, off offset:688
	v_fmac_f64_e32 v[194:195], v[178:179], v[8:9]
	v_fma_f64 v[176:177], v[176:177], v[8:9], -v[10:11]
	scratch_load_b128 v[8:11], off, off offset:704
	s_wait_loadcnt_dscnt 0xc01
	v_mul_f64_e32 v[198:199], v[4:5], v[14:15]
	v_mul_f64_e32 v[14:15], v[6:7], v[14:15]
	v_add_f64_e32 v[178:179], 0, v[196:197]
	v_add_f64_e32 v[192:193], 0, v[192:193]
	s_wait_loadcnt_dscnt 0xb00
	v_mul_f64_e32 v[196:197], v[168:169], v[142:143]
	v_mul_f64_e32 v[142:143], v[170:171], v[142:143]
	v_fmac_f64_e32 v[198:199], v[6:7], v[12:13]
	v_fma_f64 v[200:201], v[4:5], v[12:13], -v[14:15]
	ds_load_b128 v[4:7], v2 offset:1536
	ds_load_b128 v[12:15], v2 offset:1552
	v_add_f64_e32 v[202:203], v[178:179], v[176:177]
	v_add_f64_e32 v[192:193], v[192:193], v[194:195]
	scratch_load_b128 v[176:179], off, off offset:720
	v_fmac_f64_e32 v[196:197], v[170:171], v[140:141]
	v_fma_f64 v[168:169], v[168:169], v[140:141], -v[142:143]
	scratch_load_b128 v[140:143], off, off offset:736
	s_wait_loadcnt_dscnt 0xc01
	v_mul_f64_e32 v[194:195], v[4:5], v[146:147]
	v_mul_f64_e32 v[146:147], v[6:7], v[146:147]
	v_add_f64_e32 v[170:171], v[202:203], v[200:201]
	v_add_f64_e32 v[192:193], v[192:193], v[198:199]
	s_wait_loadcnt_dscnt 0xb00
	v_mul_f64_e32 v[198:199], v[12:13], v[150:151]
	v_mul_f64_e32 v[150:151], v[14:15], v[150:151]
	v_fmac_f64_e32 v[194:195], v[6:7], v[144:145]
	v_fma_f64 v[200:201], v[4:5], v[144:145], -v[146:147]
	ds_load_b128 v[4:7], v2 offset:1568
	ds_load_b128 v[144:147], v2 offset:1584
	v_add_f64_e32 v[202:203], v[170:171], v[168:169]
	v_add_f64_e32 v[192:193], v[192:193], v[196:197]
	scratch_load_b128 v[168:171], off, off offset:752
	s_wait_loadcnt_dscnt 0xb01
	v_mul_f64_e32 v[196:197], v[4:5], v[154:155]
	v_mul_f64_e32 v[154:155], v[6:7], v[154:155]
	v_fmac_f64_e32 v[198:199], v[14:15], v[148:149]
	v_fma_f64 v[148:149], v[12:13], v[148:149], -v[150:151]
	scratch_load_b128 v[12:15], off, off offset:768
	v_add_f64_e32 v[150:151], v[202:203], v[200:201]
	v_add_f64_e32 v[192:193], v[192:193], v[194:195]
	s_wait_loadcnt_dscnt 0xb00
	v_mul_f64_e32 v[194:195], v[144:145], v[158:159]
	v_mul_f64_e32 v[158:159], v[146:147], v[158:159]
	v_fmac_f64_e32 v[196:197], v[6:7], v[152:153]
	v_fma_f64 v[200:201], v[4:5], v[152:153], -v[154:155]
	v_add_f64_e32 v[202:203], v[150:151], v[148:149]
	v_add_f64_e32 v[192:193], v[192:193], v[198:199]
	ds_load_b128 v[4:7], v2 offset:1600
	ds_load_b128 v[148:151], v2 offset:1616
	scratch_load_b128 v[152:155], off, off offset:784
	v_fmac_f64_e32 v[194:195], v[146:147], v[156:157]
	v_fma_f64 v[156:157], v[144:145], v[156:157], -v[158:159]
	scratch_load_b128 v[144:147], off, off offset:800
	s_wait_loadcnt_dscnt 0xc01
	v_mul_f64_e32 v[198:199], v[4:5], v[162:163]
	v_mul_f64_e32 v[162:163], v[6:7], v[162:163]
	v_add_f64_e32 v[158:159], v[202:203], v[200:201]
	v_add_f64_e32 v[192:193], v[192:193], v[196:197]
	s_wait_loadcnt_dscnt 0xb00
	v_mul_f64_e32 v[196:197], v[148:149], v[166:167]
	v_mul_f64_e32 v[166:167], v[150:151], v[166:167]
	v_fmac_f64_e32 v[198:199], v[6:7], v[160:161]
	v_fma_f64 v[200:201], v[4:5], v[160:161], -v[162:163]
	v_add_f64_e32 v[202:203], v[158:159], v[156:157]
	v_add_f64_e32 v[192:193], v[192:193], v[194:195]
	ds_load_b128 v[4:7], v2 offset:1632
	ds_load_b128 v[156:159], v2 offset:1648
	scratch_load_b128 v[160:163], off, off offset:816
	v_fmac_f64_e32 v[196:197], v[150:151], v[164:165]
	v_fma_f64 v[164:165], v[148:149], v[164:165], -v[166:167]
	scratch_load_b128 v[148:151], off, off offset:832
	s_wait_loadcnt_dscnt 0xc01
	v_mul_f64_e32 v[194:195], v[4:5], v[174:175]
	v_mul_f64_e32 v[174:175], v[6:7], v[174:175]
	v_add_f64_e32 v[166:167], v[202:203], v[200:201]
	v_add_f64_e32 v[192:193], v[192:193], v[198:199]
	s_wait_loadcnt_dscnt 0xa00
	v_mul_f64_e32 v[198:199], v[156:157], v[186:187]
	v_mul_f64_e32 v[186:187], v[158:159], v[186:187]
	v_fmac_f64_e32 v[194:195], v[6:7], v[172:173]
	v_fma_f64 v[200:201], v[4:5], v[172:173], -v[174:175]
	v_add_f64_e32 v[202:203], v[166:167], v[164:165]
	v_add_f64_e32 v[192:193], v[192:193], v[196:197]
	ds_load_b128 v[4:7], v2 offset:1664
	ds_load_b128 v[164:167], v2 offset:1680
	scratch_load_b128 v[172:175], off, off offset:848
	v_fmac_f64_e32 v[198:199], v[158:159], v[184:185]
	v_fma_f64 v[184:185], v[156:157], v[184:185], -v[186:187]
	scratch_load_b128 v[156:159], off, off offset:864
	s_wait_loadcnt_dscnt 0xb01
	v_mul_f64_e32 v[196:197], v[4:5], v[190:191]
	v_mul_f64_e32 v[190:191], v[6:7], v[190:191]
	v_add_f64_e32 v[186:187], v[202:203], v[200:201]
	v_add_f64_e32 v[192:193], v[192:193], v[194:195]
	s_wait_loadcnt_dscnt 0xa00
	v_mul_f64_e32 v[194:195], v[164:165], v[10:11]
	v_mul_f64_e32 v[10:11], v[166:167], v[10:11]
	v_fmac_f64_e32 v[196:197], v[6:7], v[188:189]
	v_fma_f64 v[200:201], v[4:5], v[188:189], -v[190:191]
	v_add_f64_e32 v[202:203], v[186:187], v[184:185]
	v_add_f64_e32 v[192:193], v[192:193], v[198:199]
	ds_load_b128 v[4:7], v2 offset:1696
	ds_load_b128 v[184:187], v2 offset:1712
	scratch_load_b128 v[188:191], off, off offset:880
	v_fmac_f64_e32 v[194:195], v[166:167], v[8:9]
	v_fma_f64 v[164:165], v[164:165], v[8:9], -v[10:11]
	scratch_load_b128 v[8:11], off, off offset:896
	s_wait_loadcnt_dscnt 0xb01
	v_mul_f64_e32 v[198:199], v[4:5], v[178:179]
	v_mul_f64_e32 v[178:179], v[6:7], v[178:179]
	v_add_f64_e32 v[166:167], v[202:203], v[200:201]
	v_add_f64_e32 v[192:193], v[192:193], v[196:197]
	s_wait_loadcnt_dscnt 0xa00
	v_mul_f64_e32 v[196:197], v[184:185], v[142:143]
	v_mul_f64_e32 v[142:143], v[186:187], v[142:143]
	v_fmac_f64_e32 v[198:199], v[6:7], v[176:177]
	v_fma_f64 v[200:201], v[4:5], v[176:177], -v[178:179]
	v_add_f64_e32 v[202:203], v[166:167], v[164:165]
	v_add_f64_e32 v[192:193], v[192:193], v[194:195]
	ds_load_b128 v[4:7], v2 offset:1728
	ds_load_b128 v[164:167], v2 offset:1744
	scratch_load_b128 v[176:179], off, off offset:912
	v_fmac_f64_e32 v[196:197], v[186:187], v[140:141]
	v_fma_f64 v[184:185], v[184:185], v[140:141], -v[142:143]
	scratch_load_b128 v[140:143], off, off offset:928
	s_wait_loadcnt_dscnt 0xb01
	v_mul_f64_e32 v[194:195], v[4:5], v[170:171]
	v_mul_f64_e32 v[170:171], v[6:7], v[170:171]
	v_add_f64_e32 v[186:187], v[202:203], v[200:201]
	v_add_f64_e32 v[192:193], v[192:193], v[198:199]
	s_wait_loadcnt_dscnt 0xa00
	v_mul_f64_e32 v[198:199], v[164:165], v[14:15]
	v_mul_f64_e32 v[14:15], v[166:167], v[14:15]
	v_fmac_f64_e32 v[194:195], v[6:7], v[168:169]
	v_fma_f64 v[200:201], v[4:5], v[168:169], -v[170:171]
	ds_load_b128 v[4:7], v2 offset:1760
	ds_load_b128 v[168:171], v2 offset:1776
	v_add_f64_e32 v[202:203], v[186:187], v[184:185]
	v_add_f64_e32 v[192:193], v[192:193], v[196:197]
	scratch_load_b128 v[184:187], off, off offset:944
	v_fmac_f64_e32 v[198:199], v[166:167], v[12:13]
	v_fma_f64 v[164:165], v[164:165], v[12:13], -v[14:15]
	scratch_load_b128 v[12:15], off, off offset:960
	s_wait_loadcnt_dscnt 0xb01
	v_mul_f64_e32 v[196:197], v[4:5], v[154:155]
	v_mul_f64_e32 v[154:155], v[6:7], v[154:155]
	v_add_f64_e32 v[166:167], v[202:203], v[200:201]
	v_add_f64_e32 v[192:193], v[192:193], v[194:195]
	s_wait_loadcnt_dscnt 0xa00
	v_mul_f64_e32 v[194:195], v[168:169], v[146:147]
	v_mul_f64_e32 v[146:147], v[170:171], v[146:147]
	v_fmac_f64_e32 v[196:197], v[6:7], v[152:153]
	v_fma_f64 v[200:201], v[4:5], v[152:153], -v[154:155]
	ds_load_b128 v[4:7], v2 offset:1792
	ds_load_b128 v[152:155], v2 offset:1808
	v_add_f64_e32 v[164:165], v[166:167], v[164:165]
	v_add_f64_e32 v[166:167], v[192:193], v[198:199]
	v_fmac_f64_e32 v[194:195], v[170:171], v[144:145]
	s_wait_loadcnt_dscnt 0x901
	v_mul_f64_e32 v[192:193], v[4:5], v[162:163]
	v_mul_f64_e32 v[162:163], v[6:7], v[162:163]
	v_fma_f64 v[144:145], v[168:169], v[144:145], -v[146:147]
	v_add_f64_e32 v[146:147], v[164:165], v[200:201]
	v_add_f64_e32 v[164:165], v[166:167], v[196:197]
	s_wait_loadcnt_dscnt 0x800
	v_mul_f64_e32 v[166:167], v[152:153], v[150:151]
	v_mul_f64_e32 v[150:151], v[154:155], v[150:151]
	v_fmac_f64_e32 v[192:193], v[6:7], v[160:161]
	v_fma_f64 v[160:161], v[4:5], v[160:161], -v[162:163]
	v_add_f64_e32 v[162:163], v[146:147], v[144:145]
	v_add_f64_e32 v[164:165], v[164:165], v[194:195]
	ds_load_b128 v[4:7], v2 offset:1824
	ds_load_b128 v[144:147], v2 offset:1840
	v_fmac_f64_e32 v[166:167], v[154:155], v[148:149]
	v_fma_f64 v[148:149], v[152:153], v[148:149], -v[150:151]
	s_wait_loadcnt_dscnt 0x701
	v_mul_f64_e32 v[168:169], v[4:5], v[174:175]
	v_mul_f64_e32 v[170:171], v[6:7], v[174:175]
	s_wait_loadcnt_dscnt 0x600
	v_mul_f64_e32 v[154:155], v[144:145], v[158:159]
	v_mul_f64_e32 v[158:159], v[146:147], v[158:159]
	v_add_f64_e32 v[150:151], v[162:163], v[160:161]
	v_add_f64_e32 v[152:153], v[164:165], v[192:193]
	v_fmac_f64_e32 v[168:169], v[6:7], v[172:173]
	v_fma_f64 v[160:161], v[4:5], v[172:173], -v[170:171]
	v_fmac_f64_e32 v[154:155], v[146:147], v[156:157]
	v_fma_f64 v[144:145], v[144:145], v[156:157], -v[158:159]
	v_add_f64_e32 v[162:163], v[150:151], v[148:149]
	v_add_f64_e32 v[152:153], v[152:153], v[166:167]
	ds_load_b128 v[4:7], v2 offset:1856
	ds_load_b128 v[148:151], v2 offset:1872
	s_wait_loadcnt_dscnt 0x501
	v_mul_f64_e32 v[164:165], v[4:5], v[190:191]
	v_mul_f64_e32 v[166:167], v[6:7], v[190:191]
	s_wait_loadcnt_dscnt 0x400
	v_mul_f64_e32 v[156:157], v[148:149], v[10:11]
	v_mul_f64_e32 v[10:11], v[150:151], v[10:11]
	v_add_f64_e32 v[146:147], v[162:163], v[160:161]
	v_add_f64_e32 v[152:153], v[152:153], v[168:169]
	v_fmac_f64_e32 v[164:165], v[6:7], v[188:189]
	v_fma_f64 v[158:159], v[4:5], v[188:189], -v[166:167]
	v_fmac_f64_e32 v[156:157], v[150:151], v[8:9]
	v_fma_f64 v[8:9], v[148:149], v[8:9], -v[10:11]
	v_add_f64_e32 v[160:161], v[146:147], v[144:145]
	v_add_f64_e32 v[152:153], v[152:153], v[154:155]
	ds_load_b128 v[4:7], v2 offset:1888
	ds_load_b128 v[144:147], v2 offset:1904
	;; [unrolled: 16-line block ×3, first 2 shown]
	s_wait_loadcnt_dscnt 0x101
	v_mul_f64_e32 v[2:3], v[4:5], v[186:187]
	v_mul_f64_e32 v[156:157], v[6:7], v[186:187]
	s_wait_loadcnt_dscnt 0x0
	v_mul_f64_e32 v[146:147], v[8:9], v[14:15]
	v_mul_f64_e32 v[14:15], v[10:11], v[14:15]
	v_add_f64_e32 v[142:143], v[158:159], v[152:153]
	v_add_f64_e32 v[144:145], v[148:149], v[154:155]
	v_fmac_f64_e32 v[2:3], v[6:7], v[184:185]
	v_fma_f64 v[4:5], v[4:5], v[184:185], -v[156:157]
	v_fmac_f64_e32 v[146:147], v[10:11], v[12:13]
	v_fma_f64 v[8:9], v[8:9], v[12:13], -v[14:15]
	v_add_f64_e32 v[6:7], v[142:143], v[140:141]
	v_add_f64_e32 v[140:141], v[144:145], v[150:151]
	s_delay_alu instid0(VALU_DEP_2) | instskip(NEXT) | instid1(VALU_DEP_2)
	v_add_f64_e32 v[4:5], v[6:7], v[4:5]
	v_add_f64_e32 v[2:3], v[140:141], v[2:3]
	s_delay_alu instid0(VALU_DEP_2) | instskip(NEXT) | instid1(VALU_DEP_2)
	;; [unrolled: 3-line block ×3, first 2 shown]
	v_add_f64_e64 v[2:3], v[180:181], -v[4:5]
	v_add_f64_e64 v[4:5], v[182:183], -v[6:7]
	scratch_store_b128 off, v[2:5], off offset:480
	s_wait_xcnt 0x0
	v_cmpx_lt_u32_e32 29, v1
	s_cbranch_execz .LBB60_333
; %bb.332:
	scratch_load_b128 v[2:5], off, s49
	v_mov_b32_e32 v6, 0
	s_delay_alu instid0(VALU_DEP_1)
	v_dual_mov_b32 v7, v6 :: v_dual_mov_b32 v8, v6
	v_mov_b32_e32 v9, v6
	scratch_store_b128 off, v[6:9], off offset:464
	s_wait_loadcnt 0x0
	ds_store_b128 v138, v[2:5]
.LBB60_333:
	s_wait_xcnt 0x0
	s_or_b32 exec_lo, exec_lo, s2
	s_wait_storecnt_dscnt 0x0
	s_barrier_signal -1
	s_barrier_wait -1
	s_clause 0x9
	scratch_load_b128 v[4:7], off, off offset:480
	scratch_load_b128 v[8:11], off, off offset:496
	;; [unrolled: 1-line block ×10, first 2 shown]
	v_mov_b32_e32 v2, 0
	s_mov_b32 s2, exec_lo
	ds_load_b128 v[168:171], v2 offset:1456
	s_clause 0x2
	scratch_load_b128 v[172:175], off, off offset:640
	scratch_load_b128 v[176:179], off, off offset:464
	;; [unrolled: 1-line block ×3, first 2 shown]
	s_wait_loadcnt_dscnt 0xc00
	v_mul_f64_e32 v[188:189], v[170:171], v[6:7]
	v_mul_f64_e32 v[192:193], v[168:169], v[6:7]
	ds_load_b128 v[180:183], v2 offset:1472
	v_fma_f64 v[196:197], v[168:169], v[4:5], -v[188:189]
	v_fmac_f64_e32 v[192:193], v[170:171], v[4:5]
	ds_load_b128 v[4:7], v2 offset:1488
	s_wait_loadcnt_dscnt 0xb01
	v_mul_f64_e32 v[194:195], v[180:181], v[10:11]
	v_mul_f64_e32 v[10:11], v[182:183], v[10:11]
	scratch_load_b128 v[168:171], off, off offset:672
	ds_load_b128 v[188:191], v2 offset:1504
	s_wait_loadcnt_dscnt 0xb01
	v_mul_f64_e32 v[198:199], v[4:5], v[14:15]
	v_mul_f64_e32 v[14:15], v[6:7], v[14:15]
	v_add_f64_e32 v[192:193], 0, v[192:193]
	v_fmac_f64_e32 v[194:195], v[182:183], v[8:9]
	v_fma_f64 v[180:181], v[180:181], v[8:9], -v[10:11]
	v_add_f64_e32 v[182:183], 0, v[196:197]
	scratch_load_b128 v[8:11], off, off offset:688
	v_fmac_f64_e32 v[198:199], v[6:7], v[12:13]
	v_fma_f64 v[200:201], v[4:5], v[12:13], -v[14:15]
	ds_load_b128 v[4:7], v2 offset:1520
	s_wait_loadcnt_dscnt 0xb01
	v_mul_f64_e32 v[196:197], v[188:189], v[142:143]
	v_mul_f64_e32 v[142:143], v[190:191], v[142:143]
	scratch_load_b128 v[12:15], off, off offset:704
	v_add_f64_e32 v[192:193], v[192:193], v[194:195]
	v_add_f64_e32 v[202:203], v[182:183], v[180:181]
	ds_load_b128 v[180:183], v2 offset:1536
	s_wait_loadcnt_dscnt 0xb01
	v_mul_f64_e32 v[194:195], v[4:5], v[146:147]
	v_mul_f64_e32 v[146:147], v[6:7], v[146:147]
	v_fmac_f64_e32 v[196:197], v[190:191], v[140:141]
	v_fma_f64 v[188:189], v[188:189], v[140:141], -v[142:143]
	scratch_load_b128 v[140:143], off, off offset:720
	v_add_f64_e32 v[192:193], v[192:193], v[198:199]
	v_add_f64_e32 v[190:191], v[202:203], v[200:201]
	v_fmac_f64_e32 v[194:195], v[6:7], v[144:145]
	v_fma_f64 v[200:201], v[4:5], v[144:145], -v[146:147]
	ds_load_b128 v[4:7], v2 offset:1552
	s_wait_loadcnt_dscnt 0xb01
	v_mul_f64_e32 v[198:199], v[180:181], v[150:151]
	v_mul_f64_e32 v[150:151], v[182:183], v[150:151]
	scratch_load_b128 v[144:147], off, off offset:736
	v_add_f64_e32 v[192:193], v[192:193], v[196:197]
	s_wait_loadcnt_dscnt 0xb00
	v_mul_f64_e32 v[196:197], v[4:5], v[154:155]
	v_add_f64_e32 v[202:203], v[190:191], v[188:189]
	v_mul_f64_e32 v[154:155], v[6:7], v[154:155]
	ds_load_b128 v[188:191], v2 offset:1568
	v_fmac_f64_e32 v[198:199], v[182:183], v[148:149]
	v_fma_f64 v[180:181], v[180:181], v[148:149], -v[150:151]
	scratch_load_b128 v[148:151], off, off offset:752
	v_add_f64_e32 v[192:193], v[192:193], v[194:195]
	v_fmac_f64_e32 v[196:197], v[6:7], v[152:153]
	v_add_f64_e32 v[182:183], v[202:203], v[200:201]
	v_fma_f64 v[200:201], v[4:5], v[152:153], -v[154:155]
	ds_load_b128 v[4:7], v2 offset:1584
	s_wait_loadcnt_dscnt 0xb01
	v_mul_f64_e32 v[194:195], v[188:189], v[158:159]
	v_mul_f64_e32 v[158:159], v[190:191], v[158:159]
	scratch_load_b128 v[152:155], off, off offset:768
	v_add_f64_e32 v[192:193], v[192:193], v[198:199]
	s_wait_loadcnt_dscnt 0xb00
	v_mul_f64_e32 v[198:199], v[4:5], v[162:163]
	v_add_f64_e32 v[202:203], v[182:183], v[180:181]
	v_mul_f64_e32 v[162:163], v[6:7], v[162:163]
	ds_load_b128 v[180:183], v2 offset:1600
	v_fmac_f64_e32 v[194:195], v[190:191], v[156:157]
	v_fma_f64 v[188:189], v[188:189], v[156:157], -v[158:159]
	scratch_load_b128 v[156:159], off, off offset:784
	v_add_f64_e32 v[192:193], v[192:193], v[196:197]
	v_fmac_f64_e32 v[198:199], v[6:7], v[160:161]
	v_add_f64_e32 v[190:191], v[202:203], v[200:201]
	;; [unrolled: 18-line block ×3, first 2 shown]
	v_fma_f64 v[200:201], v[4:5], v[172:173], -v[174:175]
	ds_load_b128 v[4:7], v2 offset:1648
	s_wait_loadcnt_dscnt 0xa01
	v_mul_f64_e32 v[198:199], v[188:189], v[186:187]
	v_mul_f64_e32 v[186:187], v[190:191], v[186:187]
	scratch_load_b128 v[172:175], off, off offset:832
	v_add_f64_e32 v[192:193], v[192:193], v[196:197]
	v_add_f64_e32 v[202:203], v[182:183], v[180:181]
	s_wait_loadcnt_dscnt 0xa00
	v_mul_f64_e32 v[196:197], v[4:5], v[170:171]
	v_mul_f64_e32 v[170:171], v[6:7], v[170:171]
	v_fmac_f64_e32 v[198:199], v[190:191], v[184:185]
	v_fma_f64 v[188:189], v[188:189], v[184:185], -v[186:187]
	ds_load_b128 v[180:183], v2 offset:1664
	scratch_load_b128 v[184:187], off, off offset:848
	v_add_f64_e32 v[192:193], v[192:193], v[194:195]
	v_add_f64_e32 v[190:191], v[202:203], v[200:201]
	v_fmac_f64_e32 v[196:197], v[6:7], v[168:169]
	v_fma_f64 v[200:201], v[4:5], v[168:169], -v[170:171]
	ds_load_b128 v[4:7], v2 offset:1680
	s_wait_loadcnt_dscnt 0xa01
	v_mul_f64_e32 v[194:195], v[180:181], v[10:11]
	v_mul_f64_e32 v[10:11], v[182:183], v[10:11]
	scratch_load_b128 v[168:171], off, off offset:864
	v_add_f64_e32 v[192:193], v[192:193], v[198:199]
	s_wait_loadcnt_dscnt 0xa00
	v_mul_f64_e32 v[198:199], v[4:5], v[14:15]
	v_add_f64_e32 v[202:203], v[190:191], v[188:189]
	v_mul_f64_e32 v[14:15], v[6:7], v[14:15]
	ds_load_b128 v[188:191], v2 offset:1696
	v_fmac_f64_e32 v[194:195], v[182:183], v[8:9]
	v_fma_f64 v[180:181], v[180:181], v[8:9], -v[10:11]
	scratch_load_b128 v[8:11], off, off offset:880
	v_add_f64_e32 v[192:193], v[192:193], v[196:197]
	v_fmac_f64_e32 v[198:199], v[6:7], v[12:13]
	v_add_f64_e32 v[182:183], v[202:203], v[200:201]
	v_fma_f64 v[200:201], v[4:5], v[12:13], -v[14:15]
	ds_load_b128 v[4:7], v2 offset:1712
	s_wait_loadcnt_dscnt 0xa01
	v_mul_f64_e32 v[196:197], v[188:189], v[142:143]
	v_mul_f64_e32 v[142:143], v[190:191], v[142:143]
	scratch_load_b128 v[12:15], off, off offset:896
	v_add_f64_e32 v[192:193], v[192:193], v[194:195]
	s_wait_loadcnt_dscnt 0xa00
	v_mul_f64_e32 v[194:195], v[4:5], v[146:147]
	v_add_f64_e32 v[202:203], v[182:183], v[180:181]
	v_mul_f64_e32 v[146:147], v[6:7], v[146:147]
	ds_load_b128 v[180:183], v2 offset:1728
	v_fmac_f64_e32 v[196:197], v[190:191], v[140:141]
	v_fma_f64 v[188:189], v[188:189], v[140:141], -v[142:143]
	scratch_load_b128 v[140:143], off, off offset:912
	v_add_f64_e32 v[192:193], v[192:193], v[198:199]
	v_fmac_f64_e32 v[194:195], v[6:7], v[144:145]
	v_add_f64_e32 v[190:191], v[202:203], v[200:201]
	;; [unrolled: 18-line block ×3, first 2 shown]
	v_fma_f64 v[200:201], v[4:5], v[152:153], -v[154:155]
	ds_load_b128 v[4:7], v2 offset:1776
	s_wait_loadcnt_dscnt 0xa01
	v_mul_f64_e32 v[194:195], v[188:189], v[158:159]
	v_mul_f64_e32 v[158:159], v[190:191], v[158:159]
	scratch_load_b128 v[152:155], off, off offset:960
	v_add_f64_e32 v[192:193], v[192:193], v[198:199]
	s_wait_loadcnt_dscnt 0xa00
	v_mul_f64_e32 v[198:199], v[4:5], v[162:163]
	v_add_f64_e32 v[202:203], v[182:183], v[180:181]
	v_mul_f64_e32 v[162:163], v[6:7], v[162:163]
	ds_load_b128 v[180:183], v2 offset:1792
	v_fmac_f64_e32 v[194:195], v[190:191], v[156:157]
	v_fma_f64 v[156:157], v[188:189], v[156:157], -v[158:159]
	s_wait_loadcnt_dscnt 0x900
	v_mul_f64_e32 v[190:191], v[180:181], v[166:167]
	v_mul_f64_e32 v[166:167], v[182:183], v[166:167]
	v_add_f64_e32 v[188:189], v[192:193], v[196:197]
	v_fmac_f64_e32 v[198:199], v[6:7], v[160:161]
	v_add_f64_e32 v[158:159], v[202:203], v[200:201]
	v_fma_f64 v[160:161], v[4:5], v[160:161], -v[162:163]
	v_fmac_f64_e32 v[190:191], v[182:183], v[164:165]
	v_fma_f64 v[164:165], v[180:181], v[164:165], -v[166:167]
	v_add_f64_e32 v[188:189], v[188:189], v[194:195]
	v_add_f64_e32 v[162:163], v[158:159], v[156:157]
	ds_load_b128 v[4:7], v2 offset:1808
	ds_load_b128 v[156:159], v2 offset:1824
	s_wait_loadcnt_dscnt 0x801
	v_mul_f64_e32 v[192:193], v[4:5], v[174:175]
	v_mul_f64_e32 v[174:175], v[6:7], v[174:175]
	s_wait_loadcnt_dscnt 0x700
	v_mul_f64_e32 v[166:167], v[156:157], v[186:187]
	v_mul_f64_e32 v[180:181], v[158:159], v[186:187]
	v_add_f64_e32 v[160:161], v[162:163], v[160:161]
	v_add_f64_e32 v[162:163], v[188:189], v[198:199]
	v_fmac_f64_e32 v[192:193], v[6:7], v[172:173]
	v_fma_f64 v[172:173], v[4:5], v[172:173], -v[174:175]
	v_fmac_f64_e32 v[166:167], v[158:159], v[184:185]
	v_fma_f64 v[156:157], v[156:157], v[184:185], -v[180:181]
	v_add_f64_e32 v[164:165], v[160:161], v[164:165]
	v_add_f64_e32 v[174:175], v[162:163], v[190:191]
	ds_load_b128 v[4:7], v2 offset:1840
	ds_load_b128 v[160:163], v2 offset:1856
	s_wait_loadcnt_dscnt 0x601
	v_mul_f64_e32 v[182:183], v[4:5], v[170:171]
	v_mul_f64_e32 v[170:171], v[6:7], v[170:171]
	v_add_f64_e32 v[158:159], v[164:165], v[172:173]
	v_add_f64_e32 v[164:165], v[174:175], v[192:193]
	s_wait_loadcnt_dscnt 0x500
	v_mul_f64_e32 v[172:173], v[160:161], v[10:11]
	v_mul_f64_e32 v[10:11], v[162:163], v[10:11]
	v_fmac_f64_e32 v[182:183], v[6:7], v[168:169]
	v_fma_f64 v[168:169], v[4:5], v[168:169], -v[170:171]
	v_add_f64_e32 v[170:171], v[158:159], v[156:157]
	v_add_f64_e32 v[164:165], v[164:165], v[166:167]
	ds_load_b128 v[4:7], v2 offset:1872
	ds_load_b128 v[156:159], v2 offset:1888
	v_fmac_f64_e32 v[172:173], v[162:163], v[8:9]
	v_fma_f64 v[8:9], v[160:161], v[8:9], -v[10:11]
	s_wait_loadcnt_dscnt 0x401
	v_mul_f64_e32 v[166:167], v[4:5], v[14:15]
	v_mul_f64_e32 v[14:15], v[6:7], v[14:15]
	s_wait_loadcnt_dscnt 0x300
	v_mul_f64_e32 v[162:163], v[156:157], v[142:143]
	v_mul_f64_e32 v[142:143], v[158:159], v[142:143]
	v_add_f64_e32 v[10:11], v[170:171], v[168:169]
	v_add_f64_e32 v[160:161], v[164:165], v[182:183]
	v_fmac_f64_e32 v[166:167], v[6:7], v[12:13]
	v_fma_f64 v[12:13], v[4:5], v[12:13], -v[14:15]
	v_fmac_f64_e32 v[162:163], v[158:159], v[140:141]
	v_fma_f64 v[140:141], v[156:157], v[140:141], -v[142:143]
	v_add_f64_e32 v[14:15], v[10:11], v[8:9]
	v_add_f64_e32 v[160:161], v[160:161], v[172:173]
	ds_load_b128 v[4:7], v2 offset:1904
	ds_load_b128 v[8:11], v2 offset:1920
	s_wait_loadcnt_dscnt 0x201
	v_mul_f64_e32 v[164:165], v[4:5], v[146:147]
	v_mul_f64_e32 v[146:147], v[6:7], v[146:147]
	s_wait_loadcnt_dscnt 0x100
	v_mul_f64_e32 v[142:143], v[8:9], v[150:151]
	v_mul_f64_e32 v[150:151], v[10:11], v[150:151]
	v_add_f64_e32 v[12:13], v[14:15], v[12:13]
	v_add_f64_e32 v[14:15], v[160:161], v[166:167]
	v_fmac_f64_e32 v[164:165], v[6:7], v[144:145]
	v_fma_f64 v[144:145], v[4:5], v[144:145], -v[146:147]
	ds_load_b128 v[4:7], v2 offset:1936
	v_fmac_f64_e32 v[142:143], v[10:11], v[148:149]
	v_fma_f64 v[8:9], v[8:9], v[148:149], -v[150:151]
	v_add_f64_e32 v[12:13], v[12:13], v[140:141]
	v_add_f64_e32 v[14:15], v[14:15], v[162:163]
	s_wait_loadcnt_dscnt 0x0
	v_mul_f64_e32 v[140:141], v[4:5], v[154:155]
	v_mul_f64_e32 v[146:147], v[6:7], v[154:155]
	s_delay_alu instid0(VALU_DEP_4) | instskip(NEXT) | instid1(VALU_DEP_4)
	v_add_f64_e32 v[10:11], v[12:13], v[144:145]
	v_add_f64_e32 v[12:13], v[14:15], v[164:165]
	s_delay_alu instid0(VALU_DEP_4) | instskip(NEXT) | instid1(VALU_DEP_4)
	v_fmac_f64_e32 v[140:141], v[6:7], v[152:153]
	v_fma_f64 v[4:5], v[4:5], v[152:153], -v[146:147]
	s_delay_alu instid0(VALU_DEP_4) | instskip(NEXT) | instid1(VALU_DEP_4)
	v_add_f64_e32 v[6:7], v[10:11], v[8:9]
	v_add_f64_e32 v[8:9], v[12:13], v[142:143]
	s_delay_alu instid0(VALU_DEP_2) | instskip(NEXT) | instid1(VALU_DEP_2)
	v_add_f64_e32 v[4:5], v[6:7], v[4:5]
	v_add_f64_e32 v[6:7], v[8:9], v[140:141]
	s_delay_alu instid0(VALU_DEP_2) | instskip(NEXT) | instid1(VALU_DEP_2)
	v_add_f64_e64 v[4:5], v[176:177], -v[4:5]
	v_add_f64_e64 v[6:7], v[178:179], -v[6:7]
	scratch_store_b128 off, v[4:7], off offset:464
	s_wait_xcnt 0x0
	v_cmpx_lt_u32_e32 28, v1
	s_cbranch_execz .LBB60_335
; %bb.334:
	scratch_load_b128 v[6:9], off, s47
	v_dual_mov_b32 v3, v2 :: v_dual_mov_b32 v4, v2
	v_mov_b32_e32 v5, v2
	scratch_store_b128 off, v[2:5], off offset:448
	s_wait_loadcnt 0x0
	ds_store_b128 v138, v[6:9]
.LBB60_335:
	s_wait_xcnt 0x0
	s_or_b32 exec_lo, exec_lo, s2
	s_wait_storecnt_dscnt 0x0
	s_barrier_signal -1
	s_barrier_wait -1
	s_clause 0x9
	scratch_load_b128 v[4:7], off, off offset:464
	scratch_load_b128 v[8:11], off, off offset:480
	scratch_load_b128 v[12:15], off, off offset:496
	scratch_load_b128 v[140:143], off, off offset:512
	scratch_load_b128 v[144:147], off, off offset:528
	scratch_load_b128 v[148:151], off, off offset:544
	scratch_load_b128 v[152:155], off, off offset:560
	scratch_load_b128 v[156:159], off, off offset:576
	scratch_load_b128 v[160:163], off, off offset:592
	scratch_load_b128 v[164:167], off, off offset:608
	ds_load_b128 v[168:171], v2 offset:1440
	ds_load_b128 v[176:179], v2 offset:1456
	s_clause 0x2
	scratch_load_b128 v[172:175], off, off offset:624
	scratch_load_b128 v[180:183], off, off offset:448
	;; [unrolled: 1-line block ×3, first 2 shown]
	s_mov_b32 s2, exec_lo
	s_wait_loadcnt_dscnt 0xc01
	v_mul_f64_e32 v[188:189], v[170:171], v[6:7]
	v_mul_f64_e32 v[192:193], v[168:169], v[6:7]
	s_wait_loadcnt_dscnt 0xb00
	v_mul_f64_e32 v[194:195], v[176:177], v[10:11]
	v_mul_f64_e32 v[10:11], v[178:179], v[10:11]
	s_delay_alu instid0(VALU_DEP_4) | instskip(NEXT) | instid1(VALU_DEP_4)
	v_fma_f64 v[196:197], v[168:169], v[4:5], -v[188:189]
	v_fmac_f64_e32 v[192:193], v[170:171], v[4:5]
	ds_load_b128 v[4:7], v2 offset:1472
	ds_load_b128 v[168:171], v2 offset:1488
	scratch_load_b128 v[188:191], off, off offset:656
	v_fmac_f64_e32 v[194:195], v[178:179], v[8:9]
	v_fma_f64 v[176:177], v[176:177], v[8:9], -v[10:11]
	scratch_load_b128 v[8:11], off, off offset:672
	s_wait_loadcnt_dscnt 0xc01
	v_mul_f64_e32 v[198:199], v[4:5], v[14:15]
	v_mul_f64_e32 v[14:15], v[6:7], v[14:15]
	v_add_f64_e32 v[178:179], 0, v[196:197]
	v_add_f64_e32 v[192:193], 0, v[192:193]
	s_wait_loadcnt_dscnt 0xb00
	v_mul_f64_e32 v[196:197], v[168:169], v[142:143]
	v_mul_f64_e32 v[142:143], v[170:171], v[142:143]
	v_fmac_f64_e32 v[198:199], v[6:7], v[12:13]
	v_fma_f64 v[200:201], v[4:5], v[12:13], -v[14:15]
	ds_load_b128 v[4:7], v2 offset:1504
	ds_load_b128 v[12:15], v2 offset:1520
	v_add_f64_e32 v[202:203], v[178:179], v[176:177]
	v_add_f64_e32 v[192:193], v[192:193], v[194:195]
	scratch_load_b128 v[176:179], off, off offset:688
	v_fmac_f64_e32 v[196:197], v[170:171], v[140:141]
	v_fma_f64 v[168:169], v[168:169], v[140:141], -v[142:143]
	scratch_load_b128 v[140:143], off, off offset:704
	s_wait_loadcnt_dscnt 0xc01
	v_mul_f64_e32 v[194:195], v[4:5], v[146:147]
	v_mul_f64_e32 v[146:147], v[6:7], v[146:147]
	v_add_f64_e32 v[170:171], v[202:203], v[200:201]
	v_add_f64_e32 v[192:193], v[192:193], v[198:199]
	s_wait_loadcnt_dscnt 0xb00
	v_mul_f64_e32 v[198:199], v[12:13], v[150:151]
	v_mul_f64_e32 v[150:151], v[14:15], v[150:151]
	v_fmac_f64_e32 v[194:195], v[6:7], v[144:145]
	v_fma_f64 v[200:201], v[4:5], v[144:145], -v[146:147]
	ds_load_b128 v[4:7], v2 offset:1536
	ds_load_b128 v[144:147], v2 offset:1552
	v_add_f64_e32 v[202:203], v[170:171], v[168:169]
	v_add_f64_e32 v[192:193], v[192:193], v[196:197]
	scratch_load_b128 v[168:171], off, off offset:720
	s_wait_loadcnt_dscnt 0xb01
	v_mul_f64_e32 v[196:197], v[4:5], v[154:155]
	v_mul_f64_e32 v[154:155], v[6:7], v[154:155]
	v_fmac_f64_e32 v[198:199], v[14:15], v[148:149]
	v_fma_f64 v[148:149], v[12:13], v[148:149], -v[150:151]
	scratch_load_b128 v[12:15], off, off offset:736
	v_add_f64_e32 v[150:151], v[202:203], v[200:201]
	v_add_f64_e32 v[192:193], v[192:193], v[194:195]
	s_wait_loadcnt_dscnt 0xb00
	v_mul_f64_e32 v[194:195], v[144:145], v[158:159]
	v_mul_f64_e32 v[158:159], v[146:147], v[158:159]
	v_fmac_f64_e32 v[196:197], v[6:7], v[152:153]
	v_fma_f64 v[200:201], v[4:5], v[152:153], -v[154:155]
	v_add_f64_e32 v[202:203], v[150:151], v[148:149]
	v_add_f64_e32 v[192:193], v[192:193], v[198:199]
	ds_load_b128 v[4:7], v2 offset:1568
	ds_load_b128 v[148:151], v2 offset:1584
	scratch_load_b128 v[152:155], off, off offset:752
	v_fmac_f64_e32 v[194:195], v[146:147], v[156:157]
	v_fma_f64 v[156:157], v[144:145], v[156:157], -v[158:159]
	scratch_load_b128 v[144:147], off, off offset:768
	s_wait_loadcnt_dscnt 0xc01
	v_mul_f64_e32 v[198:199], v[4:5], v[162:163]
	v_mul_f64_e32 v[162:163], v[6:7], v[162:163]
	v_add_f64_e32 v[158:159], v[202:203], v[200:201]
	v_add_f64_e32 v[192:193], v[192:193], v[196:197]
	s_wait_loadcnt_dscnt 0xb00
	v_mul_f64_e32 v[196:197], v[148:149], v[166:167]
	v_mul_f64_e32 v[166:167], v[150:151], v[166:167]
	v_fmac_f64_e32 v[198:199], v[6:7], v[160:161]
	v_fma_f64 v[200:201], v[4:5], v[160:161], -v[162:163]
	v_add_f64_e32 v[202:203], v[158:159], v[156:157]
	v_add_f64_e32 v[192:193], v[192:193], v[194:195]
	ds_load_b128 v[4:7], v2 offset:1600
	ds_load_b128 v[156:159], v2 offset:1616
	scratch_load_b128 v[160:163], off, off offset:784
	v_fmac_f64_e32 v[196:197], v[150:151], v[164:165]
	v_fma_f64 v[164:165], v[148:149], v[164:165], -v[166:167]
	scratch_load_b128 v[148:151], off, off offset:800
	s_wait_loadcnt_dscnt 0xc01
	v_mul_f64_e32 v[194:195], v[4:5], v[174:175]
	v_mul_f64_e32 v[174:175], v[6:7], v[174:175]
	;; [unrolled: 18-line block ×5, first 2 shown]
	v_add_f64_e32 v[186:187], v[202:203], v[200:201]
	v_add_f64_e32 v[192:193], v[192:193], v[198:199]
	s_wait_loadcnt_dscnt 0xa00
	v_mul_f64_e32 v[198:199], v[164:165], v[14:15]
	v_mul_f64_e32 v[14:15], v[166:167], v[14:15]
	v_fmac_f64_e32 v[194:195], v[6:7], v[168:169]
	v_fma_f64 v[200:201], v[4:5], v[168:169], -v[170:171]
	ds_load_b128 v[4:7], v2 offset:1728
	ds_load_b128 v[168:171], v2 offset:1744
	v_add_f64_e32 v[202:203], v[186:187], v[184:185]
	v_add_f64_e32 v[192:193], v[192:193], v[196:197]
	scratch_load_b128 v[184:187], off, off offset:912
	v_fmac_f64_e32 v[198:199], v[166:167], v[12:13]
	v_fma_f64 v[164:165], v[164:165], v[12:13], -v[14:15]
	scratch_load_b128 v[12:15], off, off offset:928
	s_wait_loadcnt_dscnt 0xb01
	v_mul_f64_e32 v[196:197], v[4:5], v[154:155]
	v_mul_f64_e32 v[154:155], v[6:7], v[154:155]
	v_add_f64_e32 v[166:167], v[202:203], v[200:201]
	v_add_f64_e32 v[192:193], v[192:193], v[194:195]
	s_wait_loadcnt_dscnt 0xa00
	v_mul_f64_e32 v[194:195], v[168:169], v[146:147]
	v_mul_f64_e32 v[146:147], v[170:171], v[146:147]
	v_fmac_f64_e32 v[196:197], v[6:7], v[152:153]
	v_fma_f64 v[200:201], v[4:5], v[152:153], -v[154:155]
	ds_load_b128 v[4:7], v2 offset:1760
	ds_load_b128 v[152:155], v2 offset:1776
	v_add_f64_e32 v[202:203], v[166:167], v[164:165]
	v_add_f64_e32 v[192:193], v[192:193], v[198:199]
	scratch_load_b128 v[164:167], off, off offset:944
	s_wait_loadcnt_dscnt 0xa01
	v_mul_f64_e32 v[198:199], v[4:5], v[162:163]
	v_mul_f64_e32 v[162:163], v[6:7], v[162:163]
	v_fmac_f64_e32 v[194:195], v[170:171], v[144:145]
	v_fma_f64 v[168:169], v[168:169], v[144:145], -v[146:147]
	scratch_load_b128 v[144:147], off, off offset:960
	v_add_f64_e32 v[170:171], v[202:203], v[200:201]
	v_add_f64_e32 v[192:193], v[192:193], v[196:197]
	s_wait_loadcnt_dscnt 0xa00
	v_mul_f64_e32 v[196:197], v[152:153], v[150:151]
	v_mul_f64_e32 v[150:151], v[154:155], v[150:151]
	v_fmac_f64_e32 v[198:199], v[6:7], v[160:161]
	v_fma_f64 v[200:201], v[4:5], v[160:161], -v[162:163]
	ds_load_b128 v[4:7], v2 offset:1792
	ds_load_b128 v[160:163], v2 offset:1808
	v_add_f64_e32 v[168:169], v[170:171], v[168:169]
	v_add_f64_e32 v[170:171], v[192:193], v[194:195]
	v_fmac_f64_e32 v[196:197], v[154:155], v[148:149]
	s_wait_loadcnt_dscnt 0x901
	v_mul_f64_e32 v[192:193], v[4:5], v[174:175]
	v_mul_f64_e32 v[174:175], v[6:7], v[174:175]
	v_fma_f64 v[148:149], v[152:153], v[148:149], -v[150:151]
	s_wait_loadcnt_dscnt 0x800
	v_mul_f64_e32 v[154:155], v[160:161], v[158:159]
	v_mul_f64_e32 v[158:159], v[162:163], v[158:159]
	v_add_f64_e32 v[150:151], v[168:169], v[200:201]
	v_add_f64_e32 v[152:153], v[170:171], v[198:199]
	v_fmac_f64_e32 v[192:193], v[6:7], v[172:173]
	v_fma_f64 v[168:169], v[4:5], v[172:173], -v[174:175]
	v_fmac_f64_e32 v[154:155], v[162:163], v[156:157]
	v_fma_f64 v[156:157], v[160:161], v[156:157], -v[158:159]
	v_add_f64_e32 v[170:171], v[150:151], v[148:149]
	v_add_f64_e32 v[152:153], v[152:153], v[196:197]
	ds_load_b128 v[4:7], v2 offset:1824
	ds_load_b128 v[148:151], v2 offset:1840
	s_wait_loadcnt_dscnt 0x701
	v_mul_f64_e32 v[172:173], v[4:5], v[190:191]
	v_mul_f64_e32 v[174:175], v[6:7], v[190:191]
	s_wait_loadcnt_dscnt 0x600
	v_mul_f64_e32 v[160:161], v[148:149], v[10:11]
	v_mul_f64_e32 v[10:11], v[150:151], v[10:11]
	v_add_f64_e32 v[158:159], v[170:171], v[168:169]
	v_add_f64_e32 v[152:153], v[152:153], v[192:193]
	v_fmac_f64_e32 v[172:173], v[6:7], v[188:189]
	v_fma_f64 v[162:163], v[4:5], v[188:189], -v[174:175]
	v_fmac_f64_e32 v[160:161], v[150:151], v[8:9]
	v_fma_f64 v[8:9], v[148:149], v[8:9], -v[10:11]
	v_add_f64_e32 v[156:157], v[158:159], v[156:157]
	v_add_f64_e32 v[158:159], v[152:153], v[154:155]
	ds_load_b128 v[4:7], v2 offset:1856
	ds_load_b128 v[152:155], v2 offset:1872
	s_wait_loadcnt_dscnt 0x501
	v_mul_f64_e32 v[168:169], v[4:5], v[178:179]
	v_mul_f64_e32 v[170:171], v[6:7], v[178:179]
	;; [unrolled: 16-line block ×4, first 2 shown]
	s_wait_loadcnt_dscnt 0x0
	v_mul_f64_e32 v[14:15], v[140:141], v[146:147]
	v_mul_f64_e32 v[146:147], v[142:143], v[146:147]
	v_add_f64_e32 v[10:11], v[156:157], v[154:155]
	v_add_f64_e32 v[12:13], v[148:149], v[160:161]
	v_fmac_f64_e32 v[2:3], v[6:7], v[164:165]
	v_fma_f64 v[4:5], v[4:5], v[164:165], -v[150:151]
	v_fmac_f64_e32 v[14:15], v[142:143], v[144:145]
	v_add_f64_e32 v[6:7], v[10:11], v[8:9]
	v_add_f64_e32 v[8:9], v[12:13], v[152:153]
	v_fma_f64 v[10:11], v[140:141], v[144:145], -v[146:147]
	s_delay_alu instid0(VALU_DEP_3) | instskip(NEXT) | instid1(VALU_DEP_3)
	v_add_f64_e32 v[4:5], v[6:7], v[4:5]
	v_add_f64_e32 v[2:3], v[8:9], v[2:3]
	s_delay_alu instid0(VALU_DEP_2) | instskip(NEXT) | instid1(VALU_DEP_2)
	v_add_f64_e32 v[4:5], v[4:5], v[10:11]
	v_add_f64_e32 v[6:7], v[2:3], v[14:15]
	s_delay_alu instid0(VALU_DEP_2) | instskip(NEXT) | instid1(VALU_DEP_2)
	v_add_f64_e64 v[2:3], v[180:181], -v[4:5]
	v_add_f64_e64 v[4:5], v[182:183], -v[6:7]
	scratch_store_b128 off, v[2:5], off offset:448
	s_wait_xcnt 0x0
	v_cmpx_lt_u32_e32 27, v1
	s_cbranch_execz .LBB60_337
; %bb.336:
	scratch_load_b128 v[2:5], off, s45
	v_mov_b32_e32 v6, 0
	s_delay_alu instid0(VALU_DEP_1)
	v_dual_mov_b32 v7, v6 :: v_dual_mov_b32 v8, v6
	v_mov_b32_e32 v9, v6
	scratch_store_b128 off, v[6:9], off offset:432
	s_wait_loadcnt 0x0
	ds_store_b128 v138, v[2:5]
.LBB60_337:
	s_wait_xcnt 0x0
	s_or_b32 exec_lo, exec_lo, s2
	s_wait_storecnt_dscnt 0x0
	s_barrier_signal -1
	s_barrier_wait -1
	s_clause 0x9
	scratch_load_b128 v[4:7], off, off offset:448
	scratch_load_b128 v[8:11], off, off offset:464
	;; [unrolled: 1-line block ×10, first 2 shown]
	v_mov_b32_e32 v2, 0
	s_mov_b32 s2, exec_lo
	ds_load_b128 v[168:171], v2 offset:1424
	s_clause 0x2
	scratch_load_b128 v[172:175], off, off offset:608
	scratch_load_b128 v[176:179], off, off offset:432
	;; [unrolled: 1-line block ×3, first 2 shown]
	s_wait_loadcnt_dscnt 0xc00
	v_mul_f64_e32 v[188:189], v[170:171], v[6:7]
	v_mul_f64_e32 v[192:193], v[168:169], v[6:7]
	ds_load_b128 v[180:183], v2 offset:1440
	v_fma_f64 v[196:197], v[168:169], v[4:5], -v[188:189]
	v_fmac_f64_e32 v[192:193], v[170:171], v[4:5]
	ds_load_b128 v[4:7], v2 offset:1456
	s_wait_loadcnt_dscnt 0xb01
	v_mul_f64_e32 v[194:195], v[180:181], v[10:11]
	v_mul_f64_e32 v[10:11], v[182:183], v[10:11]
	scratch_load_b128 v[168:171], off, off offset:640
	ds_load_b128 v[188:191], v2 offset:1472
	s_wait_loadcnt_dscnt 0xb01
	v_mul_f64_e32 v[198:199], v[4:5], v[14:15]
	v_mul_f64_e32 v[14:15], v[6:7], v[14:15]
	v_add_f64_e32 v[192:193], 0, v[192:193]
	v_fmac_f64_e32 v[194:195], v[182:183], v[8:9]
	v_fma_f64 v[180:181], v[180:181], v[8:9], -v[10:11]
	v_add_f64_e32 v[182:183], 0, v[196:197]
	scratch_load_b128 v[8:11], off, off offset:656
	v_fmac_f64_e32 v[198:199], v[6:7], v[12:13]
	v_fma_f64 v[200:201], v[4:5], v[12:13], -v[14:15]
	ds_load_b128 v[4:7], v2 offset:1488
	s_wait_loadcnt_dscnt 0xb01
	v_mul_f64_e32 v[196:197], v[188:189], v[142:143]
	v_mul_f64_e32 v[142:143], v[190:191], v[142:143]
	scratch_load_b128 v[12:15], off, off offset:672
	v_add_f64_e32 v[192:193], v[192:193], v[194:195]
	v_add_f64_e32 v[202:203], v[182:183], v[180:181]
	ds_load_b128 v[180:183], v2 offset:1504
	s_wait_loadcnt_dscnt 0xb01
	v_mul_f64_e32 v[194:195], v[4:5], v[146:147]
	v_mul_f64_e32 v[146:147], v[6:7], v[146:147]
	v_fmac_f64_e32 v[196:197], v[190:191], v[140:141]
	v_fma_f64 v[188:189], v[188:189], v[140:141], -v[142:143]
	scratch_load_b128 v[140:143], off, off offset:688
	v_add_f64_e32 v[192:193], v[192:193], v[198:199]
	v_add_f64_e32 v[190:191], v[202:203], v[200:201]
	v_fmac_f64_e32 v[194:195], v[6:7], v[144:145]
	v_fma_f64 v[200:201], v[4:5], v[144:145], -v[146:147]
	ds_load_b128 v[4:7], v2 offset:1520
	s_wait_loadcnt_dscnt 0xb01
	v_mul_f64_e32 v[198:199], v[180:181], v[150:151]
	v_mul_f64_e32 v[150:151], v[182:183], v[150:151]
	scratch_load_b128 v[144:147], off, off offset:704
	v_add_f64_e32 v[192:193], v[192:193], v[196:197]
	s_wait_loadcnt_dscnt 0xb00
	v_mul_f64_e32 v[196:197], v[4:5], v[154:155]
	v_add_f64_e32 v[202:203], v[190:191], v[188:189]
	v_mul_f64_e32 v[154:155], v[6:7], v[154:155]
	ds_load_b128 v[188:191], v2 offset:1536
	v_fmac_f64_e32 v[198:199], v[182:183], v[148:149]
	v_fma_f64 v[180:181], v[180:181], v[148:149], -v[150:151]
	scratch_load_b128 v[148:151], off, off offset:720
	v_add_f64_e32 v[192:193], v[192:193], v[194:195]
	v_fmac_f64_e32 v[196:197], v[6:7], v[152:153]
	v_add_f64_e32 v[182:183], v[202:203], v[200:201]
	v_fma_f64 v[200:201], v[4:5], v[152:153], -v[154:155]
	ds_load_b128 v[4:7], v2 offset:1552
	s_wait_loadcnt_dscnt 0xb01
	v_mul_f64_e32 v[194:195], v[188:189], v[158:159]
	v_mul_f64_e32 v[158:159], v[190:191], v[158:159]
	scratch_load_b128 v[152:155], off, off offset:736
	v_add_f64_e32 v[192:193], v[192:193], v[198:199]
	s_wait_loadcnt_dscnt 0xb00
	v_mul_f64_e32 v[198:199], v[4:5], v[162:163]
	v_add_f64_e32 v[202:203], v[182:183], v[180:181]
	v_mul_f64_e32 v[162:163], v[6:7], v[162:163]
	ds_load_b128 v[180:183], v2 offset:1568
	v_fmac_f64_e32 v[194:195], v[190:191], v[156:157]
	v_fma_f64 v[188:189], v[188:189], v[156:157], -v[158:159]
	scratch_load_b128 v[156:159], off, off offset:752
	v_add_f64_e32 v[192:193], v[192:193], v[196:197]
	v_fmac_f64_e32 v[198:199], v[6:7], v[160:161]
	v_add_f64_e32 v[190:191], v[202:203], v[200:201]
	;; [unrolled: 18-line block ×3, first 2 shown]
	v_fma_f64 v[200:201], v[4:5], v[172:173], -v[174:175]
	ds_load_b128 v[4:7], v2 offset:1616
	s_wait_loadcnt_dscnt 0xa01
	v_mul_f64_e32 v[198:199], v[188:189], v[186:187]
	v_mul_f64_e32 v[186:187], v[190:191], v[186:187]
	scratch_load_b128 v[172:175], off, off offset:800
	v_add_f64_e32 v[192:193], v[192:193], v[196:197]
	v_add_f64_e32 v[202:203], v[182:183], v[180:181]
	s_wait_loadcnt_dscnt 0xa00
	v_mul_f64_e32 v[196:197], v[4:5], v[170:171]
	v_mul_f64_e32 v[170:171], v[6:7], v[170:171]
	v_fmac_f64_e32 v[198:199], v[190:191], v[184:185]
	v_fma_f64 v[188:189], v[188:189], v[184:185], -v[186:187]
	ds_load_b128 v[180:183], v2 offset:1632
	scratch_load_b128 v[184:187], off, off offset:816
	v_add_f64_e32 v[192:193], v[192:193], v[194:195]
	v_add_f64_e32 v[190:191], v[202:203], v[200:201]
	v_fmac_f64_e32 v[196:197], v[6:7], v[168:169]
	v_fma_f64 v[200:201], v[4:5], v[168:169], -v[170:171]
	ds_load_b128 v[4:7], v2 offset:1648
	s_wait_loadcnt_dscnt 0xa01
	v_mul_f64_e32 v[194:195], v[180:181], v[10:11]
	v_mul_f64_e32 v[10:11], v[182:183], v[10:11]
	scratch_load_b128 v[168:171], off, off offset:832
	v_add_f64_e32 v[192:193], v[192:193], v[198:199]
	s_wait_loadcnt_dscnt 0xa00
	v_mul_f64_e32 v[198:199], v[4:5], v[14:15]
	v_add_f64_e32 v[202:203], v[190:191], v[188:189]
	v_mul_f64_e32 v[14:15], v[6:7], v[14:15]
	ds_load_b128 v[188:191], v2 offset:1664
	v_fmac_f64_e32 v[194:195], v[182:183], v[8:9]
	v_fma_f64 v[180:181], v[180:181], v[8:9], -v[10:11]
	scratch_load_b128 v[8:11], off, off offset:848
	v_add_f64_e32 v[192:193], v[192:193], v[196:197]
	v_fmac_f64_e32 v[198:199], v[6:7], v[12:13]
	v_add_f64_e32 v[182:183], v[202:203], v[200:201]
	v_fma_f64 v[200:201], v[4:5], v[12:13], -v[14:15]
	ds_load_b128 v[4:7], v2 offset:1680
	s_wait_loadcnt_dscnt 0xa01
	v_mul_f64_e32 v[196:197], v[188:189], v[142:143]
	v_mul_f64_e32 v[142:143], v[190:191], v[142:143]
	scratch_load_b128 v[12:15], off, off offset:864
	v_add_f64_e32 v[192:193], v[192:193], v[194:195]
	s_wait_loadcnt_dscnt 0xa00
	v_mul_f64_e32 v[194:195], v[4:5], v[146:147]
	v_add_f64_e32 v[202:203], v[182:183], v[180:181]
	v_mul_f64_e32 v[146:147], v[6:7], v[146:147]
	ds_load_b128 v[180:183], v2 offset:1696
	v_fmac_f64_e32 v[196:197], v[190:191], v[140:141]
	v_fma_f64 v[188:189], v[188:189], v[140:141], -v[142:143]
	scratch_load_b128 v[140:143], off, off offset:880
	v_add_f64_e32 v[192:193], v[192:193], v[198:199]
	v_fmac_f64_e32 v[194:195], v[6:7], v[144:145]
	v_add_f64_e32 v[190:191], v[202:203], v[200:201]
	;; [unrolled: 18-line block ×4, first 2 shown]
	v_fma_f64 v[200:201], v[4:5], v[160:161], -v[162:163]
	ds_load_b128 v[4:7], v2 offset:1776
	s_wait_loadcnt_dscnt 0xa01
	v_mul_f64_e32 v[196:197], v[180:181], v[166:167]
	v_mul_f64_e32 v[166:167], v[182:183], v[166:167]
	scratch_load_b128 v[160:163], off, off offset:960
	v_add_f64_e32 v[192:193], v[192:193], v[194:195]
	s_wait_loadcnt_dscnt 0xa00
	v_mul_f64_e32 v[194:195], v[4:5], v[174:175]
	v_add_f64_e32 v[202:203], v[190:191], v[188:189]
	v_mul_f64_e32 v[174:175], v[6:7], v[174:175]
	ds_load_b128 v[188:191], v2 offset:1792
	v_fmac_f64_e32 v[196:197], v[182:183], v[164:165]
	v_fma_f64 v[164:165], v[180:181], v[164:165], -v[166:167]
	s_wait_loadcnt_dscnt 0x900
	v_mul_f64_e32 v[182:183], v[188:189], v[186:187]
	v_mul_f64_e32 v[186:187], v[190:191], v[186:187]
	v_add_f64_e32 v[180:181], v[192:193], v[198:199]
	v_fmac_f64_e32 v[194:195], v[6:7], v[172:173]
	v_add_f64_e32 v[166:167], v[202:203], v[200:201]
	v_fma_f64 v[172:173], v[4:5], v[172:173], -v[174:175]
	v_fmac_f64_e32 v[182:183], v[190:191], v[184:185]
	v_fma_f64 v[184:185], v[188:189], v[184:185], -v[186:187]
	v_add_f64_e32 v[180:181], v[180:181], v[196:197]
	v_add_f64_e32 v[174:175], v[166:167], v[164:165]
	ds_load_b128 v[4:7], v2 offset:1808
	ds_load_b128 v[164:167], v2 offset:1824
	s_wait_loadcnt_dscnt 0x801
	v_mul_f64_e32 v[192:193], v[4:5], v[170:171]
	v_mul_f64_e32 v[170:171], v[6:7], v[170:171]
	v_add_f64_e32 v[172:173], v[174:175], v[172:173]
	v_add_f64_e32 v[174:175], v[180:181], v[194:195]
	s_wait_loadcnt_dscnt 0x700
	v_mul_f64_e32 v[180:181], v[164:165], v[10:11]
	v_mul_f64_e32 v[10:11], v[166:167], v[10:11]
	v_fmac_f64_e32 v[192:193], v[6:7], v[168:169]
	v_fma_f64 v[186:187], v[4:5], v[168:169], -v[170:171]
	ds_load_b128 v[4:7], v2 offset:1840
	ds_load_b128 v[168:171], v2 offset:1856
	v_add_f64_e32 v[172:173], v[172:173], v[184:185]
	v_add_f64_e32 v[174:175], v[174:175], v[182:183]
	v_fmac_f64_e32 v[180:181], v[166:167], v[8:9]
	v_fma_f64 v[8:9], v[164:165], v[8:9], -v[10:11]
	s_wait_loadcnt_dscnt 0x601
	v_mul_f64_e32 v[182:183], v[4:5], v[14:15]
	v_mul_f64_e32 v[14:15], v[6:7], v[14:15]
	s_wait_loadcnt_dscnt 0x500
	v_mul_f64_e32 v[166:167], v[168:169], v[142:143]
	v_mul_f64_e32 v[142:143], v[170:171], v[142:143]
	v_add_f64_e32 v[10:11], v[172:173], v[186:187]
	v_add_f64_e32 v[164:165], v[174:175], v[192:193]
	v_fmac_f64_e32 v[182:183], v[6:7], v[12:13]
	v_fma_f64 v[12:13], v[4:5], v[12:13], -v[14:15]
	v_fmac_f64_e32 v[166:167], v[170:171], v[140:141]
	v_fma_f64 v[140:141], v[168:169], v[140:141], -v[142:143]
	v_add_f64_e32 v[14:15], v[10:11], v[8:9]
	v_add_f64_e32 v[164:165], v[164:165], v[180:181]
	ds_load_b128 v[4:7], v2 offset:1872
	ds_load_b128 v[8:11], v2 offset:1888
	s_wait_loadcnt_dscnt 0x401
	v_mul_f64_e32 v[172:173], v[4:5], v[146:147]
	v_mul_f64_e32 v[146:147], v[6:7], v[146:147]
	s_wait_loadcnt_dscnt 0x300
	v_mul_f64_e32 v[142:143], v[8:9], v[150:151]
	v_mul_f64_e32 v[150:151], v[10:11], v[150:151]
	v_add_f64_e32 v[12:13], v[14:15], v[12:13]
	v_add_f64_e32 v[14:15], v[164:165], v[182:183]
	v_fmac_f64_e32 v[172:173], v[6:7], v[144:145]
	v_fma_f64 v[144:145], v[4:5], v[144:145], -v[146:147]
	v_fmac_f64_e32 v[142:143], v[10:11], v[148:149]
	v_fma_f64 v[8:9], v[8:9], v[148:149], -v[150:151]
	v_add_f64_e32 v[140:141], v[12:13], v[140:141]
	v_add_f64_e32 v[146:147], v[14:15], v[166:167]
	ds_load_b128 v[4:7], v2 offset:1904
	ds_load_b128 v[12:15], v2 offset:1920
	s_wait_loadcnt_dscnt 0x201
	v_mul_f64_e32 v[164:165], v[4:5], v[154:155]
	v_mul_f64_e32 v[154:155], v[6:7], v[154:155]
	v_add_f64_e32 v[10:11], v[140:141], v[144:145]
	v_add_f64_e32 v[140:141], v[146:147], v[172:173]
	s_wait_loadcnt_dscnt 0x100
	v_mul_f64_e32 v[144:145], v[12:13], v[158:159]
	v_mul_f64_e32 v[146:147], v[14:15], v[158:159]
	v_fmac_f64_e32 v[164:165], v[6:7], v[152:153]
	v_fma_f64 v[148:149], v[4:5], v[152:153], -v[154:155]
	ds_load_b128 v[4:7], v2 offset:1936
	v_add_f64_e32 v[8:9], v[10:11], v[8:9]
	v_add_f64_e32 v[10:11], v[140:141], v[142:143]
	v_fmac_f64_e32 v[144:145], v[14:15], v[156:157]
	v_fma_f64 v[12:13], v[12:13], v[156:157], -v[146:147]
	s_wait_loadcnt_dscnt 0x0
	v_mul_f64_e32 v[140:141], v[4:5], v[162:163]
	v_mul_f64_e32 v[142:143], v[6:7], v[162:163]
	v_add_f64_e32 v[8:9], v[8:9], v[148:149]
	v_add_f64_e32 v[10:11], v[10:11], v[164:165]
	s_delay_alu instid0(VALU_DEP_4) | instskip(NEXT) | instid1(VALU_DEP_4)
	v_fmac_f64_e32 v[140:141], v[6:7], v[160:161]
	v_fma_f64 v[4:5], v[4:5], v[160:161], -v[142:143]
	s_delay_alu instid0(VALU_DEP_4) | instskip(NEXT) | instid1(VALU_DEP_4)
	v_add_f64_e32 v[6:7], v[8:9], v[12:13]
	v_add_f64_e32 v[8:9], v[10:11], v[144:145]
	s_delay_alu instid0(VALU_DEP_2) | instskip(NEXT) | instid1(VALU_DEP_2)
	v_add_f64_e32 v[4:5], v[6:7], v[4:5]
	v_add_f64_e32 v[6:7], v[8:9], v[140:141]
	s_delay_alu instid0(VALU_DEP_2) | instskip(NEXT) | instid1(VALU_DEP_2)
	v_add_f64_e64 v[4:5], v[176:177], -v[4:5]
	v_add_f64_e64 v[6:7], v[178:179], -v[6:7]
	scratch_store_b128 off, v[4:7], off offset:432
	s_wait_xcnt 0x0
	v_cmpx_lt_u32_e32 26, v1
	s_cbranch_execz .LBB60_339
; %bb.338:
	scratch_load_b128 v[6:9], off, s48
	v_dual_mov_b32 v3, v2 :: v_dual_mov_b32 v4, v2
	v_mov_b32_e32 v5, v2
	scratch_store_b128 off, v[2:5], off offset:416
	s_wait_loadcnt 0x0
	ds_store_b128 v138, v[6:9]
.LBB60_339:
	s_wait_xcnt 0x0
	s_or_b32 exec_lo, exec_lo, s2
	s_wait_storecnt_dscnt 0x0
	s_barrier_signal -1
	s_barrier_wait -1
	s_clause 0x9
	scratch_load_b128 v[4:7], off, off offset:432
	scratch_load_b128 v[8:11], off, off offset:448
	;; [unrolled: 1-line block ×10, first 2 shown]
	ds_load_b128 v[168:171], v2 offset:1408
	ds_load_b128 v[176:179], v2 offset:1424
	s_clause 0x2
	scratch_load_b128 v[172:175], off, off offset:592
	scratch_load_b128 v[180:183], off, off offset:416
	;; [unrolled: 1-line block ×3, first 2 shown]
	s_mov_b32 s2, exec_lo
	s_wait_loadcnt_dscnt 0xc01
	v_mul_f64_e32 v[188:189], v[170:171], v[6:7]
	v_mul_f64_e32 v[192:193], v[168:169], v[6:7]
	s_wait_loadcnt_dscnt 0xb00
	v_mul_f64_e32 v[194:195], v[176:177], v[10:11]
	v_mul_f64_e32 v[10:11], v[178:179], v[10:11]
	s_delay_alu instid0(VALU_DEP_4) | instskip(NEXT) | instid1(VALU_DEP_4)
	v_fma_f64 v[196:197], v[168:169], v[4:5], -v[188:189]
	v_fmac_f64_e32 v[192:193], v[170:171], v[4:5]
	ds_load_b128 v[4:7], v2 offset:1440
	ds_load_b128 v[168:171], v2 offset:1456
	scratch_load_b128 v[188:191], off, off offset:624
	v_fmac_f64_e32 v[194:195], v[178:179], v[8:9]
	v_fma_f64 v[176:177], v[176:177], v[8:9], -v[10:11]
	scratch_load_b128 v[8:11], off, off offset:640
	s_wait_loadcnt_dscnt 0xc01
	v_mul_f64_e32 v[198:199], v[4:5], v[14:15]
	v_mul_f64_e32 v[14:15], v[6:7], v[14:15]
	v_add_f64_e32 v[178:179], 0, v[196:197]
	v_add_f64_e32 v[192:193], 0, v[192:193]
	s_wait_loadcnt_dscnt 0xb00
	v_mul_f64_e32 v[196:197], v[168:169], v[142:143]
	v_mul_f64_e32 v[142:143], v[170:171], v[142:143]
	v_fmac_f64_e32 v[198:199], v[6:7], v[12:13]
	v_fma_f64 v[200:201], v[4:5], v[12:13], -v[14:15]
	ds_load_b128 v[4:7], v2 offset:1472
	ds_load_b128 v[12:15], v2 offset:1488
	v_add_f64_e32 v[202:203], v[178:179], v[176:177]
	v_add_f64_e32 v[192:193], v[192:193], v[194:195]
	scratch_load_b128 v[176:179], off, off offset:656
	v_fmac_f64_e32 v[196:197], v[170:171], v[140:141]
	v_fma_f64 v[168:169], v[168:169], v[140:141], -v[142:143]
	scratch_load_b128 v[140:143], off, off offset:672
	s_wait_loadcnt_dscnt 0xc01
	v_mul_f64_e32 v[194:195], v[4:5], v[146:147]
	v_mul_f64_e32 v[146:147], v[6:7], v[146:147]
	v_add_f64_e32 v[170:171], v[202:203], v[200:201]
	v_add_f64_e32 v[192:193], v[192:193], v[198:199]
	s_wait_loadcnt_dscnt 0xb00
	v_mul_f64_e32 v[198:199], v[12:13], v[150:151]
	v_mul_f64_e32 v[150:151], v[14:15], v[150:151]
	v_fmac_f64_e32 v[194:195], v[6:7], v[144:145]
	v_fma_f64 v[200:201], v[4:5], v[144:145], -v[146:147]
	ds_load_b128 v[4:7], v2 offset:1504
	ds_load_b128 v[144:147], v2 offset:1520
	v_add_f64_e32 v[202:203], v[170:171], v[168:169]
	v_add_f64_e32 v[192:193], v[192:193], v[196:197]
	scratch_load_b128 v[168:171], off, off offset:688
	s_wait_loadcnt_dscnt 0xb01
	v_mul_f64_e32 v[196:197], v[4:5], v[154:155]
	v_mul_f64_e32 v[154:155], v[6:7], v[154:155]
	v_fmac_f64_e32 v[198:199], v[14:15], v[148:149]
	v_fma_f64 v[148:149], v[12:13], v[148:149], -v[150:151]
	scratch_load_b128 v[12:15], off, off offset:704
	v_add_f64_e32 v[150:151], v[202:203], v[200:201]
	v_add_f64_e32 v[192:193], v[192:193], v[194:195]
	s_wait_loadcnt_dscnt 0xb00
	v_mul_f64_e32 v[194:195], v[144:145], v[158:159]
	v_mul_f64_e32 v[158:159], v[146:147], v[158:159]
	v_fmac_f64_e32 v[196:197], v[6:7], v[152:153]
	v_fma_f64 v[200:201], v[4:5], v[152:153], -v[154:155]
	v_add_f64_e32 v[202:203], v[150:151], v[148:149]
	v_add_f64_e32 v[192:193], v[192:193], v[198:199]
	ds_load_b128 v[4:7], v2 offset:1536
	ds_load_b128 v[148:151], v2 offset:1552
	scratch_load_b128 v[152:155], off, off offset:720
	v_fmac_f64_e32 v[194:195], v[146:147], v[156:157]
	v_fma_f64 v[156:157], v[144:145], v[156:157], -v[158:159]
	scratch_load_b128 v[144:147], off, off offset:736
	s_wait_loadcnt_dscnt 0xc01
	v_mul_f64_e32 v[198:199], v[4:5], v[162:163]
	v_mul_f64_e32 v[162:163], v[6:7], v[162:163]
	v_add_f64_e32 v[158:159], v[202:203], v[200:201]
	v_add_f64_e32 v[192:193], v[192:193], v[196:197]
	s_wait_loadcnt_dscnt 0xb00
	v_mul_f64_e32 v[196:197], v[148:149], v[166:167]
	v_mul_f64_e32 v[166:167], v[150:151], v[166:167]
	v_fmac_f64_e32 v[198:199], v[6:7], v[160:161]
	v_fma_f64 v[200:201], v[4:5], v[160:161], -v[162:163]
	v_add_f64_e32 v[202:203], v[158:159], v[156:157]
	v_add_f64_e32 v[192:193], v[192:193], v[194:195]
	ds_load_b128 v[4:7], v2 offset:1568
	ds_load_b128 v[156:159], v2 offset:1584
	scratch_load_b128 v[160:163], off, off offset:752
	v_fmac_f64_e32 v[196:197], v[150:151], v[164:165]
	v_fma_f64 v[164:165], v[148:149], v[164:165], -v[166:167]
	scratch_load_b128 v[148:151], off, off offset:768
	s_wait_loadcnt_dscnt 0xc01
	v_mul_f64_e32 v[194:195], v[4:5], v[174:175]
	v_mul_f64_e32 v[174:175], v[6:7], v[174:175]
	;; [unrolled: 18-line block ×5, first 2 shown]
	v_add_f64_e32 v[186:187], v[202:203], v[200:201]
	v_add_f64_e32 v[192:193], v[192:193], v[198:199]
	s_wait_loadcnt_dscnt 0xa00
	v_mul_f64_e32 v[198:199], v[164:165], v[14:15]
	v_mul_f64_e32 v[14:15], v[166:167], v[14:15]
	v_fmac_f64_e32 v[194:195], v[6:7], v[168:169]
	v_fma_f64 v[200:201], v[4:5], v[168:169], -v[170:171]
	ds_load_b128 v[4:7], v2 offset:1696
	ds_load_b128 v[168:171], v2 offset:1712
	v_add_f64_e32 v[202:203], v[186:187], v[184:185]
	v_add_f64_e32 v[192:193], v[192:193], v[196:197]
	scratch_load_b128 v[184:187], off, off offset:880
	v_fmac_f64_e32 v[198:199], v[166:167], v[12:13]
	v_fma_f64 v[164:165], v[164:165], v[12:13], -v[14:15]
	scratch_load_b128 v[12:15], off, off offset:896
	s_wait_loadcnt_dscnt 0xb01
	v_mul_f64_e32 v[196:197], v[4:5], v[154:155]
	v_mul_f64_e32 v[154:155], v[6:7], v[154:155]
	v_add_f64_e32 v[166:167], v[202:203], v[200:201]
	v_add_f64_e32 v[192:193], v[192:193], v[194:195]
	s_wait_loadcnt_dscnt 0xa00
	v_mul_f64_e32 v[194:195], v[168:169], v[146:147]
	v_mul_f64_e32 v[146:147], v[170:171], v[146:147]
	v_fmac_f64_e32 v[196:197], v[6:7], v[152:153]
	v_fma_f64 v[200:201], v[4:5], v[152:153], -v[154:155]
	ds_load_b128 v[4:7], v2 offset:1728
	ds_load_b128 v[152:155], v2 offset:1744
	v_add_f64_e32 v[202:203], v[166:167], v[164:165]
	v_add_f64_e32 v[192:193], v[192:193], v[198:199]
	scratch_load_b128 v[164:167], off, off offset:912
	s_wait_loadcnt_dscnt 0xa01
	v_mul_f64_e32 v[198:199], v[4:5], v[162:163]
	v_mul_f64_e32 v[162:163], v[6:7], v[162:163]
	v_fmac_f64_e32 v[194:195], v[170:171], v[144:145]
	v_fma_f64 v[168:169], v[168:169], v[144:145], -v[146:147]
	scratch_load_b128 v[144:147], off, off offset:928
	v_add_f64_e32 v[170:171], v[202:203], v[200:201]
	v_add_f64_e32 v[192:193], v[192:193], v[196:197]
	s_wait_loadcnt_dscnt 0xa00
	v_mul_f64_e32 v[196:197], v[152:153], v[150:151]
	v_mul_f64_e32 v[150:151], v[154:155], v[150:151]
	v_fmac_f64_e32 v[198:199], v[6:7], v[160:161]
	v_fma_f64 v[200:201], v[4:5], v[160:161], -v[162:163]
	ds_load_b128 v[4:7], v2 offset:1760
	ds_load_b128 v[160:163], v2 offset:1776
	v_add_f64_e32 v[202:203], v[170:171], v[168:169]
	v_add_f64_e32 v[192:193], v[192:193], v[194:195]
	scratch_load_b128 v[168:171], off, off offset:944
	s_wait_loadcnt_dscnt 0xa01
	v_mul_f64_e32 v[194:195], v[4:5], v[174:175]
	v_mul_f64_e32 v[174:175], v[6:7], v[174:175]
	v_fmac_f64_e32 v[196:197], v[154:155], v[148:149]
	v_fma_f64 v[152:153], v[152:153], v[148:149], -v[150:151]
	scratch_load_b128 v[148:151], off, off offset:960
	v_add_f64_e32 v[154:155], v[202:203], v[200:201]
	v_add_f64_e32 v[192:193], v[192:193], v[198:199]
	s_wait_loadcnt_dscnt 0xa00
	v_mul_f64_e32 v[198:199], v[160:161], v[158:159]
	v_mul_f64_e32 v[158:159], v[162:163], v[158:159]
	v_fmac_f64_e32 v[194:195], v[6:7], v[172:173]
	v_fma_f64 v[172:173], v[4:5], v[172:173], -v[174:175]
	v_add_f64_e32 v[174:175], v[154:155], v[152:153]
	v_add_f64_e32 v[192:193], v[192:193], v[196:197]
	ds_load_b128 v[4:7], v2 offset:1792
	ds_load_b128 v[152:155], v2 offset:1808
	v_fmac_f64_e32 v[198:199], v[162:163], v[156:157]
	v_fma_f64 v[156:157], v[160:161], v[156:157], -v[158:159]
	s_wait_loadcnt_dscnt 0x901
	v_mul_f64_e32 v[196:197], v[4:5], v[190:191]
	v_mul_f64_e32 v[190:191], v[6:7], v[190:191]
	s_wait_loadcnt_dscnt 0x800
	v_mul_f64_e32 v[162:163], v[152:153], v[10:11]
	v_mul_f64_e32 v[10:11], v[154:155], v[10:11]
	v_add_f64_e32 v[158:159], v[174:175], v[172:173]
	v_add_f64_e32 v[160:161], v[192:193], v[194:195]
	v_fmac_f64_e32 v[196:197], v[6:7], v[188:189]
	v_fma_f64 v[172:173], v[4:5], v[188:189], -v[190:191]
	v_fmac_f64_e32 v[162:163], v[154:155], v[8:9]
	v_fma_f64 v[8:9], v[152:153], v[8:9], -v[10:11]
	v_add_f64_e32 v[174:175], v[158:159], v[156:157]
	v_add_f64_e32 v[160:161], v[160:161], v[198:199]
	ds_load_b128 v[4:7], v2 offset:1824
	ds_load_b128 v[156:159], v2 offset:1840
	s_wait_loadcnt_dscnt 0x701
	v_mul_f64_e32 v[188:189], v[4:5], v[178:179]
	v_mul_f64_e32 v[178:179], v[6:7], v[178:179]
	s_wait_loadcnt_dscnt 0x600
	v_mul_f64_e32 v[154:155], v[156:157], v[142:143]
	v_mul_f64_e32 v[142:143], v[158:159], v[142:143]
	v_add_f64_e32 v[10:11], v[174:175], v[172:173]
	v_add_f64_e32 v[152:153], v[160:161], v[196:197]
	v_fmac_f64_e32 v[188:189], v[6:7], v[176:177]
	v_fma_f64 v[160:161], v[4:5], v[176:177], -v[178:179]
	v_fmac_f64_e32 v[154:155], v[158:159], v[140:141]
	v_fma_f64 v[140:141], v[156:157], v[140:141], -v[142:143]
	v_add_f64_e32 v[172:173], v[10:11], v[8:9]
	v_add_f64_e32 v[152:153], v[152:153], v[162:163]
	ds_load_b128 v[4:7], v2 offset:1856
	ds_load_b128 v[8:11], v2 offset:1872
	;; [unrolled: 16-line block ×4, first 2 shown]
	s_wait_loadcnt_dscnt 0x101
	v_mul_f64_e32 v[2:3], v[4:5], v[170:171]
	v_mul_f64_e32 v[156:157], v[6:7], v[170:171]
	s_wait_loadcnt_dscnt 0x0
	v_mul_f64_e32 v[144:145], v[8:9], v[150:151]
	v_mul_f64_e32 v[146:147], v[10:11], v[150:151]
	v_add_f64_e32 v[142:143], v[158:159], v[152:153]
	v_add_f64_e32 v[12:13], v[12:13], v[154:155]
	v_fmac_f64_e32 v[2:3], v[6:7], v[168:169]
	v_fma_f64 v[4:5], v[4:5], v[168:169], -v[156:157]
	v_fmac_f64_e32 v[144:145], v[10:11], v[148:149]
	v_fma_f64 v[8:9], v[8:9], v[148:149], -v[146:147]
	v_add_f64_e32 v[6:7], v[142:143], v[140:141]
	v_add_f64_e32 v[12:13], v[12:13], v[14:15]
	s_delay_alu instid0(VALU_DEP_2) | instskip(NEXT) | instid1(VALU_DEP_2)
	v_add_f64_e32 v[4:5], v[6:7], v[4:5]
	v_add_f64_e32 v[2:3], v[12:13], v[2:3]
	s_delay_alu instid0(VALU_DEP_2) | instskip(NEXT) | instid1(VALU_DEP_2)
	;; [unrolled: 3-line block ×3, first 2 shown]
	v_add_f64_e64 v[2:3], v[180:181], -v[4:5]
	v_add_f64_e64 v[4:5], v[182:183], -v[6:7]
	scratch_store_b128 off, v[2:5], off offset:416
	s_wait_xcnt 0x0
	v_cmpx_lt_u32_e32 25, v1
	s_cbranch_execz .LBB60_341
; %bb.340:
	scratch_load_b128 v[2:5], off, s46
	v_mov_b32_e32 v6, 0
	s_delay_alu instid0(VALU_DEP_1)
	v_dual_mov_b32 v7, v6 :: v_dual_mov_b32 v8, v6
	v_mov_b32_e32 v9, v6
	scratch_store_b128 off, v[6:9], off offset:400
	s_wait_loadcnt 0x0
	ds_store_b128 v138, v[2:5]
.LBB60_341:
	s_wait_xcnt 0x0
	s_or_b32 exec_lo, exec_lo, s2
	s_wait_storecnt_dscnt 0x0
	s_barrier_signal -1
	s_barrier_wait -1
	s_clause 0x9
	scratch_load_b128 v[4:7], off, off offset:416
	scratch_load_b128 v[8:11], off, off offset:432
	;; [unrolled: 1-line block ×10, first 2 shown]
	v_mov_b32_e32 v2, 0
	s_mov_b32 s2, exec_lo
	ds_load_b128 v[168:171], v2 offset:1392
	s_clause 0x2
	scratch_load_b128 v[172:175], off, off offset:576
	scratch_load_b128 v[176:179], off, off offset:400
	;; [unrolled: 1-line block ×3, first 2 shown]
	s_wait_loadcnt_dscnt 0xc00
	v_mul_f64_e32 v[188:189], v[170:171], v[6:7]
	v_mul_f64_e32 v[192:193], v[168:169], v[6:7]
	ds_load_b128 v[180:183], v2 offset:1408
	v_fma_f64 v[196:197], v[168:169], v[4:5], -v[188:189]
	v_fmac_f64_e32 v[192:193], v[170:171], v[4:5]
	ds_load_b128 v[4:7], v2 offset:1424
	s_wait_loadcnt_dscnt 0xb01
	v_mul_f64_e32 v[194:195], v[180:181], v[10:11]
	v_mul_f64_e32 v[10:11], v[182:183], v[10:11]
	scratch_load_b128 v[168:171], off, off offset:608
	ds_load_b128 v[188:191], v2 offset:1440
	s_wait_loadcnt_dscnt 0xb01
	v_mul_f64_e32 v[198:199], v[4:5], v[14:15]
	v_mul_f64_e32 v[14:15], v[6:7], v[14:15]
	v_add_f64_e32 v[192:193], 0, v[192:193]
	v_fmac_f64_e32 v[194:195], v[182:183], v[8:9]
	v_fma_f64 v[180:181], v[180:181], v[8:9], -v[10:11]
	v_add_f64_e32 v[182:183], 0, v[196:197]
	scratch_load_b128 v[8:11], off, off offset:624
	v_fmac_f64_e32 v[198:199], v[6:7], v[12:13]
	v_fma_f64 v[200:201], v[4:5], v[12:13], -v[14:15]
	ds_load_b128 v[4:7], v2 offset:1456
	s_wait_loadcnt_dscnt 0xb01
	v_mul_f64_e32 v[196:197], v[188:189], v[142:143]
	v_mul_f64_e32 v[142:143], v[190:191], v[142:143]
	scratch_load_b128 v[12:15], off, off offset:640
	v_add_f64_e32 v[192:193], v[192:193], v[194:195]
	v_add_f64_e32 v[202:203], v[182:183], v[180:181]
	ds_load_b128 v[180:183], v2 offset:1472
	s_wait_loadcnt_dscnt 0xb01
	v_mul_f64_e32 v[194:195], v[4:5], v[146:147]
	v_mul_f64_e32 v[146:147], v[6:7], v[146:147]
	v_fmac_f64_e32 v[196:197], v[190:191], v[140:141]
	v_fma_f64 v[188:189], v[188:189], v[140:141], -v[142:143]
	scratch_load_b128 v[140:143], off, off offset:656
	v_add_f64_e32 v[192:193], v[192:193], v[198:199]
	v_add_f64_e32 v[190:191], v[202:203], v[200:201]
	v_fmac_f64_e32 v[194:195], v[6:7], v[144:145]
	v_fma_f64 v[200:201], v[4:5], v[144:145], -v[146:147]
	ds_load_b128 v[4:7], v2 offset:1488
	s_wait_loadcnt_dscnt 0xb01
	v_mul_f64_e32 v[198:199], v[180:181], v[150:151]
	v_mul_f64_e32 v[150:151], v[182:183], v[150:151]
	scratch_load_b128 v[144:147], off, off offset:672
	v_add_f64_e32 v[192:193], v[192:193], v[196:197]
	s_wait_loadcnt_dscnt 0xb00
	v_mul_f64_e32 v[196:197], v[4:5], v[154:155]
	v_add_f64_e32 v[202:203], v[190:191], v[188:189]
	v_mul_f64_e32 v[154:155], v[6:7], v[154:155]
	ds_load_b128 v[188:191], v2 offset:1504
	v_fmac_f64_e32 v[198:199], v[182:183], v[148:149]
	v_fma_f64 v[180:181], v[180:181], v[148:149], -v[150:151]
	scratch_load_b128 v[148:151], off, off offset:688
	v_add_f64_e32 v[192:193], v[192:193], v[194:195]
	v_fmac_f64_e32 v[196:197], v[6:7], v[152:153]
	v_add_f64_e32 v[182:183], v[202:203], v[200:201]
	v_fma_f64 v[200:201], v[4:5], v[152:153], -v[154:155]
	ds_load_b128 v[4:7], v2 offset:1520
	s_wait_loadcnt_dscnt 0xb01
	v_mul_f64_e32 v[194:195], v[188:189], v[158:159]
	v_mul_f64_e32 v[158:159], v[190:191], v[158:159]
	scratch_load_b128 v[152:155], off, off offset:704
	v_add_f64_e32 v[192:193], v[192:193], v[198:199]
	s_wait_loadcnt_dscnt 0xb00
	v_mul_f64_e32 v[198:199], v[4:5], v[162:163]
	v_add_f64_e32 v[202:203], v[182:183], v[180:181]
	v_mul_f64_e32 v[162:163], v[6:7], v[162:163]
	ds_load_b128 v[180:183], v2 offset:1536
	v_fmac_f64_e32 v[194:195], v[190:191], v[156:157]
	v_fma_f64 v[188:189], v[188:189], v[156:157], -v[158:159]
	scratch_load_b128 v[156:159], off, off offset:720
	v_add_f64_e32 v[192:193], v[192:193], v[196:197]
	v_fmac_f64_e32 v[198:199], v[6:7], v[160:161]
	v_add_f64_e32 v[190:191], v[202:203], v[200:201]
	;; [unrolled: 18-line block ×3, first 2 shown]
	v_fma_f64 v[200:201], v[4:5], v[172:173], -v[174:175]
	ds_load_b128 v[4:7], v2 offset:1584
	s_wait_loadcnt_dscnt 0xa01
	v_mul_f64_e32 v[198:199], v[188:189], v[186:187]
	v_mul_f64_e32 v[186:187], v[190:191], v[186:187]
	scratch_load_b128 v[172:175], off, off offset:768
	v_add_f64_e32 v[192:193], v[192:193], v[196:197]
	v_add_f64_e32 v[202:203], v[182:183], v[180:181]
	s_wait_loadcnt_dscnt 0xa00
	v_mul_f64_e32 v[196:197], v[4:5], v[170:171]
	v_mul_f64_e32 v[170:171], v[6:7], v[170:171]
	v_fmac_f64_e32 v[198:199], v[190:191], v[184:185]
	v_fma_f64 v[188:189], v[188:189], v[184:185], -v[186:187]
	ds_load_b128 v[180:183], v2 offset:1600
	scratch_load_b128 v[184:187], off, off offset:784
	v_add_f64_e32 v[192:193], v[192:193], v[194:195]
	v_add_f64_e32 v[190:191], v[202:203], v[200:201]
	v_fmac_f64_e32 v[196:197], v[6:7], v[168:169]
	v_fma_f64 v[200:201], v[4:5], v[168:169], -v[170:171]
	ds_load_b128 v[4:7], v2 offset:1616
	s_wait_loadcnt_dscnt 0xa01
	v_mul_f64_e32 v[194:195], v[180:181], v[10:11]
	v_mul_f64_e32 v[10:11], v[182:183], v[10:11]
	scratch_load_b128 v[168:171], off, off offset:800
	v_add_f64_e32 v[192:193], v[192:193], v[198:199]
	s_wait_loadcnt_dscnt 0xa00
	v_mul_f64_e32 v[198:199], v[4:5], v[14:15]
	v_add_f64_e32 v[202:203], v[190:191], v[188:189]
	v_mul_f64_e32 v[14:15], v[6:7], v[14:15]
	ds_load_b128 v[188:191], v2 offset:1632
	v_fmac_f64_e32 v[194:195], v[182:183], v[8:9]
	v_fma_f64 v[180:181], v[180:181], v[8:9], -v[10:11]
	scratch_load_b128 v[8:11], off, off offset:816
	v_add_f64_e32 v[192:193], v[192:193], v[196:197]
	v_fmac_f64_e32 v[198:199], v[6:7], v[12:13]
	v_add_f64_e32 v[182:183], v[202:203], v[200:201]
	v_fma_f64 v[200:201], v[4:5], v[12:13], -v[14:15]
	ds_load_b128 v[4:7], v2 offset:1648
	s_wait_loadcnt_dscnt 0xa01
	v_mul_f64_e32 v[196:197], v[188:189], v[142:143]
	v_mul_f64_e32 v[142:143], v[190:191], v[142:143]
	scratch_load_b128 v[12:15], off, off offset:832
	v_add_f64_e32 v[192:193], v[192:193], v[194:195]
	s_wait_loadcnt_dscnt 0xa00
	v_mul_f64_e32 v[194:195], v[4:5], v[146:147]
	v_add_f64_e32 v[202:203], v[182:183], v[180:181]
	v_mul_f64_e32 v[146:147], v[6:7], v[146:147]
	ds_load_b128 v[180:183], v2 offset:1664
	v_fmac_f64_e32 v[196:197], v[190:191], v[140:141]
	v_fma_f64 v[188:189], v[188:189], v[140:141], -v[142:143]
	scratch_load_b128 v[140:143], off, off offset:848
	v_add_f64_e32 v[192:193], v[192:193], v[198:199]
	v_fmac_f64_e32 v[194:195], v[6:7], v[144:145]
	v_add_f64_e32 v[190:191], v[202:203], v[200:201]
	v_fma_f64 v[200:201], v[4:5], v[144:145], -v[146:147]
	ds_load_b128 v[4:7], v2 offset:1680
	s_wait_loadcnt_dscnt 0xa01
	v_mul_f64_e32 v[198:199], v[180:181], v[150:151]
	v_mul_f64_e32 v[150:151], v[182:183], v[150:151]
	scratch_load_b128 v[144:147], off, off offset:864
	v_add_f64_e32 v[192:193], v[192:193], v[196:197]
	s_wait_loadcnt_dscnt 0xa00
	v_mul_f64_e32 v[196:197], v[4:5], v[154:155]
	v_add_f64_e32 v[202:203], v[190:191], v[188:189]
	v_mul_f64_e32 v[154:155], v[6:7], v[154:155]
	ds_load_b128 v[188:191], v2 offset:1696
	v_fmac_f64_e32 v[198:199], v[182:183], v[148:149]
	v_fma_f64 v[180:181], v[180:181], v[148:149], -v[150:151]
	scratch_load_b128 v[148:151], off, off offset:880
	v_add_f64_e32 v[192:193], v[192:193], v[194:195]
	v_fmac_f64_e32 v[196:197], v[6:7], v[152:153]
	v_add_f64_e32 v[182:183], v[202:203], v[200:201]
	v_fma_f64 v[200:201], v[4:5], v[152:153], -v[154:155]
	ds_load_b128 v[4:7], v2 offset:1712
	s_wait_loadcnt_dscnt 0xa01
	v_mul_f64_e32 v[194:195], v[188:189], v[158:159]
	v_mul_f64_e32 v[158:159], v[190:191], v[158:159]
	scratch_load_b128 v[152:155], off, off offset:896
	v_add_f64_e32 v[192:193], v[192:193], v[198:199]
	s_wait_loadcnt_dscnt 0xa00
	v_mul_f64_e32 v[198:199], v[4:5], v[162:163]
	v_add_f64_e32 v[202:203], v[182:183], v[180:181]
	v_mul_f64_e32 v[162:163], v[6:7], v[162:163]
	ds_load_b128 v[180:183], v2 offset:1728
	v_fmac_f64_e32 v[194:195], v[190:191], v[156:157]
	v_fma_f64 v[188:189], v[188:189], v[156:157], -v[158:159]
	scratch_load_b128 v[156:159], off, off offset:912
	v_add_f64_e32 v[192:193], v[192:193], v[196:197]
	v_fmac_f64_e32 v[198:199], v[6:7], v[160:161]
	v_add_f64_e32 v[190:191], v[202:203], v[200:201]
	v_fma_f64 v[200:201], v[4:5], v[160:161], -v[162:163]
	ds_load_b128 v[4:7], v2 offset:1744
	s_wait_loadcnt_dscnt 0xa01
	v_mul_f64_e32 v[196:197], v[180:181], v[166:167]
	v_mul_f64_e32 v[166:167], v[182:183], v[166:167]
	scratch_load_b128 v[160:163], off, off offset:928
	v_add_f64_e32 v[192:193], v[192:193], v[194:195]
	s_wait_loadcnt_dscnt 0xa00
	v_mul_f64_e32 v[194:195], v[4:5], v[174:175]
	v_add_f64_e32 v[202:203], v[190:191], v[188:189]
	v_mul_f64_e32 v[174:175], v[6:7], v[174:175]
	ds_load_b128 v[188:191], v2 offset:1760
	v_fmac_f64_e32 v[196:197], v[182:183], v[164:165]
	v_fma_f64 v[180:181], v[180:181], v[164:165], -v[166:167]
	scratch_load_b128 v[164:167], off, off offset:944
	v_add_f64_e32 v[192:193], v[192:193], v[198:199]
	v_fmac_f64_e32 v[194:195], v[6:7], v[172:173]
	v_add_f64_e32 v[182:183], v[202:203], v[200:201]
	v_fma_f64 v[200:201], v[4:5], v[172:173], -v[174:175]
	ds_load_b128 v[4:7], v2 offset:1776
	s_wait_loadcnt_dscnt 0xa01
	v_mul_f64_e32 v[198:199], v[188:189], v[186:187]
	v_mul_f64_e32 v[186:187], v[190:191], v[186:187]
	scratch_load_b128 v[172:175], off, off offset:960
	v_add_f64_e32 v[192:193], v[192:193], v[196:197]
	s_wait_loadcnt_dscnt 0xa00
	v_mul_f64_e32 v[196:197], v[4:5], v[170:171]
	v_add_f64_e32 v[202:203], v[182:183], v[180:181]
	v_mul_f64_e32 v[170:171], v[6:7], v[170:171]
	ds_load_b128 v[180:183], v2 offset:1792
	v_fmac_f64_e32 v[198:199], v[190:191], v[184:185]
	v_fma_f64 v[184:185], v[188:189], v[184:185], -v[186:187]
	s_wait_loadcnt_dscnt 0x900
	v_mul_f64_e32 v[190:191], v[180:181], v[10:11]
	v_mul_f64_e32 v[10:11], v[182:183], v[10:11]
	v_add_f64_e32 v[188:189], v[192:193], v[194:195]
	v_fmac_f64_e32 v[196:197], v[6:7], v[168:169]
	v_add_f64_e32 v[186:187], v[202:203], v[200:201]
	v_fma_f64 v[192:193], v[4:5], v[168:169], -v[170:171]
	ds_load_b128 v[4:7], v2 offset:1808
	ds_load_b128 v[168:171], v2 offset:1824
	v_fmac_f64_e32 v[190:191], v[182:183], v[8:9]
	v_fma_f64 v[8:9], v[180:181], v[8:9], -v[10:11]
	v_add_f64_e32 v[184:185], v[186:187], v[184:185]
	v_add_f64_e32 v[186:187], v[188:189], v[198:199]
	s_wait_loadcnt_dscnt 0x801
	v_mul_f64_e32 v[188:189], v[4:5], v[14:15]
	v_mul_f64_e32 v[14:15], v[6:7], v[14:15]
	s_wait_loadcnt_dscnt 0x700
	v_mul_f64_e32 v[182:183], v[168:169], v[142:143]
	v_mul_f64_e32 v[142:143], v[170:171], v[142:143]
	v_add_f64_e32 v[10:11], v[184:185], v[192:193]
	v_add_f64_e32 v[180:181], v[186:187], v[196:197]
	v_fmac_f64_e32 v[188:189], v[6:7], v[12:13]
	v_fma_f64 v[12:13], v[4:5], v[12:13], -v[14:15]
	v_fmac_f64_e32 v[182:183], v[170:171], v[140:141]
	v_fma_f64 v[140:141], v[168:169], v[140:141], -v[142:143]
	v_add_f64_e32 v[14:15], v[10:11], v[8:9]
	v_add_f64_e32 v[180:181], v[180:181], v[190:191]
	ds_load_b128 v[4:7], v2 offset:1840
	ds_load_b128 v[8:11], v2 offset:1856
	s_wait_loadcnt_dscnt 0x601
	v_mul_f64_e32 v[184:185], v[4:5], v[146:147]
	v_mul_f64_e32 v[146:147], v[6:7], v[146:147]
	s_wait_loadcnt_dscnt 0x500
	v_mul_f64_e32 v[142:143], v[8:9], v[150:151]
	v_mul_f64_e32 v[150:151], v[10:11], v[150:151]
	v_add_f64_e32 v[12:13], v[14:15], v[12:13]
	v_add_f64_e32 v[14:15], v[180:181], v[188:189]
	v_fmac_f64_e32 v[184:185], v[6:7], v[144:145]
	v_fma_f64 v[144:145], v[4:5], v[144:145], -v[146:147]
	v_fmac_f64_e32 v[142:143], v[10:11], v[148:149]
	v_fma_f64 v[8:9], v[8:9], v[148:149], -v[150:151]
	v_add_f64_e32 v[140:141], v[12:13], v[140:141]
	v_add_f64_e32 v[146:147], v[14:15], v[182:183]
	ds_load_b128 v[4:7], v2 offset:1872
	ds_load_b128 v[12:15], v2 offset:1888
	s_wait_loadcnt_dscnt 0x401
	v_mul_f64_e32 v[168:169], v[4:5], v[154:155]
	v_mul_f64_e32 v[154:155], v[6:7], v[154:155]
	v_add_f64_e32 v[10:11], v[140:141], v[144:145]
	v_add_f64_e32 v[140:141], v[146:147], v[184:185]
	s_wait_loadcnt_dscnt 0x300
	v_mul_f64_e32 v[144:145], v[12:13], v[158:159]
	v_mul_f64_e32 v[146:147], v[14:15], v[158:159]
	v_fmac_f64_e32 v[168:169], v[6:7], v[152:153]
	v_fma_f64 v[148:149], v[4:5], v[152:153], -v[154:155]
	v_add_f64_e32 v[150:151], v[10:11], v[8:9]
	v_add_f64_e32 v[140:141], v[140:141], v[142:143]
	ds_load_b128 v[4:7], v2 offset:1904
	ds_load_b128 v[8:11], v2 offset:1920
	v_fmac_f64_e32 v[144:145], v[14:15], v[156:157]
	v_fma_f64 v[12:13], v[12:13], v[156:157], -v[146:147]
	s_wait_loadcnt_dscnt 0x201
	v_mul_f64_e32 v[142:143], v[4:5], v[162:163]
	v_mul_f64_e32 v[152:153], v[6:7], v[162:163]
	s_wait_loadcnt_dscnt 0x100
	v_mul_f64_e32 v[146:147], v[8:9], v[166:167]
	v_add_f64_e32 v[14:15], v[150:151], v[148:149]
	v_add_f64_e32 v[140:141], v[140:141], v[168:169]
	v_mul_f64_e32 v[148:149], v[10:11], v[166:167]
	v_fmac_f64_e32 v[142:143], v[6:7], v[160:161]
	v_fma_f64 v[150:151], v[4:5], v[160:161], -v[152:153]
	ds_load_b128 v[4:7], v2 offset:1936
	v_fmac_f64_e32 v[146:147], v[10:11], v[164:165]
	v_add_f64_e32 v[12:13], v[14:15], v[12:13]
	v_add_f64_e32 v[14:15], v[140:141], v[144:145]
	v_fma_f64 v[8:9], v[8:9], v[164:165], -v[148:149]
	s_wait_loadcnt_dscnt 0x0
	v_mul_f64_e32 v[140:141], v[4:5], v[174:175]
	v_mul_f64_e32 v[144:145], v[6:7], v[174:175]
	v_add_f64_e32 v[10:11], v[12:13], v[150:151]
	v_add_f64_e32 v[12:13], v[14:15], v[142:143]
	s_delay_alu instid0(VALU_DEP_4) | instskip(NEXT) | instid1(VALU_DEP_4)
	v_fmac_f64_e32 v[140:141], v[6:7], v[172:173]
	v_fma_f64 v[4:5], v[4:5], v[172:173], -v[144:145]
	s_delay_alu instid0(VALU_DEP_4) | instskip(NEXT) | instid1(VALU_DEP_4)
	v_add_f64_e32 v[6:7], v[10:11], v[8:9]
	v_add_f64_e32 v[8:9], v[12:13], v[146:147]
	s_delay_alu instid0(VALU_DEP_2) | instskip(NEXT) | instid1(VALU_DEP_2)
	v_add_f64_e32 v[4:5], v[6:7], v[4:5]
	v_add_f64_e32 v[6:7], v[8:9], v[140:141]
	s_delay_alu instid0(VALU_DEP_2) | instskip(NEXT) | instid1(VALU_DEP_2)
	v_add_f64_e64 v[4:5], v[176:177], -v[4:5]
	v_add_f64_e64 v[6:7], v[178:179], -v[6:7]
	scratch_store_b128 off, v[4:7], off offset:400
	s_wait_xcnt 0x0
	v_cmpx_lt_u32_e32 24, v1
	s_cbranch_execz .LBB60_343
; %bb.342:
	scratch_load_b128 v[6:9], off, s68
	v_dual_mov_b32 v3, v2 :: v_dual_mov_b32 v4, v2
	v_mov_b32_e32 v5, v2
	scratch_store_b128 off, v[2:5], off offset:384
	s_wait_loadcnt 0x0
	ds_store_b128 v138, v[6:9]
.LBB60_343:
	s_wait_xcnt 0x0
	s_or_b32 exec_lo, exec_lo, s2
	s_wait_storecnt_dscnt 0x0
	s_barrier_signal -1
	s_barrier_wait -1
	s_clause 0x9
	scratch_load_b128 v[4:7], off, off offset:400
	scratch_load_b128 v[8:11], off, off offset:416
	;; [unrolled: 1-line block ×10, first 2 shown]
	ds_load_b128 v[168:171], v2 offset:1376
	ds_load_b128 v[176:179], v2 offset:1392
	s_clause 0x2
	scratch_load_b128 v[172:175], off, off offset:560
	scratch_load_b128 v[180:183], off, off offset:384
	;; [unrolled: 1-line block ×3, first 2 shown]
	s_mov_b32 s2, exec_lo
	s_wait_loadcnt_dscnt 0xc01
	v_mul_f64_e32 v[188:189], v[170:171], v[6:7]
	v_mul_f64_e32 v[192:193], v[168:169], v[6:7]
	s_wait_loadcnt_dscnt 0xb00
	v_mul_f64_e32 v[194:195], v[176:177], v[10:11]
	v_mul_f64_e32 v[10:11], v[178:179], v[10:11]
	s_delay_alu instid0(VALU_DEP_4) | instskip(NEXT) | instid1(VALU_DEP_4)
	v_fma_f64 v[196:197], v[168:169], v[4:5], -v[188:189]
	v_fmac_f64_e32 v[192:193], v[170:171], v[4:5]
	ds_load_b128 v[4:7], v2 offset:1408
	ds_load_b128 v[168:171], v2 offset:1424
	scratch_load_b128 v[188:191], off, off offset:592
	v_fmac_f64_e32 v[194:195], v[178:179], v[8:9]
	v_fma_f64 v[176:177], v[176:177], v[8:9], -v[10:11]
	scratch_load_b128 v[8:11], off, off offset:608
	s_wait_loadcnt_dscnt 0xc01
	v_mul_f64_e32 v[198:199], v[4:5], v[14:15]
	v_mul_f64_e32 v[14:15], v[6:7], v[14:15]
	v_add_f64_e32 v[178:179], 0, v[196:197]
	v_add_f64_e32 v[192:193], 0, v[192:193]
	s_wait_loadcnt_dscnt 0xb00
	v_mul_f64_e32 v[196:197], v[168:169], v[142:143]
	v_mul_f64_e32 v[142:143], v[170:171], v[142:143]
	v_fmac_f64_e32 v[198:199], v[6:7], v[12:13]
	v_fma_f64 v[200:201], v[4:5], v[12:13], -v[14:15]
	ds_load_b128 v[4:7], v2 offset:1440
	ds_load_b128 v[12:15], v2 offset:1456
	v_add_f64_e32 v[202:203], v[178:179], v[176:177]
	v_add_f64_e32 v[192:193], v[192:193], v[194:195]
	scratch_load_b128 v[176:179], off, off offset:624
	v_fmac_f64_e32 v[196:197], v[170:171], v[140:141]
	v_fma_f64 v[168:169], v[168:169], v[140:141], -v[142:143]
	scratch_load_b128 v[140:143], off, off offset:640
	s_wait_loadcnt_dscnt 0xc01
	v_mul_f64_e32 v[194:195], v[4:5], v[146:147]
	v_mul_f64_e32 v[146:147], v[6:7], v[146:147]
	v_add_f64_e32 v[170:171], v[202:203], v[200:201]
	v_add_f64_e32 v[192:193], v[192:193], v[198:199]
	s_wait_loadcnt_dscnt 0xb00
	v_mul_f64_e32 v[198:199], v[12:13], v[150:151]
	v_mul_f64_e32 v[150:151], v[14:15], v[150:151]
	v_fmac_f64_e32 v[194:195], v[6:7], v[144:145]
	v_fma_f64 v[200:201], v[4:5], v[144:145], -v[146:147]
	ds_load_b128 v[4:7], v2 offset:1472
	ds_load_b128 v[144:147], v2 offset:1488
	v_add_f64_e32 v[202:203], v[170:171], v[168:169]
	v_add_f64_e32 v[192:193], v[192:193], v[196:197]
	scratch_load_b128 v[168:171], off, off offset:656
	s_wait_loadcnt_dscnt 0xb01
	v_mul_f64_e32 v[196:197], v[4:5], v[154:155]
	v_mul_f64_e32 v[154:155], v[6:7], v[154:155]
	v_fmac_f64_e32 v[198:199], v[14:15], v[148:149]
	v_fma_f64 v[148:149], v[12:13], v[148:149], -v[150:151]
	scratch_load_b128 v[12:15], off, off offset:672
	v_add_f64_e32 v[150:151], v[202:203], v[200:201]
	v_add_f64_e32 v[192:193], v[192:193], v[194:195]
	s_wait_loadcnt_dscnt 0xb00
	v_mul_f64_e32 v[194:195], v[144:145], v[158:159]
	v_mul_f64_e32 v[158:159], v[146:147], v[158:159]
	v_fmac_f64_e32 v[196:197], v[6:7], v[152:153]
	v_fma_f64 v[200:201], v[4:5], v[152:153], -v[154:155]
	v_add_f64_e32 v[202:203], v[150:151], v[148:149]
	v_add_f64_e32 v[192:193], v[192:193], v[198:199]
	ds_load_b128 v[4:7], v2 offset:1504
	ds_load_b128 v[148:151], v2 offset:1520
	scratch_load_b128 v[152:155], off, off offset:688
	v_fmac_f64_e32 v[194:195], v[146:147], v[156:157]
	v_fma_f64 v[156:157], v[144:145], v[156:157], -v[158:159]
	scratch_load_b128 v[144:147], off, off offset:704
	s_wait_loadcnt_dscnt 0xc01
	v_mul_f64_e32 v[198:199], v[4:5], v[162:163]
	v_mul_f64_e32 v[162:163], v[6:7], v[162:163]
	v_add_f64_e32 v[158:159], v[202:203], v[200:201]
	v_add_f64_e32 v[192:193], v[192:193], v[196:197]
	s_wait_loadcnt_dscnt 0xb00
	v_mul_f64_e32 v[196:197], v[148:149], v[166:167]
	v_mul_f64_e32 v[166:167], v[150:151], v[166:167]
	v_fmac_f64_e32 v[198:199], v[6:7], v[160:161]
	v_fma_f64 v[200:201], v[4:5], v[160:161], -v[162:163]
	v_add_f64_e32 v[202:203], v[158:159], v[156:157]
	v_add_f64_e32 v[192:193], v[192:193], v[194:195]
	ds_load_b128 v[4:7], v2 offset:1536
	ds_load_b128 v[156:159], v2 offset:1552
	scratch_load_b128 v[160:163], off, off offset:720
	v_fmac_f64_e32 v[196:197], v[150:151], v[164:165]
	v_fma_f64 v[164:165], v[148:149], v[164:165], -v[166:167]
	scratch_load_b128 v[148:151], off, off offset:736
	s_wait_loadcnt_dscnt 0xc01
	v_mul_f64_e32 v[194:195], v[4:5], v[174:175]
	v_mul_f64_e32 v[174:175], v[6:7], v[174:175]
	;; [unrolled: 18-line block ×5, first 2 shown]
	v_add_f64_e32 v[186:187], v[202:203], v[200:201]
	v_add_f64_e32 v[192:193], v[192:193], v[198:199]
	s_wait_loadcnt_dscnt 0xa00
	v_mul_f64_e32 v[198:199], v[164:165], v[14:15]
	v_mul_f64_e32 v[14:15], v[166:167], v[14:15]
	v_fmac_f64_e32 v[194:195], v[6:7], v[168:169]
	v_fma_f64 v[200:201], v[4:5], v[168:169], -v[170:171]
	ds_load_b128 v[4:7], v2 offset:1664
	ds_load_b128 v[168:171], v2 offset:1680
	v_add_f64_e32 v[202:203], v[186:187], v[184:185]
	v_add_f64_e32 v[192:193], v[192:193], v[196:197]
	scratch_load_b128 v[184:187], off, off offset:848
	v_fmac_f64_e32 v[198:199], v[166:167], v[12:13]
	v_fma_f64 v[164:165], v[164:165], v[12:13], -v[14:15]
	scratch_load_b128 v[12:15], off, off offset:864
	s_wait_loadcnt_dscnt 0xb01
	v_mul_f64_e32 v[196:197], v[4:5], v[154:155]
	v_mul_f64_e32 v[154:155], v[6:7], v[154:155]
	v_add_f64_e32 v[166:167], v[202:203], v[200:201]
	v_add_f64_e32 v[192:193], v[192:193], v[194:195]
	s_wait_loadcnt_dscnt 0xa00
	v_mul_f64_e32 v[194:195], v[168:169], v[146:147]
	v_mul_f64_e32 v[146:147], v[170:171], v[146:147]
	v_fmac_f64_e32 v[196:197], v[6:7], v[152:153]
	v_fma_f64 v[200:201], v[4:5], v[152:153], -v[154:155]
	ds_load_b128 v[4:7], v2 offset:1696
	ds_load_b128 v[152:155], v2 offset:1712
	v_add_f64_e32 v[202:203], v[166:167], v[164:165]
	v_add_f64_e32 v[192:193], v[192:193], v[198:199]
	scratch_load_b128 v[164:167], off, off offset:880
	s_wait_loadcnt_dscnt 0xa01
	v_mul_f64_e32 v[198:199], v[4:5], v[162:163]
	v_mul_f64_e32 v[162:163], v[6:7], v[162:163]
	v_fmac_f64_e32 v[194:195], v[170:171], v[144:145]
	v_fma_f64 v[168:169], v[168:169], v[144:145], -v[146:147]
	scratch_load_b128 v[144:147], off, off offset:896
	v_add_f64_e32 v[170:171], v[202:203], v[200:201]
	v_add_f64_e32 v[192:193], v[192:193], v[196:197]
	s_wait_loadcnt_dscnt 0xa00
	v_mul_f64_e32 v[196:197], v[152:153], v[150:151]
	v_mul_f64_e32 v[150:151], v[154:155], v[150:151]
	v_fmac_f64_e32 v[198:199], v[6:7], v[160:161]
	v_fma_f64 v[200:201], v[4:5], v[160:161], -v[162:163]
	ds_load_b128 v[4:7], v2 offset:1728
	ds_load_b128 v[160:163], v2 offset:1744
	v_add_f64_e32 v[202:203], v[170:171], v[168:169]
	v_add_f64_e32 v[192:193], v[192:193], v[194:195]
	scratch_load_b128 v[168:171], off, off offset:912
	s_wait_loadcnt_dscnt 0xa01
	v_mul_f64_e32 v[194:195], v[4:5], v[174:175]
	v_mul_f64_e32 v[174:175], v[6:7], v[174:175]
	v_fmac_f64_e32 v[196:197], v[154:155], v[148:149]
	v_fma_f64 v[152:153], v[152:153], v[148:149], -v[150:151]
	scratch_load_b128 v[148:151], off, off offset:928
	v_add_f64_e32 v[154:155], v[202:203], v[200:201]
	v_add_f64_e32 v[192:193], v[192:193], v[198:199]
	s_wait_loadcnt_dscnt 0xa00
	v_mul_f64_e32 v[198:199], v[160:161], v[158:159]
	v_mul_f64_e32 v[158:159], v[162:163], v[158:159]
	v_fmac_f64_e32 v[194:195], v[6:7], v[172:173]
	v_fma_f64 v[200:201], v[4:5], v[172:173], -v[174:175]
	v_add_f64_e32 v[202:203], v[154:155], v[152:153]
	v_add_f64_e32 v[192:193], v[192:193], v[196:197]
	ds_load_b128 v[4:7], v2 offset:1760
	ds_load_b128 v[152:155], v2 offset:1776
	scratch_load_b128 v[172:175], off, off offset:944
	v_fmac_f64_e32 v[198:199], v[162:163], v[156:157]
	v_fma_f64 v[160:161], v[160:161], v[156:157], -v[158:159]
	scratch_load_b128 v[156:159], off, off offset:960
	s_wait_loadcnt_dscnt 0xb01
	v_mul_f64_e32 v[196:197], v[4:5], v[190:191]
	v_mul_f64_e32 v[190:191], v[6:7], v[190:191]
	v_add_f64_e32 v[162:163], v[202:203], v[200:201]
	v_add_f64_e32 v[192:193], v[192:193], v[194:195]
	s_wait_loadcnt_dscnt 0xa00
	v_mul_f64_e32 v[194:195], v[152:153], v[10:11]
	v_mul_f64_e32 v[10:11], v[154:155], v[10:11]
	v_fmac_f64_e32 v[196:197], v[6:7], v[188:189]
	v_fma_f64 v[188:189], v[4:5], v[188:189], -v[190:191]
	v_add_f64_e32 v[190:191], v[162:163], v[160:161]
	v_add_f64_e32 v[192:193], v[192:193], v[198:199]
	ds_load_b128 v[4:7], v2 offset:1792
	ds_load_b128 v[160:163], v2 offset:1808
	v_fmac_f64_e32 v[194:195], v[154:155], v[8:9]
	v_fma_f64 v[8:9], v[152:153], v[8:9], -v[10:11]
	s_wait_loadcnt_dscnt 0x901
	v_mul_f64_e32 v[198:199], v[4:5], v[178:179]
	v_mul_f64_e32 v[178:179], v[6:7], v[178:179]
	s_wait_loadcnt_dscnt 0x800
	v_mul_f64_e32 v[154:155], v[160:161], v[142:143]
	v_mul_f64_e32 v[142:143], v[162:163], v[142:143]
	v_add_f64_e32 v[10:11], v[190:191], v[188:189]
	v_add_f64_e32 v[152:153], v[192:193], v[196:197]
	v_fmac_f64_e32 v[198:199], v[6:7], v[176:177]
	v_fma_f64 v[176:177], v[4:5], v[176:177], -v[178:179]
	v_fmac_f64_e32 v[154:155], v[162:163], v[140:141]
	v_fma_f64 v[140:141], v[160:161], v[140:141], -v[142:143]
	v_add_f64_e32 v[178:179], v[10:11], v[8:9]
	v_add_f64_e32 v[152:153], v[152:153], v[194:195]
	ds_load_b128 v[4:7], v2 offset:1824
	ds_load_b128 v[8:11], v2 offset:1840
	s_wait_loadcnt_dscnt 0x701
	v_mul_f64_e32 v[188:189], v[4:5], v[186:187]
	v_mul_f64_e32 v[186:187], v[6:7], v[186:187]
	s_wait_loadcnt_dscnt 0x600
	v_mul_f64_e32 v[160:161], v[8:9], v[14:15]
	v_mul_f64_e32 v[14:15], v[10:11], v[14:15]
	v_add_f64_e32 v[142:143], v[178:179], v[176:177]
	v_add_f64_e32 v[152:153], v[152:153], v[198:199]
	v_fmac_f64_e32 v[188:189], v[6:7], v[184:185]
	v_fma_f64 v[162:163], v[4:5], v[184:185], -v[186:187]
	v_fmac_f64_e32 v[160:161], v[10:11], v[12:13]
	v_fma_f64 v[8:9], v[8:9], v[12:13], -v[14:15]
	v_add_f64_e32 v[176:177], v[142:143], v[140:141]
	v_add_f64_e32 v[152:153], v[152:153], v[154:155]
	ds_load_b128 v[4:7], v2 offset:1856
	ds_load_b128 v[140:143], v2 offset:1872
	;; [unrolled: 16-line block ×4, first 2 shown]
	s_wait_loadcnt_dscnt 0x101
	v_mul_f64_e32 v[2:3], v[4:5], v[174:175]
	v_mul_f64_e32 v[152:153], v[6:7], v[174:175]
	s_wait_loadcnt_dscnt 0x0
	v_mul_f64_e32 v[146:147], v[14:15], v[158:159]
	v_add_f64_e32 v[10:11], v[140:141], v[150:151]
	v_add_f64_e32 v[140:141], v[142:143], v[160:161]
	v_mul_f64_e32 v[142:143], v[12:13], v[158:159]
	v_fmac_f64_e32 v[2:3], v[6:7], v[172:173]
	v_fma_f64 v[4:5], v[4:5], v[172:173], -v[152:153]
	v_add_f64_e32 v[6:7], v[10:11], v[8:9]
	v_add_f64_e32 v[8:9], v[140:141], v[144:145]
	v_fmac_f64_e32 v[142:143], v[14:15], v[156:157]
	v_fma_f64 v[10:11], v[12:13], v[156:157], -v[146:147]
	s_delay_alu instid0(VALU_DEP_4) | instskip(NEXT) | instid1(VALU_DEP_4)
	v_add_f64_e32 v[4:5], v[6:7], v[4:5]
	v_add_f64_e32 v[2:3], v[8:9], v[2:3]
	s_delay_alu instid0(VALU_DEP_2) | instskip(NEXT) | instid1(VALU_DEP_2)
	v_add_f64_e32 v[4:5], v[4:5], v[10:11]
	v_add_f64_e32 v[6:7], v[2:3], v[142:143]
	s_delay_alu instid0(VALU_DEP_2) | instskip(NEXT) | instid1(VALU_DEP_2)
	v_add_f64_e64 v[2:3], v[180:181], -v[4:5]
	v_add_f64_e64 v[4:5], v[182:183], -v[6:7]
	scratch_store_b128 off, v[2:5], off offset:384
	s_wait_xcnt 0x0
	v_cmpx_lt_u32_e32 23, v1
	s_cbranch_execz .LBB60_345
; %bb.344:
	scratch_load_b128 v[2:5], off, s66
	v_mov_b32_e32 v6, 0
	s_delay_alu instid0(VALU_DEP_1)
	v_dual_mov_b32 v7, v6 :: v_dual_mov_b32 v8, v6
	v_mov_b32_e32 v9, v6
	scratch_store_b128 off, v[6:9], off offset:368
	s_wait_loadcnt 0x0
	ds_store_b128 v138, v[2:5]
.LBB60_345:
	s_wait_xcnt 0x0
	s_or_b32 exec_lo, exec_lo, s2
	s_wait_storecnt_dscnt 0x0
	s_barrier_signal -1
	s_barrier_wait -1
	s_clause 0x9
	scratch_load_b128 v[4:7], off, off offset:384
	scratch_load_b128 v[8:11], off, off offset:400
	;; [unrolled: 1-line block ×10, first 2 shown]
	v_mov_b32_e32 v2, 0
	s_mov_b32 s2, exec_lo
	ds_load_b128 v[168:171], v2 offset:1360
	s_clause 0x2
	scratch_load_b128 v[172:175], off, off offset:544
	scratch_load_b128 v[176:179], off, off offset:368
	;; [unrolled: 1-line block ×3, first 2 shown]
	s_wait_loadcnt_dscnt 0xc00
	v_mul_f64_e32 v[188:189], v[170:171], v[6:7]
	v_mul_f64_e32 v[192:193], v[168:169], v[6:7]
	ds_load_b128 v[180:183], v2 offset:1376
	v_fma_f64 v[196:197], v[168:169], v[4:5], -v[188:189]
	v_fmac_f64_e32 v[192:193], v[170:171], v[4:5]
	ds_load_b128 v[4:7], v2 offset:1392
	s_wait_loadcnt_dscnt 0xb01
	v_mul_f64_e32 v[194:195], v[180:181], v[10:11]
	v_mul_f64_e32 v[10:11], v[182:183], v[10:11]
	scratch_load_b128 v[168:171], off, off offset:576
	ds_load_b128 v[188:191], v2 offset:1408
	s_wait_loadcnt_dscnt 0xb01
	v_mul_f64_e32 v[198:199], v[4:5], v[14:15]
	v_mul_f64_e32 v[14:15], v[6:7], v[14:15]
	v_add_f64_e32 v[192:193], 0, v[192:193]
	v_fmac_f64_e32 v[194:195], v[182:183], v[8:9]
	v_fma_f64 v[180:181], v[180:181], v[8:9], -v[10:11]
	v_add_f64_e32 v[182:183], 0, v[196:197]
	scratch_load_b128 v[8:11], off, off offset:592
	v_fmac_f64_e32 v[198:199], v[6:7], v[12:13]
	v_fma_f64 v[200:201], v[4:5], v[12:13], -v[14:15]
	ds_load_b128 v[4:7], v2 offset:1424
	s_wait_loadcnt_dscnt 0xb01
	v_mul_f64_e32 v[196:197], v[188:189], v[142:143]
	v_mul_f64_e32 v[142:143], v[190:191], v[142:143]
	scratch_load_b128 v[12:15], off, off offset:608
	v_add_f64_e32 v[192:193], v[192:193], v[194:195]
	v_add_f64_e32 v[202:203], v[182:183], v[180:181]
	ds_load_b128 v[180:183], v2 offset:1440
	s_wait_loadcnt_dscnt 0xb01
	v_mul_f64_e32 v[194:195], v[4:5], v[146:147]
	v_mul_f64_e32 v[146:147], v[6:7], v[146:147]
	v_fmac_f64_e32 v[196:197], v[190:191], v[140:141]
	v_fma_f64 v[188:189], v[188:189], v[140:141], -v[142:143]
	scratch_load_b128 v[140:143], off, off offset:624
	v_add_f64_e32 v[192:193], v[192:193], v[198:199]
	v_add_f64_e32 v[190:191], v[202:203], v[200:201]
	v_fmac_f64_e32 v[194:195], v[6:7], v[144:145]
	v_fma_f64 v[200:201], v[4:5], v[144:145], -v[146:147]
	ds_load_b128 v[4:7], v2 offset:1456
	s_wait_loadcnt_dscnt 0xb01
	v_mul_f64_e32 v[198:199], v[180:181], v[150:151]
	v_mul_f64_e32 v[150:151], v[182:183], v[150:151]
	scratch_load_b128 v[144:147], off, off offset:640
	v_add_f64_e32 v[192:193], v[192:193], v[196:197]
	s_wait_loadcnt_dscnt 0xb00
	v_mul_f64_e32 v[196:197], v[4:5], v[154:155]
	v_add_f64_e32 v[202:203], v[190:191], v[188:189]
	v_mul_f64_e32 v[154:155], v[6:7], v[154:155]
	ds_load_b128 v[188:191], v2 offset:1472
	v_fmac_f64_e32 v[198:199], v[182:183], v[148:149]
	v_fma_f64 v[180:181], v[180:181], v[148:149], -v[150:151]
	scratch_load_b128 v[148:151], off, off offset:656
	v_add_f64_e32 v[192:193], v[192:193], v[194:195]
	v_fmac_f64_e32 v[196:197], v[6:7], v[152:153]
	v_add_f64_e32 v[182:183], v[202:203], v[200:201]
	v_fma_f64 v[200:201], v[4:5], v[152:153], -v[154:155]
	ds_load_b128 v[4:7], v2 offset:1488
	s_wait_loadcnt_dscnt 0xb01
	v_mul_f64_e32 v[194:195], v[188:189], v[158:159]
	v_mul_f64_e32 v[158:159], v[190:191], v[158:159]
	scratch_load_b128 v[152:155], off, off offset:672
	v_add_f64_e32 v[192:193], v[192:193], v[198:199]
	s_wait_loadcnt_dscnt 0xb00
	v_mul_f64_e32 v[198:199], v[4:5], v[162:163]
	v_add_f64_e32 v[202:203], v[182:183], v[180:181]
	v_mul_f64_e32 v[162:163], v[6:7], v[162:163]
	ds_load_b128 v[180:183], v2 offset:1504
	v_fmac_f64_e32 v[194:195], v[190:191], v[156:157]
	v_fma_f64 v[188:189], v[188:189], v[156:157], -v[158:159]
	scratch_load_b128 v[156:159], off, off offset:688
	v_add_f64_e32 v[192:193], v[192:193], v[196:197]
	v_fmac_f64_e32 v[198:199], v[6:7], v[160:161]
	v_add_f64_e32 v[190:191], v[202:203], v[200:201]
	;; [unrolled: 18-line block ×3, first 2 shown]
	v_fma_f64 v[200:201], v[4:5], v[172:173], -v[174:175]
	ds_load_b128 v[4:7], v2 offset:1552
	s_wait_loadcnt_dscnt 0xa01
	v_mul_f64_e32 v[198:199], v[188:189], v[186:187]
	v_mul_f64_e32 v[186:187], v[190:191], v[186:187]
	scratch_load_b128 v[172:175], off, off offset:736
	v_add_f64_e32 v[192:193], v[192:193], v[196:197]
	v_add_f64_e32 v[202:203], v[182:183], v[180:181]
	s_wait_loadcnt_dscnt 0xa00
	v_mul_f64_e32 v[196:197], v[4:5], v[170:171]
	v_mul_f64_e32 v[170:171], v[6:7], v[170:171]
	v_fmac_f64_e32 v[198:199], v[190:191], v[184:185]
	v_fma_f64 v[188:189], v[188:189], v[184:185], -v[186:187]
	ds_load_b128 v[180:183], v2 offset:1568
	scratch_load_b128 v[184:187], off, off offset:752
	v_add_f64_e32 v[192:193], v[192:193], v[194:195]
	v_add_f64_e32 v[190:191], v[202:203], v[200:201]
	v_fmac_f64_e32 v[196:197], v[6:7], v[168:169]
	v_fma_f64 v[200:201], v[4:5], v[168:169], -v[170:171]
	ds_load_b128 v[4:7], v2 offset:1584
	s_wait_loadcnt_dscnt 0xa01
	v_mul_f64_e32 v[194:195], v[180:181], v[10:11]
	v_mul_f64_e32 v[10:11], v[182:183], v[10:11]
	scratch_load_b128 v[168:171], off, off offset:768
	v_add_f64_e32 v[192:193], v[192:193], v[198:199]
	s_wait_loadcnt_dscnt 0xa00
	v_mul_f64_e32 v[198:199], v[4:5], v[14:15]
	v_add_f64_e32 v[202:203], v[190:191], v[188:189]
	v_mul_f64_e32 v[14:15], v[6:7], v[14:15]
	ds_load_b128 v[188:191], v2 offset:1600
	v_fmac_f64_e32 v[194:195], v[182:183], v[8:9]
	v_fma_f64 v[180:181], v[180:181], v[8:9], -v[10:11]
	scratch_load_b128 v[8:11], off, off offset:784
	v_add_f64_e32 v[192:193], v[192:193], v[196:197]
	v_fmac_f64_e32 v[198:199], v[6:7], v[12:13]
	v_add_f64_e32 v[182:183], v[202:203], v[200:201]
	v_fma_f64 v[200:201], v[4:5], v[12:13], -v[14:15]
	ds_load_b128 v[4:7], v2 offset:1616
	s_wait_loadcnt_dscnt 0xa01
	v_mul_f64_e32 v[196:197], v[188:189], v[142:143]
	v_mul_f64_e32 v[142:143], v[190:191], v[142:143]
	scratch_load_b128 v[12:15], off, off offset:800
	v_add_f64_e32 v[192:193], v[192:193], v[194:195]
	s_wait_loadcnt_dscnt 0xa00
	v_mul_f64_e32 v[194:195], v[4:5], v[146:147]
	v_add_f64_e32 v[202:203], v[182:183], v[180:181]
	v_mul_f64_e32 v[146:147], v[6:7], v[146:147]
	ds_load_b128 v[180:183], v2 offset:1632
	v_fmac_f64_e32 v[196:197], v[190:191], v[140:141]
	v_fma_f64 v[188:189], v[188:189], v[140:141], -v[142:143]
	scratch_load_b128 v[140:143], off, off offset:816
	v_add_f64_e32 v[192:193], v[192:193], v[198:199]
	v_fmac_f64_e32 v[194:195], v[6:7], v[144:145]
	v_add_f64_e32 v[190:191], v[202:203], v[200:201]
	;; [unrolled: 18-line block ×6, first 2 shown]
	v_fma_f64 v[200:201], v[4:5], v[168:169], -v[170:171]
	ds_load_b128 v[4:7], v2 offset:1776
	s_wait_loadcnt_dscnt 0xa01
	v_mul_f64_e32 v[194:195], v[180:181], v[10:11]
	v_mul_f64_e32 v[10:11], v[182:183], v[10:11]
	scratch_load_b128 v[168:171], off, off offset:960
	v_add_f64_e32 v[192:193], v[192:193], v[198:199]
	s_wait_loadcnt_dscnt 0xa00
	v_mul_f64_e32 v[198:199], v[4:5], v[14:15]
	v_add_f64_e32 v[202:203], v[190:191], v[188:189]
	v_mul_f64_e32 v[14:15], v[6:7], v[14:15]
	ds_load_b128 v[188:191], v2 offset:1792
	v_fmac_f64_e32 v[194:195], v[182:183], v[8:9]
	v_fma_f64 v[8:9], v[180:181], v[8:9], -v[10:11]
	s_wait_loadcnt_dscnt 0x900
	v_mul_f64_e32 v[182:183], v[188:189], v[142:143]
	v_mul_f64_e32 v[142:143], v[190:191], v[142:143]
	v_add_f64_e32 v[180:181], v[192:193], v[196:197]
	v_fmac_f64_e32 v[198:199], v[6:7], v[12:13]
	v_add_f64_e32 v[10:11], v[202:203], v[200:201]
	v_fma_f64 v[12:13], v[4:5], v[12:13], -v[14:15]
	v_fmac_f64_e32 v[182:183], v[190:191], v[140:141]
	v_fma_f64 v[140:141], v[188:189], v[140:141], -v[142:143]
	v_add_f64_e32 v[180:181], v[180:181], v[194:195]
	v_add_f64_e32 v[14:15], v[10:11], v[8:9]
	ds_load_b128 v[4:7], v2 offset:1808
	ds_load_b128 v[8:11], v2 offset:1824
	s_wait_loadcnt_dscnt 0x801
	v_mul_f64_e32 v[192:193], v[4:5], v[146:147]
	v_mul_f64_e32 v[146:147], v[6:7], v[146:147]
	s_wait_loadcnt_dscnt 0x700
	v_mul_f64_e32 v[142:143], v[8:9], v[150:151]
	v_mul_f64_e32 v[150:151], v[10:11], v[150:151]
	v_add_f64_e32 v[12:13], v[14:15], v[12:13]
	v_add_f64_e32 v[14:15], v[180:181], v[198:199]
	v_fmac_f64_e32 v[192:193], v[6:7], v[144:145]
	v_fma_f64 v[144:145], v[4:5], v[144:145], -v[146:147]
	v_fmac_f64_e32 v[142:143], v[10:11], v[148:149]
	v_fma_f64 v[8:9], v[8:9], v[148:149], -v[150:151]
	v_add_f64_e32 v[140:141], v[12:13], v[140:141]
	v_add_f64_e32 v[146:147], v[14:15], v[182:183]
	ds_load_b128 v[4:7], v2 offset:1840
	ds_load_b128 v[12:15], v2 offset:1856
	s_wait_loadcnt_dscnt 0x601
	v_mul_f64_e32 v[180:181], v[4:5], v[154:155]
	v_mul_f64_e32 v[154:155], v[6:7], v[154:155]
	v_add_f64_e32 v[10:11], v[140:141], v[144:145]
	v_add_f64_e32 v[140:141], v[146:147], v[192:193]
	s_wait_loadcnt_dscnt 0x500
	v_mul_f64_e32 v[144:145], v[12:13], v[158:159]
	v_mul_f64_e32 v[146:147], v[14:15], v[158:159]
	v_fmac_f64_e32 v[180:181], v[6:7], v[152:153]
	v_fma_f64 v[148:149], v[4:5], v[152:153], -v[154:155]
	v_add_f64_e32 v[150:151], v[10:11], v[8:9]
	v_add_f64_e32 v[140:141], v[140:141], v[142:143]
	ds_load_b128 v[4:7], v2 offset:1872
	ds_load_b128 v[8:11], v2 offset:1888
	v_fmac_f64_e32 v[144:145], v[14:15], v[156:157]
	v_fma_f64 v[12:13], v[12:13], v[156:157], -v[146:147]
	s_wait_loadcnt_dscnt 0x401
	v_mul_f64_e32 v[142:143], v[4:5], v[162:163]
	v_mul_f64_e32 v[152:153], v[6:7], v[162:163]
	s_wait_loadcnt_dscnt 0x300
	v_mul_f64_e32 v[146:147], v[8:9], v[166:167]
	v_add_f64_e32 v[14:15], v[150:151], v[148:149]
	v_add_f64_e32 v[140:141], v[140:141], v[180:181]
	v_mul_f64_e32 v[148:149], v[10:11], v[166:167]
	v_fmac_f64_e32 v[142:143], v[6:7], v[160:161]
	v_fma_f64 v[150:151], v[4:5], v[160:161], -v[152:153]
	v_fmac_f64_e32 v[146:147], v[10:11], v[164:165]
	v_add_f64_e32 v[152:153], v[14:15], v[12:13]
	v_add_f64_e32 v[140:141], v[140:141], v[144:145]
	ds_load_b128 v[4:7], v2 offset:1904
	ds_load_b128 v[12:15], v2 offset:1920
	v_fma_f64 v[8:9], v[8:9], v[164:165], -v[148:149]
	s_wait_loadcnt_dscnt 0x201
	v_mul_f64_e32 v[144:145], v[4:5], v[174:175]
	v_mul_f64_e32 v[154:155], v[6:7], v[174:175]
	s_wait_loadcnt_dscnt 0x100
	v_mul_f64_e32 v[148:149], v[14:15], v[186:187]
	v_add_f64_e32 v[10:11], v[152:153], v[150:151]
	v_add_f64_e32 v[140:141], v[140:141], v[142:143]
	v_mul_f64_e32 v[142:143], v[12:13], v[186:187]
	v_fmac_f64_e32 v[144:145], v[6:7], v[172:173]
	v_fma_f64 v[150:151], v[4:5], v[172:173], -v[154:155]
	ds_load_b128 v[4:7], v2 offset:1936
	v_fma_f64 v[12:13], v[12:13], v[184:185], -v[148:149]
	v_add_f64_e32 v[8:9], v[10:11], v[8:9]
	v_add_f64_e32 v[10:11], v[140:141], v[146:147]
	v_fmac_f64_e32 v[142:143], v[14:15], v[184:185]
	s_wait_loadcnt_dscnt 0x0
	v_mul_f64_e32 v[140:141], v[4:5], v[170:171]
	v_mul_f64_e32 v[146:147], v[6:7], v[170:171]
	v_add_f64_e32 v[8:9], v[8:9], v[150:151]
	v_add_f64_e32 v[10:11], v[10:11], v[144:145]
	s_delay_alu instid0(VALU_DEP_4) | instskip(NEXT) | instid1(VALU_DEP_4)
	v_fmac_f64_e32 v[140:141], v[6:7], v[168:169]
	v_fma_f64 v[4:5], v[4:5], v[168:169], -v[146:147]
	s_delay_alu instid0(VALU_DEP_4) | instskip(NEXT) | instid1(VALU_DEP_4)
	v_add_f64_e32 v[6:7], v[8:9], v[12:13]
	v_add_f64_e32 v[8:9], v[10:11], v[142:143]
	s_delay_alu instid0(VALU_DEP_2) | instskip(NEXT) | instid1(VALU_DEP_2)
	v_add_f64_e32 v[4:5], v[6:7], v[4:5]
	v_add_f64_e32 v[6:7], v[8:9], v[140:141]
	s_delay_alu instid0(VALU_DEP_2) | instskip(NEXT) | instid1(VALU_DEP_2)
	v_add_f64_e64 v[4:5], v[176:177], -v[4:5]
	v_add_f64_e64 v[6:7], v[178:179], -v[6:7]
	scratch_store_b128 off, v[4:7], off offset:368
	s_wait_xcnt 0x0
	v_cmpx_lt_u32_e32 22, v1
	s_cbranch_execz .LBB60_347
; %bb.346:
	scratch_load_b128 v[6:9], off, s62
	v_dual_mov_b32 v3, v2 :: v_dual_mov_b32 v4, v2
	v_mov_b32_e32 v5, v2
	scratch_store_b128 off, v[2:5], off offset:352
	s_wait_loadcnt 0x0
	ds_store_b128 v138, v[6:9]
.LBB60_347:
	s_wait_xcnt 0x0
	s_or_b32 exec_lo, exec_lo, s2
	s_wait_storecnt_dscnt 0x0
	s_barrier_signal -1
	s_barrier_wait -1
	s_clause 0x9
	scratch_load_b128 v[4:7], off, off offset:368
	scratch_load_b128 v[8:11], off, off offset:384
	;; [unrolled: 1-line block ×10, first 2 shown]
	ds_load_b128 v[168:171], v2 offset:1344
	ds_load_b128 v[176:179], v2 offset:1360
	s_clause 0x2
	scratch_load_b128 v[172:175], off, off offset:528
	scratch_load_b128 v[180:183], off, off offset:352
	;; [unrolled: 1-line block ×3, first 2 shown]
	s_mov_b32 s2, exec_lo
	s_wait_loadcnt_dscnt 0xc01
	v_mul_f64_e32 v[188:189], v[170:171], v[6:7]
	v_mul_f64_e32 v[192:193], v[168:169], v[6:7]
	s_wait_loadcnt_dscnt 0xb00
	v_mul_f64_e32 v[194:195], v[176:177], v[10:11]
	v_mul_f64_e32 v[10:11], v[178:179], v[10:11]
	s_delay_alu instid0(VALU_DEP_4) | instskip(NEXT) | instid1(VALU_DEP_4)
	v_fma_f64 v[196:197], v[168:169], v[4:5], -v[188:189]
	v_fmac_f64_e32 v[192:193], v[170:171], v[4:5]
	ds_load_b128 v[4:7], v2 offset:1376
	ds_load_b128 v[168:171], v2 offset:1392
	scratch_load_b128 v[188:191], off, off offset:560
	v_fmac_f64_e32 v[194:195], v[178:179], v[8:9]
	v_fma_f64 v[176:177], v[176:177], v[8:9], -v[10:11]
	scratch_load_b128 v[8:11], off, off offset:576
	s_wait_loadcnt_dscnt 0xc01
	v_mul_f64_e32 v[198:199], v[4:5], v[14:15]
	v_mul_f64_e32 v[14:15], v[6:7], v[14:15]
	v_add_f64_e32 v[178:179], 0, v[196:197]
	v_add_f64_e32 v[192:193], 0, v[192:193]
	s_wait_loadcnt_dscnt 0xb00
	v_mul_f64_e32 v[196:197], v[168:169], v[142:143]
	v_mul_f64_e32 v[142:143], v[170:171], v[142:143]
	v_fmac_f64_e32 v[198:199], v[6:7], v[12:13]
	v_fma_f64 v[200:201], v[4:5], v[12:13], -v[14:15]
	ds_load_b128 v[4:7], v2 offset:1408
	ds_load_b128 v[12:15], v2 offset:1424
	v_add_f64_e32 v[202:203], v[178:179], v[176:177]
	v_add_f64_e32 v[192:193], v[192:193], v[194:195]
	scratch_load_b128 v[176:179], off, off offset:592
	v_fmac_f64_e32 v[196:197], v[170:171], v[140:141]
	v_fma_f64 v[168:169], v[168:169], v[140:141], -v[142:143]
	scratch_load_b128 v[140:143], off, off offset:608
	s_wait_loadcnt_dscnt 0xc01
	v_mul_f64_e32 v[194:195], v[4:5], v[146:147]
	v_mul_f64_e32 v[146:147], v[6:7], v[146:147]
	v_add_f64_e32 v[170:171], v[202:203], v[200:201]
	v_add_f64_e32 v[192:193], v[192:193], v[198:199]
	s_wait_loadcnt_dscnt 0xb00
	v_mul_f64_e32 v[198:199], v[12:13], v[150:151]
	v_mul_f64_e32 v[150:151], v[14:15], v[150:151]
	v_fmac_f64_e32 v[194:195], v[6:7], v[144:145]
	v_fma_f64 v[200:201], v[4:5], v[144:145], -v[146:147]
	ds_load_b128 v[4:7], v2 offset:1440
	ds_load_b128 v[144:147], v2 offset:1456
	v_add_f64_e32 v[202:203], v[170:171], v[168:169]
	v_add_f64_e32 v[192:193], v[192:193], v[196:197]
	scratch_load_b128 v[168:171], off, off offset:624
	s_wait_loadcnt_dscnt 0xb01
	v_mul_f64_e32 v[196:197], v[4:5], v[154:155]
	v_mul_f64_e32 v[154:155], v[6:7], v[154:155]
	v_fmac_f64_e32 v[198:199], v[14:15], v[148:149]
	v_fma_f64 v[148:149], v[12:13], v[148:149], -v[150:151]
	scratch_load_b128 v[12:15], off, off offset:640
	v_add_f64_e32 v[150:151], v[202:203], v[200:201]
	v_add_f64_e32 v[192:193], v[192:193], v[194:195]
	s_wait_loadcnt_dscnt 0xb00
	v_mul_f64_e32 v[194:195], v[144:145], v[158:159]
	v_mul_f64_e32 v[158:159], v[146:147], v[158:159]
	v_fmac_f64_e32 v[196:197], v[6:7], v[152:153]
	v_fma_f64 v[200:201], v[4:5], v[152:153], -v[154:155]
	v_add_f64_e32 v[202:203], v[150:151], v[148:149]
	v_add_f64_e32 v[192:193], v[192:193], v[198:199]
	ds_load_b128 v[4:7], v2 offset:1472
	ds_load_b128 v[148:151], v2 offset:1488
	scratch_load_b128 v[152:155], off, off offset:656
	v_fmac_f64_e32 v[194:195], v[146:147], v[156:157]
	v_fma_f64 v[156:157], v[144:145], v[156:157], -v[158:159]
	scratch_load_b128 v[144:147], off, off offset:672
	s_wait_loadcnt_dscnt 0xc01
	v_mul_f64_e32 v[198:199], v[4:5], v[162:163]
	v_mul_f64_e32 v[162:163], v[6:7], v[162:163]
	v_add_f64_e32 v[158:159], v[202:203], v[200:201]
	v_add_f64_e32 v[192:193], v[192:193], v[196:197]
	s_wait_loadcnt_dscnt 0xb00
	v_mul_f64_e32 v[196:197], v[148:149], v[166:167]
	v_mul_f64_e32 v[166:167], v[150:151], v[166:167]
	v_fmac_f64_e32 v[198:199], v[6:7], v[160:161]
	v_fma_f64 v[200:201], v[4:5], v[160:161], -v[162:163]
	v_add_f64_e32 v[202:203], v[158:159], v[156:157]
	v_add_f64_e32 v[192:193], v[192:193], v[194:195]
	ds_load_b128 v[4:7], v2 offset:1504
	ds_load_b128 v[156:159], v2 offset:1520
	scratch_load_b128 v[160:163], off, off offset:688
	v_fmac_f64_e32 v[196:197], v[150:151], v[164:165]
	v_fma_f64 v[164:165], v[148:149], v[164:165], -v[166:167]
	scratch_load_b128 v[148:151], off, off offset:704
	s_wait_loadcnt_dscnt 0xc01
	v_mul_f64_e32 v[194:195], v[4:5], v[174:175]
	v_mul_f64_e32 v[174:175], v[6:7], v[174:175]
	;; [unrolled: 18-line block ×5, first 2 shown]
	v_add_f64_e32 v[186:187], v[202:203], v[200:201]
	v_add_f64_e32 v[192:193], v[192:193], v[198:199]
	s_wait_loadcnt_dscnt 0xa00
	v_mul_f64_e32 v[198:199], v[164:165], v[14:15]
	v_mul_f64_e32 v[14:15], v[166:167], v[14:15]
	v_fmac_f64_e32 v[194:195], v[6:7], v[168:169]
	v_fma_f64 v[200:201], v[4:5], v[168:169], -v[170:171]
	ds_load_b128 v[4:7], v2 offset:1632
	ds_load_b128 v[168:171], v2 offset:1648
	v_add_f64_e32 v[202:203], v[186:187], v[184:185]
	v_add_f64_e32 v[192:193], v[192:193], v[196:197]
	scratch_load_b128 v[184:187], off, off offset:816
	v_fmac_f64_e32 v[198:199], v[166:167], v[12:13]
	v_fma_f64 v[164:165], v[164:165], v[12:13], -v[14:15]
	scratch_load_b128 v[12:15], off, off offset:832
	s_wait_loadcnt_dscnt 0xb01
	v_mul_f64_e32 v[196:197], v[4:5], v[154:155]
	v_mul_f64_e32 v[154:155], v[6:7], v[154:155]
	v_add_f64_e32 v[166:167], v[202:203], v[200:201]
	v_add_f64_e32 v[192:193], v[192:193], v[194:195]
	s_wait_loadcnt_dscnt 0xa00
	v_mul_f64_e32 v[194:195], v[168:169], v[146:147]
	v_mul_f64_e32 v[146:147], v[170:171], v[146:147]
	v_fmac_f64_e32 v[196:197], v[6:7], v[152:153]
	v_fma_f64 v[200:201], v[4:5], v[152:153], -v[154:155]
	ds_load_b128 v[4:7], v2 offset:1664
	ds_load_b128 v[152:155], v2 offset:1680
	v_add_f64_e32 v[202:203], v[166:167], v[164:165]
	v_add_f64_e32 v[192:193], v[192:193], v[198:199]
	scratch_load_b128 v[164:167], off, off offset:848
	s_wait_loadcnt_dscnt 0xa01
	v_mul_f64_e32 v[198:199], v[4:5], v[162:163]
	v_mul_f64_e32 v[162:163], v[6:7], v[162:163]
	v_fmac_f64_e32 v[194:195], v[170:171], v[144:145]
	v_fma_f64 v[168:169], v[168:169], v[144:145], -v[146:147]
	scratch_load_b128 v[144:147], off, off offset:864
	v_add_f64_e32 v[170:171], v[202:203], v[200:201]
	v_add_f64_e32 v[192:193], v[192:193], v[196:197]
	s_wait_loadcnt_dscnt 0xa00
	v_mul_f64_e32 v[196:197], v[152:153], v[150:151]
	v_mul_f64_e32 v[150:151], v[154:155], v[150:151]
	v_fmac_f64_e32 v[198:199], v[6:7], v[160:161]
	v_fma_f64 v[200:201], v[4:5], v[160:161], -v[162:163]
	ds_load_b128 v[4:7], v2 offset:1696
	ds_load_b128 v[160:163], v2 offset:1712
	v_add_f64_e32 v[202:203], v[170:171], v[168:169]
	v_add_f64_e32 v[192:193], v[192:193], v[194:195]
	scratch_load_b128 v[168:171], off, off offset:880
	s_wait_loadcnt_dscnt 0xa01
	v_mul_f64_e32 v[194:195], v[4:5], v[174:175]
	v_mul_f64_e32 v[174:175], v[6:7], v[174:175]
	v_fmac_f64_e32 v[196:197], v[154:155], v[148:149]
	v_fma_f64 v[152:153], v[152:153], v[148:149], -v[150:151]
	scratch_load_b128 v[148:151], off, off offset:896
	v_add_f64_e32 v[154:155], v[202:203], v[200:201]
	v_add_f64_e32 v[192:193], v[192:193], v[198:199]
	s_wait_loadcnt_dscnt 0xa00
	v_mul_f64_e32 v[198:199], v[160:161], v[158:159]
	v_mul_f64_e32 v[158:159], v[162:163], v[158:159]
	v_fmac_f64_e32 v[194:195], v[6:7], v[172:173]
	v_fma_f64 v[200:201], v[4:5], v[172:173], -v[174:175]
	v_add_f64_e32 v[202:203], v[154:155], v[152:153]
	v_add_f64_e32 v[192:193], v[192:193], v[196:197]
	ds_load_b128 v[4:7], v2 offset:1728
	ds_load_b128 v[152:155], v2 offset:1744
	scratch_load_b128 v[172:175], off, off offset:912
	v_fmac_f64_e32 v[198:199], v[162:163], v[156:157]
	v_fma_f64 v[160:161], v[160:161], v[156:157], -v[158:159]
	scratch_load_b128 v[156:159], off, off offset:928
	s_wait_loadcnt_dscnt 0xb01
	v_mul_f64_e32 v[196:197], v[4:5], v[190:191]
	v_mul_f64_e32 v[190:191], v[6:7], v[190:191]
	v_add_f64_e32 v[162:163], v[202:203], v[200:201]
	v_add_f64_e32 v[192:193], v[192:193], v[194:195]
	s_wait_loadcnt_dscnt 0xa00
	v_mul_f64_e32 v[194:195], v[152:153], v[10:11]
	v_mul_f64_e32 v[10:11], v[154:155], v[10:11]
	v_fmac_f64_e32 v[196:197], v[6:7], v[188:189]
	v_fma_f64 v[200:201], v[4:5], v[188:189], -v[190:191]
	v_add_f64_e32 v[202:203], v[162:163], v[160:161]
	v_add_f64_e32 v[192:193], v[192:193], v[198:199]
	ds_load_b128 v[4:7], v2 offset:1760
	ds_load_b128 v[160:163], v2 offset:1776
	scratch_load_b128 v[188:191], off, off offset:944
	v_fmac_f64_e32 v[194:195], v[154:155], v[8:9]
	v_fma_f64 v[152:153], v[152:153], v[8:9], -v[10:11]
	scratch_load_b128 v[8:11], off, off offset:960
	s_wait_loadcnt_dscnt 0xb01
	v_mul_f64_e32 v[198:199], v[4:5], v[178:179]
	v_mul_f64_e32 v[178:179], v[6:7], v[178:179]
	v_add_f64_e32 v[154:155], v[202:203], v[200:201]
	v_add_f64_e32 v[192:193], v[192:193], v[196:197]
	s_wait_loadcnt_dscnt 0xa00
	v_mul_f64_e32 v[196:197], v[160:161], v[142:143]
	v_mul_f64_e32 v[142:143], v[162:163], v[142:143]
	v_fmac_f64_e32 v[198:199], v[6:7], v[176:177]
	v_fma_f64 v[176:177], v[4:5], v[176:177], -v[178:179]
	v_add_f64_e32 v[178:179], v[154:155], v[152:153]
	v_add_f64_e32 v[192:193], v[192:193], v[194:195]
	ds_load_b128 v[4:7], v2 offset:1792
	ds_load_b128 v[152:155], v2 offset:1808
	v_fmac_f64_e32 v[196:197], v[162:163], v[140:141]
	v_fma_f64 v[140:141], v[160:161], v[140:141], -v[142:143]
	s_wait_loadcnt_dscnt 0x901
	v_mul_f64_e32 v[194:195], v[4:5], v[186:187]
	v_mul_f64_e32 v[186:187], v[6:7], v[186:187]
	s_wait_loadcnt_dscnt 0x800
	v_mul_f64_e32 v[162:163], v[152:153], v[14:15]
	v_mul_f64_e32 v[14:15], v[154:155], v[14:15]
	v_add_f64_e32 v[142:143], v[178:179], v[176:177]
	v_add_f64_e32 v[160:161], v[192:193], v[198:199]
	v_fmac_f64_e32 v[194:195], v[6:7], v[184:185]
	v_fma_f64 v[176:177], v[4:5], v[184:185], -v[186:187]
	v_fmac_f64_e32 v[162:163], v[154:155], v[12:13]
	v_fma_f64 v[12:13], v[152:153], v[12:13], -v[14:15]
	v_add_f64_e32 v[178:179], v[142:143], v[140:141]
	v_add_f64_e32 v[160:161], v[160:161], v[196:197]
	ds_load_b128 v[4:7], v2 offset:1824
	ds_load_b128 v[140:143], v2 offset:1840
	s_wait_loadcnt_dscnt 0x701
	v_mul_f64_e32 v[184:185], v[4:5], v[166:167]
	v_mul_f64_e32 v[166:167], v[6:7], v[166:167]
	s_wait_loadcnt_dscnt 0x600
	v_mul_f64_e32 v[154:155], v[140:141], v[146:147]
	v_mul_f64_e32 v[146:147], v[142:143], v[146:147]
	v_add_f64_e32 v[14:15], v[178:179], v[176:177]
	v_add_f64_e32 v[152:153], v[160:161], v[194:195]
	v_fmac_f64_e32 v[184:185], v[6:7], v[164:165]
	v_fma_f64 v[160:161], v[4:5], v[164:165], -v[166:167]
	v_fmac_f64_e32 v[154:155], v[142:143], v[144:145]
	v_fma_f64 v[140:141], v[140:141], v[144:145], -v[146:147]
	v_add_f64_e32 v[164:165], v[14:15], v[12:13]
	v_add_f64_e32 v[152:153], v[152:153], v[162:163]
	ds_load_b128 v[4:7], v2 offset:1856
	ds_load_b128 v[12:15], v2 offset:1872
	;; [unrolled: 16-line block ×4, first 2 shown]
	s_wait_loadcnt_dscnt 0x101
	v_mul_f64_e32 v[2:3], v[4:5], v[190:191]
	v_mul_f64_e32 v[146:147], v[6:7], v[190:191]
	s_wait_loadcnt_dscnt 0x0
	v_mul_f64_e32 v[150:151], v[12:13], v[10:11]
	v_mul_f64_e32 v[10:11], v[14:15], v[10:11]
	v_add_f64_e32 v[142:143], v[158:159], v[152:153]
	v_add_f64_e32 v[144:145], v[144:145], v[154:155]
	v_fmac_f64_e32 v[2:3], v[6:7], v[188:189]
	v_fma_f64 v[4:5], v[4:5], v[188:189], -v[146:147]
	v_fmac_f64_e32 v[150:151], v[14:15], v[8:9]
	v_fma_f64 v[8:9], v[12:13], v[8:9], -v[10:11]
	v_add_f64_e32 v[6:7], v[142:143], v[140:141]
	v_add_f64_e32 v[140:141], v[144:145], v[148:149]
	s_delay_alu instid0(VALU_DEP_2) | instskip(NEXT) | instid1(VALU_DEP_2)
	v_add_f64_e32 v[4:5], v[6:7], v[4:5]
	v_add_f64_e32 v[2:3], v[140:141], v[2:3]
	s_delay_alu instid0(VALU_DEP_2) | instskip(NEXT) | instid1(VALU_DEP_2)
	v_add_f64_e32 v[4:5], v[4:5], v[8:9]
	v_add_f64_e32 v[6:7], v[2:3], v[150:151]
	s_delay_alu instid0(VALU_DEP_2) | instskip(NEXT) | instid1(VALU_DEP_2)
	v_add_f64_e64 v[2:3], v[180:181], -v[4:5]
	v_add_f64_e64 v[4:5], v[182:183], -v[6:7]
	scratch_store_b128 off, v[2:5], off offset:352
	s_wait_xcnt 0x0
	v_cmpx_lt_u32_e32 21, v1
	s_cbranch_execz .LBB60_349
; %bb.348:
	scratch_load_b128 v[2:5], off, s59
	v_mov_b32_e32 v6, 0
	s_delay_alu instid0(VALU_DEP_1)
	v_dual_mov_b32 v7, v6 :: v_dual_mov_b32 v8, v6
	v_mov_b32_e32 v9, v6
	scratch_store_b128 off, v[6:9], off offset:336
	s_wait_loadcnt 0x0
	ds_store_b128 v138, v[2:5]
.LBB60_349:
	s_wait_xcnt 0x0
	s_or_b32 exec_lo, exec_lo, s2
	s_wait_storecnt_dscnt 0x0
	s_barrier_signal -1
	s_barrier_wait -1
	s_clause 0x9
	scratch_load_b128 v[4:7], off, off offset:352
	scratch_load_b128 v[8:11], off, off offset:368
	;; [unrolled: 1-line block ×10, first 2 shown]
	v_mov_b32_e32 v2, 0
	s_mov_b32 s2, exec_lo
	ds_load_b128 v[168:171], v2 offset:1328
	s_clause 0x2
	scratch_load_b128 v[172:175], off, off offset:512
	scratch_load_b128 v[176:179], off, off offset:336
	;; [unrolled: 1-line block ×3, first 2 shown]
	s_wait_loadcnt_dscnt 0xc00
	v_mul_f64_e32 v[188:189], v[170:171], v[6:7]
	v_mul_f64_e32 v[192:193], v[168:169], v[6:7]
	ds_load_b128 v[180:183], v2 offset:1344
	v_fma_f64 v[196:197], v[168:169], v[4:5], -v[188:189]
	v_fmac_f64_e32 v[192:193], v[170:171], v[4:5]
	ds_load_b128 v[4:7], v2 offset:1360
	s_wait_loadcnt_dscnt 0xb01
	v_mul_f64_e32 v[194:195], v[180:181], v[10:11]
	v_mul_f64_e32 v[10:11], v[182:183], v[10:11]
	scratch_load_b128 v[168:171], off, off offset:544
	ds_load_b128 v[188:191], v2 offset:1376
	s_wait_loadcnt_dscnt 0xb01
	v_mul_f64_e32 v[198:199], v[4:5], v[14:15]
	v_mul_f64_e32 v[14:15], v[6:7], v[14:15]
	v_add_f64_e32 v[192:193], 0, v[192:193]
	v_fmac_f64_e32 v[194:195], v[182:183], v[8:9]
	v_fma_f64 v[180:181], v[180:181], v[8:9], -v[10:11]
	v_add_f64_e32 v[182:183], 0, v[196:197]
	scratch_load_b128 v[8:11], off, off offset:560
	v_fmac_f64_e32 v[198:199], v[6:7], v[12:13]
	v_fma_f64 v[200:201], v[4:5], v[12:13], -v[14:15]
	ds_load_b128 v[4:7], v2 offset:1392
	s_wait_loadcnt_dscnt 0xb01
	v_mul_f64_e32 v[196:197], v[188:189], v[142:143]
	v_mul_f64_e32 v[142:143], v[190:191], v[142:143]
	scratch_load_b128 v[12:15], off, off offset:576
	v_add_f64_e32 v[192:193], v[192:193], v[194:195]
	v_add_f64_e32 v[202:203], v[182:183], v[180:181]
	ds_load_b128 v[180:183], v2 offset:1408
	s_wait_loadcnt_dscnt 0xb01
	v_mul_f64_e32 v[194:195], v[4:5], v[146:147]
	v_mul_f64_e32 v[146:147], v[6:7], v[146:147]
	v_fmac_f64_e32 v[196:197], v[190:191], v[140:141]
	v_fma_f64 v[188:189], v[188:189], v[140:141], -v[142:143]
	scratch_load_b128 v[140:143], off, off offset:592
	v_add_f64_e32 v[192:193], v[192:193], v[198:199]
	v_add_f64_e32 v[190:191], v[202:203], v[200:201]
	v_fmac_f64_e32 v[194:195], v[6:7], v[144:145]
	v_fma_f64 v[200:201], v[4:5], v[144:145], -v[146:147]
	ds_load_b128 v[4:7], v2 offset:1424
	s_wait_loadcnt_dscnt 0xb01
	v_mul_f64_e32 v[198:199], v[180:181], v[150:151]
	v_mul_f64_e32 v[150:151], v[182:183], v[150:151]
	scratch_load_b128 v[144:147], off, off offset:608
	v_add_f64_e32 v[192:193], v[192:193], v[196:197]
	s_wait_loadcnt_dscnt 0xb00
	v_mul_f64_e32 v[196:197], v[4:5], v[154:155]
	v_add_f64_e32 v[202:203], v[190:191], v[188:189]
	v_mul_f64_e32 v[154:155], v[6:7], v[154:155]
	ds_load_b128 v[188:191], v2 offset:1440
	v_fmac_f64_e32 v[198:199], v[182:183], v[148:149]
	v_fma_f64 v[180:181], v[180:181], v[148:149], -v[150:151]
	scratch_load_b128 v[148:151], off, off offset:624
	v_add_f64_e32 v[192:193], v[192:193], v[194:195]
	v_fmac_f64_e32 v[196:197], v[6:7], v[152:153]
	v_add_f64_e32 v[182:183], v[202:203], v[200:201]
	v_fma_f64 v[200:201], v[4:5], v[152:153], -v[154:155]
	ds_load_b128 v[4:7], v2 offset:1456
	s_wait_loadcnt_dscnt 0xb01
	v_mul_f64_e32 v[194:195], v[188:189], v[158:159]
	v_mul_f64_e32 v[158:159], v[190:191], v[158:159]
	scratch_load_b128 v[152:155], off, off offset:640
	v_add_f64_e32 v[192:193], v[192:193], v[198:199]
	s_wait_loadcnt_dscnt 0xb00
	v_mul_f64_e32 v[198:199], v[4:5], v[162:163]
	v_add_f64_e32 v[202:203], v[182:183], v[180:181]
	v_mul_f64_e32 v[162:163], v[6:7], v[162:163]
	ds_load_b128 v[180:183], v2 offset:1472
	v_fmac_f64_e32 v[194:195], v[190:191], v[156:157]
	v_fma_f64 v[188:189], v[188:189], v[156:157], -v[158:159]
	scratch_load_b128 v[156:159], off, off offset:656
	v_add_f64_e32 v[192:193], v[192:193], v[196:197]
	v_fmac_f64_e32 v[198:199], v[6:7], v[160:161]
	v_add_f64_e32 v[190:191], v[202:203], v[200:201]
	;; [unrolled: 18-line block ×3, first 2 shown]
	v_fma_f64 v[200:201], v[4:5], v[172:173], -v[174:175]
	ds_load_b128 v[4:7], v2 offset:1520
	s_wait_loadcnt_dscnt 0xa01
	v_mul_f64_e32 v[198:199], v[188:189], v[186:187]
	v_mul_f64_e32 v[186:187], v[190:191], v[186:187]
	scratch_load_b128 v[172:175], off, off offset:704
	v_add_f64_e32 v[192:193], v[192:193], v[196:197]
	v_add_f64_e32 v[202:203], v[182:183], v[180:181]
	s_wait_loadcnt_dscnt 0xa00
	v_mul_f64_e32 v[196:197], v[4:5], v[170:171]
	v_mul_f64_e32 v[170:171], v[6:7], v[170:171]
	v_fmac_f64_e32 v[198:199], v[190:191], v[184:185]
	v_fma_f64 v[188:189], v[188:189], v[184:185], -v[186:187]
	ds_load_b128 v[180:183], v2 offset:1536
	scratch_load_b128 v[184:187], off, off offset:720
	v_add_f64_e32 v[192:193], v[192:193], v[194:195]
	v_add_f64_e32 v[190:191], v[202:203], v[200:201]
	v_fmac_f64_e32 v[196:197], v[6:7], v[168:169]
	v_fma_f64 v[200:201], v[4:5], v[168:169], -v[170:171]
	ds_load_b128 v[4:7], v2 offset:1552
	s_wait_loadcnt_dscnt 0xa01
	v_mul_f64_e32 v[194:195], v[180:181], v[10:11]
	v_mul_f64_e32 v[10:11], v[182:183], v[10:11]
	scratch_load_b128 v[168:171], off, off offset:736
	v_add_f64_e32 v[192:193], v[192:193], v[198:199]
	s_wait_loadcnt_dscnt 0xa00
	v_mul_f64_e32 v[198:199], v[4:5], v[14:15]
	v_add_f64_e32 v[202:203], v[190:191], v[188:189]
	v_mul_f64_e32 v[14:15], v[6:7], v[14:15]
	ds_load_b128 v[188:191], v2 offset:1568
	v_fmac_f64_e32 v[194:195], v[182:183], v[8:9]
	v_fma_f64 v[180:181], v[180:181], v[8:9], -v[10:11]
	scratch_load_b128 v[8:11], off, off offset:752
	v_add_f64_e32 v[192:193], v[192:193], v[196:197]
	v_fmac_f64_e32 v[198:199], v[6:7], v[12:13]
	v_add_f64_e32 v[182:183], v[202:203], v[200:201]
	v_fma_f64 v[200:201], v[4:5], v[12:13], -v[14:15]
	ds_load_b128 v[4:7], v2 offset:1584
	s_wait_loadcnt_dscnt 0xa01
	v_mul_f64_e32 v[196:197], v[188:189], v[142:143]
	v_mul_f64_e32 v[142:143], v[190:191], v[142:143]
	scratch_load_b128 v[12:15], off, off offset:768
	v_add_f64_e32 v[192:193], v[192:193], v[194:195]
	s_wait_loadcnt_dscnt 0xa00
	v_mul_f64_e32 v[194:195], v[4:5], v[146:147]
	v_add_f64_e32 v[202:203], v[182:183], v[180:181]
	v_mul_f64_e32 v[146:147], v[6:7], v[146:147]
	ds_load_b128 v[180:183], v2 offset:1600
	v_fmac_f64_e32 v[196:197], v[190:191], v[140:141]
	v_fma_f64 v[188:189], v[188:189], v[140:141], -v[142:143]
	scratch_load_b128 v[140:143], off, off offset:784
	v_add_f64_e32 v[192:193], v[192:193], v[198:199]
	v_fmac_f64_e32 v[194:195], v[6:7], v[144:145]
	v_add_f64_e32 v[190:191], v[202:203], v[200:201]
	;; [unrolled: 18-line block ×7, first 2 shown]
	v_fma_f64 v[200:201], v[4:5], v[12:13], -v[14:15]
	ds_load_b128 v[4:7], v2 offset:1776
	s_wait_loadcnt_dscnt 0xa01
	v_mul_f64_e32 v[196:197], v[188:189], v[142:143]
	v_mul_f64_e32 v[142:143], v[190:191], v[142:143]
	scratch_load_b128 v[12:15], off, off offset:960
	v_add_f64_e32 v[192:193], v[192:193], v[194:195]
	s_wait_loadcnt_dscnt 0xa00
	v_mul_f64_e32 v[194:195], v[4:5], v[146:147]
	v_add_f64_e32 v[202:203], v[182:183], v[180:181]
	v_mul_f64_e32 v[146:147], v[6:7], v[146:147]
	ds_load_b128 v[180:183], v2 offset:1792
	v_fmac_f64_e32 v[196:197], v[190:191], v[140:141]
	v_fma_f64 v[140:141], v[188:189], v[140:141], -v[142:143]
	s_wait_loadcnt_dscnt 0x900
	v_mul_f64_e32 v[190:191], v[180:181], v[150:151]
	v_mul_f64_e32 v[150:151], v[182:183], v[150:151]
	v_add_f64_e32 v[188:189], v[192:193], v[198:199]
	v_fmac_f64_e32 v[194:195], v[6:7], v[144:145]
	v_add_f64_e32 v[142:143], v[202:203], v[200:201]
	v_fma_f64 v[144:145], v[4:5], v[144:145], -v[146:147]
	v_fmac_f64_e32 v[190:191], v[182:183], v[148:149]
	v_fma_f64 v[148:149], v[180:181], v[148:149], -v[150:151]
	v_add_f64_e32 v[188:189], v[188:189], v[196:197]
	v_add_f64_e32 v[146:147], v[142:143], v[140:141]
	ds_load_b128 v[4:7], v2 offset:1808
	ds_load_b128 v[140:143], v2 offset:1824
	s_wait_loadcnt_dscnt 0x801
	v_mul_f64_e32 v[192:193], v[4:5], v[154:155]
	v_mul_f64_e32 v[154:155], v[6:7], v[154:155]
	s_wait_loadcnt_dscnt 0x700
	v_mul_f64_e32 v[150:151], v[140:141], v[158:159]
	v_mul_f64_e32 v[158:159], v[142:143], v[158:159]
	v_add_f64_e32 v[144:145], v[146:147], v[144:145]
	v_add_f64_e32 v[146:147], v[188:189], v[194:195]
	v_fmac_f64_e32 v[192:193], v[6:7], v[152:153]
	v_fma_f64 v[152:153], v[4:5], v[152:153], -v[154:155]
	v_fmac_f64_e32 v[150:151], v[142:143], v[156:157]
	v_fma_f64 v[140:141], v[140:141], v[156:157], -v[158:159]
	v_add_f64_e32 v[148:149], v[144:145], v[148:149]
	v_add_f64_e32 v[154:155], v[146:147], v[190:191]
	ds_load_b128 v[4:7], v2 offset:1840
	ds_load_b128 v[144:147], v2 offset:1856
	s_wait_loadcnt_dscnt 0x601
	v_mul_f64_e32 v[180:181], v[4:5], v[162:163]
	v_mul_f64_e32 v[162:163], v[6:7], v[162:163]
	v_add_f64_e32 v[142:143], v[148:149], v[152:153]
	v_add_f64_e32 v[148:149], v[154:155], v[192:193]
	s_wait_loadcnt_dscnt 0x500
	v_mul_f64_e32 v[152:153], v[144:145], v[166:167]
	v_mul_f64_e32 v[154:155], v[146:147], v[166:167]
	v_fmac_f64_e32 v[180:181], v[6:7], v[160:161]
	v_fma_f64 v[156:157], v[4:5], v[160:161], -v[162:163]
	v_add_f64_e32 v[158:159], v[142:143], v[140:141]
	v_add_f64_e32 v[148:149], v[148:149], v[150:151]
	ds_load_b128 v[4:7], v2 offset:1872
	ds_load_b128 v[140:143], v2 offset:1888
	v_fmac_f64_e32 v[152:153], v[146:147], v[164:165]
	v_fma_f64 v[144:145], v[144:145], v[164:165], -v[154:155]
	s_wait_loadcnt_dscnt 0x401
	v_mul_f64_e32 v[150:151], v[4:5], v[174:175]
	v_mul_f64_e32 v[160:161], v[6:7], v[174:175]
	s_wait_loadcnt_dscnt 0x300
	v_mul_f64_e32 v[154:155], v[140:141], v[186:187]
	v_add_f64_e32 v[146:147], v[158:159], v[156:157]
	v_add_f64_e32 v[148:149], v[148:149], v[180:181]
	v_mul_f64_e32 v[156:157], v[142:143], v[186:187]
	v_fmac_f64_e32 v[150:151], v[6:7], v[172:173]
	v_fma_f64 v[158:159], v[4:5], v[172:173], -v[160:161]
	v_fmac_f64_e32 v[154:155], v[142:143], v[184:185]
	v_add_f64_e32 v[160:161], v[146:147], v[144:145]
	v_add_f64_e32 v[148:149], v[148:149], v[152:153]
	ds_load_b128 v[4:7], v2 offset:1904
	ds_load_b128 v[144:147], v2 offset:1920
	v_fma_f64 v[140:141], v[140:141], v[184:185], -v[156:157]
	s_wait_loadcnt_dscnt 0x201
	v_mul_f64_e32 v[152:153], v[4:5], v[170:171]
	v_mul_f64_e32 v[162:163], v[6:7], v[170:171]
	v_add_f64_e32 v[142:143], v[160:161], v[158:159]
	v_add_f64_e32 v[148:149], v[148:149], v[150:151]
	s_wait_loadcnt_dscnt 0x100
	v_mul_f64_e32 v[150:151], v[144:145], v[10:11]
	v_mul_f64_e32 v[10:11], v[146:147], v[10:11]
	v_fmac_f64_e32 v[152:153], v[6:7], v[168:169]
	v_fma_f64 v[156:157], v[4:5], v[168:169], -v[162:163]
	ds_load_b128 v[4:7], v2 offset:1936
	v_add_f64_e32 v[140:141], v[142:143], v[140:141]
	v_add_f64_e32 v[142:143], v[148:149], v[154:155]
	v_fmac_f64_e32 v[150:151], v[146:147], v[8:9]
	v_fma_f64 v[8:9], v[144:145], v[8:9], -v[10:11]
	s_wait_loadcnt_dscnt 0x0
	v_mul_f64_e32 v[148:149], v[4:5], v[14:15]
	v_mul_f64_e32 v[14:15], v[6:7], v[14:15]
	v_add_f64_e32 v[10:11], v[140:141], v[156:157]
	v_add_f64_e32 v[140:141], v[142:143], v[152:153]
	s_delay_alu instid0(VALU_DEP_4) | instskip(NEXT) | instid1(VALU_DEP_4)
	v_fmac_f64_e32 v[148:149], v[6:7], v[12:13]
	v_fma_f64 v[4:5], v[4:5], v[12:13], -v[14:15]
	s_delay_alu instid0(VALU_DEP_4) | instskip(NEXT) | instid1(VALU_DEP_4)
	v_add_f64_e32 v[6:7], v[10:11], v[8:9]
	v_add_f64_e32 v[8:9], v[140:141], v[150:151]
	s_delay_alu instid0(VALU_DEP_2) | instskip(NEXT) | instid1(VALU_DEP_2)
	v_add_f64_e32 v[4:5], v[6:7], v[4:5]
	v_add_f64_e32 v[6:7], v[8:9], v[148:149]
	s_delay_alu instid0(VALU_DEP_2) | instskip(NEXT) | instid1(VALU_DEP_2)
	v_add_f64_e64 v[4:5], v[176:177], -v[4:5]
	v_add_f64_e64 v[6:7], v[178:179], -v[6:7]
	scratch_store_b128 off, v[4:7], off offset:336
	s_wait_xcnt 0x0
	v_cmpx_lt_u32_e32 20, v1
	s_cbranch_execz .LBB60_351
; %bb.350:
	scratch_load_b128 v[6:9], off, s69
	v_dual_mov_b32 v3, v2 :: v_dual_mov_b32 v4, v2
	v_mov_b32_e32 v5, v2
	scratch_store_b128 off, v[2:5], off offset:320
	s_wait_loadcnt 0x0
	ds_store_b128 v138, v[6:9]
.LBB60_351:
	s_wait_xcnt 0x0
	s_or_b32 exec_lo, exec_lo, s2
	s_wait_storecnt_dscnt 0x0
	s_barrier_signal -1
	s_barrier_wait -1
	s_clause 0x9
	scratch_load_b128 v[4:7], off, off offset:336
	scratch_load_b128 v[8:11], off, off offset:352
	;; [unrolled: 1-line block ×10, first 2 shown]
	ds_load_b128 v[168:171], v2 offset:1312
	ds_load_b128 v[176:179], v2 offset:1328
	s_clause 0x2
	scratch_load_b128 v[172:175], off, off offset:496
	scratch_load_b128 v[180:183], off, off offset:320
	;; [unrolled: 1-line block ×3, first 2 shown]
	s_mov_b32 s2, exec_lo
	s_wait_loadcnt_dscnt 0xc01
	v_mul_f64_e32 v[188:189], v[170:171], v[6:7]
	v_mul_f64_e32 v[192:193], v[168:169], v[6:7]
	s_wait_loadcnt_dscnt 0xb00
	v_mul_f64_e32 v[194:195], v[176:177], v[10:11]
	v_mul_f64_e32 v[10:11], v[178:179], v[10:11]
	s_delay_alu instid0(VALU_DEP_4) | instskip(NEXT) | instid1(VALU_DEP_4)
	v_fma_f64 v[196:197], v[168:169], v[4:5], -v[188:189]
	v_fmac_f64_e32 v[192:193], v[170:171], v[4:5]
	ds_load_b128 v[4:7], v2 offset:1344
	ds_load_b128 v[168:171], v2 offset:1360
	scratch_load_b128 v[188:191], off, off offset:528
	v_fmac_f64_e32 v[194:195], v[178:179], v[8:9]
	v_fma_f64 v[176:177], v[176:177], v[8:9], -v[10:11]
	scratch_load_b128 v[8:11], off, off offset:544
	s_wait_loadcnt_dscnt 0xc01
	v_mul_f64_e32 v[198:199], v[4:5], v[14:15]
	v_mul_f64_e32 v[14:15], v[6:7], v[14:15]
	v_add_f64_e32 v[178:179], 0, v[196:197]
	v_add_f64_e32 v[192:193], 0, v[192:193]
	s_wait_loadcnt_dscnt 0xb00
	v_mul_f64_e32 v[196:197], v[168:169], v[142:143]
	v_mul_f64_e32 v[142:143], v[170:171], v[142:143]
	v_fmac_f64_e32 v[198:199], v[6:7], v[12:13]
	v_fma_f64 v[200:201], v[4:5], v[12:13], -v[14:15]
	ds_load_b128 v[4:7], v2 offset:1376
	ds_load_b128 v[12:15], v2 offset:1392
	v_add_f64_e32 v[202:203], v[178:179], v[176:177]
	v_add_f64_e32 v[192:193], v[192:193], v[194:195]
	scratch_load_b128 v[176:179], off, off offset:560
	v_fmac_f64_e32 v[196:197], v[170:171], v[140:141]
	v_fma_f64 v[168:169], v[168:169], v[140:141], -v[142:143]
	scratch_load_b128 v[140:143], off, off offset:576
	s_wait_loadcnt_dscnt 0xc01
	v_mul_f64_e32 v[194:195], v[4:5], v[146:147]
	v_mul_f64_e32 v[146:147], v[6:7], v[146:147]
	v_add_f64_e32 v[170:171], v[202:203], v[200:201]
	v_add_f64_e32 v[192:193], v[192:193], v[198:199]
	s_wait_loadcnt_dscnt 0xb00
	v_mul_f64_e32 v[198:199], v[12:13], v[150:151]
	v_mul_f64_e32 v[150:151], v[14:15], v[150:151]
	v_fmac_f64_e32 v[194:195], v[6:7], v[144:145]
	v_fma_f64 v[200:201], v[4:5], v[144:145], -v[146:147]
	ds_load_b128 v[4:7], v2 offset:1408
	ds_load_b128 v[144:147], v2 offset:1424
	v_add_f64_e32 v[202:203], v[170:171], v[168:169]
	v_add_f64_e32 v[192:193], v[192:193], v[196:197]
	scratch_load_b128 v[168:171], off, off offset:592
	s_wait_loadcnt_dscnt 0xb01
	v_mul_f64_e32 v[196:197], v[4:5], v[154:155]
	v_mul_f64_e32 v[154:155], v[6:7], v[154:155]
	v_fmac_f64_e32 v[198:199], v[14:15], v[148:149]
	v_fma_f64 v[148:149], v[12:13], v[148:149], -v[150:151]
	scratch_load_b128 v[12:15], off, off offset:608
	v_add_f64_e32 v[150:151], v[202:203], v[200:201]
	v_add_f64_e32 v[192:193], v[192:193], v[194:195]
	s_wait_loadcnt_dscnt 0xb00
	v_mul_f64_e32 v[194:195], v[144:145], v[158:159]
	v_mul_f64_e32 v[158:159], v[146:147], v[158:159]
	v_fmac_f64_e32 v[196:197], v[6:7], v[152:153]
	v_fma_f64 v[200:201], v[4:5], v[152:153], -v[154:155]
	v_add_f64_e32 v[202:203], v[150:151], v[148:149]
	v_add_f64_e32 v[192:193], v[192:193], v[198:199]
	ds_load_b128 v[4:7], v2 offset:1440
	ds_load_b128 v[148:151], v2 offset:1456
	scratch_load_b128 v[152:155], off, off offset:624
	v_fmac_f64_e32 v[194:195], v[146:147], v[156:157]
	v_fma_f64 v[156:157], v[144:145], v[156:157], -v[158:159]
	scratch_load_b128 v[144:147], off, off offset:640
	s_wait_loadcnt_dscnt 0xc01
	v_mul_f64_e32 v[198:199], v[4:5], v[162:163]
	v_mul_f64_e32 v[162:163], v[6:7], v[162:163]
	v_add_f64_e32 v[158:159], v[202:203], v[200:201]
	v_add_f64_e32 v[192:193], v[192:193], v[196:197]
	s_wait_loadcnt_dscnt 0xb00
	v_mul_f64_e32 v[196:197], v[148:149], v[166:167]
	v_mul_f64_e32 v[166:167], v[150:151], v[166:167]
	v_fmac_f64_e32 v[198:199], v[6:7], v[160:161]
	v_fma_f64 v[200:201], v[4:5], v[160:161], -v[162:163]
	v_add_f64_e32 v[202:203], v[158:159], v[156:157]
	v_add_f64_e32 v[192:193], v[192:193], v[194:195]
	ds_load_b128 v[4:7], v2 offset:1472
	ds_load_b128 v[156:159], v2 offset:1488
	scratch_load_b128 v[160:163], off, off offset:656
	v_fmac_f64_e32 v[196:197], v[150:151], v[164:165]
	v_fma_f64 v[164:165], v[148:149], v[164:165], -v[166:167]
	scratch_load_b128 v[148:151], off, off offset:672
	s_wait_loadcnt_dscnt 0xc01
	v_mul_f64_e32 v[194:195], v[4:5], v[174:175]
	v_mul_f64_e32 v[174:175], v[6:7], v[174:175]
	v_add_f64_e32 v[166:167], v[202:203], v[200:201]
	v_add_f64_e32 v[192:193], v[192:193], v[198:199]
	s_wait_loadcnt_dscnt 0xa00
	v_mul_f64_e32 v[198:199], v[156:157], v[186:187]
	v_mul_f64_e32 v[186:187], v[158:159], v[186:187]
	v_fmac_f64_e32 v[194:195], v[6:7], v[172:173]
	v_fma_f64 v[200:201], v[4:5], v[172:173], -v[174:175]
	v_add_f64_e32 v[202:203], v[166:167], v[164:165]
	v_add_f64_e32 v[192:193], v[192:193], v[196:197]
	ds_load_b128 v[4:7], v2 offset:1504
	ds_load_b128 v[164:167], v2 offset:1520
	scratch_load_b128 v[172:175], off, off offset:688
	v_fmac_f64_e32 v[198:199], v[158:159], v[184:185]
	v_fma_f64 v[184:185], v[156:157], v[184:185], -v[186:187]
	scratch_load_b128 v[156:159], off, off offset:704
	s_wait_loadcnt_dscnt 0xb01
	v_mul_f64_e32 v[196:197], v[4:5], v[190:191]
	v_mul_f64_e32 v[190:191], v[6:7], v[190:191]
	v_add_f64_e32 v[186:187], v[202:203], v[200:201]
	v_add_f64_e32 v[192:193], v[192:193], v[194:195]
	s_wait_loadcnt_dscnt 0xa00
	v_mul_f64_e32 v[194:195], v[164:165], v[10:11]
	v_mul_f64_e32 v[10:11], v[166:167], v[10:11]
	v_fmac_f64_e32 v[196:197], v[6:7], v[188:189]
	v_fma_f64 v[200:201], v[4:5], v[188:189], -v[190:191]
	v_add_f64_e32 v[202:203], v[186:187], v[184:185]
	v_add_f64_e32 v[192:193], v[192:193], v[198:199]
	ds_load_b128 v[4:7], v2 offset:1536
	ds_load_b128 v[184:187], v2 offset:1552
	scratch_load_b128 v[188:191], off, off offset:720
	v_fmac_f64_e32 v[194:195], v[166:167], v[8:9]
	v_fma_f64 v[164:165], v[164:165], v[8:9], -v[10:11]
	scratch_load_b128 v[8:11], off, off offset:736
	s_wait_loadcnt_dscnt 0xb01
	v_mul_f64_e32 v[198:199], v[4:5], v[178:179]
	v_mul_f64_e32 v[178:179], v[6:7], v[178:179]
	v_add_f64_e32 v[166:167], v[202:203], v[200:201]
	v_add_f64_e32 v[192:193], v[192:193], v[196:197]
	s_wait_loadcnt_dscnt 0xa00
	v_mul_f64_e32 v[196:197], v[184:185], v[142:143]
	v_mul_f64_e32 v[142:143], v[186:187], v[142:143]
	v_fmac_f64_e32 v[198:199], v[6:7], v[176:177]
	v_fma_f64 v[200:201], v[4:5], v[176:177], -v[178:179]
	v_add_f64_e32 v[202:203], v[166:167], v[164:165]
	v_add_f64_e32 v[192:193], v[192:193], v[194:195]
	ds_load_b128 v[4:7], v2 offset:1568
	ds_load_b128 v[164:167], v2 offset:1584
	scratch_load_b128 v[176:179], off, off offset:752
	v_fmac_f64_e32 v[196:197], v[186:187], v[140:141]
	v_fma_f64 v[184:185], v[184:185], v[140:141], -v[142:143]
	scratch_load_b128 v[140:143], off, off offset:768
	s_wait_loadcnt_dscnt 0xb01
	v_mul_f64_e32 v[194:195], v[4:5], v[170:171]
	v_mul_f64_e32 v[170:171], v[6:7], v[170:171]
	v_add_f64_e32 v[186:187], v[202:203], v[200:201]
	v_add_f64_e32 v[192:193], v[192:193], v[198:199]
	s_wait_loadcnt_dscnt 0xa00
	v_mul_f64_e32 v[198:199], v[164:165], v[14:15]
	v_mul_f64_e32 v[14:15], v[166:167], v[14:15]
	v_fmac_f64_e32 v[194:195], v[6:7], v[168:169]
	v_fma_f64 v[200:201], v[4:5], v[168:169], -v[170:171]
	ds_load_b128 v[4:7], v2 offset:1600
	ds_load_b128 v[168:171], v2 offset:1616
	v_add_f64_e32 v[202:203], v[186:187], v[184:185]
	v_add_f64_e32 v[192:193], v[192:193], v[196:197]
	scratch_load_b128 v[184:187], off, off offset:784
	v_fmac_f64_e32 v[198:199], v[166:167], v[12:13]
	v_fma_f64 v[164:165], v[164:165], v[12:13], -v[14:15]
	scratch_load_b128 v[12:15], off, off offset:800
	s_wait_loadcnt_dscnt 0xb01
	v_mul_f64_e32 v[196:197], v[4:5], v[154:155]
	v_mul_f64_e32 v[154:155], v[6:7], v[154:155]
	v_add_f64_e32 v[166:167], v[202:203], v[200:201]
	v_add_f64_e32 v[192:193], v[192:193], v[194:195]
	s_wait_loadcnt_dscnt 0xa00
	v_mul_f64_e32 v[194:195], v[168:169], v[146:147]
	v_mul_f64_e32 v[146:147], v[170:171], v[146:147]
	v_fmac_f64_e32 v[196:197], v[6:7], v[152:153]
	v_fma_f64 v[200:201], v[4:5], v[152:153], -v[154:155]
	ds_load_b128 v[4:7], v2 offset:1632
	ds_load_b128 v[152:155], v2 offset:1648
	v_add_f64_e32 v[202:203], v[166:167], v[164:165]
	v_add_f64_e32 v[192:193], v[192:193], v[198:199]
	scratch_load_b128 v[164:167], off, off offset:816
	s_wait_loadcnt_dscnt 0xa01
	v_mul_f64_e32 v[198:199], v[4:5], v[162:163]
	v_mul_f64_e32 v[162:163], v[6:7], v[162:163]
	v_fmac_f64_e32 v[194:195], v[170:171], v[144:145]
	v_fma_f64 v[168:169], v[168:169], v[144:145], -v[146:147]
	scratch_load_b128 v[144:147], off, off offset:832
	v_add_f64_e32 v[170:171], v[202:203], v[200:201]
	v_add_f64_e32 v[192:193], v[192:193], v[196:197]
	s_wait_loadcnt_dscnt 0xa00
	v_mul_f64_e32 v[196:197], v[152:153], v[150:151]
	v_mul_f64_e32 v[150:151], v[154:155], v[150:151]
	v_fmac_f64_e32 v[198:199], v[6:7], v[160:161]
	v_fma_f64 v[200:201], v[4:5], v[160:161], -v[162:163]
	ds_load_b128 v[4:7], v2 offset:1664
	ds_load_b128 v[160:163], v2 offset:1680
	v_add_f64_e32 v[202:203], v[170:171], v[168:169]
	v_add_f64_e32 v[192:193], v[192:193], v[194:195]
	scratch_load_b128 v[168:171], off, off offset:848
	s_wait_loadcnt_dscnt 0xa01
	v_mul_f64_e32 v[194:195], v[4:5], v[174:175]
	v_mul_f64_e32 v[174:175], v[6:7], v[174:175]
	v_fmac_f64_e32 v[196:197], v[154:155], v[148:149]
	v_fma_f64 v[152:153], v[152:153], v[148:149], -v[150:151]
	scratch_load_b128 v[148:151], off, off offset:864
	v_add_f64_e32 v[154:155], v[202:203], v[200:201]
	v_add_f64_e32 v[192:193], v[192:193], v[198:199]
	s_wait_loadcnt_dscnt 0xa00
	v_mul_f64_e32 v[198:199], v[160:161], v[158:159]
	v_mul_f64_e32 v[158:159], v[162:163], v[158:159]
	v_fmac_f64_e32 v[194:195], v[6:7], v[172:173]
	v_fma_f64 v[200:201], v[4:5], v[172:173], -v[174:175]
	v_add_f64_e32 v[202:203], v[154:155], v[152:153]
	v_add_f64_e32 v[192:193], v[192:193], v[196:197]
	ds_load_b128 v[4:7], v2 offset:1696
	ds_load_b128 v[152:155], v2 offset:1712
	scratch_load_b128 v[172:175], off, off offset:880
	v_fmac_f64_e32 v[198:199], v[162:163], v[156:157]
	v_fma_f64 v[160:161], v[160:161], v[156:157], -v[158:159]
	scratch_load_b128 v[156:159], off, off offset:896
	s_wait_loadcnt_dscnt 0xb01
	v_mul_f64_e32 v[196:197], v[4:5], v[190:191]
	v_mul_f64_e32 v[190:191], v[6:7], v[190:191]
	v_add_f64_e32 v[162:163], v[202:203], v[200:201]
	v_add_f64_e32 v[192:193], v[192:193], v[194:195]
	s_wait_loadcnt_dscnt 0xa00
	v_mul_f64_e32 v[194:195], v[152:153], v[10:11]
	v_mul_f64_e32 v[10:11], v[154:155], v[10:11]
	v_fmac_f64_e32 v[196:197], v[6:7], v[188:189]
	v_fma_f64 v[200:201], v[4:5], v[188:189], -v[190:191]
	v_add_f64_e32 v[202:203], v[162:163], v[160:161]
	v_add_f64_e32 v[192:193], v[192:193], v[198:199]
	ds_load_b128 v[4:7], v2 offset:1728
	ds_load_b128 v[160:163], v2 offset:1744
	scratch_load_b128 v[188:191], off, off offset:912
	v_fmac_f64_e32 v[194:195], v[154:155], v[8:9]
	v_fma_f64 v[152:153], v[152:153], v[8:9], -v[10:11]
	scratch_load_b128 v[8:11], off, off offset:928
	s_wait_loadcnt_dscnt 0xb01
	v_mul_f64_e32 v[198:199], v[4:5], v[178:179]
	v_mul_f64_e32 v[178:179], v[6:7], v[178:179]
	;; [unrolled: 18-line block ×3, first 2 shown]
	v_add_f64_e32 v[162:163], v[202:203], v[200:201]
	v_add_f64_e32 v[192:193], v[192:193], v[198:199]
	s_wait_loadcnt_dscnt 0xa00
	v_mul_f64_e32 v[198:199], v[152:153], v[14:15]
	v_mul_f64_e32 v[14:15], v[154:155], v[14:15]
	v_fmac_f64_e32 v[194:195], v[6:7], v[184:185]
	v_fma_f64 v[184:185], v[4:5], v[184:185], -v[186:187]
	v_add_f64_e32 v[186:187], v[162:163], v[160:161]
	v_add_f64_e32 v[192:193], v[192:193], v[196:197]
	ds_load_b128 v[4:7], v2 offset:1792
	ds_load_b128 v[160:163], v2 offset:1808
	v_fmac_f64_e32 v[198:199], v[154:155], v[12:13]
	v_fma_f64 v[12:13], v[152:153], v[12:13], -v[14:15]
	s_wait_loadcnt_dscnt 0x901
	v_mul_f64_e32 v[196:197], v[4:5], v[166:167]
	v_mul_f64_e32 v[166:167], v[6:7], v[166:167]
	s_wait_loadcnt_dscnt 0x800
	v_mul_f64_e32 v[154:155], v[160:161], v[146:147]
	v_mul_f64_e32 v[146:147], v[162:163], v[146:147]
	v_add_f64_e32 v[14:15], v[186:187], v[184:185]
	v_add_f64_e32 v[152:153], v[192:193], v[194:195]
	v_fmac_f64_e32 v[196:197], v[6:7], v[164:165]
	v_fma_f64 v[164:165], v[4:5], v[164:165], -v[166:167]
	v_fmac_f64_e32 v[154:155], v[162:163], v[144:145]
	v_fma_f64 v[144:145], v[160:161], v[144:145], -v[146:147]
	v_add_f64_e32 v[166:167], v[14:15], v[12:13]
	v_add_f64_e32 v[152:153], v[152:153], v[198:199]
	ds_load_b128 v[4:7], v2 offset:1824
	ds_load_b128 v[12:15], v2 offset:1840
	s_wait_loadcnt_dscnt 0x701
	v_mul_f64_e32 v[184:185], v[4:5], v[170:171]
	v_mul_f64_e32 v[170:171], v[6:7], v[170:171]
	s_wait_loadcnt_dscnt 0x600
	v_mul_f64_e32 v[160:161], v[12:13], v[150:151]
	v_mul_f64_e32 v[150:151], v[14:15], v[150:151]
	v_add_f64_e32 v[146:147], v[166:167], v[164:165]
	v_add_f64_e32 v[152:153], v[152:153], v[196:197]
	v_fmac_f64_e32 v[184:185], v[6:7], v[168:169]
	v_fma_f64 v[162:163], v[4:5], v[168:169], -v[170:171]
	v_fmac_f64_e32 v[160:161], v[14:15], v[148:149]
	v_fma_f64 v[12:13], v[12:13], v[148:149], -v[150:151]
	v_add_f64_e32 v[164:165], v[146:147], v[144:145]
	v_add_f64_e32 v[152:153], v[152:153], v[154:155]
	ds_load_b128 v[4:7], v2 offset:1856
	ds_load_b128 v[144:147], v2 offset:1872
	s_wait_loadcnt_dscnt 0x501
	v_mul_f64_e32 v[154:155], v[4:5], v[174:175]
	v_mul_f64_e32 v[166:167], v[6:7], v[174:175]
	s_wait_loadcnt_dscnt 0x400
	v_mul_f64_e32 v[150:151], v[144:145], v[158:159]
	v_add_f64_e32 v[14:15], v[164:165], v[162:163]
	v_add_f64_e32 v[148:149], v[152:153], v[184:185]
	v_mul_f64_e32 v[152:153], v[146:147], v[158:159]
	v_fmac_f64_e32 v[154:155], v[6:7], v[172:173]
	v_fma_f64 v[158:159], v[4:5], v[172:173], -v[166:167]
	v_fmac_f64_e32 v[150:151], v[146:147], v[156:157]
	v_add_f64_e32 v[162:163], v[14:15], v[12:13]
	v_add_f64_e32 v[148:149], v[148:149], v[160:161]
	ds_load_b128 v[4:7], v2 offset:1888
	ds_load_b128 v[12:15], v2 offset:1904
	v_fma_f64 v[144:145], v[144:145], v[156:157], -v[152:153]
	s_wait_loadcnt_dscnt 0x301
	v_mul_f64_e32 v[160:161], v[4:5], v[190:191]
	v_mul_f64_e32 v[164:165], v[6:7], v[190:191]
	s_wait_loadcnt_dscnt 0x200
	v_mul_f64_e32 v[152:153], v[12:13], v[10:11]
	v_mul_f64_e32 v[10:11], v[14:15], v[10:11]
	v_add_f64_e32 v[146:147], v[162:163], v[158:159]
	v_add_f64_e32 v[148:149], v[148:149], v[154:155]
	v_fmac_f64_e32 v[160:161], v[6:7], v[188:189]
	v_fma_f64 v[154:155], v[4:5], v[188:189], -v[164:165]
	v_fmac_f64_e32 v[152:153], v[14:15], v[8:9]
	v_fma_f64 v[8:9], v[12:13], v[8:9], -v[10:11]
	v_add_f64_e32 v[156:157], v[146:147], v[144:145]
	v_add_f64_e32 v[148:149], v[148:149], v[150:151]
	ds_load_b128 v[4:7], v2 offset:1920
	ds_load_b128 v[144:147], v2 offset:1936
	s_wait_loadcnt_dscnt 0x101
	v_mul_f64_e32 v[2:3], v[4:5], v[178:179]
	v_mul_f64_e32 v[150:151], v[6:7], v[178:179]
	s_wait_loadcnt_dscnt 0x0
	v_mul_f64_e32 v[14:15], v[144:145], v[142:143]
	v_mul_f64_e32 v[142:143], v[146:147], v[142:143]
	v_add_f64_e32 v[10:11], v[156:157], v[154:155]
	v_add_f64_e32 v[12:13], v[148:149], v[160:161]
	v_fmac_f64_e32 v[2:3], v[6:7], v[176:177]
	v_fma_f64 v[4:5], v[4:5], v[176:177], -v[150:151]
	v_fmac_f64_e32 v[14:15], v[146:147], v[140:141]
	v_add_f64_e32 v[6:7], v[10:11], v[8:9]
	v_add_f64_e32 v[8:9], v[12:13], v[152:153]
	v_fma_f64 v[10:11], v[144:145], v[140:141], -v[142:143]
	s_delay_alu instid0(VALU_DEP_3) | instskip(NEXT) | instid1(VALU_DEP_3)
	v_add_f64_e32 v[4:5], v[6:7], v[4:5]
	v_add_f64_e32 v[2:3], v[8:9], v[2:3]
	s_delay_alu instid0(VALU_DEP_2) | instskip(NEXT) | instid1(VALU_DEP_2)
	v_add_f64_e32 v[4:5], v[4:5], v[10:11]
	v_add_f64_e32 v[6:7], v[2:3], v[14:15]
	s_delay_alu instid0(VALU_DEP_2) | instskip(NEXT) | instid1(VALU_DEP_2)
	v_add_f64_e64 v[2:3], v[180:181], -v[4:5]
	v_add_f64_e64 v[4:5], v[182:183], -v[6:7]
	scratch_store_b128 off, v[2:5], off offset:320
	s_wait_xcnt 0x0
	v_cmpx_lt_u32_e32 19, v1
	s_cbranch_execz .LBB60_353
; %bb.352:
	scratch_load_b128 v[2:5], off, s67
	v_mov_b32_e32 v6, 0
	s_delay_alu instid0(VALU_DEP_1)
	v_dual_mov_b32 v7, v6 :: v_dual_mov_b32 v8, v6
	v_mov_b32_e32 v9, v6
	scratch_store_b128 off, v[6:9], off offset:304
	s_wait_loadcnt 0x0
	ds_store_b128 v138, v[2:5]
.LBB60_353:
	s_wait_xcnt 0x0
	s_or_b32 exec_lo, exec_lo, s2
	s_wait_storecnt_dscnt 0x0
	s_barrier_signal -1
	s_barrier_wait -1
	s_clause 0x9
	scratch_load_b128 v[4:7], off, off offset:320
	scratch_load_b128 v[8:11], off, off offset:336
	;; [unrolled: 1-line block ×10, first 2 shown]
	v_mov_b32_e32 v2, 0
	s_mov_b32 s2, exec_lo
	ds_load_b128 v[168:171], v2 offset:1296
	s_clause 0x2
	scratch_load_b128 v[172:175], off, off offset:480
	scratch_load_b128 v[176:179], off, off offset:304
	;; [unrolled: 1-line block ×3, first 2 shown]
	s_wait_loadcnt_dscnt 0xc00
	v_mul_f64_e32 v[188:189], v[170:171], v[6:7]
	v_mul_f64_e32 v[192:193], v[168:169], v[6:7]
	ds_load_b128 v[180:183], v2 offset:1312
	v_fma_f64 v[196:197], v[168:169], v[4:5], -v[188:189]
	v_fmac_f64_e32 v[192:193], v[170:171], v[4:5]
	ds_load_b128 v[4:7], v2 offset:1328
	s_wait_loadcnt_dscnt 0xb01
	v_mul_f64_e32 v[194:195], v[180:181], v[10:11]
	v_mul_f64_e32 v[10:11], v[182:183], v[10:11]
	scratch_load_b128 v[168:171], off, off offset:512
	ds_load_b128 v[188:191], v2 offset:1344
	s_wait_loadcnt_dscnt 0xb01
	v_mul_f64_e32 v[198:199], v[4:5], v[14:15]
	v_mul_f64_e32 v[14:15], v[6:7], v[14:15]
	v_add_f64_e32 v[192:193], 0, v[192:193]
	v_fmac_f64_e32 v[194:195], v[182:183], v[8:9]
	v_fma_f64 v[180:181], v[180:181], v[8:9], -v[10:11]
	v_add_f64_e32 v[182:183], 0, v[196:197]
	scratch_load_b128 v[8:11], off, off offset:528
	v_fmac_f64_e32 v[198:199], v[6:7], v[12:13]
	v_fma_f64 v[200:201], v[4:5], v[12:13], -v[14:15]
	ds_load_b128 v[4:7], v2 offset:1360
	s_wait_loadcnt_dscnt 0xb01
	v_mul_f64_e32 v[196:197], v[188:189], v[142:143]
	v_mul_f64_e32 v[142:143], v[190:191], v[142:143]
	scratch_load_b128 v[12:15], off, off offset:544
	v_add_f64_e32 v[192:193], v[192:193], v[194:195]
	v_add_f64_e32 v[202:203], v[182:183], v[180:181]
	ds_load_b128 v[180:183], v2 offset:1376
	s_wait_loadcnt_dscnt 0xb01
	v_mul_f64_e32 v[194:195], v[4:5], v[146:147]
	v_mul_f64_e32 v[146:147], v[6:7], v[146:147]
	v_fmac_f64_e32 v[196:197], v[190:191], v[140:141]
	v_fma_f64 v[188:189], v[188:189], v[140:141], -v[142:143]
	scratch_load_b128 v[140:143], off, off offset:560
	v_add_f64_e32 v[192:193], v[192:193], v[198:199]
	v_add_f64_e32 v[190:191], v[202:203], v[200:201]
	v_fmac_f64_e32 v[194:195], v[6:7], v[144:145]
	v_fma_f64 v[200:201], v[4:5], v[144:145], -v[146:147]
	ds_load_b128 v[4:7], v2 offset:1392
	s_wait_loadcnt_dscnt 0xb01
	v_mul_f64_e32 v[198:199], v[180:181], v[150:151]
	v_mul_f64_e32 v[150:151], v[182:183], v[150:151]
	scratch_load_b128 v[144:147], off, off offset:576
	v_add_f64_e32 v[192:193], v[192:193], v[196:197]
	s_wait_loadcnt_dscnt 0xb00
	v_mul_f64_e32 v[196:197], v[4:5], v[154:155]
	v_add_f64_e32 v[202:203], v[190:191], v[188:189]
	v_mul_f64_e32 v[154:155], v[6:7], v[154:155]
	ds_load_b128 v[188:191], v2 offset:1408
	v_fmac_f64_e32 v[198:199], v[182:183], v[148:149]
	v_fma_f64 v[180:181], v[180:181], v[148:149], -v[150:151]
	scratch_load_b128 v[148:151], off, off offset:592
	v_add_f64_e32 v[192:193], v[192:193], v[194:195]
	v_fmac_f64_e32 v[196:197], v[6:7], v[152:153]
	v_add_f64_e32 v[182:183], v[202:203], v[200:201]
	v_fma_f64 v[200:201], v[4:5], v[152:153], -v[154:155]
	ds_load_b128 v[4:7], v2 offset:1424
	s_wait_loadcnt_dscnt 0xb01
	v_mul_f64_e32 v[194:195], v[188:189], v[158:159]
	v_mul_f64_e32 v[158:159], v[190:191], v[158:159]
	scratch_load_b128 v[152:155], off, off offset:608
	v_add_f64_e32 v[192:193], v[192:193], v[198:199]
	s_wait_loadcnt_dscnt 0xb00
	v_mul_f64_e32 v[198:199], v[4:5], v[162:163]
	v_add_f64_e32 v[202:203], v[182:183], v[180:181]
	v_mul_f64_e32 v[162:163], v[6:7], v[162:163]
	ds_load_b128 v[180:183], v2 offset:1440
	v_fmac_f64_e32 v[194:195], v[190:191], v[156:157]
	v_fma_f64 v[188:189], v[188:189], v[156:157], -v[158:159]
	scratch_load_b128 v[156:159], off, off offset:624
	v_add_f64_e32 v[192:193], v[192:193], v[196:197]
	v_fmac_f64_e32 v[198:199], v[6:7], v[160:161]
	v_add_f64_e32 v[190:191], v[202:203], v[200:201]
	;; [unrolled: 18-line block ×3, first 2 shown]
	v_fma_f64 v[200:201], v[4:5], v[172:173], -v[174:175]
	ds_load_b128 v[4:7], v2 offset:1488
	s_wait_loadcnt_dscnt 0xa01
	v_mul_f64_e32 v[198:199], v[188:189], v[186:187]
	v_mul_f64_e32 v[186:187], v[190:191], v[186:187]
	scratch_load_b128 v[172:175], off, off offset:672
	v_add_f64_e32 v[192:193], v[192:193], v[196:197]
	v_add_f64_e32 v[202:203], v[182:183], v[180:181]
	s_wait_loadcnt_dscnt 0xa00
	v_mul_f64_e32 v[196:197], v[4:5], v[170:171]
	v_mul_f64_e32 v[170:171], v[6:7], v[170:171]
	v_fmac_f64_e32 v[198:199], v[190:191], v[184:185]
	v_fma_f64 v[188:189], v[188:189], v[184:185], -v[186:187]
	ds_load_b128 v[180:183], v2 offset:1504
	scratch_load_b128 v[184:187], off, off offset:688
	v_add_f64_e32 v[192:193], v[192:193], v[194:195]
	v_add_f64_e32 v[190:191], v[202:203], v[200:201]
	v_fmac_f64_e32 v[196:197], v[6:7], v[168:169]
	v_fma_f64 v[200:201], v[4:5], v[168:169], -v[170:171]
	ds_load_b128 v[4:7], v2 offset:1520
	s_wait_loadcnt_dscnt 0xa01
	v_mul_f64_e32 v[194:195], v[180:181], v[10:11]
	v_mul_f64_e32 v[10:11], v[182:183], v[10:11]
	scratch_load_b128 v[168:171], off, off offset:704
	v_add_f64_e32 v[192:193], v[192:193], v[198:199]
	s_wait_loadcnt_dscnt 0xa00
	v_mul_f64_e32 v[198:199], v[4:5], v[14:15]
	v_add_f64_e32 v[202:203], v[190:191], v[188:189]
	v_mul_f64_e32 v[14:15], v[6:7], v[14:15]
	ds_load_b128 v[188:191], v2 offset:1536
	v_fmac_f64_e32 v[194:195], v[182:183], v[8:9]
	v_fma_f64 v[180:181], v[180:181], v[8:9], -v[10:11]
	scratch_load_b128 v[8:11], off, off offset:720
	v_add_f64_e32 v[192:193], v[192:193], v[196:197]
	v_fmac_f64_e32 v[198:199], v[6:7], v[12:13]
	v_add_f64_e32 v[182:183], v[202:203], v[200:201]
	v_fma_f64 v[200:201], v[4:5], v[12:13], -v[14:15]
	ds_load_b128 v[4:7], v2 offset:1552
	s_wait_loadcnt_dscnt 0xa01
	v_mul_f64_e32 v[196:197], v[188:189], v[142:143]
	v_mul_f64_e32 v[142:143], v[190:191], v[142:143]
	scratch_load_b128 v[12:15], off, off offset:736
	v_add_f64_e32 v[192:193], v[192:193], v[194:195]
	s_wait_loadcnt_dscnt 0xa00
	v_mul_f64_e32 v[194:195], v[4:5], v[146:147]
	v_add_f64_e32 v[202:203], v[182:183], v[180:181]
	v_mul_f64_e32 v[146:147], v[6:7], v[146:147]
	ds_load_b128 v[180:183], v2 offset:1568
	v_fmac_f64_e32 v[196:197], v[190:191], v[140:141]
	v_fma_f64 v[188:189], v[188:189], v[140:141], -v[142:143]
	scratch_load_b128 v[140:143], off, off offset:752
	v_add_f64_e32 v[192:193], v[192:193], v[198:199]
	v_fmac_f64_e32 v[194:195], v[6:7], v[144:145]
	v_add_f64_e32 v[190:191], v[202:203], v[200:201]
	;; [unrolled: 18-line block ×8, first 2 shown]
	v_fma_f64 v[200:201], v[4:5], v[144:145], -v[146:147]
	ds_load_b128 v[4:7], v2 offset:1776
	s_wait_loadcnt_dscnt 0xa01
	v_mul_f64_e32 v[198:199], v[180:181], v[150:151]
	v_mul_f64_e32 v[150:151], v[182:183], v[150:151]
	scratch_load_b128 v[144:147], off, off offset:960
	v_add_f64_e32 v[192:193], v[192:193], v[196:197]
	s_wait_loadcnt_dscnt 0xa00
	v_mul_f64_e32 v[196:197], v[4:5], v[154:155]
	v_add_f64_e32 v[202:203], v[190:191], v[188:189]
	v_mul_f64_e32 v[154:155], v[6:7], v[154:155]
	ds_load_b128 v[188:191], v2 offset:1792
	v_fmac_f64_e32 v[198:199], v[182:183], v[148:149]
	v_fma_f64 v[148:149], v[180:181], v[148:149], -v[150:151]
	s_wait_loadcnt_dscnt 0x900
	v_mul_f64_e32 v[182:183], v[188:189], v[158:159]
	v_mul_f64_e32 v[158:159], v[190:191], v[158:159]
	v_add_f64_e32 v[180:181], v[192:193], v[194:195]
	v_fmac_f64_e32 v[196:197], v[6:7], v[152:153]
	v_add_f64_e32 v[150:151], v[202:203], v[200:201]
	v_fma_f64 v[152:153], v[4:5], v[152:153], -v[154:155]
	v_fmac_f64_e32 v[182:183], v[190:191], v[156:157]
	v_fma_f64 v[156:157], v[188:189], v[156:157], -v[158:159]
	v_add_f64_e32 v[180:181], v[180:181], v[198:199]
	v_add_f64_e32 v[154:155], v[150:151], v[148:149]
	ds_load_b128 v[4:7], v2 offset:1808
	ds_load_b128 v[148:151], v2 offset:1824
	s_wait_loadcnt_dscnt 0x801
	v_mul_f64_e32 v[192:193], v[4:5], v[162:163]
	v_mul_f64_e32 v[162:163], v[6:7], v[162:163]
	s_wait_loadcnt_dscnt 0x700
	v_mul_f64_e32 v[158:159], v[148:149], v[166:167]
	v_mul_f64_e32 v[166:167], v[150:151], v[166:167]
	v_add_f64_e32 v[152:153], v[154:155], v[152:153]
	v_add_f64_e32 v[154:155], v[180:181], v[196:197]
	v_fmac_f64_e32 v[192:193], v[6:7], v[160:161]
	v_fma_f64 v[160:161], v[4:5], v[160:161], -v[162:163]
	v_fmac_f64_e32 v[158:159], v[150:151], v[164:165]
	v_fma_f64 v[148:149], v[148:149], v[164:165], -v[166:167]
	v_add_f64_e32 v[156:157], v[152:153], v[156:157]
	v_add_f64_e32 v[162:163], v[154:155], v[182:183]
	ds_load_b128 v[4:7], v2 offset:1840
	ds_load_b128 v[152:155], v2 offset:1856
	s_wait_loadcnt_dscnt 0x601
	v_mul_f64_e32 v[180:181], v[4:5], v[174:175]
	v_mul_f64_e32 v[174:175], v[6:7], v[174:175]
	v_add_f64_e32 v[150:151], v[156:157], v[160:161]
	v_add_f64_e32 v[156:157], v[162:163], v[192:193]
	s_wait_loadcnt_dscnt 0x500
	v_mul_f64_e32 v[160:161], v[152:153], v[186:187]
	v_mul_f64_e32 v[162:163], v[154:155], v[186:187]
	v_fmac_f64_e32 v[180:181], v[6:7], v[172:173]
	v_fma_f64 v[164:165], v[4:5], v[172:173], -v[174:175]
	v_add_f64_e32 v[166:167], v[150:151], v[148:149]
	v_add_f64_e32 v[156:157], v[156:157], v[158:159]
	ds_load_b128 v[4:7], v2 offset:1872
	ds_load_b128 v[148:151], v2 offset:1888
	v_fmac_f64_e32 v[160:161], v[154:155], v[184:185]
	v_fma_f64 v[152:153], v[152:153], v[184:185], -v[162:163]
	s_wait_loadcnt_dscnt 0x401
	v_mul_f64_e32 v[158:159], v[4:5], v[170:171]
	v_mul_f64_e32 v[170:171], v[6:7], v[170:171]
	s_wait_loadcnt_dscnt 0x300
	v_mul_f64_e32 v[162:163], v[148:149], v[10:11]
	v_mul_f64_e32 v[10:11], v[150:151], v[10:11]
	v_add_f64_e32 v[154:155], v[166:167], v[164:165]
	v_add_f64_e32 v[156:157], v[156:157], v[180:181]
	v_fmac_f64_e32 v[158:159], v[6:7], v[168:169]
	v_fma_f64 v[164:165], v[4:5], v[168:169], -v[170:171]
	v_fmac_f64_e32 v[162:163], v[150:151], v[8:9]
	v_fma_f64 v[8:9], v[148:149], v[8:9], -v[10:11]
	v_add_f64_e32 v[166:167], v[154:155], v[152:153]
	v_add_f64_e32 v[156:157], v[156:157], v[160:161]
	ds_load_b128 v[4:7], v2 offset:1904
	ds_load_b128 v[152:155], v2 offset:1920
	s_wait_loadcnt_dscnt 0x201
	v_mul_f64_e32 v[160:161], v[4:5], v[14:15]
	v_mul_f64_e32 v[14:15], v[6:7], v[14:15]
	s_wait_loadcnt_dscnt 0x100
	v_mul_f64_e32 v[150:151], v[152:153], v[142:143]
	v_mul_f64_e32 v[142:143], v[154:155], v[142:143]
	v_add_f64_e32 v[10:11], v[166:167], v[164:165]
	v_add_f64_e32 v[148:149], v[156:157], v[158:159]
	v_fmac_f64_e32 v[160:161], v[6:7], v[12:13]
	v_fma_f64 v[12:13], v[4:5], v[12:13], -v[14:15]
	ds_load_b128 v[4:7], v2 offset:1936
	v_fmac_f64_e32 v[150:151], v[154:155], v[140:141]
	v_fma_f64 v[140:141], v[152:153], v[140:141], -v[142:143]
	v_add_f64_e32 v[8:9], v[10:11], v[8:9]
	v_add_f64_e32 v[10:11], v[148:149], v[162:163]
	s_wait_loadcnt_dscnt 0x0
	v_mul_f64_e32 v[14:15], v[4:5], v[146:147]
	v_mul_f64_e32 v[146:147], v[6:7], v[146:147]
	s_delay_alu instid0(VALU_DEP_4) | instskip(NEXT) | instid1(VALU_DEP_4)
	v_add_f64_e32 v[8:9], v[8:9], v[12:13]
	v_add_f64_e32 v[10:11], v[10:11], v[160:161]
	s_delay_alu instid0(VALU_DEP_4) | instskip(NEXT) | instid1(VALU_DEP_4)
	v_fmac_f64_e32 v[14:15], v[6:7], v[144:145]
	v_fma_f64 v[4:5], v[4:5], v[144:145], -v[146:147]
	s_delay_alu instid0(VALU_DEP_4) | instskip(NEXT) | instid1(VALU_DEP_4)
	v_add_f64_e32 v[6:7], v[8:9], v[140:141]
	v_add_f64_e32 v[8:9], v[10:11], v[150:151]
	s_delay_alu instid0(VALU_DEP_2) | instskip(NEXT) | instid1(VALU_DEP_2)
	v_add_f64_e32 v[4:5], v[6:7], v[4:5]
	v_add_f64_e32 v[6:7], v[8:9], v[14:15]
	s_delay_alu instid0(VALU_DEP_2) | instskip(NEXT) | instid1(VALU_DEP_2)
	v_add_f64_e64 v[4:5], v[176:177], -v[4:5]
	v_add_f64_e64 v[6:7], v[178:179], -v[6:7]
	scratch_store_b128 off, v[4:7], off offset:304
	s_wait_xcnt 0x0
	v_cmpx_lt_u32_e32 18, v1
	s_cbranch_execz .LBB60_355
; %bb.354:
	scratch_load_b128 v[6:9], off, s64
	v_dual_mov_b32 v3, v2 :: v_dual_mov_b32 v4, v2
	v_mov_b32_e32 v5, v2
	scratch_store_b128 off, v[2:5], off offset:288
	s_wait_loadcnt 0x0
	ds_store_b128 v138, v[6:9]
.LBB60_355:
	s_wait_xcnt 0x0
	s_or_b32 exec_lo, exec_lo, s2
	s_wait_storecnt_dscnt 0x0
	s_barrier_signal -1
	s_barrier_wait -1
	s_clause 0x9
	scratch_load_b128 v[4:7], off, off offset:304
	scratch_load_b128 v[8:11], off, off offset:320
	;; [unrolled: 1-line block ×10, first 2 shown]
	ds_load_b128 v[168:171], v2 offset:1280
	ds_load_b128 v[176:179], v2 offset:1296
	s_clause 0x2
	scratch_load_b128 v[172:175], off, off offset:464
	scratch_load_b128 v[180:183], off, off offset:288
	;; [unrolled: 1-line block ×3, first 2 shown]
	s_mov_b32 s2, exec_lo
	s_wait_loadcnt_dscnt 0xc01
	v_mul_f64_e32 v[188:189], v[170:171], v[6:7]
	v_mul_f64_e32 v[192:193], v[168:169], v[6:7]
	s_wait_loadcnt_dscnt 0xb00
	v_mul_f64_e32 v[194:195], v[176:177], v[10:11]
	v_mul_f64_e32 v[10:11], v[178:179], v[10:11]
	s_delay_alu instid0(VALU_DEP_4) | instskip(NEXT) | instid1(VALU_DEP_4)
	v_fma_f64 v[196:197], v[168:169], v[4:5], -v[188:189]
	v_fmac_f64_e32 v[192:193], v[170:171], v[4:5]
	ds_load_b128 v[4:7], v2 offset:1312
	ds_load_b128 v[168:171], v2 offset:1328
	scratch_load_b128 v[188:191], off, off offset:496
	v_fmac_f64_e32 v[194:195], v[178:179], v[8:9]
	v_fma_f64 v[176:177], v[176:177], v[8:9], -v[10:11]
	scratch_load_b128 v[8:11], off, off offset:512
	s_wait_loadcnt_dscnt 0xc01
	v_mul_f64_e32 v[198:199], v[4:5], v[14:15]
	v_mul_f64_e32 v[14:15], v[6:7], v[14:15]
	v_add_f64_e32 v[178:179], 0, v[196:197]
	v_add_f64_e32 v[192:193], 0, v[192:193]
	s_wait_loadcnt_dscnt 0xb00
	v_mul_f64_e32 v[196:197], v[168:169], v[142:143]
	v_mul_f64_e32 v[142:143], v[170:171], v[142:143]
	v_fmac_f64_e32 v[198:199], v[6:7], v[12:13]
	v_fma_f64 v[200:201], v[4:5], v[12:13], -v[14:15]
	ds_load_b128 v[4:7], v2 offset:1344
	ds_load_b128 v[12:15], v2 offset:1360
	v_add_f64_e32 v[202:203], v[178:179], v[176:177]
	v_add_f64_e32 v[192:193], v[192:193], v[194:195]
	scratch_load_b128 v[176:179], off, off offset:528
	v_fmac_f64_e32 v[196:197], v[170:171], v[140:141]
	v_fma_f64 v[168:169], v[168:169], v[140:141], -v[142:143]
	scratch_load_b128 v[140:143], off, off offset:544
	s_wait_loadcnt_dscnt 0xc01
	v_mul_f64_e32 v[194:195], v[4:5], v[146:147]
	v_mul_f64_e32 v[146:147], v[6:7], v[146:147]
	v_add_f64_e32 v[170:171], v[202:203], v[200:201]
	v_add_f64_e32 v[192:193], v[192:193], v[198:199]
	s_wait_loadcnt_dscnt 0xb00
	v_mul_f64_e32 v[198:199], v[12:13], v[150:151]
	v_mul_f64_e32 v[150:151], v[14:15], v[150:151]
	v_fmac_f64_e32 v[194:195], v[6:7], v[144:145]
	v_fma_f64 v[200:201], v[4:5], v[144:145], -v[146:147]
	ds_load_b128 v[4:7], v2 offset:1376
	ds_load_b128 v[144:147], v2 offset:1392
	v_add_f64_e32 v[202:203], v[170:171], v[168:169]
	v_add_f64_e32 v[192:193], v[192:193], v[196:197]
	scratch_load_b128 v[168:171], off, off offset:560
	s_wait_loadcnt_dscnt 0xb01
	v_mul_f64_e32 v[196:197], v[4:5], v[154:155]
	v_mul_f64_e32 v[154:155], v[6:7], v[154:155]
	v_fmac_f64_e32 v[198:199], v[14:15], v[148:149]
	v_fma_f64 v[148:149], v[12:13], v[148:149], -v[150:151]
	scratch_load_b128 v[12:15], off, off offset:576
	v_add_f64_e32 v[150:151], v[202:203], v[200:201]
	v_add_f64_e32 v[192:193], v[192:193], v[194:195]
	s_wait_loadcnt_dscnt 0xb00
	v_mul_f64_e32 v[194:195], v[144:145], v[158:159]
	v_mul_f64_e32 v[158:159], v[146:147], v[158:159]
	v_fmac_f64_e32 v[196:197], v[6:7], v[152:153]
	v_fma_f64 v[200:201], v[4:5], v[152:153], -v[154:155]
	v_add_f64_e32 v[202:203], v[150:151], v[148:149]
	v_add_f64_e32 v[192:193], v[192:193], v[198:199]
	ds_load_b128 v[4:7], v2 offset:1408
	ds_load_b128 v[148:151], v2 offset:1424
	scratch_load_b128 v[152:155], off, off offset:592
	v_fmac_f64_e32 v[194:195], v[146:147], v[156:157]
	v_fma_f64 v[156:157], v[144:145], v[156:157], -v[158:159]
	scratch_load_b128 v[144:147], off, off offset:608
	s_wait_loadcnt_dscnt 0xc01
	v_mul_f64_e32 v[198:199], v[4:5], v[162:163]
	v_mul_f64_e32 v[162:163], v[6:7], v[162:163]
	v_add_f64_e32 v[158:159], v[202:203], v[200:201]
	v_add_f64_e32 v[192:193], v[192:193], v[196:197]
	s_wait_loadcnt_dscnt 0xb00
	v_mul_f64_e32 v[196:197], v[148:149], v[166:167]
	v_mul_f64_e32 v[166:167], v[150:151], v[166:167]
	v_fmac_f64_e32 v[198:199], v[6:7], v[160:161]
	v_fma_f64 v[200:201], v[4:5], v[160:161], -v[162:163]
	v_add_f64_e32 v[202:203], v[158:159], v[156:157]
	v_add_f64_e32 v[192:193], v[192:193], v[194:195]
	ds_load_b128 v[4:7], v2 offset:1440
	ds_load_b128 v[156:159], v2 offset:1456
	scratch_load_b128 v[160:163], off, off offset:624
	v_fmac_f64_e32 v[196:197], v[150:151], v[164:165]
	v_fma_f64 v[164:165], v[148:149], v[164:165], -v[166:167]
	scratch_load_b128 v[148:151], off, off offset:640
	s_wait_loadcnt_dscnt 0xc01
	v_mul_f64_e32 v[194:195], v[4:5], v[174:175]
	v_mul_f64_e32 v[174:175], v[6:7], v[174:175]
	;; [unrolled: 18-line block ×5, first 2 shown]
	v_add_f64_e32 v[186:187], v[202:203], v[200:201]
	v_add_f64_e32 v[192:193], v[192:193], v[198:199]
	s_wait_loadcnt_dscnt 0xa00
	v_mul_f64_e32 v[198:199], v[164:165], v[14:15]
	v_mul_f64_e32 v[14:15], v[166:167], v[14:15]
	v_fmac_f64_e32 v[194:195], v[6:7], v[168:169]
	v_fma_f64 v[200:201], v[4:5], v[168:169], -v[170:171]
	ds_load_b128 v[4:7], v2 offset:1568
	ds_load_b128 v[168:171], v2 offset:1584
	v_add_f64_e32 v[202:203], v[186:187], v[184:185]
	v_add_f64_e32 v[192:193], v[192:193], v[196:197]
	scratch_load_b128 v[184:187], off, off offset:752
	v_fmac_f64_e32 v[198:199], v[166:167], v[12:13]
	v_fma_f64 v[164:165], v[164:165], v[12:13], -v[14:15]
	scratch_load_b128 v[12:15], off, off offset:768
	s_wait_loadcnt_dscnt 0xb01
	v_mul_f64_e32 v[196:197], v[4:5], v[154:155]
	v_mul_f64_e32 v[154:155], v[6:7], v[154:155]
	v_add_f64_e32 v[166:167], v[202:203], v[200:201]
	v_add_f64_e32 v[192:193], v[192:193], v[194:195]
	s_wait_loadcnt_dscnt 0xa00
	v_mul_f64_e32 v[194:195], v[168:169], v[146:147]
	v_mul_f64_e32 v[146:147], v[170:171], v[146:147]
	v_fmac_f64_e32 v[196:197], v[6:7], v[152:153]
	v_fma_f64 v[200:201], v[4:5], v[152:153], -v[154:155]
	ds_load_b128 v[4:7], v2 offset:1600
	ds_load_b128 v[152:155], v2 offset:1616
	v_add_f64_e32 v[202:203], v[166:167], v[164:165]
	v_add_f64_e32 v[192:193], v[192:193], v[198:199]
	scratch_load_b128 v[164:167], off, off offset:784
	s_wait_loadcnt_dscnt 0xa01
	v_mul_f64_e32 v[198:199], v[4:5], v[162:163]
	v_mul_f64_e32 v[162:163], v[6:7], v[162:163]
	v_fmac_f64_e32 v[194:195], v[170:171], v[144:145]
	v_fma_f64 v[168:169], v[168:169], v[144:145], -v[146:147]
	scratch_load_b128 v[144:147], off, off offset:800
	v_add_f64_e32 v[170:171], v[202:203], v[200:201]
	v_add_f64_e32 v[192:193], v[192:193], v[196:197]
	s_wait_loadcnt_dscnt 0xa00
	v_mul_f64_e32 v[196:197], v[152:153], v[150:151]
	v_mul_f64_e32 v[150:151], v[154:155], v[150:151]
	v_fmac_f64_e32 v[198:199], v[6:7], v[160:161]
	v_fma_f64 v[200:201], v[4:5], v[160:161], -v[162:163]
	ds_load_b128 v[4:7], v2 offset:1632
	ds_load_b128 v[160:163], v2 offset:1648
	v_add_f64_e32 v[202:203], v[170:171], v[168:169]
	v_add_f64_e32 v[192:193], v[192:193], v[194:195]
	scratch_load_b128 v[168:171], off, off offset:816
	s_wait_loadcnt_dscnt 0xa01
	v_mul_f64_e32 v[194:195], v[4:5], v[174:175]
	v_mul_f64_e32 v[174:175], v[6:7], v[174:175]
	v_fmac_f64_e32 v[196:197], v[154:155], v[148:149]
	v_fma_f64 v[152:153], v[152:153], v[148:149], -v[150:151]
	scratch_load_b128 v[148:151], off, off offset:832
	v_add_f64_e32 v[154:155], v[202:203], v[200:201]
	v_add_f64_e32 v[192:193], v[192:193], v[198:199]
	s_wait_loadcnt_dscnt 0xa00
	v_mul_f64_e32 v[198:199], v[160:161], v[158:159]
	v_mul_f64_e32 v[158:159], v[162:163], v[158:159]
	v_fmac_f64_e32 v[194:195], v[6:7], v[172:173]
	v_fma_f64 v[200:201], v[4:5], v[172:173], -v[174:175]
	v_add_f64_e32 v[202:203], v[154:155], v[152:153]
	v_add_f64_e32 v[192:193], v[192:193], v[196:197]
	ds_load_b128 v[4:7], v2 offset:1664
	ds_load_b128 v[152:155], v2 offset:1680
	scratch_load_b128 v[172:175], off, off offset:848
	v_fmac_f64_e32 v[198:199], v[162:163], v[156:157]
	v_fma_f64 v[160:161], v[160:161], v[156:157], -v[158:159]
	scratch_load_b128 v[156:159], off, off offset:864
	s_wait_loadcnt_dscnt 0xb01
	v_mul_f64_e32 v[196:197], v[4:5], v[190:191]
	v_mul_f64_e32 v[190:191], v[6:7], v[190:191]
	v_add_f64_e32 v[162:163], v[202:203], v[200:201]
	v_add_f64_e32 v[192:193], v[192:193], v[194:195]
	s_wait_loadcnt_dscnt 0xa00
	v_mul_f64_e32 v[194:195], v[152:153], v[10:11]
	v_mul_f64_e32 v[10:11], v[154:155], v[10:11]
	v_fmac_f64_e32 v[196:197], v[6:7], v[188:189]
	v_fma_f64 v[200:201], v[4:5], v[188:189], -v[190:191]
	v_add_f64_e32 v[202:203], v[162:163], v[160:161]
	v_add_f64_e32 v[192:193], v[192:193], v[198:199]
	ds_load_b128 v[4:7], v2 offset:1696
	ds_load_b128 v[160:163], v2 offset:1712
	scratch_load_b128 v[188:191], off, off offset:880
	v_fmac_f64_e32 v[194:195], v[154:155], v[8:9]
	v_fma_f64 v[152:153], v[152:153], v[8:9], -v[10:11]
	scratch_load_b128 v[8:11], off, off offset:896
	s_wait_loadcnt_dscnt 0xb01
	v_mul_f64_e32 v[198:199], v[4:5], v[178:179]
	v_mul_f64_e32 v[178:179], v[6:7], v[178:179]
	;; [unrolled: 18-line block ×4, first 2 shown]
	v_add_f64_e32 v[154:155], v[202:203], v[200:201]
	v_add_f64_e32 v[192:193], v[192:193], v[194:195]
	s_wait_loadcnt_dscnt 0xa00
	v_mul_f64_e32 v[194:195], v[160:161], v[146:147]
	v_mul_f64_e32 v[146:147], v[162:163], v[146:147]
	v_fmac_f64_e32 v[196:197], v[6:7], v[164:165]
	v_fma_f64 v[164:165], v[4:5], v[164:165], -v[166:167]
	v_add_f64_e32 v[166:167], v[154:155], v[152:153]
	v_add_f64_e32 v[192:193], v[192:193], v[198:199]
	ds_load_b128 v[4:7], v2 offset:1792
	ds_load_b128 v[152:155], v2 offset:1808
	v_fmac_f64_e32 v[194:195], v[162:163], v[144:145]
	v_fma_f64 v[144:145], v[160:161], v[144:145], -v[146:147]
	s_wait_loadcnt_dscnt 0x901
	v_mul_f64_e32 v[198:199], v[4:5], v[170:171]
	v_mul_f64_e32 v[170:171], v[6:7], v[170:171]
	s_wait_loadcnt_dscnt 0x800
	v_mul_f64_e32 v[162:163], v[152:153], v[150:151]
	v_mul_f64_e32 v[150:151], v[154:155], v[150:151]
	v_add_f64_e32 v[146:147], v[166:167], v[164:165]
	v_add_f64_e32 v[160:161], v[192:193], v[196:197]
	v_fmac_f64_e32 v[198:199], v[6:7], v[168:169]
	v_fma_f64 v[164:165], v[4:5], v[168:169], -v[170:171]
	v_fmac_f64_e32 v[162:163], v[154:155], v[148:149]
	v_fma_f64 v[148:149], v[152:153], v[148:149], -v[150:151]
	v_add_f64_e32 v[166:167], v[146:147], v[144:145]
	v_add_f64_e32 v[160:161], v[160:161], v[194:195]
	ds_load_b128 v[4:7], v2 offset:1824
	ds_load_b128 v[144:147], v2 offset:1840
	s_wait_loadcnt_dscnt 0x701
	v_mul_f64_e32 v[168:169], v[4:5], v[174:175]
	v_mul_f64_e32 v[170:171], v[6:7], v[174:175]
	s_wait_loadcnt_dscnt 0x600
	v_mul_f64_e32 v[154:155], v[144:145], v[158:159]
	v_mul_f64_e32 v[158:159], v[146:147], v[158:159]
	v_add_f64_e32 v[150:151], v[166:167], v[164:165]
	v_add_f64_e32 v[152:153], v[160:161], v[198:199]
	v_fmac_f64_e32 v[168:169], v[6:7], v[172:173]
	v_fma_f64 v[160:161], v[4:5], v[172:173], -v[170:171]
	v_fmac_f64_e32 v[154:155], v[146:147], v[156:157]
	v_fma_f64 v[144:145], v[144:145], v[156:157], -v[158:159]
	v_add_f64_e32 v[164:165], v[150:151], v[148:149]
	v_add_f64_e32 v[152:153], v[152:153], v[162:163]
	ds_load_b128 v[4:7], v2 offset:1856
	ds_load_b128 v[148:151], v2 offset:1872
	;; [unrolled: 16-line block ×4, first 2 shown]
	s_wait_loadcnt_dscnt 0x101
	v_mul_f64_e32 v[2:3], v[4:5], v[186:187]
	v_mul_f64_e32 v[156:157], v[6:7], v[186:187]
	s_wait_loadcnt_dscnt 0x0
	v_mul_f64_e32 v[146:147], v[8:9], v[14:15]
	v_mul_f64_e32 v[14:15], v[10:11], v[14:15]
	v_add_f64_e32 v[142:143], v[158:159], v[152:153]
	v_add_f64_e32 v[144:145], v[148:149], v[154:155]
	v_fmac_f64_e32 v[2:3], v[6:7], v[184:185]
	v_fma_f64 v[4:5], v[4:5], v[184:185], -v[156:157]
	v_fmac_f64_e32 v[146:147], v[10:11], v[12:13]
	v_fma_f64 v[8:9], v[8:9], v[12:13], -v[14:15]
	v_add_f64_e32 v[6:7], v[142:143], v[140:141]
	v_add_f64_e32 v[140:141], v[144:145], v[150:151]
	s_delay_alu instid0(VALU_DEP_2) | instskip(NEXT) | instid1(VALU_DEP_2)
	v_add_f64_e32 v[4:5], v[6:7], v[4:5]
	v_add_f64_e32 v[2:3], v[140:141], v[2:3]
	s_delay_alu instid0(VALU_DEP_2) | instskip(NEXT) | instid1(VALU_DEP_2)
	;; [unrolled: 3-line block ×3, first 2 shown]
	v_add_f64_e64 v[2:3], v[180:181], -v[4:5]
	v_add_f64_e64 v[4:5], v[182:183], -v[6:7]
	scratch_store_b128 off, v[2:5], off offset:288
	s_wait_xcnt 0x0
	v_cmpx_lt_u32_e32 17, v1
	s_cbranch_execz .LBB60_357
; %bb.356:
	scratch_load_b128 v[2:5], off, s61
	v_mov_b32_e32 v6, 0
	s_delay_alu instid0(VALU_DEP_1)
	v_dual_mov_b32 v7, v6 :: v_dual_mov_b32 v8, v6
	v_mov_b32_e32 v9, v6
	scratch_store_b128 off, v[6:9], off offset:272
	s_wait_loadcnt 0x0
	ds_store_b128 v138, v[2:5]
.LBB60_357:
	s_wait_xcnt 0x0
	s_or_b32 exec_lo, exec_lo, s2
	s_wait_storecnt_dscnt 0x0
	s_barrier_signal -1
	s_barrier_wait -1
	s_clause 0x9
	scratch_load_b128 v[4:7], off, off offset:288
	scratch_load_b128 v[8:11], off, off offset:304
	;; [unrolled: 1-line block ×10, first 2 shown]
	v_mov_b32_e32 v2, 0
	s_mov_b32 s2, exec_lo
	ds_load_b128 v[168:171], v2 offset:1264
	s_clause 0x2
	scratch_load_b128 v[172:175], off, off offset:448
	scratch_load_b128 v[176:179], off, off offset:272
	;; [unrolled: 1-line block ×3, first 2 shown]
	s_wait_loadcnt_dscnt 0xc00
	v_mul_f64_e32 v[188:189], v[170:171], v[6:7]
	v_mul_f64_e32 v[192:193], v[168:169], v[6:7]
	ds_load_b128 v[180:183], v2 offset:1280
	v_fma_f64 v[196:197], v[168:169], v[4:5], -v[188:189]
	v_fmac_f64_e32 v[192:193], v[170:171], v[4:5]
	ds_load_b128 v[4:7], v2 offset:1296
	s_wait_loadcnt_dscnt 0xb01
	v_mul_f64_e32 v[194:195], v[180:181], v[10:11]
	v_mul_f64_e32 v[10:11], v[182:183], v[10:11]
	scratch_load_b128 v[168:171], off, off offset:480
	ds_load_b128 v[188:191], v2 offset:1312
	s_wait_loadcnt_dscnt 0xb01
	v_mul_f64_e32 v[198:199], v[4:5], v[14:15]
	v_mul_f64_e32 v[14:15], v[6:7], v[14:15]
	v_add_f64_e32 v[192:193], 0, v[192:193]
	v_fmac_f64_e32 v[194:195], v[182:183], v[8:9]
	v_fma_f64 v[180:181], v[180:181], v[8:9], -v[10:11]
	v_add_f64_e32 v[182:183], 0, v[196:197]
	scratch_load_b128 v[8:11], off, off offset:496
	v_fmac_f64_e32 v[198:199], v[6:7], v[12:13]
	v_fma_f64 v[200:201], v[4:5], v[12:13], -v[14:15]
	ds_load_b128 v[4:7], v2 offset:1328
	s_wait_loadcnt_dscnt 0xb01
	v_mul_f64_e32 v[196:197], v[188:189], v[142:143]
	v_mul_f64_e32 v[142:143], v[190:191], v[142:143]
	scratch_load_b128 v[12:15], off, off offset:512
	v_add_f64_e32 v[192:193], v[192:193], v[194:195]
	v_add_f64_e32 v[202:203], v[182:183], v[180:181]
	ds_load_b128 v[180:183], v2 offset:1344
	s_wait_loadcnt_dscnt 0xb01
	v_mul_f64_e32 v[194:195], v[4:5], v[146:147]
	v_mul_f64_e32 v[146:147], v[6:7], v[146:147]
	v_fmac_f64_e32 v[196:197], v[190:191], v[140:141]
	v_fma_f64 v[188:189], v[188:189], v[140:141], -v[142:143]
	scratch_load_b128 v[140:143], off, off offset:528
	v_add_f64_e32 v[192:193], v[192:193], v[198:199]
	v_add_f64_e32 v[190:191], v[202:203], v[200:201]
	v_fmac_f64_e32 v[194:195], v[6:7], v[144:145]
	v_fma_f64 v[200:201], v[4:5], v[144:145], -v[146:147]
	ds_load_b128 v[4:7], v2 offset:1360
	s_wait_loadcnt_dscnt 0xb01
	v_mul_f64_e32 v[198:199], v[180:181], v[150:151]
	v_mul_f64_e32 v[150:151], v[182:183], v[150:151]
	scratch_load_b128 v[144:147], off, off offset:544
	v_add_f64_e32 v[192:193], v[192:193], v[196:197]
	s_wait_loadcnt_dscnt 0xb00
	v_mul_f64_e32 v[196:197], v[4:5], v[154:155]
	v_add_f64_e32 v[202:203], v[190:191], v[188:189]
	v_mul_f64_e32 v[154:155], v[6:7], v[154:155]
	ds_load_b128 v[188:191], v2 offset:1376
	v_fmac_f64_e32 v[198:199], v[182:183], v[148:149]
	v_fma_f64 v[180:181], v[180:181], v[148:149], -v[150:151]
	scratch_load_b128 v[148:151], off, off offset:560
	v_add_f64_e32 v[192:193], v[192:193], v[194:195]
	v_fmac_f64_e32 v[196:197], v[6:7], v[152:153]
	v_add_f64_e32 v[182:183], v[202:203], v[200:201]
	v_fma_f64 v[200:201], v[4:5], v[152:153], -v[154:155]
	ds_load_b128 v[4:7], v2 offset:1392
	s_wait_loadcnt_dscnt 0xb01
	v_mul_f64_e32 v[194:195], v[188:189], v[158:159]
	v_mul_f64_e32 v[158:159], v[190:191], v[158:159]
	scratch_load_b128 v[152:155], off, off offset:576
	v_add_f64_e32 v[192:193], v[192:193], v[198:199]
	s_wait_loadcnt_dscnt 0xb00
	v_mul_f64_e32 v[198:199], v[4:5], v[162:163]
	v_add_f64_e32 v[202:203], v[182:183], v[180:181]
	v_mul_f64_e32 v[162:163], v[6:7], v[162:163]
	ds_load_b128 v[180:183], v2 offset:1408
	v_fmac_f64_e32 v[194:195], v[190:191], v[156:157]
	v_fma_f64 v[188:189], v[188:189], v[156:157], -v[158:159]
	scratch_load_b128 v[156:159], off, off offset:592
	v_add_f64_e32 v[192:193], v[192:193], v[196:197]
	v_fmac_f64_e32 v[198:199], v[6:7], v[160:161]
	v_add_f64_e32 v[190:191], v[202:203], v[200:201]
	;; [unrolled: 18-line block ×3, first 2 shown]
	v_fma_f64 v[200:201], v[4:5], v[172:173], -v[174:175]
	ds_load_b128 v[4:7], v2 offset:1456
	s_wait_loadcnt_dscnt 0xa01
	v_mul_f64_e32 v[198:199], v[188:189], v[186:187]
	v_mul_f64_e32 v[186:187], v[190:191], v[186:187]
	scratch_load_b128 v[172:175], off, off offset:640
	v_add_f64_e32 v[192:193], v[192:193], v[196:197]
	v_add_f64_e32 v[202:203], v[182:183], v[180:181]
	s_wait_loadcnt_dscnt 0xa00
	v_mul_f64_e32 v[196:197], v[4:5], v[170:171]
	v_mul_f64_e32 v[170:171], v[6:7], v[170:171]
	v_fmac_f64_e32 v[198:199], v[190:191], v[184:185]
	v_fma_f64 v[188:189], v[188:189], v[184:185], -v[186:187]
	ds_load_b128 v[180:183], v2 offset:1472
	scratch_load_b128 v[184:187], off, off offset:656
	v_add_f64_e32 v[192:193], v[192:193], v[194:195]
	v_add_f64_e32 v[190:191], v[202:203], v[200:201]
	v_fmac_f64_e32 v[196:197], v[6:7], v[168:169]
	v_fma_f64 v[200:201], v[4:5], v[168:169], -v[170:171]
	ds_load_b128 v[4:7], v2 offset:1488
	s_wait_loadcnt_dscnt 0xa01
	v_mul_f64_e32 v[194:195], v[180:181], v[10:11]
	v_mul_f64_e32 v[10:11], v[182:183], v[10:11]
	scratch_load_b128 v[168:171], off, off offset:672
	v_add_f64_e32 v[192:193], v[192:193], v[198:199]
	s_wait_loadcnt_dscnt 0xa00
	v_mul_f64_e32 v[198:199], v[4:5], v[14:15]
	v_add_f64_e32 v[202:203], v[190:191], v[188:189]
	v_mul_f64_e32 v[14:15], v[6:7], v[14:15]
	ds_load_b128 v[188:191], v2 offset:1504
	v_fmac_f64_e32 v[194:195], v[182:183], v[8:9]
	v_fma_f64 v[180:181], v[180:181], v[8:9], -v[10:11]
	scratch_load_b128 v[8:11], off, off offset:688
	v_add_f64_e32 v[192:193], v[192:193], v[196:197]
	v_fmac_f64_e32 v[198:199], v[6:7], v[12:13]
	v_add_f64_e32 v[182:183], v[202:203], v[200:201]
	v_fma_f64 v[200:201], v[4:5], v[12:13], -v[14:15]
	ds_load_b128 v[4:7], v2 offset:1520
	s_wait_loadcnt_dscnt 0xa01
	v_mul_f64_e32 v[196:197], v[188:189], v[142:143]
	v_mul_f64_e32 v[142:143], v[190:191], v[142:143]
	scratch_load_b128 v[12:15], off, off offset:704
	v_add_f64_e32 v[192:193], v[192:193], v[194:195]
	s_wait_loadcnt_dscnt 0xa00
	v_mul_f64_e32 v[194:195], v[4:5], v[146:147]
	v_add_f64_e32 v[202:203], v[182:183], v[180:181]
	v_mul_f64_e32 v[146:147], v[6:7], v[146:147]
	ds_load_b128 v[180:183], v2 offset:1536
	v_fmac_f64_e32 v[196:197], v[190:191], v[140:141]
	v_fma_f64 v[188:189], v[188:189], v[140:141], -v[142:143]
	scratch_load_b128 v[140:143], off, off offset:720
	v_add_f64_e32 v[192:193], v[192:193], v[198:199]
	v_fmac_f64_e32 v[194:195], v[6:7], v[144:145]
	v_add_f64_e32 v[190:191], v[202:203], v[200:201]
	;; [unrolled: 18-line block ×9, first 2 shown]
	v_fma_f64 v[200:201], v[4:5], v[152:153], -v[154:155]
	ds_load_b128 v[4:7], v2 offset:1776
	s_wait_loadcnt_dscnt 0xa01
	v_mul_f64_e32 v[194:195], v[188:189], v[158:159]
	v_mul_f64_e32 v[158:159], v[190:191], v[158:159]
	scratch_load_b128 v[152:155], off, off offset:960
	v_add_f64_e32 v[192:193], v[192:193], v[198:199]
	s_wait_loadcnt_dscnt 0xa00
	v_mul_f64_e32 v[198:199], v[4:5], v[162:163]
	v_add_f64_e32 v[202:203], v[182:183], v[180:181]
	v_mul_f64_e32 v[162:163], v[6:7], v[162:163]
	ds_load_b128 v[180:183], v2 offset:1792
	v_fmac_f64_e32 v[194:195], v[190:191], v[156:157]
	v_fma_f64 v[156:157], v[188:189], v[156:157], -v[158:159]
	s_wait_loadcnt_dscnt 0x900
	v_mul_f64_e32 v[190:191], v[180:181], v[166:167]
	v_mul_f64_e32 v[166:167], v[182:183], v[166:167]
	v_add_f64_e32 v[188:189], v[192:193], v[196:197]
	v_fmac_f64_e32 v[198:199], v[6:7], v[160:161]
	v_add_f64_e32 v[158:159], v[202:203], v[200:201]
	v_fma_f64 v[160:161], v[4:5], v[160:161], -v[162:163]
	v_fmac_f64_e32 v[190:191], v[182:183], v[164:165]
	v_fma_f64 v[164:165], v[180:181], v[164:165], -v[166:167]
	v_add_f64_e32 v[188:189], v[188:189], v[194:195]
	v_add_f64_e32 v[162:163], v[158:159], v[156:157]
	ds_load_b128 v[4:7], v2 offset:1808
	ds_load_b128 v[156:159], v2 offset:1824
	s_wait_loadcnt_dscnt 0x801
	v_mul_f64_e32 v[192:193], v[4:5], v[174:175]
	v_mul_f64_e32 v[174:175], v[6:7], v[174:175]
	s_wait_loadcnt_dscnt 0x700
	v_mul_f64_e32 v[166:167], v[156:157], v[186:187]
	v_mul_f64_e32 v[180:181], v[158:159], v[186:187]
	v_add_f64_e32 v[160:161], v[162:163], v[160:161]
	v_add_f64_e32 v[162:163], v[188:189], v[198:199]
	v_fmac_f64_e32 v[192:193], v[6:7], v[172:173]
	v_fma_f64 v[172:173], v[4:5], v[172:173], -v[174:175]
	v_fmac_f64_e32 v[166:167], v[158:159], v[184:185]
	v_fma_f64 v[156:157], v[156:157], v[184:185], -v[180:181]
	v_add_f64_e32 v[164:165], v[160:161], v[164:165]
	v_add_f64_e32 v[174:175], v[162:163], v[190:191]
	ds_load_b128 v[4:7], v2 offset:1840
	ds_load_b128 v[160:163], v2 offset:1856
	s_wait_loadcnt_dscnt 0x601
	v_mul_f64_e32 v[182:183], v[4:5], v[170:171]
	v_mul_f64_e32 v[170:171], v[6:7], v[170:171]
	v_add_f64_e32 v[158:159], v[164:165], v[172:173]
	v_add_f64_e32 v[164:165], v[174:175], v[192:193]
	s_wait_loadcnt_dscnt 0x500
	v_mul_f64_e32 v[172:173], v[160:161], v[10:11]
	v_mul_f64_e32 v[10:11], v[162:163], v[10:11]
	v_fmac_f64_e32 v[182:183], v[6:7], v[168:169]
	v_fma_f64 v[168:169], v[4:5], v[168:169], -v[170:171]
	v_add_f64_e32 v[170:171], v[158:159], v[156:157]
	v_add_f64_e32 v[164:165], v[164:165], v[166:167]
	ds_load_b128 v[4:7], v2 offset:1872
	ds_load_b128 v[156:159], v2 offset:1888
	v_fmac_f64_e32 v[172:173], v[162:163], v[8:9]
	v_fma_f64 v[8:9], v[160:161], v[8:9], -v[10:11]
	s_wait_loadcnt_dscnt 0x401
	v_mul_f64_e32 v[166:167], v[4:5], v[14:15]
	v_mul_f64_e32 v[14:15], v[6:7], v[14:15]
	s_wait_loadcnt_dscnt 0x300
	v_mul_f64_e32 v[162:163], v[156:157], v[142:143]
	v_mul_f64_e32 v[142:143], v[158:159], v[142:143]
	v_add_f64_e32 v[10:11], v[170:171], v[168:169]
	v_add_f64_e32 v[160:161], v[164:165], v[182:183]
	v_fmac_f64_e32 v[166:167], v[6:7], v[12:13]
	v_fma_f64 v[12:13], v[4:5], v[12:13], -v[14:15]
	v_fmac_f64_e32 v[162:163], v[158:159], v[140:141]
	v_fma_f64 v[140:141], v[156:157], v[140:141], -v[142:143]
	v_add_f64_e32 v[14:15], v[10:11], v[8:9]
	v_add_f64_e32 v[160:161], v[160:161], v[172:173]
	ds_load_b128 v[4:7], v2 offset:1904
	ds_load_b128 v[8:11], v2 offset:1920
	s_wait_loadcnt_dscnt 0x201
	v_mul_f64_e32 v[164:165], v[4:5], v[146:147]
	v_mul_f64_e32 v[146:147], v[6:7], v[146:147]
	s_wait_loadcnt_dscnt 0x100
	v_mul_f64_e32 v[142:143], v[8:9], v[150:151]
	v_mul_f64_e32 v[150:151], v[10:11], v[150:151]
	v_add_f64_e32 v[12:13], v[14:15], v[12:13]
	v_add_f64_e32 v[14:15], v[160:161], v[166:167]
	v_fmac_f64_e32 v[164:165], v[6:7], v[144:145]
	v_fma_f64 v[144:145], v[4:5], v[144:145], -v[146:147]
	ds_load_b128 v[4:7], v2 offset:1936
	v_fmac_f64_e32 v[142:143], v[10:11], v[148:149]
	v_fma_f64 v[8:9], v[8:9], v[148:149], -v[150:151]
	v_add_f64_e32 v[12:13], v[12:13], v[140:141]
	v_add_f64_e32 v[14:15], v[14:15], v[162:163]
	s_wait_loadcnt_dscnt 0x0
	v_mul_f64_e32 v[140:141], v[4:5], v[154:155]
	v_mul_f64_e32 v[146:147], v[6:7], v[154:155]
	s_delay_alu instid0(VALU_DEP_4) | instskip(NEXT) | instid1(VALU_DEP_4)
	v_add_f64_e32 v[10:11], v[12:13], v[144:145]
	v_add_f64_e32 v[12:13], v[14:15], v[164:165]
	s_delay_alu instid0(VALU_DEP_4) | instskip(NEXT) | instid1(VALU_DEP_4)
	v_fmac_f64_e32 v[140:141], v[6:7], v[152:153]
	v_fma_f64 v[4:5], v[4:5], v[152:153], -v[146:147]
	s_delay_alu instid0(VALU_DEP_4) | instskip(NEXT) | instid1(VALU_DEP_4)
	v_add_f64_e32 v[6:7], v[10:11], v[8:9]
	v_add_f64_e32 v[8:9], v[12:13], v[142:143]
	s_delay_alu instid0(VALU_DEP_2) | instskip(NEXT) | instid1(VALU_DEP_2)
	v_add_f64_e32 v[4:5], v[6:7], v[4:5]
	v_add_f64_e32 v[6:7], v[8:9], v[140:141]
	s_delay_alu instid0(VALU_DEP_2) | instskip(NEXT) | instid1(VALU_DEP_2)
	v_add_f64_e64 v[4:5], v[176:177], -v[4:5]
	v_add_f64_e64 v[6:7], v[178:179], -v[6:7]
	scratch_store_b128 off, v[4:7], off offset:272
	s_wait_xcnt 0x0
	v_cmpx_lt_u32_e32 16, v1
	s_cbranch_execz .LBB60_359
; %bb.358:
	scratch_load_b128 v[6:9], off, s58
	v_dual_mov_b32 v3, v2 :: v_dual_mov_b32 v4, v2
	v_mov_b32_e32 v5, v2
	scratch_store_b128 off, v[2:5], off offset:256
	s_wait_loadcnt 0x0
	ds_store_b128 v138, v[6:9]
.LBB60_359:
	s_wait_xcnt 0x0
	s_or_b32 exec_lo, exec_lo, s2
	s_wait_storecnt_dscnt 0x0
	s_barrier_signal -1
	s_barrier_wait -1
	s_clause 0x9
	scratch_load_b128 v[4:7], off, off offset:272
	scratch_load_b128 v[8:11], off, off offset:288
	;; [unrolled: 1-line block ×10, first 2 shown]
	ds_load_b128 v[168:171], v2 offset:1248
	ds_load_b128 v[176:179], v2 offset:1264
	s_clause 0x2
	scratch_load_b128 v[172:175], off, off offset:432
	scratch_load_b128 v[180:183], off, off offset:256
	;; [unrolled: 1-line block ×3, first 2 shown]
	s_mov_b32 s2, exec_lo
	s_wait_loadcnt_dscnt 0xc01
	v_mul_f64_e32 v[188:189], v[170:171], v[6:7]
	v_mul_f64_e32 v[192:193], v[168:169], v[6:7]
	s_wait_loadcnt_dscnt 0xb00
	v_mul_f64_e32 v[194:195], v[176:177], v[10:11]
	v_mul_f64_e32 v[10:11], v[178:179], v[10:11]
	s_delay_alu instid0(VALU_DEP_4) | instskip(NEXT) | instid1(VALU_DEP_4)
	v_fma_f64 v[196:197], v[168:169], v[4:5], -v[188:189]
	v_fmac_f64_e32 v[192:193], v[170:171], v[4:5]
	ds_load_b128 v[4:7], v2 offset:1280
	ds_load_b128 v[168:171], v2 offset:1296
	scratch_load_b128 v[188:191], off, off offset:464
	v_fmac_f64_e32 v[194:195], v[178:179], v[8:9]
	v_fma_f64 v[176:177], v[176:177], v[8:9], -v[10:11]
	scratch_load_b128 v[8:11], off, off offset:480
	s_wait_loadcnt_dscnt 0xc01
	v_mul_f64_e32 v[198:199], v[4:5], v[14:15]
	v_mul_f64_e32 v[14:15], v[6:7], v[14:15]
	v_add_f64_e32 v[178:179], 0, v[196:197]
	v_add_f64_e32 v[192:193], 0, v[192:193]
	s_wait_loadcnt_dscnt 0xb00
	v_mul_f64_e32 v[196:197], v[168:169], v[142:143]
	v_mul_f64_e32 v[142:143], v[170:171], v[142:143]
	v_fmac_f64_e32 v[198:199], v[6:7], v[12:13]
	v_fma_f64 v[200:201], v[4:5], v[12:13], -v[14:15]
	ds_load_b128 v[4:7], v2 offset:1312
	ds_load_b128 v[12:15], v2 offset:1328
	v_add_f64_e32 v[202:203], v[178:179], v[176:177]
	v_add_f64_e32 v[192:193], v[192:193], v[194:195]
	scratch_load_b128 v[176:179], off, off offset:496
	v_fmac_f64_e32 v[196:197], v[170:171], v[140:141]
	v_fma_f64 v[168:169], v[168:169], v[140:141], -v[142:143]
	scratch_load_b128 v[140:143], off, off offset:512
	s_wait_loadcnt_dscnt 0xc01
	v_mul_f64_e32 v[194:195], v[4:5], v[146:147]
	v_mul_f64_e32 v[146:147], v[6:7], v[146:147]
	v_add_f64_e32 v[170:171], v[202:203], v[200:201]
	v_add_f64_e32 v[192:193], v[192:193], v[198:199]
	s_wait_loadcnt_dscnt 0xb00
	v_mul_f64_e32 v[198:199], v[12:13], v[150:151]
	v_mul_f64_e32 v[150:151], v[14:15], v[150:151]
	v_fmac_f64_e32 v[194:195], v[6:7], v[144:145]
	v_fma_f64 v[200:201], v[4:5], v[144:145], -v[146:147]
	ds_load_b128 v[4:7], v2 offset:1344
	ds_load_b128 v[144:147], v2 offset:1360
	v_add_f64_e32 v[202:203], v[170:171], v[168:169]
	v_add_f64_e32 v[192:193], v[192:193], v[196:197]
	scratch_load_b128 v[168:171], off, off offset:528
	s_wait_loadcnt_dscnt 0xb01
	v_mul_f64_e32 v[196:197], v[4:5], v[154:155]
	v_mul_f64_e32 v[154:155], v[6:7], v[154:155]
	v_fmac_f64_e32 v[198:199], v[14:15], v[148:149]
	v_fma_f64 v[148:149], v[12:13], v[148:149], -v[150:151]
	scratch_load_b128 v[12:15], off, off offset:544
	v_add_f64_e32 v[150:151], v[202:203], v[200:201]
	v_add_f64_e32 v[192:193], v[192:193], v[194:195]
	s_wait_loadcnt_dscnt 0xb00
	v_mul_f64_e32 v[194:195], v[144:145], v[158:159]
	v_mul_f64_e32 v[158:159], v[146:147], v[158:159]
	v_fmac_f64_e32 v[196:197], v[6:7], v[152:153]
	v_fma_f64 v[200:201], v[4:5], v[152:153], -v[154:155]
	v_add_f64_e32 v[202:203], v[150:151], v[148:149]
	v_add_f64_e32 v[192:193], v[192:193], v[198:199]
	ds_load_b128 v[4:7], v2 offset:1376
	ds_load_b128 v[148:151], v2 offset:1392
	scratch_load_b128 v[152:155], off, off offset:560
	v_fmac_f64_e32 v[194:195], v[146:147], v[156:157]
	v_fma_f64 v[156:157], v[144:145], v[156:157], -v[158:159]
	scratch_load_b128 v[144:147], off, off offset:576
	s_wait_loadcnt_dscnt 0xc01
	v_mul_f64_e32 v[198:199], v[4:5], v[162:163]
	v_mul_f64_e32 v[162:163], v[6:7], v[162:163]
	v_add_f64_e32 v[158:159], v[202:203], v[200:201]
	v_add_f64_e32 v[192:193], v[192:193], v[196:197]
	s_wait_loadcnt_dscnt 0xb00
	v_mul_f64_e32 v[196:197], v[148:149], v[166:167]
	v_mul_f64_e32 v[166:167], v[150:151], v[166:167]
	v_fmac_f64_e32 v[198:199], v[6:7], v[160:161]
	v_fma_f64 v[200:201], v[4:5], v[160:161], -v[162:163]
	v_add_f64_e32 v[202:203], v[158:159], v[156:157]
	v_add_f64_e32 v[192:193], v[192:193], v[194:195]
	ds_load_b128 v[4:7], v2 offset:1408
	ds_load_b128 v[156:159], v2 offset:1424
	scratch_load_b128 v[160:163], off, off offset:592
	v_fmac_f64_e32 v[196:197], v[150:151], v[164:165]
	v_fma_f64 v[164:165], v[148:149], v[164:165], -v[166:167]
	scratch_load_b128 v[148:151], off, off offset:608
	s_wait_loadcnt_dscnt 0xc01
	v_mul_f64_e32 v[194:195], v[4:5], v[174:175]
	v_mul_f64_e32 v[174:175], v[6:7], v[174:175]
	;; [unrolled: 18-line block ×5, first 2 shown]
	v_add_f64_e32 v[186:187], v[202:203], v[200:201]
	v_add_f64_e32 v[192:193], v[192:193], v[198:199]
	s_wait_loadcnt_dscnt 0xa00
	v_mul_f64_e32 v[198:199], v[164:165], v[14:15]
	v_mul_f64_e32 v[14:15], v[166:167], v[14:15]
	v_fmac_f64_e32 v[194:195], v[6:7], v[168:169]
	v_fma_f64 v[200:201], v[4:5], v[168:169], -v[170:171]
	ds_load_b128 v[4:7], v2 offset:1536
	ds_load_b128 v[168:171], v2 offset:1552
	v_add_f64_e32 v[202:203], v[186:187], v[184:185]
	v_add_f64_e32 v[192:193], v[192:193], v[196:197]
	scratch_load_b128 v[184:187], off, off offset:720
	v_fmac_f64_e32 v[198:199], v[166:167], v[12:13]
	v_fma_f64 v[164:165], v[164:165], v[12:13], -v[14:15]
	scratch_load_b128 v[12:15], off, off offset:736
	s_wait_loadcnt_dscnt 0xb01
	v_mul_f64_e32 v[196:197], v[4:5], v[154:155]
	v_mul_f64_e32 v[154:155], v[6:7], v[154:155]
	v_add_f64_e32 v[166:167], v[202:203], v[200:201]
	v_add_f64_e32 v[192:193], v[192:193], v[194:195]
	s_wait_loadcnt_dscnt 0xa00
	v_mul_f64_e32 v[194:195], v[168:169], v[146:147]
	v_mul_f64_e32 v[146:147], v[170:171], v[146:147]
	v_fmac_f64_e32 v[196:197], v[6:7], v[152:153]
	v_fma_f64 v[200:201], v[4:5], v[152:153], -v[154:155]
	ds_load_b128 v[4:7], v2 offset:1568
	ds_load_b128 v[152:155], v2 offset:1584
	v_add_f64_e32 v[202:203], v[166:167], v[164:165]
	v_add_f64_e32 v[192:193], v[192:193], v[198:199]
	scratch_load_b128 v[164:167], off, off offset:752
	s_wait_loadcnt_dscnt 0xa01
	v_mul_f64_e32 v[198:199], v[4:5], v[162:163]
	v_mul_f64_e32 v[162:163], v[6:7], v[162:163]
	v_fmac_f64_e32 v[194:195], v[170:171], v[144:145]
	v_fma_f64 v[168:169], v[168:169], v[144:145], -v[146:147]
	scratch_load_b128 v[144:147], off, off offset:768
	v_add_f64_e32 v[170:171], v[202:203], v[200:201]
	v_add_f64_e32 v[192:193], v[192:193], v[196:197]
	s_wait_loadcnt_dscnt 0xa00
	v_mul_f64_e32 v[196:197], v[152:153], v[150:151]
	v_mul_f64_e32 v[150:151], v[154:155], v[150:151]
	v_fmac_f64_e32 v[198:199], v[6:7], v[160:161]
	v_fma_f64 v[200:201], v[4:5], v[160:161], -v[162:163]
	ds_load_b128 v[4:7], v2 offset:1600
	ds_load_b128 v[160:163], v2 offset:1616
	v_add_f64_e32 v[202:203], v[170:171], v[168:169]
	v_add_f64_e32 v[192:193], v[192:193], v[194:195]
	scratch_load_b128 v[168:171], off, off offset:784
	s_wait_loadcnt_dscnt 0xa01
	v_mul_f64_e32 v[194:195], v[4:5], v[174:175]
	v_mul_f64_e32 v[174:175], v[6:7], v[174:175]
	v_fmac_f64_e32 v[196:197], v[154:155], v[148:149]
	v_fma_f64 v[152:153], v[152:153], v[148:149], -v[150:151]
	scratch_load_b128 v[148:151], off, off offset:800
	v_add_f64_e32 v[154:155], v[202:203], v[200:201]
	v_add_f64_e32 v[192:193], v[192:193], v[198:199]
	s_wait_loadcnt_dscnt 0xa00
	v_mul_f64_e32 v[198:199], v[160:161], v[158:159]
	v_mul_f64_e32 v[158:159], v[162:163], v[158:159]
	v_fmac_f64_e32 v[194:195], v[6:7], v[172:173]
	v_fma_f64 v[200:201], v[4:5], v[172:173], -v[174:175]
	v_add_f64_e32 v[202:203], v[154:155], v[152:153]
	v_add_f64_e32 v[192:193], v[192:193], v[196:197]
	ds_load_b128 v[4:7], v2 offset:1632
	ds_load_b128 v[152:155], v2 offset:1648
	scratch_load_b128 v[172:175], off, off offset:816
	v_fmac_f64_e32 v[198:199], v[162:163], v[156:157]
	v_fma_f64 v[160:161], v[160:161], v[156:157], -v[158:159]
	scratch_load_b128 v[156:159], off, off offset:832
	s_wait_loadcnt_dscnt 0xb01
	v_mul_f64_e32 v[196:197], v[4:5], v[190:191]
	v_mul_f64_e32 v[190:191], v[6:7], v[190:191]
	v_add_f64_e32 v[162:163], v[202:203], v[200:201]
	v_add_f64_e32 v[192:193], v[192:193], v[194:195]
	s_wait_loadcnt_dscnt 0xa00
	v_mul_f64_e32 v[194:195], v[152:153], v[10:11]
	v_mul_f64_e32 v[10:11], v[154:155], v[10:11]
	v_fmac_f64_e32 v[196:197], v[6:7], v[188:189]
	v_fma_f64 v[200:201], v[4:5], v[188:189], -v[190:191]
	v_add_f64_e32 v[202:203], v[162:163], v[160:161]
	v_add_f64_e32 v[192:193], v[192:193], v[198:199]
	ds_load_b128 v[4:7], v2 offset:1664
	ds_load_b128 v[160:163], v2 offset:1680
	scratch_load_b128 v[188:191], off, off offset:848
	v_fmac_f64_e32 v[194:195], v[154:155], v[8:9]
	v_fma_f64 v[152:153], v[152:153], v[8:9], -v[10:11]
	scratch_load_b128 v[8:11], off, off offset:864
	s_wait_loadcnt_dscnt 0xb01
	v_mul_f64_e32 v[198:199], v[4:5], v[178:179]
	v_mul_f64_e32 v[178:179], v[6:7], v[178:179]
	;; [unrolled: 18-line block ×5, first 2 shown]
	v_add_f64_e32 v[162:163], v[202:203], v[200:201]
	v_add_f64_e32 v[192:193], v[192:193], v[196:197]
	s_wait_loadcnt_dscnt 0xa00
	v_mul_f64_e32 v[196:197], v[152:153], v[150:151]
	v_mul_f64_e32 v[150:151], v[154:155], v[150:151]
	v_fmac_f64_e32 v[198:199], v[6:7], v[168:169]
	v_fma_f64 v[168:169], v[4:5], v[168:169], -v[170:171]
	v_add_f64_e32 v[170:171], v[162:163], v[160:161]
	v_add_f64_e32 v[192:193], v[192:193], v[194:195]
	ds_load_b128 v[4:7], v2 offset:1792
	ds_load_b128 v[160:163], v2 offset:1808
	v_fmac_f64_e32 v[196:197], v[154:155], v[148:149]
	v_fma_f64 v[148:149], v[152:153], v[148:149], -v[150:151]
	s_wait_loadcnt_dscnt 0x901
	v_mul_f64_e32 v[194:195], v[4:5], v[174:175]
	v_mul_f64_e32 v[174:175], v[6:7], v[174:175]
	s_wait_loadcnt_dscnt 0x800
	v_mul_f64_e32 v[154:155], v[160:161], v[158:159]
	v_mul_f64_e32 v[158:159], v[162:163], v[158:159]
	v_add_f64_e32 v[150:151], v[170:171], v[168:169]
	v_add_f64_e32 v[152:153], v[192:193], v[198:199]
	v_fmac_f64_e32 v[194:195], v[6:7], v[172:173]
	v_fma_f64 v[168:169], v[4:5], v[172:173], -v[174:175]
	v_fmac_f64_e32 v[154:155], v[162:163], v[156:157]
	v_fma_f64 v[156:157], v[160:161], v[156:157], -v[158:159]
	v_add_f64_e32 v[170:171], v[150:151], v[148:149]
	v_add_f64_e32 v[152:153], v[152:153], v[196:197]
	ds_load_b128 v[4:7], v2 offset:1824
	ds_load_b128 v[148:151], v2 offset:1840
	s_wait_loadcnt_dscnt 0x701
	v_mul_f64_e32 v[172:173], v[4:5], v[190:191]
	v_mul_f64_e32 v[174:175], v[6:7], v[190:191]
	s_wait_loadcnt_dscnt 0x600
	v_mul_f64_e32 v[160:161], v[148:149], v[10:11]
	v_mul_f64_e32 v[10:11], v[150:151], v[10:11]
	v_add_f64_e32 v[158:159], v[170:171], v[168:169]
	v_add_f64_e32 v[152:153], v[152:153], v[194:195]
	v_fmac_f64_e32 v[172:173], v[6:7], v[188:189]
	v_fma_f64 v[162:163], v[4:5], v[188:189], -v[174:175]
	v_fmac_f64_e32 v[160:161], v[150:151], v[8:9]
	v_fma_f64 v[8:9], v[148:149], v[8:9], -v[10:11]
	v_add_f64_e32 v[156:157], v[158:159], v[156:157]
	v_add_f64_e32 v[158:159], v[152:153], v[154:155]
	ds_load_b128 v[4:7], v2 offset:1856
	ds_load_b128 v[152:155], v2 offset:1872
	;; [unrolled: 16-line block ×4, first 2 shown]
	s_wait_loadcnt_dscnt 0x101
	v_mul_f64_e32 v[2:3], v[4:5], v[166:167]
	v_mul_f64_e32 v[150:151], v[6:7], v[166:167]
	s_wait_loadcnt_dscnt 0x0
	v_mul_f64_e32 v[14:15], v[140:141], v[146:147]
	v_mul_f64_e32 v[146:147], v[142:143], v[146:147]
	v_add_f64_e32 v[10:11], v[156:157], v[154:155]
	v_add_f64_e32 v[12:13], v[148:149], v[160:161]
	v_fmac_f64_e32 v[2:3], v[6:7], v[164:165]
	v_fma_f64 v[4:5], v[4:5], v[164:165], -v[150:151]
	v_fmac_f64_e32 v[14:15], v[142:143], v[144:145]
	v_add_f64_e32 v[6:7], v[10:11], v[8:9]
	v_add_f64_e32 v[8:9], v[12:13], v[152:153]
	v_fma_f64 v[10:11], v[140:141], v[144:145], -v[146:147]
	s_delay_alu instid0(VALU_DEP_3) | instskip(NEXT) | instid1(VALU_DEP_3)
	v_add_f64_e32 v[4:5], v[6:7], v[4:5]
	v_add_f64_e32 v[2:3], v[8:9], v[2:3]
	s_delay_alu instid0(VALU_DEP_2) | instskip(NEXT) | instid1(VALU_DEP_2)
	v_add_f64_e32 v[4:5], v[4:5], v[10:11]
	v_add_f64_e32 v[6:7], v[2:3], v[14:15]
	s_delay_alu instid0(VALU_DEP_2) | instskip(NEXT) | instid1(VALU_DEP_2)
	v_add_f64_e64 v[2:3], v[180:181], -v[4:5]
	v_add_f64_e64 v[4:5], v[182:183], -v[6:7]
	scratch_store_b128 off, v[2:5], off offset:256
	s_wait_xcnt 0x0
	v_cmpx_lt_u32_e32 15, v1
	s_cbranch_execz .LBB60_361
; %bb.360:
	scratch_load_b128 v[2:5], off, s56
	v_mov_b32_e32 v6, 0
	s_delay_alu instid0(VALU_DEP_1)
	v_dual_mov_b32 v7, v6 :: v_dual_mov_b32 v8, v6
	v_mov_b32_e32 v9, v6
	scratch_store_b128 off, v[6:9], off offset:240
	s_wait_loadcnt 0x0
	ds_store_b128 v138, v[2:5]
.LBB60_361:
	s_wait_xcnt 0x0
	s_or_b32 exec_lo, exec_lo, s2
	s_wait_storecnt_dscnt 0x0
	s_barrier_signal -1
	s_barrier_wait -1
	s_clause 0x9
	scratch_load_b128 v[4:7], off, off offset:256
	scratch_load_b128 v[8:11], off, off offset:272
	;; [unrolled: 1-line block ×10, first 2 shown]
	v_mov_b32_e32 v2, 0
	s_mov_b32 s2, exec_lo
	ds_load_b128 v[168:171], v2 offset:1232
	s_clause 0x2
	scratch_load_b128 v[172:175], off, off offset:416
	scratch_load_b128 v[176:179], off, off offset:240
	;; [unrolled: 1-line block ×3, first 2 shown]
	s_wait_loadcnt_dscnt 0xc00
	v_mul_f64_e32 v[188:189], v[170:171], v[6:7]
	v_mul_f64_e32 v[192:193], v[168:169], v[6:7]
	ds_load_b128 v[180:183], v2 offset:1248
	v_fma_f64 v[196:197], v[168:169], v[4:5], -v[188:189]
	v_fmac_f64_e32 v[192:193], v[170:171], v[4:5]
	ds_load_b128 v[4:7], v2 offset:1264
	s_wait_loadcnt_dscnt 0xb01
	v_mul_f64_e32 v[194:195], v[180:181], v[10:11]
	v_mul_f64_e32 v[10:11], v[182:183], v[10:11]
	scratch_load_b128 v[168:171], off, off offset:448
	ds_load_b128 v[188:191], v2 offset:1280
	s_wait_loadcnt_dscnt 0xb01
	v_mul_f64_e32 v[198:199], v[4:5], v[14:15]
	v_mul_f64_e32 v[14:15], v[6:7], v[14:15]
	v_add_f64_e32 v[192:193], 0, v[192:193]
	v_fmac_f64_e32 v[194:195], v[182:183], v[8:9]
	v_fma_f64 v[180:181], v[180:181], v[8:9], -v[10:11]
	v_add_f64_e32 v[182:183], 0, v[196:197]
	scratch_load_b128 v[8:11], off, off offset:464
	v_fmac_f64_e32 v[198:199], v[6:7], v[12:13]
	v_fma_f64 v[200:201], v[4:5], v[12:13], -v[14:15]
	ds_load_b128 v[4:7], v2 offset:1296
	s_wait_loadcnt_dscnt 0xb01
	v_mul_f64_e32 v[196:197], v[188:189], v[142:143]
	v_mul_f64_e32 v[142:143], v[190:191], v[142:143]
	scratch_load_b128 v[12:15], off, off offset:480
	v_add_f64_e32 v[192:193], v[192:193], v[194:195]
	v_add_f64_e32 v[202:203], v[182:183], v[180:181]
	ds_load_b128 v[180:183], v2 offset:1312
	s_wait_loadcnt_dscnt 0xb01
	v_mul_f64_e32 v[194:195], v[4:5], v[146:147]
	v_mul_f64_e32 v[146:147], v[6:7], v[146:147]
	v_fmac_f64_e32 v[196:197], v[190:191], v[140:141]
	v_fma_f64 v[188:189], v[188:189], v[140:141], -v[142:143]
	scratch_load_b128 v[140:143], off, off offset:496
	v_add_f64_e32 v[192:193], v[192:193], v[198:199]
	v_add_f64_e32 v[190:191], v[202:203], v[200:201]
	v_fmac_f64_e32 v[194:195], v[6:7], v[144:145]
	v_fma_f64 v[200:201], v[4:5], v[144:145], -v[146:147]
	ds_load_b128 v[4:7], v2 offset:1328
	s_wait_loadcnt_dscnt 0xb01
	v_mul_f64_e32 v[198:199], v[180:181], v[150:151]
	v_mul_f64_e32 v[150:151], v[182:183], v[150:151]
	scratch_load_b128 v[144:147], off, off offset:512
	v_add_f64_e32 v[192:193], v[192:193], v[196:197]
	s_wait_loadcnt_dscnt 0xb00
	v_mul_f64_e32 v[196:197], v[4:5], v[154:155]
	v_add_f64_e32 v[202:203], v[190:191], v[188:189]
	v_mul_f64_e32 v[154:155], v[6:7], v[154:155]
	ds_load_b128 v[188:191], v2 offset:1344
	v_fmac_f64_e32 v[198:199], v[182:183], v[148:149]
	v_fma_f64 v[180:181], v[180:181], v[148:149], -v[150:151]
	scratch_load_b128 v[148:151], off, off offset:528
	v_add_f64_e32 v[192:193], v[192:193], v[194:195]
	v_fmac_f64_e32 v[196:197], v[6:7], v[152:153]
	v_add_f64_e32 v[182:183], v[202:203], v[200:201]
	v_fma_f64 v[200:201], v[4:5], v[152:153], -v[154:155]
	ds_load_b128 v[4:7], v2 offset:1360
	s_wait_loadcnt_dscnt 0xb01
	v_mul_f64_e32 v[194:195], v[188:189], v[158:159]
	v_mul_f64_e32 v[158:159], v[190:191], v[158:159]
	scratch_load_b128 v[152:155], off, off offset:544
	v_add_f64_e32 v[192:193], v[192:193], v[198:199]
	s_wait_loadcnt_dscnt 0xb00
	v_mul_f64_e32 v[198:199], v[4:5], v[162:163]
	v_add_f64_e32 v[202:203], v[182:183], v[180:181]
	v_mul_f64_e32 v[162:163], v[6:7], v[162:163]
	ds_load_b128 v[180:183], v2 offset:1376
	v_fmac_f64_e32 v[194:195], v[190:191], v[156:157]
	v_fma_f64 v[188:189], v[188:189], v[156:157], -v[158:159]
	scratch_load_b128 v[156:159], off, off offset:560
	v_add_f64_e32 v[192:193], v[192:193], v[196:197]
	v_fmac_f64_e32 v[198:199], v[6:7], v[160:161]
	v_add_f64_e32 v[190:191], v[202:203], v[200:201]
	v_fma_f64 v[200:201], v[4:5], v[160:161], -v[162:163]
	ds_load_b128 v[4:7], v2 offset:1392
	s_wait_loadcnt_dscnt 0xb01
	v_mul_f64_e32 v[196:197], v[180:181], v[166:167]
	v_mul_f64_e32 v[166:167], v[182:183], v[166:167]
	scratch_load_b128 v[160:163], off, off offset:576
	v_add_f64_e32 v[192:193], v[192:193], v[194:195]
	s_wait_loadcnt_dscnt 0xb00
	v_mul_f64_e32 v[194:195], v[4:5], v[174:175]
	v_add_f64_e32 v[202:203], v[190:191], v[188:189]
	v_mul_f64_e32 v[174:175], v[6:7], v[174:175]
	ds_load_b128 v[188:191], v2 offset:1408
	v_fmac_f64_e32 v[196:197], v[182:183], v[164:165]
	v_fma_f64 v[180:181], v[180:181], v[164:165], -v[166:167]
	scratch_load_b128 v[164:167], off, off offset:592
	v_add_f64_e32 v[192:193], v[192:193], v[198:199]
	v_fmac_f64_e32 v[194:195], v[6:7], v[172:173]
	v_add_f64_e32 v[182:183], v[202:203], v[200:201]
	v_fma_f64 v[200:201], v[4:5], v[172:173], -v[174:175]
	ds_load_b128 v[4:7], v2 offset:1424
	s_wait_loadcnt_dscnt 0xa01
	v_mul_f64_e32 v[198:199], v[188:189], v[186:187]
	v_mul_f64_e32 v[186:187], v[190:191], v[186:187]
	scratch_load_b128 v[172:175], off, off offset:608
	v_add_f64_e32 v[192:193], v[192:193], v[196:197]
	v_add_f64_e32 v[202:203], v[182:183], v[180:181]
	s_wait_loadcnt_dscnt 0xa00
	v_mul_f64_e32 v[196:197], v[4:5], v[170:171]
	v_mul_f64_e32 v[170:171], v[6:7], v[170:171]
	v_fmac_f64_e32 v[198:199], v[190:191], v[184:185]
	v_fma_f64 v[188:189], v[188:189], v[184:185], -v[186:187]
	ds_load_b128 v[180:183], v2 offset:1440
	scratch_load_b128 v[184:187], off, off offset:624
	v_add_f64_e32 v[192:193], v[192:193], v[194:195]
	v_add_f64_e32 v[190:191], v[202:203], v[200:201]
	v_fmac_f64_e32 v[196:197], v[6:7], v[168:169]
	v_fma_f64 v[200:201], v[4:5], v[168:169], -v[170:171]
	ds_load_b128 v[4:7], v2 offset:1456
	s_wait_loadcnt_dscnt 0xa01
	v_mul_f64_e32 v[194:195], v[180:181], v[10:11]
	v_mul_f64_e32 v[10:11], v[182:183], v[10:11]
	scratch_load_b128 v[168:171], off, off offset:640
	v_add_f64_e32 v[192:193], v[192:193], v[198:199]
	s_wait_loadcnt_dscnt 0xa00
	v_mul_f64_e32 v[198:199], v[4:5], v[14:15]
	v_add_f64_e32 v[202:203], v[190:191], v[188:189]
	v_mul_f64_e32 v[14:15], v[6:7], v[14:15]
	ds_load_b128 v[188:191], v2 offset:1472
	v_fmac_f64_e32 v[194:195], v[182:183], v[8:9]
	v_fma_f64 v[180:181], v[180:181], v[8:9], -v[10:11]
	scratch_load_b128 v[8:11], off, off offset:656
	v_add_f64_e32 v[192:193], v[192:193], v[196:197]
	v_fmac_f64_e32 v[198:199], v[6:7], v[12:13]
	v_add_f64_e32 v[182:183], v[202:203], v[200:201]
	v_fma_f64 v[200:201], v[4:5], v[12:13], -v[14:15]
	ds_load_b128 v[4:7], v2 offset:1488
	s_wait_loadcnt_dscnt 0xa01
	v_mul_f64_e32 v[196:197], v[188:189], v[142:143]
	v_mul_f64_e32 v[142:143], v[190:191], v[142:143]
	scratch_load_b128 v[12:15], off, off offset:672
	v_add_f64_e32 v[192:193], v[192:193], v[194:195]
	s_wait_loadcnt_dscnt 0xa00
	v_mul_f64_e32 v[194:195], v[4:5], v[146:147]
	v_add_f64_e32 v[202:203], v[182:183], v[180:181]
	v_mul_f64_e32 v[146:147], v[6:7], v[146:147]
	ds_load_b128 v[180:183], v2 offset:1504
	v_fmac_f64_e32 v[196:197], v[190:191], v[140:141]
	v_fma_f64 v[188:189], v[188:189], v[140:141], -v[142:143]
	scratch_load_b128 v[140:143], off, off offset:688
	v_add_f64_e32 v[192:193], v[192:193], v[198:199]
	v_fmac_f64_e32 v[194:195], v[6:7], v[144:145]
	v_add_f64_e32 v[190:191], v[202:203], v[200:201]
	;; [unrolled: 18-line block ×10, first 2 shown]
	v_fma_f64 v[200:201], v[4:5], v[160:161], -v[162:163]
	ds_load_b128 v[4:7], v2 offset:1776
	s_wait_loadcnt_dscnt 0xa01
	v_mul_f64_e32 v[196:197], v[180:181], v[166:167]
	v_mul_f64_e32 v[166:167], v[182:183], v[166:167]
	scratch_load_b128 v[160:163], off, off offset:960
	v_add_f64_e32 v[192:193], v[192:193], v[194:195]
	s_wait_loadcnt_dscnt 0xa00
	v_mul_f64_e32 v[194:195], v[4:5], v[174:175]
	v_add_f64_e32 v[202:203], v[190:191], v[188:189]
	v_mul_f64_e32 v[174:175], v[6:7], v[174:175]
	ds_load_b128 v[188:191], v2 offset:1792
	v_fmac_f64_e32 v[196:197], v[182:183], v[164:165]
	v_fma_f64 v[164:165], v[180:181], v[164:165], -v[166:167]
	s_wait_loadcnt_dscnt 0x900
	v_mul_f64_e32 v[182:183], v[188:189], v[186:187]
	v_mul_f64_e32 v[186:187], v[190:191], v[186:187]
	v_add_f64_e32 v[180:181], v[192:193], v[198:199]
	v_fmac_f64_e32 v[194:195], v[6:7], v[172:173]
	v_add_f64_e32 v[166:167], v[202:203], v[200:201]
	v_fma_f64 v[172:173], v[4:5], v[172:173], -v[174:175]
	v_fmac_f64_e32 v[182:183], v[190:191], v[184:185]
	v_fma_f64 v[184:185], v[188:189], v[184:185], -v[186:187]
	v_add_f64_e32 v[180:181], v[180:181], v[196:197]
	v_add_f64_e32 v[174:175], v[166:167], v[164:165]
	ds_load_b128 v[4:7], v2 offset:1808
	ds_load_b128 v[164:167], v2 offset:1824
	s_wait_loadcnt_dscnt 0x801
	v_mul_f64_e32 v[192:193], v[4:5], v[170:171]
	v_mul_f64_e32 v[170:171], v[6:7], v[170:171]
	v_add_f64_e32 v[172:173], v[174:175], v[172:173]
	v_add_f64_e32 v[174:175], v[180:181], v[194:195]
	s_wait_loadcnt_dscnt 0x700
	v_mul_f64_e32 v[180:181], v[164:165], v[10:11]
	v_mul_f64_e32 v[10:11], v[166:167], v[10:11]
	v_fmac_f64_e32 v[192:193], v[6:7], v[168:169]
	v_fma_f64 v[186:187], v[4:5], v[168:169], -v[170:171]
	ds_load_b128 v[4:7], v2 offset:1840
	ds_load_b128 v[168:171], v2 offset:1856
	v_add_f64_e32 v[172:173], v[172:173], v[184:185]
	v_add_f64_e32 v[174:175], v[174:175], v[182:183]
	v_fmac_f64_e32 v[180:181], v[166:167], v[8:9]
	v_fma_f64 v[8:9], v[164:165], v[8:9], -v[10:11]
	s_wait_loadcnt_dscnt 0x601
	v_mul_f64_e32 v[182:183], v[4:5], v[14:15]
	v_mul_f64_e32 v[14:15], v[6:7], v[14:15]
	s_wait_loadcnt_dscnt 0x500
	v_mul_f64_e32 v[166:167], v[168:169], v[142:143]
	v_mul_f64_e32 v[142:143], v[170:171], v[142:143]
	v_add_f64_e32 v[10:11], v[172:173], v[186:187]
	v_add_f64_e32 v[164:165], v[174:175], v[192:193]
	v_fmac_f64_e32 v[182:183], v[6:7], v[12:13]
	v_fma_f64 v[12:13], v[4:5], v[12:13], -v[14:15]
	v_fmac_f64_e32 v[166:167], v[170:171], v[140:141]
	v_fma_f64 v[140:141], v[168:169], v[140:141], -v[142:143]
	v_add_f64_e32 v[14:15], v[10:11], v[8:9]
	v_add_f64_e32 v[164:165], v[164:165], v[180:181]
	ds_load_b128 v[4:7], v2 offset:1872
	ds_load_b128 v[8:11], v2 offset:1888
	s_wait_loadcnt_dscnt 0x401
	v_mul_f64_e32 v[172:173], v[4:5], v[146:147]
	v_mul_f64_e32 v[146:147], v[6:7], v[146:147]
	s_wait_loadcnt_dscnt 0x300
	v_mul_f64_e32 v[142:143], v[8:9], v[150:151]
	v_mul_f64_e32 v[150:151], v[10:11], v[150:151]
	v_add_f64_e32 v[12:13], v[14:15], v[12:13]
	v_add_f64_e32 v[14:15], v[164:165], v[182:183]
	v_fmac_f64_e32 v[172:173], v[6:7], v[144:145]
	v_fma_f64 v[144:145], v[4:5], v[144:145], -v[146:147]
	v_fmac_f64_e32 v[142:143], v[10:11], v[148:149]
	v_fma_f64 v[8:9], v[8:9], v[148:149], -v[150:151]
	v_add_f64_e32 v[140:141], v[12:13], v[140:141]
	v_add_f64_e32 v[146:147], v[14:15], v[166:167]
	ds_load_b128 v[4:7], v2 offset:1904
	ds_load_b128 v[12:15], v2 offset:1920
	s_wait_loadcnt_dscnt 0x201
	v_mul_f64_e32 v[164:165], v[4:5], v[154:155]
	v_mul_f64_e32 v[154:155], v[6:7], v[154:155]
	v_add_f64_e32 v[10:11], v[140:141], v[144:145]
	v_add_f64_e32 v[140:141], v[146:147], v[172:173]
	s_wait_loadcnt_dscnt 0x100
	v_mul_f64_e32 v[144:145], v[12:13], v[158:159]
	v_mul_f64_e32 v[146:147], v[14:15], v[158:159]
	v_fmac_f64_e32 v[164:165], v[6:7], v[152:153]
	v_fma_f64 v[148:149], v[4:5], v[152:153], -v[154:155]
	ds_load_b128 v[4:7], v2 offset:1936
	v_add_f64_e32 v[8:9], v[10:11], v[8:9]
	v_add_f64_e32 v[10:11], v[140:141], v[142:143]
	v_fmac_f64_e32 v[144:145], v[14:15], v[156:157]
	v_fma_f64 v[12:13], v[12:13], v[156:157], -v[146:147]
	s_wait_loadcnt_dscnt 0x0
	v_mul_f64_e32 v[140:141], v[4:5], v[162:163]
	v_mul_f64_e32 v[142:143], v[6:7], v[162:163]
	v_add_f64_e32 v[8:9], v[8:9], v[148:149]
	v_add_f64_e32 v[10:11], v[10:11], v[164:165]
	s_delay_alu instid0(VALU_DEP_4) | instskip(NEXT) | instid1(VALU_DEP_4)
	v_fmac_f64_e32 v[140:141], v[6:7], v[160:161]
	v_fma_f64 v[4:5], v[4:5], v[160:161], -v[142:143]
	s_delay_alu instid0(VALU_DEP_4) | instskip(NEXT) | instid1(VALU_DEP_4)
	v_add_f64_e32 v[6:7], v[8:9], v[12:13]
	v_add_f64_e32 v[8:9], v[10:11], v[144:145]
	s_delay_alu instid0(VALU_DEP_2) | instskip(NEXT) | instid1(VALU_DEP_2)
	v_add_f64_e32 v[4:5], v[6:7], v[4:5]
	v_add_f64_e32 v[6:7], v[8:9], v[140:141]
	s_delay_alu instid0(VALU_DEP_2) | instskip(NEXT) | instid1(VALU_DEP_2)
	v_add_f64_e64 v[4:5], v[176:177], -v[4:5]
	v_add_f64_e64 v[6:7], v[178:179], -v[6:7]
	scratch_store_b128 off, v[4:7], off offset:240
	s_wait_xcnt 0x0
	v_cmpx_lt_u32_e32 14, v1
	s_cbranch_execz .LBB60_363
; %bb.362:
	scratch_load_b128 v[6:9], off, s65
	v_dual_mov_b32 v3, v2 :: v_dual_mov_b32 v4, v2
	v_mov_b32_e32 v5, v2
	scratch_store_b128 off, v[2:5], off offset:224
	s_wait_loadcnt 0x0
	ds_store_b128 v138, v[6:9]
.LBB60_363:
	s_wait_xcnt 0x0
	s_or_b32 exec_lo, exec_lo, s2
	s_wait_storecnt_dscnt 0x0
	s_barrier_signal -1
	s_barrier_wait -1
	s_clause 0x9
	scratch_load_b128 v[4:7], off, off offset:240
	scratch_load_b128 v[8:11], off, off offset:256
	;; [unrolled: 1-line block ×10, first 2 shown]
	ds_load_b128 v[168:171], v2 offset:1216
	ds_load_b128 v[176:179], v2 offset:1232
	s_clause 0x2
	scratch_load_b128 v[172:175], off, off offset:400
	scratch_load_b128 v[180:183], off, off offset:224
	;; [unrolled: 1-line block ×3, first 2 shown]
	s_mov_b32 s2, exec_lo
	s_wait_loadcnt_dscnt 0xc01
	v_mul_f64_e32 v[188:189], v[170:171], v[6:7]
	v_mul_f64_e32 v[192:193], v[168:169], v[6:7]
	s_wait_loadcnt_dscnt 0xb00
	v_mul_f64_e32 v[194:195], v[176:177], v[10:11]
	v_mul_f64_e32 v[10:11], v[178:179], v[10:11]
	s_delay_alu instid0(VALU_DEP_4) | instskip(NEXT) | instid1(VALU_DEP_4)
	v_fma_f64 v[196:197], v[168:169], v[4:5], -v[188:189]
	v_fmac_f64_e32 v[192:193], v[170:171], v[4:5]
	ds_load_b128 v[4:7], v2 offset:1248
	ds_load_b128 v[168:171], v2 offset:1264
	scratch_load_b128 v[188:191], off, off offset:432
	v_fmac_f64_e32 v[194:195], v[178:179], v[8:9]
	v_fma_f64 v[176:177], v[176:177], v[8:9], -v[10:11]
	scratch_load_b128 v[8:11], off, off offset:448
	s_wait_loadcnt_dscnt 0xc01
	v_mul_f64_e32 v[198:199], v[4:5], v[14:15]
	v_mul_f64_e32 v[14:15], v[6:7], v[14:15]
	v_add_f64_e32 v[178:179], 0, v[196:197]
	v_add_f64_e32 v[192:193], 0, v[192:193]
	s_wait_loadcnt_dscnt 0xb00
	v_mul_f64_e32 v[196:197], v[168:169], v[142:143]
	v_mul_f64_e32 v[142:143], v[170:171], v[142:143]
	v_fmac_f64_e32 v[198:199], v[6:7], v[12:13]
	v_fma_f64 v[200:201], v[4:5], v[12:13], -v[14:15]
	ds_load_b128 v[4:7], v2 offset:1280
	ds_load_b128 v[12:15], v2 offset:1296
	v_add_f64_e32 v[202:203], v[178:179], v[176:177]
	v_add_f64_e32 v[192:193], v[192:193], v[194:195]
	scratch_load_b128 v[176:179], off, off offset:464
	v_fmac_f64_e32 v[196:197], v[170:171], v[140:141]
	v_fma_f64 v[168:169], v[168:169], v[140:141], -v[142:143]
	scratch_load_b128 v[140:143], off, off offset:480
	s_wait_loadcnt_dscnt 0xc01
	v_mul_f64_e32 v[194:195], v[4:5], v[146:147]
	v_mul_f64_e32 v[146:147], v[6:7], v[146:147]
	v_add_f64_e32 v[170:171], v[202:203], v[200:201]
	v_add_f64_e32 v[192:193], v[192:193], v[198:199]
	s_wait_loadcnt_dscnt 0xb00
	v_mul_f64_e32 v[198:199], v[12:13], v[150:151]
	v_mul_f64_e32 v[150:151], v[14:15], v[150:151]
	v_fmac_f64_e32 v[194:195], v[6:7], v[144:145]
	v_fma_f64 v[200:201], v[4:5], v[144:145], -v[146:147]
	ds_load_b128 v[4:7], v2 offset:1312
	ds_load_b128 v[144:147], v2 offset:1328
	v_add_f64_e32 v[202:203], v[170:171], v[168:169]
	v_add_f64_e32 v[192:193], v[192:193], v[196:197]
	scratch_load_b128 v[168:171], off, off offset:496
	s_wait_loadcnt_dscnt 0xb01
	v_mul_f64_e32 v[196:197], v[4:5], v[154:155]
	v_mul_f64_e32 v[154:155], v[6:7], v[154:155]
	v_fmac_f64_e32 v[198:199], v[14:15], v[148:149]
	v_fma_f64 v[148:149], v[12:13], v[148:149], -v[150:151]
	scratch_load_b128 v[12:15], off, off offset:512
	v_add_f64_e32 v[150:151], v[202:203], v[200:201]
	v_add_f64_e32 v[192:193], v[192:193], v[194:195]
	s_wait_loadcnt_dscnt 0xb00
	v_mul_f64_e32 v[194:195], v[144:145], v[158:159]
	v_mul_f64_e32 v[158:159], v[146:147], v[158:159]
	v_fmac_f64_e32 v[196:197], v[6:7], v[152:153]
	v_fma_f64 v[200:201], v[4:5], v[152:153], -v[154:155]
	v_add_f64_e32 v[202:203], v[150:151], v[148:149]
	v_add_f64_e32 v[192:193], v[192:193], v[198:199]
	ds_load_b128 v[4:7], v2 offset:1344
	ds_load_b128 v[148:151], v2 offset:1360
	scratch_load_b128 v[152:155], off, off offset:528
	v_fmac_f64_e32 v[194:195], v[146:147], v[156:157]
	v_fma_f64 v[156:157], v[144:145], v[156:157], -v[158:159]
	scratch_load_b128 v[144:147], off, off offset:544
	s_wait_loadcnt_dscnt 0xc01
	v_mul_f64_e32 v[198:199], v[4:5], v[162:163]
	v_mul_f64_e32 v[162:163], v[6:7], v[162:163]
	v_add_f64_e32 v[158:159], v[202:203], v[200:201]
	v_add_f64_e32 v[192:193], v[192:193], v[196:197]
	s_wait_loadcnt_dscnt 0xb00
	v_mul_f64_e32 v[196:197], v[148:149], v[166:167]
	v_mul_f64_e32 v[166:167], v[150:151], v[166:167]
	v_fmac_f64_e32 v[198:199], v[6:7], v[160:161]
	v_fma_f64 v[200:201], v[4:5], v[160:161], -v[162:163]
	v_add_f64_e32 v[202:203], v[158:159], v[156:157]
	v_add_f64_e32 v[192:193], v[192:193], v[194:195]
	ds_load_b128 v[4:7], v2 offset:1376
	ds_load_b128 v[156:159], v2 offset:1392
	scratch_load_b128 v[160:163], off, off offset:560
	v_fmac_f64_e32 v[196:197], v[150:151], v[164:165]
	v_fma_f64 v[164:165], v[148:149], v[164:165], -v[166:167]
	scratch_load_b128 v[148:151], off, off offset:576
	s_wait_loadcnt_dscnt 0xc01
	v_mul_f64_e32 v[194:195], v[4:5], v[174:175]
	v_mul_f64_e32 v[174:175], v[6:7], v[174:175]
	;; [unrolled: 18-line block ×5, first 2 shown]
	v_add_f64_e32 v[186:187], v[202:203], v[200:201]
	v_add_f64_e32 v[192:193], v[192:193], v[198:199]
	s_wait_loadcnt_dscnt 0xa00
	v_mul_f64_e32 v[198:199], v[164:165], v[14:15]
	v_mul_f64_e32 v[14:15], v[166:167], v[14:15]
	v_fmac_f64_e32 v[194:195], v[6:7], v[168:169]
	v_fma_f64 v[200:201], v[4:5], v[168:169], -v[170:171]
	ds_load_b128 v[4:7], v2 offset:1504
	ds_load_b128 v[168:171], v2 offset:1520
	v_add_f64_e32 v[202:203], v[186:187], v[184:185]
	v_add_f64_e32 v[192:193], v[192:193], v[196:197]
	scratch_load_b128 v[184:187], off, off offset:688
	v_fmac_f64_e32 v[198:199], v[166:167], v[12:13]
	v_fma_f64 v[164:165], v[164:165], v[12:13], -v[14:15]
	scratch_load_b128 v[12:15], off, off offset:704
	s_wait_loadcnt_dscnt 0xb01
	v_mul_f64_e32 v[196:197], v[4:5], v[154:155]
	v_mul_f64_e32 v[154:155], v[6:7], v[154:155]
	v_add_f64_e32 v[166:167], v[202:203], v[200:201]
	v_add_f64_e32 v[192:193], v[192:193], v[194:195]
	s_wait_loadcnt_dscnt 0xa00
	v_mul_f64_e32 v[194:195], v[168:169], v[146:147]
	v_mul_f64_e32 v[146:147], v[170:171], v[146:147]
	v_fmac_f64_e32 v[196:197], v[6:7], v[152:153]
	v_fma_f64 v[200:201], v[4:5], v[152:153], -v[154:155]
	ds_load_b128 v[4:7], v2 offset:1536
	ds_load_b128 v[152:155], v2 offset:1552
	v_add_f64_e32 v[202:203], v[166:167], v[164:165]
	v_add_f64_e32 v[192:193], v[192:193], v[198:199]
	scratch_load_b128 v[164:167], off, off offset:720
	s_wait_loadcnt_dscnt 0xa01
	v_mul_f64_e32 v[198:199], v[4:5], v[162:163]
	v_mul_f64_e32 v[162:163], v[6:7], v[162:163]
	v_fmac_f64_e32 v[194:195], v[170:171], v[144:145]
	v_fma_f64 v[168:169], v[168:169], v[144:145], -v[146:147]
	scratch_load_b128 v[144:147], off, off offset:736
	v_add_f64_e32 v[170:171], v[202:203], v[200:201]
	v_add_f64_e32 v[192:193], v[192:193], v[196:197]
	s_wait_loadcnt_dscnt 0xa00
	v_mul_f64_e32 v[196:197], v[152:153], v[150:151]
	v_mul_f64_e32 v[150:151], v[154:155], v[150:151]
	v_fmac_f64_e32 v[198:199], v[6:7], v[160:161]
	v_fma_f64 v[200:201], v[4:5], v[160:161], -v[162:163]
	ds_load_b128 v[4:7], v2 offset:1568
	ds_load_b128 v[160:163], v2 offset:1584
	v_add_f64_e32 v[202:203], v[170:171], v[168:169]
	v_add_f64_e32 v[192:193], v[192:193], v[194:195]
	scratch_load_b128 v[168:171], off, off offset:752
	s_wait_loadcnt_dscnt 0xa01
	v_mul_f64_e32 v[194:195], v[4:5], v[174:175]
	v_mul_f64_e32 v[174:175], v[6:7], v[174:175]
	v_fmac_f64_e32 v[196:197], v[154:155], v[148:149]
	v_fma_f64 v[152:153], v[152:153], v[148:149], -v[150:151]
	scratch_load_b128 v[148:151], off, off offset:768
	v_add_f64_e32 v[154:155], v[202:203], v[200:201]
	v_add_f64_e32 v[192:193], v[192:193], v[198:199]
	s_wait_loadcnt_dscnt 0xa00
	v_mul_f64_e32 v[198:199], v[160:161], v[158:159]
	v_mul_f64_e32 v[158:159], v[162:163], v[158:159]
	v_fmac_f64_e32 v[194:195], v[6:7], v[172:173]
	v_fma_f64 v[200:201], v[4:5], v[172:173], -v[174:175]
	v_add_f64_e32 v[202:203], v[154:155], v[152:153]
	v_add_f64_e32 v[192:193], v[192:193], v[196:197]
	ds_load_b128 v[4:7], v2 offset:1600
	ds_load_b128 v[152:155], v2 offset:1616
	scratch_load_b128 v[172:175], off, off offset:784
	v_fmac_f64_e32 v[198:199], v[162:163], v[156:157]
	v_fma_f64 v[160:161], v[160:161], v[156:157], -v[158:159]
	scratch_load_b128 v[156:159], off, off offset:800
	s_wait_loadcnt_dscnt 0xb01
	v_mul_f64_e32 v[196:197], v[4:5], v[190:191]
	v_mul_f64_e32 v[190:191], v[6:7], v[190:191]
	v_add_f64_e32 v[162:163], v[202:203], v[200:201]
	v_add_f64_e32 v[192:193], v[192:193], v[194:195]
	s_wait_loadcnt_dscnt 0xa00
	v_mul_f64_e32 v[194:195], v[152:153], v[10:11]
	v_mul_f64_e32 v[10:11], v[154:155], v[10:11]
	v_fmac_f64_e32 v[196:197], v[6:7], v[188:189]
	v_fma_f64 v[200:201], v[4:5], v[188:189], -v[190:191]
	v_add_f64_e32 v[202:203], v[162:163], v[160:161]
	v_add_f64_e32 v[192:193], v[192:193], v[198:199]
	ds_load_b128 v[4:7], v2 offset:1632
	ds_load_b128 v[160:163], v2 offset:1648
	scratch_load_b128 v[188:191], off, off offset:816
	v_fmac_f64_e32 v[194:195], v[154:155], v[8:9]
	v_fma_f64 v[152:153], v[152:153], v[8:9], -v[10:11]
	scratch_load_b128 v[8:11], off, off offset:832
	s_wait_loadcnt_dscnt 0xb01
	v_mul_f64_e32 v[198:199], v[4:5], v[178:179]
	v_mul_f64_e32 v[178:179], v[6:7], v[178:179]
	;; [unrolled: 18-line block ×6, first 2 shown]
	v_add_f64_e32 v[154:155], v[202:203], v[200:201]
	v_add_f64_e32 v[192:193], v[192:193], v[198:199]
	s_wait_loadcnt_dscnt 0xa00
	v_mul_f64_e32 v[198:199], v[160:161], v[158:159]
	v_mul_f64_e32 v[158:159], v[162:163], v[158:159]
	v_fmac_f64_e32 v[194:195], v[6:7], v[172:173]
	v_fma_f64 v[172:173], v[4:5], v[172:173], -v[174:175]
	v_add_f64_e32 v[174:175], v[154:155], v[152:153]
	v_add_f64_e32 v[192:193], v[192:193], v[196:197]
	ds_load_b128 v[4:7], v2 offset:1792
	ds_load_b128 v[152:155], v2 offset:1808
	v_fmac_f64_e32 v[198:199], v[162:163], v[156:157]
	v_fma_f64 v[156:157], v[160:161], v[156:157], -v[158:159]
	s_wait_loadcnt_dscnt 0x901
	v_mul_f64_e32 v[196:197], v[4:5], v[190:191]
	v_mul_f64_e32 v[190:191], v[6:7], v[190:191]
	s_wait_loadcnt_dscnt 0x800
	v_mul_f64_e32 v[162:163], v[152:153], v[10:11]
	v_mul_f64_e32 v[10:11], v[154:155], v[10:11]
	v_add_f64_e32 v[158:159], v[174:175], v[172:173]
	v_add_f64_e32 v[160:161], v[192:193], v[194:195]
	v_fmac_f64_e32 v[196:197], v[6:7], v[188:189]
	v_fma_f64 v[172:173], v[4:5], v[188:189], -v[190:191]
	v_fmac_f64_e32 v[162:163], v[154:155], v[8:9]
	v_fma_f64 v[8:9], v[152:153], v[8:9], -v[10:11]
	v_add_f64_e32 v[174:175], v[158:159], v[156:157]
	v_add_f64_e32 v[160:161], v[160:161], v[198:199]
	ds_load_b128 v[4:7], v2 offset:1824
	ds_load_b128 v[156:159], v2 offset:1840
	s_wait_loadcnt_dscnt 0x701
	v_mul_f64_e32 v[188:189], v[4:5], v[178:179]
	v_mul_f64_e32 v[178:179], v[6:7], v[178:179]
	s_wait_loadcnt_dscnt 0x600
	v_mul_f64_e32 v[154:155], v[156:157], v[142:143]
	v_mul_f64_e32 v[142:143], v[158:159], v[142:143]
	v_add_f64_e32 v[10:11], v[174:175], v[172:173]
	v_add_f64_e32 v[152:153], v[160:161], v[196:197]
	v_fmac_f64_e32 v[188:189], v[6:7], v[176:177]
	v_fma_f64 v[160:161], v[4:5], v[176:177], -v[178:179]
	v_fmac_f64_e32 v[154:155], v[158:159], v[140:141]
	v_fma_f64 v[140:141], v[156:157], v[140:141], -v[142:143]
	v_add_f64_e32 v[172:173], v[10:11], v[8:9]
	v_add_f64_e32 v[152:153], v[152:153], v[162:163]
	ds_load_b128 v[4:7], v2 offset:1856
	ds_load_b128 v[8:11], v2 offset:1872
	;; [unrolled: 16-line block ×4, first 2 shown]
	s_wait_loadcnt_dscnt 0x101
	v_mul_f64_e32 v[2:3], v[4:5], v[170:171]
	v_mul_f64_e32 v[156:157], v[6:7], v[170:171]
	s_wait_loadcnt_dscnt 0x0
	v_mul_f64_e32 v[144:145], v[8:9], v[150:151]
	v_mul_f64_e32 v[146:147], v[10:11], v[150:151]
	v_add_f64_e32 v[142:143], v[158:159], v[152:153]
	v_add_f64_e32 v[12:13], v[12:13], v[154:155]
	v_fmac_f64_e32 v[2:3], v[6:7], v[168:169]
	v_fma_f64 v[4:5], v[4:5], v[168:169], -v[156:157]
	v_fmac_f64_e32 v[144:145], v[10:11], v[148:149]
	v_fma_f64 v[8:9], v[8:9], v[148:149], -v[146:147]
	v_add_f64_e32 v[6:7], v[142:143], v[140:141]
	v_add_f64_e32 v[12:13], v[12:13], v[14:15]
	s_delay_alu instid0(VALU_DEP_2) | instskip(NEXT) | instid1(VALU_DEP_2)
	v_add_f64_e32 v[4:5], v[6:7], v[4:5]
	v_add_f64_e32 v[2:3], v[12:13], v[2:3]
	s_delay_alu instid0(VALU_DEP_2) | instskip(NEXT) | instid1(VALU_DEP_2)
	;; [unrolled: 3-line block ×3, first 2 shown]
	v_add_f64_e64 v[2:3], v[180:181], -v[4:5]
	v_add_f64_e64 v[4:5], v[182:183], -v[6:7]
	scratch_store_b128 off, v[2:5], off offset:224
	s_wait_xcnt 0x0
	v_cmpx_lt_u32_e32 13, v1
	s_cbranch_execz .LBB60_365
; %bb.364:
	scratch_load_b128 v[2:5], off, s63
	v_mov_b32_e32 v6, 0
	s_delay_alu instid0(VALU_DEP_1)
	v_dual_mov_b32 v7, v6 :: v_dual_mov_b32 v8, v6
	v_mov_b32_e32 v9, v6
	scratch_store_b128 off, v[6:9], off offset:208
	s_wait_loadcnt 0x0
	ds_store_b128 v138, v[2:5]
.LBB60_365:
	s_wait_xcnt 0x0
	s_or_b32 exec_lo, exec_lo, s2
	s_wait_storecnt_dscnt 0x0
	s_barrier_signal -1
	s_barrier_wait -1
	s_clause 0x9
	scratch_load_b128 v[4:7], off, off offset:224
	scratch_load_b128 v[8:11], off, off offset:240
	scratch_load_b128 v[12:15], off, off offset:256
	scratch_load_b128 v[140:143], off, off offset:272
	scratch_load_b128 v[144:147], off, off offset:288
	scratch_load_b128 v[148:151], off, off offset:304
	scratch_load_b128 v[152:155], off, off offset:320
	scratch_load_b128 v[156:159], off, off offset:336
	scratch_load_b128 v[160:163], off, off offset:352
	scratch_load_b128 v[164:167], off, off offset:368
	v_mov_b32_e32 v2, 0
	s_mov_b32 s2, exec_lo
	ds_load_b128 v[168:171], v2 offset:1200
	s_clause 0x2
	scratch_load_b128 v[172:175], off, off offset:384
	scratch_load_b128 v[176:179], off, off offset:208
	;; [unrolled: 1-line block ×3, first 2 shown]
	s_wait_loadcnt_dscnt 0xc00
	v_mul_f64_e32 v[188:189], v[170:171], v[6:7]
	v_mul_f64_e32 v[192:193], v[168:169], v[6:7]
	ds_load_b128 v[180:183], v2 offset:1216
	v_fma_f64 v[196:197], v[168:169], v[4:5], -v[188:189]
	v_fmac_f64_e32 v[192:193], v[170:171], v[4:5]
	ds_load_b128 v[4:7], v2 offset:1232
	s_wait_loadcnt_dscnt 0xb01
	v_mul_f64_e32 v[194:195], v[180:181], v[10:11]
	v_mul_f64_e32 v[10:11], v[182:183], v[10:11]
	scratch_load_b128 v[168:171], off, off offset:416
	ds_load_b128 v[188:191], v2 offset:1248
	s_wait_loadcnt_dscnt 0xb01
	v_mul_f64_e32 v[198:199], v[4:5], v[14:15]
	v_mul_f64_e32 v[14:15], v[6:7], v[14:15]
	v_add_f64_e32 v[192:193], 0, v[192:193]
	v_fmac_f64_e32 v[194:195], v[182:183], v[8:9]
	v_fma_f64 v[180:181], v[180:181], v[8:9], -v[10:11]
	v_add_f64_e32 v[182:183], 0, v[196:197]
	scratch_load_b128 v[8:11], off, off offset:432
	v_fmac_f64_e32 v[198:199], v[6:7], v[12:13]
	v_fma_f64 v[200:201], v[4:5], v[12:13], -v[14:15]
	ds_load_b128 v[4:7], v2 offset:1264
	s_wait_loadcnt_dscnt 0xb01
	v_mul_f64_e32 v[196:197], v[188:189], v[142:143]
	v_mul_f64_e32 v[142:143], v[190:191], v[142:143]
	scratch_load_b128 v[12:15], off, off offset:448
	v_add_f64_e32 v[192:193], v[192:193], v[194:195]
	v_add_f64_e32 v[202:203], v[182:183], v[180:181]
	ds_load_b128 v[180:183], v2 offset:1280
	s_wait_loadcnt_dscnt 0xb01
	v_mul_f64_e32 v[194:195], v[4:5], v[146:147]
	v_mul_f64_e32 v[146:147], v[6:7], v[146:147]
	v_fmac_f64_e32 v[196:197], v[190:191], v[140:141]
	v_fma_f64 v[188:189], v[188:189], v[140:141], -v[142:143]
	scratch_load_b128 v[140:143], off, off offset:464
	v_add_f64_e32 v[192:193], v[192:193], v[198:199]
	v_add_f64_e32 v[190:191], v[202:203], v[200:201]
	v_fmac_f64_e32 v[194:195], v[6:7], v[144:145]
	v_fma_f64 v[200:201], v[4:5], v[144:145], -v[146:147]
	ds_load_b128 v[4:7], v2 offset:1296
	s_wait_loadcnt_dscnt 0xb01
	v_mul_f64_e32 v[198:199], v[180:181], v[150:151]
	v_mul_f64_e32 v[150:151], v[182:183], v[150:151]
	scratch_load_b128 v[144:147], off, off offset:480
	v_add_f64_e32 v[192:193], v[192:193], v[196:197]
	s_wait_loadcnt_dscnt 0xb00
	v_mul_f64_e32 v[196:197], v[4:5], v[154:155]
	v_add_f64_e32 v[202:203], v[190:191], v[188:189]
	v_mul_f64_e32 v[154:155], v[6:7], v[154:155]
	ds_load_b128 v[188:191], v2 offset:1312
	v_fmac_f64_e32 v[198:199], v[182:183], v[148:149]
	v_fma_f64 v[180:181], v[180:181], v[148:149], -v[150:151]
	scratch_load_b128 v[148:151], off, off offset:496
	v_add_f64_e32 v[192:193], v[192:193], v[194:195]
	v_fmac_f64_e32 v[196:197], v[6:7], v[152:153]
	v_add_f64_e32 v[182:183], v[202:203], v[200:201]
	v_fma_f64 v[200:201], v[4:5], v[152:153], -v[154:155]
	ds_load_b128 v[4:7], v2 offset:1328
	s_wait_loadcnt_dscnt 0xb01
	v_mul_f64_e32 v[194:195], v[188:189], v[158:159]
	v_mul_f64_e32 v[158:159], v[190:191], v[158:159]
	scratch_load_b128 v[152:155], off, off offset:512
	v_add_f64_e32 v[192:193], v[192:193], v[198:199]
	s_wait_loadcnt_dscnt 0xb00
	v_mul_f64_e32 v[198:199], v[4:5], v[162:163]
	v_add_f64_e32 v[202:203], v[182:183], v[180:181]
	v_mul_f64_e32 v[162:163], v[6:7], v[162:163]
	ds_load_b128 v[180:183], v2 offset:1344
	v_fmac_f64_e32 v[194:195], v[190:191], v[156:157]
	v_fma_f64 v[188:189], v[188:189], v[156:157], -v[158:159]
	scratch_load_b128 v[156:159], off, off offset:528
	v_add_f64_e32 v[192:193], v[192:193], v[196:197]
	v_fmac_f64_e32 v[198:199], v[6:7], v[160:161]
	v_add_f64_e32 v[190:191], v[202:203], v[200:201]
	;; [unrolled: 18-line block ×3, first 2 shown]
	v_fma_f64 v[200:201], v[4:5], v[172:173], -v[174:175]
	ds_load_b128 v[4:7], v2 offset:1392
	s_wait_loadcnt_dscnt 0xa01
	v_mul_f64_e32 v[198:199], v[188:189], v[186:187]
	v_mul_f64_e32 v[186:187], v[190:191], v[186:187]
	scratch_load_b128 v[172:175], off, off offset:576
	v_add_f64_e32 v[192:193], v[192:193], v[196:197]
	v_add_f64_e32 v[202:203], v[182:183], v[180:181]
	s_wait_loadcnt_dscnt 0xa00
	v_mul_f64_e32 v[196:197], v[4:5], v[170:171]
	v_mul_f64_e32 v[170:171], v[6:7], v[170:171]
	v_fmac_f64_e32 v[198:199], v[190:191], v[184:185]
	v_fma_f64 v[188:189], v[188:189], v[184:185], -v[186:187]
	ds_load_b128 v[180:183], v2 offset:1408
	scratch_load_b128 v[184:187], off, off offset:592
	v_add_f64_e32 v[192:193], v[192:193], v[194:195]
	v_add_f64_e32 v[190:191], v[202:203], v[200:201]
	v_fmac_f64_e32 v[196:197], v[6:7], v[168:169]
	v_fma_f64 v[200:201], v[4:5], v[168:169], -v[170:171]
	ds_load_b128 v[4:7], v2 offset:1424
	s_wait_loadcnt_dscnt 0xa01
	v_mul_f64_e32 v[194:195], v[180:181], v[10:11]
	v_mul_f64_e32 v[10:11], v[182:183], v[10:11]
	scratch_load_b128 v[168:171], off, off offset:608
	v_add_f64_e32 v[192:193], v[192:193], v[198:199]
	s_wait_loadcnt_dscnt 0xa00
	v_mul_f64_e32 v[198:199], v[4:5], v[14:15]
	v_add_f64_e32 v[202:203], v[190:191], v[188:189]
	v_mul_f64_e32 v[14:15], v[6:7], v[14:15]
	ds_load_b128 v[188:191], v2 offset:1440
	v_fmac_f64_e32 v[194:195], v[182:183], v[8:9]
	v_fma_f64 v[180:181], v[180:181], v[8:9], -v[10:11]
	scratch_load_b128 v[8:11], off, off offset:624
	v_add_f64_e32 v[192:193], v[192:193], v[196:197]
	v_fmac_f64_e32 v[198:199], v[6:7], v[12:13]
	v_add_f64_e32 v[182:183], v[202:203], v[200:201]
	v_fma_f64 v[200:201], v[4:5], v[12:13], -v[14:15]
	ds_load_b128 v[4:7], v2 offset:1456
	s_wait_loadcnt_dscnt 0xa01
	v_mul_f64_e32 v[196:197], v[188:189], v[142:143]
	v_mul_f64_e32 v[142:143], v[190:191], v[142:143]
	scratch_load_b128 v[12:15], off, off offset:640
	v_add_f64_e32 v[192:193], v[192:193], v[194:195]
	s_wait_loadcnt_dscnt 0xa00
	v_mul_f64_e32 v[194:195], v[4:5], v[146:147]
	v_add_f64_e32 v[202:203], v[182:183], v[180:181]
	v_mul_f64_e32 v[146:147], v[6:7], v[146:147]
	ds_load_b128 v[180:183], v2 offset:1472
	v_fmac_f64_e32 v[196:197], v[190:191], v[140:141]
	v_fma_f64 v[188:189], v[188:189], v[140:141], -v[142:143]
	scratch_load_b128 v[140:143], off, off offset:656
	v_add_f64_e32 v[192:193], v[192:193], v[198:199]
	v_fmac_f64_e32 v[194:195], v[6:7], v[144:145]
	v_add_f64_e32 v[190:191], v[202:203], v[200:201]
	;; [unrolled: 18-line block ×11, first 2 shown]
	v_fma_f64 v[200:201], v[4:5], v[172:173], -v[174:175]
	ds_load_b128 v[4:7], v2 offset:1776
	s_wait_loadcnt_dscnt 0xa01
	v_mul_f64_e32 v[198:199], v[188:189], v[186:187]
	v_mul_f64_e32 v[186:187], v[190:191], v[186:187]
	scratch_load_b128 v[172:175], off, off offset:960
	v_add_f64_e32 v[192:193], v[192:193], v[196:197]
	s_wait_loadcnt_dscnt 0xa00
	v_mul_f64_e32 v[196:197], v[4:5], v[170:171]
	v_add_f64_e32 v[202:203], v[182:183], v[180:181]
	v_mul_f64_e32 v[170:171], v[6:7], v[170:171]
	ds_load_b128 v[180:183], v2 offset:1792
	v_fmac_f64_e32 v[198:199], v[190:191], v[184:185]
	v_fma_f64 v[184:185], v[188:189], v[184:185], -v[186:187]
	s_wait_loadcnt_dscnt 0x900
	v_mul_f64_e32 v[190:191], v[180:181], v[10:11]
	v_mul_f64_e32 v[10:11], v[182:183], v[10:11]
	v_add_f64_e32 v[188:189], v[192:193], v[194:195]
	v_fmac_f64_e32 v[196:197], v[6:7], v[168:169]
	v_add_f64_e32 v[186:187], v[202:203], v[200:201]
	v_fma_f64 v[192:193], v[4:5], v[168:169], -v[170:171]
	ds_load_b128 v[4:7], v2 offset:1808
	ds_load_b128 v[168:171], v2 offset:1824
	v_fmac_f64_e32 v[190:191], v[182:183], v[8:9]
	v_fma_f64 v[8:9], v[180:181], v[8:9], -v[10:11]
	v_add_f64_e32 v[184:185], v[186:187], v[184:185]
	v_add_f64_e32 v[186:187], v[188:189], v[198:199]
	s_wait_loadcnt_dscnt 0x801
	v_mul_f64_e32 v[188:189], v[4:5], v[14:15]
	v_mul_f64_e32 v[14:15], v[6:7], v[14:15]
	s_wait_loadcnt_dscnt 0x700
	v_mul_f64_e32 v[182:183], v[168:169], v[142:143]
	v_mul_f64_e32 v[142:143], v[170:171], v[142:143]
	v_add_f64_e32 v[10:11], v[184:185], v[192:193]
	v_add_f64_e32 v[180:181], v[186:187], v[196:197]
	v_fmac_f64_e32 v[188:189], v[6:7], v[12:13]
	v_fma_f64 v[12:13], v[4:5], v[12:13], -v[14:15]
	v_fmac_f64_e32 v[182:183], v[170:171], v[140:141]
	v_fma_f64 v[140:141], v[168:169], v[140:141], -v[142:143]
	v_add_f64_e32 v[14:15], v[10:11], v[8:9]
	v_add_f64_e32 v[180:181], v[180:181], v[190:191]
	ds_load_b128 v[4:7], v2 offset:1840
	ds_load_b128 v[8:11], v2 offset:1856
	s_wait_loadcnt_dscnt 0x601
	v_mul_f64_e32 v[184:185], v[4:5], v[146:147]
	v_mul_f64_e32 v[146:147], v[6:7], v[146:147]
	s_wait_loadcnt_dscnt 0x500
	v_mul_f64_e32 v[142:143], v[8:9], v[150:151]
	v_mul_f64_e32 v[150:151], v[10:11], v[150:151]
	v_add_f64_e32 v[12:13], v[14:15], v[12:13]
	v_add_f64_e32 v[14:15], v[180:181], v[188:189]
	v_fmac_f64_e32 v[184:185], v[6:7], v[144:145]
	v_fma_f64 v[144:145], v[4:5], v[144:145], -v[146:147]
	v_fmac_f64_e32 v[142:143], v[10:11], v[148:149]
	v_fma_f64 v[8:9], v[8:9], v[148:149], -v[150:151]
	v_add_f64_e32 v[140:141], v[12:13], v[140:141]
	v_add_f64_e32 v[146:147], v[14:15], v[182:183]
	ds_load_b128 v[4:7], v2 offset:1872
	ds_load_b128 v[12:15], v2 offset:1888
	s_wait_loadcnt_dscnt 0x401
	v_mul_f64_e32 v[168:169], v[4:5], v[154:155]
	v_mul_f64_e32 v[154:155], v[6:7], v[154:155]
	v_add_f64_e32 v[10:11], v[140:141], v[144:145]
	v_add_f64_e32 v[140:141], v[146:147], v[184:185]
	s_wait_loadcnt_dscnt 0x300
	v_mul_f64_e32 v[144:145], v[12:13], v[158:159]
	v_mul_f64_e32 v[146:147], v[14:15], v[158:159]
	v_fmac_f64_e32 v[168:169], v[6:7], v[152:153]
	v_fma_f64 v[148:149], v[4:5], v[152:153], -v[154:155]
	v_add_f64_e32 v[150:151], v[10:11], v[8:9]
	v_add_f64_e32 v[140:141], v[140:141], v[142:143]
	ds_load_b128 v[4:7], v2 offset:1904
	ds_load_b128 v[8:11], v2 offset:1920
	v_fmac_f64_e32 v[144:145], v[14:15], v[156:157]
	v_fma_f64 v[12:13], v[12:13], v[156:157], -v[146:147]
	s_wait_loadcnt_dscnt 0x201
	v_mul_f64_e32 v[142:143], v[4:5], v[162:163]
	v_mul_f64_e32 v[152:153], v[6:7], v[162:163]
	s_wait_loadcnt_dscnt 0x100
	v_mul_f64_e32 v[146:147], v[8:9], v[166:167]
	v_add_f64_e32 v[14:15], v[150:151], v[148:149]
	v_add_f64_e32 v[140:141], v[140:141], v[168:169]
	v_mul_f64_e32 v[148:149], v[10:11], v[166:167]
	v_fmac_f64_e32 v[142:143], v[6:7], v[160:161]
	v_fma_f64 v[150:151], v[4:5], v[160:161], -v[152:153]
	ds_load_b128 v[4:7], v2 offset:1936
	v_fmac_f64_e32 v[146:147], v[10:11], v[164:165]
	v_add_f64_e32 v[12:13], v[14:15], v[12:13]
	v_add_f64_e32 v[14:15], v[140:141], v[144:145]
	v_fma_f64 v[8:9], v[8:9], v[164:165], -v[148:149]
	s_wait_loadcnt_dscnt 0x0
	v_mul_f64_e32 v[140:141], v[4:5], v[174:175]
	v_mul_f64_e32 v[144:145], v[6:7], v[174:175]
	v_add_f64_e32 v[10:11], v[12:13], v[150:151]
	v_add_f64_e32 v[12:13], v[14:15], v[142:143]
	s_delay_alu instid0(VALU_DEP_4) | instskip(NEXT) | instid1(VALU_DEP_4)
	v_fmac_f64_e32 v[140:141], v[6:7], v[172:173]
	v_fma_f64 v[4:5], v[4:5], v[172:173], -v[144:145]
	s_delay_alu instid0(VALU_DEP_4) | instskip(NEXT) | instid1(VALU_DEP_4)
	v_add_f64_e32 v[6:7], v[10:11], v[8:9]
	v_add_f64_e32 v[8:9], v[12:13], v[146:147]
	s_delay_alu instid0(VALU_DEP_2) | instskip(NEXT) | instid1(VALU_DEP_2)
	v_add_f64_e32 v[4:5], v[6:7], v[4:5]
	v_add_f64_e32 v[6:7], v[8:9], v[140:141]
	s_delay_alu instid0(VALU_DEP_2) | instskip(NEXT) | instid1(VALU_DEP_2)
	v_add_f64_e64 v[4:5], v[176:177], -v[4:5]
	v_add_f64_e64 v[6:7], v[178:179], -v[6:7]
	scratch_store_b128 off, v[4:7], off offset:208
	s_wait_xcnt 0x0
	v_cmpx_lt_u32_e32 12, v1
	s_cbranch_execz .LBB60_367
; %bb.366:
	scratch_load_b128 v[6:9], off, s60
	v_dual_mov_b32 v3, v2 :: v_dual_mov_b32 v4, v2
	v_mov_b32_e32 v5, v2
	scratch_store_b128 off, v[2:5], off offset:192
	s_wait_loadcnt 0x0
	ds_store_b128 v138, v[6:9]
.LBB60_367:
	s_wait_xcnt 0x0
	s_or_b32 exec_lo, exec_lo, s2
	s_wait_storecnt_dscnt 0x0
	s_barrier_signal -1
	s_barrier_wait -1
	s_clause 0x9
	scratch_load_b128 v[4:7], off, off offset:208
	scratch_load_b128 v[8:11], off, off offset:224
	;; [unrolled: 1-line block ×10, first 2 shown]
	ds_load_b128 v[168:171], v2 offset:1184
	ds_load_b128 v[176:179], v2 offset:1200
	s_clause 0x2
	scratch_load_b128 v[172:175], off, off offset:368
	scratch_load_b128 v[180:183], off, off offset:192
	scratch_load_b128 v[184:187], off, off offset:384
	s_mov_b32 s2, exec_lo
	s_wait_loadcnt_dscnt 0xc01
	v_mul_f64_e32 v[188:189], v[170:171], v[6:7]
	v_mul_f64_e32 v[192:193], v[168:169], v[6:7]
	s_wait_loadcnt_dscnt 0xb00
	v_mul_f64_e32 v[194:195], v[176:177], v[10:11]
	v_mul_f64_e32 v[10:11], v[178:179], v[10:11]
	s_delay_alu instid0(VALU_DEP_4) | instskip(NEXT) | instid1(VALU_DEP_4)
	v_fma_f64 v[196:197], v[168:169], v[4:5], -v[188:189]
	v_fmac_f64_e32 v[192:193], v[170:171], v[4:5]
	ds_load_b128 v[4:7], v2 offset:1216
	ds_load_b128 v[168:171], v2 offset:1232
	scratch_load_b128 v[188:191], off, off offset:400
	v_fmac_f64_e32 v[194:195], v[178:179], v[8:9]
	v_fma_f64 v[176:177], v[176:177], v[8:9], -v[10:11]
	scratch_load_b128 v[8:11], off, off offset:416
	s_wait_loadcnt_dscnt 0xc01
	v_mul_f64_e32 v[198:199], v[4:5], v[14:15]
	v_mul_f64_e32 v[14:15], v[6:7], v[14:15]
	v_add_f64_e32 v[178:179], 0, v[196:197]
	v_add_f64_e32 v[192:193], 0, v[192:193]
	s_wait_loadcnt_dscnt 0xb00
	v_mul_f64_e32 v[196:197], v[168:169], v[142:143]
	v_mul_f64_e32 v[142:143], v[170:171], v[142:143]
	v_fmac_f64_e32 v[198:199], v[6:7], v[12:13]
	v_fma_f64 v[200:201], v[4:5], v[12:13], -v[14:15]
	ds_load_b128 v[4:7], v2 offset:1248
	ds_load_b128 v[12:15], v2 offset:1264
	v_add_f64_e32 v[202:203], v[178:179], v[176:177]
	v_add_f64_e32 v[192:193], v[192:193], v[194:195]
	scratch_load_b128 v[176:179], off, off offset:432
	v_fmac_f64_e32 v[196:197], v[170:171], v[140:141]
	v_fma_f64 v[168:169], v[168:169], v[140:141], -v[142:143]
	scratch_load_b128 v[140:143], off, off offset:448
	s_wait_loadcnt_dscnt 0xc01
	v_mul_f64_e32 v[194:195], v[4:5], v[146:147]
	v_mul_f64_e32 v[146:147], v[6:7], v[146:147]
	v_add_f64_e32 v[170:171], v[202:203], v[200:201]
	v_add_f64_e32 v[192:193], v[192:193], v[198:199]
	s_wait_loadcnt_dscnt 0xb00
	v_mul_f64_e32 v[198:199], v[12:13], v[150:151]
	v_mul_f64_e32 v[150:151], v[14:15], v[150:151]
	v_fmac_f64_e32 v[194:195], v[6:7], v[144:145]
	v_fma_f64 v[200:201], v[4:5], v[144:145], -v[146:147]
	ds_load_b128 v[4:7], v2 offset:1280
	ds_load_b128 v[144:147], v2 offset:1296
	v_add_f64_e32 v[202:203], v[170:171], v[168:169]
	v_add_f64_e32 v[192:193], v[192:193], v[196:197]
	scratch_load_b128 v[168:171], off, off offset:464
	s_wait_loadcnt_dscnt 0xb01
	v_mul_f64_e32 v[196:197], v[4:5], v[154:155]
	v_mul_f64_e32 v[154:155], v[6:7], v[154:155]
	v_fmac_f64_e32 v[198:199], v[14:15], v[148:149]
	v_fma_f64 v[148:149], v[12:13], v[148:149], -v[150:151]
	scratch_load_b128 v[12:15], off, off offset:480
	v_add_f64_e32 v[150:151], v[202:203], v[200:201]
	v_add_f64_e32 v[192:193], v[192:193], v[194:195]
	s_wait_loadcnt_dscnt 0xb00
	v_mul_f64_e32 v[194:195], v[144:145], v[158:159]
	v_mul_f64_e32 v[158:159], v[146:147], v[158:159]
	v_fmac_f64_e32 v[196:197], v[6:7], v[152:153]
	v_fma_f64 v[200:201], v[4:5], v[152:153], -v[154:155]
	v_add_f64_e32 v[202:203], v[150:151], v[148:149]
	v_add_f64_e32 v[192:193], v[192:193], v[198:199]
	ds_load_b128 v[4:7], v2 offset:1312
	ds_load_b128 v[148:151], v2 offset:1328
	scratch_load_b128 v[152:155], off, off offset:496
	v_fmac_f64_e32 v[194:195], v[146:147], v[156:157]
	v_fma_f64 v[156:157], v[144:145], v[156:157], -v[158:159]
	scratch_load_b128 v[144:147], off, off offset:512
	s_wait_loadcnt_dscnt 0xc01
	v_mul_f64_e32 v[198:199], v[4:5], v[162:163]
	v_mul_f64_e32 v[162:163], v[6:7], v[162:163]
	v_add_f64_e32 v[158:159], v[202:203], v[200:201]
	v_add_f64_e32 v[192:193], v[192:193], v[196:197]
	s_wait_loadcnt_dscnt 0xb00
	v_mul_f64_e32 v[196:197], v[148:149], v[166:167]
	v_mul_f64_e32 v[166:167], v[150:151], v[166:167]
	v_fmac_f64_e32 v[198:199], v[6:7], v[160:161]
	v_fma_f64 v[200:201], v[4:5], v[160:161], -v[162:163]
	v_add_f64_e32 v[202:203], v[158:159], v[156:157]
	v_add_f64_e32 v[192:193], v[192:193], v[194:195]
	ds_load_b128 v[4:7], v2 offset:1344
	ds_load_b128 v[156:159], v2 offset:1360
	scratch_load_b128 v[160:163], off, off offset:528
	v_fmac_f64_e32 v[196:197], v[150:151], v[164:165]
	v_fma_f64 v[164:165], v[148:149], v[164:165], -v[166:167]
	scratch_load_b128 v[148:151], off, off offset:544
	s_wait_loadcnt_dscnt 0xc01
	v_mul_f64_e32 v[194:195], v[4:5], v[174:175]
	v_mul_f64_e32 v[174:175], v[6:7], v[174:175]
	;; [unrolled: 18-line block ×5, first 2 shown]
	v_add_f64_e32 v[186:187], v[202:203], v[200:201]
	v_add_f64_e32 v[192:193], v[192:193], v[198:199]
	s_wait_loadcnt_dscnt 0xa00
	v_mul_f64_e32 v[198:199], v[164:165], v[14:15]
	v_mul_f64_e32 v[14:15], v[166:167], v[14:15]
	v_fmac_f64_e32 v[194:195], v[6:7], v[168:169]
	v_fma_f64 v[200:201], v[4:5], v[168:169], -v[170:171]
	ds_load_b128 v[4:7], v2 offset:1472
	ds_load_b128 v[168:171], v2 offset:1488
	v_add_f64_e32 v[202:203], v[186:187], v[184:185]
	v_add_f64_e32 v[192:193], v[192:193], v[196:197]
	scratch_load_b128 v[184:187], off, off offset:656
	v_fmac_f64_e32 v[198:199], v[166:167], v[12:13]
	v_fma_f64 v[164:165], v[164:165], v[12:13], -v[14:15]
	scratch_load_b128 v[12:15], off, off offset:672
	s_wait_loadcnt_dscnt 0xb01
	v_mul_f64_e32 v[196:197], v[4:5], v[154:155]
	v_mul_f64_e32 v[154:155], v[6:7], v[154:155]
	v_add_f64_e32 v[166:167], v[202:203], v[200:201]
	v_add_f64_e32 v[192:193], v[192:193], v[194:195]
	s_wait_loadcnt_dscnt 0xa00
	v_mul_f64_e32 v[194:195], v[168:169], v[146:147]
	v_mul_f64_e32 v[146:147], v[170:171], v[146:147]
	v_fmac_f64_e32 v[196:197], v[6:7], v[152:153]
	v_fma_f64 v[200:201], v[4:5], v[152:153], -v[154:155]
	ds_load_b128 v[4:7], v2 offset:1504
	ds_load_b128 v[152:155], v2 offset:1520
	v_add_f64_e32 v[202:203], v[166:167], v[164:165]
	v_add_f64_e32 v[192:193], v[192:193], v[198:199]
	scratch_load_b128 v[164:167], off, off offset:688
	s_wait_loadcnt_dscnt 0xa01
	v_mul_f64_e32 v[198:199], v[4:5], v[162:163]
	v_mul_f64_e32 v[162:163], v[6:7], v[162:163]
	v_fmac_f64_e32 v[194:195], v[170:171], v[144:145]
	v_fma_f64 v[168:169], v[168:169], v[144:145], -v[146:147]
	scratch_load_b128 v[144:147], off, off offset:704
	v_add_f64_e32 v[170:171], v[202:203], v[200:201]
	v_add_f64_e32 v[192:193], v[192:193], v[196:197]
	s_wait_loadcnt_dscnt 0xa00
	v_mul_f64_e32 v[196:197], v[152:153], v[150:151]
	v_mul_f64_e32 v[150:151], v[154:155], v[150:151]
	v_fmac_f64_e32 v[198:199], v[6:7], v[160:161]
	v_fma_f64 v[200:201], v[4:5], v[160:161], -v[162:163]
	ds_load_b128 v[4:7], v2 offset:1536
	ds_load_b128 v[160:163], v2 offset:1552
	v_add_f64_e32 v[202:203], v[170:171], v[168:169]
	v_add_f64_e32 v[192:193], v[192:193], v[194:195]
	scratch_load_b128 v[168:171], off, off offset:720
	s_wait_loadcnt_dscnt 0xa01
	v_mul_f64_e32 v[194:195], v[4:5], v[174:175]
	v_mul_f64_e32 v[174:175], v[6:7], v[174:175]
	v_fmac_f64_e32 v[196:197], v[154:155], v[148:149]
	v_fma_f64 v[152:153], v[152:153], v[148:149], -v[150:151]
	scratch_load_b128 v[148:151], off, off offset:736
	v_add_f64_e32 v[154:155], v[202:203], v[200:201]
	v_add_f64_e32 v[192:193], v[192:193], v[198:199]
	s_wait_loadcnt_dscnt 0xa00
	v_mul_f64_e32 v[198:199], v[160:161], v[158:159]
	v_mul_f64_e32 v[158:159], v[162:163], v[158:159]
	v_fmac_f64_e32 v[194:195], v[6:7], v[172:173]
	v_fma_f64 v[200:201], v[4:5], v[172:173], -v[174:175]
	v_add_f64_e32 v[202:203], v[154:155], v[152:153]
	v_add_f64_e32 v[192:193], v[192:193], v[196:197]
	ds_load_b128 v[4:7], v2 offset:1568
	ds_load_b128 v[152:155], v2 offset:1584
	scratch_load_b128 v[172:175], off, off offset:752
	v_fmac_f64_e32 v[198:199], v[162:163], v[156:157]
	v_fma_f64 v[160:161], v[160:161], v[156:157], -v[158:159]
	scratch_load_b128 v[156:159], off, off offset:768
	s_wait_loadcnt_dscnt 0xb01
	v_mul_f64_e32 v[196:197], v[4:5], v[190:191]
	v_mul_f64_e32 v[190:191], v[6:7], v[190:191]
	v_add_f64_e32 v[162:163], v[202:203], v[200:201]
	v_add_f64_e32 v[192:193], v[192:193], v[194:195]
	s_wait_loadcnt_dscnt 0xa00
	v_mul_f64_e32 v[194:195], v[152:153], v[10:11]
	v_mul_f64_e32 v[10:11], v[154:155], v[10:11]
	v_fmac_f64_e32 v[196:197], v[6:7], v[188:189]
	v_fma_f64 v[200:201], v[4:5], v[188:189], -v[190:191]
	v_add_f64_e32 v[202:203], v[162:163], v[160:161]
	v_add_f64_e32 v[192:193], v[192:193], v[198:199]
	ds_load_b128 v[4:7], v2 offset:1600
	ds_load_b128 v[160:163], v2 offset:1616
	scratch_load_b128 v[188:191], off, off offset:784
	v_fmac_f64_e32 v[194:195], v[154:155], v[8:9]
	v_fma_f64 v[152:153], v[152:153], v[8:9], -v[10:11]
	scratch_load_b128 v[8:11], off, off offset:800
	s_wait_loadcnt_dscnt 0xb01
	v_mul_f64_e32 v[198:199], v[4:5], v[178:179]
	v_mul_f64_e32 v[178:179], v[6:7], v[178:179]
	;; [unrolled: 18-line block ×7, first 2 shown]
	v_add_f64_e32 v[162:163], v[202:203], v[200:201]
	v_add_f64_e32 v[192:193], v[192:193], v[194:195]
	s_wait_loadcnt_dscnt 0xa00
	v_mul_f64_e32 v[194:195], v[152:153], v[10:11]
	v_mul_f64_e32 v[10:11], v[154:155], v[10:11]
	v_fmac_f64_e32 v[196:197], v[6:7], v[188:189]
	v_fma_f64 v[188:189], v[4:5], v[188:189], -v[190:191]
	v_add_f64_e32 v[190:191], v[162:163], v[160:161]
	v_add_f64_e32 v[192:193], v[192:193], v[198:199]
	ds_load_b128 v[4:7], v2 offset:1792
	ds_load_b128 v[160:163], v2 offset:1808
	v_fmac_f64_e32 v[194:195], v[154:155], v[8:9]
	v_fma_f64 v[8:9], v[152:153], v[8:9], -v[10:11]
	s_wait_loadcnt_dscnt 0x901
	v_mul_f64_e32 v[198:199], v[4:5], v[178:179]
	v_mul_f64_e32 v[178:179], v[6:7], v[178:179]
	s_wait_loadcnt_dscnt 0x800
	v_mul_f64_e32 v[154:155], v[160:161], v[142:143]
	v_mul_f64_e32 v[142:143], v[162:163], v[142:143]
	v_add_f64_e32 v[10:11], v[190:191], v[188:189]
	v_add_f64_e32 v[152:153], v[192:193], v[196:197]
	v_fmac_f64_e32 v[198:199], v[6:7], v[176:177]
	v_fma_f64 v[176:177], v[4:5], v[176:177], -v[178:179]
	v_fmac_f64_e32 v[154:155], v[162:163], v[140:141]
	v_fma_f64 v[140:141], v[160:161], v[140:141], -v[142:143]
	v_add_f64_e32 v[178:179], v[10:11], v[8:9]
	v_add_f64_e32 v[152:153], v[152:153], v[194:195]
	ds_load_b128 v[4:7], v2 offset:1824
	ds_load_b128 v[8:11], v2 offset:1840
	s_wait_loadcnt_dscnt 0x701
	v_mul_f64_e32 v[188:189], v[4:5], v[186:187]
	v_mul_f64_e32 v[186:187], v[6:7], v[186:187]
	s_wait_loadcnt_dscnt 0x600
	v_mul_f64_e32 v[160:161], v[8:9], v[14:15]
	v_mul_f64_e32 v[14:15], v[10:11], v[14:15]
	v_add_f64_e32 v[142:143], v[178:179], v[176:177]
	v_add_f64_e32 v[152:153], v[152:153], v[198:199]
	v_fmac_f64_e32 v[188:189], v[6:7], v[184:185]
	v_fma_f64 v[162:163], v[4:5], v[184:185], -v[186:187]
	v_fmac_f64_e32 v[160:161], v[10:11], v[12:13]
	v_fma_f64 v[8:9], v[8:9], v[12:13], -v[14:15]
	v_add_f64_e32 v[176:177], v[142:143], v[140:141]
	v_add_f64_e32 v[152:153], v[152:153], v[154:155]
	ds_load_b128 v[4:7], v2 offset:1856
	ds_load_b128 v[140:143], v2 offset:1872
	;; [unrolled: 16-line block ×4, first 2 shown]
	s_wait_loadcnt_dscnt 0x101
	v_mul_f64_e32 v[2:3], v[4:5], v[174:175]
	v_mul_f64_e32 v[152:153], v[6:7], v[174:175]
	s_wait_loadcnt_dscnt 0x0
	v_mul_f64_e32 v[146:147], v[14:15], v[158:159]
	v_add_f64_e32 v[10:11], v[140:141], v[150:151]
	v_add_f64_e32 v[140:141], v[142:143], v[160:161]
	v_mul_f64_e32 v[142:143], v[12:13], v[158:159]
	v_fmac_f64_e32 v[2:3], v[6:7], v[172:173]
	v_fma_f64 v[4:5], v[4:5], v[172:173], -v[152:153]
	v_add_f64_e32 v[6:7], v[10:11], v[8:9]
	v_add_f64_e32 v[8:9], v[140:141], v[144:145]
	v_fmac_f64_e32 v[142:143], v[14:15], v[156:157]
	v_fma_f64 v[10:11], v[12:13], v[156:157], -v[146:147]
	s_delay_alu instid0(VALU_DEP_4) | instskip(NEXT) | instid1(VALU_DEP_4)
	v_add_f64_e32 v[4:5], v[6:7], v[4:5]
	v_add_f64_e32 v[2:3], v[8:9], v[2:3]
	s_delay_alu instid0(VALU_DEP_2) | instskip(NEXT) | instid1(VALU_DEP_2)
	v_add_f64_e32 v[4:5], v[4:5], v[10:11]
	v_add_f64_e32 v[6:7], v[2:3], v[142:143]
	s_delay_alu instid0(VALU_DEP_2) | instskip(NEXT) | instid1(VALU_DEP_2)
	v_add_f64_e64 v[2:3], v[180:181], -v[4:5]
	v_add_f64_e64 v[4:5], v[182:183], -v[6:7]
	scratch_store_b128 off, v[2:5], off offset:192
	s_wait_xcnt 0x0
	v_cmpx_lt_u32_e32 11, v1
	s_cbranch_execz .LBB60_369
; %bb.368:
	scratch_load_b128 v[2:5], off, s57
	v_mov_b32_e32 v6, 0
	s_delay_alu instid0(VALU_DEP_1)
	v_dual_mov_b32 v7, v6 :: v_dual_mov_b32 v8, v6
	v_mov_b32_e32 v9, v6
	scratch_store_b128 off, v[6:9], off offset:176
	s_wait_loadcnt 0x0
	ds_store_b128 v138, v[2:5]
.LBB60_369:
	s_wait_xcnt 0x0
	s_or_b32 exec_lo, exec_lo, s2
	s_wait_storecnt_dscnt 0x0
	s_barrier_signal -1
	s_barrier_wait -1
	s_clause 0x9
	scratch_load_b128 v[4:7], off, off offset:192
	scratch_load_b128 v[8:11], off, off offset:208
	;; [unrolled: 1-line block ×10, first 2 shown]
	v_mov_b32_e32 v2, 0
	s_mov_b32 s2, exec_lo
	ds_load_b128 v[168:171], v2 offset:1168
	s_clause 0x2
	scratch_load_b128 v[172:175], off, off offset:352
	scratch_load_b128 v[176:179], off, off offset:176
	;; [unrolled: 1-line block ×3, first 2 shown]
	s_wait_loadcnt_dscnt 0xc00
	v_mul_f64_e32 v[188:189], v[170:171], v[6:7]
	v_mul_f64_e32 v[192:193], v[168:169], v[6:7]
	ds_load_b128 v[180:183], v2 offset:1184
	v_fma_f64 v[196:197], v[168:169], v[4:5], -v[188:189]
	v_fmac_f64_e32 v[192:193], v[170:171], v[4:5]
	ds_load_b128 v[4:7], v2 offset:1200
	s_wait_loadcnt_dscnt 0xb01
	v_mul_f64_e32 v[194:195], v[180:181], v[10:11]
	v_mul_f64_e32 v[10:11], v[182:183], v[10:11]
	scratch_load_b128 v[168:171], off, off offset:384
	ds_load_b128 v[188:191], v2 offset:1216
	s_wait_loadcnt_dscnt 0xb01
	v_mul_f64_e32 v[198:199], v[4:5], v[14:15]
	v_mul_f64_e32 v[14:15], v[6:7], v[14:15]
	v_add_f64_e32 v[192:193], 0, v[192:193]
	v_fmac_f64_e32 v[194:195], v[182:183], v[8:9]
	v_fma_f64 v[180:181], v[180:181], v[8:9], -v[10:11]
	v_add_f64_e32 v[182:183], 0, v[196:197]
	scratch_load_b128 v[8:11], off, off offset:400
	v_fmac_f64_e32 v[198:199], v[6:7], v[12:13]
	v_fma_f64 v[200:201], v[4:5], v[12:13], -v[14:15]
	ds_load_b128 v[4:7], v2 offset:1232
	s_wait_loadcnt_dscnt 0xb01
	v_mul_f64_e32 v[196:197], v[188:189], v[142:143]
	v_mul_f64_e32 v[142:143], v[190:191], v[142:143]
	scratch_load_b128 v[12:15], off, off offset:416
	v_add_f64_e32 v[192:193], v[192:193], v[194:195]
	v_add_f64_e32 v[202:203], v[182:183], v[180:181]
	ds_load_b128 v[180:183], v2 offset:1248
	s_wait_loadcnt_dscnt 0xb01
	v_mul_f64_e32 v[194:195], v[4:5], v[146:147]
	v_mul_f64_e32 v[146:147], v[6:7], v[146:147]
	v_fmac_f64_e32 v[196:197], v[190:191], v[140:141]
	v_fma_f64 v[188:189], v[188:189], v[140:141], -v[142:143]
	scratch_load_b128 v[140:143], off, off offset:432
	v_add_f64_e32 v[192:193], v[192:193], v[198:199]
	v_add_f64_e32 v[190:191], v[202:203], v[200:201]
	v_fmac_f64_e32 v[194:195], v[6:7], v[144:145]
	v_fma_f64 v[200:201], v[4:5], v[144:145], -v[146:147]
	ds_load_b128 v[4:7], v2 offset:1264
	s_wait_loadcnt_dscnt 0xb01
	v_mul_f64_e32 v[198:199], v[180:181], v[150:151]
	v_mul_f64_e32 v[150:151], v[182:183], v[150:151]
	scratch_load_b128 v[144:147], off, off offset:448
	v_add_f64_e32 v[192:193], v[192:193], v[196:197]
	s_wait_loadcnt_dscnt 0xb00
	v_mul_f64_e32 v[196:197], v[4:5], v[154:155]
	v_add_f64_e32 v[202:203], v[190:191], v[188:189]
	v_mul_f64_e32 v[154:155], v[6:7], v[154:155]
	ds_load_b128 v[188:191], v2 offset:1280
	v_fmac_f64_e32 v[198:199], v[182:183], v[148:149]
	v_fma_f64 v[180:181], v[180:181], v[148:149], -v[150:151]
	scratch_load_b128 v[148:151], off, off offset:464
	v_add_f64_e32 v[192:193], v[192:193], v[194:195]
	v_fmac_f64_e32 v[196:197], v[6:7], v[152:153]
	v_add_f64_e32 v[182:183], v[202:203], v[200:201]
	v_fma_f64 v[200:201], v[4:5], v[152:153], -v[154:155]
	ds_load_b128 v[4:7], v2 offset:1296
	s_wait_loadcnt_dscnt 0xb01
	v_mul_f64_e32 v[194:195], v[188:189], v[158:159]
	v_mul_f64_e32 v[158:159], v[190:191], v[158:159]
	scratch_load_b128 v[152:155], off, off offset:480
	v_add_f64_e32 v[192:193], v[192:193], v[198:199]
	s_wait_loadcnt_dscnt 0xb00
	v_mul_f64_e32 v[198:199], v[4:5], v[162:163]
	v_add_f64_e32 v[202:203], v[182:183], v[180:181]
	v_mul_f64_e32 v[162:163], v[6:7], v[162:163]
	ds_load_b128 v[180:183], v2 offset:1312
	v_fmac_f64_e32 v[194:195], v[190:191], v[156:157]
	v_fma_f64 v[188:189], v[188:189], v[156:157], -v[158:159]
	scratch_load_b128 v[156:159], off, off offset:496
	v_add_f64_e32 v[192:193], v[192:193], v[196:197]
	v_fmac_f64_e32 v[198:199], v[6:7], v[160:161]
	v_add_f64_e32 v[190:191], v[202:203], v[200:201]
	;; [unrolled: 18-line block ×3, first 2 shown]
	v_fma_f64 v[200:201], v[4:5], v[172:173], -v[174:175]
	ds_load_b128 v[4:7], v2 offset:1360
	s_wait_loadcnt_dscnt 0xa01
	v_mul_f64_e32 v[198:199], v[188:189], v[186:187]
	v_mul_f64_e32 v[186:187], v[190:191], v[186:187]
	scratch_load_b128 v[172:175], off, off offset:544
	v_add_f64_e32 v[192:193], v[192:193], v[196:197]
	v_add_f64_e32 v[202:203], v[182:183], v[180:181]
	s_wait_loadcnt_dscnt 0xa00
	v_mul_f64_e32 v[196:197], v[4:5], v[170:171]
	v_mul_f64_e32 v[170:171], v[6:7], v[170:171]
	v_fmac_f64_e32 v[198:199], v[190:191], v[184:185]
	v_fma_f64 v[188:189], v[188:189], v[184:185], -v[186:187]
	ds_load_b128 v[180:183], v2 offset:1376
	scratch_load_b128 v[184:187], off, off offset:560
	v_add_f64_e32 v[192:193], v[192:193], v[194:195]
	v_add_f64_e32 v[190:191], v[202:203], v[200:201]
	v_fmac_f64_e32 v[196:197], v[6:7], v[168:169]
	v_fma_f64 v[200:201], v[4:5], v[168:169], -v[170:171]
	ds_load_b128 v[4:7], v2 offset:1392
	s_wait_loadcnt_dscnt 0xa01
	v_mul_f64_e32 v[194:195], v[180:181], v[10:11]
	v_mul_f64_e32 v[10:11], v[182:183], v[10:11]
	scratch_load_b128 v[168:171], off, off offset:576
	v_add_f64_e32 v[192:193], v[192:193], v[198:199]
	s_wait_loadcnt_dscnt 0xa00
	v_mul_f64_e32 v[198:199], v[4:5], v[14:15]
	v_add_f64_e32 v[202:203], v[190:191], v[188:189]
	v_mul_f64_e32 v[14:15], v[6:7], v[14:15]
	ds_load_b128 v[188:191], v2 offset:1408
	v_fmac_f64_e32 v[194:195], v[182:183], v[8:9]
	v_fma_f64 v[180:181], v[180:181], v[8:9], -v[10:11]
	scratch_load_b128 v[8:11], off, off offset:592
	v_add_f64_e32 v[192:193], v[192:193], v[196:197]
	v_fmac_f64_e32 v[198:199], v[6:7], v[12:13]
	v_add_f64_e32 v[182:183], v[202:203], v[200:201]
	v_fma_f64 v[200:201], v[4:5], v[12:13], -v[14:15]
	ds_load_b128 v[4:7], v2 offset:1424
	s_wait_loadcnt_dscnt 0xa01
	v_mul_f64_e32 v[196:197], v[188:189], v[142:143]
	v_mul_f64_e32 v[142:143], v[190:191], v[142:143]
	scratch_load_b128 v[12:15], off, off offset:608
	v_add_f64_e32 v[192:193], v[192:193], v[194:195]
	s_wait_loadcnt_dscnt 0xa00
	v_mul_f64_e32 v[194:195], v[4:5], v[146:147]
	v_add_f64_e32 v[202:203], v[182:183], v[180:181]
	v_mul_f64_e32 v[146:147], v[6:7], v[146:147]
	ds_load_b128 v[180:183], v2 offset:1440
	v_fmac_f64_e32 v[196:197], v[190:191], v[140:141]
	v_fma_f64 v[188:189], v[188:189], v[140:141], -v[142:143]
	scratch_load_b128 v[140:143], off, off offset:624
	v_add_f64_e32 v[192:193], v[192:193], v[198:199]
	v_fmac_f64_e32 v[194:195], v[6:7], v[144:145]
	v_add_f64_e32 v[190:191], v[202:203], v[200:201]
	;; [unrolled: 18-line block ×12, first 2 shown]
	v_fma_f64 v[200:201], v[4:5], v[168:169], -v[170:171]
	ds_load_b128 v[4:7], v2 offset:1776
	s_wait_loadcnt_dscnt 0xa01
	v_mul_f64_e32 v[194:195], v[180:181], v[10:11]
	v_mul_f64_e32 v[10:11], v[182:183], v[10:11]
	scratch_load_b128 v[168:171], off, off offset:960
	v_add_f64_e32 v[192:193], v[192:193], v[198:199]
	s_wait_loadcnt_dscnt 0xa00
	v_mul_f64_e32 v[198:199], v[4:5], v[14:15]
	v_add_f64_e32 v[202:203], v[190:191], v[188:189]
	v_mul_f64_e32 v[14:15], v[6:7], v[14:15]
	ds_load_b128 v[188:191], v2 offset:1792
	v_fmac_f64_e32 v[194:195], v[182:183], v[8:9]
	v_fma_f64 v[8:9], v[180:181], v[8:9], -v[10:11]
	s_wait_loadcnt_dscnt 0x900
	v_mul_f64_e32 v[182:183], v[188:189], v[142:143]
	v_mul_f64_e32 v[142:143], v[190:191], v[142:143]
	v_add_f64_e32 v[180:181], v[192:193], v[196:197]
	v_fmac_f64_e32 v[198:199], v[6:7], v[12:13]
	v_add_f64_e32 v[10:11], v[202:203], v[200:201]
	v_fma_f64 v[12:13], v[4:5], v[12:13], -v[14:15]
	v_fmac_f64_e32 v[182:183], v[190:191], v[140:141]
	v_fma_f64 v[140:141], v[188:189], v[140:141], -v[142:143]
	v_add_f64_e32 v[180:181], v[180:181], v[194:195]
	v_add_f64_e32 v[14:15], v[10:11], v[8:9]
	ds_load_b128 v[4:7], v2 offset:1808
	ds_load_b128 v[8:11], v2 offset:1824
	s_wait_loadcnt_dscnt 0x801
	v_mul_f64_e32 v[192:193], v[4:5], v[146:147]
	v_mul_f64_e32 v[146:147], v[6:7], v[146:147]
	s_wait_loadcnt_dscnt 0x700
	v_mul_f64_e32 v[142:143], v[8:9], v[150:151]
	v_mul_f64_e32 v[150:151], v[10:11], v[150:151]
	v_add_f64_e32 v[12:13], v[14:15], v[12:13]
	v_add_f64_e32 v[14:15], v[180:181], v[198:199]
	v_fmac_f64_e32 v[192:193], v[6:7], v[144:145]
	v_fma_f64 v[144:145], v[4:5], v[144:145], -v[146:147]
	v_fmac_f64_e32 v[142:143], v[10:11], v[148:149]
	v_fma_f64 v[8:9], v[8:9], v[148:149], -v[150:151]
	v_add_f64_e32 v[140:141], v[12:13], v[140:141]
	v_add_f64_e32 v[146:147], v[14:15], v[182:183]
	ds_load_b128 v[4:7], v2 offset:1840
	ds_load_b128 v[12:15], v2 offset:1856
	s_wait_loadcnt_dscnt 0x601
	v_mul_f64_e32 v[180:181], v[4:5], v[154:155]
	v_mul_f64_e32 v[154:155], v[6:7], v[154:155]
	v_add_f64_e32 v[10:11], v[140:141], v[144:145]
	v_add_f64_e32 v[140:141], v[146:147], v[192:193]
	s_wait_loadcnt_dscnt 0x500
	v_mul_f64_e32 v[144:145], v[12:13], v[158:159]
	v_mul_f64_e32 v[146:147], v[14:15], v[158:159]
	v_fmac_f64_e32 v[180:181], v[6:7], v[152:153]
	v_fma_f64 v[148:149], v[4:5], v[152:153], -v[154:155]
	v_add_f64_e32 v[150:151], v[10:11], v[8:9]
	v_add_f64_e32 v[140:141], v[140:141], v[142:143]
	ds_load_b128 v[4:7], v2 offset:1872
	ds_load_b128 v[8:11], v2 offset:1888
	v_fmac_f64_e32 v[144:145], v[14:15], v[156:157]
	v_fma_f64 v[12:13], v[12:13], v[156:157], -v[146:147]
	s_wait_loadcnt_dscnt 0x401
	v_mul_f64_e32 v[142:143], v[4:5], v[162:163]
	v_mul_f64_e32 v[152:153], v[6:7], v[162:163]
	s_wait_loadcnt_dscnt 0x300
	v_mul_f64_e32 v[146:147], v[8:9], v[166:167]
	v_add_f64_e32 v[14:15], v[150:151], v[148:149]
	v_add_f64_e32 v[140:141], v[140:141], v[180:181]
	v_mul_f64_e32 v[148:149], v[10:11], v[166:167]
	v_fmac_f64_e32 v[142:143], v[6:7], v[160:161]
	v_fma_f64 v[150:151], v[4:5], v[160:161], -v[152:153]
	v_fmac_f64_e32 v[146:147], v[10:11], v[164:165]
	v_add_f64_e32 v[152:153], v[14:15], v[12:13]
	v_add_f64_e32 v[140:141], v[140:141], v[144:145]
	ds_load_b128 v[4:7], v2 offset:1904
	ds_load_b128 v[12:15], v2 offset:1920
	v_fma_f64 v[8:9], v[8:9], v[164:165], -v[148:149]
	s_wait_loadcnt_dscnt 0x201
	v_mul_f64_e32 v[144:145], v[4:5], v[174:175]
	v_mul_f64_e32 v[154:155], v[6:7], v[174:175]
	s_wait_loadcnt_dscnt 0x100
	v_mul_f64_e32 v[148:149], v[14:15], v[186:187]
	v_add_f64_e32 v[10:11], v[152:153], v[150:151]
	v_add_f64_e32 v[140:141], v[140:141], v[142:143]
	v_mul_f64_e32 v[142:143], v[12:13], v[186:187]
	v_fmac_f64_e32 v[144:145], v[6:7], v[172:173]
	v_fma_f64 v[150:151], v[4:5], v[172:173], -v[154:155]
	ds_load_b128 v[4:7], v2 offset:1936
	v_fma_f64 v[12:13], v[12:13], v[184:185], -v[148:149]
	v_add_f64_e32 v[8:9], v[10:11], v[8:9]
	v_add_f64_e32 v[10:11], v[140:141], v[146:147]
	v_fmac_f64_e32 v[142:143], v[14:15], v[184:185]
	s_wait_loadcnt_dscnt 0x0
	v_mul_f64_e32 v[140:141], v[4:5], v[170:171]
	v_mul_f64_e32 v[146:147], v[6:7], v[170:171]
	v_add_f64_e32 v[8:9], v[8:9], v[150:151]
	v_add_f64_e32 v[10:11], v[10:11], v[144:145]
	s_delay_alu instid0(VALU_DEP_4) | instskip(NEXT) | instid1(VALU_DEP_4)
	v_fmac_f64_e32 v[140:141], v[6:7], v[168:169]
	v_fma_f64 v[4:5], v[4:5], v[168:169], -v[146:147]
	s_delay_alu instid0(VALU_DEP_4) | instskip(NEXT) | instid1(VALU_DEP_4)
	v_add_f64_e32 v[6:7], v[8:9], v[12:13]
	v_add_f64_e32 v[8:9], v[10:11], v[142:143]
	s_delay_alu instid0(VALU_DEP_2) | instskip(NEXT) | instid1(VALU_DEP_2)
	v_add_f64_e32 v[4:5], v[6:7], v[4:5]
	v_add_f64_e32 v[6:7], v[8:9], v[140:141]
	s_delay_alu instid0(VALU_DEP_2) | instskip(NEXT) | instid1(VALU_DEP_2)
	v_add_f64_e64 v[4:5], v[176:177], -v[4:5]
	v_add_f64_e64 v[6:7], v[178:179], -v[6:7]
	scratch_store_b128 off, v[4:7], off offset:176
	s_wait_xcnt 0x0
	v_cmpx_lt_u32_e32 10, v1
	s_cbranch_execz .LBB60_371
; %bb.370:
	scratch_load_b128 v[6:9], off, s55
	v_dual_mov_b32 v3, v2 :: v_dual_mov_b32 v4, v2
	v_mov_b32_e32 v5, v2
	scratch_store_b128 off, v[2:5], off offset:160
	s_wait_loadcnt 0x0
	ds_store_b128 v138, v[6:9]
.LBB60_371:
	s_wait_xcnt 0x0
	s_or_b32 exec_lo, exec_lo, s2
	s_wait_storecnt_dscnt 0x0
	s_barrier_signal -1
	s_barrier_wait -1
	s_clause 0x9
	scratch_load_b128 v[4:7], off, off offset:176
	scratch_load_b128 v[8:11], off, off offset:192
	;; [unrolled: 1-line block ×10, first 2 shown]
	ds_load_b128 v[168:171], v2 offset:1152
	ds_load_b128 v[176:179], v2 offset:1168
	s_clause 0x2
	scratch_load_b128 v[172:175], off, off offset:336
	scratch_load_b128 v[180:183], off, off offset:160
	;; [unrolled: 1-line block ×3, first 2 shown]
	s_mov_b32 s2, exec_lo
	s_wait_loadcnt_dscnt 0xc01
	v_mul_f64_e32 v[188:189], v[170:171], v[6:7]
	v_mul_f64_e32 v[192:193], v[168:169], v[6:7]
	s_wait_loadcnt_dscnt 0xb00
	v_mul_f64_e32 v[194:195], v[176:177], v[10:11]
	v_mul_f64_e32 v[10:11], v[178:179], v[10:11]
	s_delay_alu instid0(VALU_DEP_4) | instskip(NEXT) | instid1(VALU_DEP_4)
	v_fma_f64 v[196:197], v[168:169], v[4:5], -v[188:189]
	v_fmac_f64_e32 v[192:193], v[170:171], v[4:5]
	ds_load_b128 v[4:7], v2 offset:1184
	ds_load_b128 v[168:171], v2 offset:1200
	scratch_load_b128 v[188:191], off, off offset:368
	v_fmac_f64_e32 v[194:195], v[178:179], v[8:9]
	v_fma_f64 v[176:177], v[176:177], v[8:9], -v[10:11]
	scratch_load_b128 v[8:11], off, off offset:384
	s_wait_loadcnt_dscnt 0xc01
	v_mul_f64_e32 v[198:199], v[4:5], v[14:15]
	v_mul_f64_e32 v[14:15], v[6:7], v[14:15]
	v_add_f64_e32 v[178:179], 0, v[196:197]
	v_add_f64_e32 v[192:193], 0, v[192:193]
	s_wait_loadcnt_dscnt 0xb00
	v_mul_f64_e32 v[196:197], v[168:169], v[142:143]
	v_mul_f64_e32 v[142:143], v[170:171], v[142:143]
	v_fmac_f64_e32 v[198:199], v[6:7], v[12:13]
	v_fma_f64 v[200:201], v[4:5], v[12:13], -v[14:15]
	ds_load_b128 v[4:7], v2 offset:1216
	ds_load_b128 v[12:15], v2 offset:1232
	v_add_f64_e32 v[202:203], v[178:179], v[176:177]
	v_add_f64_e32 v[192:193], v[192:193], v[194:195]
	scratch_load_b128 v[176:179], off, off offset:400
	v_fmac_f64_e32 v[196:197], v[170:171], v[140:141]
	v_fma_f64 v[168:169], v[168:169], v[140:141], -v[142:143]
	scratch_load_b128 v[140:143], off, off offset:416
	s_wait_loadcnt_dscnt 0xc01
	v_mul_f64_e32 v[194:195], v[4:5], v[146:147]
	v_mul_f64_e32 v[146:147], v[6:7], v[146:147]
	v_add_f64_e32 v[170:171], v[202:203], v[200:201]
	v_add_f64_e32 v[192:193], v[192:193], v[198:199]
	s_wait_loadcnt_dscnt 0xb00
	v_mul_f64_e32 v[198:199], v[12:13], v[150:151]
	v_mul_f64_e32 v[150:151], v[14:15], v[150:151]
	v_fmac_f64_e32 v[194:195], v[6:7], v[144:145]
	v_fma_f64 v[200:201], v[4:5], v[144:145], -v[146:147]
	ds_load_b128 v[4:7], v2 offset:1248
	ds_load_b128 v[144:147], v2 offset:1264
	v_add_f64_e32 v[202:203], v[170:171], v[168:169]
	v_add_f64_e32 v[192:193], v[192:193], v[196:197]
	scratch_load_b128 v[168:171], off, off offset:432
	s_wait_loadcnt_dscnt 0xb01
	v_mul_f64_e32 v[196:197], v[4:5], v[154:155]
	v_mul_f64_e32 v[154:155], v[6:7], v[154:155]
	v_fmac_f64_e32 v[198:199], v[14:15], v[148:149]
	v_fma_f64 v[148:149], v[12:13], v[148:149], -v[150:151]
	scratch_load_b128 v[12:15], off, off offset:448
	v_add_f64_e32 v[150:151], v[202:203], v[200:201]
	v_add_f64_e32 v[192:193], v[192:193], v[194:195]
	s_wait_loadcnt_dscnt 0xb00
	v_mul_f64_e32 v[194:195], v[144:145], v[158:159]
	v_mul_f64_e32 v[158:159], v[146:147], v[158:159]
	v_fmac_f64_e32 v[196:197], v[6:7], v[152:153]
	v_fma_f64 v[200:201], v[4:5], v[152:153], -v[154:155]
	v_add_f64_e32 v[202:203], v[150:151], v[148:149]
	v_add_f64_e32 v[192:193], v[192:193], v[198:199]
	ds_load_b128 v[4:7], v2 offset:1280
	ds_load_b128 v[148:151], v2 offset:1296
	scratch_load_b128 v[152:155], off, off offset:464
	v_fmac_f64_e32 v[194:195], v[146:147], v[156:157]
	v_fma_f64 v[156:157], v[144:145], v[156:157], -v[158:159]
	scratch_load_b128 v[144:147], off, off offset:480
	s_wait_loadcnt_dscnt 0xc01
	v_mul_f64_e32 v[198:199], v[4:5], v[162:163]
	v_mul_f64_e32 v[162:163], v[6:7], v[162:163]
	v_add_f64_e32 v[158:159], v[202:203], v[200:201]
	v_add_f64_e32 v[192:193], v[192:193], v[196:197]
	s_wait_loadcnt_dscnt 0xb00
	v_mul_f64_e32 v[196:197], v[148:149], v[166:167]
	v_mul_f64_e32 v[166:167], v[150:151], v[166:167]
	v_fmac_f64_e32 v[198:199], v[6:7], v[160:161]
	v_fma_f64 v[200:201], v[4:5], v[160:161], -v[162:163]
	v_add_f64_e32 v[202:203], v[158:159], v[156:157]
	v_add_f64_e32 v[192:193], v[192:193], v[194:195]
	ds_load_b128 v[4:7], v2 offset:1312
	ds_load_b128 v[156:159], v2 offset:1328
	scratch_load_b128 v[160:163], off, off offset:496
	v_fmac_f64_e32 v[196:197], v[150:151], v[164:165]
	v_fma_f64 v[164:165], v[148:149], v[164:165], -v[166:167]
	scratch_load_b128 v[148:151], off, off offset:512
	s_wait_loadcnt_dscnt 0xc01
	v_mul_f64_e32 v[194:195], v[4:5], v[174:175]
	v_mul_f64_e32 v[174:175], v[6:7], v[174:175]
	v_add_f64_e32 v[166:167], v[202:203], v[200:201]
	v_add_f64_e32 v[192:193], v[192:193], v[198:199]
	s_wait_loadcnt_dscnt 0xa00
	v_mul_f64_e32 v[198:199], v[156:157], v[186:187]
	v_mul_f64_e32 v[186:187], v[158:159], v[186:187]
	v_fmac_f64_e32 v[194:195], v[6:7], v[172:173]
	v_fma_f64 v[200:201], v[4:5], v[172:173], -v[174:175]
	v_add_f64_e32 v[202:203], v[166:167], v[164:165]
	v_add_f64_e32 v[192:193], v[192:193], v[196:197]
	ds_load_b128 v[4:7], v2 offset:1344
	ds_load_b128 v[164:167], v2 offset:1360
	scratch_load_b128 v[172:175], off, off offset:528
	v_fmac_f64_e32 v[198:199], v[158:159], v[184:185]
	v_fma_f64 v[184:185], v[156:157], v[184:185], -v[186:187]
	scratch_load_b128 v[156:159], off, off offset:544
	s_wait_loadcnt_dscnt 0xb01
	v_mul_f64_e32 v[196:197], v[4:5], v[190:191]
	v_mul_f64_e32 v[190:191], v[6:7], v[190:191]
	v_add_f64_e32 v[186:187], v[202:203], v[200:201]
	v_add_f64_e32 v[192:193], v[192:193], v[194:195]
	s_wait_loadcnt_dscnt 0xa00
	v_mul_f64_e32 v[194:195], v[164:165], v[10:11]
	v_mul_f64_e32 v[10:11], v[166:167], v[10:11]
	v_fmac_f64_e32 v[196:197], v[6:7], v[188:189]
	v_fma_f64 v[200:201], v[4:5], v[188:189], -v[190:191]
	v_add_f64_e32 v[202:203], v[186:187], v[184:185]
	v_add_f64_e32 v[192:193], v[192:193], v[198:199]
	ds_load_b128 v[4:7], v2 offset:1376
	ds_load_b128 v[184:187], v2 offset:1392
	scratch_load_b128 v[188:191], off, off offset:560
	v_fmac_f64_e32 v[194:195], v[166:167], v[8:9]
	v_fma_f64 v[164:165], v[164:165], v[8:9], -v[10:11]
	scratch_load_b128 v[8:11], off, off offset:576
	s_wait_loadcnt_dscnt 0xb01
	v_mul_f64_e32 v[198:199], v[4:5], v[178:179]
	v_mul_f64_e32 v[178:179], v[6:7], v[178:179]
	v_add_f64_e32 v[166:167], v[202:203], v[200:201]
	v_add_f64_e32 v[192:193], v[192:193], v[196:197]
	s_wait_loadcnt_dscnt 0xa00
	v_mul_f64_e32 v[196:197], v[184:185], v[142:143]
	v_mul_f64_e32 v[142:143], v[186:187], v[142:143]
	v_fmac_f64_e32 v[198:199], v[6:7], v[176:177]
	v_fma_f64 v[200:201], v[4:5], v[176:177], -v[178:179]
	v_add_f64_e32 v[202:203], v[166:167], v[164:165]
	v_add_f64_e32 v[192:193], v[192:193], v[194:195]
	ds_load_b128 v[4:7], v2 offset:1408
	ds_load_b128 v[164:167], v2 offset:1424
	scratch_load_b128 v[176:179], off, off offset:592
	v_fmac_f64_e32 v[196:197], v[186:187], v[140:141]
	v_fma_f64 v[184:185], v[184:185], v[140:141], -v[142:143]
	scratch_load_b128 v[140:143], off, off offset:608
	s_wait_loadcnt_dscnt 0xb01
	v_mul_f64_e32 v[194:195], v[4:5], v[170:171]
	v_mul_f64_e32 v[170:171], v[6:7], v[170:171]
	v_add_f64_e32 v[186:187], v[202:203], v[200:201]
	v_add_f64_e32 v[192:193], v[192:193], v[198:199]
	s_wait_loadcnt_dscnt 0xa00
	v_mul_f64_e32 v[198:199], v[164:165], v[14:15]
	v_mul_f64_e32 v[14:15], v[166:167], v[14:15]
	v_fmac_f64_e32 v[194:195], v[6:7], v[168:169]
	v_fma_f64 v[200:201], v[4:5], v[168:169], -v[170:171]
	ds_load_b128 v[4:7], v2 offset:1440
	ds_load_b128 v[168:171], v2 offset:1456
	v_add_f64_e32 v[202:203], v[186:187], v[184:185]
	v_add_f64_e32 v[192:193], v[192:193], v[196:197]
	scratch_load_b128 v[184:187], off, off offset:624
	v_fmac_f64_e32 v[198:199], v[166:167], v[12:13]
	v_fma_f64 v[164:165], v[164:165], v[12:13], -v[14:15]
	scratch_load_b128 v[12:15], off, off offset:640
	s_wait_loadcnt_dscnt 0xb01
	v_mul_f64_e32 v[196:197], v[4:5], v[154:155]
	v_mul_f64_e32 v[154:155], v[6:7], v[154:155]
	v_add_f64_e32 v[166:167], v[202:203], v[200:201]
	v_add_f64_e32 v[192:193], v[192:193], v[194:195]
	s_wait_loadcnt_dscnt 0xa00
	v_mul_f64_e32 v[194:195], v[168:169], v[146:147]
	v_mul_f64_e32 v[146:147], v[170:171], v[146:147]
	v_fmac_f64_e32 v[196:197], v[6:7], v[152:153]
	v_fma_f64 v[200:201], v[4:5], v[152:153], -v[154:155]
	ds_load_b128 v[4:7], v2 offset:1472
	ds_load_b128 v[152:155], v2 offset:1488
	v_add_f64_e32 v[202:203], v[166:167], v[164:165]
	v_add_f64_e32 v[192:193], v[192:193], v[198:199]
	scratch_load_b128 v[164:167], off, off offset:656
	s_wait_loadcnt_dscnt 0xa01
	v_mul_f64_e32 v[198:199], v[4:5], v[162:163]
	v_mul_f64_e32 v[162:163], v[6:7], v[162:163]
	v_fmac_f64_e32 v[194:195], v[170:171], v[144:145]
	v_fma_f64 v[168:169], v[168:169], v[144:145], -v[146:147]
	scratch_load_b128 v[144:147], off, off offset:672
	v_add_f64_e32 v[170:171], v[202:203], v[200:201]
	v_add_f64_e32 v[192:193], v[192:193], v[196:197]
	s_wait_loadcnt_dscnt 0xa00
	v_mul_f64_e32 v[196:197], v[152:153], v[150:151]
	v_mul_f64_e32 v[150:151], v[154:155], v[150:151]
	v_fmac_f64_e32 v[198:199], v[6:7], v[160:161]
	v_fma_f64 v[200:201], v[4:5], v[160:161], -v[162:163]
	ds_load_b128 v[4:7], v2 offset:1504
	ds_load_b128 v[160:163], v2 offset:1520
	v_add_f64_e32 v[202:203], v[170:171], v[168:169]
	v_add_f64_e32 v[192:193], v[192:193], v[194:195]
	scratch_load_b128 v[168:171], off, off offset:688
	s_wait_loadcnt_dscnt 0xa01
	v_mul_f64_e32 v[194:195], v[4:5], v[174:175]
	v_mul_f64_e32 v[174:175], v[6:7], v[174:175]
	v_fmac_f64_e32 v[196:197], v[154:155], v[148:149]
	v_fma_f64 v[152:153], v[152:153], v[148:149], -v[150:151]
	scratch_load_b128 v[148:151], off, off offset:704
	v_add_f64_e32 v[154:155], v[202:203], v[200:201]
	v_add_f64_e32 v[192:193], v[192:193], v[198:199]
	s_wait_loadcnt_dscnt 0xa00
	v_mul_f64_e32 v[198:199], v[160:161], v[158:159]
	v_mul_f64_e32 v[158:159], v[162:163], v[158:159]
	v_fmac_f64_e32 v[194:195], v[6:7], v[172:173]
	v_fma_f64 v[200:201], v[4:5], v[172:173], -v[174:175]
	v_add_f64_e32 v[202:203], v[154:155], v[152:153]
	v_add_f64_e32 v[192:193], v[192:193], v[196:197]
	ds_load_b128 v[4:7], v2 offset:1536
	ds_load_b128 v[152:155], v2 offset:1552
	scratch_load_b128 v[172:175], off, off offset:720
	v_fmac_f64_e32 v[198:199], v[162:163], v[156:157]
	v_fma_f64 v[160:161], v[160:161], v[156:157], -v[158:159]
	scratch_load_b128 v[156:159], off, off offset:736
	s_wait_loadcnt_dscnt 0xb01
	v_mul_f64_e32 v[196:197], v[4:5], v[190:191]
	v_mul_f64_e32 v[190:191], v[6:7], v[190:191]
	v_add_f64_e32 v[162:163], v[202:203], v[200:201]
	v_add_f64_e32 v[192:193], v[192:193], v[194:195]
	s_wait_loadcnt_dscnt 0xa00
	v_mul_f64_e32 v[194:195], v[152:153], v[10:11]
	v_mul_f64_e32 v[10:11], v[154:155], v[10:11]
	v_fmac_f64_e32 v[196:197], v[6:7], v[188:189]
	v_fma_f64 v[200:201], v[4:5], v[188:189], -v[190:191]
	v_add_f64_e32 v[202:203], v[162:163], v[160:161]
	v_add_f64_e32 v[192:193], v[192:193], v[198:199]
	ds_load_b128 v[4:7], v2 offset:1568
	ds_load_b128 v[160:163], v2 offset:1584
	scratch_load_b128 v[188:191], off, off offset:752
	v_fmac_f64_e32 v[194:195], v[154:155], v[8:9]
	v_fma_f64 v[152:153], v[152:153], v[8:9], -v[10:11]
	scratch_load_b128 v[8:11], off, off offset:768
	s_wait_loadcnt_dscnt 0xb01
	v_mul_f64_e32 v[198:199], v[4:5], v[178:179]
	v_mul_f64_e32 v[178:179], v[6:7], v[178:179]
	;; [unrolled: 18-line block ×8, first 2 shown]
	v_add_f64_e32 v[154:155], v[202:203], v[200:201]
	v_add_f64_e32 v[192:193], v[192:193], v[196:197]
	s_wait_loadcnt_dscnt 0xa00
	v_mul_f64_e32 v[196:197], v[160:161], v[142:143]
	v_mul_f64_e32 v[142:143], v[162:163], v[142:143]
	v_fmac_f64_e32 v[198:199], v[6:7], v[176:177]
	v_fma_f64 v[176:177], v[4:5], v[176:177], -v[178:179]
	v_add_f64_e32 v[178:179], v[154:155], v[152:153]
	v_add_f64_e32 v[192:193], v[192:193], v[194:195]
	ds_load_b128 v[4:7], v2 offset:1792
	ds_load_b128 v[152:155], v2 offset:1808
	v_fmac_f64_e32 v[196:197], v[162:163], v[140:141]
	v_fma_f64 v[140:141], v[160:161], v[140:141], -v[142:143]
	s_wait_loadcnt_dscnt 0x901
	v_mul_f64_e32 v[194:195], v[4:5], v[186:187]
	v_mul_f64_e32 v[186:187], v[6:7], v[186:187]
	s_wait_loadcnt_dscnt 0x800
	v_mul_f64_e32 v[162:163], v[152:153], v[14:15]
	v_mul_f64_e32 v[14:15], v[154:155], v[14:15]
	v_add_f64_e32 v[142:143], v[178:179], v[176:177]
	v_add_f64_e32 v[160:161], v[192:193], v[198:199]
	v_fmac_f64_e32 v[194:195], v[6:7], v[184:185]
	v_fma_f64 v[176:177], v[4:5], v[184:185], -v[186:187]
	v_fmac_f64_e32 v[162:163], v[154:155], v[12:13]
	v_fma_f64 v[12:13], v[152:153], v[12:13], -v[14:15]
	v_add_f64_e32 v[178:179], v[142:143], v[140:141]
	v_add_f64_e32 v[160:161], v[160:161], v[196:197]
	ds_load_b128 v[4:7], v2 offset:1824
	ds_load_b128 v[140:143], v2 offset:1840
	s_wait_loadcnt_dscnt 0x701
	v_mul_f64_e32 v[184:185], v[4:5], v[166:167]
	v_mul_f64_e32 v[166:167], v[6:7], v[166:167]
	s_wait_loadcnt_dscnt 0x600
	v_mul_f64_e32 v[154:155], v[140:141], v[146:147]
	v_mul_f64_e32 v[146:147], v[142:143], v[146:147]
	v_add_f64_e32 v[14:15], v[178:179], v[176:177]
	v_add_f64_e32 v[152:153], v[160:161], v[194:195]
	v_fmac_f64_e32 v[184:185], v[6:7], v[164:165]
	v_fma_f64 v[160:161], v[4:5], v[164:165], -v[166:167]
	v_fmac_f64_e32 v[154:155], v[142:143], v[144:145]
	v_fma_f64 v[140:141], v[140:141], v[144:145], -v[146:147]
	v_add_f64_e32 v[164:165], v[14:15], v[12:13]
	v_add_f64_e32 v[152:153], v[152:153], v[162:163]
	ds_load_b128 v[4:7], v2 offset:1856
	ds_load_b128 v[12:15], v2 offset:1872
	;; [unrolled: 16-line block ×4, first 2 shown]
	s_wait_loadcnt_dscnt 0x101
	v_mul_f64_e32 v[2:3], v[4:5], v[190:191]
	v_mul_f64_e32 v[146:147], v[6:7], v[190:191]
	s_wait_loadcnt_dscnt 0x0
	v_mul_f64_e32 v[150:151], v[12:13], v[10:11]
	v_mul_f64_e32 v[10:11], v[14:15], v[10:11]
	v_add_f64_e32 v[142:143], v[158:159], v[152:153]
	v_add_f64_e32 v[144:145], v[144:145], v[154:155]
	v_fmac_f64_e32 v[2:3], v[6:7], v[188:189]
	v_fma_f64 v[4:5], v[4:5], v[188:189], -v[146:147]
	v_fmac_f64_e32 v[150:151], v[14:15], v[8:9]
	v_fma_f64 v[8:9], v[12:13], v[8:9], -v[10:11]
	v_add_f64_e32 v[6:7], v[142:143], v[140:141]
	v_add_f64_e32 v[140:141], v[144:145], v[148:149]
	s_delay_alu instid0(VALU_DEP_2) | instskip(NEXT) | instid1(VALU_DEP_2)
	v_add_f64_e32 v[4:5], v[6:7], v[4:5]
	v_add_f64_e32 v[2:3], v[140:141], v[2:3]
	s_delay_alu instid0(VALU_DEP_2) | instskip(NEXT) | instid1(VALU_DEP_2)
	;; [unrolled: 3-line block ×3, first 2 shown]
	v_add_f64_e64 v[2:3], v[180:181], -v[4:5]
	v_add_f64_e64 v[4:5], v[182:183], -v[6:7]
	scratch_store_b128 off, v[2:5], off offset:160
	s_wait_xcnt 0x0
	v_cmpx_lt_u32_e32 9, v1
	s_cbranch_execz .LBB60_373
; %bb.372:
	scratch_load_b128 v[2:5], off, s70
	v_mov_b32_e32 v6, 0
	s_delay_alu instid0(VALU_DEP_1)
	v_dual_mov_b32 v7, v6 :: v_dual_mov_b32 v8, v6
	v_mov_b32_e32 v9, v6
	scratch_store_b128 off, v[6:9], off offset:144
	s_wait_loadcnt 0x0
	ds_store_b128 v138, v[2:5]
.LBB60_373:
	s_wait_xcnt 0x0
	s_or_b32 exec_lo, exec_lo, s2
	s_wait_storecnt_dscnt 0x0
	s_barrier_signal -1
	s_barrier_wait -1
	s_clause 0x9
	scratch_load_b128 v[4:7], off, off offset:160
	scratch_load_b128 v[8:11], off, off offset:176
	;; [unrolled: 1-line block ×10, first 2 shown]
	v_mov_b32_e32 v2, 0
	s_mov_b32 s2, exec_lo
	ds_load_b128 v[168:171], v2 offset:1136
	s_clause 0x2
	scratch_load_b128 v[172:175], off, off offset:320
	scratch_load_b128 v[176:179], off, off offset:144
	;; [unrolled: 1-line block ×3, first 2 shown]
	s_wait_loadcnt_dscnt 0xc00
	v_mul_f64_e32 v[188:189], v[170:171], v[6:7]
	v_mul_f64_e32 v[192:193], v[168:169], v[6:7]
	ds_load_b128 v[180:183], v2 offset:1152
	v_fma_f64 v[196:197], v[168:169], v[4:5], -v[188:189]
	v_fmac_f64_e32 v[192:193], v[170:171], v[4:5]
	ds_load_b128 v[4:7], v2 offset:1168
	s_wait_loadcnt_dscnt 0xb01
	v_mul_f64_e32 v[194:195], v[180:181], v[10:11]
	v_mul_f64_e32 v[10:11], v[182:183], v[10:11]
	scratch_load_b128 v[168:171], off, off offset:352
	ds_load_b128 v[188:191], v2 offset:1184
	s_wait_loadcnt_dscnt 0xb01
	v_mul_f64_e32 v[198:199], v[4:5], v[14:15]
	v_mul_f64_e32 v[14:15], v[6:7], v[14:15]
	v_add_f64_e32 v[192:193], 0, v[192:193]
	v_fmac_f64_e32 v[194:195], v[182:183], v[8:9]
	v_fma_f64 v[180:181], v[180:181], v[8:9], -v[10:11]
	v_add_f64_e32 v[182:183], 0, v[196:197]
	scratch_load_b128 v[8:11], off, off offset:368
	v_fmac_f64_e32 v[198:199], v[6:7], v[12:13]
	v_fma_f64 v[200:201], v[4:5], v[12:13], -v[14:15]
	ds_load_b128 v[4:7], v2 offset:1200
	s_wait_loadcnt_dscnt 0xb01
	v_mul_f64_e32 v[196:197], v[188:189], v[142:143]
	v_mul_f64_e32 v[142:143], v[190:191], v[142:143]
	scratch_load_b128 v[12:15], off, off offset:384
	v_add_f64_e32 v[192:193], v[192:193], v[194:195]
	v_add_f64_e32 v[202:203], v[182:183], v[180:181]
	ds_load_b128 v[180:183], v2 offset:1216
	s_wait_loadcnt_dscnt 0xb01
	v_mul_f64_e32 v[194:195], v[4:5], v[146:147]
	v_mul_f64_e32 v[146:147], v[6:7], v[146:147]
	v_fmac_f64_e32 v[196:197], v[190:191], v[140:141]
	v_fma_f64 v[188:189], v[188:189], v[140:141], -v[142:143]
	scratch_load_b128 v[140:143], off, off offset:400
	v_add_f64_e32 v[192:193], v[192:193], v[198:199]
	v_add_f64_e32 v[190:191], v[202:203], v[200:201]
	v_fmac_f64_e32 v[194:195], v[6:7], v[144:145]
	v_fma_f64 v[200:201], v[4:5], v[144:145], -v[146:147]
	ds_load_b128 v[4:7], v2 offset:1232
	s_wait_loadcnt_dscnt 0xb01
	v_mul_f64_e32 v[198:199], v[180:181], v[150:151]
	v_mul_f64_e32 v[150:151], v[182:183], v[150:151]
	scratch_load_b128 v[144:147], off, off offset:416
	v_add_f64_e32 v[192:193], v[192:193], v[196:197]
	s_wait_loadcnt_dscnt 0xb00
	v_mul_f64_e32 v[196:197], v[4:5], v[154:155]
	v_add_f64_e32 v[202:203], v[190:191], v[188:189]
	v_mul_f64_e32 v[154:155], v[6:7], v[154:155]
	ds_load_b128 v[188:191], v2 offset:1248
	v_fmac_f64_e32 v[198:199], v[182:183], v[148:149]
	v_fma_f64 v[180:181], v[180:181], v[148:149], -v[150:151]
	scratch_load_b128 v[148:151], off, off offset:432
	v_add_f64_e32 v[192:193], v[192:193], v[194:195]
	v_fmac_f64_e32 v[196:197], v[6:7], v[152:153]
	v_add_f64_e32 v[182:183], v[202:203], v[200:201]
	v_fma_f64 v[200:201], v[4:5], v[152:153], -v[154:155]
	ds_load_b128 v[4:7], v2 offset:1264
	s_wait_loadcnt_dscnt 0xb01
	v_mul_f64_e32 v[194:195], v[188:189], v[158:159]
	v_mul_f64_e32 v[158:159], v[190:191], v[158:159]
	scratch_load_b128 v[152:155], off, off offset:448
	v_add_f64_e32 v[192:193], v[192:193], v[198:199]
	s_wait_loadcnt_dscnt 0xb00
	v_mul_f64_e32 v[198:199], v[4:5], v[162:163]
	v_add_f64_e32 v[202:203], v[182:183], v[180:181]
	v_mul_f64_e32 v[162:163], v[6:7], v[162:163]
	ds_load_b128 v[180:183], v2 offset:1280
	v_fmac_f64_e32 v[194:195], v[190:191], v[156:157]
	v_fma_f64 v[188:189], v[188:189], v[156:157], -v[158:159]
	scratch_load_b128 v[156:159], off, off offset:464
	v_add_f64_e32 v[192:193], v[192:193], v[196:197]
	v_fmac_f64_e32 v[198:199], v[6:7], v[160:161]
	v_add_f64_e32 v[190:191], v[202:203], v[200:201]
	;; [unrolled: 18-line block ×3, first 2 shown]
	v_fma_f64 v[200:201], v[4:5], v[172:173], -v[174:175]
	ds_load_b128 v[4:7], v2 offset:1328
	s_wait_loadcnt_dscnt 0xa01
	v_mul_f64_e32 v[198:199], v[188:189], v[186:187]
	v_mul_f64_e32 v[186:187], v[190:191], v[186:187]
	scratch_load_b128 v[172:175], off, off offset:512
	v_add_f64_e32 v[192:193], v[192:193], v[196:197]
	v_add_f64_e32 v[202:203], v[182:183], v[180:181]
	s_wait_loadcnt_dscnt 0xa00
	v_mul_f64_e32 v[196:197], v[4:5], v[170:171]
	v_mul_f64_e32 v[170:171], v[6:7], v[170:171]
	v_fmac_f64_e32 v[198:199], v[190:191], v[184:185]
	v_fma_f64 v[188:189], v[188:189], v[184:185], -v[186:187]
	ds_load_b128 v[180:183], v2 offset:1344
	scratch_load_b128 v[184:187], off, off offset:528
	v_add_f64_e32 v[192:193], v[192:193], v[194:195]
	v_add_f64_e32 v[190:191], v[202:203], v[200:201]
	v_fmac_f64_e32 v[196:197], v[6:7], v[168:169]
	v_fma_f64 v[200:201], v[4:5], v[168:169], -v[170:171]
	ds_load_b128 v[4:7], v2 offset:1360
	s_wait_loadcnt_dscnt 0xa01
	v_mul_f64_e32 v[194:195], v[180:181], v[10:11]
	v_mul_f64_e32 v[10:11], v[182:183], v[10:11]
	scratch_load_b128 v[168:171], off, off offset:544
	v_add_f64_e32 v[192:193], v[192:193], v[198:199]
	s_wait_loadcnt_dscnt 0xa00
	v_mul_f64_e32 v[198:199], v[4:5], v[14:15]
	v_add_f64_e32 v[202:203], v[190:191], v[188:189]
	v_mul_f64_e32 v[14:15], v[6:7], v[14:15]
	ds_load_b128 v[188:191], v2 offset:1376
	v_fmac_f64_e32 v[194:195], v[182:183], v[8:9]
	v_fma_f64 v[180:181], v[180:181], v[8:9], -v[10:11]
	scratch_load_b128 v[8:11], off, off offset:560
	v_add_f64_e32 v[192:193], v[192:193], v[196:197]
	v_fmac_f64_e32 v[198:199], v[6:7], v[12:13]
	v_add_f64_e32 v[182:183], v[202:203], v[200:201]
	v_fma_f64 v[200:201], v[4:5], v[12:13], -v[14:15]
	ds_load_b128 v[4:7], v2 offset:1392
	s_wait_loadcnt_dscnt 0xa01
	v_mul_f64_e32 v[196:197], v[188:189], v[142:143]
	v_mul_f64_e32 v[142:143], v[190:191], v[142:143]
	scratch_load_b128 v[12:15], off, off offset:576
	v_add_f64_e32 v[192:193], v[192:193], v[194:195]
	s_wait_loadcnt_dscnt 0xa00
	v_mul_f64_e32 v[194:195], v[4:5], v[146:147]
	v_add_f64_e32 v[202:203], v[182:183], v[180:181]
	v_mul_f64_e32 v[146:147], v[6:7], v[146:147]
	ds_load_b128 v[180:183], v2 offset:1408
	v_fmac_f64_e32 v[196:197], v[190:191], v[140:141]
	v_fma_f64 v[188:189], v[188:189], v[140:141], -v[142:143]
	scratch_load_b128 v[140:143], off, off offset:592
	v_add_f64_e32 v[192:193], v[192:193], v[198:199]
	v_fmac_f64_e32 v[194:195], v[6:7], v[144:145]
	v_add_f64_e32 v[190:191], v[202:203], v[200:201]
	;; [unrolled: 18-line block ×13, first 2 shown]
	v_fma_f64 v[200:201], v[4:5], v[12:13], -v[14:15]
	ds_load_b128 v[4:7], v2 offset:1776
	s_wait_loadcnt_dscnt 0xa01
	v_mul_f64_e32 v[196:197], v[188:189], v[142:143]
	v_mul_f64_e32 v[142:143], v[190:191], v[142:143]
	scratch_load_b128 v[12:15], off, off offset:960
	v_add_f64_e32 v[192:193], v[192:193], v[194:195]
	s_wait_loadcnt_dscnt 0xa00
	v_mul_f64_e32 v[194:195], v[4:5], v[146:147]
	v_add_f64_e32 v[202:203], v[182:183], v[180:181]
	v_mul_f64_e32 v[146:147], v[6:7], v[146:147]
	ds_load_b128 v[180:183], v2 offset:1792
	v_fmac_f64_e32 v[196:197], v[190:191], v[140:141]
	v_fma_f64 v[140:141], v[188:189], v[140:141], -v[142:143]
	s_wait_loadcnt_dscnt 0x900
	v_mul_f64_e32 v[190:191], v[180:181], v[150:151]
	v_mul_f64_e32 v[150:151], v[182:183], v[150:151]
	v_add_f64_e32 v[188:189], v[192:193], v[198:199]
	v_fmac_f64_e32 v[194:195], v[6:7], v[144:145]
	v_add_f64_e32 v[142:143], v[202:203], v[200:201]
	v_fma_f64 v[144:145], v[4:5], v[144:145], -v[146:147]
	v_fmac_f64_e32 v[190:191], v[182:183], v[148:149]
	v_fma_f64 v[148:149], v[180:181], v[148:149], -v[150:151]
	v_add_f64_e32 v[188:189], v[188:189], v[196:197]
	v_add_f64_e32 v[146:147], v[142:143], v[140:141]
	ds_load_b128 v[4:7], v2 offset:1808
	ds_load_b128 v[140:143], v2 offset:1824
	s_wait_loadcnt_dscnt 0x801
	v_mul_f64_e32 v[192:193], v[4:5], v[154:155]
	v_mul_f64_e32 v[154:155], v[6:7], v[154:155]
	s_wait_loadcnt_dscnt 0x700
	v_mul_f64_e32 v[150:151], v[140:141], v[158:159]
	v_mul_f64_e32 v[158:159], v[142:143], v[158:159]
	v_add_f64_e32 v[144:145], v[146:147], v[144:145]
	v_add_f64_e32 v[146:147], v[188:189], v[194:195]
	v_fmac_f64_e32 v[192:193], v[6:7], v[152:153]
	v_fma_f64 v[152:153], v[4:5], v[152:153], -v[154:155]
	v_fmac_f64_e32 v[150:151], v[142:143], v[156:157]
	v_fma_f64 v[140:141], v[140:141], v[156:157], -v[158:159]
	v_add_f64_e32 v[148:149], v[144:145], v[148:149]
	v_add_f64_e32 v[154:155], v[146:147], v[190:191]
	ds_load_b128 v[4:7], v2 offset:1840
	ds_load_b128 v[144:147], v2 offset:1856
	s_wait_loadcnt_dscnt 0x601
	v_mul_f64_e32 v[180:181], v[4:5], v[162:163]
	v_mul_f64_e32 v[162:163], v[6:7], v[162:163]
	v_add_f64_e32 v[142:143], v[148:149], v[152:153]
	v_add_f64_e32 v[148:149], v[154:155], v[192:193]
	s_wait_loadcnt_dscnt 0x500
	v_mul_f64_e32 v[152:153], v[144:145], v[166:167]
	v_mul_f64_e32 v[154:155], v[146:147], v[166:167]
	v_fmac_f64_e32 v[180:181], v[6:7], v[160:161]
	v_fma_f64 v[156:157], v[4:5], v[160:161], -v[162:163]
	v_add_f64_e32 v[158:159], v[142:143], v[140:141]
	v_add_f64_e32 v[148:149], v[148:149], v[150:151]
	ds_load_b128 v[4:7], v2 offset:1872
	ds_load_b128 v[140:143], v2 offset:1888
	v_fmac_f64_e32 v[152:153], v[146:147], v[164:165]
	v_fma_f64 v[144:145], v[144:145], v[164:165], -v[154:155]
	s_wait_loadcnt_dscnt 0x401
	v_mul_f64_e32 v[150:151], v[4:5], v[174:175]
	v_mul_f64_e32 v[160:161], v[6:7], v[174:175]
	s_wait_loadcnt_dscnt 0x300
	v_mul_f64_e32 v[154:155], v[140:141], v[186:187]
	v_add_f64_e32 v[146:147], v[158:159], v[156:157]
	v_add_f64_e32 v[148:149], v[148:149], v[180:181]
	v_mul_f64_e32 v[156:157], v[142:143], v[186:187]
	v_fmac_f64_e32 v[150:151], v[6:7], v[172:173]
	v_fma_f64 v[158:159], v[4:5], v[172:173], -v[160:161]
	v_fmac_f64_e32 v[154:155], v[142:143], v[184:185]
	v_add_f64_e32 v[160:161], v[146:147], v[144:145]
	v_add_f64_e32 v[148:149], v[148:149], v[152:153]
	ds_load_b128 v[4:7], v2 offset:1904
	ds_load_b128 v[144:147], v2 offset:1920
	v_fma_f64 v[140:141], v[140:141], v[184:185], -v[156:157]
	s_wait_loadcnt_dscnt 0x201
	v_mul_f64_e32 v[152:153], v[4:5], v[170:171]
	v_mul_f64_e32 v[162:163], v[6:7], v[170:171]
	v_add_f64_e32 v[142:143], v[160:161], v[158:159]
	v_add_f64_e32 v[148:149], v[148:149], v[150:151]
	s_wait_loadcnt_dscnt 0x100
	v_mul_f64_e32 v[150:151], v[144:145], v[10:11]
	v_mul_f64_e32 v[10:11], v[146:147], v[10:11]
	v_fmac_f64_e32 v[152:153], v[6:7], v[168:169]
	v_fma_f64 v[156:157], v[4:5], v[168:169], -v[162:163]
	ds_load_b128 v[4:7], v2 offset:1936
	v_add_f64_e32 v[140:141], v[142:143], v[140:141]
	v_add_f64_e32 v[142:143], v[148:149], v[154:155]
	v_fmac_f64_e32 v[150:151], v[146:147], v[8:9]
	v_fma_f64 v[8:9], v[144:145], v[8:9], -v[10:11]
	s_wait_loadcnt_dscnt 0x0
	v_mul_f64_e32 v[148:149], v[4:5], v[14:15]
	v_mul_f64_e32 v[14:15], v[6:7], v[14:15]
	v_add_f64_e32 v[10:11], v[140:141], v[156:157]
	v_add_f64_e32 v[140:141], v[142:143], v[152:153]
	s_delay_alu instid0(VALU_DEP_4) | instskip(NEXT) | instid1(VALU_DEP_4)
	v_fmac_f64_e32 v[148:149], v[6:7], v[12:13]
	v_fma_f64 v[4:5], v[4:5], v[12:13], -v[14:15]
	s_delay_alu instid0(VALU_DEP_4) | instskip(NEXT) | instid1(VALU_DEP_4)
	v_add_f64_e32 v[6:7], v[10:11], v[8:9]
	v_add_f64_e32 v[8:9], v[140:141], v[150:151]
	s_delay_alu instid0(VALU_DEP_2) | instskip(NEXT) | instid1(VALU_DEP_2)
	v_add_f64_e32 v[4:5], v[6:7], v[4:5]
	v_add_f64_e32 v[6:7], v[8:9], v[148:149]
	s_delay_alu instid0(VALU_DEP_2) | instskip(NEXT) | instid1(VALU_DEP_2)
	v_add_f64_e64 v[4:5], v[176:177], -v[4:5]
	v_add_f64_e64 v[6:7], v[178:179], -v[6:7]
	scratch_store_b128 off, v[4:7], off offset:144
	s_wait_xcnt 0x0
	v_cmpx_lt_u32_e32 8, v1
	s_cbranch_execz .LBB60_375
; %bb.374:
	scratch_load_b128 v[6:9], off, s71
	v_dual_mov_b32 v3, v2 :: v_dual_mov_b32 v4, v2
	v_mov_b32_e32 v5, v2
	scratch_store_b128 off, v[2:5], off offset:128
	s_wait_loadcnt 0x0
	ds_store_b128 v138, v[6:9]
.LBB60_375:
	s_wait_xcnt 0x0
	s_or_b32 exec_lo, exec_lo, s2
	s_wait_storecnt_dscnt 0x0
	s_barrier_signal -1
	s_barrier_wait -1
	s_clause 0x9
	scratch_load_b128 v[4:7], off, off offset:144
	scratch_load_b128 v[8:11], off, off offset:160
	;; [unrolled: 1-line block ×10, first 2 shown]
	ds_load_b128 v[168:171], v2 offset:1120
	ds_load_b128 v[176:179], v2 offset:1136
	s_clause 0x2
	scratch_load_b128 v[172:175], off, off offset:304
	scratch_load_b128 v[180:183], off, off offset:128
	;; [unrolled: 1-line block ×3, first 2 shown]
	s_mov_b32 s2, exec_lo
	s_wait_loadcnt_dscnt 0xc01
	v_mul_f64_e32 v[188:189], v[170:171], v[6:7]
	v_mul_f64_e32 v[192:193], v[168:169], v[6:7]
	s_wait_loadcnt_dscnt 0xb00
	v_mul_f64_e32 v[194:195], v[176:177], v[10:11]
	v_mul_f64_e32 v[10:11], v[178:179], v[10:11]
	s_delay_alu instid0(VALU_DEP_4) | instskip(NEXT) | instid1(VALU_DEP_4)
	v_fma_f64 v[196:197], v[168:169], v[4:5], -v[188:189]
	v_fmac_f64_e32 v[192:193], v[170:171], v[4:5]
	ds_load_b128 v[4:7], v2 offset:1152
	ds_load_b128 v[168:171], v2 offset:1168
	scratch_load_b128 v[188:191], off, off offset:336
	v_fmac_f64_e32 v[194:195], v[178:179], v[8:9]
	v_fma_f64 v[176:177], v[176:177], v[8:9], -v[10:11]
	scratch_load_b128 v[8:11], off, off offset:352
	s_wait_loadcnt_dscnt 0xc01
	v_mul_f64_e32 v[198:199], v[4:5], v[14:15]
	v_mul_f64_e32 v[14:15], v[6:7], v[14:15]
	v_add_f64_e32 v[178:179], 0, v[196:197]
	v_add_f64_e32 v[192:193], 0, v[192:193]
	s_wait_loadcnt_dscnt 0xb00
	v_mul_f64_e32 v[196:197], v[168:169], v[142:143]
	v_mul_f64_e32 v[142:143], v[170:171], v[142:143]
	v_fmac_f64_e32 v[198:199], v[6:7], v[12:13]
	v_fma_f64 v[200:201], v[4:5], v[12:13], -v[14:15]
	ds_load_b128 v[4:7], v2 offset:1184
	ds_load_b128 v[12:15], v2 offset:1200
	v_add_f64_e32 v[202:203], v[178:179], v[176:177]
	v_add_f64_e32 v[192:193], v[192:193], v[194:195]
	scratch_load_b128 v[176:179], off, off offset:368
	v_fmac_f64_e32 v[196:197], v[170:171], v[140:141]
	v_fma_f64 v[168:169], v[168:169], v[140:141], -v[142:143]
	scratch_load_b128 v[140:143], off, off offset:384
	s_wait_loadcnt_dscnt 0xc01
	v_mul_f64_e32 v[194:195], v[4:5], v[146:147]
	v_mul_f64_e32 v[146:147], v[6:7], v[146:147]
	v_add_f64_e32 v[170:171], v[202:203], v[200:201]
	v_add_f64_e32 v[192:193], v[192:193], v[198:199]
	s_wait_loadcnt_dscnt 0xb00
	v_mul_f64_e32 v[198:199], v[12:13], v[150:151]
	v_mul_f64_e32 v[150:151], v[14:15], v[150:151]
	v_fmac_f64_e32 v[194:195], v[6:7], v[144:145]
	v_fma_f64 v[200:201], v[4:5], v[144:145], -v[146:147]
	ds_load_b128 v[4:7], v2 offset:1216
	ds_load_b128 v[144:147], v2 offset:1232
	v_add_f64_e32 v[202:203], v[170:171], v[168:169]
	v_add_f64_e32 v[192:193], v[192:193], v[196:197]
	scratch_load_b128 v[168:171], off, off offset:400
	s_wait_loadcnt_dscnt 0xb01
	v_mul_f64_e32 v[196:197], v[4:5], v[154:155]
	v_mul_f64_e32 v[154:155], v[6:7], v[154:155]
	v_fmac_f64_e32 v[198:199], v[14:15], v[148:149]
	v_fma_f64 v[148:149], v[12:13], v[148:149], -v[150:151]
	scratch_load_b128 v[12:15], off, off offset:416
	v_add_f64_e32 v[150:151], v[202:203], v[200:201]
	v_add_f64_e32 v[192:193], v[192:193], v[194:195]
	s_wait_loadcnt_dscnt 0xb00
	v_mul_f64_e32 v[194:195], v[144:145], v[158:159]
	v_mul_f64_e32 v[158:159], v[146:147], v[158:159]
	v_fmac_f64_e32 v[196:197], v[6:7], v[152:153]
	v_fma_f64 v[200:201], v[4:5], v[152:153], -v[154:155]
	v_add_f64_e32 v[202:203], v[150:151], v[148:149]
	v_add_f64_e32 v[192:193], v[192:193], v[198:199]
	ds_load_b128 v[4:7], v2 offset:1248
	ds_load_b128 v[148:151], v2 offset:1264
	scratch_load_b128 v[152:155], off, off offset:432
	v_fmac_f64_e32 v[194:195], v[146:147], v[156:157]
	v_fma_f64 v[156:157], v[144:145], v[156:157], -v[158:159]
	scratch_load_b128 v[144:147], off, off offset:448
	s_wait_loadcnt_dscnt 0xc01
	v_mul_f64_e32 v[198:199], v[4:5], v[162:163]
	v_mul_f64_e32 v[162:163], v[6:7], v[162:163]
	v_add_f64_e32 v[158:159], v[202:203], v[200:201]
	v_add_f64_e32 v[192:193], v[192:193], v[196:197]
	s_wait_loadcnt_dscnt 0xb00
	v_mul_f64_e32 v[196:197], v[148:149], v[166:167]
	v_mul_f64_e32 v[166:167], v[150:151], v[166:167]
	v_fmac_f64_e32 v[198:199], v[6:7], v[160:161]
	v_fma_f64 v[200:201], v[4:5], v[160:161], -v[162:163]
	v_add_f64_e32 v[202:203], v[158:159], v[156:157]
	v_add_f64_e32 v[192:193], v[192:193], v[194:195]
	ds_load_b128 v[4:7], v2 offset:1280
	ds_load_b128 v[156:159], v2 offset:1296
	scratch_load_b128 v[160:163], off, off offset:464
	v_fmac_f64_e32 v[196:197], v[150:151], v[164:165]
	v_fma_f64 v[164:165], v[148:149], v[164:165], -v[166:167]
	scratch_load_b128 v[148:151], off, off offset:480
	s_wait_loadcnt_dscnt 0xc01
	v_mul_f64_e32 v[194:195], v[4:5], v[174:175]
	v_mul_f64_e32 v[174:175], v[6:7], v[174:175]
	;; [unrolled: 18-line block ×5, first 2 shown]
	v_add_f64_e32 v[186:187], v[202:203], v[200:201]
	v_add_f64_e32 v[192:193], v[192:193], v[198:199]
	s_wait_loadcnt_dscnt 0xa00
	v_mul_f64_e32 v[198:199], v[164:165], v[14:15]
	v_mul_f64_e32 v[14:15], v[166:167], v[14:15]
	v_fmac_f64_e32 v[194:195], v[6:7], v[168:169]
	v_fma_f64 v[200:201], v[4:5], v[168:169], -v[170:171]
	ds_load_b128 v[4:7], v2 offset:1408
	ds_load_b128 v[168:171], v2 offset:1424
	v_add_f64_e32 v[202:203], v[186:187], v[184:185]
	v_add_f64_e32 v[192:193], v[192:193], v[196:197]
	scratch_load_b128 v[184:187], off, off offset:592
	v_fmac_f64_e32 v[198:199], v[166:167], v[12:13]
	v_fma_f64 v[164:165], v[164:165], v[12:13], -v[14:15]
	scratch_load_b128 v[12:15], off, off offset:608
	s_wait_loadcnt_dscnt 0xb01
	v_mul_f64_e32 v[196:197], v[4:5], v[154:155]
	v_mul_f64_e32 v[154:155], v[6:7], v[154:155]
	v_add_f64_e32 v[166:167], v[202:203], v[200:201]
	v_add_f64_e32 v[192:193], v[192:193], v[194:195]
	s_wait_loadcnt_dscnt 0xa00
	v_mul_f64_e32 v[194:195], v[168:169], v[146:147]
	v_mul_f64_e32 v[146:147], v[170:171], v[146:147]
	v_fmac_f64_e32 v[196:197], v[6:7], v[152:153]
	v_fma_f64 v[200:201], v[4:5], v[152:153], -v[154:155]
	ds_load_b128 v[4:7], v2 offset:1440
	ds_load_b128 v[152:155], v2 offset:1456
	v_add_f64_e32 v[202:203], v[166:167], v[164:165]
	v_add_f64_e32 v[192:193], v[192:193], v[198:199]
	scratch_load_b128 v[164:167], off, off offset:624
	s_wait_loadcnt_dscnt 0xa01
	v_mul_f64_e32 v[198:199], v[4:5], v[162:163]
	v_mul_f64_e32 v[162:163], v[6:7], v[162:163]
	v_fmac_f64_e32 v[194:195], v[170:171], v[144:145]
	v_fma_f64 v[168:169], v[168:169], v[144:145], -v[146:147]
	scratch_load_b128 v[144:147], off, off offset:640
	v_add_f64_e32 v[170:171], v[202:203], v[200:201]
	v_add_f64_e32 v[192:193], v[192:193], v[196:197]
	s_wait_loadcnt_dscnt 0xa00
	v_mul_f64_e32 v[196:197], v[152:153], v[150:151]
	v_mul_f64_e32 v[150:151], v[154:155], v[150:151]
	v_fmac_f64_e32 v[198:199], v[6:7], v[160:161]
	v_fma_f64 v[200:201], v[4:5], v[160:161], -v[162:163]
	ds_load_b128 v[4:7], v2 offset:1472
	ds_load_b128 v[160:163], v2 offset:1488
	v_add_f64_e32 v[202:203], v[170:171], v[168:169]
	v_add_f64_e32 v[192:193], v[192:193], v[194:195]
	scratch_load_b128 v[168:171], off, off offset:656
	s_wait_loadcnt_dscnt 0xa01
	v_mul_f64_e32 v[194:195], v[4:5], v[174:175]
	v_mul_f64_e32 v[174:175], v[6:7], v[174:175]
	v_fmac_f64_e32 v[196:197], v[154:155], v[148:149]
	v_fma_f64 v[152:153], v[152:153], v[148:149], -v[150:151]
	scratch_load_b128 v[148:151], off, off offset:672
	v_add_f64_e32 v[154:155], v[202:203], v[200:201]
	v_add_f64_e32 v[192:193], v[192:193], v[198:199]
	s_wait_loadcnt_dscnt 0xa00
	v_mul_f64_e32 v[198:199], v[160:161], v[158:159]
	v_mul_f64_e32 v[158:159], v[162:163], v[158:159]
	v_fmac_f64_e32 v[194:195], v[6:7], v[172:173]
	v_fma_f64 v[200:201], v[4:5], v[172:173], -v[174:175]
	v_add_f64_e32 v[202:203], v[154:155], v[152:153]
	v_add_f64_e32 v[192:193], v[192:193], v[196:197]
	ds_load_b128 v[4:7], v2 offset:1504
	ds_load_b128 v[152:155], v2 offset:1520
	scratch_load_b128 v[172:175], off, off offset:688
	v_fmac_f64_e32 v[198:199], v[162:163], v[156:157]
	v_fma_f64 v[160:161], v[160:161], v[156:157], -v[158:159]
	scratch_load_b128 v[156:159], off, off offset:704
	s_wait_loadcnt_dscnt 0xb01
	v_mul_f64_e32 v[196:197], v[4:5], v[190:191]
	v_mul_f64_e32 v[190:191], v[6:7], v[190:191]
	v_add_f64_e32 v[162:163], v[202:203], v[200:201]
	v_add_f64_e32 v[192:193], v[192:193], v[194:195]
	s_wait_loadcnt_dscnt 0xa00
	v_mul_f64_e32 v[194:195], v[152:153], v[10:11]
	v_mul_f64_e32 v[10:11], v[154:155], v[10:11]
	v_fmac_f64_e32 v[196:197], v[6:7], v[188:189]
	v_fma_f64 v[200:201], v[4:5], v[188:189], -v[190:191]
	v_add_f64_e32 v[202:203], v[162:163], v[160:161]
	v_add_f64_e32 v[192:193], v[192:193], v[198:199]
	ds_load_b128 v[4:7], v2 offset:1536
	ds_load_b128 v[160:163], v2 offset:1552
	scratch_load_b128 v[188:191], off, off offset:720
	v_fmac_f64_e32 v[194:195], v[154:155], v[8:9]
	v_fma_f64 v[152:153], v[152:153], v[8:9], -v[10:11]
	scratch_load_b128 v[8:11], off, off offset:736
	s_wait_loadcnt_dscnt 0xb01
	v_mul_f64_e32 v[198:199], v[4:5], v[178:179]
	v_mul_f64_e32 v[178:179], v[6:7], v[178:179]
	;; [unrolled: 18-line block ×9, first 2 shown]
	v_add_f64_e32 v[162:163], v[202:203], v[200:201]
	v_add_f64_e32 v[192:193], v[192:193], v[198:199]
	s_wait_loadcnt_dscnt 0xa00
	v_mul_f64_e32 v[198:199], v[152:153], v[14:15]
	v_mul_f64_e32 v[14:15], v[154:155], v[14:15]
	v_fmac_f64_e32 v[194:195], v[6:7], v[184:185]
	v_fma_f64 v[184:185], v[4:5], v[184:185], -v[186:187]
	v_add_f64_e32 v[186:187], v[162:163], v[160:161]
	v_add_f64_e32 v[192:193], v[192:193], v[196:197]
	ds_load_b128 v[4:7], v2 offset:1792
	ds_load_b128 v[160:163], v2 offset:1808
	v_fmac_f64_e32 v[198:199], v[154:155], v[12:13]
	v_fma_f64 v[12:13], v[152:153], v[12:13], -v[14:15]
	s_wait_loadcnt_dscnt 0x901
	v_mul_f64_e32 v[196:197], v[4:5], v[166:167]
	v_mul_f64_e32 v[166:167], v[6:7], v[166:167]
	s_wait_loadcnt_dscnt 0x800
	v_mul_f64_e32 v[154:155], v[160:161], v[146:147]
	v_mul_f64_e32 v[146:147], v[162:163], v[146:147]
	v_add_f64_e32 v[14:15], v[186:187], v[184:185]
	v_add_f64_e32 v[152:153], v[192:193], v[194:195]
	v_fmac_f64_e32 v[196:197], v[6:7], v[164:165]
	v_fma_f64 v[164:165], v[4:5], v[164:165], -v[166:167]
	v_fmac_f64_e32 v[154:155], v[162:163], v[144:145]
	v_fma_f64 v[144:145], v[160:161], v[144:145], -v[146:147]
	v_add_f64_e32 v[166:167], v[14:15], v[12:13]
	v_add_f64_e32 v[152:153], v[152:153], v[198:199]
	ds_load_b128 v[4:7], v2 offset:1824
	ds_load_b128 v[12:15], v2 offset:1840
	s_wait_loadcnt_dscnt 0x701
	v_mul_f64_e32 v[184:185], v[4:5], v[170:171]
	v_mul_f64_e32 v[170:171], v[6:7], v[170:171]
	s_wait_loadcnt_dscnt 0x600
	v_mul_f64_e32 v[160:161], v[12:13], v[150:151]
	v_mul_f64_e32 v[150:151], v[14:15], v[150:151]
	v_add_f64_e32 v[146:147], v[166:167], v[164:165]
	v_add_f64_e32 v[152:153], v[152:153], v[196:197]
	v_fmac_f64_e32 v[184:185], v[6:7], v[168:169]
	v_fma_f64 v[162:163], v[4:5], v[168:169], -v[170:171]
	v_fmac_f64_e32 v[160:161], v[14:15], v[148:149]
	v_fma_f64 v[12:13], v[12:13], v[148:149], -v[150:151]
	v_add_f64_e32 v[164:165], v[146:147], v[144:145]
	v_add_f64_e32 v[152:153], v[152:153], v[154:155]
	ds_load_b128 v[4:7], v2 offset:1856
	ds_load_b128 v[144:147], v2 offset:1872
	s_wait_loadcnt_dscnt 0x501
	v_mul_f64_e32 v[154:155], v[4:5], v[174:175]
	v_mul_f64_e32 v[166:167], v[6:7], v[174:175]
	s_wait_loadcnt_dscnt 0x400
	v_mul_f64_e32 v[150:151], v[144:145], v[158:159]
	v_add_f64_e32 v[14:15], v[164:165], v[162:163]
	v_add_f64_e32 v[148:149], v[152:153], v[184:185]
	v_mul_f64_e32 v[152:153], v[146:147], v[158:159]
	v_fmac_f64_e32 v[154:155], v[6:7], v[172:173]
	v_fma_f64 v[158:159], v[4:5], v[172:173], -v[166:167]
	v_fmac_f64_e32 v[150:151], v[146:147], v[156:157]
	v_add_f64_e32 v[162:163], v[14:15], v[12:13]
	v_add_f64_e32 v[148:149], v[148:149], v[160:161]
	ds_load_b128 v[4:7], v2 offset:1888
	ds_load_b128 v[12:15], v2 offset:1904
	v_fma_f64 v[144:145], v[144:145], v[156:157], -v[152:153]
	s_wait_loadcnt_dscnt 0x301
	v_mul_f64_e32 v[160:161], v[4:5], v[190:191]
	v_mul_f64_e32 v[164:165], v[6:7], v[190:191]
	s_wait_loadcnt_dscnt 0x200
	v_mul_f64_e32 v[152:153], v[12:13], v[10:11]
	v_mul_f64_e32 v[10:11], v[14:15], v[10:11]
	v_add_f64_e32 v[146:147], v[162:163], v[158:159]
	v_add_f64_e32 v[148:149], v[148:149], v[154:155]
	v_fmac_f64_e32 v[160:161], v[6:7], v[188:189]
	v_fma_f64 v[154:155], v[4:5], v[188:189], -v[164:165]
	v_fmac_f64_e32 v[152:153], v[14:15], v[8:9]
	v_fma_f64 v[8:9], v[12:13], v[8:9], -v[10:11]
	v_add_f64_e32 v[156:157], v[146:147], v[144:145]
	v_add_f64_e32 v[148:149], v[148:149], v[150:151]
	ds_load_b128 v[4:7], v2 offset:1920
	ds_load_b128 v[144:147], v2 offset:1936
	s_wait_loadcnt_dscnt 0x101
	v_mul_f64_e32 v[2:3], v[4:5], v[178:179]
	v_mul_f64_e32 v[150:151], v[6:7], v[178:179]
	s_wait_loadcnt_dscnt 0x0
	v_mul_f64_e32 v[14:15], v[144:145], v[142:143]
	v_mul_f64_e32 v[142:143], v[146:147], v[142:143]
	v_add_f64_e32 v[10:11], v[156:157], v[154:155]
	v_add_f64_e32 v[12:13], v[148:149], v[160:161]
	v_fmac_f64_e32 v[2:3], v[6:7], v[176:177]
	v_fma_f64 v[4:5], v[4:5], v[176:177], -v[150:151]
	v_fmac_f64_e32 v[14:15], v[146:147], v[140:141]
	v_add_f64_e32 v[6:7], v[10:11], v[8:9]
	v_add_f64_e32 v[8:9], v[12:13], v[152:153]
	v_fma_f64 v[10:11], v[144:145], v[140:141], -v[142:143]
	s_delay_alu instid0(VALU_DEP_3) | instskip(NEXT) | instid1(VALU_DEP_3)
	v_add_f64_e32 v[4:5], v[6:7], v[4:5]
	v_add_f64_e32 v[2:3], v[8:9], v[2:3]
	s_delay_alu instid0(VALU_DEP_2) | instskip(NEXT) | instid1(VALU_DEP_2)
	v_add_f64_e32 v[4:5], v[4:5], v[10:11]
	v_add_f64_e32 v[6:7], v[2:3], v[14:15]
	s_delay_alu instid0(VALU_DEP_2) | instskip(NEXT) | instid1(VALU_DEP_2)
	v_add_f64_e64 v[2:3], v[180:181], -v[4:5]
	v_add_f64_e64 v[4:5], v[182:183], -v[6:7]
	scratch_store_b128 off, v[2:5], off offset:128
	s_wait_xcnt 0x0
	v_cmpx_lt_u32_e32 7, v1
	s_cbranch_execz .LBB60_377
; %bb.376:
	scratch_load_b128 v[2:5], off, s72
	v_mov_b32_e32 v6, 0
	s_delay_alu instid0(VALU_DEP_1)
	v_dual_mov_b32 v7, v6 :: v_dual_mov_b32 v8, v6
	v_mov_b32_e32 v9, v6
	scratch_store_b128 off, v[6:9], off offset:112
	s_wait_loadcnt 0x0
	ds_store_b128 v138, v[2:5]
.LBB60_377:
	s_wait_xcnt 0x0
	s_or_b32 exec_lo, exec_lo, s2
	s_wait_storecnt_dscnt 0x0
	s_barrier_signal -1
	s_barrier_wait -1
	s_clause 0x9
	scratch_load_b128 v[4:7], off, off offset:128
	scratch_load_b128 v[8:11], off, off offset:144
	;; [unrolled: 1-line block ×10, first 2 shown]
	v_mov_b32_e32 v2, 0
	s_mov_b32 s2, exec_lo
	ds_load_b128 v[168:171], v2 offset:1104
	s_clause 0x2
	scratch_load_b128 v[172:175], off, off offset:288
	scratch_load_b128 v[176:179], off, off offset:112
	;; [unrolled: 1-line block ×3, first 2 shown]
	s_wait_loadcnt_dscnt 0xc00
	v_mul_f64_e32 v[188:189], v[170:171], v[6:7]
	v_mul_f64_e32 v[192:193], v[168:169], v[6:7]
	ds_load_b128 v[180:183], v2 offset:1120
	v_fma_f64 v[196:197], v[168:169], v[4:5], -v[188:189]
	v_fmac_f64_e32 v[192:193], v[170:171], v[4:5]
	ds_load_b128 v[4:7], v2 offset:1136
	s_wait_loadcnt_dscnt 0xb01
	v_mul_f64_e32 v[194:195], v[180:181], v[10:11]
	v_mul_f64_e32 v[10:11], v[182:183], v[10:11]
	scratch_load_b128 v[168:171], off, off offset:320
	ds_load_b128 v[188:191], v2 offset:1152
	s_wait_loadcnt_dscnt 0xb01
	v_mul_f64_e32 v[198:199], v[4:5], v[14:15]
	v_mul_f64_e32 v[14:15], v[6:7], v[14:15]
	v_add_f64_e32 v[192:193], 0, v[192:193]
	v_fmac_f64_e32 v[194:195], v[182:183], v[8:9]
	v_fma_f64 v[180:181], v[180:181], v[8:9], -v[10:11]
	v_add_f64_e32 v[182:183], 0, v[196:197]
	scratch_load_b128 v[8:11], off, off offset:336
	v_fmac_f64_e32 v[198:199], v[6:7], v[12:13]
	v_fma_f64 v[200:201], v[4:5], v[12:13], -v[14:15]
	ds_load_b128 v[4:7], v2 offset:1168
	s_wait_loadcnt_dscnt 0xb01
	v_mul_f64_e32 v[196:197], v[188:189], v[142:143]
	v_mul_f64_e32 v[142:143], v[190:191], v[142:143]
	scratch_load_b128 v[12:15], off, off offset:352
	v_add_f64_e32 v[192:193], v[192:193], v[194:195]
	v_add_f64_e32 v[202:203], v[182:183], v[180:181]
	ds_load_b128 v[180:183], v2 offset:1184
	s_wait_loadcnt_dscnt 0xb01
	v_mul_f64_e32 v[194:195], v[4:5], v[146:147]
	v_mul_f64_e32 v[146:147], v[6:7], v[146:147]
	v_fmac_f64_e32 v[196:197], v[190:191], v[140:141]
	v_fma_f64 v[188:189], v[188:189], v[140:141], -v[142:143]
	scratch_load_b128 v[140:143], off, off offset:368
	v_add_f64_e32 v[192:193], v[192:193], v[198:199]
	v_add_f64_e32 v[190:191], v[202:203], v[200:201]
	v_fmac_f64_e32 v[194:195], v[6:7], v[144:145]
	v_fma_f64 v[200:201], v[4:5], v[144:145], -v[146:147]
	ds_load_b128 v[4:7], v2 offset:1200
	s_wait_loadcnt_dscnt 0xb01
	v_mul_f64_e32 v[198:199], v[180:181], v[150:151]
	v_mul_f64_e32 v[150:151], v[182:183], v[150:151]
	scratch_load_b128 v[144:147], off, off offset:384
	v_add_f64_e32 v[192:193], v[192:193], v[196:197]
	s_wait_loadcnt_dscnt 0xb00
	v_mul_f64_e32 v[196:197], v[4:5], v[154:155]
	v_add_f64_e32 v[202:203], v[190:191], v[188:189]
	v_mul_f64_e32 v[154:155], v[6:7], v[154:155]
	ds_load_b128 v[188:191], v2 offset:1216
	v_fmac_f64_e32 v[198:199], v[182:183], v[148:149]
	v_fma_f64 v[180:181], v[180:181], v[148:149], -v[150:151]
	scratch_load_b128 v[148:151], off, off offset:400
	v_add_f64_e32 v[192:193], v[192:193], v[194:195]
	v_fmac_f64_e32 v[196:197], v[6:7], v[152:153]
	v_add_f64_e32 v[182:183], v[202:203], v[200:201]
	v_fma_f64 v[200:201], v[4:5], v[152:153], -v[154:155]
	ds_load_b128 v[4:7], v2 offset:1232
	s_wait_loadcnt_dscnt 0xb01
	v_mul_f64_e32 v[194:195], v[188:189], v[158:159]
	v_mul_f64_e32 v[158:159], v[190:191], v[158:159]
	scratch_load_b128 v[152:155], off, off offset:416
	v_add_f64_e32 v[192:193], v[192:193], v[198:199]
	s_wait_loadcnt_dscnt 0xb00
	v_mul_f64_e32 v[198:199], v[4:5], v[162:163]
	v_add_f64_e32 v[202:203], v[182:183], v[180:181]
	v_mul_f64_e32 v[162:163], v[6:7], v[162:163]
	ds_load_b128 v[180:183], v2 offset:1248
	v_fmac_f64_e32 v[194:195], v[190:191], v[156:157]
	v_fma_f64 v[188:189], v[188:189], v[156:157], -v[158:159]
	scratch_load_b128 v[156:159], off, off offset:432
	v_add_f64_e32 v[192:193], v[192:193], v[196:197]
	v_fmac_f64_e32 v[198:199], v[6:7], v[160:161]
	v_add_f64_e32 v[190:191], v[202:203], v[200:201]
	;; [unrolled: 18-line block ×3, first 2 shown]
	v_fma_f64 v[200:201], v[4:5], v[172:173], -v[174:175]
	ds_load_b128 v[4:7], v2 offset:1296
	s_wait_loadcnt_dscnt 0xa01
	v_mul_f64_e32 v[198:199], v[188:189], v[186:187]
	v_mul_f64_e32 v[186:187], v[190:191], v[186:187]
	scratch_load_b128 v[172:175], off, off offset:480
	v_add_f64_e32 v[192:193], v[192:193], v[196:197]
	v_add_f64_e32 v[202:203], v[182:183], v[180:181]
	s_wait_loadcnt_dscnt 0xa00
	v_mul_f64_e32 v[196:197], v[4:5], v[170:171]
	v_mul_f64_e32 v[170:171], v[6:7], v[170:171]
	v_fmac_f64_e32 v[198:199], v[190:191], v[184:185]
	v_fma_f64 v[188:189], v[188:189], v[184:185], -v[186:187]
	ds_load_b128 v[180:183], v2 offset:1312
	scratch_load_b128 v[184:187], off, off offset:496
	v_add_f64_e32 v[192:193], v[192:193], v[194:195]
	v_add_f64_e32 v[190:191], v[202:203], v[200:201]
	v_fmac_f64_e32 v[196:197], v[6:7], v[168:169]
	v_fma_f64 v[200:201], v[4:5], v[168:169], -v[170:171]
	ds_load_b128 v[4:7], v2 offset:1328
	s_wait_loadcnt_dscnt 0xa01
	v_mul_f64_e32 v[194:195], v[180:181], v[10:11]
	v_mul_f64_e32 v[10:11], v[182:183], v[10:11]
	scratch_load_b128 v[168:171], off, off offset:512
	v_add_f64_e32 v[192:193], v[192:193], v[198:199]
	s_wait_loadcnt_dscnt 0xa00
	v_mul_f64_e32 v[198:199], v[4:5], v[14:15]
	v_add_f64_e32 v[202:203], v[190:191], v[188:189]
	v_mul_f64_e32 v[14:15], v[6:7], v[14:15]
	ds_load_b128 v[188:191], v2 offset:1344
	v_fmac_f64_e32 v[194:195], v[182:183], v[8:9]
	v_fma_f64 v[180:181], v[180:181], v[8:9], -v[10:11]
	scratch_load_b128 v[8:11], off, off offset:528
	v_add_f64_e32 v[192:193], v[192:193], v[196:197]
	v_fmac_f64_e32 v[198:199], v[6:7], v[12:13]
	v_add_f64_e32 v[182:183], v[202:203], v[200:201]
	v_fma_f64 v[200:201], v[4:5], v[12:13], -v[14:15]
	ds_load_b128 v[4:7], v2 offset:1360
	s_wait_loadcnt_dscnt 0xa01
	v_mul_f64_e32 v[196:197], v[188:189], v[142:143]
	v_mul_f64_e32 v[142:143], v[190:191], v[142:143]
	scratch_load_b128 v[12:15], off, off offset:544
	v_add_f64_e32 v[192:193], v[192:193], v[194:195]
	s_wait_loadcnt_dscnt 0xa00
	v_mul_f64_e32 v[194:195], v[4:5], v[146:147]
	v_add_f64_e32 v[202:203], v[182:183], v[180:181]
	v_mul_f64_e32 v[146:147], v[6:7], v[146:147]
	ds_load_b128 v[180:183], v2 offset:1376
	v_fmac_f64_e32 v[196:197], v[190:191], v[140:141]
	v_fma_f64 v[188:189], v[188:189], v[140:141], -v[142:143]
	scratch_load_b128 v[140:143], off, off offset:560
	v_add_f64_e32 v[192:193], v[192:193], v[198:199]
	v_fmac_f64_e32 v[194:195], v[6:7], v[144:145]
	v_add_f64_e32 v[190:191], v[202:203], v[200:201]
	;; [unrolled: 18-line block ×14, first 2 shown]
	v_fma_f64 v[200:201], v[4:5], v[144:145], -v[146:147]
	ds_load_b128 v[4:7], v2 offset:1776
	s_wait_loadcnt_dscnt 0xa01
	v_mul_f64_e32 v[198:199], v[180:181], v[150:151]
	v_mul_f64_e32 v[150:151], v[182:183], v[150:151]
	scratch_load_b128 v[144:147], off, off offset:960
	v_add_f64_e32 v[192:193], v[192:193], v[196:197]
	s_wait_loadcnt_dscnt 0xa00
	v_mul_f64_e32 v[196:197], v[4:5], v[154:155]
	v_add_f64_e32 v[202:203], v[190:191], v[188:189]
	v_mul_f64_e32 v[154:155], v[6:7], v[154:155]
	ds_load_b128 v[188:191], v2 offset:1792
	v_fmac_f64_e32 v[198:199], v[182:183], v[148:149]
	v_fma_f64 v[148:149], v[180:181], v[148:149], -v[150:151]
	s_wait_loadcnt_dscnt 0x900
	v_mul_f64_e32 v[182:183], v[188:189], v[158:159]
	v_mul_f64_e32 v[158:159], v[190:191], v[158:159]
	v_add_f64_e32 v[180:181], v[192:193], v[194:195]
	v_fmac_f64_e32 v[196:197], v[6:7], v[152:153]
	v_add_f64_e32 v[150:151], v[202:203], v[200:201]
	v_fma_f64 v[152:153], v[4:5], v[152:153], -v[154:155]
	v_fmac_f64_e32 v[182:183], v[190:191], v[156:157]
	v_fma_f64 v[156:157], v[188:189], v[156:157], -v[158:159]
	v_add_f64_e32 v[180:181], v[180:181], v[198:199]
	v_add_f64_e32 v[154:155], v[150:151], v[148:149]
	ds_load_b128 v[4:7], v2 offset:1808
	ds_load_b128 v[148:151], v2 offset:1824
	s_wait_loadcnt_dscnt 0x801
	v_mul_f64_e32 v[192:193], v[4:5], v[162:163]
	v_mul_f64_e32 v[162:163], v[6:7], v[162:163]
	s_wait_loadcnt_dscnt 0x700
	v_mul_f64_e32 v[158:159], v[148:149], v[166:167]
	v_mul_f64_e32 v[166:167], v[150:151], v[166:167]
	v_add_f64_e32 v[152:153], v[154:155], v[152:153]
	v_add_f64_e32 v[154:155], v[180:181], v[196:197]
	v_fmac_f64_e32 v[192:193], v[6:7], v[160:161]
	v_fma_f64 v[160:161], v[4:5], v[160:161], -v[162:163]
	v_fmac_f64_e32 v[158:159], v[150:151], v[164:165]
	v_fma_f64 v[148:149], v[148:149], v[164:165], -v[166:167]
	v_add_f64_e32 v[156:157], v[152:153], v[156:157]
	v_add_f64_e32 v[162:163], v[154:155], v[182:183]
	ds_load_b128 v[4:7], v2 offset:1840
	ds_load_b128 v[152:155], v2 offset:1856
	s_wait_loadcnt_dscnt 0x601
	v_mul_f64_e32 v[180:181], v[4:5], v[174:175]
	v_mul_f64_e32 v[174:175], v[6:7], v[174:175]
	v_add_f64_e32 v[150:151], v[156:157], v[160:161]
	v_add_f64_e32 v[156:157], v[162:163], v[192:193]
	s_wait_loadcnt_dscnt 0x500
	v_mul_f64_e32 v[160:161], v[152:153], v[186:187]
	v_mul_f64_e32 v[162:163], v[154:155], v[186:187]
	v_fmac_f64_e32 v[180:181], v[6:7], v[172:173]
	v_fma_f64 v[164:165], v[4:5], v[172:173], -v[174:175]
	v_add_f64_e32 v[166:167], v[150:151], v[148:149]
	v_add_f64_e32 v[156:157], v[156:157], v[158:159]
	ds_load_b128 v[4:7], v2 offset:1872
	ds_load_b128 v[148:151], v2 offset:1888
	v_fmac_f64_e32 v[160:161], v[154:155], v[184:185]
	v_fma_f64 v[152:153], v[152:153], v[184:185], -v[162:163]
	s_wait_loadcnt_dscnt 0x401
	v_mul_f64_e32 v[158:159], v[4:5], v[170:171]
	v_mul_f64_e32 v[170:171], v[6:7], v[170:171]
	s_wait_loadcnt_dscnt 0x300
	v_mul_f64_e32 v[162:163], v[148:149], v[10:11]
	v_mul_f64_e32 v[10:11], v[150:151], v[10:11]
	v_add_f64_e32 v[154:155], v[166:167], v[164:165]
	v_add_f64_e32 v[156:157], v[156:157], v[180:181]
	v_fmac_f64_e32 v[158:159], v[6:7], v[168:169]
	v_fma_f64 v[164:165], v[4:5], v[168:169], -v[170:171]
	v_fmac_f64_e32 v[162:163], v[150:151], v[8:9]
	v_fma_f64 v[8:9], v[148:149], v[8:9], -v[10:11]
	v_add_f64_e32 v[166:167], v[154:155], v[152:153]
	v_add_f64_e32 v[156:157], v[156:157], v[160:161]
	ds_load_b128 v[4:7], v2 offset:1904
	ds_load_b128 v[152:155], v2 offset:1920
	s_wait_loadcnt_dscnt 0x201
	v_mul_f64_e32 v[160:161], v[4:5], v[14:15]
	v_mul_f64_e32 v[14:15], v[6:7], v[14:15]
	s_wait_loadcnt_dscnt 0x100
	v_mul_f64_e32 v[150:151], v[152:153], v[142:143]
	v_mul_f64_e32 v[142:143], v[154:155], v[142:143]
	v_add_f64_e32 v[10:11], v[166:167], v[164:165]
	v_add_f64_e32 v[148:149], v[156:157], v[158:159]
	v_fmac_f64_e32 v[160:161], v[6:7], v[12:13]
	v_fma_f64 v[12:13], v[4:5], v[12:13], -v[14:15]
	ds_load_b128 v[4:7], v2 offset:1936
	v_fmac_f64_e32 v[150:151], v[154:155], v[140:141]
	v_fma_f64 v[140:141], v[152:153], v[140:141], -v[142:143]
	v_add_f64_e32 v[8:9], v[10:11], v[8:9]
	v_add_f64_e32 v[10:11], v[148:149], v[162:163]
	s_wait_loadcnt_dscnt 0x0
	v_mul_f64_e32 v[14:15], v[4:5], v[146:147]
	v_mul_f64_e32 v[146:147], v[6:7], v[146:147]
	s_delay_alu instid0(VALU_DEP_4) | instskip(NEXT) | instid1(VALU_DEP_4)
	v_add_f64_e32 v[8:9], v[8:9], v[12:13]
	v_add_f64_e32 v[10:11], v[10:11], v[160:161]
	s_delay_alu instid0(VALU_DEP_4) | instskip(NEXT) | instid1(VALU_DEP_4)
	v_fmac_f64_e32 v[14:15], v[6:7], v[144:145]
	v_fma_f64 v[4:5], v[4:5], v[144:145], -v[146:147]
	s_delay_alu instid0(VALU_DEP_4) | instskip(NEXT) | instid1(VALU_DEP_4)
	v_add_f64_e32 v[6:7], v[8:9], v[140:141]
	v_add_f64_e32 v[8:9], v[10:11], v[150:151]
	s_delay_alu instid0(VALU_DEP_2) | instskip(NEXT) | instid1(VALU_DEP_2)
	v_add_f64_e32 v[4:5], v[6:7], v[4:5]
	v_add_f64_e32 v[6:7], v[8:9], v[14:15]
	s_delay_alu instid0(VALU_DEP_2) | instskip(NEXT) | instid1(VALU_DEP_2)
	v_add_f64_e64 v[4:5], v[176:177], -v[4:5]
	v_add_f64_e64 v[6:7], v[178:179], -v[6:7]
	scratch_store_b128 off, v[4:7], off offset:112
	s_wait_xcnt 0x0
	v_cmpx_lt_u32_e32 6, v1
	s_cbranch_execz .LBB60_379
; %bb.378:
	scratch_load_b128 v[6:9], off, s73
	v_dual_mov_b32 v3, v2 :: v_dual_mov_b32 v4, v2
	v_mov_b32_e32 v5, v2
	scratch_store_b128 off, v[2:5], off offset:96
	s_wait_loadcnt 0x0
	ds_store_b128 v138, v[6:9]
.LBB60_379:
	s_wait_xcnt 0x0
	s_or_b32 exec_lo, exec_lo, s2
	s_wait_storecnt_dscnt 0x0
	s_barrier_signal -1
	s_barrier_wait -1
	s_clause 0x9
	scratch_load_b128 v[4:7], off, off offset:112
	scratch_load_b128 v[8:11], off, off offset:128
	scratch_load_b128 v[12:15], off, off offset:144
	scratch_load_b128 v[140:143], off, off offset:160
	scratch_load_b128 v[144:147], off, off offset:176
	scratch_load_b128 v[148:151], off, off offset:192
	scratch_load_b128 v[152:155], off, off offset:208
	scratch_load_b128 v[156:159], off, off offset:224
	scratch_load_b128 v[160:163], off, off offset:240
	scratch_load_b128 v[164:167], off, off offset:256
	ds_load_b128 v[168:171], v2 offset:1088
	ds_load_b128 v[176:179], v2 offset:1104
	s_clause 0x2
	scratch_load_b128 v[172:175], off, off offset:272
	scratch_load_b128 v[180:183], off, off offset:96
	;; [unrolled: 1-line block ×3, first 2 shown]
	s_mov_b32 s2, exec_lo
	s_wait_loadcnt_dscnt 0xc01
	v_mul_f64_e32 v[188:189], v[170:171], v[6:7]
	v_mul_f64_e32 v[192:193], v[168:169], v[6:7]
	s_wait_loadcnt_dscnt 0xb00
	v_mul_f64_e32 v[194:195], v[176:177], v[10:11]
	v_mul_f64_e32 v[10:11], v[178:179], v[10:11]
	s_delay_alu instid0(VALU_DEP_4) | instskip(NEXT) | instid1(VALU_DEP_4)
	v_fma_f64 v[196:197], v[168:169], v[4:5], -v[188:189]
	v_fmac_f64_e32 v[192:193], v[170:171], v[4:5]
	ds_load_b128 v[4:7], v2 offset:1120
	ds_load_b128 v[168:171], v2 offset:1136
	scratch_load_b128 v[188:191], off, off offset:304
	v_fmac_f64_e32 v[194:195], v[178:179], v[8:9]
	v_fma_f64 v[176:177], v[176:177], v[8:9], -v[10:11]
	scratch_load_b128 v[8:11], off, off offset:320
	s_wait_loadcnt_dscnt 0xc01
	v_mul_f64_e32 v[198:199], v[4:5], v[14:15]
	v_mul_f64_e32 v[14:15], v[6:7], v[14:15]
	v_add_f64_e32 v[178:179], 0, v[196:197]
	v_add_f64_e32 v[192:193], 0, v[192:193]
	s_wait_loadcnt_dscnt 0xb00
	v_mul_f64_e32 v[196:197], v[168:169], v[142:143]
	v_mul_f64_e32 v[142:143], v[170:171], v[142:143]
	v_fmac_f64_e32 v[198:199], v[6:7], v[12:13]
	v_fma_f64 v[200:201], v[4:5], v[12:13], -v[14:15]
	ds_load_b128 v[4:7], v2 offset:1152
	ds_load_b128 v[12:15], v2 offset:1168
	v_add_f64_e32 v[202:203], v[178:179], v[176:177]
	v_add_f64_e32 v[192:193], v[192:193], v[194:195]
	scratch_load_b128 v[176:179], off, off offset:336
	v_fmac_f64_e32 v[196:197], v[170:171], v[140:141]
	v_fma_f64 v[168:169], v[168:169], v[140:141], -v[142:143]
	scratch_load_b128 v[140:143], off, off offset:352
	s_wait_loadcnt_dscnt 0xc01
	v_mul_f64_e32 v[194:195], v[4:5], v[146:147]
	v_mul_f64_e32 v[146:147], v[6:7], v[146:147]
	v_add_f64_e32 v[170:171], v[202:203], v[200:201]
	v_add_f64_e32 v[192:193], v[192:193], v[198:199]
	s_wait_loadcnt_dscnt 0xb00
	v_mul_f64_e32 v[198:199], v[12:13], v[150:151]
	v_mul_f64_e32 v[150:151], v[14:15], v[150:151]
	v_fmac_f64_e32 v[194:195], v[6:7], v[144:145]
	v_fma_f64 v[200:201], v[4:5], v[144:145], -v[146:147]
	ds_load_b128 v[4:7], v2 offset:1184
	ds_load_b128 v[144:147], v2 offset:1200
	v_add_f64_e32 v[202:203], v[170:171], v[168:169]
	v_add_f64_e32 v[192:193], v[192:193], v[196:197]
	scratch_load_b128 v[168:171], off, off offset:368
	s_wait_loadcnt_dscnt 0xb01
	v_mul_f64_e32 v[196:197], v[4:5], v[154:155]
	v_mul_f64_e32 v[154:155], v[6:7], v[154:155]
	v_fmac_f64_e32 v[198:199], v[14:15], v[148:149]
	v_fma_f64 v[148:149], v[12:13], v[148:149], -v[150:151]
	scratch_load_b128 v[12:15], off, off offset:384
	v_add_f64_e32 v[150:151], v[202:203], v[200:201]
	v_add_f64_e32 v[192:193], v[192:193], v[194:195]
	s_wait_loadcnt_dscnt 0xb00
	v_mul_f64_e32 v[194:195], v[144:145], v[158:159]
	v_mul_f64_e32 v[158:159], v[146:147], v[158:159]
	v_fmac_f64_e32 v[196:197], v[6:7], v[152:153]
	v_fma_f64 v[200:201], v[4:5], v[152:153], -v[154:155]
	v_add_f64_e32 v[202:203], v[150:151], v[148:149]
	v_add_f64_e32 v[192:193], v[192:193], v[198:199]
	ds_load_b128 v[4:7], v2 offset:1216
	ds_load_b128 v[148:151], v2 offset:1232
	scratch_load_b128 v[152:155], off, off offset:400
	v_fmac_f64_e32 v[194:195], v[146:147], v[156:157]
	v_fma_f64 v[156:157], v[144:145], v[156:157], -v[158:159]
	scratch_load_b128 v[144:147], off, off offset:416
	s_wait_loadcnt_dscnt 0xc01
	v_mul_f64_e32 v[198:199], v[4:5], v[162:163]
	v_mul_f64_e32 v[162:163], v[6:7], v[162:163]
	v_add_f64_e32 v[158:159], v[202:203], v[200:201]
	v_add_f64_e32 v[192:193], v[192:193], v[196:197]
	s_wait_loadcnt_dscnt 0xb00
	v_mul_f64_e32 v[196:197], v[148:149], v[166:167]
	v_mul_f64_e32 v[166:167], v[150:151], v[166:167]
	v_fmac_f64_e32 v[198:199], v[6:7], v[160:161]
	v_fma_f64 v[200:201], v[4:5], v[160:161], -v[162:163]
	v_add_f64_e32 v[202:203], v[158:159], v[156:157]
	v_add_f64_e32 v[192:193], v[192:193], v[194:195]
	ds_load_b128 v[4:7], v2 offset:1248
	ds_load_b128 v[156:159], v2 offset:1264
	scratch_load_b128 v[160:163], off, off offset:432
	v_fmac_f64_e32 v[196:197], v[150:151], v[164:165]
	v_fma_f64 v[164:165], v[148:149], v[164:165], -v[166:167]
	scratch_load_b128 v[148:151], off, off offset:448
	s_wait_loadcnt_dscnt 0xc01
	v_mul_f64_e32 v[194:195], v[4:5], v[174:175]
	v_mul_f64_e32 v[174:175], v[6:7], v[174:175]
	v_add_f64_e32 v[166:167], v[202:203], v[200:201]
	v_add_f64_e32 v[192:193], v[192:193], v[198:199]
	s_wait_loadcnt_dscnt 0xa00
	v_mul_f64_e32 v[198:199], v[156:157], v[186:187]
	v_mul_f64_e32 v[186:187], v[158:159], v[186:187]
	v_fmac_f64_e32 v[194:195], v[6:7], v[172:173]
	v_fma_f64 v[200:201], v[4:5], v[172:173], -v[174:175]
	v_add_f64_e32 v[202:203], v[166:167], v[164:165]
	v_add_f64_e32 v[192:193], v[192:193], v[196:197]
	ds_load_b128 v[4:7], v2 offset:1280
	ds_load_b128 v[164:167], v2 offset:1296
	scratch_load_b128 v[172:175], off, off offset:464
	v_fmac_f64_e32 v[198:199], v[158:159], v[184:185]
	v_fma_f64 v[184:185], v[156:157], v[184:185], -v[186:187]
	scratch_load_b128 v[156:159], off, off offset:480
	s_wait_loadcnt_dscnt 0xb01
	v_mul_f64_e32 v[196:197], v[4:5], v[190:191]
	v_mul_f64_e32 v[190:191], v[6:7], v[190:191]
	v_add_f64_e32 v[186:187], v[202:203], v[200:201]
	v_add_f64_e32 v[192:193], v[192:193], v[194:195]
	s_wait_loadcnt_dscnt 0xa00
	v_mul_f64_e32 v[194:195], v[164:165], v[10:11]
	v_mul_f64_e32 v[10:11], v[166:167], v[10:11]
	v_fmac_f64_e32 v[196:197], v[6:7], v[188:189]
	v_fma_f64 v[200:201], v[4:5], v[188:189], -v[190:191]
	v_add_f64_e32 v[202:203], v[186:187], v[184:185]
	v_add_f64_e32 v[192:193], v[192:193], v[198:199]
	ds_load_b128 v[4:7], v2 offset:1312
	ds_load_b128 v[184:187], v2 offset:1328
	scratch_load_b128 v[188:191], off, off offset:496
	v_fmac_f64_e32 v[194:195], v[166:167], v[8:9]
	v_fma_f64 v[164:165], v[164:165], v[8:9], -v[10:11]
	scratch_load_b128 v[8:11], off, off offset:512
	s_wait_loadcnt_dscnt 0xb01
	v_mul_f64_e32 v[198:199], v[4:5], v[178:179]
	v_mul_f64_e32 v[178:179], v[6:7], v[178:179]
	v_add_f64_e32 v[166:167], v[202:203], v[200:201]
	v_add_f64_e32 v[192:193], v[192:193], v[196:197]
	s_wait_loadcnt_dscnt 0xa00
	v_mul_f64_e32 v[196:197], v[184:185], v[142:143]
	v_mul_f64_e32 v[142:143], v[186:187], v[142:143]
	v_fmac_f64_e32 v[198:199], v[6:7], v[176:177]
	v_fma_f64 v[200:201], v[4:5], v[176:177], -v[178:179]
	v_add_f64_e32 v[202:203], v[166:167], v[164:165]
	v_add_f64_e32 v[192:193], v[192:193], v[194:195]
	ds_load_b128 v[4:7], v2 offset:1344
	ds_load_b128 v[164:167], v2 offset:1360
	scratch_load_b128 v[176:179], off, off offset:528
	v_fmac_f64_e32 v[196:197], v[186:187], v[140:141]
	v_fma_f64 v[184:185], v[184:185], v[140:141], -v[142:143]
	scratch_load_b128 v[140:143], off, off offset:544
	s_wait_loadcnt_dscnt 0xb01
	v_mul_f64_e32 v[194:195], v[4:5], v[170:171]
	v_mul_f64_e32 v[170:171], v[6:7], v[170:171]
	v_add_f64_e32 v[186:187], v[202:203], v[200:201]
	v_add_f64_e32 v[192:193], v[192:193], v[198:199]
	s_wait_loadcnt_dscnt 0xa00
	v_mul_f64_e32 v[198:199], v[164:165], v[14:15]
	v_mul_f64_e32 v[14:15], v[166:167], v[14:15]
	v_fmac_f64_e32 v[194:195], v[6:7], v[168:169]
	v_fma_f64 v[200:201], v[4:5], v[168:169], -v[170:171]
	ds_load_b128 v[4:7], v2 offset:1376
	ds_load_b128 v[168:171], v2 offset:1392
	v_add_f64_e32 v[202:203], v[186:187], v[184:185]
	v_add_f64_e32 v[192:193], v[192:193], v[196:197]
	scratch_load_b128 v[184:187], off, off offset:560
	v_fmac_f64_e32 v[198:199], v[166:167], v[12:13]
	v_fma_f64 v[164:165], v[164:165], v[12:13], -v[14:15]
	scratch_load_b128 v[12:15], off, off offset:576
	s_wait_loadcnt_dscnt 0xb01
	v_mul_f64_e32 v[196:197], v[4:5], v[154:155]
	v_mul_f64_e32 v[154:155], v[6:7], v[154:155]
	v_add_f64_e32 v[166:167], v[202:203], v[200:201]
	v_add_f64_e32 v[192:193], v[192:193], v[194:195]
	s_wait_loadcnt_dscnt 0xa00
	v_mul_f64_e32 v[194:195], v[168:169], v[146:147]
	v_mul_f64_e32 v[146:147], v[170:171], v[146:147]
	v_fmac_f64_e32 v[196:197], v[6:7], v[152:153]
	v_fma_f64 v[200:201], v[4:5], v[152:153], -v[154:155]
	ds_load_b128 v[4:7], v2 offset:1408
	ds_load_b128 v[152:155], v2 offset:1424
	v_add_f64_e32 v[202:203], v[166:167], v[164:165]
	v_add_f64_e32 v[192:193], v[192:193], v[198:199]
	scratch_load_b128 v[164:167], off, off offset:592
	s_wait_loadcnt_dscnt 0xa01
	v_mul_f64_e32 v[198:199], v[4:5], v[162:163]
	v_mul_f64_e32 v[162:163], v[6:7], v[162:163]
	v_fmac_f64_e32 v[194:195], v[170:171], v[144:145]
	v_fma_f64 v[168:169], v[168:169], v[144:145], -v[146:147]
	scratch_load_b128 v[144:147], off, off offset:608
	v_add_f64_e32 v[170:171], v[202:203], v[200:201]
	v_add_f64_e32 v[192:193], v[192:193], v[196:197]
	s_wait_loadcnt_dscnt 0xa00
	v_mul_f64_e32 v[196:197], v[152:153], v[150:151]
	v_mul_f64_e32 v[150:151], v[154:155], v[150:151]
	v_fmac_f64_e32 v[198:199], v[6:7], v[160:161]
	v_fma_f64 v[200:201], v[4:5], v[160:161], -v[162:163]
	ds_load_b128 v[4:7], v2 offset:1440
	ds_load_b128 v[160:163], v2 offset:1456
	v_add_f64_e32 v[202:203], v[170:171], v[168:169]
	v_add_f64_e32 v[192:193], v[192:193], v[194:195]
	scratch_load_b128 v[168:171], off, off offset:624
	s_wait_loadcnt_dscnt 0xa01
	v_mul_f64_e32 v[194:195], v[4:5], v[174:175]
	v_mul_f64_e32 v[174:175], v[6:7], v[174:175]
	v_fmac_f64_e32 v[196:197], v[154:155], v[148:149]
	v_fma_f64 v[152:153], v[152:153], v[148:149], -v[150:151]
	scratch_load_b128 v[148:151], off, off offset:640
	v_add_f64_e32 v[154:155], v[202:203], v[200:201]
	v_add_f64_e32 v[192:193], v[192:193], v[198:199]
	s_wait_loadcnt_dscnt 0xa00
	v_mul_f64_e32 v[198:199], v[160:161], v[158:159]
	v_mul_f64_e32 v[158:159], v[162:163], v[158:159]
	v_fmac_f64_e32 v[194:195], v[6:7], v[172:173]
	v_fma_f64 v[200:201], v[4:5], v[172:173], -v[174:175]
	v_add_f64_e32 v[202:203], v[154:155], v[152:153]
	v_add_f64_e32 v[192:193], v[192:193], v[196:197]
	ds_load_b128 v[4:7], v2 offset:1472
	ds_load_b128 v[152:155], v2 offset:1488
	scratch_load_b128 v[172:175], off, off offset:656
	v_fmac_f64_e32 v[198:199], v[162:163], v[156:157]
	v_fma_f64 v[160:161], v[160:161], v[156:157], -v[158:159]
	scratch_load_b128 v[156:159], off, off offset:672
	s_wait_loadcnt_dscnt 0xb01
	v_mul_f64_e32 v[196:197], v[4:5], v[190:191]
	v_mul_f64_e32 v[190:191], v[6:7], v[190:191]
	v_add_f64_e32 v[162:163], v[202:203], v[200:201]
	v_add_f64_e32 v[192:193], v[192:193], v[194:195]
	s_wait_loadcnt_dscnt 0xa00
	v_mul_f64_e32 v[194:195], v[152:153], v[10:11]
	v_mul_f64_e32 v[10:11], v[154:155], v[10:11]
	v_fmac_f64_e32 v[196:197], v[6:7], v[188:189]
	v_fma_f64 v[200:201], v[4:5], v[188:189], -v[190:191]
	v_add_f64_e32 v[202:203], v[162:163], v[160:161]
	v_add_f64_e32 v[192:193], v[192:193], v[198:199]
	ds_load_b128 v[4:7], v2 offset:1504
	ds_load_b128 v[160:163], v2 offset:1520
	scratch_load_b128 v[188:191], off, off offset:688
	v_fmac_f64_e32 v[194:195], v[154:155], v[8:9]
	v_fma_f64 v[152:153], v[152:153], v[8:9], -v[10:11]
	scratch_load_b128 v[8:11], off, off offset:704
	s_wait_loadcnt_dscnt 0xb01
	v_mul_f64_e32 v[198:199], v[4:5], v[178:179]
	v_mul_f64_e32 v[178:179], v[6:7], v[178:179]
	;; [unrolled: 18-line block ×10, first 2 shown]
	v_add_f64_e32 v[154:155], v[202:203], v[200:201]
	v_add_f64_e32 v[192:193], v[192:193], v[194:195]
	s_wait_loadcnt_dscnt 0xa00
	v_mul_f64_e32 v[194:195], v[160:161], v[146:147]
	v_mul_f64_e32 v[146:147], v[162:163], v[146:147]
	v_fmac_f64_e32 v[196:197], v[6:7], v[164:165]
	v_fma_f64 v[164:165], v[4:5], v[164:165], -v[166:167]
	v_add_f64_e32 v[166:167], v[154:155], v[152:153]
	v_add_f64_e32 v[192:193], v[192:193], v[198:199]
	ds_load_b128 v[4:7], v2 offset:1792
	ds_load_b128 v[152:155], v2 offset:1808
	v_fmac_f64_e32 v[194:195], v[162:163], v[144:145]
	v_fma_f64 v[144:145], v[160:161], v[144:145], -v[146:147]
	s_wait_loadcnt_dscnt 0x901
	v_mul_f64_e32 v[198:199], v[4:5], v[170:171]
	v_mul_f64_e32 v[170:171], v[6:7], v[170:171]
	s_wait_loadcnt_dscnt 0x800
	v_mul_f64_e32 v[162:163], v[152:153], v[150:151]
	v_mul_f64_e32 v[150:151], v[154:155], v[150:151]
	v_add_f64_e32 v[146:147], v[166:167], v[164:165]
	v_add_f64_e32 v[160:161], v[192:193], v[196:197]
	v_fmac_f64_e32 v[198:199], v[6:7], v[168:169]
	v_fma_f64 v[164:165], v[4:5], v[168:169], -v[170:171]
	v_fmac_f64_e32 v[162:163], v[154:155], v[148:149]
	v_fma_f64 v[148:149], v[152:153], v[148:149], -v[150:151]
	v_add_f64_e32 v[166:167], v[146:147], v[144:145]
	v_add_f64_e32 v[160:161], v[160:161], v[194:195]
	ds_load_b128 v[4:7], v2 offset:1824
	ds_load_b128 v[144:147], v2 offset:1840
	s_wait_loadcnt_dscnt 0x701
	v_mul_f64_e32 v[168:169], v[4:5], v[174:175]
	v_mul_f64_e32 v[170:171], v[6:7], v[174:175]
	s_wait_loadcnt_dscnt 0x600
	v_mul_f64_e32 v[154:155], v[144:145], v[158:159]
	v_mul_f64_e32 v[158:159], v[146:147], v[158:159]
	v_add_f64_e32 v[150:151], v[166:167], v[164:165]
	v_add_f64_e32 v[152:153], v[160:161], v[198:199]
	v_fmac_f64_e32 v[168:169], v[6:7], v[172:173]
	v_fma_f64 v[160:161], v[4:5], v[172:173], -v[170:171]
	v_fmac_f64_e32 v[154:155], v[146:147], v[156:157]
	v_fma_f64 v[144:145], v[144:145], v[156:157], -v[158:159]
	v_add_f64_e32 v[164:165], v[150:151], v[148:149]
	v_add_f64_e32 v[152:153], v[152:153], v[162:163]
	ds_load_b128 v[4:7], v2 offset:1856
	ds_load_b128 v[148:151], v2 offset:1872
	;; [unrolled: 16-line block ×4, first 2 shown]
	s_wait_loadcnt_dscnt 0x101
	v_mul_f64_e32 v[2:3], v[4:5], v[186:187]
	v_mul_f64_e32 v[156:157], v[6:7], v[186:187]
	s_wait_loadcnt_dscnt 0x0
	v_mul_f64_e32 v[146:147], v[8:9], v[14:15]
	v_mul_f64_e32 v[14:15], v[10:11], v[14:15]
	v_add_f64_e32 v[142:143], v[158:159], v[152:153]
	v_add_f64_e32 v[144:145], v[148:149], v[154:155]
	v_fmac_f64_e32 v[2:3], v[6:7], v[184:185]
	v_fma_f64 v[4:5], v[4:5], v[184:185], -v[156:157]
	v_fmac_f64_e32 v[146:147], v[10:11], v[12:13]
	v_fma_f64 v[8:9], v[8:9], v[12:13], -v[14:15]
	v_add_f64_e32 v[6:7], v[142:143], v[140:141]
	v_add_f64_e32 v[140:141], v[144:145], v[150:151]
	s_delay_alu instid0(VALU_DEP_2) | instskip(NEXT) | instid1(VALU_DEP_2)
	v_add_f64_e32 v[4:5], v[6:7], v[4:5]
	v_add_f64_e32 v[2:3], v[140:141], v[2:3]
	s_delay_alu instid0(VALU_DEP_2) | instskip(NEXT) | instid1(VALU_DEP_2)
	;; [unrolled: 3-line block ×3, first 2 shown]
	v_add_f64_e64 v[2:3], v[180:181], -v[4:5]
	v_add_f64_e64 v[4:5], v[182:183], -v[6:7]
	scratch_store_b128 off, v[2:5], off offset:96
	s_wait_xcnt 0x0
	v_cmpx_lt_u32_e32 5, v1
	s_cbranch_execz .LBB60_381
; %bb.380:
	scratch_load_b128 v[2:5], off, s74
	v_mov_b32_e32 v6, 0
	s_delay_alu instid0(VALU_DEP_1)
	v_dual_mov_b32 v7, v6 :: v_dual_mov_b32 v8, v6
	v_mov_b32_e32 v9, v6
	scratch_store_b128 off, v[6:9], off offset:80
	s_wait_loadcnt 0x0
	ds_store_b128 v138, v[2:5]
.LBB60_381:
	s_wait_xcnt 0x0
	s_or_b32 exec_lo, exec_lo, s2
	s_wait_storecnt_dscnt 0x0
	s_barrier_signal -1
	s_barrier_wait -1
	s_clause 0x9
	scratch_load_b128 v[4:7], off, off offset:96
	scratch_load_b128 v[8:11], off, off offset:112
	;; [unrolled: 1-line block ×10, first 2 shown]
	v_mov_b32_e32 v2, 0
	s_mov_b32 s2, exec_lo
	ds_load_b128 v[168:171], v2 offset:1072
	s_clause 0x2
	scratch_load_b128 v[172:175], off, off offset:256
	scratch_load_b128 v[176:179], off, off offset:80
	;; [unrolled: 1-line block ×3, first 2 shown]
	s_wait_loadcnt_dscnt 0xc00
	v_mul_f64_e32 v[188:189], v[170:171], v[6:7]
	v_mul_f64_e32 v[192:193], v[168:169], v[6:7]
	ds_load_b128 v[180:183], v2 offset:1088
	v_fma_f64 v[196:197], v[168:169], v[4:5], -v[188:189]
	v_fmac_f64_e32 v[192:193], v[170:171], v[4:5]
	ds_load_b128 v[4:7], v2 offset:1104
	s_wait_loadcnt_dscnt 0xb01
	v_mul_f64_e32 v[194:195], v[180:181], v[10:11]
	v_mul_f64_e32 v[10:11], v[182:183], v[10:11]
	scratch_load_b128 v[168:171], off, off offset:288
	ds_load_b128 v[188:191], v2 offset:1120
	s_wait_loadcnt_dscnt 0xb01
	v_mul_f64_e32 v[198:199], v[4:5], v[14:15]
	v_mul_f64_e32 v[14:15], v[6:7], v[14:15]
	v_add_f64_e32 v[192:193], 0, v[192:193]
	v_fmac_f64_e32 v[194:195], v[182:183], v[8:9]
	v_fma_f64 v[180:181], v[180:181], v[8:9], -v[10:11]
	v_add_f64_e32 v[182:183], 0, v[196:197]
	scratch_load_b128 v[8:11], off, off offset:304
	v_fmac_f64_e32 v[198:199], v[6:7], v[12:13]
	v_fma_f64 v[200:201], v[4:5], v[12:13], -v[14:15]
	ds_load_b128 v[4:7], v2 offset:1136
	s_wait_loadcnt_dscnt 0xb01
	v_mul_f64_e32 v[196:197], v[188:189], v[142:143]
	v_mul_f64_e32 v[142:143], v[190:191], v[142:143]
	scratch_load_b128 v[12:15], off, off offset:320
	v_add_f64_e32 v[192:193], v[192:193], v[194:195]
	v_add_f64_e32 v[202:203], v[182:183], v[180:181]
	ds_load_b128 v[180:183], v2 offset:1152
	s_wait_loadcnt_dscnt 0xb01
	v_mul_f64_e32 v[194:195], v[4:5], v[146:147]
	v_mul_f64_e32 v[146:147], v[6:7], v[146:147]
	v_fmac_f64_e32 v[196:197], v[190:191], v[140:141]
	v_fma_f64 v[188:189], v[188:189], v[140:141], -v[142:143]
	scratch_load_b128 v[140:143], off, off offset:336
	v_add_f64_e32 v[192:193], v[192:193], v[198:199]
	v_add_f64_e32 v[190:191], v[202:203], v[200:201]
	v_fmac_f64_e32 v[194:195], v[6:7], v[144:145]
	v_fma_f64 v[200:201], v[4:5], v[144:145], -v[146:147]
	ds_load_b128 v[4:7], v2 offset:1168
	s_wait_loadcnt_dscnt 0xb01
	v_mul_f64_e32 v[198:199], v[180:181], v[150:151]
	v_mul_f64_e32 v[150:151], v[182:183], v[150:151]
	scratch_load_b128 v[144:147], off, off offset:352
	v_add_f64_e32 v[192:193], v[192:193], v[196:197]
	s_wait_loadcnt_dscnt 0xb00
	v_mul_f64_e32 v[196:197], v[4:5], v[154:155]
	v_add_f64_e32 v[202:203], v[190:191], v[188:189]
	v_mul_f64_e32 v[154:155], v[6:7], v[154:155]
	ds_load_b128 v[188:191], v2 offset:1184
	v_fmac_f64_e32 v[198:199], v[182:183], v[148:149]
	v_fma_f64 v[180:181], v[180:181], v[148:149], -v[150:151]
	scratch_load_b128 v[148:151], off, off offset:368
	v_add_f64_e32 v[192:193], v[192:193], v[194:195]
	v_fmac_f64_e32 v[196:197], v[6:7], v[152:153]
	v_add_f64_e32 v[182:183], v[202:203], v[200:201]
	v_fma_f64 v[200:201], v[4:5], v[152:153], -v[154:155]
	ds_load_b128 v[4:7], v2 offset:1200
	s_wait_loadcnt_dscnt 0xb01
	v_mul_f64_e32 v[194:195], v[188:189], v[158:159]
	v_mul_f64_e32 v[158:159], v[190:191], v[158:159]
	scratch_load_b128 v[152:155], off, off offset:384
	v_add_f64_e32 v[192:193], v[192:193], v[198:199]
	s_wait_loadcnt_dscnt 0xb00
	v_mul_f64_e32 v[198:199], v[4:5], v[162:163]
	v_add_f64_e32 v[202:203], v[182:183], v[180:181]
	v_mul_f64_e32 v[162:163], v[6:7], v[162:163]
	ds_load_b128 v[180:183], v2 offset:1216
	v_fmac_f64_e32 v[194:195], v[190:191], v[156:157]
	v_fma_f64 v[188:189], v[188:189], v[156:157], -v[158:159]
	scratch_load_b128 v[156:159], off, off offset:400
	v_add_f64_e32 v[192:193], v[192:193], v[196:197]
	v_fmac_f64_e32 v[198:199], v[6:7], v[160:161]
	v_add_f64_e32 v[190:191], v[202:203], v[200:201]
	;; [unrolled: 18-line block ×3, first 2 shown]
	v_fma_f64 v[200:201], v[4:5], v[172:173], -v[174:175]
	ds_load_b128 v[4:7], v2 offset:1264
	s_wait_loadcnt_dscnt 0xa01
	v_mul_f64_e32 v[198:199], v[188:189], v[186:187]
	v_mul_f64_e32 v[186:187], v[190:191], v[186:187]
	scratch_load_b128 v[172:175], off, off offset:448
	v_add_f64_e32 v[192:193], v[192:193], v[196:197]
	v_add_f64_e32 v[202:203], v[182:183], v[180:181]
	s_wait_loadcnt_dscnt 0xa00
	v_mul_f64_e32 v[196:197], v[4:5], v[170:171]
	v_mul_f64_e32 v[170:171], v[6:7], v[170:171]
	v_fmac_f64_e32 v[198:199], v[190:191], v[184:185]
	v_fma_f64 v[188:189], v[188:189], v[184:185], -v[186:187]
	ds_load_b128 v[180:183], v2 offset:1280
	scratch_load_b128 v[184:187], off, off offset:464
	v_add_f64_e32 v[192:193], v[192:193], v[194:195]
	v_add_f64_e32 v[190:191], v[202:203], v[200:201]
	v_fmac_f64_e32 v[196:197], v[6:7], v[168:169]
	v_fma_f64 v[200:201], v[4:5], v[168:169], -v[170:171]
	ds_load_b128 v[4:7], v2 offset:1296
	s_wait_loadcnt_dscnt 0xa01
	v_mul_f64_e32 v[194:195], v[180:181], v[10:11]
	v_mul_f64_e32 v[10:11], v[182:183], v[10:11]
	scratch_load_b128 v[168:171], off, off offset:480
	v_add_f64_e32 v[192:193], v[192:193], v[198:199]
	s_wait_loadcnt_dscnt 0xa00
	v_mul_f64_e32 v[198:199], v[4:5], v[14:15]
	v_add_f64_e32 v[202:203], v[190:191], v[188:189]
	v_mul_f64_e32 v[14:15], v[6:7], v[14:15]
	ds_load_b128 v[188:191], v2 offset:1312
	v_fmac_f64_e32 v[194:195], v[182:183], v[8:9]
	v_fma_f64 v[180:181], v[180:181], v[8:9], -v[10:11]
	scratch_load_b128 v[8:11], off, off offset:496
	v_add_f64_e32 v[192:193], v[192:193], v[196:197]
	v_fmac_f64_e32 v[198:199], v[6:7], v[12:13]
	v_add_f64_e32 v[182:183], v[202:203], v[200:201]
	v_fma_f64 v[200:201], v[4:5], v[12:13], -v[14:15]
	ds_load_b128 v[4:7], v2 offset:1328
	s_wait_loadcnt_dscnt 0xa01
	v_mul_f64_e32 v[196:197], v[188:189], v[142:143]
	v_mul_f64_e32 v[142:143], v[190:191], v[142:143]
	scratch_load_b128 v[12:15], off, off offset:512
	v_add_f64_e32 v[192:193], v[192:193], v[194:195]
	s_wait_loadcnt_dscnt 0xa00
	v_mul_f64_e32 v[194:195], v[4:5], v[146:147]
	v_add_f64_e32 v[202:203], v[182:183], v[180:181]
	v_mul_f64_e32 v[146:147], v[6:7], v[146:147]
	ds_load_b128 v[180:183], v2 offset:1344
	v_fmac_f64_e32 v[196:197], v[190:191], v[140:141]
	v_fma_f64 v[188:189], v[188:189], v[140:141], -v[142:143]
	scratch_load_b128 v[140:143], off, off offset:528
	v_add_f64_e32 v[192:193], v[192:193], v[198:199]
	v_fmac_f64_e32 v[194:195], v[6:7], v[144:145]
	v_add_f64_e32 v[190:191], v[202:203], v[200:201]
	;; [unrolled: 18-line block ×15, first 2 shown]
	v_fma_f64 v[200:201], v[4:5], v[152:153], -v[154:155]
	ds_load_b128 v[4:7], v2 offset:1776
	s_wait_loadcnt_dscnt 0xa01
	v_mul_f64_e32 v[194:195], v[188:189], v[158:159]
	v_mul_f64_e32 v[158:159], v[190:191], v[158:159]
	scratch_load_b128 v[152:155], off, off offset:960
	v_add_f64_e32 v[192:193], v[192:193], v[198:199]
	s_wait_loadcnt_dscnt 0xa00
	v_mul_f64_e32 v[198:199], v[4:5], v[162:163]
	v_add_f64_e32 v[202:203], v[182:183], v[180:181]
	v_mul_f64_e32 v[162:163], v[6:7], v[162:163]
	ds_load_b128 v[180:183], v2 offset:1792
	v_fmac_f64_e32 v[194:195], v[190:191], v[156:157]
	v_fma_f64 v[156:157], v[188:189], v[156:157], -v[158:159]
	s_wait_loadcnt_dscnt 0x900
	v_mul_f64_e32 v[190:191], v[180:181], v[166:167]
	v_mul_f64_e32 v[166:167], v[182:183], v[166:167]
	v_add_f64_e32 v[188:189], v[192:193], v[196:197]
	v_fmac_f64_e32 v[198:199], v[6:7], v[160:161]
	v_add_f64_e32 v[158:159], v[202:203], v[200:201]
	v_fma_f64 v[160:161], v[4:5], v[160:161], -v[162:163]
	v_fmac_f64_e32 v[190:191], v[182:183], v[164:165]
	v_fma_f64 v[164:165], v[180:181], v[164:165], -v[166:167]
	v_add_f64_e32 v[188:189], v[188:189], v[194:195]
	v_add_f64_e32 v[162:163], v[158:159], v[156:157]
	ds_load_b128 v[4:7], v2 offset:1808
	ds_load_b128 v[156:159], v2 offset:1824
	s_wait_loadcnt_dscnt 0x801
	v_mul_f64_e32 v[192:193], v[4:5], v[174:175]
	v_mul_f64_e32 v[174:175], v[6:7], v[174:175]
	s_wait_loadcnt_dscnt 0x700
	v_mul_f64_e32 v[166:167], v[156:157], v[186:187]
	v_mul_f64_e32 v[180:181], v[158:159], v[186:187]
	v_add_f64_e32 v[160:161], v[162:163], v[160:161]
	v_add_f64_e32 v[162:163], v[188:189], v[198:199]
	v_fmac_f64_e32 v[192:193], v[6:7], v[172:173]
	v_fma_f64 v[172:173], v[4:5], v[172:173], -v[174:175]
	v_fmac_f64_e32 v[166:167], v[158:159], v[184:185]
	v_fma_f64 v[156:157], v[156:157], v[184:185], -v[180:181]
	v_add_f64_e32 v[164:165], v[160:161], v[164:165]
	v_add_f64_e32 v[174:175], v[162:163], v[190:191]
	ds_load_b128 v[4:7], v2 offset:1840
	ds_load_b128 v[160:163], v2 offset:1856
	s_wait_loadcnt_dscnt 0x601
	v_mul_f64_e32 v[182:183], v[4:5], v[170:171]
	v_mul_f64_e32 v[170:171], v[6:7], v[170:171]
	v_add_f64_e32 v[158:159], v[164:165], v[172:173]
	v_add_f64_e32 v[164:165], v[174:175], v[192:193]
	s_wait_loadcnt_dscnt 0x500
	v_mul_f64_e32 v[172:173], v[160:161], v[10:11]
	v_mul_f64_e32 v[10:11], v[162:163], v[10:11]
	v_fmac_f64_e32 v[182:183], v[6:7], v[168:169]
	v_fma_f64 v[168:169], v[4:5], v[168:169], -v[170:171]
	v_add_f64_e32 v[170:171], v[158:159], v[156:157]
	v_add_f64_e32 v[164:165], v[164:165], v[166:167]
	ds_load_b128 v[4:7], v2 offset:1872
	ds_load_b128 v[156:159], v2 offset:1888
	v_fmac_f64_e32 v[172:173], v[162:163], v[8:9]
	v_fma_f64 v[8:9], v[160:161], v[8:9], -v[10:11]
	s_wait_loadcnt_dscnt 0x401
	v_mul_f64_e32 v[166:167], v[4:5], v[14:15]
	v_mul_f64_e32 v[14:15], v[6:7], v[14:15]
	s_wait_loadcnt_dscnt 0x300
	v_mul_f64_e32 v[162:163], v[156:157], v[142:143]
	v_mul_f64_e32 v[142:143], v[158:159], v[142:143]
	v_add_f64_e32 v[10:11], v[170:171], v[168:169]
	v_add_f64_e32 v[160:161], v[164:165], v[182:183]
	v_fmac_f64_e32 v[166:167], v[6:7], v[12:13]
	v_fma_f64 v[12:13], v[4:5], v[12:13], -v[14:15]
	v_fmac_f64_e32 v[162:163], v[158:159], v[140:141]
	v_fma_f64 v[140:141], v[156:157], v[140:141], -v[142:143]
	v_add_f64_e32 v[14:15], v[10:11], v[8:9]
	v_add_f64_e32 v[160:161], v[160:161], v[172:173]
	ds_load_b128 v[4:7], v2 offset:1904
	ds_load_b128 v[8:11], v2 offset:1920
	s_wait_loadcnt_dscnt 0x201
	v_mul_f64_e32 v[164:165], v[4:5], v[146:147]
	v_mul_f64_e32 v[146:147], v[6:7], v[146:147]
	s_wait_loadcnt_dscnt 0x100
	v_mul_f64_e32 v[142:143], v[8:9], v[150:151]
	v_mul_f64_e32 v[150:151], v[10:11], v[150:151]
	v_add_f64_e32 v[12:13], v[14:15], v[12:13]
	v_add_f64_e32 v[14:15], v[160:161], v[166:167]
	v_fmac_f64_e32 v[164:165], v[6:7], v[144:145]
	v_fma_f64 v[144:145], v[4:5], v[144:145], -v[146:147]
	ds_load_b128 v[4:7], v2 offset:1936
	v_fmac_f64_e32 v[142:143], v[10:11], v[148:149]
	v_fma_f64 v[8:9], v[8:9], v[148:149], -v[150:151]
	v_add_f64_e32 v[12:13], v[12:13], v[140:141]
	v_add_f64_e32 v[14:15], v[14:15], v[162:163]
	s_wait_loadcnt_dscnt 0x0
	v_mul_f64_e32 v[140:141], v[4:5], v[154:155]
	v_mul_f64_e32 v[146:147], v[6:7], v[154:155]
	s_delay_alu instid0(VALU_DEP_4) | instskip(NEXT) | instid1(VALU_DEP_4)
	v_add_f64_e32 v[10:11], v[12:13], v[144:145]
	v_add_f64_e32 v[12:13], v[14:15], v[164:165]
	s_delay_alu instid0(VALU_DEP_4) | instskip(NEXT) | instid1(VALU_DEP_4)
	v_fmac_f64_e32 v[140:141], v[6:7], v[152:153]
	v_fma_f64 v[4:5], v[4:5], v[152:153], -v[146:147]
	s_delay_alu instid0(VALU_DEP_4) | instskip(NEXT) | instid1(VALU_DEP_4)
	v_add_f64_e32 v[6:7], v[10:11], v[8:9]
	v_add_f64_e32 v[8:9], v[12:13], v[142:143]
	s_delay_alu instid0(VALU_DEP_2) | instskip(NEXT) | instid1(VALU_DEP_2)
	v_add_f64_e32 v[4:5], v[6:7], v[4:5]
	v_add_f64_e32 v[6:7], v[8:9], v[140:141]
	s_delay_alu instid0(VALU_DEP_2) | instskip(NEXT) | instid1(VALU_DEP_2)
	v_add_f64_e64 v[4:5], v[176:177], -v[4:5]
	v_add_f64_e64 v[6:7], v[178:179], -v[6:7]
	scratch_store_b128 off, v[4:7], off offset:80
	s_wait_xcnt 0x0
	v_cmpx_lt_u32_e32 4, v1
	s_cbranch_execz .LBB60_383
; %bb.382:
	scratch_load_b128 v[6:9], off, s51
	v_dual_mov_b32 v3, v2 :: v_dual_mov_b32 v4, v2
	v_mov_b32_e32 v5, v2
	scratch_store_b128 off, v[2:5], off offset:64
	s_wait_loadcnt 0x0
	ds_store_b128 v138, v[6:9]
.LBB60_383:
	s_wait_xcnt 0x0
	s_or_b32 exec_lo, exec_lo, s2
	s_wait_storecnt_dscnt 0x0
	s_barrier_signal -1
	s_barrier_wait -1
	s_clause 0x9
	scratch_load_b128 v[4:7], off, off offset:80
	scratch_load_b128 v[8:11], off, off offset:96
	;; [unrolled: 1-line block ×10, first 2 shown]
	ds_load_b128 v[168:171], v2 offset:1056
	ds_load_b128 v[176:179], v2 offset:1072
	s_clause 0x2
	scratch_load_b128 v[172:175], off, off offset:240
	scratch_load_b128 v[180:183], off, off offset:64
	;; [unrolled: 1-line block ×3, first 2 shown]
	s_mov_b32 s2, exec_lo
	s_wait_loadcnt_dscnt 0xc01
	v_mul_f64_e32 v[188:189], v[170:171], v[6:7]
	v_mul_f64_e32 v[192:193], v[168:169], v[6:7]
	s_wait_loadcnt_dscnt 0xb00
	v_mul_f64_e32 v[194:195], v[176:177], v[10:11]
	v_mul_f64_e32 v[10:11], v[178:179], v[10:11]
	s_delay_alu instid0(VALU_DEP_4) | instskip(NEXT) | instid1(VALU_DEP_4)
	v_fma_f64 v[196:197], v[168:169], v[4:5], -v[188:189]
	v_fmac_f64_e32 v[192:193], v[170:171], v[4:5]
	ds_load_b128 v[4:7], v2 offset:1088
	ds_load_b128 v[168:171], v2 offset:1104
	scratch_load_b128 v[188:191], off, off offset:272
	v_fmac_f64_e32 v[194:195], v[178:179], v[8:9]
	v_fma_f64 v[176:177], v[176:177], v[8:9], -v[10:11]
	scratch_load_b128 v[8:11], off, off offset:288
	s_wait_loadcnt_dscnt 0xc01
	v_mul_f64_e32 v[198:199], v[4:5], v[14:15]
	v_mul_f64_e32 v[14:15], v[6:7], v[14:15]
	v_add_f64_e32 v[178:179], 0, v[196:197]
	v_add_f64_e32 v[192:193], 0, v[192:193]
	s_wait_loadcnt_dscnt 0xb00
	v_mul_f64_e32 v[196:197], v[168:169], v[142:143]
	v_mul_f64_e32 v[142:143], v[170:171], v[142:143]
	v_fmac_f64_e32 v[198:199], v[6:7], v[12:13]
	v_fma_f64 v[200:201], v[4:5], v[12:13], -v[14:15]
	ds_load_b128 v[4:7], v2 offset:1120
	ds_load_b128 v[12:15], v2 offset:1136
	v_add_f64_e32 v[202:203], v[178:179], v[176:177]
	v_add_f64_e32 v[192:193], v[192:193], v[194:195]
	scratch_load_b128 v[176:179], off, off offset:304
	v_fmac_f64_e32 v[196:197], v[170:171], v[140:141]
	v_fma_f64 v[168:169], v[168:169], v[140:141], -v[142:143]
	scratch_load_b128 v[140:143], off, off offset:320
	s_wait_loadcnt_dscnt 0xc01
	v_mul_f64_e32 v[194:195], v[4:5], v[146:147]
	v_mul_f64_e32 v[146:147], v[6:7], v[146:147]
	v_add_f64_e32 v[170:171], v[202:203], v[200:201]
	v_add_f64_e32 v[192:193], v[192:193], v[198:199]
	s_wait_loadcnt_dscnt 0xb00
	v_mul_f64_e32 v[198:199], v[12:13], v[150:151]
	v_mul_f64_e32 v[150:151], v[14:15], v[150:151]
	v_fmac_f64_e32 v[194:195], v[6:7], v[144:145]
	v_fma_f64 v[200:201], v[4:5], v[144:145], -v[146:147]
	ds_load_b128 v[4:7], v2 offset:1152
	ds_load_b128 v[144:147], v2 offset:1168
	v_add_f64_e32 v[202:203], v[170:171], v[168:169]
	v_add_f64_e32 v[192:193], v[192:193], v[196:197]
	scratch_load_b128 v[168:171], off, off offset:336
	s_wait_loadcnt_dscnt 0xb01
	v_mul_f64_e32 v[196:197], v[4:5], v[154:155]
	v_mul_f64_e32 v[154:155], v[6:7], v[154:155]
	v_fmac_f64_e32 v[198:199], v[14:15], v[148:149]
	v_fma_f64 v[148:149], v[12:13], v[148:149], -v[150:151]
	scratch_load_b128 v[12:15], off, off offset:352
	v_add_f64_e32 v[150:151], v[202:203], v[200:201]
	v_add_f64_e32 v[192:193], v[192:193], v[194:195]
	s_wait_loadcnt_dscnt 0xb00
	v_mul_f64_e32 v[194:195], v[144:145], v[158:159]
	v_mul_f64_e32 v[158:159], v[146:147], v[158:159]
	v_fmac_f64_e32 v[196:197], v[6:7], v[152:153]
	v_fma_f64 v[200:201], v[4:5], v[152:153], -v[154:155]
	v_add_f64_e32 v[202:203], v[150:151], v[148:149]
	v_add_f64_e32 v[192:193], v[192:193], v[198:199]
	ds_load_b128 v[4:7], v2 offset:1184
	ds_load_b128 v[148:151], v2 offset:1200
	scratch_load_b128 v[152:155], off, off offset:368
	v_fmac_f64_e32 v[194:195], v[146:147], v[156:157]
	v_fma_f64 v[156:157], v[144:145], v[156:157], -v[158:159]
	scratch_load_b128 v[144:147], off, off offset:384
	s_wait_loadcnt_dscnt 0xc01
	v_mul_f64_e32 v[198:199], v[4:5], v[162:163]
	v_mul_f64_e32 v[162:163], v[6:7], v[162:163]
	v_add_f64_e32 v[158:159], v[202:203], v[200:201]
	v_add_f64_e32 v[192:193], v[192:193], v[196:197]
	s_wait_loadcnt_dscnt 0xb00
	v_mul_f64_e32 v[196:197], v[148:149], v[166:167]
	v_mul_f64_e32 v[166:167], v[150:151], v[166:167]
	v_fmac_f64_e32 v[198:199], v[6:7], v[160:161]
	v_fma_f64 v[200:201], v[4:5], v[160:161], -v[162:163]
	v_add_f64_e32 v[202:203], v[158:159], v[156:157]
	v_add_f64_e32 v[192:193], v[192:193], v[194:195]
	ds_load_b128 v[4:7], v2 offset:1216
	ds_load_b128 v[156:159], v2 offset:1232
	scratch_load_b128 v[160:163], off, off offset:400
	v_fmac_f64_e32 v[196:197], v[150:151], v[164:165]
	v_fma_f64 v[164:165], v[148:149], v[164:165], -v[166:167]
	scratch_load_b128 v[148:151], off, off offset:416
	s_wait_loadcnt_dscnt 0xc01
	v_mul_f64_e32 v[194:195], v[4:5], v[174:175]
	v_mul_f64_e32 v[174:175], v[6:7], v[174:175]
	;; [unrolled: 18-line block ×5, first 2 shown]
	v_add_f64_e32 v[186:187], v[202:203], v[200:201]
	v_add_f64_e32 v[192:193], v[192:193], v[198:199]
	s_wait_loadcnt_dscnt 0xa00
	v_mul_f64_e32 v[198:199], v[164:165], v[14:15]
	v_mul_f64_e32 v[14:15], v[166:167], v[14:15]
	v_fmac_f64_e32 v[194:195], v[6:7], v[168:169]
	v_fma_f64 v[200:201], v[4:5], v[168:169], -v[170:171]
	ds_load_b128 v[4:7], v2 offset:1344
	ds_load_b128 v[168:171], v2 offset:1360
	v_add_f64_e32 v[202:203], v[186:187], v[184:185]
	v_add_f64_e32 v[192:193], v[192:193], v[196:197]
	scratch_load_b128 v[184:187], off, off offset:528
	v_fmac_f64_e32 v[198:199], v[166:167], v[12:13]
	v_fma_f64 v[164:165], v[164:165], v[12:13], -v[14:15]
	scratch_load_b128 v[12:15], off, off offset:544
	s_wait_loadcnt_dscnt 0xb01
	v_mul_f64_e32 v[196:197], v[4:5], v[154:155]
	v_mul_f64_e32 v[154:155], v[6:7], v[154:155]
	v_add_f64_e32 v[166:167], v[202:203], v[200:201]
	v_add_f64_e32 v[192:193], v[192:193], v[194:195]
	s_wait_loadcnt_dscnt 0xa00
	v_mul_f64_e32 v[194:195], v[168:169], v[146:147]
	v_mul_f64_e32 v[146:147], v[170:171], v[146:147]
	v_fmac_f64_e32 v[196:197], v[6:7], v[152:153]
	v_fma_f64 v[200:201], v[4:5], v[152:153], -v[154:155]
	ds_load_b128 v[4:7], v2 offset:1376
	ds_load_b128 v[152:155], v2 offset:1392
	v_add_f64_e32 v[202:203], v[166:167], v[164:165]
	v_add_f64_e32 v[192:193], v[192:193], v[198:199]
	scratch_load_b128 v[164:167], off, off offset:560
	s_wait_loadcnt_dscnt 0xa01
	v_mul_f64_e32 v[198:199], v[4:5], v[162:163]
	v_mul_f64_e32 v[162:163], v[6:7], v[162:163]
	v_fmac_f64_e32 v[194:195], v[170:171], v[144:145]
	v_fma_f64 v[168:169], v[168:169], v[144:145], -v[146:147]
	scratch_load_b128 v[144:147], off, off offset:576
	v_add_f64_e32 v[170:171], v[202:203], v[200:201]
	v_add_f64_e32 v[192:193], v[192:193], v[196:197]
	s_wait_loadcnt_dscnt 0xa00
	v_mul_f64_e32 v[196:197], v[152:153], v[150:151]
	v_mul_f64_e32 v[150:151], v[154:155], v[150:151]
	v_fmac_f64_e32 v[198:199], v[6:7], v[160:161]
	v_fma_f64 v[200:201], v[4:5], v[160:161], -v[162:163]
	ds_load_b128 v[4:7], v2 offset:1408
	ds_load_b128 v[160:163], v2 offset:1424
	v_add_f64_e32 v[202:203], v[170:171], v[168:169]
	v_add_f64_e32 v[192:193], v[192:193], v[194:195]
	scratch_load_b128 v[168:171], off, off offset:592
	s_wait_loadcnt_dscnt 0xa01
	v_mul_f64_e32 v[194:195], v[4:5], v[174:175]
	v_mul_f64_e32 v[174:175], v[6:7], v[174:175]
	v_fmac_f64_e32 v[196:197], v[154:155], v[148:149]
	v_fma_f64 v[152:153], v[152:153], v[148:149], -v[150:151]
	scratch_load_b128 v[148:151], off, off offset:608
	v_add_f64_e32 v[154:155], v[202:203], v[200:201]
	v_add_f64_e32 v[192:193], v[192:193], v[198:199]
	s_wait_loadcnt_dscnt 0xa00
	v_mul_f64_e32 v[198:199], v[160:161], v[158:159]
	v_mul_f64_e32 v[158:159], v[162:163], v[158:159]
	v_fmac_f64_e32 v[194:195], v[6:7], v[172:173]
	v_fma_f64 v[200:201], v[4:5], v[172:173], -v[174:175]
	v_add_f64_e32 v[202:203], v[154:155], v[152:153]
	v_add_f64_e32 v[192:193], v[192:193], v[196:197]
	ds_load_b128 v[4:7], v2 offset:1440
	ds_load_b128 v[152:155], v2 offset:1456
	scratch_load_b128 v[172:175], off, off offset:624
	v_fmac_f64_e32 v[198:199], v[162:163], v[156:157]
	v_fma_f64 v[160:161], v[160:161], v[156:157], -v[158:159]
	scratch_load_b128 v[156:159], off, off offset:640
	s_wait_loadcnt_dscnt 0xb01
	v_mul_f64_e32 v[196:197], v[4:5], v[190:191]
	v_mul_f64_e32 v[190:191], v[6:7], v[190:191]
	v_add_f64_e32 v[162:163], v[202:203], v[200:201]
	v_add_f64_e32 v[192:193], v[192:193], v[194:195]
	s_wait_loadcnt_dscnt 0xa00
	v_mul_f64_e32 v[194:195], v[152:153], v[10:11]
	v_mul_f64_e32 v[10:11], v[154:155], v[10:11]
	v_fmac_f64_e32 v[196:197], v[6:7], v[188:189]
	v_fma_f64 v[200:201], v[4:5], v[188:189], -v[190:191]
	v_add_f64_e32 v[202:203], v[162:163], v[160:161]
	v_add_f64_e32 v[192:193], v[192:193], v[198:199]
	ds_load_b128 v[4:7], v2 offset:1472
	ds_load_b128 v[160:163], v2 offset:1488
	scratch_load_b128 v[188:191], off, off offset:656
	v_fmac_f64_e32 v[194:195], v[154:155], v[8:9]
	v_fma_f64 v[152:153], v[152:153], v[8:9], -v[10:11]
	scratch_load_b128 v[8:11], off, off offset:672
	s_wait_loadcnt_dscnt 0xb01
	v_mul_f64_e32 v[198:199], v[4:5], v[178:179]
	v_mul_f64_e32 v[178:179], v[6:7], v[178:179]
	;; [unrolled: 18-line block ×11, first 2 shown]
	v_add_f64_e32 v[162:163], v[202:203], v[200:201]
	v_add_f64_e32 v[192:193], v[192:193], v[196:197]
	s_wait_loadcnt_dscnt 0xa00
	v_mul_f64_e32 v[196:197], v[152:153], v[150:151]
	v_mul_f64_e32 v[150:151], v[154:155], v[150:151]
	v_fmac_f64_e32 v[198:199], v[6:7], v[168:169]
	v_fma_f64 v[168:169], v[4:5], v[168:169], -v[170:171]
	v_add_f64_e32 v[170:171], v[162:163], v[160:161]
	v_add_f64_e32 v[192:193], v[192:193], v[194:195]
	ds_load_b128 v[4:7], v2 offset:1792
	ds_load_b128 v[160:163], v2 offset:1808
	v_fmac_f64_e32 v[196:197], v[154:155], v[148:149]
	v_fma_f64 v[148:149], v[152:153], v[148:149], -v[150:151]
	s_wait_loadcnt_dscnt 0x901
	v_mul_f64_e32 v[194:195], v[4:5], v[174:175]
	v_mul_f64_e32 v[174:175], v[6:7], v[174:175]
	s_wait_loadcnt_dscnt 0x800
	v_mul_f64_e32 v[154:155], v[160:161], v[158:159]
	v_mul_f64_e32 v[158:159], v[162:163], v[158:159]
	v_add_f64_e32 v[150:151], v[170:171], v[168:169]
	v_add_f64_e32 v[152:153], v[192:193], v[198:199]
	v_fmac_f64_e32 v[194:195], v[6:7], v[172:173]
	v_fma_f64 v[168:169], v[4:5], v[172:173], -v[174:175]
	v_fmac_f64_e32 v[154:155], v[162:163], v[156:157]
	v_fma_f64 v[156:157], v[160:161], v[156:157], -v[158:159]
	v_add_f64_e32 v[170:171], v[150:151], v[148:149]
	v_add_f64_e32 v[152:153], v[152:153], v[196:197]
	ds_load_b128 v[4:7], v2 offset:1824
	ds_load_b128 v[148:151], v2 offset:1840
	s_wait_loadcnt_dscnt 0x701
	v_mul_f64_e32 v[172:173], v[4:5], v[190:191]
	v_mul_f64_e32 v[174:175], v[6:7], v[190:191]
	s_wait_loadcnt_dscnt 0x600
	v_mul_f64_e32 v[160:161], v[148:149], v[10:11]
	v_mul_f64_e32 v[10:11], v[150:151], v[10:11]
	v_add_f64_e32 v[158:159], v[170:171], v[168:169]
	v_add_f64_e32 v[152:153], v[152:153], v[194:195]
	v_fmac_f64_e32 v[172:173], v[6:7], v[188:189]
	v_fma_f64 v[162:163], v[4:5], v[188:189], -v[174:175]
	v_fmac_f64_e32 v[160:161], v[150:151], v[8:9]
	v_fma_f64 v[8:9], v[148:149], v[8:9], -v[10:11]
	v_add_f64_e32 v[156:157], v[158:159], v[156:157]
	v_add_f64_e32 v[158:159], v[152:153], v[154:155]
	ds_load_b128 v[4:7], v2 offset:1856
	ds_load_b128 v[152:155], v2 offset:1872
	;; [unrolled: 16-line block ×4, first 2 shown]
	s_wait_loadcnt_dscnt 0x101
	v_mul_f64_e32 v[2:3], v[4:5], v[166:167]
	v_mul_f64_e32 v[150:151], v[6:7], v[166:167]
	s_wait_loadcnt_dscnt 0x0
	v_mul_f64_e32 v[14:15], v[140:141], v[146:147]
	v_mul_f64_e32 v[146:147], v[142:143], v[146:147]
	v_add_f64_e32 v[10:11], v[156:157], v[154:155]
	v_add_f64_e32 v[12:13], v[148:149], v[160:161]
	v_fmac_f64_e32 v[2:3], v[6:7], v[164:165]
	v_fma_f64 v[4:5], v[4:5], v[164:165], -v[150:151]
	v_fmac_f64_e32 v[14:15], v[142:143], v[144:145]
	v_add_f64_e32 v[6:7], v[10:11], v[8:9]
	v_add_f64_e32 v[8:9], v[12:13], v[152:153]
	v_fma_f64 v[10:11], v[140:141], v[144:145], -v[146:147]
	s_delay_alu instid0(VALU_DEP_3) | instskip(NEXT) | instid1(VALU_DEP_3)
	v_add_f64_e32 v[4:5], v[6:7], v[4:5]
	v_add_f64_e32 v[2:3], v[8:9], v[2:3]
	s_delay_alu instid0(VALU_DEP_2) | instskip(NEXT) | instid1(VALU_DEP_2)
	v_add_f64_e32 v[4:5], v[4:5], v[10:11]
	v_add_f64_e32 v[6:7], v[2:3], v[14:15]
	s_delay_alu instid0(VALU_DEP_2) | instskip(NEXT) | instid1(VALU_DEP_2)
	v_add_f64_e64 v[2:3], v[180:181], -v[4:5]
	v_add_f64_e64 v[4:5], v[182:183], -v[6:7]
	scratch_store_b128 off, v[2:5], off offset:64
	s_wait_xcnt 0x0
	v_cmpx_lt_u32_e32 3, v1
	s_cbranch_execz .LBB60_385
; %bb.384:
	scratch_load_b128 v[2:5], off, s52
	v_mov_b32_e32 v6, 0
	s_delay_alu instid0(VALU_DEP_1)
	v_dual_mov_b32 v7, v6 :: v_dual_mov_b32 v8, v6
	v_mov_b32_e32 v9, v6
	scratch_store_b128 off, v[6:9], off offset:48
	s_wait_loadcnt 0x0
	ds_store_b128 v138, v[2:5]
.LBB60_385:
	s_wait_xcnt 0x0
	s_or_b32 exec_lo, exec_lo, s2
	s_wait_storecnt_dscnt 0x0
	s_barrier_signal -1
	s_barrier_wait -1
	s_clause 0x9
	scratch_load_b128 v[4:7], off, off offset:64
	scratch_load_b128 v[8:11], off, off offset:80
	;; [unrolled: 1-line block ×10, first 2 shown]
	v_mov_b32_e32 v2, 0
	s_mov_b32 s2, exec_lo
	ds_load_b128 v[168:171], v2 offset:1040
	s_clause 0x2
	scratch_load_b128 v[172:175], off, off offset:224
	scratch_load_b128 v[176:179], off, off offset:48
	;; [unrolled: 1-line block ×3, first 2 shown]
	s_wait_loadcnt_dscnt 0xc00
	v_mul_f64_e32 v[188:189], v[170:171], v[6:7]
	v_mul_f64_e32 v[192:193], v[168:169], v[6:7]
	ds_load_b128 v[180:183], v2 offset:1056
	v_fma_f64 v[196:197], v[168:169], v[4:5], -v[188:189]
	v_fmac_f64_e32 v[192:193], v[170:171], v[4:5]
	ds_load_b128 v[4:7], v2 offset:1072
	s_wait_loadcnt_dscnt 0xb01
	v_mul_f64_e32 v[194:195], v[180:181], v[10:11]
	v_mul_f64_e32 v[10:11], v[182:183], v[10:11]
	scratch_load_b128 v[168:171], off, off offset:256
	ds_load_b128 v[188:191], v2 offset:1088
	s_wait_loadcnt_dscnt 0xb01
	v_mul_f64_e32 v[198:199], v[4:5], v[14:15]
	v_mul_f64_e32 v[14:15], v[6:7], v[14:15]
	v_add_f64_e32 v[192:193], 0, v[192:193]
	v_fmac_f64_e32 v[194:195], v[182:183], v[8:9]
	v_fma_f64 v[180:181], v[180:181], v[8:9], -v[10:11]
	v_add_f64_e32 v[182:183], 0, v[196:197]
	scratch_load_b128 v[8:11], off, off offset:272
	v_fmac_f64_e32 v[198:199], v[6:7], v[12:13]
	v_fma_f64 v[200:201], v[4:5], v[12:13], -v[14:15]
	ds_load_b128 v[4:7], v2 offset:1104
	s_wait_loadcnt_dscnt 0xb01
	v_mul_f64_e32 v[196:197], v[188:189], v[142:143]
	v_mul_f64_e32 v[142:143], v[190:191], v[142:143]
	scratch_load_b128 v[12:15], off, off offset:288
	v_add_f64_e32 v[192:193], v[192:193], v[194:195]
	v_add_f64_e32 v[202:203], v[182:183], v[180:181]
	ds_load_b128 v[180:183], v2 offset:1120
	s_wait_loadcnt_dscnt 0xb01
	v_mul_f64_e32 v[194:195], v[4:5], v[146:147]
	v_mul_f64_e32 v[146:147], v[6:7], v[146:147]
	v_fmac_f64_e32 v[196:197], v[190:191], v[140:141]
	v_fma_f64 v[188:189], v[188:189], v[140:141], -v[142:143]
	scratch_load_b128 v[140:143], off, off offset:304
	v_add_f64_e32 v[192:193], v[192:193], v[198:199]
	v_add_f64_e32 v[190:191], v[202:203], v[200:201]
	v_fmac_f64_e32 v[194:195], v[6:7], v[144:145]
	v_fma_f64 v[200:201], v[4:5], v[144:145], -v[146:147]
	ds_load_b128 v[4:7], v2 offset:1136
	s_wait_loadcnt_dscnt 0xb01
	v_mul_f64_e32 v[198:199], v[180:181], v[150:151]
	v_mul_f64_e32 v[150:151], v[182:183], v[150:151]
	scratch_load_b128 v[144:147], off, off offset:320
	v_add_f64_e32 v[192:193], v[192:193], v[196:197]
	s_wait_loadcnt_dscnt 0xb00
	v_mul_f64_e32 v[196:197], v[4:5], v[154:155]
	v_add_f64_e32 v[202:203], v[190:191], v[188:189]
	v_mul_f64_e32 v[154:155], v[6:7], v[154:155]
	ds_load_b128 v[188:191], v2 offset:1152
	v_fmac_f64_e32 v[198:199], v[182:183], v[148:149]
	v_fma_f64 v[180:181], v[180:181], v[148:149], -v[150:151]
	scratch_load_b128 v[148:151], off, off offset:336
	v_add_f64_e32 v[192:193], v[192:193], v[194:195]
	v_fmac_f64_e32 v[196:197], v[6:7], v[152:153]
	v_add_f64_e32 v[182:183], v[202:203], v[200:201]
	v_fma_f64 v[200:201], v[4:5], v[152:153], -v[154:155]
	ds_load_b128 v[4:7], v2 offset:1168
	s_wait_loadcnt_dscnt 0xb01
	v_mul_f64_e32 v[194:195], v[188:189], v[158:159]
	v_mul_f64_e32 v[158:159], v[190:191], v[158:159]
	scratch_load_b128 v[152:155], off, off offset:352
	v_add_f64_e32 v[192:193], v[192:193], v[198:199]
	s_wait_loadcnt_dscnt 0xb00
	v_mul_f64_e32 v[198:199], v[4:5], v[162:163]
	v_add_f64_e32 v[202:203], v[182:183], v[180:181]
	v_mul_f64_e32 v[162:163], v[6:7], v[162:163]
	ds_load_b128 v[180:183], v2 offset:1184
	v_fmac_f64_e32 v[194:195], v[190:191], v[156:157]
	v_fma_f64 v[188:189], v[188:189], v[156:157], -v[158:159]
	scratch_load_b128 v[156:159], off, off offset:368
	v_add_f64_e32 v[192:193], v[192:193], v[196:197]
	v_fmac_f64_e32 v[198:199], v[6:7], v[160:161]
	v_add_f64_e32 v[190:191], v[202:203], v[200:201]
	;; [unrolled: 18-line block ×3, first 2 shown]
	v_fma_f64 v[200:201], v[4:5], v[172:173], -v[174:175]
	ds_load_b128 v[4:7], v2 offset:1232
	s_wait_loadcnt_dscnt 0xa01
	v_mul_f64_e32 v[198:199], v[188:189], v[186:187]
	v_mul_f64_e32 v[186:187], v[190:191], v[186:187]
	scratch_load_b128 v[172:175], off, off offset:416
	v_add_f64_e32 v[192:193], v[192:193], v[196:197]
	v_add_f64_e32 v[202:203], v[182:183], v[180:181]
	s_wait_loadcnt_dscnt 0xa00
	v_mul_f64_e32 v[196:197], v[4:5], v[170:171]
	v_mul_f64_e32 v[170:171], v[6:7], v[170:171]
	v_fmac_f64_e32 v[198:199], v[190:191], v[184:185]
	v_fma_f64 v[188:189], v[188:189], v[184:185], -v[186:187]
	ds_load_b128 v[180:183], v2 offset:1248
	scratch_load_b128 v[184:187], off, off offset:432
	v_add_f64_e32 v[192:193], v[192:193], v[194:195]
	v_add_f64_e32 v[190:191], v[202:203], v[200:201]
	v_fmac_f64_e32 v[196:197], v[6:7], v[168:169]
	v_fma_f64 v[200:201], v[4:5], v[168:169], -v[170:171]
	ds_load_b128 v[4:7], v2 offset:1264
	s_wait_loadcnt_dscnt 0xa01
	v_mul_f64_e32 v[194:195], v[180:181], v[10:11]
	v_mul_f64_e32 v[10:11], v[182:183], v[10:11]
	scratch_load_b128 v[168:171], off, off offset:448
	v_add_f64_e32 v[192:193], v[192:193], v[198:199]
	s_wait_loadcnt_dscnt 0xa00
	v_mul_f64_e32 v[198:199], v[4:5], v[14:15]
	v_add_f64_e32 v[202:203], v[190:191], v[188:189]
	v_mul_f64_e32 v[14:15], v[6:7], v[14:15]
	ds_load_b128 v[188:191], v2 offset:1280
	v_fmac_f64_e32 v[194:195], v[182:183], v[8:9]
	v_fma_f64 v[180:181], v[180:181], v[8:9], -v[10:11]
	scratch_load_b128 v[8:11], off, off offset:464
	v_add_f64_e32 v[192:193], v[192:193], v[196:197]
	v_fmac_f64_e32 v[198:199], v[6:7], v[12:13]
	v_add_f64_e32 v[182:183], v[202:203], v[200:201]
	v_fma_f64 v[200:201], v[4:5], v[12:13], -v[14:15]
	ds_load_b128 v[4:7], v2 offset:1296
	s_wait_loadcnt_dscnt 0xa01
	v_mul_f64_e32 v[196:197], v[188:189], v[142:143]
	v_mul_f64_e32 v[142:143], v[190:191], v[142:143]
	scratch_load_b128 v[12:15], off, off offset:480
	v_add_f64_e32 v[192:193], v[192:193], v[194:195]
	s_wait_loadcnt_dscnt 0xa00
	v_mul_f64_e32 v[194:195], v[4:5], v[146:147]
	v_add_f64_e32 v[202:203], v[182:183], v[180:181]
	v_mul_f64_e32 v[146:147], v[6:7], v[146:147]
	ds_load_b128 v[180:183], v2 offset:1312
	v_fmac_f64_e32 v[196:197], v[190:191], v[140:141]
	v_fma_f64 v[188:189], v[188:189], v[140:141], -v[142:143]
	scratch_load_b128 v[140:143], off, off offset:496
	v_add_f64_e32 v[192:193], v[192:193], v[198:199]
	v_fmac_f64_e32 v[194:195], v[6:7], v[144:145]
	v_add_f64_e32 v[190:191], v[202:203], v[200:201]
	;; [unrolled: 18-line block ×16, first 2 shown]
	v_fma_f64 v[200:201], v[4:5], v[160:161], -v[162:163]
	ds_load_b128 v[4:7], v2 offset:1776
	s_wait_loadcnt_dscnt 0xa01
	v_mul_f64_e32 v[196:197], v[180:181], v[166:167]
	v_mul_f64_e32 v[166:167], v[182:183], v[166:167]
	scratch_load_b128 v[160:163], off, off offset:960
	v_add_f64_e32 v[192:193], v[192:193], v[194:195]
	s_wait_loadcnt_dscnt 0xa00
	v_mul_f64_e32 v[194:195], v[4:5], v[174:175]
	v_add_f64_e32 v[202:203], v[190:191], v[188:189]
	v_mul_f64_e32 v[174:175], v[6:7], v[174:175]
	ds_load_b128 v[188:191], v2 offset:1792
	v_fmac_f64_e32 v[196:197], v[182:183], v[164:165]
	v_fma_f64 v[164:165], v[180:181], v[164:165], -v[166:167]
	s_wait_loadcnt_dscnt 0x900
	v_mul_f64_e32 v[182:183], v[188:189], v[186:187]
	v_mul_f64_e32 v[186:187], v[190:191], v[186:187]
	v_add_f64_e32 v[180:181], v[192:193], v[198:199]
	v_fmac_f64_e32 v[194:195], v[6:7], v[172:173]
	v_add_f64_e32 v[166:167], v[202:203], v[200:201]
	v_fma_f64 v[172:173], v[4:5], v[172:173], -v[174:175]
	v_fmac_f64_e32 v[182:183], v[190:191], v[184:185]
	v_fma_f64 v[184:185], v[188:189], v[184:185], -v[186:187]
	v_add_f64_e32 v[180:181], v[180:181], v[196:197]
	v_add_f64_e32 v[174:175], v[166:167], v[164:165]
	ds_load_b128 v[4:7], v2 offset:1808
	ds_load_b128 v[164:167], v2 offset:1824
	s_wait_loadcnt_dscnt 0x801
	v_mul_f64_e32 v[192:193], v[4:5], v[170:171]
	v_mul_f64_e32 v[170:171], v[6:7], v[170:171]
	v_add_f64_e32 v[172:173], v[174:175], v[172:173]
	v_add_f64_e32 v[174:175], v[180:181], v[194:195]
	s_wait_loadcnt_dscnt 0x700
	v_mul_f64_e32 v[180:181], v[164:165], v[10:11]
	v_mul_f64_e32 v[10:11], v[166:167], v[10:11]
	v_fmac_f64_e32 v[192:193], v[6:7], v[168:169]
	v_fma_f64 v[186:187], v[4:5], v[168:169], -v[170:171]
	ds_load_b128 v[4:7], v2 offset:1840
	ds_load_b128 v[168:171], v2 offset:1856
	v_add_f64_e32 v[172:173], v[172:173], v[184:185]
	v_add_f64_e32 v[174:175], v[174:175], v[182:183]
	v_fmac_f64_e32 v[180:181], v[166:167], v[8:9]
	v_fma_f64 v[8:9], v[164:165], v[8:9], -v[10:11]
	s_wait_loadcnt_dscnt 0x601
	v_mul_f64_e32 v[182:183], v[4:5], v[14:15]
	v_mul_f64_e32 v[14:15], v[6:7], v[14:15]
	s_wait_loadcnt_dscnt 0x500
	v_mul_f64_e32 v[166:167], v[168:169], v[142:143]
	v_mul_f64_e32 v[142:143], v[170:171], v[142:143]
	v_add_f64_e32 v[10:11], v[172:173], v[186:187]
	v_add_f64_e32 v[164:165], v[174:175], v[192:193]
	v_fmac_f64_e32 v[182:183], v[6:7], v[12:13]
	v_fma_f64 v[12:13], v[4:5], v[12:13], -v[14:15]
	v_fmac_f64_e32 v[166:167], v[170:171], v[140:141]
	v_fma_f64 v[140:141], v[168:169], v[140:141], -v[142:143]
	v_add_f64_e32 v[14:15], v[10:11], v[8:9]
	v_add_f64_e32 v[164:165], v[164:165], v[180:181]
	ds_load_b128 v[4:7], v2 offset:1872
	ds_load_b128 v[8:11], v2 offset:1888
	s_wait_loadcnt_dscnt 0x401
	v_mul_f64_e32 v[172:173], v[4:5], v[146:147]
	v_mul_f64_e32 v[146:147], v[6:7], v[146:147]
	s_wait_loadcnt_dscnt 0x300
	v_mul_f64_e32 v[142:143], v[8:9], v[150:151]
	v_mul_f64_e32 v[150:151], v[10:11], v[150:151]
	v_add_f64_e32 v[12:13], v[14:15], v[12:13]
	v_add_f64_e32 v[14:15], v[164:165], v[182:183]
	v_fmac_f64_e32 v[172:173], v[6:7], v[144:145]
	v_fma_f64 v[144:145], v[4:5], v[144:145], -v[146:147]
	v_fmac_f64_e32 v[142:143], v[10:11], v[148:149]
	v_fma_f64 v[8:9], v[8:9], v[148:149], -v[150:151]
	v_add_f64_e32 v[140:141], v[12:13], v[140:141]
	v_add_f64_e32 v[146:147], v[14:15], v[166:167]
	ds_load_b128 v[4:7], v2 offset:1904
	ds_load_b128 v[12:15], v2 offset:1920
	s_wait_loadcnt_dscnt 0x201
	v_mul_f64_e32 v[164:165], v[4:5], v[154:155]
	v_mul_f64_e32 v[154:155], v[6:7], v[154:155]
	v_add_f64_e32 v[10:11], v[140:141], v[144:145]
	v_add_f64_e32 v[140:141], v[146:147], v[172:173]
	s_wait_loadcnt_dscnt 0x100
	v_mul_f64_e32 v[144:145], v[12:13], v[158:159]
	v_mul_f64_e32 v[146:147], v[14:15], v[158:159]
	v_fmac_f64_e32 v[164:165], v[6:7], v[152:153]
	v_fma_f64 v[148:149], v[4:5], v[152:153], -v[154:155]
	ds_load_b128 v[4:7], v2 offset:1936
	v_add_f64_e32 v[8:9], v[10:11], v[8:9]
	v_add_f64_e32 v[10:11], v[140:141], v[142:143]
	v_fmac_f64_e32 v[144:145], v[14:15], v[156:157]
	v_fma_f64 v[12:13], v[12:13], v[156:157], -v[146:147]
	s_wait_loadcnt_dscnt 0x0
	v_mul_f64_e32 v[140:141], v[4:5], v[162:163]
	v_mul_f64_e32 v[142:143], v[6:7], v[162:163]
	v_add_f64_e32 v[8:9], v[8:9], v[148:149]
	v_add_f64_e32 v[10:11], v[10:11], v[164:165]
	s_delay_alu instid0(VALU_DEP_4) | instskip(NEXT) | instid1(VALU_DEP_4)
	v_fmac_f64_e32 v[140:141], v[6:7], v[160:161]
	v_fma_f64 v[4:5], v[4:5], v[160:161], -v[142:143]
	s_delay_alu instid0(VALU_DEP_4) | instskip(NEXT) | instid1(VALU_DEP_4)
	v_add_f64_e32 v[6:7], v[8:9], v[12:13]
	v_add_f64_e32 v[8:9], v[10:11], v[144:145]
	s_delay_alu instid0(VALU_DEP_2) | instskip(NEXT) | instid1(VALU_DEP_2)
	v_add_f64_e32 v[4:5], v[6:7], v[4:5]
	v_add_f64_e32 v[6:7], v[8:9], v[140:141]
	s_delay_alu instid0(VALU_DEP_2) | instskip(NEXT) | instid1(VALU_DEP_2)
	v_add_f64_e64 v[4:5], v[176:177], -v[4:5]
	v_add_f64_e64 v[6:7], v[178:179], -v[6:7]
	scratch_store_b128 off, v[4:7], off offset:48
	s_wait_xcnt 0x0
	v_cmpx_lt_u32_e32 2, v1
	s_cbranch_execz .LBB60_387
; %bb.386:
	scratch_load_b128 v[6:9], off, s53
	v_dual_mov_b32 v3, v2 :: v_dual_mov_b32 v4, v2
	v_mov_b32_e32 v5, v2
	scratch_store_b128 off, v[2:5], off offset:32
	s_wait_loadcnt 0x0
	ds_store_b128 v138, v[6:9]
.LBB60_387:
	s_wait_xcnt 0x0
	s_or_b32 exec_lo, exec_lo, s2
	s_wait_storecnt_dscnt 0x0
	s_barrier_signal -1
	s_barrier_wait -1
	s_clause 0x9
	scratch_load_b128 v[4:7], off, off offset:48
	scratch_load_b128 v[8:11], off, off offset:64
	;; [unrolled: 1-line block ×10, first 2 shown]
	ds_load_b128 v[168:171], v2 offset:1024
	ds_load_b128 v[176:179], v2 offset:1040
	s_clause 0x2
	scratch_load_b128 v[172:175], off, off offset:208
	scratch_load_b128 v[180:183], off, off offset:32
	;; [unrolled: 1-line block ×3, first 2 shown]
	s_mov_b32 s2, exec_lo
	v_ashrrev_i32_e32 v21, 31, v20
	v_ashrrev_i32_e32 v25, 31, v24
	;; [unrolled: 1-line block ×3, first 2 shown]
	v_dual_ashrrev_i32 v33, 31, v32 :: v_dual_ashrrev_i32 v23, 31, v22
	v_dual_ashrrev_i32 v27, 31, v26 :: v_dual_ashrrev_i32 v37, 31, v36
	;; [unrolled: 1-line block ×8, first 2 shown]
	v_ashrrev_i32_e32 v65, 31, v64
	v_ashrrev_i32_e32 v69, 31, v68
	v_dual_ashrrev_i32 v73, 31, v72 :: v_dual_ashrrev_i32 v55, 31, v54
	v_ashrrev_i32_e32 v59, 31, v58
	v_ashrrev_i32_e32 v63, 31, v62
	v_dual_ashrrev_i32 v67, 31, v66 :: v_dual_ashrrev_i32 v77, 31, v76
	v_dual_ashrrev_i32 v81, 31, v80 :: v_dual_ashrrev_i32 v71, 31, v70
	;; [unrolled: 1-line block ×3, first 2 shown]
	v_ashrrev_i32_e32 v89, 31, v88
	v_dual_ashrrev_i32 v93, 31, v92 :: v_dual_ashrrev_i32 v79, 31, v78
	v_dual_ashrrev_i32 v97, 31, v96 :: v_dual_ashrrev_i32 v83, 31, v82
	v_ashrrev_i32_e32 v101, 31, v100
	v_dual_ashrrev_i32 v105, 31, v104 :: v_dual_ashrrev_i32 v87, 31, v86
	v_ashrrev_i32_e32 v91, 31, v90
	v_dual_ashrrev_i32 v95, 31, v94 :: v_dual_ashrrev_i32 v109, 31, v108
	v_dual_ashrrev_i32 v113, 31, v112 :: v_dual_ashrrev_i32 v99, 31, v98
	;; [unrolled: 1-line block ×3, first 2 shown]
	v_ashrrev_i32_e32 v121, 31, v120
	v_dual_ashrrev_i32 v125, 31, v124 :: v_dual_ashrrev_i32 v107, 31, v106
	v_dual_ashrrev_i32 v129, 31, v128 :: v_dual_ashrrev_i32 v111, 31, v110
	v_ashrrev_i32_e32 v133, 31, v132
	v_dual_ashrrev_i32 v137, 31, v136 :: v_dual_ashrrev_i32 v115, 31, v114
	v_ashrrev_i32_e32 v119, 31, v118
	v_ashrrev_i32_e32 v123, 31, v122
	;; [unrolled: 1-line block ×5, first 2 shown]
	s_wait_loadcnt_dscnt 0xc01
	v_mul_f64_e32 v[188:189], v[170:171], v[6:7]
	v_mul_f64_e32 v[192:193], v[168:169], v[6:7]
	s_wait_loadcnt_dscnt 0xb00
	v_mul_f64_e32 v[194:195], v[176:177], v[10:11]
	v_mul_f64_e32 v[10:11], v[178:179], v[10:11]
	s_delay_alu instid0(VALU_DEP_4) | instskip(NEXT) | instid1(VALU_DEP_4)
	v_fma_f64 v[196:197], v[168:169], v[4:5], -v[188:189]
	v_fmac_f64_e32 v[192:193], v[170:171], v[4:5]
	ds_load_b128 v[4:7], v2 offset:1056
	ds_load_b128 v[188:191], v2 offset:1072
	scratch_load_b128 v[168:171], off, off offset:240
	v_fmac_f64_e32 v[194:195], v[178:179], v[8:9]
	v_fma_f64 v[176:177], v[176:177], v[8:9], -v[10:11]
	scratch_load_b128 v[8:11], off, off offset:256
	s_wait_loadcnt_dscnt 0xc01
	v_mul_f64_e32 v[198:199], v[4:5], v[14:15]
	v_mul_f64_e32 v[14:15], v[6:7], v[14:15]
	v_add_f64_e32 v[178:179], 0, v[196:197]
	v_add_f64_e32 v[192:193], 0, v[192:193]
	s_wait_loadcnt_dscnt 0xb00
	v_mul_f64_e32 v[196:197], v[188:189], v[142:143]
	v_mul_f64_e32 v[142:143], v[190:191], v[142:143]
	v_fmac_f64_e32 v[198:199], v[6:7], v[12:13]
	v_fma_f64 v[200:201], v[4:5], v[12:13], -v[14:15]
	ds_load_b128 v[4:7], v2 offset:1088
	scratch_load_b128 v[12:15], off, off offset:272
	v_add_f64_e32 v[202:203], v[178:179], v[176:177]
	v_add_f64_e32 v[192:193], v[192:193], v[194:195]
	ds_load_b128 v[176:179], v2 offset:1104
	v_fmac_f64_e32 v[196:197], v[190:191], v[140:141]
	v_fma_f64 v[188:189], v[188:189], v[140:141], -v[142:143]
	scratch_load_b128 v[140:143], off, off offset:288
	s_wait_loadcnt_dscnt 0xc01
	v_mul_f64_e32 v[194:195], v[4:5], v[146:147]
	v_mul_f64_e32 v[146:147], v[6:7], v[146:147]
	v_add_f64_e32 v[190:191], v[202:203], v[200:201]
	v_add_f64_e32 v[192:193], v[192:193], v[198:199]
	s_wait_loadcnt_dscnt 0xb00
	v_mul_f64_e32 v[198:199], v[176:177], v[150:151]
	v_mul_f64_e32 v[150:151], v[178:179], v[150:151]
	v_fmac_f64_e32 v[194:195], v[6:7], v[144:145]
	v_fma_f64 v[200:201], v[4:5], v[144:145], -v[146:147]
	ds_load_b128 v[4:7], v2 offset:1120
	scratch_load_b128 v[144:147], off, off offset:304
	v_add_f64_e32 v[202:203], v[190:191], v[188:189]
	v_add_f64_e32 v[192:193], v[192:193], v[196:197]
	ds_load_b128 v[188:191], v2 offset:1136
	s_wait_loadcnt_dscnt 0xb01
	v_mul_f64_e32 v[196:197], v[4:5], v[154:155]
	v_mul_f64_e32 v[154:155], v[6:7], v[154:155]
	v_fmac_f64_e32 v[198:199], v[178:179], v[148:149]
	v_fma_f64 v[176:177], v[176:177], v[148:149], -v[150:151]
	scratch_load_b128 v[148:151], off, off offset:320
	v_add_f64_e32 v[178:179], v[202:203], v[200:201]
	v_add_f64_e32 v[192:193], v[192:193], v[194:195]
	s_wait_loadcnt_dscnt 0xb00
	v_mul_f64_e32 v[194:195], v[188:189], v[158:159]
	v_mul_f64_e32 v[158:159], v[190:191], v[158:159]
	v_fmac_f64_e32 v[196:197], v[6:7], v[152:153]
	v_fma_f64 v[200:201], v[4:5], v[152:153], -v[154:155]
	ds_load_b128 v[4:7], v2 offset:1152
	scratch_load_b128 v[152:155], off, off offset:336
	v_add_f64_e32 v[202:203], v[178:179], v[176:177]
	v_add_f64_e32 v[192:193], v[192:193], v[198:199]
	ds_load_b128 v[176:179], v2 offset:1168
	s_wait_loadcnt_dscnt 0xb01
	v_mul_f64_e32 v[198:199], v[4:5], v[162:163]
	v_mul_f64_e32 v[162:163], v[6:7], v[162:163]
	v_fmac_f64_e32 v[194:195], v[190:191], v[156:157]
	v_fma_f64 v[188:189], v[188:189], v[156:157], -v[158:159]
	scratch_load_b128 v[156:159], off, off offset:352
	;; [unrolled: 18-line block ×3, first 2 shown]
	v_add_f64_e32 v[178:179], v[202:203], v[200:201]
	v_add_f64_e32 v[192:193], v[192:193], v[198:199]
	s_wait_loadcnt_dscnt 0xa00
	v_mul_f64_e32 v[198:199], v[188:189], v[186:187]
	v_mul_f64_e32 v[186:187], v[190:191], v[186:187]
	v_fmac_f64_e32 v[194:195], v[6:7], v[172:173]
	v_fma_f64 v[200:201], v[4:5], v[172:173], -v[174:175]
	ds_load_b128 v[4:7], v2 offset:1216
	scratch_load_b128 v[172:175], off, off offset:400
	v_add_f64_e32 v[202:203], v[178:179], v[176:177]
	v_add_f64_e32 v[192:193], v[192:193], v[196:197]
	ds_load_b128 v[176:179], v2 offset:1232
	v_fmac_f64_e32 v[198:199], v[190:191], v[184:185]
	s_wait_loadcnt_dscnt 0xa01
	v_mul_f64_e32 v[196:197], v[4:5], v[170:171]
	v_mul_f64_e32 v[170:171], v[6:7], v[170:171]
	v_fma_f64 v[188:189], v[188:189], v[184:185], -v[186:187]
	scratch_load_b128 v[184:187], off, off offset:416
	v_add_f64_e32 v[190:191], v[202:203], v[200:201]
	v_add_f64_e32 v[192:193], v[192:193], v[194:195]
	s_wait_loadcnt_dscnt 0xa00
	v_mul_f64_e32 v[194:195], v[176:177], v[10:11]
	v_mul_f64_e32 v[10:11], v[178:179], v[10:11]
	v_fmac_f64_e32 v[196:197], v[6:7], v[168:169]
	v_fma_f64 v[200:201], v[4:5], v[168:169], -v[170:171]
	ds_load_b128 v[4:7], v2 offset:1248
	scratch_load_b128 v[168:171], off, off offset:432
	v_add_f64_e32 v[202:203], v[190:191], v[188:189]
	v_add_f64_e32 v[192:193], v[192:193], v[198:199]
	ds_load_b128 v[188:191], v2 offset:1264
	s_wait_loadcnt_dscnt 0xa01
	v_mul_f64_e32 v[198:199], v[4:5], v[14:15]
	v_mul_f64_e32 v[14:15], v[6:7], v[14:15]
	v_fmac_f64_e32 v[194:195], v[178:179], v[8:9]
	v_fma_f64 v[176:177], v[176:177], v[8:9], -v[10:11]
	scratch_load_b128 v[8:11], off, off offset:448
	v_add_f64_e32 v[178:179], v[202:203], v[200:201]
	v_add_f64_e32 v[192:193], v[192:193], v[196:197]
	s_wait_loadcnt_dscnt 0xa00
	v_mul_f64_e32 v[196:197], v[188:189], v[142:143]
	v_mul_f64_e32 v[142:143], v[190:191], v[142:143]
	v_fmac_f64_e32 v[198:199], v[6:7], v[12:13]
	v_fma_f64 v[200:201], v[4:5], v[12:13], -v[14:15]
	ds_load_b128 v[4:7], v2 offset:1280
	scratch_load_b128 v[12:15], off, off offset:464
	v_add_f64_e32 v[202:203], v[178:179], v[176:177]
	v_add_f64_e32 v[192:193], v[192:193], v[194:195]
	ds_load_b128 v[176:179], v2 offset:1296
	s_wait_loadcnt_dscnt 0xa01
	v_mul_f64_e32 v[194:195], v[4:5], v[146:147]
	v_mul_f64_e32 v[146:147], v[6:7], v[146:147]
	v_fmac_f64_e32 v[196:197], v[190:191], v[140:141]
	;; [unrolled: 18-line block ×17, first 2 shown]
	v_fma_f64 v[176:177], v[176:177], v[164:165], -v[166:167]
	scratch_load_b128 v[164:167], off, off offset:960
	v_add_f64_e32 v[178:179], v[202:203], v[200:201]
	v_add_f64_e32 v[192:193], v[192:193], v[198:199]
	s_wait_loadcnt_dscnt 0xa00
	v_mul_f64_e32 v[198:199], v[188:189], v[186:187]
	v_mul_f64_e32 v[186:187], v[190:191], v[186:187]
	v_fmac_f64_e32 v[194:195], v[6:7], v[172:173]
	v_fma_f64 v[200:201], v[4:5], v[172:173], -v[174:175]
	ds_load_b128 v[4:7], v2 offset:1792
	ds_load_b128 v[172:175], v2 offset:1808
	v_add_f64_e32 v[176:177], v[178:179], v[176:177]
	v_add_f64_e32 v[178:179], v[192:193], v[196:197]
	s_wait_loadcnt_dscnt 0x901
	v_mul_f64_e32 v[192:193], v[4:5], v[170:171]
	v_mul_f64_e32 v[170:171], v[6:7], v[170:171]
	v_fmac_f64_e32 v[198:199], v[190:191], v[184:185]
	v_fma_f64 v[184:185], v[188:189], v[184:185], -v[186:187]
	s_wait_loadcnt_dscnt 0x800
	v_mul_f64_e32 v[186:187], v[172:173], v[10:11]
	v_mul_f64_e32 v[10:11], v[174:175], v[10:11]
	v_add_f64_e32 v[176:177], v[176:177], v[200:201]
	v_add_f64_e32 v[178:179], v[178:179], v[194:195]
	v_fmac_f64_e32 v[192:193], v[6:7], v[168:169]
	v_fma_f64 v[188:189], v[4:5], v[168:169], -v[170:171]
	ds_load_b128 v[4:7], v2 offset:1824
	ds_load_b128 v[168:171], v2 offset:1840
	v_fmac_f64_e32 v[186:187], v[174:175], v[8:9]
	v_fma_f64 v[8:9], v[172:173], v[8:9], -v[10:11]
	v_add_f64_e32 v[176:177], v[176:177], v[184:185]
	v_add_f64_e32 v[178:179], v[178:179], v[198:199]
	s_wait_loadcnt_dscnt 0x701
	v_mul_f64_e32 v[184:185], v[4:5], v[14:15]
	v_mul_f64_e32 v[14:15], v[6:7], v[14:15]
	s_wait_loadcnt_dscnt 0x600
	v_mul_f64_e32 v[174:175], v[168:169], v[142:143]
	v_mul_f64_e32 v[142:143], v[170:171], v[142:143]
	v_add_f64_e32 v[10:11], v[176:177], v[188:189]
	v_add_f64_e32 v[172:173], v[178:179], v[192:193]
	v_fmac_f64_e32 v[184:185], v[6:7], v[12:13]
	v_fma_f64 v[12:13], v[4:5], v[12:13], -v[14:15]
	v_fmac_f64_e32 v[174:175], v[170:171], v[140:141]
	v_fma_f64 v[140:141], v[168:169], v[140:141], -v[142:143]
	v_add_f64_e32 v[14:15], v[10:11], v[8:9]
	v_add_f64_e32 v[172:173], v[172:173], v[186:187]
	ds_load_b128 v[4:7], v2 offset:1856
	ds_load_b128 v[8:11], v2 offset:1872
	s_wait_loadcnt_dscnt 0x501
	v_mul_f64_e32 v[176:177], v[4:5], v[146:147]
	v_mul_f64_e32 v[146:147], v[6:7], v[146:147]
	s_wait_loadcnt_dscnt 0x400
	v_mul_f64_e32 v[142:143], v[8:9], v[150:151]
	v_mul_f64_e32 v[150:151], v[10:11], v[150:151]
	v_add_f64_e32 v[12:13], v[14:15], v[12:13]
	v_add_f64_e32 v[14:15], v[172:173], v[184:185]
	v_fmac_f64_e32 v[176:177], v[6:7], v[144:145]
	v_fma_f64 v[144:145], v[4:5], v[144:145], -v[146:147]
	v_fmac_f64_e32 v[142:143], v[10:11], v[148:149]
	v_fma_f64 v[8:9], v[8:9], v[148:149], -v[150:151]
	v_add_f64_e32 v[140:141], v[12:13], v[140:141]
	v_add_f64_e32 v[146:147], v[14:15], v[174:175]
	ds_load_b128 v[4:7], v2 offset:1888
	ds_load_b128 v[12:15], v2 offset:1904
	s_wait_loadcnt_dscnt 0x301
	v_mul_f64_e32 v[168:169], v[4:5], v[154:155]
	v_mul_f64_e32 v[154:155], v[6:7], v[154:155]
	v_add_f64_e32 v[10:11], v[140:141], v[144:145]
	v_add_f64_e32 v[140:141], v[146:147], v[176:177]
	s_wait_loadcnt_dscnt 0x200
	v_mul_f64_e32 v[144:145], v[12:13], v[158:159]
	v_mul_f64_e32 v[146:147], v[14:15], v[158:159]
	v_fmac_f64_e32 v[168:169], v[6:7], v[152:153]
	v_fma_f64 v[148:149], v[4:5], v[152:153], -v[154:155]
	v_add_f64_e32 v[150:151], v[10:11], v[8:9]
	v_add_f64_e32 v[140:141], v[140:141], v[142:143]
	ds_load_b128 v[4:7], v2 offset:1920
	ds_load_b128 v[8:11], v2 offset:1936
	v_fmac_f64_e32 v[144:145], v[14:15], v[156:157]
	v_fma_f64 v[12:13], v[12:13], v[156:157], -v[146:147]
	s_wait_loadcnt_dscnt 0x101
	v_mul_f64_e32 v[2:3], v[4:5], v[162:163]
	v_mul_f64_e32 v[142:143], v[6:7], v[162:163]
	s_wait_loadcnt_dscnt 0x0
	v_mul_f64_e32 v[146:147], v[8:9], v[166:167]
	v_add_f64_e32 v[14:15], v[150:151], v[148:149]
	v_add_f64_e32 v[140:141], v[140:141], v[168:169]
	v_mul_f64_e32 v[148:149], v[10:11], v[166:167]
	v_fmac_f64_e32 v[2:3], v[6:7], v[160:161]
	v_fma_f64 v[4:5], v[4:5], v[160:161], -v[142:143]
	v_fmac_f64_e32 v[146:147], v[10:11], v[164:165]
	v_add_f64_e32 v[6:7], v[14:15], v[12:13]
	v_add_f64_e32 v[12:13], v[140:141], v[144:145]
	v_fma_f64 v[8:9], v[8:9], v[164:165], -v[148:149]
	s_delay_alu instid0(VALU_DEP_3) | instskip(NEXT) | instid1(VALU_DEP_3)
	v_add_f64_e32 v[4:5], v[6:7], v[4:5]
	v_add_f64_e32 v[2:3], v[12:13], v[2:3]
	s_delay_alu instid0(VALU_DEP_2) | instskip(NEXT) | instid1(VALU_DEP_2)
	v_add_f64_e32 v[4:5], v[4:5], v[8:9]
	v_add_f64_e32 v[6:7], v[2:3], v[146:147]
	s_delay_alu instid0(VALU_DEP_2) | instskip(NEXT) | instid1(VALU_DEP_2)
	v_add_f64_e64 v[2:3], v[180:181], -v[4:5]
	v_add_f64_e64 v[4:5], v[182:183], -v[6:7]
	scratch_store_b128 off, v[2:5], off offset:32
	s_wait_xcnt 0x0
	v_cmpx_lt_u32_e32 1, v1
	s_cbranch_execz .LBB60_389
; %bb.388:
	scratch_load_b128 v[2:5], off, s54
	v_mov_b32_e32 v6, 0
	s_delay_alu instid0(VALU_DEP_1)
	v_dual_mov_b32 v7, v6 :: v_dual_mov_b32 v8, v6
	v_mov_b32_e32 v9, v6
	scratch_store_b128 off, v[6:9], off offset:16
	s_wait_loadcnt 0x0
	ds_store_b128 v138, v[2:5]
.LBB60_389:
	s_wait_xcnt 0x0
	s_or_b32 exec_lo, exec_lo, s2
	s_wait_storecnt_dscnt 0x0
	s_barrier_signal -1
	s_barrier_wait -1
	s_clause 0x9
	scratch_load_b128 v[4:7], off, off offset:32
	scratch_load_b128 v[8:11], off, off offset:48
	scratch_load_b128 v[12:15], off, off offset:64
	scratch_load_b128 v[140:143], off, off offset:80
	scratch_load_b128 v[144:147], off, off offset:96
	scratch_load_b128 v[148:151], off, off offset:112
	scratch_load_b128 v[152:155], off, off offset:128
	scratch_load_b128 v[156:159], off, off offset:144
	scratch_load_b128 v[160:163], off, off offset:160
	scratch_load_b128 v[164:167], off, off offset:176
	v_mov_b32_e32 v2, 0
	s_mov_b32 s2, exec_lo
	ds_load_b128 v[168:171], v2 offset:1008
	s_clause 0x2
	scratch_load_b128 v[172:175], off, off offset:192
	scratch_load_b128 v[176:179], off, off offset:16
	;; [unrolled: 1-line block ×3, first 2 shown]
	s_wait_loadcnt_dscnt 0xc00
	v_mul_f64_e32 v[188:189], v[170:171], v[6:7]
	v_mul_f64_e32 v[192:193], v[168:169], v[6:7]
	ds_load_b128 v[180:183], v2 offset:1024
	v_fma_f64 v[196:197], v[168:169], v[4:5], -v[188:189]
	v_fmac_f64_e32 v[192:193], v[170:171], v[4:5]
	ds_load_b128 v[4:7], v2 offset:1040
	s_wait_loadcnt_dscnt 0xb01
	v_mul_f64_e32 v[194:195], v[180:181], v[10:11]
	v_mul_f64_e32 v[10:11], v[182:183], v[10:11]
	scratch_load_b128 v[168:171], off, off offset:224
	ds_load_b128 v[188:191], v2 offset:1056
	s_wait_loadcnt_dscnt 0xb01
	v_mul_f64_e32 v[198:199], v[4:5], v[14:15]
	v_mul_f64_e32 v[14:15], v[6:7], v[14:15]
	v_add_f64_e32 v[192:193], 0, v[192:193]
	v_fmac_f64_e32 v[194:195], v[182:183], v[8:9]
	v_fma_f64 v[180:181], v[180:181], v[8:9], -v[10:11]
	v_add_f64_e32 v[182:183], 0, v[196:197]
	scratch_load_b128 v[8:11], off, off offset:240
	v_fmac_f64_e32 v[198:199], v[6:7], v[12:13]
	v_fma_f64 v[200:201], v[4:5], v[12:13], -v[14:15]
	ds_load_b128 v[4:7], v2 offset:1072
	s_wait_loadcnt_dscnt 0xb01
	v_mul_f64_e32 v[196:197], v[188:189], v[142:143]
	v_mul_f64_e32 v[142:143], v[190:191], v[142:143]
	scratch_load_b128 v[12:15], off, off offset:256
	v_add_f64_e32 v[192:193], v[192:193], v[194:195]
	v_add_f64_e32 v[202:203], v[182:183], v[180:181]
	ds_load_b128 v[180:183], v2 offset:1088
	s_wait_loadcnt_dscnt 0xb01
	v_mul_f64_e32 v[194:195], v[4:5], v[146:147]
	v_mul_f64_e32 v[146:147], v[6:7], v[146:147]
	v_fmac_f64_e32 v[196:197], v[190:191], v[140:141]
	v_fma_f64 v[188:189], v[188:189], v[140:141], -v[142:143]
	scratch_load_b128 v[140:143], off, off offset:272
	v_add_f64_e32 v[192:193], v[192:193], v[198:199]
	v_add_f64_e32 v[190:191], v[202:203], v[200:201]
	v_fmac_f64_e32 v[194:195], v[6:7], v[144:145]
	v_fma_f64 v[200:201], v[4:5], v[144:145], -v[146:147]
	ds_load_b128 v[4:7], v2 offset:1104
	s_wait_loadcnt_dscnt 0xb01
	v_mul_f64_e32 v[198:199], v[180:181], v[150:151]
	v_mul_f64_e32 v[150:151], v[182:183], v[150:151]
	scratch_load_b128 v[144:147], off, off offset:288
	v_add_f64_e32 v[192:193], v[192:193], v[196:197]
	s_wait_loadcnt_dscnt 0xb00
	v_mul_f64_e32 v[196:197], v[4:5], v[154:155]
	v_add_f64_e32 v[202:203], v[190:191], v[188:189]
	v_mul_f64_e32 v[154:155], v[6:7], v[154:155]
	ds_load_b128 v[188:191], v2 offset:1120
	v_fmac_f64_e32 v[198:199], v[182:183], v[148:149]
	v_fma_f64 v[180:181], v[180:181], v[148:149], -v[150:151]
	scratch_load_b128 v[148:151], off, off offset:304
	v_add_f64_e32 v[192:193], v[192:193], v[194:195]
	v_fmac_f64_e32 v[196:197], v[6:7], v[152:153]
	v_add_f64_e32 v[182:183], v[202:203], v[200:201]
	v_fma_f64 v[200:201], v[4:5], v[152:153], -v[154:155]
	ds_load_b128 v[4:7], v2 offset:1136
	s_wait_loadcnt_dscnt 0xb01
	v_mul_f64_e32 v[194:195], v[188:189], v[158:159]
	v_mul_f64_e32 v[158:159], v[190:191], v[158:159]
	scratch_load_b128 v[152:155], off, off offset:320
	v_add_f64_e32 v[192:193], v[192:193], v[198:199]
	s_wait_loadcnt_dscnt 0xb00
	v_mul_f64_e32 v[198:199], v[4:5], v[162:163]
	v_add_f64_e32 v[202:203], v[182:183], v[180:181]
	v_mul_f64_e32 v[162:163], v[6:7], v[162:163]
	ds_load_b128 v[180:183], v2 offset:1152
	v_fmac_f64_e32 v[194:195], v[190:191], v[156:157]
	v_fma_f64 v[188:189], v[188:189], v[156:157], -v[158:159]
	scratch_load_b128 v[156:159], off, off offset:336
	v_add_f64_e32 v[192:193], v[192:193], v[196:197]
	v_fmac_f64_e32 v[198:199], v[6:7], v[160:161]
	v_add_f64_e32 v[190:191], v[202:203], v[200:201]
	;; [unrolled: 18-line block ×3, first 2 shown]
	v_fma_f64 v[200:201], v[4:5], v[172:173], -v[174:175]
	ds_load_b128 v[4:7], v2 offset:1200
	s_wait_loadcnt_dscnt 0xa01
	v_mul_f64_e32 v[198:199], v[188:189], v[186:187]
	v_mul_f64_e32 v[186:187], v[190:191], v[186:187]
	scratch_load_b128 v[172:175], off, off offset:384
	v_add_f64_e32 v[192:193], v[192:193], v[196:197]
	v_add_f64_e32 v[202:203], v[182:183], v[180:181]
	s_wait_loadcnt_dscnt 0xa00
	v_mul_f64_e32 v[196:197], v[4:5], v[170:171]
	v_mul_f64_e32 v[170:171], v[6:7], v[170:171]
	v_fmac_f64_e32 v[198:199], v[190:191], v[184:185]
	v_fma_f64 v[188:189], v[188:189], v[184:185], -v[186:187]
	ds_load_b128 v[180:183], v2 offset:1216
	scratch_load_b128 v[184:187], off, off offset:400
	v_add_f64_e32 v[192:193], v[192:193], v[194:195]
	v_add_f64_e32 v[190:191], v[202:203], v[200:201]
	v_fmac_f64_e32 v[196:197], v[6:7], v[168:169]
	v_fma_f64 v[200:201], v[4:5], v[168:169], -v[170:171]
	ds_load_b128 v[4:7], v2 offset:1232
	s_wait_loadcnt_dscnt 0xa01
	v_mul_f64_e32 v[194:195], v[180:181], v[10:11]
	v_mul_f64_e32 v[10:11], v[182:183], v[10:11]
	scratch_load_b128 v[168:171], off, off offset:416
	v_add_f64_e32 v[192:193], v[192:193], v[198:199]
	s_wait_loadcnt_dscnt 0xa00
	v_mul_f64_e32 v[198:199], v[4:5], v[14:15]
	v_add_f64_e32 v[202:203], v[190:191], v[188:189]
	v_mul_f64_e32 v[14:15], v[6:7], v[14:15]
	ds_load_b128 v[188:191], v2 offset:1248
	v_fmac_f64_e32 v[194:195], v[182:183], v[8:9]
	v_fma_f64 v[180:181], v[180:181], v[8:9], -v[10:11]
	scratch_load_b128 v[8:11], off, off offset:432
	v_add_f64_e32 v[192:193], v[192:193], v[196:197]
	v_fmac_f64_e32 v[198:199], v[6:7], v[12:13]
	v_add_f64_e32 v[182:183], v[202:203], v[200:201]
	v_fma_f64 v[200:201], v[4:5], v[12:13], -v[14:15]
	ds_load_b128 v[4:7], v2 offset:1264
	s_wait_loadcnt_dscnt 0xa01
	v_mul_f64_e32 v[196:197], v[188:189], v[142:143]
	v_mul_f64_e32 v[142:143], v[190:191], v[142:143]
	scratch_load_b128 v[12:15], off, off offset:448
	v_add_f64_e32 v[192:193], v[192:193], v[194:195]
	s_wait_loadcnt_dscnt 0xa00
	v_mul_f64_e32 v[194:195], v[4:5], v[146:147]
	v_add_f64_e32 v[202:203], v[182:183], v[180:181]
	v_mul_f64_e32 v[146:147], v[6:7], v[146:147]
	ds_load_b128 v[180:183], v2 offset:1280
	v_fmac_f64_e32 v[196:197], v[190:191], v[140:141]
	v_fma_f64 v[188:189], v[188:189], v[140:141], -v[142:143]
	scratch_load_b128 v[140:143], off, off offset:464
	v_add_f64_e32 v[192:193], v[192:193], v[198:199]
	v_fmac_f64_e32 v[194:195], v[6:7], v[144:145]
	v_add_f64_e32 v[190:191], v[202:203], v[200:201]
	;; [unrolled: 18-line block ×17, first 2 shown]
	v_fma_f64 v[200:201], v[4:5], v[172:173], -v[174:175]
	ds_load_b128 v[4:7], v2 offset:1776
	s_wait_loadcnt_dscnt 0xa01
	v_mul_f64_e32 v[198:199], v[188:189], v[186:187]
	v_mul_f64_e32 v[186:187], v[190:191], v[186:187]
	scratch_load_b128 v[172:175], off, off offset:960
	v_add_f64_e32 v[192:193], v[192:193], v[196:197]
	s_wait_loadcnt_dscnt 0xa00
	v_mul_f64_e32 v[196:197], v[4:5], v[170:171]
	v_add_f64_e32 v[202:203], v[182:183], v[180:181]
	v_mul_f64_e32 v[170:171], v[6:7], v[170:171]
	ds_load_b128 v[180:183], v2 offset:1792
	v_fmac_f64_e32 v[198:199], v[190:191], v[184:185]
	v_fma_f64 v[184:185], v[188:189], v[184:185], -v[186:187]
	s_wait_loadcnt_dscnt 0x900
	v_mul_f64_e32 v[190:191], v[180:181], v[10:11]
	v_mul_f64_e32 v[10:11], v[182:183], v[10:11]
	v_add_f64_e32 v[188:189], v[192:193], v[194:195]
	v_fmac_f64_e32 v[196:197], v[6:7], v[168:169]
	v_add_f64_e32 v[186:187], v[202:203], v[200:201]
	v_fma_f64 v[192:193], v[4:5], v[168:169], -v[170:171]
	ds_load_b128 v[4:7], v2 offset:1808
	ds_load_b128 v[168:171], v2 offset:1824
	v_fmac_f64_e32 v[190:191], v[182:183], v[8:9]
	v_fma_f64 v[8:9], v[180:181], v[8:9], -v[10:11]
	v_add_f64_e32 v[184:185], v[186:187], v[184:185]
	v_add_f64_e32 v[186:187], v[188:189], v[198:199]
	s_wait_loadcnt_dscnt 0x801
	v_mul_f64_e32 v[188:189], v[4:5], v[14:15]
	v_mul_f64_e32 v[14:15], v[6:7], v[14:15]
	s_wait_loadcnt_dscnt 0x700
	v_mul_f64_e32 v[182:183], v[168:169], v[142:143]
	v_mul_f64_e32 v[142:143], v[170:171], v[142:143]
	v_add_f64_e32 v[10:11], v[184:185], v[192:193]
	v_add_f64_e32 v[180:181], v[186:187], v[196:197]
	v_fmac_f64_e32 v[188:189], v[6:7], v[12:13]
	v_fma_f64 v[12:13], v[4:5], v[12:13], -v[14:15]
	v_fmac_f64_e32 v[182:183], v[170:171], v[140:141]
	v_fma_f64 v[140:141], v[168:169], v[140:141], -v[142:143]
	v_add_f64_e32 v[14:15], v[10:11], v[8:9]
	v_add_f64_e32 v[180:181], v[180:181], v[190:191]
	ds_load_b128 v[4:7], v2 offset:1840
	ds_load_b128 v[8:11], v2 offset:1856
	s_wait_loadcnt_dscnt 0x601
	v_mul_f64_e32 v[184:185], v[4:5], v[146:147]
	v_mul_f64_e32 v[146:147], v[6:7], v[146:147]
	s_wait_loadcnt_dscnt 0x500
	v_mul_f64_e32 v[142:143], v[8:9], v[150:151]
	v_mul_f64_e32 v[150:151], v[10:11], v[150:151]
	v_add_f64_e32 v[12:13], v[14:15], v[12:13]
	v_add_f64_e32 v[14:15], v[180:181], v[188:189]
	v_fmac_f64_e32 v[184:185], v[6:7], v[144:145]
	v_fma_f64 v[144:145], v[4:5], v[144:145], -v[146:147]
	v_fmac_f64_e32 v[142:143], v[10:11], v[148:149]
	v_fma_f64 v[8:9], v[8:9], v[148:149], -v[150:151]
	v_add_f64_e32 v[140:141], v[12:13], v[140:141]
	v_add_f64_e32 v[146:147], v[14:15], v[182:183]
	ds_load_b128 v[4:7], v2 offset:1872
	ds_load_b128 v[12:15], v2 offset:1888
	s_wait_loadcnt_dscnt 0x401
	v_mul_f64_e32 v[168:169], v[4:5], v[154:155]
	v_mul_f64_e32 v[154:155], v[6:7], v[154:155]
	v_add_f64_e32 v[10:11], v[140:141], v[144:145]
	v_add_f64_e32 v[140:141], v[146:147], v[184:185]
	s_wait_loadcnt_dscnt 0x300
	v_mul_f64_e32 v[144:145], v[12:13], v[158:159]
	v_mul_f64_e32 v[146:147], v[14:15], v[158:159]
	v_fmac_f64_e32 v[168:169], v[6:7], v[152:153]
	v_fma_f64 v[148:149], v[4:5], v[152:153], -v[154:155]
	v_add_f64_e32 v[150:151], v[10:11], v[8:9]
	v_add_f64_e32 v[140:141], v[140:141], v[142:143]
	ds_load_b128 v[4:7], v2 offset:1904
	ds_load_b128 v[8:11], v2 offset:1920
	v_fmac_f64_e32 v[144:145], v[14:15], v[156:157]
	v_fma_f64 v[12:13], v[12:13], v[156:157], -v[146:147]
	s_wait_loadcnt_dscnt 0x201
	v_mul_f64_e32 v[142:143], v[4:5], v[162:163]
	v_mul_f64_e32 v[152:153], v[6:7], v[162:163]
	s_wait_loadcnt_dscnt 0x100
	v_mul_f64_e32 v[146:147], v[8:9], v[166:167]
	v_add_f64_e32 v[14:15], v[150:151], v[148:149]
	v_add_f64_e32 v[140:141], v[140:141], v[168:169]
	v_mul_f64_e32 v[148:149], v[10:11], v[166:167]
	v_fmac_f64_e32 v[142:143], v[6:7], v[160:161]
	v_fma_f64 v[150:151], v[4:5], v[160:161], -v[152:153]
	ds_load_b128 v[4:7], v2 offset:1936
	v_fmac_f64_e32 v[146:147], v[10:11], v[164:165]
	v_add_f64_e32 v[12:13], v[14:15], v[12:13]
	v_add_f64_e32 v[14:15], v[140:141], v[144:145]
	v_fma_f64 v[8:9], v[8:9], v[164:165], -v[148:149]
	s_wait_loadcnt_dscnt 0x0
	v_mul_f64_e32 v[140:141], v[4:5], v[174:175]
	v_mul_f64_e32 v[144:145], v[6:7], v[174:175]
	v_add_f64_e32 v[10:11], v[12:13], v[150:151]
	v_add_f64_e32 v[12:13], v[14:15], v[142:143]
	s_delay_alu instid0(VALU_DEP_4) | instskip(NEXT) | instid1(VALU_DEP_4)
	v_fmac_f64_e32 v[140:141], v[6:7], v[172:173]
	v_fma_f64 v[4:5], v[4:5], v[172:173], -v[144:145]
	s_delay_alu instid0(VALU_DEP_4) | instskip(NEXT) | instid1(VALU_DEP_4)
	v_add_f64_e32 v[6:7], v[10:11], v[8:9]
	v_add_f64_e32 v[8:9], v[12:13], v[146:147]
	s_delay_alu instid0(VALU_DEP_2) | instskip(NEXT) | instid1(VALU_DEP_2)
	v_add_f64_e32 v[4:5], v[6:7], v[4:5]
	v_add_f64_e32 v[6:7], v[8:9], v[140:141]
	s_delay_alu instid0(VALU_DEP_2) | instskip(NEXT) | instid1(VALU_DEP_2)
	v_add_f64_e64 v[4:5], v[176:177], -v[4:5]
	v_add_f64_e64 v[6:7], v[178:179], -v[6:7]
	scratch_store_b128 off, v[4:7], off offset:16
	s_wait_xcnt 0x0
	v_cmpx_ne_u32_e32 0, v1
	s_cbranch_execz .LBB60_391
; %bb.390:
	scratch_load_b128 v[6:9], off, off
	v_dual_mov_b32 v3, v2 :: v_dual_mov_b32 v4, v2
	v_mov_b32_e32 v5, v2
	scratch_store_b128 off, v[2:5], off
	s_wait_loadcnt 0x0
	ds_store_b128 v138, v[6:9]
.LBB60_391:
	s_wait_xcnt 0x0
	s_or_b32 exec_lo, exec_lo, s2
	s_wait_storecnt_dscnt 0x0
	s_barrier_signal -1
	s_barrier_wait -1
	s_clause 0x9
	scratch_load_b128 v[4:7], off, off offset:16
	scratch_load_b128 v[8:11], off, off offset:32
	;; [unrolled: 1-line block ×10, first 2 shown]
	ds_load_b128 v[166:169], v2 offset:992
	ds_load_b128 v[174:177], v2 offset:1008
	s_clause 0x2
	scratch_load_b128 v[170:173], off, off offset:176
	scratch_load_b128 v[178:181], off, off
	scratch_load_b128 v[182:185], off, off offset:192
	s_and_b32 vcc_lo, exec_lo, s75
	s_wait_loadcnt_dscnt 0xc01
	v_mul_f64_e32 v[186:187], v[168:169], v[6:7]
	v_mul_f64_e32 v[190:191], v[166:167], v[6:7]
	s_wait_loadcnt_dscnt 0xb00
	v_mul_f64_e32 v[192:193], v[174:175], v[10:11]
	v_mul_f64_e32 v[10:11], v[176:177], v[10:11]
	s_delay_alu instid0(VALU_DEP_4) | instskip(NEXT) | instid1(VALU_DEP_4)
	v_fma_f64 v[194:195], v[166:167], v[4:5], -v[186:187]
	v_fmac_f64_e32 v[190:191], v[168:169], v[4:5]
	ds_load_b128 v[4:7], v2 offset:1024
	ds_load_b128 v[166:169], v2 offset:1040
	scratch_load_b128 v[186:189], off, off offset:208
	v_fmac_f64_e32 v[192:193], v[176:177], v[8:9]
	v_fma_f64 v[174:175], v[174:175], v[8:9], -v[10:11]
	scratch_load_b128 v[8:11], off, off offset:224
	s_wait_loadcnt_dscnt 0xc01
	v_mul_f64_e32 v[196:197], v[4:5], v[14:15]
	v_mul_f64_e32 v[14:15], v[6:7], v[14:15]
	v_add_f64_e32 v[176:177], 0, v[194:195]
	v_add_f64_e32 v[190:191], 0, v[190:191]
	s_wait_loadcnt_dscnt 0xb00
	v_mul_f64_e32 v[194:195], v[166:167], v[140:141]
	v_mul_f64_e32 v[140:141], v[168:169], v[140:141]
	v_fmac_f64_e32 v[196:197], v[6:7], v[12:13]
	v_fma_f64 v[198:199], v[4:5], v[12:13], -v[14:15]
	ds_load_b128 v[4:7], v2 offset:1056
	ds_load_b128 v[12:15], v2 offset:1072
	v_add_f64_e32 v[200:201], v[176:177], v[174:175]
	v_add_f64_e32 v[190:191], v[190:191], v[192:193]
	scratch_load_b128 v[174:177], off, off offset:240
	v_fmac_f64_e32 v[194:195], v[168:169], v[138:139]
	v_fma_f64 v[166:167], v[166:167], v[138:139], -v[140:141]
	scratch_load_b128 v[138:141], off, off offset:256
	s_wait_loadcnt_dscnt 0xc01
	v_mul_f64_e32 v[192:193], v[4:5], v[144:145]
	v_mul_f64_e32 v[144:145], v[6:7], v[144:145]
	v_add_f64_e32 v[168:169], v[200:201], v[198:199]
	v_add_f64_e32 v[190:191], v[190:191], v[196:197]
	s_wait_loadcnt_dscnt 0xb00
	v_mul_f64_e32 v[196:197], v[12:13], v[148:149]
	v_mul_f64_e32 v[148:149], v[14:15], v[148:149]
	v_fmac_f64_e32 v[192:193], v[6:7], v[142:143]
	v_fma_f64 v[198:199], v[4:5], v[142:143], -v[144:145]
	ds_load_b128 v[4:7], v2 offset:1088
	ds_load_b128 v[142:145], v2 offset:1104
	v_add_f64_e32 v[200:201], v[168:169], v[166:167]
	v_add_f64_e32 v[190:191], v[190:191], v[194:195]
	scratch_load_b128 v[166:169], off, off offset:272
	s_wait_loadcnt_dscnt 0xb01
	v_mul_f64_e32 v[194:195], v[4:5], v[152:153]
	v_mul_f64_e32 v[152:153], v[6:7], v[152:153]
	v_fmac_f64_e32 v[196:197], v[14:15], v[146:147]
	v_fma_f64 v[146:147], v[12:13], v[146:147], -v[148:149]
	scratch_load_b128 v[12:15], off, off offset:288
	v_add_f64_e32 v[148:149], v[200:201], v[198:199]
	v_add_f64_e32 v[190:191], v[190:191], v[192:193]
	s_wait_loadcnt_dscnt 0xb00
	v_mul_f64_e32 v[192:193], v[142:143], v[156:157]
	v_mul_f64_e32 v[156:157], v[144:145], v[156:157]
	v_fmac_f64_e32 v[194:195], v[6:7], v[150:151]
	v_fma_f64 v[198:199], v[4:5], v[150:151], -v[152:153]
	v_add_f64_e32 v[200:201], v[148:149], v[146:147]
	v_add_f64_e32 v[190:191], v[190:191], v[196:197]
	ds_load_b128 v[4:7], v2 offset:1120
	ds_load_b128 v[146:149], v2 offset:1136
	scratch_load_b128 v[150:153], off, off offset:304
	v_fmac_f64_e32 v[192:193], v[144:145], v[154:155]
	v_fma_f64 v[154:155], v[142:143], v[154:155], -v[156:157]
	scratch_load_b128 v[142:145], off, off offset:320
	s_wait_loadcnt_dscnt 0xc01
	v_mul_f64_e32 v[196:197], v[4:5], v[160:161]
	v_mul_f64_e32 v[160:161], v[6:7], v[160:161]
	v_add_f64_e32 v[156:157], v[200:201], v[198:199]
	v_add_f64_e32 v[190:191], v[190:191], v[194:195]
	s_wait_loadcnt_dscnt 0xb00
	v_mul_f64_e32 v[194:195], v[146:147], v[164:165]
	v_mul_f64_e32 v[164:165], v[148:149], v[164:165]
	v_fmac_f64_e32 v[196:197], v[6:7], v[158:159]
	v_fma_f64 v[198:199], v[4:5], v[158:159], -v[160:161]
	v_add_f64_e32 v[200:201], v[156:157], v[154:155]
	v_add_f64_e32 v[190:191], v[190:191], v[192:193]
	ds_load_b128 v[4:7], v2 offset:1152
	ds_load_b128 v[154:157], v2 offset:1168
	scratch_load_b128 v[158:161], off, off offset:336
	v_fmac_f64_e32 v[194:195], v[148:149], v[162:163]
	v_fma_f64 v[162:163], v[146:147], v[162:163], -v[164:165]
	scratch_load_b128 v[146:149], off, off offset:352
	s_wait_loadcnt_dscnt 0xc01
	v_mul_f64_e32 v[192:193], v[4:5], v[172:173]
	v_mul_f64_e32 v[172:173], v[6:7], v[172:173]
	;; [unrolled: 18-line block ×5, first 2 shown]
	v_add_f64_e32 v[184:185], v[200:201], v[198:199]
	v_add_f64_e32 v[190:191], v[190:191], v[196:197]
	s_wait_loadcnt_dscnt 0xa00
	v_mul_f64_e32 v[196:197], v[162:163], v[14:15]
	v_mul_f64_e32 v[14:15], v[164:165], v[14:15]
	v_fmac_f64_e32 v[192:193], v[6:7], v[166:167]
	v_fma_f64 v[198:199], v[4:5], v[166:167], -v[168:169]
	ds_load_b128 v[4:7], v2 offset:1280
	ds_load_b128 v[166:169], v2 offset:1296
	v_add_f64_e32 v[200:201], v[184:185], v[182:183]
	v_add_f64_e32 v[190:191], v[190:191], v[194:195]
	scratch_load_b128 v[182:185], off, off offset:464
	v_fmac_f64_e32 v[196:197], v[164:165], v[12:13]
	v_fma_f64 v[162:163], v[162:163], v[12:13], -v[14:15]
	scratch_load_b128 v[12:15], off, off offset:480
	s_wait_loadcnt_dscnt 0xb01
	v_mul_f64_e32 v[194:195], v[4:5], v[152:153]
	v_mul_f64_e32 v[152:153], v[6:7], v[152:153]
	v_add_f64_e32 v[164:165], v[200:201], v[198:199]
	v_add_f64_e32 v[190:191], v[190:191], v[192:193]
	s_wait_loadcnt_dscnt 0xa00
	v_mul_f64_e32 v[192:193], v[166:167], v[144:145]
	v_mul_f64_e32 v[144:145], v[168:169], v[144:145]
	v_fmac_f64_e32 v[194:195], v[6:7], v[150:151]
	v_fma_f64 v[198:199], v[4:5], v[150:151], -v[152:153]
	ds_load_b128 v[4:7], v2 offset:1312
	ds_load_b128 v[150:153], v2 offset:1328
	v_add_f64_e32 v[200:201], v[164:165], v[162:163]
	v_add_f64_e32 v[190:191], v[190:191], v[196:197]
	scratch_load_b128 v[162:165], off, off offset:496
	s_wait_loadcnt_dscnt 0xa01
	v_mul_f64_e32 v[196:197], v[4:5], v[160:161]
	v_mul_f64_e32 v[160:161], v[6:7], v[160:161]
	v_fmac_f64_e32 v[192:193], v[168:169], v[142:143]
	v_fma_f64 v[166:167], v[166:167], v[142:143], -v[144:145]
	scratch_load_b128 v[142:145], off, off offset:512
	v_add_f64_e32 v[168:169], v[200:201], v[198:199]
	v_add_f64_e32 v[190:191], v[190:191], v[194:195]
	s_wait_loadcnt_dscnt 0xa00
	v_mul_f64_e32 v[194:195], v[150:151], v[148:149]
	v_mul_f64_e32 v[148:149], v[152:153], v[148:149]
	v_fmac_f64_e32 v[196:197], v[6:7], v[158:159]
	v_fma_f64 v[198:199], v[4:5], v[158:159], -v[160:161]
	ds_load_b128 v[4:7], v2 offset:1344
	ds_load_b128 v[158:161], v2 offset:1360
	v_add_f64_e32 v[200:201], v[168:169], v[166:167]
	v_add_f64_e32 v[190:191], v[190:191], v[192:193]
	scratch_load_b128 v[166:169], off, off offset:528
	s_wait_loadcnt_dscnt 0xa01
	v_mul_f64_e32 v[192:193], v[4:5], v[172:173]
	v_mul_f64_e32 v[172:173], v[6:7], v[172:173]
	v_fmac_f64_e32 v[194:195], v[152:153], v[146:147]
	v_fma_f64 v[150:151], v[150:151], v[146:147], -v[148:149]
	scratch_load_b128 v[146:149], off, off offset:544
	v_add_f64_e32 v[152:153], v[200:201], v[198:199]
	v_add_f64_e32 v[190:191], v[190:191], v[196:197]
	s_wait_loadcnt_dscnt 0xa00
	v_mul_f64_e32 v[196:197], v[158:159], v[156:157]
	v_mul_f64_e32 v[156:157], v[160:161], v[156:157]
	v_fmac_f64_e32 v[192:193], v[6:7], v[170:171]
	v_fma_f64 v[198:199], v[4:5], v[170:171], -v[172:173]
	v_add_f64_e32 v[200:201], v[152:153], v[150:151]
	v_add_f64_e32 v[190:191], v[190:191], v[194:195]
	ds_load_b128 v[4:7], v2 offset:1376
	ds_load_b128 v[150:153], v2 offset:1392
	scratch_load_b128 v[170:173], off, off offset:560
	v_fmac_f64_e32 v[196:197], v[160:161], v[154:155]
	v_fma_f64 v[158:159], v[158:159], v[154:155], -v[156:157]
	scratch_load_b128 v[154:157], off, off offset:576
	s_wait_loadcnt_dscnt 0xb01
	v_mul_f64_e32 v[194:195], v[4:5], v[188:189]
	v_mul_f64_e32 v[188:189], v[6:7], v[188:189]
	v_add_f64_e32 v[160:161], v[200:201], v[198:199]
	v_add_f64_e32 v[190:191], v[190:191], v[192:193]
	s_wait_loadcnt_dscnt 0xa00
	v_mul_f64_e32 v[192:193], v[150:151], v[10:11]
	v_mul_f64_e32 v[10:11], v[152:153], v[10:11]
	v_fmac_f64_e32 v[194:195], v[6:7], v[186:187]
	v_fma_f64 v[198:199], v[4:5], v[186:187], -v[188:189]
	v_add_f64_e32 v[200:201], v[160:161], v[158:159]
	v_add_f64_e32 v[190:191], v[190:191], v[196:197]
	ds_load_b128 v[4:7], v2 offset:1408
	ds_load_b128 v[158:161], v2 offset:1424
	scratch_load_b128 v[186:189], off, off offset:592
	v_fmac_f64_e32 v[192:193], v[152:153], v[8:9]
	v_fma_f64 v[150:151], v[150:151], v[8:9], -v[10:11]
	scratch_load_b128 v[8:11], off, off offset:608
	s_wait_loadcnt_dscnt 0xb01
	v_mul_f64_e32 v[196:197], v[4:5], v[176:177]
	v_mul_f64_e32 v[176:177], v[6:7], v[176:177]
	;; [unrolled: 18-line block ×13, first 2 shown]
	v_add_f64_e32 v[160:161], v[200:201], v[198:199]
	v_add_f64_e32 v[190:191], v[190:191], v[192:193]
	s_wait_loadcnt_dscnt 0xa00
	v_mul_f64_e32 v[192:193], v[150:151], v[10:11]
	v_mul_f64_e32 v[10:11], v[152:153], v[10:11]
	v_fmac_f64_e32 v[194:195], v[6:7], v[186:187]
	v_fma_f64 v[186:187], v[4:5], v[186:187], -v[188:189]
	v_add_f64_e32 v[188:189], v[160:161], v[158:159]
	v_add_f64_e32 v[190:191], v[190:191], v[196:197]
	ds_load_b128 v[4:7], v2 offset:1792
	ds_load_b128 v[158:161], v2 offset:1808
	v_fmac_f64_e32 v[192:193], v[152:153], v[8:9]
	v_fma_f64 v[8:9], v[150:151], v[8:9], -v[10:11]
	s_wait_loadcnt_dscnt 0x901
	v_mul_f64_e32 v[196:197], v[4:5], v[176:177]
	v_mul_f64_e32 v[176:177], v[6:7], v[176:177]
	s_wait_loadcnt_dscnt 0x800
	v_mul_f64_e32 v[152:153], v[158:159], v[140:141]
	v_mul_f64_e32 v[140:141], v[160:161], v[140:141]
	v_add_f64_e32 v[10:11], v[188:189], v[186:187]
	v_add_f64_e32 v[150:151], v[190:191], v[194:195]
	v_fmac_f64_e32 v[196:197], v[6:7], v[174:175]
	v_fma_f64 v[174:175], v[4:5], v[174:175], -v[176:177]
	v_fmac_f64_e32 v[152:153], v[160:161], v[138:139]
	v_fma_f64 v[138:139], v[158:159], v[138:139], -v[140:141]
	v_add_f64_e32 v[176:177], v[10:11], v[8:9]
	v_add_f64_e32 v[150:151], v[150:151], v[192:193]
	ds_load_b128 v[4:7], v2 offset:1824
	ds_load_b128 v[8:11], v2 offset:1840
	s_wait_loadcnt_dscnt 0x701
	v_mul_f64_e32 v[186:187], v[4:5], v[184:185]
	v_mul_f64_e32 v[184:185], v[6:7], v[184:185]
	s_wait_loadcnt_dscnt 0x600
	v_mul_f64_e32 v[158:159], v[8:9], v[14:15]
	v_mul_f64_e32 v[14:15], v[10:11], v[14:15]
	v_add_f64_e32 v[140:141], v[176:177], v[174:175]
	v_add_f64_e32 v[150:151], v[150:151], v[196:197]
	v_fmac_f64_e32 v[186:187], v[6:7], v[182:183]
	v_fma_f64 v[160:161], v[4:5], v[182:183], -v[184:185]
	v_fmac_f64_e32 v[158:159], v[10:11], v[12:13]
	v_fma_f64 v[8:9], v[8:9], v[12:13], -v[14:15]
	v_add_f64_e32 v[174:175], v[140:141], v[138:139]
	v_add_f64_e32 v[150:151], v[150:151], v[152:153]
	ds_load_b128 v[4:7], v2 offset:1856
	ds_load_b128 v[138:141], v2 offset:1872
	s_wait_loadcnt_dscnt 0x501
	v_mul_f64_e32 v[152:153], v[4:5], v[164:165]
	v_mul_f64_e32 v[164:165], v[6:7], v[164:165]
	s_wait_loadcnt_dscnt 0x400
	v_mul_f64_e32 v[14:15], v[138:139], v[144:145]
	v_mul_f64_e32 v[144:145], v[140:141], v[144:145]
	v_add_f64_e32 v[10:11], v[174:175], v[160:161]
	v_add_f64_e32 v[12:13], v[150:151], v[186:187]
	v_fmac_f64_e32 v[152:153], v[6:7], v[162:163]
	v_fma_f64 v[150:151], v[4:5], v[162:163], -v[164:165]
	v_fmac_f64_e32 v[14:15], v[140:141], v[142:143]
	v_fma_f64 v[138:139], v[138:139], v[142:143], -v[144:145]
	v_lshl_add_u64 v[164:165], v[22:23], 4, s[8:9]
	v_lshl_add_u64 v[22:23], v[70:71], 4, s[8:9]
	;; [unrolled: 1-line block ×3, first 2 shown]
	v_add_f64_e32 v[160:161], v[10:11], v[8:9]
	v_add_f64_e32 v[12:13], v[12:13], v[158:159]
	ds_load_b128 v[4:7], v2 offset:1888
	ds_load_b128 v[8:11], v2 offset:1904
	s_wait_loadcnt_dscnt 0x301
	v_mul_f64_e32 v[158:159], v[4:5], v[168:169]
	v_mul_f64_e32 v[162:163], v[6:7], v[168:169]
	s_wait_loadcnt_dscnt 0x200
	v_mul_f64_e32 v[142:143], v[8:9], v[148:149]
	v_mul_f64_e32 v[144:145], v[10:11], v[148:149]
	v_lshl_add_u64 v[168:169], v[20:21], 4, s[8:9]
	v_lshl_add_u64 v[20:21], v[68:69], 4, s[8:9]
	;; [unrolled: 1-line block ×3, first 2 shown]
	v_add_f64_e32 v[140:141], v[160:161], v[150:151]
	v_add_f64_e32 v[12:13], v[12:13], v[152:153]
	v_lshl_add_u64 v[160:161], v[28:29], 4, s[8:9]
	v_lshl_add_u64 v[152:153], v[36:37], 4, s[8:9]
	;; [unrolled: 1-line block ×6, first 2 shown]
	v_fmac_f64_e32 v[158:159], v[6:7], v[166:167]
	v_fma_f64 v[148:149], v[4:5], v[166:167], -v[162:163]
	v_fmac_f64_e32 v[142:143], v[10:11], v[146:147]
	v_fma_f64 v[8:9], v[8:9], v[146:147], -v[144:145]
	v_lshl_add_u64 v[166:167], v[24:25], 4, s[8:9]
	v_lshl_add_u64 v[162:163], v[26:27], 4, s[8:9]
	v_lshl_add_u64 v[146:147], v[42:43], 4, s[8:9]
	v_lshl_add_u64 v[24:25], v[72:73], 4, s[8:9]
	v_lshl_add_u64 v[26:27], v[74:75], 4, s[8:9]
	v_lshl_add_u64 v[42:43], v[88:89], 4, s[8:9]
	v_lshl_add_u64 v[72:73], v[118:119], 4, s[8:9]
	v_add_f64_e32 v[138:139], v[140:141], v[138:139]
	v_add_f64_e32 v[140:141], v[12:13], v[14:15]
	ds_load_b128 v[4:7], v2 offset:1920
	ds_load_b128 v[12:15], v2 offset:1936
	v_lshl_add_u64 v[74:75], v[120:121], 4, s[8:9]
	v_lshl_add_u64 v[88:89], v[134:135], 4, s[8:9]
	s_wait_loadcnt_dscnt 0x101
	v_mul_f64_e32 v[2:3], v[4:5], v[172:173]
	v_mul_f64_e32 v[150:151], v[6:7], v[172:173]
	s_wait_loadcnt_dscnt 0x0
	v_mul_f64_e32 v[144:145], v[14:15], v[156:157]
	v_add_f64_e32 v[10:11], v[138:139], v[148:149]
	v_add_f64_e32 v[138:139], v[140:141], v[158:159]
	v_mul_f64_e32 v[140:141], v[12:13], v[156:157]
	v_lshl_add_u64 v[156:157], v[30:31], 4, s[8:9]
	v_lshl_add_u64 v[158:159], v[32:33], 4, s[8:9]
	;; [unrolled: 1-line block ×9, first 2 shown]
	v_fmac_f64_e32 v[2:3], v[6:7], v[170:171]
	v_fma_f64 v[4:5], v[4:5], v[170:171], -v[150:151]
	v_lshl_add_u64 v[150:151], v[40:41], 4, s[8:9]
	v_lshl_add_u64 v[40:41], v[86:87], 4, s[8:9]
	v_lshl_add_u64 v[86:87], v[132:133], 4, s[8:9]
	v_add_f64_e32 v[6:7], v[10:11], v[8:9]
	v_add_f64_e32 v[8:9], v[138:139], v[142:143]
	v_fmac_f64_e32 v[140:141], v[14:15], v[154:155]
	v_fma_f64 v[10:11], v[12:13], v[154:155], -v[144:145]
	v_lshl_add_u64 v[154:155], v[34:35], 4, s[8:9]
	v_lshl_add_u64 v[144:145], v[44:45], 4, s[8:9]
	;; [unrolled: 1-line block ×14, first 2 shown]
	v_add_f64_e32 v[4:5], v[6:7], v[4:5]
	v_add_f64_e32 v[2:3], v[8:9], v[2:3]
	v_lshl_add_u64 v[6:7], v[58:59], 4, s[8:9]
	v_lshl_add_u64 v[8:9], v[60:61], 4, s[8:9]
	;; [unrolled: 1-line block ×4, first 2 shown]
	v_add_f64_e32 v[170:171], v[4:5], v[10:11]
	v_add_f64_e32 v[172:173], v[2:3], v[140:141]
	v_lshl_add_u64 v[140:141], v[46:47], 4, s[8:9]
	v_lshl_add_u64 v[2:3], v[54:55], 4, s[8:9]
	v_lshl_add_u64 v[4:5], v[56:57], 4, s[8:9]
	v_lshl_add_u64 v[10:11], v[62:63], 4, s[8:9]
	v_lshl_add_u64 v[46:47], v[92:93], 4, s[8:9]
	v_lshl_add_u64 v[54:55], v[100:101], 4, s[8:9]
	v_lshl_add_u64 v[56:57], v[102:103], 4, s[8:9]
	v_lshl_add_u64 v[62:63], v[108:109], 4, s[8:9]
	v_add_f64_e64 v[170:171], v[178:179], -v[170:171]
	v_add_f64_e64 v[172:173], v[180:181], -v[172:173]
	scratch_store_b128 off, v[170:173], off
	s_cbranch_vccz .LBB60_512
; %bb.392:
	v_mov_b32_e32 v92, 0
	s_load_b64 s[2:3], s[0:1], 0x4
	v_bfe_u32 v94, v0, 10, 10
	v_bfe_u32 v0, v0, 20, 10
	global_load_b32 v93, v92, s[16:17] offset:236
	s_wait_kmcnt 0x0
	s_lshr_b32 s0, s2, 16
	v_mul_u32_u24_e32 v94, s3, v94
	s_mul_i32 s0, s0, s3
	s_delay_alu instid0(SALU_CYCLE_1) | instskip(NEXT) | instid1(VALU_DEP_1)
	v_mul_u32_u24_e32 v1, s0, v1
	v_add3_u32 v0, v1, v94, v0
	s_delay_alu instid0(VALU_DEP_1)
	v_lshl_add_u32 v0, v0, 4, 0x7a8
	s_wait_loadcnt 0x0
	v_cmp_ne_u32_e32 vcc_lo, 60, v93
	s_cbranch_vccz .LBB60_394
; %bb.393:
	v_lshlrev_b32_e32 v1, 4, v93
	s_clause 0x1
	scratch_load_b128 v[94:97], off, s25
	scratch_load_b128 v[98:101], v1, off offset:-16
	s_wait_loadcnt 0x1
	ds_store_2addr_b64 v0, v[94:95], v[96:97] offset1:1
	s_wait_loadcnt 0x0
	s_clause 0x1
	scratch_store_b128 off, v[98:101], s25
	scratch_store_b128 v1, v[94:97], off offset:-16
.LBB60_394:
	global_load_b32 v1, v92, s[16:17] offset:232
	s_wait_loadcnt 0x0
	v_cmp_eq_u32_e32 vcc_lo, 59, v1
	s_cbranch_vccnz .LBB60_396
; %bb.395:
	v_lshlrev_b32_e32 v1, 4, v1
	s_clause 0x1
	scratch_load_b128 v[92:95], off, s30
	scratch_load_b128 v[96:99], v1, off offset:-16
	s_wait_loadcnt 0x1
	ds_store_2addr_b64 v0, v[92:93], v[94:95] offset1:1
	s_wait_loadcnt 0x0
	s_clause 0x1
	scratch_store_b128 off, v[96:99], s30
	scratch_store_b128 v1, v[92:95], off offset:-16
.LBB60_396:
	s_wait_xcnt 0x0
	v_mov_b32_e32 v1, 0
	global_load_b32 v92, v1, s[16:17] offset:228
	s_wait_loadcnt 0x0
	v_cmp_eq_u32_e32 vcc_lo, 58, v92
	s_cbranch_vccnz .LBB60_398
; %bb.397:
	v_lshlrev_b32_e32 v92, 4, v92
	s_delay_alu instid0(VALU_DEP_1)
	v_mov_b32_e32 v100, v92
	s_clause 0x1
	scratch_load_b128 v[92:95], off, s10
	scratch_load_b128 v[96:99], v100, off offset:-16
	s_wait_loadcnt 0x1
	ds_store_2addr_b64 v0, v[92:93], v[94:95] offset1:1
	s_wait_loadcnt 0x0
	s_clause 0x1
	scratch_store_b128 off, v[96:99], s10
	scratch_store_b128 v100, v[92:95], off offset:-16
.LBB60_398:
	global_load_b32 v1, v1, s[16:17] offset:224
	s_wait_loadcnt 0x0
	v_cmp_eq_u32_e32 vcc_lo, 57, v1
	s_cbranch_vccnz .LBB60_400
; %bb.399:
	s_wait_xcnt 0x0
	v_lshlrev_b32_e32 v1, 4, v1
	s_clause 0x1
	scratch_load_b128 v[92:95], off, s12
	scratch_load_b128 v[96:99], v1, off offset:-16
	s_wait_loadcnt 0x1
	ds_store_2addr_b64 v0, v[92:93], v[94:95] offset1:1
	s_wait_loadcnt 0x0
	s_clause 0x1
	scratch_store_b128 off, v[96:99], s12
	scratch_store_b128 v1, v[92:95], off offset:-16
.LBB60_400:
	s_wait_xcnt 0x0
	v_mov_b32_e32 v1, 0
	global_load_b32 v92, v1, s[16:17] offset:220
	s_wait_loadcnt 0x0
	v_cmp_eq_u32_e32 vcc_lo, 56, v92
	s_cbranch_vccnz .LBB60_402
; %bb.401:
	v_lshlrev_b32_e32 v92, 4, v92
	s_delay_alu instid0(VALU_DEP_1)
	v_mov_b32_e32 v100, v92
	s_clause 0x1
	scratch_load_b128 v[92:95], off, s11
	scratch_load_b128 v[96:99], v100, off offset:-16
	s_wait_loadcnt 0x1
	ds_store_2addr_b64 v0, v[92:93], v[94:95] offset1:1
	s_wait_loadcnt 0x0
	s_clause 0x1
	scratch_store_b128 off, v[96:99], s11
	scratch_store_b128 v100, v[92:95], off offset:-16
.LBB60_402:
	global_load_b32 v1, v1, s[16:17] offset:216
	s_wait_loadcnt 0x0
	v_cmp_eq_u32_e32 vcc_lo, 55, v1
	s_cbranch_vccnz .LBB60_404
; %bb.403:
	s_wait_xcnt 0x0
	v_lshlrev_b32_e32 v1, 4, v1
	s_clause 0x1
	scratch_load_b128 v[92:95], off, s14
	scratch_load_b128 v[96:99], v1, off offset:-16
	s_wait_loadcnt 0x1
	ds_store_2addr_b64 v0, v[92:93], v[94:95] offset1:1
	s_wait_loadcnt 0x0
	s_clause 0x1
	scratch_store_b128 off, v[96:99], s14
	scratch_store_b128 v1, v[92:95], off offset:-16
.LBB60_404:
	s_wait_xcnt 0x0
	v_mov_b32_e32 v1, 0
	global_load_b32 v92, v1, s[16:17] offset:212
	s_wait_loadcnt 0x0
	v_cmp_eq_u32_e32 vcc_lo, 54, v92
	s_cbranch_vccnz .LBB60_406
; %bb.405:
	v_lshlrev_b32_e32 v92, 4, v92
	s_delay_alu instid0(VALU_DEP_1)
	v_mov_b32_e32 v100, v92
	s_clause 0x1
	scratch_load_b128 v[92:95], off, s13
	scratch_load_b128 v[96:99], v100, off offset:-16
	s_wait_loadcnt 0x1
	ds_store_2addr_b64 v0, v[92:93], v[94:95] offset1:1
	s_wait_loadcnt 0x0
	s_clause 0x1
	scratch_store_b128 off, v[96:99], s13
	scratch_store_b128 v100, v[92:95], off offset:-16
.LBB60_406:
	global_load_b32 v1, v1, s[16:17] offset:208
	s_wait_loadcnt 0x0
	v_cmp_eq_u32_e32 vcc_lo, 53, v1
	s_cbranch_vccnz .LBB60_408
; %bb.407:
	s_wait_xcnt 0x0
	v_lshlrev_b32_e32 v1, 4, v1
	s_clause 0x1
	scratch_load_b128 v[92:95], off, s20
	scratch_load_b128 v[96:99], v1, off offset:-16
	s_wait_loadcnt 0x1
	ds_store_2addr_b64 v0, v[92:93], v[94:95] offset1:1
	s_wait_loadcnt 0x0
	s_clause 0x1
	scratch_store_b128 off, v[96:99], s20
	scratch_store_b128 v1, v[92:95], off offset:-16
.LBB60_408:
	s_wait_xcnt 0x0
	v_mov_b32_e32 v1, 0
	global_load_b32 v92, v1, s[16:17] offset:204
	s_wait_loadcnt 0x0
	v_cmp_eq_u32_e32 vcc_lo, 52, v92
	s_cbranch_vccnz .LBB60_410
; %bb.409:
	v_lshlrev_b32_e32 v92, 4, v92
	s_delay_alu instid0(VALU_DEP_1)
	v_mov_b32_e32 v100, v92
	s_clause 0x1
	scratch_load_b128 v[92:95], off, s15
	scratch_load_b128 v[96:99], v100, off offset:-16
	s_wait_loadcnt 0x1
	ds_store_2addr_b64 v0, v[92:93], v[94:95] offset1:1
	s_wait_loadcnt 0x0
	s_clause 0x1
	scratch_store_b128 off, v[96:99], s15
	scratch_store_b128 v100, v[92:95], off offset:-16
.LBB60_410:
	global_load_b32 v1, v1, s[16:17] offset:200
	s_wait_loadcnt 0x0
	v_cmp_eq_u32_e32 vcc_lo, 51, v1
	s_cbranch_vccnz .LBB60_412
; %bb.411:
	s_wait_xcnt 0x0
	v_lshlrev_b32_e32 v1, 4, v1
	s_clause 0x1
	scratch_load_b128 v[92:95], off, s22
	scratch_load_b128 v[96:99], v1, off offset:-16
	s_wait_loadcnt 0x1
	ds_store_2addr_b64 v0, v[92:93], v[94:95] offset1:1
	s_wait_loadcnt 0x0
	s_clause 0x1
	scratch_store_b128 off, v[96:99], s22
	scratch_store_b128 v1, v[92:95], off offset:-16
.LBB60_412:
	s_wait_xcnt 0x0
	v_mov_b32_e32 v1, 0
	global_load_b32 v92, v1, s[16:17] offset:196
	s_wait_loadcnt 0x0
	v_cmp_eq_u32_e32 vcc_lo, 50, v92
	s_cbranch_vccnz .LBB60_414
; %bb.413:
	v_lshlrev_b32_e32 v92, 4, v92
	s_delay_alu instid0(VALU_DEP_1)
	v_mov_b32_e32 v100, v92
	s_clause 0x1
	scratch_load_b128 v[92:95], off, s21
	scratch_load_b128 v[96:99], v100, off offset:-16
	s_wait_loadcnt 0x1
	ds_store_2addr_b64 v0, v[92:93], v[94:95] offset1:1
	s_wait_loadcnt 0x0
	s_clause 0x1
	scratch_store_b128 off, v[96:99], s21
	scratch_store_b128 v100, v[92:95], off offset:-16
.LBB60_414:
	global_load_b32 v1, v1, s[16:17] offset:192
	s_wait_loadcnt 0x0
	v_cmp_eq_u32_e32 vcc_lo, 49, v1
	s_cbranch_vccnz .LBB60_416
; %bb.415:
	s_wait_xcnt 0x0
	v_lshlrev_b32_e32 v1, 4, v1
	s_clause 0x1
	scratch_load_b128 v[92:95], off, s24
	scratch_load_b128 v[96:99], v1, off offset:-16
	s_wait_loadcnt 0x1
	ds_store_2addr_b64 v0, v[92:93], v[94:95] offset1:1
	s_wait_loadcnt 0x0
	s_clause 0x1
	scratch_store_b128 off, v[96:99], s24
	scratch_store_b128 v1, v[92:95], off offset:-16
.LBB60_416:
	s_wait_xcnt 0x0
	v_mov_b32_e32 v1, 0
	global_load_b32 v92, v1, s[16:17] offset:188
	s_wait_loadcnt 0x0
	v_cmp_eq_u32_e32 vcc_lo, 48, v92
	s_cbranch_vccnz .LBB60_418
; %bb.417:
	v_lshlrev_b32_e32 v92, 4, v92
	s_delay_alu instid0(VALU_DEP_1)
	v_mov_b32_e32 v100, v92
	s_clause 0x1
	scratch_load_b128 v[92:95], off, s23
	scratch_load_b128 v[96:99], v100, off offset:-16
	s_wait_loadcnt 0x1
	ds_store_2addr_b64 v0, v[92:93], v[94:95] offset1:1
	s_wait_loadcnt 0x0
	s_clause 0x1
	scratch_store_b128 off, v[96:99], s23
	scratch_store_b128 v100, v[92:95], off offset:-16
.LBB60_418:
	global_load_b32 v1, v1, s[16:17] offset:184
	s_wait_loadcnt 0x0
	v_cmp_eq_u32_e32 vcc_lo, 47, v1
	s_cbranch_vccnz .LBB60_420
; %bb.419:
	s_wait_xcnt 0x0
	v_lshlrev_b32_e32 v1, 4, v1
	s_clause 0x1
	scratch_load_b128 v[92:95], off, s28
	scratch_load_b128 v[96:99], v1, off offset:-16
	s_wait_loadcnt 0x1
	ds_store_2addr_b64 v0, v[92:93], v[94:95] offset1:1
	s_wait_loadcnt 0x0
	s_clause 0x1
	scratch_store_b128 off, v[96:99], s28
	scratch_store_b128 v1, v[92:95], off offset:-16
.LBB60_420:
	s_wait_xcnt 0x0
	v_mov_b32_e32 v1, 0
	global_load_b32 v92, v1, s[16:17] offset:180
	s_wait_loadcnt 0x0
	v_cmp_eq_u32_e32 vcc_lo, 46, v92
	s_cbranch_vccnz .LBB60_422
; %bb.421:
	v_lshlrev_b32_e32 v92, 4, v92
	s_delay_alu instid0(VALU_DEP_1)
	v_mov_b32_e32 v100, v92
	s_clause 0x1
	scratch_load_b128 v[92:95], off, s27
	scratch_load_b128 v[96:99], v100, off offset:-16
	s_wait_loadcnt 0x1
	ds_store_2addr_b64 v0, v[92:93], v[94:95] offset1:1
	s_wait_loadcnt 0x0
	s_clause 0x1
	scratch_store_b128 off, v[96:99], s27
	scratch_store_b128 v100, v[92:95], off offset:-16
.LBB60_422:
	global_load_b32 v1, v1, s[16:17] offset:176
	s_wait_loadcnt 0x0
	v_cmp_eq_u32_e32 vcc_lo, 45, v1
	s_cbranch_vccnz .LBB60_424
; %bb.423:
	s_wait_xcnt 0x0
	v_lshlrev_b32_e32 v1, 4, v1
	s_clause 0x1
	scratch_load_b128 v[92:95], off, s31
	scratch_load_b128 v[96:99], v1, off offset:-16
	s_wait_loadcnt 0x1
	ds_store_2addr_b64 v0, v[92:93], v[94:95] offset1:1
	s_wait_loadcnt 0x0
	s_clause 0x1
	scratch_store_b128 off, v[96:99], s31
	scratch_store_b128 v1, v[92:95], off offset:-16
.LBB60_424:
	s_wait_xcnt 0x0
	v_mov_b32_e32 v1, 0
	global_load_b32 v92, v1, s[16:17] offset:172
	s_wait_loadcnt 0x0
	v_cmp_eq_u32_e32 vcc_lo, 44, v92
	s_cbranch_vccnz .LBB60_426
; %bb.425:
	v_lshlrev_b32_e32 v92, 4, v92
	s_delay_alu instid0(VALU_DEP_1)
	v_mov_b32_e32 v100, v92
	s_clause 0x1
	scratch_load_b128 v[92:95], off, s29
	scratch_load_b128 v[96:99], v100, off offset:-16
	s_wait_loadcnt 0x1
	ds_store_2addr_b64 v0, v[92:93], v[94:95] offset1:1
	s_wait_loadcnt 0x0
	s_clause 0x1
	scratch_store_b128 off, v[96:99], s29
	scratch_store_b128 v100, v[92:95], off offset:-16
.LBB60_426:
	global_load_b32 v1, v1, s[16:17] offset:168
	s_wait_loadcnt 0x0
	v_cmp_eq_u32_e32 vcc_lo, 43, v1
	s_cbranch_vccnz .LBB60_428
; %bb.427:
	s_wait_xcnt 0x0
	v_lshlrev_b32_e32 v1, 4, v1
	s_clause 0x1
	scratch_load_b128 v[92:95], off, s34
	scratch_load_b128 v[96:99], v1, off offset:-16
	s_wait_loadcnt 0x1
	ds_store_2addr_b64 v0, v[92:93], v[94:95] offset1:1
	s_wait_loadcnt 0x0
	s_clause 0x1
	scratch_store_b128 off, v[96:99], s34
	scratch_store_b128 v1, v[92:95], off offset:-16
.LBB60_428:
	s_wait_xcnt 0x0
	v_mov_b32_e32 v1, 0
	global_load_b32 v92, v1, s[16:17] offset:164
	s_wait_loadcnt 0x0
	v_cmp_eq_u32_e32 vcc_lo, 42, v92
	s_cbranch_vccnz .LBB60_430
; %bb.429:
	v_lshlrev_b32_e32 v92, 4, v92
	s_delay_alu instid0(VALU_DEP_1)
	v_mov_b32_e32 v100, v92
	s_clause 0x1
	scratch_load_b128 v[92:95], off, s33
	scratch_load_b128 v[96:99], v100, off offset:-16
	s_wait_loadcnt 0x1
	ds_store_2addr_b64 v0, v[92:93], v[94:95] offset1:1
	s_wait_loadcnt 0x0
	s_clause 0x1
	scratch_store_b128 off, v[96:99], s33
	scratch_store_b128 v100, v[92:95], off offset:-16
.LBB60_430:
	global_load_b32 v1, v1, s[16:17] offset:160
	s_wait_loadcnt 0x0
	v_cmp_eq_u32_e32 vcc_lo, 41, v1
	s_cbranch_vccnz .LBB60_432
; %bb.431:
	s_wait_xcnt 0x0
	v_lshlrev_b32_e32 v1, 4, v1
	s_clause 0x1
	scratch_load_b128 v[92:95], off, s36
	scratch_load_b128 v[96:99], v1, off offset:-16
	s_wait_loadcnt 0x1
	ds_store_2addr_b64 v0, v[92:93], v[94:95] offset1:1
	s_wait_loadcnt 0x0
	s_clause 0x1
	scratch_store_b128 off, v[96:99], s36
	scratch_store_b128 v1, v[92:95], off offset:-16
.LBB60_432:
	s_wait_xcnt 0x0
	v_mov_b32_e32 v1, 0
	global_load_b32 v92, v1, s[16:17] offset:156
	s_wait_loadcnt 0x0
	v_cmp_eq_u32_e32 vcc_lo, 40, v92
	s_cbranch_vccnz .LBB60_434
; %bb.433:
	v_lshlrev_b32_e32 v92, 4, v92
	s_delay_alu instid0(VALU_DEP_1)
	v_mov_b32_e32 v100, v92
	s_clause 0x1
	scratch_load_b128 v[92:95], off, s35
	scratch_load_b128 v[96:99], v100, off offset:-16
	s_wait_loadcnt 0x1
	ds_store_2addr_b64 v0, v[92:93], v[94:95] offset1:1
	s_wait_loadcnt 0x0
	s_clause 0x1
	scratch_store_b128 off, v[96:99], s35
	scratch_store_b128 v100, v[92:95], off offset:-16
.LBB60_434:
	global_load_b32 v1, v1, s[16:17] offset:152
	s_wait_loadcnt 0x0
	v_cmp_eq_u32_e32 vcc_lo, 39, v1
	s_cbranch_vccnz .LBB60_436
; %bb.435:
	s_wait_xcnt 0x0
	v_lshlrev_b32_e32 v1, 4, v1
	s_clause 0x1
	scratch_load_b128 v[92:95], off, s38
	scratch_load_b128 v[96:99], v1, off offset:-16
	s_wait_loadcnt 0x1
	ds_store_2addr_b64 v0, v[92:93], v[94:95] offset1:1
	s_wait_loadcnt 0x0
	s_clause 0x1
	scratch_store_b128 off, v[96:99], s38
	scratch_store_b128 v1, v[92:95], off offset:-16
.LBB60_436:
	s_wait_xcnt 0x0
	v_mov_b32_e32 v1, 0
	global_load_b32 v92, v1, s[16:17] offset:148
	s_wait_loadcnt 0x0
	v_cmp_eq_u32_e32 vcc_lo, 38, v92
	s_cbranch_vccnz .LBB60_438
; %bb.437:
	v_lshlrev_b32_e32 v92, 4, v92
	s_delay_alu instid0(VALU_DEP_1)
	v_mov_b32_e32 v100, v92
	s_clause 0x1
	scratch_load_b128 v[92:95], off, s37
	scratch_load_b128 v[96:99], v100, off offset:-16
	s_wait_loadcnt 0x1
	ds_store_2addr_b64 v0, v[92:93], v[94:95] offset1:1
	s_wait_loadcnt 0x0
	s_clause 0x1
	scratch_store_b128 off, v[96:99], s37
	scratch_store_b128 v100, v[92:95], off offset:-16
.LBB60_438:
	global_load_b32 v1, v1, s[16:17] offset:144
	s_wait_loadcnt 0x0
	v_cmp_eq_u32_e32 vcc_lo, 37, v1
	s_cbranch_vccnz .LBB60_440
; %bb.439:
	s_wait_xcnt 0x0
	v_lshlrev_b32_e32 v1, 4, v1
	s_clause 0x1
	scratch_load_b128 v[92:95], off, s40
	scratch_load_b128 v[96:99], v1, off offset:-16
	s_wait_loadcnt 0x1
	ds_store_2addr_b64 v0, v[92:93], v[94:95] offset1:1
	s_wait_loadcnt 0x0
	s_clause 0x1
	scratch_store_b128 off, v[96:99], s40
	scratch_store_b128 v1, v[92:95], off offset:-16
.LBB60_440:
	s_wait_xcnt 0x0
	v_mov_b32_e32 v1, 0
	global_load_b32 v92, v1, s[16:17] offset:140
	s_wait_loadcnt 0x0
	v_cmp_eq_u32_e32 vcc_lo, 36, v92
	s_cbranch_vccnz .LBB60_442
; %bb.441:
	v_lshlrev_b32_e32 v92, 4, v92
	s_delay_alu instid0(VALU_DEP_1)
	v_mov_b32_e32 v100, v92
	s_clause 0x1
	scratch_load_b128 v[92:95], off, s39
	scratch_load_b128 v[96:99], v100, off offset:-16
	s_wait_loadcnt 0x1
	ds_store_2addr_b64 v0, v[92:93], v[94:95] offset1:1
	s_wait_loadcnt 0x0
	s_clause 0x1
	scratch_store_b128 off, v[96:99], s39
	scratch_store_b128 v100, v[92:95], off offset:-16
.LBB60_442:
	global_load_b32 v1, v1, s[16:17] offset:136
	s_wait_loadcnt 0x0
	v_cmp_eq_u32_e32 vcc_lo, 35, v1
	s_cbranch_vccnz .LBB60_444
; %bb.443:
	s_wait_xcnt 0x0
	v_lshlrev_b32_e32 v1, 4, v1
	s_clause 0x1
	scratch_load_b128 v[92:95], off, s42
	scratch_load_b128 v[96:99], v1, off offset:-16
	s_wait_loadcnt 0x1
	ds_store_2addr_b64 v0, v[92:93], v[94:95] offset1:1
	s_wait_loadcnt 0x0
	s_clause 0x1
	scratch_store_b128 off, v[96:99], s42
	scratch_store_b128 v1, v[92:95], off offset:-16
.LBB60_444:
	s_wait_xcnt 0x0
	v_mov_b32_e32 v1, 0
	global_load_b32 v92, v1, s[16:17] offset:132
	s_wait_loadcnt 0x0
	v_cmp_eq_u32_e32 vcc_lo, 34, v92
	s_cbranch_vccnz .LBB60_446
; %bb.445:
	v_lshlrev_b32_e32 v92, 4, v92
	s_delay_alu instid0(VALU_DEP_1)
	v_mov_b32_e32 v100, v92
	s_clause 0x1
	scratch_load_b128 v[92:95], off, s41
	scratch_load_b128 v[96:99], v100, off offset:-16
	s_wait_loadcnt 0x1
	ds_store_2addr_b64 v0, v[92:93], v[94:95] offset1:1
	s_wait_loadcnt 0x0
	s_clause 0x1
	scratch_store_b128 off, v[96:99], s41
	scratch_store_b128 v100, v[92:95], off offset:-16
.LBB60_446:
	global_load_b32 v1, v1, s[16:17] offset:128
	s_wait_loadcnt 0x0
	v_cmp_eq_u32_e32 vcc_lo, 33, v1
	s_cbranch_vccnz .LBB60_448
; %bb.447:
	s_wait_xcnt 0x0
	v_lshlrev_b32_e32 v1, 4, v1
	s_clause 0x1
	scratch_load_b128 v[92:95], off, s44
	scratch_load_b128 v[96:99], v1, off offset:-16
	s_wait_loadcnt 0x1
	ds_store_2addr_b64 v0, v[92:93], v[94:95] offset1:1
	s_wait_loadcnt 0x0
	s_clause 0x1
	scratch_store_b128 off, v[96:99], s44
	scratch_store_b128 v1, v[92:95], off offset:-16
.LBB60_448:
	s_wait_xcnt 0x0
	v_mov_b32_e32 v1, 0
	global_load_b32 v92, v1, s[16:17] offset:124
	s_wait_loadcnt 0x0
	v_cmp_eq_u32_e32 vcc_lo, 32, v92
	s_cbranch_vccnz .LBB60_450
; %bb.449:
	v_lshlrev_b32_e32 v92, 4, v92
	s_delay_alu instid0(VALU_DEP_1)
	v_mov_b32_e32 v100, v92
	s_clause 0x1
	scratch_load_b128 v[92:95], off, s43
	scratch_load_b128 v[96:99], v100, off offset:-16
	s_wait_loadcnt 0x1
	ds_store_2addr_b64 v0, v[92:93], v[94:95] offset1:1
	s_wait_loadcnt 0x0
	s_clause 0x1
	scratch_store_b128 off, v[96:99], s43
	scratch_store_b128 v100, v[92:95], off offset:-16
.LBB60_450:
	global_load_b32 v1, v1, s[16:17] offset:120
	s_wait_loadcnt 0x0
	v_cmp_eq_u32_e32 vcc_lo, 31, v1
	s_cbranch_vccnz .LBB60_452
; %bb.451:
	s_wait_xcnt 0x0
	v_lshlrev_b32_e32 v1, 4, v1
	s_clause 0x1
	scratch_load_b128 v[92:95], off, s50
	scratch_load_b128 v[96:99], v1, off offset:-16
	s_wait_loadcnt 0x1
	ds_store_2addr_b64 v0, v[92:93], v[94:95] offset1:1
	s_wait_loadcnt 0x0
	s_clause 0x1
	scratch_store_b128 off, v[96:99], s50
	scratch_store_b128 v1, v[92:95], off offset:-16
.LBB60_452:
	s_wait_xcnt 0x0
	v_mov_b32_e32 v1, 0
	global_load_b32 v92, v1, s[16:17] offset:116
	s_wait_loadcnt 0x0
	v_cmp_eq_u32_e32 vcc_lo, 30, v92
	s_cbranch_vccnz .LBB60_454
; %bb.453:
	v_lshlrev_b32_e32 v92, 4, v92
	s_delay_alu instid0(VALU_DEP_1)
	v_mov_b32_e32 v100, v92
	s_clause 0x1
	scratch_load_b128 v[92:95], off, s49
	scratch_load_b128 v[96:99], v100, off offset:-16
	s_wait_loadcnt 0x1
	ds_store_2addr_b64 v0, v[92:93], v[94:95] offset1:1
	s_wait_loadcnt 0x0
	s_clause 0x1
	scratch_store_b128 off, v[96:99], s49
	scratch_store_b128 v100, v[92:95], off offset:-16
.LBB60_454:
	global_load_b32 v1, v1, s[16:17] offset:112
	s_wait_loadcnt 0x0
	v_cmp_eq_u32_e32 vcc_lo, 29, v1
	s_cbranch_vccnz .LBB60_456
; %bb.455:
	s_wait_xcnt 0x0
	v_lshlrev_b32_e32 v1, 4, v1
	s_clause 0x1
	scratch_load_b128 v[92:95], off, s47
	scratch_load_b128 v[96:99], v1, off offset:-16
	s_wait_loadcnt 0x1
	ds_store_2addr_b64 v0, v[92:93], v[94:95] offset1:1
	s_wait_loadcnt 0x0
	s_clause 0x1
	scratch_store_b128 off, v[96:99], s47
	scratch_store_b128 v1, v[92:95], off offset:-16
.LBB60_456:
	s_wait_xcnt 0x0
	v_mov_b32_e32 v1, 0
	global_load_b32 v92, v1, s[16:17] offset:108
	s_wait_loadcnt 0x0
	v_cmp_eq_u32_e32 vcc_lo, 28, v92
	s_cbranch_vccnz .LBB60_458
; %bb.457:
	v_lshlrev_b32_e32 v92, 4, v92
	s_delay_alu instid0(VALU_DEP_1)
	v_mov_b32_e32 v100, v92
	s_clause 0x1
	scratch_load_b128 v[92:95], off, s45
	scratch_load_b128 v[96:99], v100, off offset:-16
	s_wait_loadcnt 0x1
	ds_store_2addr_b64 v0, v[92:93], v[94:95] offset1:1
	s_wait_loadcnt 0x0
	s_clause 0x1
	scratch_store_b128 off, v[96:99], s45
	scratch_store_b128 v100, v[92:95], off offset:-16
.LBB60_458:
	global_load_b32 v1, v1, s[16:17] offset:104
	s_wait_loadcnt 0x0
	v_cmp_eq_u32_e32 vcc_lo, 27, v1
	s_cbranch_vccnz .LBB60_460
; %bb.459:
	s_wait_xcnt 0x0
	v_lshlrev_b32_e32 v1, 4, v1
	s_clause 0x1
	scratch_load_b128 v[92:95], off, s48
	scratch_load_b128 v[96:99], v1, off offset:-16
	s_wait_loadcnt 0x1
	ds_store_2addr_b64 v0, v[92:93], v[94:95] offset1:1
	s_wait_loadcnt 0x0
	s_clause 0x1
	scratch_store_b128 off, v[96:99], s48
	scratch_store_b128 v1, v[92:95], off offset:-16
.LBB60_460:
	s_wait_xcnt 0x0
	v_mov_b32_e32 v1, 0
	global_load_b32 v92, v1, s[16:17] offset:100
	s_wait_loadcnt 0x0
	v_cmp_eq_u32_e32 vcc_lo, 26, v92
	s_cbranch_vccnz .LBB60_462
; %bb.461:
	v_lshlrev_b32_e32 v92, 4, v92
	s_delay_alu instid0(VALU_DEP_1)
	v_mov_b32_e32 v100, v92
	s_clause 0x1
	scratch_load_b128 v[92:95], off, s46
	scratch_load_b128 v[96:99], v100, off offset:-16
	s_wait_loadcnt 0x1
	ds_store_2addr_b64 v0, v[92:93], v[94:95] offset1:1
	s_wait_loadcnt 0x0
	s_clause 0x1
	scratch_store_b128 off, v[96:99], s46
	scratch_store_b128 v100, v[92:95], off offset:-16
.LBB60_462:
	global_load_b32 v1, v1, s[16:17] offset:96
	s_wait_loadcnt 0x0
	v_cmp_eq_u32_e32 vcc_lo, 25, v1
	s_cbranch_vccnz .LBB60_464
; %bb.463:
	s_wait_xcnt 0x0
	v_lshlrev_b32_e32 v1, 4, v1
	s_clause 0x1
	scratch_load_b128 v[92:95], off, s68
	scratch_load_b128 v[96:99], v1, off offset:-16
	s_wait_loadcnt 0x1
	ds_store_2addr_b64 v0, v[92:93], v[94:95] offset1:1
	s_wait_loadcnt 0x0
	s_clause 0x1
	scratch_store_b128 off, v[96:99], s68
	scratch_store_b128 v1, v[92:95], off offset:-16
.LBB60_464:
	s_wait_xcnt 0x0
	v_mov_b32_e32 v1, 0
	global_load_b32 v92, v1, s[16:17] offset:92
	s_wait_loadcnt 0x0
	v_cmp_eq_u32_e32 vcc_lo, 24, v92
	s_cbranch_vccnz .LBB60_466
; %bb.465:
	v_lshlrev_b32_e32 v92, 4, v92
	s_delay_alu instid0(VALU_DEP_1)
	v_mov_b32_e32 v100, v92
	s_clause 0x1
	scratch_load_b128 v[92:95], off, s66
	scratch_load_b128 v[96:99], v100, off offset:-16
	s_wait_loadcnt 0x1
	ds_store_2addr_b64 v0, v[92:93], v[94:95] offset1:1
	s_wait_loadcnt 0x0
	s_clause 0x1
	scratch_store_b128 off, v[96:99], s66
	scratch_store_b128 v100, v[92:95], off offset:-16
.LBB60_466:
	global_load_b32 v1, v1, s[16:17] offset:88
	s_wait_loadcnt 0x0
	v_cmp_eq_u32_e32 vcc_lo, 23, v1
	s_cbranch_vccnz .LBB60_468
; %bb.467:
	s_wait_xcnt 0x0
	v_lshlrev_b32_e32 v1, 4, v1
	s_clause 0x1
	scratch_load_b128 v[92:95], off, s62
	scratch_load_b128 v[96:99], v1, off offset:-16
	s_wait_loadcnt 0x1
	ds_store_2addr_b64 v0, v[92:93], v[94:95] offset1:1
	s_wait_loadcnt 0x0
	s_clause 0x1
	scratch_store_b128 off, v[96:99], s62
	scratch_store_b128 v1, v[92:95], off offset:-16
.LBB60_468:
	s_wait_xcnt 0x0
	v_mov_b32_e32 v1, 0
	global_load_b32 v92, v1, s[16:17] offset:84
	s_wait_loadcnt 0x0
	v_cmp_eq_u32_e32 vcc_lo, 22, v92
	s_cbranch_vccnz .LBB60_470
; %bb.469:
	v_lshlrev_b32_e32 v92, 4, v92
	s_delay_alu instid0(VALU_DEP_1)
	v_mov_b32_e32 v100, v92
	s_clause 0x1
	scratch_load_b128 v[92:95], off, s59
	scratch_load_b128 v[96:99], v100, off offset:-16
	s_wait_loadcnt 0x1
	ds_store_2addr_b64 v0, v[92:93], v[94:95] offset1:1
	s_wait_loadcnt 0x0
	s_clause 0x1
	scratch_store_b128 off, v[96:99], s59
	scratch_store_b128 v100, v[92:95], off offset:-16
.LBB60_470:
	global_load_b32 v1, v1, s[16:17] offset:80
	s_wait_loadcnt 0x0
	v_cmp_eq_u32_e32 vcc_lo, 21, v1
	s_cbranch_vccnz .LBB60_472
; %bb.471:
	s_wait_xcnt 0x0
	v_lshlrev_b32_e32 v1, 4, v1
	s_clause 0x1
	scratch_load_b128 v[92:95], off, s69
	scratch_load_b128 v[96:99], v1, off offset:-16
	s_wait_loadcnt 0x1
	ds_store_2addr_b64 v0, v[92:93], v[94:95] offset1:1
	s_wait_loadcnt 0x0
	s_clause 0x1
	scratch_store_b128 off, v[96:99], s69
	scratch_store_b128 v1, v[92:95], off offset:-16
.LBB60_472:
	s_wait_xcnt 0x0
	v_mov_b32_e32 v1, 0
	global_load_b32 v92, v1, s[16:17] offset:76
	s_wait_loadcnt 0x0
	v_cmp_eq_u32_e32 vcc_lo, 20, v92
	s_cbranch_vccnz .LBB60_474
; %bb.473:
	v_lshlrev_b32_e32 v92, 4, v92
	s_delay_alu instid0(VALU_DEP_1)
	v_mov_b32_e32 v100, v92
	s_clause 0x1
	scratch_load_b128 v[92:95], off, s67
	scratch_load_b128 v[96:99], v100, off offset:-16
	s_wait_loadcnt 0x1
	ds_store_2addr_b64 v0, v[92:93], v[94:95] offset1:1
	s_wait_loadcnt 0x0
	s_clause 0x1
	scratch_store_b128 off, v[96:99], s67
	scratch_store_b128 v100, v[92:95], off offset:-16
.LBB60_474:
	global_load_b32 v1, v1, s[16:17] offset:72
	s_wait_loadcnt 0x0
	v_cmp_eq_u32_e32 vcc_lo, 19, v1
	s_cbranch_vccnz .LBB60_476
; %bb.475:
	s_wait_xcnt 0x0
	v_lshlrev_b32_e32 v1, 4, v1
	s_clause 0x1
	scratch_load_b128 v[92:95], off, s64
	scratch_load_b128 v[96:99], v1, off offset:-16
	s_wait_loadcnt 0x1
	ds_store_2addr_b64 v0, v[92:93], v[94:95] offset1:1
	s_wait_loadcnt 0x0
	s_clause 0x1
	scratch_store_b128 off, v[96:99], s64
	scratch_store_b128 v1, v[92:95], off offset:-16
.LBB60_476:
	s_wait_xcnt 0x0
	v_mov_b32_e32 v1, 0
	global_load_b32 v92, v1, s[16:17] offset:68
	s_wait_loadcnt 0x0
	v_cmp_eq_u32_e32 vcc_lo, 18, v92
	s_cbranch_vccnz .LBB60_478
; %bb.477:
	v_lshlrev_b32_e32 v92, 4, v92
	s_delay_alu instid0(VALU_DEP_1)
	v_mov_b32_e32 v100, v92
	s_clause 0x1
	scratch_load_b128 v[92:95], off, s61
	scratch_load_b128 v[96:99], v100, off offset:-16
	s_wait_loadcnt 0x1
	ds_store_2addr_b64 v0, v[92:93], v[94:95] offset1:1
	s_wait_loadcnt 0x0
	s_clause 0x1
	scratch_store_b128 off, v[96:99], s61
	scratch_store_b128 v100, v[92:95], off offset:-16
.LBB60_478:
	global_load_b32 v1, v1, s[16:17] offset:64
	s_wait_loadcnt 0x0
	v_cmp_eq_u32_e32 vcc_lo, 17, v1
	s_cbranch_vccnz .LBB60_480
; %bb.479:
	s_wait_xcnt 0x0
	v_lshlrev_b32_e32 v1, 4, v1
	s_clause 0x1
	scratch_load_b128 v[92:95], off, s58
	scratch_load_b128 v[96:99], v1, off offset:-16
	s_wait_loadcnt 0x1
	ds_store_2addr_b64 v0, v[92:93], v[94:95] offset1:1
	s_wait_loadcnt 0x0
	s_clause 0x1
	scratch_store_b128 off, v[96:99], s58
	scratch_store_b128 v1, v[92:95], off offset:-16
.LBB60_480:
	s_wait_xcnt 0x0
	v_mov_b32_e32 v1, 0
	global_load_b32 v92, v1, s[16:17] offset:60
	s_wait_loadcnt 0x0
	v_cmp_eq_u32_e32 vcc_lo, 16, v92
	s_cbranch_vccnz .LBB60_482
; %bb.481:
	v_lshlrev_b32_e32 v92, 4, v92
	s_delay_alu instid0(VALU_DEP_1)
	v_mov_b32_e32 v100, v92
	s_clause 0x1
	scratch_load_b128 v[92:95], off, s56
	scratch_load_b128 v[96:99], v100, off offset:-16
	s_wait_loadcnt 0x1
	ds_store_2addr_b64 v0, v[92:93], v[94:95] offset1:1
	s_wait_loadcnt 0x0
	s_clause 0x1
	scratch_store_b128 off, v[96:99], s56
	scratch_store_b128 v100, v[92:95], off offset:-16
.LBB60_482:
	global_load_b32 v1, v1, s[16:17] offset:56
	s_wait_loadcnt 0x0
	v_cmp_eq_u32_e32 vcc_lo, 15, v1
	s_cbranch_vccnz .LBB60_484
; %bb.483:
	s_wait_xcnt 0x0
	v_lshlrev_b32_e32 v1, 4, v1
	s_clause 0x1
	scratch_load_b128 v[92:95], off, s65
	scratch_load_b128 v[96:99], v1, off offset:-16
	s_wait_loadcnt 0x1
	ds_store_2addr_b64 v0, v[92:93], v[94:95] offset1:1
	s_wait_loadcnt 0x0
	s_clause 0x1
	scratch_store_b128 off, v[96:99], s65
	scratch_store_b128 v1, v[92:95], off offset:-16
.LBB60_484:
	s_wait_xcnt 0x0
	v_mov_b32_e32 v1, 0
	global_load_b32 v92, v1, s[16:17] offset:52
	s_wait_loadcnt 0x0
	v_cmp_eq_u32_e32 vcc_lo, 14, v92
	s_cbranch_vccnz .LBB60_486
; %bb.485:
	v_lshlrev_b32_e32 v92, 4, v92
	s_delay_alu instid0(VALU_DEP_1)
	v_mov_b32_e32 v100, v92
	s_clause 0x1
	scratch_load_b128 v[92:95], off, s63
	scratch_load_b128 v[96:99], v100, off offset:-16
	s_wait_loadcnt 0x1
	ds_store_2addr_b64 v0, v[92:93], v[94:95] offset1:1
	s_wait_loadcnt 0x0
	s_clause 0x1
	scratch_store_b128 off, v[96:99], s63
	scratch_store_b128 v100, v[92:95], off offset:-16
.LBB60_486:
	global_load_b32 v1, v1, s[16:17] offset:48
	s_wait_loadcnt 0x0
	v_cmp_eq_u32_e32 vcc_lo, 13, v1
	s_cbranch_vccnz .LBB60_488
; %bb.487:
	s_wait_xcnt 0x0
	v_lshlrev_b32_e32 v1, 4, v1
	s_clause 0x1
	scratch_load_b128 v[92:95], off, s60
	scratch_load_b128 v[96:99], v1, off offset:-16
	s_wait_loadcnt 0x1
	ds_store_2addr_b64 v0, v[92:93], v[94:95] offset1:1
	s_wait_loadcnt 0x0
	s_clause 0x1
	scratch_store_b128 off, v[96:99], s60
	scratch_store_b128 v1, v[92:95], off offset:-16
.LBB60_488:
	s_wait_xcnt 0x0
	v_mov_b32_e32 v1, 0
	global_load_b32 v92, v1, s[16:17] offset:44
	s_wait_loadcnt 0x0
	v_cmp_eq_u32_e32 vcc_lo, 12, v92
	s_cbranch_vccnz .LBB60_490
; %bb.489:
	v_lshlrev_b32_e32 v92, 4, v92
	s_delay_alu instid0(VALU_DEP_1)
	v_mov_b32_e32 v100, v92
	s_clause 0x1
	scratch_load_b128 v[92:95], off, s57
	scratch_load_b128 v[96:99], v100, off offset:-16
	s_wait_loadcnt 0x1
	ds_store_2addr_b64 v0, v[92:93], v[94:95] offset1:1
	s_wait_loadcnt 0x0
	s_clause 0x1
	scratch_store_b128 off, v[96:99], s57
	scratch_store_b128 v100, v[92:95], off offset:-16
.LBB60_490:
	global_load_b32 v1, v1, s[16:17] offset:40
	s_wait_loadcnt 0x0
	v_cmp_eq_u32_e32 vcc_lo, 11, v1
	s_cbranch_vccnz .LBB60_492
; %bb.491:
	s_wait_xcnt 0x0
	v_lshlrev_b32_e32 v1, 4, v1
	s_clause 0x1
	scratch_load_b128 v[92:95], off, s55
	scratch_load_b128 v[96:99], v1, off offset:-16
	s_wait_loadcnt 0x1
	ds_store_2addr_b64 v0, v[92:93], v[94:95] offset1:1
	s_wait_loadcnt 0x0
	s_clause 0x1
	scratch_store_b128 off, v[96:99], s55
	scratch_store_b128 v1, v[92:95], off offset:-16
.LBB60_492:
	s_wait_xcnt 0x0
	v_mov_b32_e32 v1, 0
	global_load_b32 v92, v1, s[16:17] offset:36
	s_wait_loadcnt 0x0
	v_cmp_eq_u32_e32 vcc_lo, 10, v92
	s_cbranch_vccnz .LBB60_494
; %bb.493:
	v_lshlrev_b32_e32 v92, 4, v92
	s_delay_alu instid0(VALU_DEP_1)
	v_mov_b32_e32 v100, v92
	s_clause 0x1
	scratch_load_b128 v[92:95], off, s70
	scratch_load_b128 v[96:99], v100, off offset:-16
	s_wait_loadcnt 0x1
	ds_store_2addr_b64 v0, v[92:93], v[94:95] offset1:1
	s_wait_loadcnt 0x0
	s_clause 0x1
	scratch_store_b128 off, v[96:99], s70
	scratch_store_b128 v100, v[92:95], off offset:-16
.LBB60_494:
	global_load_b32 v1, v1, s[16:17] offset:32
	s_wait_loadcnt 0x0
	v_cmp_eq_u32_e32 vcc_lo, 9, v1
	s_cbranch_vccnz .LBB60_496
; %bb.495:
	s_wait_xcnt 0x0
	v_lshlrev_b32_e32 v1, 4, v1
	s_clause 0x1
	scratch_load_b128 v[92:95], off, s71
	scratch_load_b128 v[96:99], v1, off offset:-16
	s_wait_loadcnt 0x1
	ds_store_2addr_b64 v0, v[92:93], v[94:95] offset1:1
	s_wait_loadcnt 0x0
	s_clause 0x1
	scratch_store_b128 off, v[96:99], s71
	scratch_store_b128 v1, v[92:95], off offset:-16
.LBB60_496:
	s_wait_xcnt 0x0
	v_mov_b32_e32 v1, 0
	global_load_b32 v92, v1, s[16:17] offset:28
	s_wait_loadcnt 0x0
	v_cmp_eq_u32_e32 vcc_lo, 8, v92
	s_cbranch_vccnz .LBB60_498
; %bb.497:
	v_lshlrev_b32_e32 v92, 4, v92
	s_delay_alu instid0(VALU_DEP_1)
	v_mov_b32_e32 v100, v92
	s_clause 0x1
	scratch_load_b128 v[92:95], off, s72
	scratch_load_b128 v[96:99], v100, off offset:-16
	s_wait_loadcnt 0x1
	ds_store_2addr_b64 v0, v[92:93], v[94:95] offset1:1
	s_wait_loadcnt 0x0
	s_clause 0x1
	scratch_store_b128 off, v[96:99], s72
	scratch_store_b128 v100, v[92:95], off offset:-16
.LBB60_498:
	global_load_b32 v1, v1, s[16:17] offset:24
	s_wait_loadcnt 0x0
	v_cmp_eq_u32_e32 vcc_lo, 7, v1
	s_cbranch_vccnz .LBB60_500
; %bb.499:
	s_wait_xcnt 0x0
	v_lshlrev_b32_e32 v1, 4, v1
	s_clause 0x1
	scratch_load_b128 v[92:95], off, s73
	scratch_load_b128 v[96:99], v1, off offset:-16
	s_wait_loadcnt 0x1
	ds_store_2addr_b64 v0, v[92:93], v[94:95] offset1:1
	s_wait_loadcnt 0x0
	s_clause 0x1
	scratch_store_b128 off, v[96:99], s73
	scratch_store_b128 v1, v[92:95], off offset:-16
.LBB60_500:
	s_wait_xcnt 0x0
	v_mov_b32_e32 v1, 0
	global_load_b32 v92, v1, s[16:17] offset:20
	s_wait_loadcnt 0x0
	v_cmp_eq_u32_e32 vcc_lo, 6, v92
	s_cbranch_vccnz .LBB60_502
; %bb.501:
	v_lshlrev_b32_e32 v92, 4, v92
	s_delay_alu instid0(VALU_DEP_1)
	v_mov_b32_e32 v100, v92
	s_clause 0x1
	scratch_load_b128 v[92:95], off, s74
	scratch_load_b128 v[96:99], v100, off offset:-16
	s_wait_loadcnt 0x1
	ds_store_2addr_b64 v0, v[92:93], v[94:95] offset1:1
	s_wait_loadcnt 0x0
	s_clause 0x1
	scratch_store_b128 off, v[96:99], s74
	scratch_store_b128 v100, v[92:95], off offset:-16
.LBB60_502:
	global_load_b32 v1, v1, s[16:17] offset:16
	s_wait_loadcnt 0x0
	v_cmp_eq_u32_e32 vcc_lo, 5, v1
	s_cbranch_vccnz .LBB60_504
; %bb.503:
	s_wait_xcnt 0x0
	v_lshlrev_b32_e32 v1, 4, v1
	s_clause 0x1
	scratch_load_b128 v[92:95], off, s51
	scratch_load_b128 v[96:99], v1, off offset:-16
	s_wait_loadcnt 0x1
	ds_store_2addr_b64 v0, v[92:93], v[94:95] offset1:1
	s_wait_loadcnt 0x0
	s_clause 0x1
	scratch_store_b128 off, v[96:99], s51
	scratch_store_b128 v1, v[92:95], off offset:-16
.LBB60_504:
	s_wait_xcnt 0x0
	v_mov_b32_e32 v1, 0
	global_load_b32 v92, v1, s[16:17] offset:12
	s_wait_loadcnt 0x0
	v_cmp_eq_u32_e32 vcc_lo, 4, v92
	s_cbranch_vccnz .LBB60_506
; %bb.505:
	v_lshlrev_b32_e32 v92, 4, v92
	s_delay_alu instid0(VALU_DEP_1)
	v_mov_b32_e32 v100, v92
	s_clause 0x1
	scratch_load_b128 v[92:95], off, s52
	scratch_load_b128 v[96:99], v100, off offset:-16
	s_wait_loadcnt 0x1
	ds_store_2addr_b64 v0, v[92:93], v[94:95] offset1:1
	s_wait_loadcnt 0x0
	s_clause 0x1
	scratch_store_b128 off, v[96:99], s52
	scratch_store_b128 v100, v[92:95], off offset:-16
.LBB60_506:
	global_load_b32 v1, v1, s[16:17] offset:8
	s_wait_loadcnt 0x0
	v_cmp_eq_u32_e32 vcc_lo, 3, v1
	s_cbranch_vccnz .LBB60_508
; %bb.507:
	s_wait_xcnt 0x0
	v_lshlrev_b32_e32 v1, 4, v1
	s_clause 0x1
	scratch_load_b128 v[92:95], off, s53
	scratch_load_b128 v[96:99], v1, off offset:-16
	s_wait_loadcnt 0x1
	ds_store_2addr_b64 v0, v[92:93], v[94:95] offset1:1
	s_wait_loadcnt 0x0
	s_clause 0x1
	scratch_store_b128 off, v[96:99], s53
	scratch_store_b128 v1, v[92:95], off offset:-16
.LBB60_508:
	s_wait_xcnt 0x0
	v_mov_b32_e32 v1, 0
	global_load_b32 v92, v1, s[16:17] offset:4
	s_wait_loadcnt 0x0
	v_cmp_eq_u32_e32 vcc_lo, 2, v92
	s_cbranch_vccnz .LBB60_510
; %bb.509:
	v_lshlrev_b32_e32 v92, 4, v92
	s_delay_alu instid0(VALU_DEP_1)
	v_mov_b32_e32 v100, v92
	s_clause 0x1
	scratch_load_b128 v[92:95], off, s54
	scratch_load_b128 v[96:99], v100, off offset:-16
	s_wait_loadcnt 0x1
	ds_store_2addr_b64 v0, v[92:93], v[94:95] offset1:1
	s_wait_loadcnt 0x0
	s_clause 0x1
	scratch_store_b128 off, v[96:99], s54
	scratch_store_b128 v100, v[92:95], off offset:-16
.LBB60_510:
	global_load_b32 v1, v1, s[16:17]
	s_wait_loadcnt 0x0
	v_cmp_eq_u32_e32 vcc_lo, 1, v1
	s_cbranch_vccnz .LBB60_512
; %bb.511:
	s_wait_xcnt 0x0
	v_lshlrev_b32_e32 v1, 4, v1
	scratch_load_b128 v[92:95], off, off
	scratch_load_b128 v[96:99], v1, off offset:-16
	s_wait_loadcnt 0x1
	ds_store_2addr_b64 v0, v[92:93], v[94:95] offset1:1
	s_wait_loadcnt 0x0
	scratch_store_b128 off, v[96:99], off
	scratch_store_b128 v1, v[92:95], off offset:-16
.LBB60_512:
	scratch_load_b128 v[92:95], off, off
	s_clause 0x1d
	scratch_load_b128 v[96:99], off, s54
	scratch_load_b128 v[100:103], off, s53
	;; [unrolled: 1-line block ×24, first 2 shown]
	; meta instruction
	; meta instruction
	;; [unrolled: 1-line block ×15, first 2 shown]
	scratch_load_b128 v[226:229], off, s46
	scratch_load_b128 v[230:233], off, s48
	;; [unrolled: 1-line block ×6, first 2 shown]
	s_wait_loadcnt 0x1e
	global_store_b128 v[16:17], v[92:95], off
	s_clause 0x1
	scratch_load_b128 v[92:95], off, s43
	scratch_load_b128 v[250:253], off, s44
	s_wait_loadcnt 0x1f
	global_store_b128 v[18:19], v[96:99], off
	s_clause 0x1
	scratch_load_b128 v[16:19], off, s41
	scratch_load_b128 v[96:99], off, s42
	s_wait_loadcnt 0x20
	global_store_b128 v[168:169], v[100:103], off
	s_clause 0x1
	scratch_load_b128 v[100:103], off, s39
	scratch_load_b128 v[254:257], off, s40
	s_wait_loadcnt 0x21
	global_store_b128 v[164:165], v[104:107], off
	s_wait_loadcnt 0x20
	global_store_b128 v[166:167], v[108:111], off
	s_clause 0x1
	scratch_load_b128 v[104:107], off, s37
	scratch_load_b128 v[108:111], off, s38
	s_wait_loadcnt 0x21
	global_store_b128 v[162:163], v[112:115], off
	s_clause 0x1
	scratch_load_b128 v[112:115], off, s35
	scratch_load_b128 v[162:165], off, s36
	s_wait_loadcnt 0x22
	global_store_b128 v[160:161], v[116:119], off
	s_clause 0x1
	scratch_load_b128 v[116:119], off, s33
	scratch_load_b128 v[166:169], off, s34
	s_wait_loadcnt 0x23
	global_store_b128 v[156:157], v[120:123], off
	;; [unrolled: 17-line block ×5, first 2 shown]
	s_wait_loadcnt 0x28
	global_store_b128 v[4:5], v[206:209], off
	s_wait_loadcnt 0x27
	global_store_b128 v[6:7], v[210:213], off
	;; [unrolled: 2-line block ×41, first 2 shown]
	s_sendmsg sendmsg(MSG_DEALLOC_VGPRS)
	s_endpgm
	.section	.rodata,"a",@progbits
	.p2align	6, 0x0
	.amdhsa_kernel _ZN9rocsolver6v33100L18getri_kernel_smallILi61E19rocblas_complex_numIdEPS3_EEvT1_iilPiilS6_bb
		.amdhsa_group_segment_fixed_size 2984
		.amdhsa_private_segment_fixed_size 992
		.amdhsa_kernarg_size 60
		.amdhsa_user_sgpr_count 4
		.amdhsa_user_sgpr_dispatch_ptr 1
		.amdhsa_user_sgpr_queue_ptr 0
		.amdhsa_user_sgpr_kernarg_segment_ptr 1
		.amdhsa_user_sgpr_dispatch_id 0
		.amdhsa_user_sgpr_kernarg_preload_length 0
		.amdhsa_user_sgpr_kernarg_preload_offset 0
		.amdhsa_user_sgpr_private_segment_size 0
		.amdhsa_wavefront_size32 1
		.amdhsa_uses_dynamic_stack 0
		.amdhsa_enable_private_segment 1
		.amdhsa_system_sgpr_workgroup_id_x 1
		.amdhsa_system_sgpr_workgroup_id_y 0
		.amdhsa_system_sgpr_workgroup_id_z 0
		.amdhsa_system_sgpr_workgroup_info 0
		.amdhsa_system_vgpr_workitem_id 2
		.amdhsa_next_free_vgpr 266
		.amdhsa_next_free_sgpr 102
		.amdhsa_named_barrier_count 0
		.amdhsa_reserve_vcc 1
		.amdhsa_float_round_mode_32 0
		.amdhsa_float_round_mode_16_64 0
		.amdhsa_float_denorm_mode_32 3
		.amdhsa_float_denorm_mode_16_64 3
		.amdhsa_fp16_overflow 0
		.amdhsa_memory_ordered 1
		.amdhsa_forward_progress 1
		.amdhsa_inst_pref_size 255
		.amdhsa_round_robin_scheduling 0
		.amdhsa_exception_fp_ieee_invalid_op 0
		.amdhsa_exception_fp_denorm_src 0
		.amdhsa_exception_fp_ieee_div_zero 0
		.amdhsa_exception_fp_ieee_overflow 0
		.amdhsa_exception_fp_ieee_underflow 0
		.amdhsa_exception_fp_ieee_inexact 0
		.amdhsa_exception_int_div_zero 0
	.end_amdhsa_kernel
	.section	.text._ZN9rocsolver6v33100L18getri_kernel_smallILi61E19rocblas_complex_numIdEPS3_EEvT1_iilPiilS6_bb,"axG",@progbits,_ZN9rocsolver6v33100L18getri_kernel_smallILi61E19rocblas_complex_numIdEPS3_EEvT1_iilPiilS6_bb,comdat
.Lfunc_end60:
	.size	_ZN9rocsolver6v33100L18getri_kernel_smallILi61E19rocblas_complex_numIdEPS3_EEvT1_iilPiilS6_bb, .Lfunc_end60-_ZN9rocsolver6v33100L18getri_kernel_smallILi61E19rocblas_complex_numIdEPS3_EEvT1_iilPiilS6_bb
                                        ; -- End function
	.set _ZN9rocsolver6v33100L18getri_kernel_smallILi61E19rocblas_complex_numIdEPS3_EEvT1_iilPiilS6_bb.num_vgpr, 266
	.set _ZN9rocsolver6v33100L18getri_kernel_smallILi61E19rocblas_complex_numIdEPS3_EEvT1_iilPiilS6_bb.num_agpr, 0
	.set _ZN9rocsolver6v33100L18getri_kernel_smallILi61E19rocblas_complex_numIdEPS3_EEvT1_iilPiilS6_bb.numbered_sgpr, 102
	.set _ZN9rocsolver6v33100L18getri_kernel_smallILi61E19rocblas_complex_numIdEPS3_EEvT1_iilPiilS6_bb.num_named_barrier, 0
	.set _ZN9rocsolver6v33100L18getri_kernel_smallILi61E19rocblas_complex_numIdEPS3_EEvT1_iilPiilS6_bb.private_seg_size, 992
	.set _ZN9rocsolver6v33100L18getri_kernel_smallILi61E19rocblas_complex_numIdEPS3_EEvT1_iilPiilS6_bb.uses_vcc, 1
	.set _ZN9rocsolver6v33100L18getri_kernel_smallILi61E19rocblas_complex_numIdEPS3_EEvT1_iilPiilS6_bb.uses_flat_scratch, 1
	.set _ZN9rocsolver6v33100L18getri_kernel_smallILi61E19rocblas_complex_numIdEPS3_EEvT1_iilPiilS6_bb.has_dyn_sized_stack, 0
	.set _ZN9rocsolver6v33100L18getri_kernel_smallILi61E19rocblas_complex_numIdEPS3_EEvT1_iilPiilS6_bb.has_recursion, 0
	.set _ZN9rocsolver6v33100L18getri_kernel_smallILi61E19rocblas_complex_numIdEPS3_EEvT1_iilPiilS6_bb.has_indirect_call, 0
	.section	.AMDGPU.csdata,"",@progbits
; Kernel info:
; codeLenInByte = 133572
; TotalNumSgprs: 104
; NumVgprs: 266
; ScratchSize: 992
; MemoryBound: 0
; FloatMode: 240
; IeeeMode: 1
; LDSByteSize: 2984 bytes/workgroup (compile time only)
; SGPRBlocks: 0
; VGPRBlocks: 16
; NumSGPRsForWavesPerEU: 104
; NumVGPRsForWavesPerEU: 266
; NamedBarCnt: 0
; Occupancy: 3
; WaveLimiterHint : 1
; COMPUTE_PGM_RSRC2:SCRATCH_EN: 1
; COMPUTE_PGM_RSRC2:USER_SGPR: 4
; COMPUTE_PGM_RSRC2:TRAP_HANDLER: 0
; COMPUTE_PGM_RSRC2:TGID_X_EN: 1
; COMPUTE_PGM_RSRC2:TGID_Y_EN: 0
; COMPUTE_PGM_RSRC2:TGID_Z_EN: 0
; COMPUTE_PGM_RSRC2:TIDIG_COMP_CNT: 2
	.section	.text._ZN9rocsolver6v33100L18getri_kernel_smallILi62E19rocblas_complex_numIdEPS3_EEvT1_iilPiilS6_bb,"axG",@progbits,_ZN9rocsolver6v33100L18getri_kernel_smallILi62E19rocblas_complex_numIdEPS3_EEvT1_iilPiilS6_bb,comdat
	.globl	_ZN9rocsolver6v33100L18getri_kernel_smallILi62E19rocblas_complex_numIdEPS3_EEvT1_iilPiilS6_bb ; -- Begin function _ZN9rocsolver6v33100L18getri_kernel_smallILi62E19rocblas_complex_numIdEPS3_EEvT1_iilPiilS6_bb
	.p2align	8
	.type	_ZN9rocsolver6v33100L18getri_kernel_smallILi62E19rocblas_complex_numIdEPS3_EEvT1_iilPiilS6_bb,@function
_ZN9rocsolver6v33100L18getri_kernel_smallILi62E19rocblas_complex_numIdEPS3_EEvT1_iilPiilS6_bb: ; @_ZN9rocsolver6v33100L18getri_kernel_smallILi62E19rocblas_complex_numIdEPS3_EEvT1_iilPiilS6_bb
; %bb.0:
	v_and_b32_e32 v1, 0x3ff, v0
	s_mov_b32 s4, exec_lo
	s_delay_alu instid0(VALU_DEP_1)
	v_cmpx_gt_u32_e32 62, v1
	s_cbranch_execz .LBB61_274
; %bb.1:
	s_clause 0x2
	s_load_b32 s8, s[2:3], 0x38
	s_load_b128 s[12:15], s[2:3], 0x10
	s_load_b128 s[4:7], s[2:3], 0x28
	s_getreg_b32 s11, hwreg(HW_REG_IB_STS2, 6, 4)
                                        ; implicit-def: $sgpr16_sgpr17
	s_wait_kmcnt 0x0
	s_bitcmp1_b32 s8, 8
	s_cselect_b32 s76, -1, 0
	s_bfe_u32 s9, ttmp6, 0x4000c
	s_and_b32 s10, ttmp6, 15
	s_add_co_i32 s9, s9, 1
	s_delay_alu instid0(SALU_CYCLE_1) | instskip(NEXT) | instid1(SALU_CYCLE_1)
	s_mul_i32 s9, ttmp9, s9
	s_add_co_i32 s10, s10, s9
	s_cmp_eq_u32 s11, 0
	s_cselect_b32 s18, ttmp9, s10
	s_bfe_u32 s8, s8, 0x10008
	s_ashr_i32 s19, s18, 31
	s_cmp_eq_u32 s8, 0
	s_cbranch_scc1 .LBB61_3
; %bb.2:
	s_load_b32 s8, s[2:3], 0x20
	s_mul_u64 s[4:5], s[4:5], s[18:19]
	s_delay_alu instid0(SALU_CYCLE_1) | instskip(NEXT) | instid1(SALU_CYCLE_1)
	s_lshl_b64 s[4:5], s[4:5], 2
	s_add_nc_u64 s[4:5], s[14:15], s[4:5]
	s_wait_kmcnt 0x0
	s_ashr_i32 s9, s8, 31
	s_delay_alu instid0(SALU_CYCLE_1) | instskip(NEXT) | instid1(SALU_CYCLE_1)
	s_lshl_b64 s[8:9], s[8:9], 2
	s_add_nc_u64 s[16:17], s[4:5], s[8:9]
.LBB61_3:
	s_clause 0x1
	s_load_b128 s[8:11], s[2:3], 0x0
	s_load_b32 s4, s[2:3], 0x38
	s_wait_xcnt 0x0
	s_mul_u64 s[2:3], s[12:13], s[18:19]
	s_movk_i32 s50, 0x230
	s_lshl_b64 s[2:3], s[2:3], 4
	s_movk_i32 s77, 0x240
	s_movk_i32 s78, 0x250
	;; [unrolled: 1-line block ×15, first 2 shown]
	s_wait_kmcnt 0x0
	v_add3_u32 v22, s11, s11, v1
	s_ashr_i32 s13, s10, 31
	s_mov_b32 s12, s10
	s_add_nc_u64 s[2:3], s[8:9], s[2:3]
	s_lshl_b64 s[8:9], s[12:13], 4
	v_add_nc_u32_e32 v24, s11, v22
	s_add_nc_u64 s[8:9], s[2:3], s[8:9]
	s_ashr_i32 s3, s11, 31
	s_mov_b32 s2, s11
	global_load_b128 v[2:5], v22, s[8:9] scale_offset
	v_add_nc_u32_e32 v26, s11, v24
	s_movk_i32 s92, 0x330
	s_movk_i32 s93, 0x340
	;; [unrolled: 1-line block ×4, first 2 shown]
	v_add_nc_u32_e32 v28, s11, v26
	s_movk_i32 s96, 0x370
	s_movk_i32 s97, 0x380
	;; [unrolled: 1-line block ×4, first 2 shown]
	v_add_nc_u32_e32 v30, s11, v28
	global_load_b128 v[6:9], v24, s[8:9] scale_offset
	s_movk_i32 s100, 0x3b0
	s_movk_i32 s101, 0x3c0
	;; [unrolled: 1-line block ×3, first 2 shown]
	v_add_nc_u32_e32 v32, s11, v30
	s_mov_b32 s54, 16
	s_mov_b32 s53, 32
	;; [unrolled: 1-line block ×4, first 2 shown]
	v_add_nc_u32_e32 v34, s11, v32
	s_movk_i32 s75, 0x50
	s_movk_i32 s74, 0x60
	s_movk_i32 s73, 0x70
	s_movk_i32 s72, 0x80
	v_add_nc_u32_e32 v36, s11, v34
	s_movk_i32 s71, 0x90
	s_movk_i32 s70, 0xa0
	s_movk_i32 s56, 0xb0
	s_movk_i32 s58, 0xc0
	;; [unrolled: 5-line block ×3, first 2 shown]
	v_dual_add_nc_u32 v40, s11, v38 :: v_dual_lshlrev_b32 v14, 4, v1
	s_movk_i32 s60, 0x110
	s_movk_i32 s63, 0x120
	;; [unrolled: 1-line block ×3, first 2 shown]
	s_delay_alu instid0(VALU_DEP_1)
	v_add_nc_u32_e32 v42, s11, v40
	s_movk_i32 s68, 0x140
	s_movk_i32 s59, 0x150
	s_movk_i32 s61, 0x160
	s_movk_i32 s64, 0x170
	v_dual_mov_b32 v15, 0 :: v_dual_add_nc_u32 v44, s11, v42
	s_movk_i32 s67, 0x180
	s_movk_i32 s69, 0x190
	;; [unrolled: 1-line block ×3, first 2 shown]
	s_delay_alu instid0(VALU_DEP_1)
	v_add_nc_u32_e32 v46, s11, v44
	v_add_nc_u64_e32 v[18:19], s[8:9], v[14:15]
	s_movk_i32 s44, 0x1b0
	s_movk_i32 s46, 0x1c0
	s_movk_i32 s48, 0x1d0
	v_add_nc_u32_e32 v48, s11, v46
	s_movk_i32 s49, 0x1e0
	s_movk_i32 s43, 0x1f0
	v_lshl_add_u64 v[20:21], s[2:3], 4, v[18:19]
	s_movk_i32 s45, 0x200
	v_add_nc_u32_e32 v50, s11, v48
	s_clause 0x6
	global_load_b128 v[10:13], v1, s[8:9] scale_offset
	global_load_b128 v[120:123], v[20:21], off
	global_load_b128 v[124:127], v26, s[8:9] scale_offset
	global_load_b128 v[128:131], v28, s[8:9] scale_offset
	;; [unrolled: 1-line block ×5, first 2 shown]
	v_add_nc_u32_e32 v52, s11, v50
	s_clause 0x4
	global_load_b128 v[144:147], v36, s[8:9] scale_offset
	global_load_b128 v[148:151], v38, s[8:9] scale_offset
	;; [unrolled: 1-line block ×5, first 2 shown]
	s_movk_i32 s41, 0x210
	s_movk_i32 s42, 0x220
	v_add_nc_u32_e32 v54, s11, v52
	s_clause 0x1
	global_load_b128 v[164:167], v46, s[8:9] scale_offset
	global_load_b128 v[168:171], v48, s[8:9] scale_offset
	s_mov_b32 s39, s50
	s_mov_b32 s40, s77
	;; [unrolled: 1-line block ×3, first 2 shown]
	v_add_nc_u32_e32 v56, s11, v54
	s_mov_b32 s38, s79
	s_mov_b32 s31, s80
	;; [unrolled: 1-line block ×4, first 2 shown]
	v_add_nc_u32_e32 v58, s11, v56
	s_clause 0x2
	global_load_b128 v[172:175], v50, s[8:9] scale_offset
	global_load_b128 v[176:179], v52, s[8:9] scale_offset
	global_load_b128 v[180:183], v54, s[8:9] scale_offset
	s_mov_b32 s29, s83
	s_mov_b32 s24, s84
	s_clause 0x1
	global_load_b128 v[184:187], v56, s[8:9] scale_offset
	global_load_b128 v[188:191], v58, s[8:9] scale_offset
	v_add_nc_u32_e32 v60, s11, v58
	s_mov_b32 s25, s85
	s_mov_b32 s22, s86
	s_mov_b32 s23, s87
	s_mov_b32 s20, s88
	v_add_nc_u32_e32 v62, s11, v60
	s_mov_b32 s21, s89
	s_mov_b32 s14, s90
	s_mov_b32 s15, s91
	s_mov_b32 s12, s92
	;; [unrolled: 5-line block ×4, first 2 shown]
	v_add_nc_u32_e32 v68, s11, v66
	s_mov_b32 s50, s104
	s_bitcmp0_b32 s4, 0
	s_mov_b32 s3, -1
	s_delay_alu instid0(VALU_DEP_1)
	v_add_nc_u32_e32 v70, s11, v68
	s_clause 0x4
	global_load_b128 v[192:195], v60, s[8:9] scale_offset
	global_load_b128 v[196:199], v62, s[8:9] scale_offset
	;; [unrolled: 1-line block ×5, first 2 shown]
	v_add_nc_u32_e32 v72, s11, v70
	s_delay_alu instid0(VALU_DEP_1) | instskip(NEXT) | instid1(VALU_DEP_1)
	v_add_nc_u32_e32 v74, s11, v72
	v_add_nc_u32_e32 v76, s11, v74
	s_delay_alu instid0(VALU_DEP_1)
	v_add_nc_u32_e32 v78, s11, v76
	s_clause 0x1
	global_load_b128 v[212:215], v70, s[8:9] scale_offset
	global_load_b128 v[216:219], v72, s[8:9] scale_offset
	v_add_nc_u32_e32 v82, s11, v78
	global_load_b128 v[220:223], v74, s[8:9] scale_offset
	v_add_nc_u32_e32 v80, s11, v82
	s_delay_alu instid0(VALU_DEP_1)
	v_add_nc_u32_e32 v84, s11, v80
	s_clause 0x2
	global_load_b128 v[224:227], v76, s[8:9] scale_offset
	global_load_b128 v[228:231], v78, s[8:9] scale_offset
	;; [unrolled: 1-line block ×3, first 2 shown]
	v_add_nc_u32_e32 v86, s11, v84
	s_delay_alu instid0(VALU_DEP_1) | instskip(NEXT) | instid1(VALU_DEP_1)
	v_add_nc_u32_e32 v88, s11, v86
	v_add_nc_u32_e32 v90, s11, v88
	s_delay_alu instid0(VALU_DEP_1) | instskip(NEXT) | instid1(VALU_DEP_1)
	v_add_nc_u32_e32 v92, s11, v90
	v_add_nc_u32_e32 v94, s11, v92
	s_clause 0x3
	global_load_b128 v[236:239], v80, s[8:9] scale_offset
	global_load_b128 v[240:243], v84, s[8:9] scale_offset
	;; [unrolled: 1-line block ×4, first 2 shown]
	v_add_nc_u32_e32 v96, s11, v94
	s_delay_alu instid0(VALU_DEP_1) | instskip(NEXT) | instid1(VALU_DEP_1)
	v_add_nc_u32_e32 v98, s11, v96
	v_add_nc_u32_e32 v100, s11, v98
	s_delay_alu instid0(VALU_DEP_1) | instskip(NEXT) | instid1(VALU_DEP_1)
	v_add_nc_u32_e32 v102, s11, v100
	;; [unrolled: 3-line block ×5, first 2 shown]
	v_add_nc_u32_e32 v116, s11, v114
	s_delay_alu instid0(VALU_DEP_1)
	v_add_nc_u32_e32 v118, s11, v116
	s_wait_loadcnt 0x23
	scratch_store_b128 off, v[2:5], off offset:32
	s_clause 0x1
	global_load_b128 v[2:5], v90, s[8:9] scale_offset
	global_load_b128 v[252:255], v92, s[8:9] scale_offset
	s_wait_loadcnt 0x24
	scratch_store_b128 off, v[6:9], off offset:48
	s_wait_loadcnt 0x23
	scratch_store_b128 off, v[10:13], off
	s_wait_loadcnt 0x22
	scratch_store_b128 off, v[120:123], off offset:16
	s_wait_xcnt 0x0
	v_add_nc_u32_e32 v120, s11, v118
	s_clause 0x1
	global_load_b128 v[6:9], v94, s[8:9] scale_offset
	global_load_b128 v[10:13], v96, s[8:9] scale_offset
	s_wait_loadcnt 0x23
	scratch_store_b128 off, v[124:127], off offset:64
	s_wait_loadcnt 0x22
	scratch_store_b128 off, v[128:131], off offset:80
	s_set_vgpr_msb 64                       ;  msbs: dst=1 src0=0 src1=0 src2=0
	s_clause 0x1
	global_load_b128 v[0:3] /*v[256:259]*/, v98, s[8:9] scale_offset
	global_load_b128 v[4:7] /*v[260:263]*/, v100, s[8:9] scale_offset
	s_wait_loadcnt 0x23
	scratch_store_b128 off, v[132:135], off offset:96
	s_set_vgpr_msb 0                        ;  msbs: dst=0 src0=0 src1=0 src2=0
	v_add_nc_u32_e32 v122, s11, v120
	s_wait_loadcnt 0x22
	scratch_store_b128 off, v[136:139], off offset:112
	s_wait_loadcnt 0x21
	scratch_store_b128 off, v[140:143], off offset:128
	s_set_vgpr_msb 64                       ;  msbs: dst=1 src0=0 src1=0 src2=0
	s_clause 0x1
	global_load_b128 v[8:11] /*v[264:267]*/, v102, s[8:9] scale_offset
	global_load_b128 v[12:15] /*v[268:271]*/, v104, s[8:9] scale_offset
	s_wait_loadcnt 0x22
	scratch_store_b128 off, v[144:147], off offset:144
	s_wait_loadcnt 0x21
	scratch_store_b128 off, v[148:151], off offset:160
	s_set_vgpr_msb 0                        ;  msbs: dst=0 src0=0 src1=0 src2=0
	s_clause 0x1
	global_load_b128 v[142:145], v106, s[8:9] scale_offset
	global_load_b128 v[146:149], v108, s[8:9] scale_offset
	v_add_nc_u32_e32 v124, s11, v122
	s_wait_loadcnt 0x22
	scratch_store_b128 off, v[152:155], off offset:176
	s_wait_loadcnt 0x21
	scratch_store_b128 off, v[156:159], off offset:192
	;; [unrolled: 2-line block ×3, first 2 shown]
	s_clause 0x1
	global_load_b128 v[150:153], v110, s[8:9] scale_offset
	global_load_b128 v[154:157], v112, s[8:9] scale_offset
	s_wait_loadcnt 0x21
	scratch_store_b128 off, v[164:167], off offset:224
	s_wait_loadcnt 0x20
	scratch_store_b128 off, v[168:171], off offset:240
	v_add_nc_u32_e32 v126, s11, v124
	s_clause 0x1
	global_load_b128 v[158:161], v114, s[8:9] scale_offset
	global_load_b128 v[162:165], v116, s[8:9] scale_offset
	s_wait_loadcnt 0x21
	scratch_store_b128 off, v[172:175], off offset:256
	s_wait_loadcnt 0x20
	scratch_store_b128 off, v[176:179], off offset:272
	s_wait_loadcnt 0x1f
	scratch_store_b128 off, v[180:183], off offset:288
	s_clause 0x1
	global_load_b128 v[166:169], v118, s[8:9] scale_offset
	global_load_b128 v[170:173], v120, s[8:9] scale_offset
	v_add_nc_u32_e32 v128, s11, v126
	s_wait_loadcnt 0x20
	scratch_store_b128 off, v[184:187], off offset:304
	s_wait_loadcnt 0x1f
	scratch_store_b128 off, v[188:191], off offset:320
	v_add_nc_u32_e32 v130, s11, v128
	s_clause 0x1
	global_load_b128 v[174:177], v122, s[8:9] scale_offset
	global_load_b128 v[178:181], v124, s[8:9] scale_offset
	v_add_nc_u32_e32 v132, s11, v130
	s_delay_alu instid0(VALU_DEP_1) | instskip(NEXT) | instid1(VALU_DEP_1)
	v_add_nc_u32_e32 v134, s11, v132
	v_add_nc_u32_e32 v136, s11, v134
	s_delay_alu instid0(VALU_DEP_1)
	v_add_nc_u32_e32 v138, s11, v136
	s_wait_loadcnt 0x20
	scratch_store_b128 off, v[192:195], off offset:336
	s_wait_loadcnt 0x1f
	scratch_store_b128 off, v[196:199], off offset:352
	;; [unrolled: 2-line block ×3, first 2 shown]
	s_clause 0x1
	global_load_b128 v[182:185], v126, s[8:9] scale_offset
	global_load_b128 v[186:189], v128, s[8:9] scale_offset
	v_add_nc_u32_e32 v140, s11, v138
	s_wait_loadcnt 0x1f
	scratch_store_b128 off, v[204:207], off offset:384
	s_wait_loadcnt 0x1e
	scratch_store_b128 off, v[208:211], off offset:400
	s_clause 0x1
	global_load_b128 v[190:193], v130, s[8:9] scale_offset
	global_load_b128 v[194:197], v132, s[8:9] scale_offset
	s_mov_b32 s11, s95
	s_wait_loadcnt 0x1f
	scratch_store_b128 off, v[212:215], off offset:416
	s_wait_loadcnt 0x1e
	scratch_store_b128 off, v[216:219], off offset:432
	s_clause 0x1
	global_load_b128 v[198:201], v134, s[8:9] scale_offset
	global_load_b128 v[202:205], v136, s[8:9] scale_offset
	s_wait_loadcnt 0x1f
	scratch_store_b128 off, v[220:223], off offset:448
	s_wait_loadcnt 0x1e
	scratch_store_b128 off, v[224:227], off offset:464
	;; [unrolled: 2-line block ×3, first 2 shown]
	s_clause 0x1
	global_load_b128 v[206:209], v138, s[8:9] scale_offset
	global_load_b128 v[210:213], v140, s[8:9] scale_offset
	s_wait_loadcnt 0x1e
	scratch_store_b128 off, v[232:235], off offset:496
	s_wait_loadcnt 0x1d
	scratch_store_b128 off, v[236:239], off offset:512
	s_wait_loadcnt 0x1c
	scratch_store_b128 off, v[240:243], off offset:528
	s_wait_loadcnt 0x1b
	scratch_store_b128 off, v[244:247], off offset:544
	s_wait_loadcnt 0x1a
	scratch_store_b128 off, v[248:251], off offset:560
	s_wait_loadcnt 0x19
	scratch_store_b128 off, v[2:5], off offset:576
	s_wait_loadcnt 0x18
	scratch_store_b128 off, v[252:255], off offset:592
	s_wait_loadcnt 0x17
	scratch_store_b128 off, v[6:9], off offset:608
	s_wait_loadcnt 0x16
	scratch_store_b128 off, v[10:13], off offset:624
	s_wait_loadcnt 0x15
	s_set_vgpr_msb 4                        ;  msbs: dst=0 src0=0 src1=1 src2=0
	scratch_store_b128 off, v[0:3] /*v[256:259]*/, off offset:640
	s_wait_loadcnt 0x14
	scratch_store_b128 off, v[4:7] /*v[260:263]*/, off offset:656
	s_wait_loadcnt 0x13
	;; [unrolled: 2-line block ×4, first 2 shown]
	s_set_vgpr_msb 0                        ;  msbs: dst=0 src0=0 src1=0 src2=0
	scratch_store_b128 off, v[142:145], off offset:704
	s_wait_loadcnt 0x10
	scratch_store_b128 off, v[146:149], off offset:720
	s_wait_loadcnt 0xf
	scratch_store_b128 off, v[150:153], off offset:736
	s_wait_loadcnt 0xe
	scratch_store_b128 off, v[154:157], off offset:752
	s_wait_loadcnt 0xd
	scratch_store_b128 off, v[158:161], off offset:768
	s_wait_loadcnt 0xc
	scratch_store_b128 off, v[162:165], off offset:784
	s_wait_loadcnt 0xb
	scratch_store_b128 off, v[166:169], off offset:800
	s_wait_loadcnt 0xa
	scratch_store_b128 off, v[170:173], off offset:816
	s_wait_loadcnt 0x9
	scratch_store_b128 off, v[174:177], off offset:832
	s_wait_loadcnt 0x8
	scratch_store_b128 off, v[178:181], off offset:848
	s_wait_loadcnt 0x7
	scratch_store_b128 off, v[182:185], off offset:864
	s_wait_loadcnt 0x6
	scratch_store_b128 off, v[186:189], off offset:880
	s_wait_loadcnt 0x5
	scratch_store_b128 off, v[190:193], off offset:896
	s_wait_loadcnt 0x4
	scratch_store_b128 off, v[194:197], off offset:912
	s_wait_loadcnt 0x3
	scratch_store_b128 off, v[198:201], off offset:928
	s_wait_loadcnt 0x2
	scratch_store_b128 off, v[202:205], off offset:944
	s_wait_loadcnt 0x1
	scratch_store_b128 off, v[206:209], off offset:960
	s_wait_loadcnt 0x0
	scratch_store_b128 off, v[210:213], off offset:976
	s_cbranch_scc1 .LBB61_272
; %bb.4:
	v_cmp_eq_u32_e64 s2, 0, v1
	s_wait_xcnt 0x0
	s_and_saveexec_b32 s3, s2
; %bb.5:
	v_mov_b32_e32 v2, 0
	ds_store_b32 v2, v2 offset:1984
; %bb.6:
	s_or_b32 exec_lo, exec_lo, s3
	s_wait_storecnt_dscnt 0x0
	s_barrier_signal -1
	s_barrier_wait -1
	scratch_load_b128 v[2:5], v1, off scale_offset
	s_wait_loadcnt 0x0
	v_cmp_eq_f64_e32 vcc_lo, 0, v[2:3]
	v_cmp_eq_f64_e64 s3, 0, v[4:5]
	s_and_b32 s3, vcc_lo, s3
	s_delay_alu instid0(SALU_CYCLE_1)
	s_and_saveexec_b32 s4, s3
	s_cbranch_execz .LBB61_10
; %bb.7:
	v_mov_b32_e32 v2, 0
	s_mov_b32 s5, 0
	ds_load_b32 v3, v2 offset:1984
	s_wait_dscnt 0x0
	v_readfirstlane_b32 s3, v3
	v_add_nc_u32_e32 v3, 1, v1
	s_cmp_eq_u32 s3, 0
	s_delay_alu instid0(VALU_DEP_1) | instskip(SKIP_1) | instid1(SALU_CYCLE_1)
	v_cmp_gt_i32_e32 vcc_lo, s3, v3
	s_cselect_b32 s77, -1, 0
	s_or_b32 s77, s77, vcc_lo
	s_delay_alu instid0(SALU_CYCLE_1)
	s_and_b32 exec_lo, exec_lo, s77
	s_cbranch_execz .LBB61_10
; %bb.8:
	v_mov_b32_e32 v4, s3
.LBB61_9:                               ; =>This Inner Loop Header: Depth=1
	ds_cmpstore_rtn_b32 v4, v2, v3, v4 offset:1984
	s_wait_dscnt 0x0
	v_cmp_ne_u32_e32 vcc_lo, 0, v4
	v_cmp_le_i32_e64 s3, v4, v3
	s_and_b32 s3, vcc_lo, s3
	s_delay_alu instid0(SALU_CYCLE_1) | instskip(NEXT) | instid1(SALU_CYCLE_1)
	s_and_b32 s3, exec_lo, s3
	s_or_b32 s5, s3, s5
	s_delay_alu instid0(SALU_CYCLE_1)
	s_and_not1_b32 exec_lo, exec_lo, s5
	s_cbranch_execnz .LBB61_9
.LBB61_10:
	s_or_b32 exec_lo, exec_lo, s4
	v_mov_b32_e32 v2, 0
	s_barrier_signal -1
	s_barrier_wait -1
	ds_load_b32 v3, v2 offset:1984
	s_and_saveexec_b32 s3, s2
	s_cbranch_execz .LBB61_12
; %bb.11:
	s_lshl_b64 s[4:5], s[18:19], 2
	s_delay_alu instid0(SALU_CYCLE_1)
	s_add_nc_u64 s[4:5], s[6:7], s[4:5]
	s_wait_dscnt 0x0
	global_store_b32 v2, v3, s[4:5]
.LBB61_12:
	s_wait_xcnt 0x0
	s_or_b32 exec_lo, exec_lo, s3
	s_wait_dscnt 0x0
	v_cmp_ne_u32_e32 vcc_lo, 0, v3
	s_mov_b32 s3, 0
	s_cbranch_vccnz .LBB61_272
; %bb.13:
	v_lshl_add_u32 v15, v1, 4, 0
                                        ; implicit-def: $vgpr6_vgpr7
                                        ; implicit-def: $vgpr10_vgpr11
	scratch_load_b128 v[2:5], v15, off
	s_wait_loadcnt 0x0
	v_cmp_ngt_f64_e64 s3, |v[2:3]|, |v[4:5]|
	s_wait_xcnt 0x0
	s_and_saveexec_b32 s4, s3
	s_delay_alu instid0(SALU_CYCLE_1)
	s_xor_b32 s3, exec_lo, s4
	s_cbranch_execz .LBB61_15
; %bb.14:
	v_div_scale_f64 v[6:7], null, v[4:5], v[4:5], v[2:3]
	v_div_scale_f64 v[12:13], vcc_lo, v[2:3], v[4:5], v[2:3]
	s_delay_alu instid0(VALU_DEP_2) | instskip(SKIP_1) | instid1(TRANS32_DEP_1)
	v_rcp_f64_e32 v[8:9], v[6:7]
	v_nop
	v_fma_f64 v[10:11], -v[6:7], v[8:9], 1.0
	s_delay_alu instid0(VALU_DEP_1) | instskip(NEXT) | instid1(VALU_DEP_1)
	v_fmac_f64_e32 v[8:9], v[8:9], v[10:11]
	v_fma_f64 v[10:11], -v[6:7], v[8:9], 1.0
	s_delay_alu instid0(VALU_DEP_1) | instskip(NEXT) | instid1(VALU_DEP_1)
	v_fmac_f64_e32 v[8:9], v[8:9], v[10:11]
	v_mul_f64_e32 v[10:11], v[12:13], v[8:9]
	s_delay_alu instid0(VALU_DEP_1) | instskip(NEXT) | instid1(VALU_DEP_1)
	v_fma_f64 v[6:7], -v[6:7], v[10:11], v[12:13]
	v_div_fmas_f64 v[6:7], v[6:7], v[8:9], v[10:11]
	s_delay_alu instid0(VALU_DEP_1) | instskip(NEXT) | instid1(VALU_DEP_1)
	v_div_fixup_f64 v[6:7], v[6:7], v[4:5], v[2:3]
	v_fmac_f64_e32 v[4:5], v[2:3], v[6:7]
	s_delay_alu instid0(VALU_DEP_1) | instskip(SKIP_1) | instid1(VALU_DEP_2)
	v_div_scale_f64 v[2:3], null, v[4:5], v[4:5], 1.0
	v_div_scale_f64 v[12:13], vcc_lo, 1.0, v[4:5], 1.0
	v_rcp_f64_e32 v[8:9], v[2:3]
	v_nop
	s_delay_alu instid0(TRANS32_DEP_1) | instskip(NEXT) | instid1(VALU_DEP_1)
	v_fma_f64 v[10:11], -v[2:3], v[8:9], 1.0
	v_fmac_f64_e32 v[8:9], v[8:9], v[10:11]
	s_delay_alu instid0(VALU_DEP_1) | instskip(NEXT) | instid1(VALU_DEP_1)
	v_fma_f64 v[10:11], -v[2:3], v[8:9], 1.0
	v_fmac_f64_e32 v[8:9], v[8:9], v[10:11]
	s_delay_alu instid0(VALU_DEP_1) | instskip(NEXT) | instid1(VALU_DEP_1)
	v_mul_f64_e32 v[10:11], v[12:13], v[8:9]
	v_fma_f64 v[2:3], -v[2:3], v[10:11], v[12:13]
	s_delay_alu instid0(VALU_DEP_1) | instskip(NEXT) | instid1(VALU_DEP_1)
	v_div_fmas_f64 v[2:3], v[2:3], v[8:9], v[10:11]
	v_div_fixup_f64 v[8:9], v[2:3], v[4:5], 1.0
                                        ; implicit-def: $vgpr2_vgpr3
	s_delay_alu instid0(VALU_DEP_1) | instskip(SKIP_1) | instid1(VALU_DEP_2)
	v_mul_f64_e32 v[6:7], v[6:7], v[8:9]
	v_xor_b32_e32 v9, 0x80000000, v9
	v_xor_b32_e32 v11, 0x80000000, v7
	s_delay_alu instid0(VALU_DEP_3)
	v_mov_b32_e32 v10, v6
.LBB61_15:
	s_and_not1_saveexec_b32 s3, s3
	s_cbranch_execz .LBB61_17
; %bb.16:
	v_div_scale_f64 v[6:7], null, v[2:3], v[2:3], v[4:5]
	v_div_scale_f64 v[12:13], vcc_lo, v[4:5], v[2:3], v[4:5]
	s_delay_alu instid0(VALU_DEP_2) | instskip(SKIP_1) | instid1(TRANS32_DEP_1)
	v_rcp_f64_e32 v[8:9], v[6:7]
	v_nop
	v_fma_f64 v[10:11], -v[6:7], v[8:9], 1.0
	s_delay_alu instid0(VALU_DEP_1) | instskip(NEXT) | instid1(VALU_DEP_1)
	v_fmac_f64_e32 v[8:9], v[8:9], v[10:11]
	v_fma_f64 v[10:11], -v[6:7], v[8:9], 1.0
	s_delay_alu instid0(VALU_DEP_1) | instskip(NEXT) | instid1(VALU_DEP_1)
	v_fmac_f64_e32 v[8:9], v[8:9], v[10:11]
	v_mul_f64_e32 v[10:11], v[12:13], v[8:9]
	s_delay_alu instid0(VALU_DEP_1) | instskip(NEXT) | instid1(VALU_DEP_1)
	v_fma_f64 v[6:7], -v[6:7], v[10:11], v[12:13]
	v_div_fmas_f64 v[6:7], v[6:7], v[8:9], v[10:11]
	s_delay_alu instid0(VALU_DEP_1) | instskip(NEXT) | instid1(VALU_DEP_1)
	v_div_fixup_f64 v[8:9], v[6:7], v[2:3], v[4:5]
	v_fmac_f64_e32 v[2:3], v[4:5], v[8:9]
	s_delay_alu instid0(VALU_DEP_1) | instskip(NEXT) | instid1(VALU_DEP_1)
	v_div_scale_f64 v[4:5], null, v[2:3], v[2:3], 1.0
	v_rcp_f64_e32 v[6:7], v[4:5]
	v_nop
	s_delay_alu instid0(TRANS32_DEP_1) | instskip(NEXT) | instid1(VALU_DEP_1)
	v_fma_f64 v[10:11], -v[4:5], v[6:7], 1.0
	v_fmac_f64_e32 v[6:7], v[6:7], v[10:11]
	s_delay_alu instid0(VALU_DEP_1) | instskip(NEXT) | instid1(VALU_DEP_1)
	v_fma_f64 v[10:11], -v[4:5], v[6:7], 1.0
	v_fmac_f64_e32 v[6:7], v[6:7], v[10:11]
	v_div_scale_f64 v[10:11], vcc_lo, 1.0, v[2:3], 1.0
	s_delay_alu instid0(VALU_DEP_1) | instskip(NEXT) | instid1(VALU_DEP_1)
	v_mul_f64_e32 v[12:13], v[10:11], v[6:7]
	v_fma_f64 v[4:5], -v[4:5], v[12:13], v[10:11]
	s_delay_alu instid0(VALU_DEP_1) | instskip(NEXT) | instid1(VALU_DEP_1)
	v_div_fmas_f64 v[4:5], v[4:5], v[6:7], v[12:13]
	v_div_fixup_f64 v[6:7], v[4:5], v[2:3], 1.0
	s_delay_alu instid0(VALU_DEP_1)
	v_mul_f64_e64 v[8:9], v[8:9], -v[6:7]
	v_xor_b32_e32 v11, 0x80000000, v7
	v_mov_b32_e32 v10, v6
.LBB61_17:
	s_or_b32 exec_lo, exec_lo, s3
	s_clause 0x1
	scratch_store_b128 v15, v[6:9], off
	scratch_load_b128 v[2:5], off, s54
	v_xor_b32_e32 v13, 0x80000000, v9
	v_mov_b32_e32 v12, v8
	s_wait_xcnt 0x1
	v_add_nc_u32_e32 v6, 0x3e0, v14
	ds_store_b128 v14, v[10:13]
	s_wait_loadcnt 0x0
	ds_store_b128 v14, v[2:5] offset:992
	s_wait_storecnt_dscnt 0x0
	s_barrier_signal -1
	s_barrier_wait -1
	s_wait_xcnt 0x0
	s_and_saveexec_b32 s3, s2
	s_cbranch_execz .LBB61_19
; %bb.18:
	scratch_load_b128 v[2:5], v15, off
	ds_load_b128 v[8:11], v6
	v_mov_b32_e32 v7, 0
	ds_load_b128 v[142:145], v7 offset:16
	s_wait_loadcnt_dscnt 0x1
	v_mul_f64_e32 v[12:13], v[8:9], v[4:5]
	v_mul_f64_e32 v[4:5], v[10:11], v[4:5]
	s_delay_alu instid0(VALU_DEP_2) | instskip(NEXT) | instid1(VALU_DEP_2)
	v_fmac_f64_e32 v[12:13], v[10:11], v[2:3]
	v_fma_f64 v[2:3], v[8:9], v[2:3], -v[4:5]
	s_delay_alu instid0(VALU_DEP_2) | instskip(NEXT) | instid1(VALU_DEP_2)
	v_add_f64_e32 v[8:9], 0, v[12:13]
	v_add_f64_e32 v[2:3], 0, v[2:3]
	s_wait_dscnt 0x0
	s_delay_alu instid0(VALU_DEP_2) | instskip(NEXT) | instid1(VALU_DEP_2)
	v_mul_f64_e32 v[10:11], v[8:9], v[144:145]
	v_mul_f64_e32 v[4:5], v[2:3], v[144:145]
	s_delay_alu instid0(VALU_DEP_2) | instskip(NEXT) | instid1(VALU_DEP_2)
	v_fma_f64 v[2:3], v[2:3], v[142:143], -v[10:11]
	v_fmac_f64_e32 v[4:5], v[8:9], v[142:143]
	scratch_store_b128 off, v[2:5], off offset:16
.LBB61_19:
	s_wait_xcnt 0x0
	s_or_b32 exec_lo, exec_lo, s3
	s_wait_storecnt 0x0
	s_barrier_signal -1
	s_barrier_wait -1
	scratch_load_b128 v[2:5], off, s53
	v_cmp_gt_u32_e32 vcc_lo, 2, v1
	s_wait_loadcnt 0x0
	ds_store_b128 v6, v[2:5]
	s_wait_dscnt 0x0
	s_barrier_signal -1
	s_barrier_wait -1
	s_and_saveexec_b32 s3, vcc_lo
	s_cbranch_execz .LBB61_23
; %bb.20:
	scratch_load_b128 v[2:5], v15, off
	ds_load_b128 v[8:11], v6
	s_wait_loadcnt_dscnt 0x0
	v_mul_f64_e32 v[12:13], v[10:11], v[4:5]
	v_mul_f64_e32 v[16:17], v[8:9], v[4:5]
	s_delay_alu instid0(VALU_DEP_2) | instskip(NEXT) | instid1(VALU_DEP_2)
	v_fma_f64 v[4:5], v[8:9], v[2:3], -v[12:13]
	v_fmac_f64_e32 v[16:17], v[10:11], v[2:3]
	s_delay_alu instid0(VALU_DEP_2) | instskip(NEXT) | instid1(VALU_DEP_2)
	v_add_f64_e32 v[4:5], 0, v[4:5]
	v_add_f64_e32 v[2:3], 0, v[16:17]
	s_and_saveexec_b32 s4, s2
	s_cbranch_execz .LBB61_22
; %bb.21:
	scratch_load_b128 v[8:11], off, off offset:16
	v_mov_b32_e32 v7, 0
	ds_load_b128 v[142:145], v7 offset:1008
	s_wait_loadcnt_dscnt 0x0
	v_mul_f64_e32 v[12:13], v[142:143], v[10:11]
	v_mul_f64_e32 v[10:11], v[144:145], v[10:11]
	s_delay_alu instid0(VALU_DEP_2) | instskip(NEXT) | instid1(VALU_DEP_2)
	v_fmac_f64_e32 v[12:13], v[144:145], v[8:9]
	v_fma_f64 v[8:9], v[142:143], v[8:9], -v[10:11]
	s_delay_alu instid0(VALU_DEP_2) | instskip(NEXT) | instid1(VALU_DEP_2)
	v_add_f64_e32 v[2:3], v[2:3], v[12:13]
	v_add_f64_e32 v[4:5], v[4:5], v[8:9]
.LBB61_22:
	s_or_b32 exec_lo, exec_lo, s4
	v_mov_b32_e32 v7, 0
	ds_load_b128 v[8:11], v7 offset:32
	s_wait_dscnt 0x0
	v_mul_f64_e32 v[16:17], v[2:3], v[10:11]
	v_mul_f64_e32 v[12:13], v[4:5], v[10:11]
	s_delay_alu instid0(VALU_DEP_2) | instskip(NEXT) | instid1(VALU_DEP_2)
	v_fma_f64 v[10:11], v[4:5], v[8:9], -v[16:17]
	v_fmac_f64_e32 v[12:13], v[2:3], v[8:9]
	scratch_store_b128 off, v[10:13], off offset:32
.LBB61_23:
	s_wait_xcnt 0x0
	s_or_b32 exec_lo, exec_lo, s3
	s_wait_storecnt 0x0
	s_barrier_signal -1
	s_barrier_wait -1
	scratch_load_b128 v[2:5], off, s52
	v_add_nc_u32_e32 v7, -1, v1
	s_mov_b32 s4, exec_lo
	s_wait_loadcnt 0x0
	ds_store_b128 v6, v[2:5]
	s_wait_dscnt 0x0
	s_barrier_signal -1
	s_barrier_wait -1
	v_cmpx_gt_u32_e32 3, v1
	s_cbranch_execz .LBB61_27
; %bb.24:
	v_dual_mov_b32 v10, v14 :: v_dual_add_nc_u32 v8, -1, v1
	v_mov_b64_e32 v[2:3], 0
	v_mov_b64_e32 v[4:5], 0
	v_add_nc_u32_e32 v9, 0x3e0, v14
	s_delay_alu instid0(VALU_DEP_4)
	v_or_b32_e32 v10, 8, v10
	s_mov_b32 s5, 0
.LBB61_25:                              ; =>This Inner Loop Header: Depth=1
	scratch_load_b128 v[142:145], v10, off offset:-8
	ds_load_b128 v[146:149], v9
	s_wait_xcnt 0x0
	v_dual_add_nc_u32 v9, 16, v9 :: v_dual_add_nc_u32 v10, 16, v10
	v_add_nc_u32_e32 v8, 1, v8
	s_delay_alu instid0(VALU_DEP_1) | instskip(SKIP_4) | instid1(VALU_DEP_2)
	v_cmp_lt_u32_e64 s3, 1, v8
	s_or_b32 s5, s3, s5
	s_wait_loadcnt_dscnt 0x0
	v_mul_f64_e32 v[12:13], v[148:149], v[144:145]
	v_mul_f64_e32 v[16:17], v[146:147], v[144:145]
	v_fma_f64 v[12:13], v[146:147], v[142:143], -v[12:13]
	s_delay_alu instid0(VALU_DEP_2) | instskip(NEXT) | instid1(VALU_DEP_2)
	v_fmac_f64_e32 v[16:17], v[148:149], v[142:143]
	v_add_f64_e32 v[4:5], v[4:5], v[12:13]
	s_delay_alu instid0(VALU_DEP_2)
	v_add_f64_e32 v[2:3], v[2:3], v[16:17]
	s_and_not1_b32 exec_lo, exec_lo, s5
	s_cbranch_execnz .LBB61_25
; %bb.26:
	s_or_b32 exec_lo, exec_lo, s5
	v_mov_b32_e32 v8, 0
	ds_load_b128 v[8:11], v8 offset:48
	s_wait_dscnt 0x0
	v_mul_f64_e32 v[16:17], v[2:3], v[10:11]
	v_mul_f64_e32 v[12:13], v[4:5], v[10:11]
	s_delay_alu instid0(VALU_DEP_2) | instskip(NEXT) | instid1(VALU_DEP_2)
	v_fma_f64 v[10:11], v[4:5], v[8:9], -v[16:17]
	v_fmac_f64_e32 v[12:13], v[2:3], v[8:9]
	scratch_store_b128 off, v[10:13], off offset:48
.LBB61_27:
	s_wait_xcnt 0x0
	s_or_b32 exec_lo, exec_lo, s4
	s_wait_storecnt 0x0
	s_barrier_signal -1
	s_barrier_wait -1
	scratch_load_b128 v[2:5], off, s51
	v_cmp_gt_u32_e64 s3, 4, v1
	s_wait_loadcnt 0x0
	ds_store_b128 v6, v[2:5]
	s_wait_dscnt 0x0
	s_barrier_signal -1
	s_barrier_wait -1
	s_and_saveexec_b32 s5, s3
	s_cbranch_execz .LBB61_31
; %bb.28:
	v_dual_mov_b32 v10, v14 :: v_dual_add_nc_u32 v8, -1, v1
	v_mov_b64_e32 v[2:3], 0
	v_mov_b64_e32 v[4:5], 0
	v_add_nc_u32_e32 v9, 0x3e0, v14
	s_delay_alu instid0(VALU_DEP_4)
	v_or_b32_e32 v10, 8, v10
	s_mov_b32 s77, 0
.LBB61_29:                              ; =>This Inner Loop Header: Depth=1
	scratch_load_b128 v[142:145], v10, off offset:-8
	ds_load_b128 v[146:149], v9
	s_wait_xcnt 0x0
	v_dual_add_nc_u32 v9, 16, v9 :: v_dual_add_nc_u32 v10, 16, v10
	v_add_nc_u32_e32 v8, 1, v8
	s_delay_alu instid0(VALU_DEP_1) | instskip(SKIP_4) | instid1(VALU_DEP_2)
	v_cmp_lt_u32_e64 s4, 2, v8
	s_or_b32 s77, s4, s77
	s_wait_loadcnt_dscnt 0x0
	v_mul_f64_e32 v[12:13], v[148:149], v[144:145]
	v_mul_f64_e32 v[16:17], v[146:147], v[144:145]
	v_fma_f64 v[12:13], v[146:147], v[142:143], -v[12:13]
	s_delay_alu instid0(VALU_DEP_2) | instskip(NEXT) | instid1(VALU_DEP_2)
	v_fmac_f64_e32 v[16:17], v[148:149], v[142:143]
	v_add_f64_e32 v[4:5], v[4:5], v[12:13]
	s_delay_alu instid0(VALU_DEP_2)
	v_add_f64_e32 v[2:3], v[2:3], v[16:17]
	s_and_not1_b32 exec_lo, exec_lo, s77
	s_cbranch_execnz .LBB61_29
; %bb.30:
	s_or_b32 exec_lo, exec_lo, s77
	v_mov_b32_e32 v8, 0
	ds_load_b128 v[8:11], v8 offset:64
	s_wait_dscnt 0x0
	v_mul_f64_e32 v[16:17], v[2:3], v[10:11]
	v_mul_f64_e32 v[12:13], v[4:5], v[10:11]
	s_delay_alu instid0(VALU_DEP_2) | instskip(NEXT) | instid1(VALU_DEP_2)
	v_fma_f64 v[10:11], v[4:5], v[8:9], -v[16:17]
	v_fmac_f64_e32 v[12:13], v[2:3], v[8:9]
	scratch_store_b128 off, v[10:13], off offset:64
.LBB61_31:
	s_wait_xcnt 0x0
	s_or_b32 exec_lo, exec_lo, s5
	s_wait_storecnt 0x0
	s_barrier_signal -1
	s_barrier_wait -1
	scratch_load_b128 v[2:5], off, s75
	s_mov_b32 s5, exec_lo
	s_wait_loadcnt 0x0
	ds_store_b128 v6, v[2:5]
	s_wait_dscnt 0x0
	s_barrier_signal -1
	s_barrier_wait -1
	v_cmpx_gt_u32_e32 5, v1
	s_cbranch_execz .LBB61_35
; %bb.32:
	v_dual_mov_b32 v10, v14 :: v_dual_add_nc_u32 v8, -1, v1
	v_mov_b64_e32 v[2:3], 0
	v_mov_b64_e32 v[4:5], 0
	v_add_nc_u32_e32 v9, 0x3e0, v14
	s_delay_alu instid0(VALU_DEP_4)
	v_or_b32_e32 v10, 8, v10
	s_mov_b32 s77, 0
.LBB61_33:                              ; =>This Inner Loop Header: Depth=1
	scratch_load_b128 v[142:145], v10, off offset:-8
	ds_load_b128 v[146:149], v9
	s_wait_xcnt 0x0
	v_dual_add_nc_u32 v9, 16, v9 :: v_dual_add_nc_u32 v10, 16, v10
	v_add_nc_u32_e32 v8, 1, v8
	s_delay_alu instid0(VALU_DEP_1) | instskip(SKIP_4) | instid1(VALU_DEP_2)
	v_cmp_lt_u32_e64 s4, 3, v8
	s_or_b32 s77, s4, s77
	s_wait_loadcnt_dscnt 0x0
	v_mul_f64_e32 v[12:13], v[148:149], v[144:145]
	v_mul_f64_e32 v[16:17], v[146:147], v[144:145]
	v_fma_f64 v[12:13], v[146:147], v[142:143], -v[12:13]
	s_delay_alu instid0(VALU_DEP_2) | instskip(NEXT) | instid1(VALU_DEP_2)
	v_fmac_f64_e32 v[16:17], v[148:149], v[142:143]
	v_add_f64_e32 v[4:5], v[4:5], v[12:13]
	s_delay_alu instid0(VALU_DEP_2)
	v_add_f64_e32 v[2:3], v[2:3], v[16:17]
	s_and_not1_b32 exec_lo, exec_lo, s77
	s_cbranch_execnz .LBB61_33
; %bb.34:
	s_or_b32 exec_lo, exec_lo, s77
	v_mov_b32_e32 v8, 0
	ds_load_b128 v[8:11], v8 offset:80
	s_wait_dscnt 0x0
	v_mul_f64_e32 v[16:17], v[2:3], v[10:11]
	v_mul_f64_e32 v[12:13], v[4:5], v[10:11]
	s_delay_alu instid0(VALU_DEP_2) | instskip(NEXT) | instid1(VALU_DEP_2)
	v_fma_f64 v[10:11], v[4:5], v[8:9], -v[16:17]
	v_fmac_f64_e32 v[12:13], v[2:3], v[8:9]
	scratch_store_b128 off, v[10:13], off offset:80
.LBB61_35:
	s_wait_xcnt 0x0
	s_or_b32 exec_lo, exec_lo, s5
	s_wait_storecnt 0x0
	s_barrier_signal -1
	s_barrier_wait -1
	scratch_load_b128 v[2:5], off, s74
	v_cmp_gt_u32_e64 s4, 6, v1
	s_wait_loadcnt 0x0
	ds_store_b128 v6, v[2:5]
	s_wait_dscnt 0x0
	s_barrier_signal -1
	s_barrier_wait -1
	s_and_saveexec_b32 s77, s4
	s_cbranch_execz .LBB61_39
; %bb.36:
	v_dual_mov_b32 v10, v14 :: v_dual_add_nc_u32 v8, -1, v1
	v_mov_b64_e32 v[2:3], 0
	v_mov_b64_e32 v[4:5], 0
	v_add_nc_u32_e32 v9, 0x3e0, v14
	s_delay_alu instid0(VALU_DEP_4)
	v_or_b32_e32 v10, 8, v10
	s_mov_b32 s78, 0
.LBB61_37:                              ; =>This Inner Loop Header: Depth=1
	scratch_load_b128 v[142:145], v10, off offset:-8
	ds_load_b128 v[146:149], v9
	s_wait_xcnt 0x0
	v_dual_add_nc_u32 v9, 16, v9 :: v_dual_add_nc_u32 v10, 16, v10
	v_add_nc_u32_e32 v8, 1, v8
	s_delay_alu instid0(VALU_DEP_1) | instskip(SKIP_4) | instid1(VALU_DEP_2)
	v_cmp_lt_u32_e64 s5, 4, v8
	s_or_b32 s78, s5, s78
	s_wait_loadcnt_dscnt 0x0
	v_mul_f64_e32 v[12:13], v[148:149], v[144:145]
	v_mul_f64_e32 v[16:17], v[146:147], v[144:145]
	v_fma_f64 v[12:13], v[146:147], v[142:143], -v[12:13]
	s_delay_alu instid0(VALU_DEP_2) | instskip(NEXT) | instid1(VALU_DEP_2)
	v_fmac_f64_e32 v[16:17], v[148:149], v[142:143]
	v_add_f64_e32 v[4:5], v[4:5], v[12:13]
	s_delay_alu instid0(VALU_DEP_2)
	v_add_f64_e32 v[2:3], v[2:3], v[16:17]
	s_and_not1_b32 exec_lo, exec_lo, s78
	s_cbranch_execnz .LBB61_37
; %bb.38:
	s_or_b32 exec_lo, exec_lo, s78
	v_mov_b32_e32 v8, 0
	ds_load_b128 v[8:11], v8 offset:96
	s_wait_dscnt 0x0
	v_mul_f64_e32 v[16:17], v[2:3], v[10:11]
	v_mul_f64_e32 v[12:13], v[4:5], v[10:11]
	s_delay_alu instid0(VALU_DEP_2) | instskip(NEXT) | instid1(VALU_DEP_2)
	v_fma_f64 v[10:11], v[4:5], v[8:9], -v[16:17]
	v_fmac_f64_e32 v[12:13], v[2:3], v[8:9]
	scratch_store_b128 off, v[10:13], off offset:96
.LBB61_39:
	s_wait_xcnt 0x0
	s_or_b32 exec_lo, exec_lo, s77
	s_wait_storecnt 0x0
	s_barrier_signal -1
	s_barrier_wait -1
	scratch_load_b128 v[2:5], off, s73
	s_mov_b32 s77, exec_lo
	s_wait_loadcnt 0x0
	ds_store_b128 v6, v[2:5]
	s_wait_dscnt 0x0
	s_barrier_signal -1
	s_barrier_wait -1
	v_cmpx_gt_u32_e32 7, v1
	s_cbranch_execz .LBB61_43
; %bb.40:
	v_dual_mov_b32 v10, v14 :: v_dual_add_nc_u32 v8, -1, v1
	v_mov_b64_e32 v[2:3], 0
	v_mov_b64_e32 v[4:5], 0
	v_add_nc_u32_e32 v9, 0x3e0, v14
	s_delay_alu instid0(VALU_DEP_4)
	v_or_b32_e32 v10, 8, v10
	s_mov_b32 s78, 0
.LBB61_41:                              ; =>This Inner Loop Header: Depth=1
	scratch_load_b128 v[142:145], v10, off offset:-8
	ds_load_b128 v[146:149], v9
	s_wait_xcnt 0x0
	v_dual_add_nc_u32 v9, 16, v9 :: v_dual_add_nc_u32 v10, 16, v10
	v_add_nc_u32_e32 v8, 1, v8
	s_delay_alu instid0(VALU_DEP_1) | instskip(SKIP_4) | instid1(VALU_DEP_2)
	v_cmp_lt_u32_e64 s5, 5, v8
	s_or_b32 s78, s5, s78
	s_wait_loadcnt_dscnt 0x0
	v_mul_f64_e32 v[12:13], v[148:149], v[144:145]
	v_mul_f64_e32 v[16:17], v[146:147], v[144:145]
	v_fma_f64 v[12:13], v[146:147], v[142:143], -v[12:13]
	s_delay_alu instid0(VALU_DEP_2) | instskip(NEXT) | instid1(VALU_DEP_2)
	v_fmac_f64_e32 v[16:17], v[148:149], v[142:143]
	v_add_f64_e32 v[4:5], v[4:5], v[12:13]
	s_delay_alu instid0(VALU_DEP_2)
	v_add_f64_e32 v[2:3], v[2:3], v[16:17]
	s_and_not1_b32 exec_lo, exec_lo, s78
	s_cbranch_execnz .LBB61_41
; %bb.42:
	s_or_b32 exec_lo, exec_lo, s78
	v_mov_b32_e32 v8, 0
	ds_load_b128 v[8:11], v8 offset:112
	s_wait_dscnt 0x0
	v_mul_f64_e32 v[16:17], v[2:3], v[10:11]
	v_mul_f64_e32 v[12:13], v[4:5], v[10:11]
	s_delay_alu instid0(VALU_DEP_2) | instskip(NEXT) | instid1(VALU_DEP_2)
	v_fma_f64 v[10:11], v[4:5], v[8:9], -v[16:17]
	v_fmac_f64_e32 v[12:13], v[2:3], v[8:9]
	scratch_store_b128 off, v[10:13], off offset:112
.LBB61_43:
	s_wait_xcnt 0x0
	s_or_b32 exec_lo, exec_lo, s77
	s_wait_storecnt 0x0
	s_barrier_signal -1
	s_barrier_wait -1
	scratch_load_b128 v[2:5], off, s72
	s_mov_b32 s77, exec_lo
	s_wait_loadcnt 0x0
	ds_store_b128 v6, v[2:5]
	s_wait_dscnt 0x0
	s_barrier_signal -1
	s_barrier_wait -1
	v_cmpx_gt_u32_e32 8, v1
	s_cbranch_execz .LBB61_59
; %bb.44:
	scratch_load_b128 v[2:5], v15, off
	ds_load_b128 v[8:11], v6
	s_mov_b32 s78, exec_lo
	s_wait_loadcnt_dscnt 0x0
	v_mul_f64_e32 v[12:13], v[10:11], v[4:5]
	v_mul_f64_e32 v[16:17], v[8:9], v[4:5]
	s_delay_alu instid0(VALU_DEP_2) | instskip(NEXT) | instid1(VALU_DEP_2)
	v_fma_f64 v[4:5], v[8:9], v[2:3], -v[12:13]
	v_fmac_f64_e32 v[16:17], v[10:11], v[2:3]
	s_delay_alu instid0(VALU_DEP_2) | instskip(NEXT) | instid1(VALU_DEP_2)
	v_add_f64_e32 v[4:5], 0, v[4:5]
	v_add_f64_e32 v[2:3], 0, v[16:17]
	v_cmpx_ne_u32_e32 7, v1
	s_cbranch_execz .LBB61_58
; %bb.45:
	scratch_load_b128 v[8:11], v15, off offset:16
	ds_load_b128 v[142:145], v6 offset:16
	s_wait_loadcnt_dscnt 0x0
	v_mul_f64_e32 v[12:13], v[144:145], v[10:11]
	v_mul_f64_e32 v[10:11], v[142:143], v[10:11]
	s_delay_alu instid0(VALU_DEP_2) | instskip(NEXT) | instid1(VALU_DEP_2)
	v_fma_f64 v[12:13], v[142:143], v[8:9], -v[12:13]
	v_fmac_f64_e32 v[10:11], v[144:145], v[8:9]
	s_delay_alu instid0(VALU_DEP_2) | instskip(NEXT) | instid1(VALU_DEP_2)
	v_add_f64_e32 v[4:5], v[4:5], v[12:13]
	v_add_f64_e32 v[2:3], v[2:3], v[10:11]
	s_and_saveexec_b32 s5, s4
	s_cbranch_execz .LBB61_57
; %bb.46:
	scratch_load_b128 v[8:11], v15, off offset:32
	ds_load_b128 v[142:145], v6 offset:32
	s_mov_b32 s79, exec_lo
	s_wait_loadcnt_dscnt 0x0
	v_mul_f64_e32 v[12:13], v[144:145], v[10:11]
	v_mul_f64_e32 v[10:11], v[142:143], v[10:11]
	s_delay_alu instid0(VALU_DEP_2) | instskip(NEXT) | instid1(VALU_DEP_2)
	v_fma_f64 v[12:13], v[142:143], v[8:9], -v[12:13]
	v_fmac_f64_e32 v[10:11], v[144:145], v[8:9]
	s_delay_alu instid0(VALU_DEP_2) | instskip(NEXT) | instid1(VALU_DEP_2)
	v_add_f64_e32 v[4:5], v[4:5], v[12:13]
	v_add_f64_e32 v[2:3], v[2:3], v[10:11]
	v_cmpx_ne_u32_e32 5, v1
	s_cbranch_execz .LBB61_56
; %bb.47:
	scratch_load_b128 v[8:11], v15, off offset:48
	ds_load_b128 v[142:145], v6 offset:48
	s_wait_loadcnt_dscnt 0x0
	v_mul_f64_e32 v[12:13], v[144:145], v[10:11]
	v_mul_f64_e32 v[10:11], v[142:143], v[10:11]
	s_delay_alu instid0(VALU_DEP_2) | instskip(NEXT) | instid1(VALU_DEP_2)
	v_fma_f64 v[12:13], v[142:143], v[8:9], -v[12:13]
	v_fmac_f64_e32 v[10:11], v[144:145], v[8:9]
	s_delay_alu instid0(VALU_DEP_2) | instskip(NEXT) | instid1(VALU_DEP_2)
	v_add_f64_e32 v[4:5], v[4:5], v[12:13]
	v_add_f64_e32 v[2:3], v[2:3], v[10:11]
	s_and_saveexec_b32 s4, s3
	s_cbranch_execz .LBB61_55
; %bb.48:
	scratch_load_b128 v[8:11], v15, off offset:64
	ds_load_b128 v[142:145], v6 offset:64
	s_mov_b32 s80, exec_lo
	s_wait_loadcnt_dscnt 0x0
	v_mul_f64_e32 v[12:13], v[144:145], v[10:11]
	v_mul_f64_e32 v[10:11], v[142:143], v[10:11]
	s_delay_alu instid0(VALU_DEP_2) | instskip(NEXT) | instid1(VALU_DEP_2)
	v_fma_f64 v[12:13], v[142:143], v[8:9], -v[12:13]
	v_fmac_f64_e32 v[10:11], v[144:145], v[8:9]
	s_delay_alu instid0(VALU_DEP_2) | instskip(NEXT) | instid1(VALU_DEP_2)
	v_add_f64_e32 v[4:5], v[4:5], v[12:13]
	v_add_f64_e32 v[2:3], v[2:3], v[10:11]
	v_cmpx_ne_u32_e32 3, v1
	s_cbranch_execz .LBB61_54
; %bb.49:
	scratch_load_b128 v[8:11], v15, off offset:80
	ds_load_b128 v[142:145], v6 offset:80
	s_wait_loadcnt_dscnt 0x0
	v_mul_f64_e32 v[12:13], v[144:145], v[10:11]
	v_mul_f64_e32 v[10:11], v[142:143], v[10:11]
	s_delay_alu instid0(VALU_DEP_2) | instskip(NEXT) | instid1(VALU_DEP_2)
	v_fma_f64 v[12:13], v[142:143], v[8:9], -v[12:13]
	v_fmac_f64_e32 v[10:11], v[144:145], v[8:9]
	s_delay_alu instid0(VALU_DEP_2) | instskip(NEXT) | instid1(VALU_DEP_2)
	v_add_f64_e32 v[4:5], v[4:5], v[12:13]
	v_add_f64_e32 v[2:3], v[2:3], v[10:11]
	s_and_saveexec_b32 s3, vcc_lo
	s_cbranch_execz .LBB61_53
; %bb.50:
	scratch_load_b128 v[8:11], v15, off offset:96
	ds_load_b128 v[142:145], v6 offset:96
	s_wait_loadcnt_dscnt 0x0
	v_mul_f64_e32 v[12:13], v[144:145], v[10:11]
	v_mul_f64_e32 v[10:11], v[142:143], v[10:11]
	s_delay_alu instid0(VALU_DEP_2) | instskip(NEXT) | instid1(VALU_DEP_2)
	v_fma_f64 v[12:13], v[142:143], v[8:9], -v[12:13]
	v_fmac_f64_e32 v[10:11], v[144:145], v[8:9]
	s_delay_alu instid0(VALU_DEP_2) | instskip(NEXT) | instid1(VALU_DEP_2)
	v_add_f64_e32 v[4:5], v[4:5], v[12:13]
	v_add_f64_e32 v[2:3], v[2:3], v[10:11]
	s_and_saveexec_b32 s81, s2
	s_cbranch_execz .LBB61_52
; %bb.51:
	scratch_load_b128 v[8:11], v15, off offset:112
	ds_load_b128 v[142:145], v6 offset:112
	s_wait_loadcnt_dscnt 0x0
	v_mul_f64_e32 v[12:13], v[144:145], v[10:11]
	v_mul_f64_e32 v[10:11], v[142:143], v[10:11]
	s_delay_alu instid0(VALU_DEP_2) | instskip(NEXT) | instid1(VALU_DEP_2)
	v_fma_f64 v[12:13], v[142:143], v[8:9], -v[12:13]
	v_fmac_f64_e32 v[10:11], v[144:145], v[8:9]
	s_delay_alu instid0(VALU_DEP_2) | instskip(NEXT) | instid1(VALU_DEP_2)
	v_add_f64_e32 v[4:5], v[4:5], v[12:13]
	v_add_f64_e32 v[2:3], v[2:3], v[10:11]
.LBB61_52:
	s_or_b32 exec_lo, exec_lo, s81
.LBB61_53:
	s_delay_alu instid0(SALU_CYCLE_1)
	s_or_b32 exec_lo, exec_lo, s3
.LBB61_54:
	s_delay_alu instid0(SALU_CYCLE_1)
	s_or_b32 exec_lo, exec_lo, s80
.LBB61_55:
	s_delay_alu instid0(SALU_CYCLE_1)
	s_or_b32 exec_lo, exec_lo, s4
.LBB61_56:
	s_delay_alu instid0(SALU_CYCLE_1)
	s_or_b32 exec_lo, exec_lo, s79
.LBB61_57:
	s_delay_alu instid0(SALU_CYCLE_1)
	s_or_b32 exec_lo, exec_lo, s5
.LBB61_58:
	s_delay_alu instid0(SALU_CYCLE_1)
	s_or_b32 exec_lo, exec_lo, s78
	v_mov_b32_e32 v8, 0
	ds_load_b128 v[8:11], v8 offset:128
	s_wait_dscnt 0x0
	v_mul_f64_e32 v[16:17], v[2:3], v[10:11]
	v_mul_f64_e32 v[12:13], v[4:5], v[10:11]
	s_delay_alu instid0(VALU_DEP_2) | instskip(NEXT) | instid1(VALU_DEP_2)
	v_fma_f64 v[10:11], v[4:5], v[8:9], -v[16:17]
	v_fmac_f64_e32 v[12:13], v[2:3], v[8:9]
	scratch_store_b128 off, v[10:13], off offset:128
.LBB61_59:
	s_wait_xcnt 0x0
	s_or_b32 exec_lo, exec_lo, s77
	s_wait_storecnt 0x0
	s_barrier_signal -1
	s_barrier_wait -1
	scratch_load_b128 v[2:5], off, s71
	s_mov_b32 s2, exec_lo
	s_wait_loadcnt 0x0
	ds_store_b128 v6, v[2:5]
	s_wait_dscnt 0x0
	s_barrier_signal -1
	s_barrier_wait -1
	v_cmpx_gt_u32_e32 9, v1
	s_cbranch_execz .LBB61_63
; %bb.60:
	v_dual_mov_b32 v10, v14 :: v_dual_add_nc_u32 v8, -1, v1
	v_mov_b64_e32 v[2:3], 0
	v_mov_b64_e32 v[4:5], 0
	v_add_nc_u32_e32 v9, 0x3e0, v14
	s_delay_alu instid0(VALU_DEP_4)
	v_or_b32_e32 v10, 8, v10
	s_mov_b32 s3, 0
.LBB61_61:                              ; =>This Inner Loop Header: Depth=1
	scratch_load_b128 v[142:145], v10, off offset:-8
	ds_load_b128 v[146:149], v9
	s_wait_xcnt 0x0
	v_dual_add_nc_u32 v9, 16, v9 :: v_dual_add_nc_u32 v10, 16, v10
	v_add_nc_u32_e32 v8, 1, v8
	s_delay_alu instid0(VALU_DEP_1) | instskip(SKIP_4) | instid1(VALU_DEP_2)
	v_cmp_lt_u32_e32 vcc_lo, 7, v8
	s_or_b32 s3, vcc_lo, s3
	s_wait_loadcnt_dscnt 0x0
	v_mul_f64_e32 v[12:13], v[148:149], v[144:145]
	v_mul_f64_e32 v[16:17], v[146:147], v[144:145]
	v_fma_f64 v[12:13], v[146:147], v[142:143], -v[12:13]
	s_delay_alu instid0(VALU_DEP_2) | instskip(NEXT) | instid1(VALU_DEP_2)
	v_fmac_f64_e32 v[16:17], v[148:149], v[142:143]
	v_add_f64_e32 v[4:5], v[4:5], v[12:13]
	s_delay_alu instid0(VALU_DEP_2)
	v_add_f64_e32 v[2:3], v[2:3], v[16:17]
	s_and_not1_b32 exec_lo, exec_lo, s3
	s_cbranch_execnz .LBB61_61
; %bb.62:
	s_or_b32 exec_lo, exec_lo, s3
	v_mov_b32_e32 v8, 0
	ds_load_b128 v[8:11], v8 offset:144
	s_wait_dscnt 0x0
	v_mul_f64_e32 v[16:17], v[2:3], v[10:11]
	v_mul_f64_e32 v[12:13], v[4:5], v[10:11]
	s_delay_alu instid0(VALU_DEP_2) | instskip(NEXT) | instid1(VALU_DEP_2)
	v_fma_f64 v[10:11], v[4:5], v[8:9], -v[16:17]
	v_fmac_f64_e32 v[12:13], v[2:3], v[8:9]
	scratch_store_b128 off, v[10:13], off offset:144
.LBB61_63:
	s_wait_xcnt 0x0
	s_or_b32 exec_lo, exec_lo, s2
	s_wait_storecnt 0x0
	s_barrier_signal -1
	s_barrier_wait -1
	scratch_load_b128 v[2:5], off, s70
	s_mov_b32 s2, exec_lo
	s_wait_loadcnt 0x0
	ds_store_b128 v6, v[2:5]
	s_wait_dscnt 0x0
	s_barrier_signal -1
	s_barrier_wait -1
	v_cmpx_gt_u32_e32 10, v1
	s_cbranch_execz .LBB61_67
; %bb.64:
	v_dual_mov_b32 v10, v14 :: v_dual_add_nc_u32 v8, -1, v1
	v_mov_b64_e32 v[2:3], 0
	v_mov_b64_e32 v[4:5], 0
	v_add_nc_u32_e32 v9, 0x3e0, v14
	s_delay_alu instid0(VALU_DEP_4)
	v_or_b32_e32 v10, 8, v10
	s_mov_b32 s3, 0
.LBB61_65:                              ; =>This Inner Loop Header: Depth=1
	scratch_load_b128 v[142:145], v10, off offset:-8
	ds_load_b128 v[146:149], v9
	s_wait_xcnt 0x0
	v_dual_add_nc_u32 v9, 16, v9 :: v_dual_add_nc_u32 v10, 16, v10
	v_add_nc_u32_e32 v8, 1, v8
	s_delay_alu instid0(VALU_DEP_1) | instskip(SKIP_4) | instid1(VALU_DEP_2)
	v_cmp_lt_u32_e32 vcc_lo, 8, v8
	s_or_b32 s3, vcc_lo, s3
	s_wait_loadcnt_dscnt 0x0
	v_mul_f64_e32 v[12:13], v[148:149], v[144:145]
	v_mul_f64_e32 v[16:17], v[146:147], v[144:145]
	v_fma_f64 v[12:13], v[146:147], v[142:143], -v[12:13]
	s_delay_alu instid0(VALU_DEP_2) | instskip(NEXT) | instid1(VALU_DEP_2)
	v_fmac_f64_e32 v[16:17], v[148:149], v[142:143]
	v_add_f64_e32 v[4:5], v[4:5], v[12:13]
	s_delay_alu instid0(VALU_DEP_2)
	v_add_f64_e32 v[2:3], v[2:3], v[16:17]
	s_and_not1_b32 exec_lo, exec_lo, s3
	s_cbranch_execnz .LBB61_65
; %bb.66:
	s_or_b32 exec_lo, exec_lo, s3
	v_mov_b32_e32 v8, 0
	ds_load_b128 v[8:11], v8 offset:160
	s_wait_dscnt 0x0
	v_mul_f64_e32 v[16:17], v[2:3], v[10:11]
	v_mul_f64_e32 v[12:13], v[4:5], v[10:11]
	s_delay_alu instid0(VALU_DEP_2) | instskip(NEXT) | instid1(VALU_DEP_2)
	v_fma_f64 v[10:11], v[4:5], v[8:9], -v[16:17]
	v_fmac_f64_e32 v[12:13], v[2:3], v[8:9]
	scratch_store_b128 off, v[10:13], off offset:160
.LBB61_67:
	;; [unrolled: 54-line block ×10, first 2 shown]
	s_wait_xcnt 0x0
	s_or_b32 exec_lo, exec_lo, s2
	s_wait_storecnt 0x0
	s_barrier_signal -1
	s_barrier_wait -1
	scratch_load_b128 v[2:5], off, s66
	s_mov_b32 s2, exec_lo
	s_wait_loadcnt 0x0
	ds_store_b128 v6, v[2:5]
	s_wait_dscnt 0x0
	s_barrier_signal -1
	s_barrier_wait -1
	v_cmpx_gt_u32_e32 19, v1
	s_cbranch_execz .LBB61_103
; %bb.100:
	v_dual_mov_b32 v10, v14 :: v_dual_add_nc_u32 v8, -1, v1
	v_mov_b64_e32 v[2:3], 0
	v_mov_b64_e32 v[4:5], 0
	v_add_nc_u32_e32 v9, 0x3e0, v14
	s_delay_alu instid0(VALU_DEP_4)
	v_or_b32_e32 v10, 8, v10
	s_mov_b32 s3, 0
.LBB61_101:                             ; =>This Inner Loop Header: Depth=1
	scratch_load_b128 v[142:145], v10, off offset:-8
	ds_load_b128 v[146:149], v9
	s_wait_xcnt 0x0
	v_dual_add_nc_u32 v9, 16, v9 :: v_dual_add_nc_u32 v10, 16, v10
	v_add_nc_u32_e32 v8, 1, v8
	s_delay_alu instid0(VALU_DEP_1) | instskip(SKIP_4) | instid1(VALU_DEP_2)
	v_cmp_lt_u32_e32 vcc_lo, 17, v8
	s_or_b32 s3, vcc_lo, s3
	s_wait_loadcnt_dscnt 0x0
	v_mul_f64_e32 v[12:13], v[148:149], v[144:145]
	v_mul_f64_e32 v[16:17], v[146:147], v[144:145]
	v_fma_f64 v[12:13], v[146:147], v[142:143], -v[12:13]
	s_delay_alu instid0(VALU_DEP_2) | instskip(NEXT) | instid1(VALU_DEP_2)
	v_fmac_f64_e32 v[16:17], v[148:149], v[142:143]
	v_add_f64_e32 v[4:5], v[4:5], v[12:13]
	s_delay_alu instid0(VALU_DEP_2)
	v_add_f64_e32 v[2:3], v[2:3], v[16:17]
	s_and_not1_b32 exec_lo, exec_lo, s3
	s_cbranch_execnz .LBB61_101
; %bb.102:
	s_or_b32 exec_lo, exec_lo, s3
	v_mov_b32_e32 v8, 0
	ds_load_b128 v[8:11], v8 offset:304
	s_wait_dscnt 0x0
	v_mul_f64_e32 v[16:17], v[2:3], v[10:11]
	v_mul_f64_e32 v[12:13], v[4:5], v[10:11]
	s_delay_alu instid0(VALU_DEP_2) | instskip(NEXT) | instid1(VALU_DEP_2)
	v_fma_f64 v[10:11], v[4:5], v[8:9], -v[16:17]
	v_fmac_f64_e32 v[12:13], v[2:3], v[8:9]
	scratch_store_b128 off, v[10:13], off offset:304
.LBB61_103:
	s_wait_xcnt 0x0
	s_or_b32 exec_lo, exec_lo, s2
	s_wait_storecnt 0x0
	s_barrier_signal -1
	s_barrier_wait -1
	scratch_load_b128 v[2:5], off, s68
	s_mov_b32 s2, exec_lo
	s_wait_loadcnt 0x0
	ds_store_b128 v6, v[2:5]
	s_wait_dscnt 0x0
	s_barrier_signal -1
	s_barrier_wait -1
	v_cmpx_gt_u32_e32 20, v1
	s_cbranch_execz .LBB61_107
; %bb.104:
	v_dual_mov_b32 v10, v14 :: v_dual_add_nc_u32 v8, -1, v1
	v_mov_b64_e32 v[2:3], 0
	v_mov_b64_e32 v[4:5], 0
	v_add_nc_u32_e32 v9, 0x3e0, v14
	s_delay_alu instid0(VALU_DEP_4)
	v_or_b32_e32 v10, 8, v10
	s_mov_b32 s3, 0
.LBB61_105:                             ; =>This Inner Loop Header: Depth=1
	scratch_load_b128 v[142:145], v10, off offset:-8
	ds_load_b128 v[146:149], v9
	s_wait_xcnt 0x0
	v_dual_add_nc_u32 v9, 16, v9 :: v_dual_add_nc_u32 v10, 16, v10
	v_add_nc_u32_e32 v8, 1, v8
	s_delay_alu instid0(VALU_DEP_1) | instskip(SKIP_4) | instid1(VALU_DEP_2)
	v_cmp_lt_u32_e32 vcc_lo, 18, v8
	s_or_b32 s3, vcc_lo, s3
	s_wait_loadcnt_dscnt 0x0
	v_mul_f64_e32 v[12:13], v[148:149], v[144:145]
	v_mul_f64_e32 v[16:17], v[146:147], v[144:145]
	v_fma_f64 v[12:13], v[146:147], v[142:143], -v[12:13]
	s_delay_alu instid0(VALU_DEP_2) | instskip(NEXT) | instid1(VALU_DEP_2)
	v_fmac_f64_e32 v[16:17], v[148:149], v[142:143]
	v_add_f64_e32 v[4:5], v[4:5], v[12:13]
	s_delay_alu instid0(VALU_DEP_2)
	v_add_f64_e32 v[2:3], v[2:3], v[16:17]
	s_and_not1_b32 exec_lo, exec_lo, s3
	s_cbranch_execnz .LBB61_105
; %bb.106:
	s_or_b32 exec_lo, exec_lo, s3
	v_mov_b32_e32 v8, 0
	ds_load_b128 v[8:11], v8 offset:320
	s_wait_dscnt 0x0
	v_mul_f64_e32 v[16:17], v[2:3], v[10:11]
	v_mul_f64_e32 v[12:13], v[4:5], v[10:11]
	s_delay_alu instid0(VALU_DEP_2) | instskip(NEXT) | instid1(VALU_DEP_2)
	v_fma_f64 v[10:11], v[4:5], v[8:9], -v[16:17]
	v_fmac_f64_e32 v[12:13], v[2:3], v[8:9]
	scratch_store_b128 off, v[10:13], off offset:320
.LBB61_107:
	;; [unrolled: 54-line block ×42, first 2 shown]
	s_wait_xcnt 0x0
	s_or_b32 exec_lo, exec_lo, s2
	s_wait_storecnt 0x0
	s_barrier_signal -1
	s_barrier_wait -1
	scratch_load_b128 v[2:5], off, s50
	s_mov_b32 s2, exec_lo
	s_wait_loadcnt 0x0
	ds_store_b128 v6, v[2:5]
	s_wait_dscnt 0x0
	s_barrier_signal -1
	s_barrier_wait -1
	v_cmpx_ne_u32_e32 61, v1
	s_cbranch_execz .LBB61_271
; %bb.268:
	v_mov_b32_e32 v8, v14
	v_mov_b64_e32 v[2:3], 0
	v_mov_b64_e32 v[4:5], 0
	s_mov_b32 s3, 0
	s_delay_alu instid0(VALU_DEP_3)
	v_or_b32_e32 v8, 8, v8
.LBB61_269:                             ; =>This Inner Loop Header: Depth=1
	scratch_load_b128 v[10:13], v8, off offset:-8
	ds_load_b128 v[14:17], v6
	v_dual_add_nc_u32 v7, 1, v7 :: v_dual_add_nc_u32 v6, 16, v6
	s_wait_xcnt 0x0
	v_add_nc_u32_e32 v8, 16, v8
	s_delay_alu instid0(VALU_DEP_2) | instskip(SKIP_4) | instid1(VALU_DEP_2)
	v_cmp_lt_u32_e32 vcc_lo, 59, v7
	s_or_b32 s3, vcc_lo, s3
	s_wait_loadcnt_dscnt 0x0
	v_mul_f64_e32 v[142:143], v[16:17], v[12:13]
	v_mul_f64_e32 v[12:13], v[14:15], v[12:13]
	v_fma_f64 v[14:15], v[14:15], v[10:11], -v[142:143]
	s_delay_alu instid0(VALU_DEP_2) | instskip(NEXT) | instid1(VALU_DEP_2)
	v_fmac_f64_e32 v[12:13], v[16:17], v[10:11]
	v_add_f64_e32 v[4:5], v[4:5], v[14:15]
	s_delay_alu instid0(VALU_DEP_2)
	v_add_f64_e32 v[2:3], v[2:3], v[12:13]
	s_and_not1_b32 exec_lo, exec_lo, s3
	s_cbranch_execnz .LBB61_269
; %bb.270:
	s_or_b32 exec_lo, exec_lo, s3
	v_mov_b32_e32 v6, 0
	ds_load_b128 v[6:9], v6 offset:976
	s_wait_dscnt 0x0
	v_mul_f64_e32 v[12:13], v[2:3], v[8:9]
	v_mul_f64_e32 v[10:11], v[4:5], v[8:9]
	s_delay_alu instid0(VALU_DEP_2) | instskip(NEXT) | instid1(VALU_DEP_2)
	v_fma_f64 v[8:9], v[4:5], v[6:7], -v[12:13]
	v_fmac_f64_e32 v[10:11], v[2:3], v[6:7]
	scratch_store_b128 off, v[8:11], off offset:976
.LBB61_271:
	s_wait_xcnt 0x0
	s_or_b32 exec_lo, exec_lo, s2
	s_mov_b32 s3, -1
	s_wait_storecnt 0x0
	s_barrier_signal -1
	s_barrier_wait -1
.LBB61_272:
	s_and_b32 vcc_lo, exec_lo, s3
	s_cbranch_vccz .LBB61_274
; %bb.273:
	s_wait_xcnt 0x19
	v_mov_b32_e32 v2, 0
	s_lshl_b64 s[2:3], s[18:19], 2
	s_delay_alu instid0(SALU_CYCLE_1)
	s_add_nc_u64 s[2:3], s[6:7], s[2:3]
	global_load_b32 v2, v2, s[2:3]
	s_wait_loadcnt 0x0
	v_cmp_ne_u32_e32 vcc_lo, 0, v2
	s_cbranch_vccz .LBB61_275
.LBB61_274:
	s_sendmsg sendmsg(MSG_DEALLOC_VGPRS)
	s_endpgm
.LBB61_275:
	v_lshl_add_u32 v16, v1, 4, 0x3e0
	s_wait_xcnt 0x0
	s_mov_b32 s2, exec_lo
	v_cmpx_eq_u32_e32 61, v1
	s_cbranch_execz .LBB61_277
; %bb.276:
	scratch_load_b128 v[2:5], off, s28
	v_mov_b32_e32 v6, 0
	s_delay_alu instid0(VALU_DEP_1)
	v_dual_mov_b32 v7, v6 :: v_dual_mov_b32 v8, v6
	v_mov_b32_e32 v9, v6
	scratch_store_b128 off, v[6:9], off offset:960
	s_wait_loadcnt 0x0
	ds_store_b128 v16, v[2:5]
.LBB61_277:
	s_wait_xcnt 0x0
	s_or_b32 exec_lo, exec_lo, s2
	s_wait_storecnt_dscnt 0x0
	s_barrier_signal -1
	s_barrier_wait -1
	s_clause 0x1
	scratch_load_b128 v[4:7], off, off offset:976
	scratch_load_b128 v[8:11], off, off offset:960
	v_mov_b32_e32 v2, 0
	s_mov_b32 s2, exec_lo
	ds_load_b128 v[12:15], v2 offset:1968
	s_wait_loadcnt_dscnt 0x100
	v_mul_f64_e32 v[142:143], v[14:15], v[6:7]
	v_mul_f64_e32 v[6:7], v[12:13], v[6:7]
	s_delay_alu instid0(VALU_DEP_2) | instskip(NEXT) | instid1(VALU_DEP_2)
	v_fma_f64 v[12:13], v[12:13], v[4:5], -v[142:143]
	v_fmac_f64_e32 v[6:7], v[14:15], v[4:5]
	s_delay_alu instid0(VALU_DEP_2) | instskip(NEXT) | instid1(VALU_DEP_2)
	v_add_f64_e32 v[4:5], 0, v[12:13]
	v_add_f64_e32 v[6:7], 0, v[6:7]
	s_wait_loadcnt 0x0
	s_delay_alu instid0(VALU_DEP_2) | instskip(NEXT) | instid1(VALU_DEP_2)
	v_add_f64_e64 v[4:5], v[8:9], -v[4:5]
	v_add_f64_e64 v[6:7], v[10:11], -v[6:7]
	scratch_store_b128 off, v[4:7], off offset:960
	s_wait_xcnt 0x0
	v_cmpx_lt_u32_e32 59, v1
	s_cbranch_execz .LBB61_279
; %bb.278:
	scratch_load_b128 v[6:9], off, s26
	v_dual_mov_b32 v3, v2 :: v_dual_mov_b32 v4, v2
	v_mov_b32_e32 v5, v2
	scratch_store_b128 off, v[2:5], off offset:944
	s_wait_loadcnt 0x0
	ds_store_b128 v16, v[6:9]
.LBB61_279:
	s_wait_xcnt 0x0
	s_or_b32 exec_lo, exec_lo, s2
	s_wait_storecnt_dscnt 0x0
	s_barrier_signal -1
	s_barrier_wait -1
	s_clause 0x2
	scratch_load_b128 v[4:7], off, off offset:960
	scratch_load_b128 v[8:11], off, off offset:976
	;; [unrolled: 1-line block ×3, first 2 shown]
	ds_load_b128 v[142:145], v2 offset:1952
	ds_load_b128 v[146:149], v2 offset:1968
	s_mov_b32 s2, exec_lo
	s_wait_loadcnt_dscnt 0x201
	v_mul_f64_e32 v[2:3], v[144:145], v[6:7]
	v_mul_f64_e32 v[6:7], v[142:143], v[6:7]
	s_wait_loadcnt_dscnt 0x100
	v_mul_f64_e32 v[150:151], v[146:147], v[10:11]
	v_mul_f64_e32 v[10:11], v[148:149], v[10:11]
	s_delay_alu instid0(VALU_DEP_4) | instskip(NEXT) | instid1(VALU_DEP_4)
	v_fma_f64 v[2:3], v[142:143], v[4:5], -v[2:3]
	v_fmac_f64_e32 v[6:7], v[144:145], v[4:5]
	s_delay_alu instid0(VALU_DEP_4) | instskip(NEXT) | instid1(VALU_DEP_4)
	v_fmac_f64_e32 v[150:151], v[148:149], v[8:9]
	v_fma_f64 v[4:5], v[146:147], v[8:9], -v[10:11]
	s_delay_alu instid0(VALU_DEP_4) | instskip(NEXT) | instid1(VALU_DEP_4)
	v_add_f64_e32 v[2:3], 0, v[2:3]
	v_add_f64_e32 v[6:7], 0, v[6:7]
	s_delay_alu instid0(VALU_DEP_2) | instskip(NEXT) | instid1(VALU_DEP_2)
	v_add_f64_e32 v[2:3], v[2:3], v[4:5]
	v_add_f64_e32 v[4:5], v[6:7], v[150:151]
	s_wait_loadcnt 0x0
	s_delay_alu instid0(VALU_DEP_2) | instskip(NEXT) | instid1(VALU_DEP_2)
	v_add_f64_e64 v[2:3], v[12:13], -v[2:3]
	v_add_f64_e64 v[4:5], v[14:15], -v[4:5]
	scratch_store_b128 off, v[2:5], off offset:944
	s_wait_xcnt 0x0
	v_cmpx_lt_u32_e32 58, v1
	s_cbranch_execz .LBB61_281
; %bb.280:
	scratch_load_b128 v[2:5], off, s34
	v_mov_b32_e32 v6, 0
	s_delay_alu instid0(VALU_DEP_1)
	v_dual_mov_b32 v7, v6 :: v_dual_mov_b32 v8, v6
	v_mov_b32_e32 v9, v6
	scratch_store_b128 off, v[6:9], off offset:928
	s_wait_loadcnt 0x0
	ds_store_b128 v16, v[2:5]
.LBB61_281:
	s_wait_xcnt 0x0
	s_or_b32 exec_lo, exec_lo, s2
	s_wait_storecnt_dscnt 0x0
	s_barrier_signal -1
	s_barrier_wait -1
	s_clause 0x3
	scratch_load_b128 v[4:7], off, off offset:944
	scratch_load_b128 v[8:11], off, off offset:960
	;; [unrolled: 1-line block ×4, first 2 shown]
	v_mov_b32_e32 v2, 0
	ds_load_b128 v[146:149], v2 offset:1936
	ds_load_b128 v[150:153], v2 offset:1952
	s_mov_b32 s2, exec_lo
	s_wait_loadcnt_dscnt 0x301
	v_mul_f64_e32 v[154:155], v[148:149], v[6:7]
	v_mul_f64_e32 v[156:157], v[146:147], v[6:7]
	s_wait_loadcnt_dscnt 0x200
	v_mul_f64_e32 v[158:159], v[150:151], v[10:11]
	v_mul_f64_e32 v[10:11], v[152:153], v[10:11]
	s_delay_alu instid0(VALU_DEP_4) | instskip(NEXT) | instid1(VALU_DEP_4)
	v_fma_f64 v[146:147], v[146:147], v[4:5], -v[154:155]
	v_fmac_f64_e32 v[156:157], v[148:149], v[4:5]
	ds_load_b128 v[4:7], v2 offset:1968
	v_fmac_f64_e32 v[158:159], v[152:153], v[8:9]
	v_fma_f64 v[8:9], v[150:151], v[8:9], -v[10:11]
	s_wait_loadcnt_dscnt 0x100
	v_mul_f64_e32 v[148:149], v[4:5], v[14:15]
	v_mul_f64_e32 v[14:15], v[6:7], v[14:15]
	v_add_f64_e32 v[10:11], 0, v[146:147]
	v_add_f64_e32 v[146:147], 0, v[156:157]
	s_delay_alu instid0(VALU_DEP_4) | instskip(NEXT) | instid1(VALU_DEP_4)
	v_fmac_f64_e32 v[148:149], v[6:7], v[12:13]
	v_fma_f64 v[4:5], v[4:5], v[12:13], -v[14:15]
	s_delay_alu instid0(VALU_DEP_4) | instskip(NEXT) | instid1(VALU_DEP_4)
	v_add_f64_e32 v[6:7], v[10:11], v[8:9]
	v_add_f64_e32 v[8:9], v[146:147], v[158:159]
	s_delay_alu instid0(VALU_DEP_2) | instskip(NEXT) | instid1(VALU_DEP_2)
	v_add_f64_e32 v[4:5], v[6:7], v[4:5]
	v_add_f64_e32 v[6:7], v[8:9], v[148:149]
	s_wait_loadcnt 0x0
	s_delay_alu instid0(VALU_DEP_2) | instskip(NEXT) | instid1(VALU_DEP_2)
	v_add_f64_e64 v[4:5], v[142:143], -v[4:5]
	v_add_f64_e64 v[6:7], v[144:145], -v[6:7]
	scratch_store_b128 off, v[4:7], off offset:928
	s_wait_xcnt 0x0
	v_cmpx_lt_u32_e32 57, v1
	s_cbranch_execz .LBB61_283
; %bb.282:
	scratch_load_b128 v[6:9], off, s30
	v_dual_mov_b32 v3, v2 :: v_dual_mov_b32 v4, v2
	v_mov_b32_e32 v5, v2
	scratch_store_b128 off, v[2:5], off offset:912
	s_wait_loadcnt 0x0
	ds_store_b128 v16, v[6:9]
.LBB61_283:
	s_wait_xcnt 0x0
	s_or_b32 exec_lo, exec_lo, s2
	s_wait_storecnt_dscnt 0x0
	s_barrier_signal -1
	s_barrier_wait -1
	s_clause 0x4
	scratch_load_b128 v[4:7], off, off offset:928
	scratch_load_b128 v[8:11], off, off offset:944
	scratch_load_b128 v[12:15], off, off offset:960
	scratch_load_b128 v[142:145], off, off offset:976
	scratch_load_b128 v[146:149], off, off offset:912
	ds_load_b128 v[150:153], v2 offset:1920
	ds_load_b128 v[154:157], v2 offset:1936
	s_mov_b32 s2, exec_lo
	s_wait_loadcnt_dscnt 0x401
	v_mul_f64_e32 v[158:159], v[152:153], v[6:7]
	v_mul_f64_e32 v[160:161], v[150:151], v[6:7]
	s_wait_loadcnt_dscnt 0x300
	v_mul_f64_e32 v[162:163], v[154:155], v[10:11]
	v_mul_f64_e32 v[10:11], v[156:157], v[10:11]
	s_delay_alu instid0(VALU_DEP_4) | instskip(NEXT) | instid1(VALU_DEP_4)
	v_fma_f64 v[158:159], v[150:151], v[4:5], -v[158:159]
	v_fmac_f64_e32 v[160:161], v[152:153], v[4:5]
	ds_load_b128 v[4:7], v2 offset:1952
	ds_load_b128 v[150:153], v2 offset:1968
	v_fmac_f64_e32 v[162:163], v[156:157], v[8:9]
	v_fma_f64 v[8:9], v[154:155], v[8:9], -v[10:11]
	s_wait_loadcnt_dscnt 0x201
	v_mul_f64_e32 v[2:3], v[4:5], v[14:15]
	v_mul_f64_e32 v[14:15], v[6:7], v[14:15]
	s_wait_loadcnt_dscnt 0x100
	v_mul_f64_e32 v[156:157], v[150:151], v[144:145]
	v_mul_f64_e32 v[144:145], v[152:153], v[144:145]
	v_add_f64_e32 v[10:11], 0, v[158:159]
	v_add_f64_e32 v[154:155], 0, v[160:161]
	v_fmac_f64_e32 v[2:3], v[6:7], v[12:13]
	v_fma_f64 v[4:5], v[4:5], v[12:13], -v[14:15]
	v_fmac_f64_e32 v[156:157], v[152:153], v[142:143]
	v_add_f64_e32 v[6:7], v[10:11], v[8:9]
	v_add_f64_e32 v[8:9], v[154:155], v[162:163]
	v_fma_f64 v[10:11], v[150:151], v[142:143], -v[144:145]
	s_delay_alu instid0(VALU_DEP_3) | instskip(NEXT) | instid1(VALU_DEP_3)
	v_add_f64_e32 v[4:5], v[6:7], v[4:5]
	v_add_f64_e32 v[2:3], v[8:9], v[2:3]
	s_delay_alu instid0(VALU_DEP_2) | instskip(NEXT) | instid1(VALU_DEP_2)
	v_add_f64_e32 v[4:5], v[4:5], v[10:11]
	v_add_f64_e32 v[6:7], v[2:3], v[156:157]
	s_wait_loadcnt 0x0
	s_delay_alu instid0(VALU_DEP_2) | instskip(NEXT) | instid1(VALU_DEP_2)
	v_add_f64_e64 v[2:3], v[146:147], -v[4:5]
	v_add_f64_e64 v[4:5], v[148:149], -v[6:7]
	scratch_store_b128 off, v[2:5], off offset:912
	s_wait_xcnt 0x0
	v_cmpx_lt_u32_e32 56, v1
	s_cbranch_execz .LBB61_285
; %bb.284:
	scratch_load_b128 v[2:5], off, s37
	v_mov_b32_e32 v6, 0
	s_delay_alu instid0(VALU_DEP_1)
	v_dual_mov_b32 v7, v6 :: v_dual_mov_b32 v8, v6
	v_mov_b32_e32 v9, v6
	scratch_store_b128 off, v[6:9], off offset:896
	s_wait_loadcnt 0x0
	ds_store_b128 v16, v[2:5]
.LBB61_285:
	s_wait_xcnt 0x0
	s_or_b32 exec_lo, exec_lo, s2
	s_wait_storecnt_dscnt 0x0
	s_barrier_signal -1
	s_barrier_wait -1
	s_clause 0x5
	scratch_load_b128 v[4:7], off, off offset:912
	scratch_load_b128 v[8:11], off, off offset:928
	;; [unrolled: 1-line block ×6, first 2 shown]
	v_mov_b32_e32 v2, 0
	ds_load_b128 v[154:157], v2 offset:1904
	ds_load_b128 v[158:161], v2 offset:1920
	s_mov_b32 s2, exec_lo
	s_wait_loadcnt_dscnt 0x501
	v_mul_f64_e32 v[162:163], v[156:157], v[6:7]
	v_mul_f64_e32 v[164:165], v[154:155], v[6:7]
	s_wait_loadcnt_dscnt 0x400
	v_mul_f64_e32 v[166:167], v[158:159], v[10:11]
	v_mul_f64_e32 v[10:11], v[160:161], v[10:11]
	s_delay_alu instid0(VALU_DEP_4) | instskip(NEXT) | instid1(VALU_DEP_4)
	v_fma_f64 v[162:163], v[154:155], v[4:5], -v[162:163]
	v_fmac_f64_e32 v[164:165], v[156:157], v[4:5]
	ds_load_b128 v[4:7], v2 offset:1936
	ds_load_b128 v[154:157], v2 offset:1952
	v_fmac_f64_e32 v[166:167], v[160:161], v[8:9]
	v_fma_f64 v[8:9], v[158:159], v[8:9], -v[10:11]
	s_wait_loadcnt_dscnt 0x301
	v_mul_f64_e32 v[168:169], v[4:5], v[14:15]
	v_mul_f64_e32 v[14:15], v[6:7], v[14:15]
	s_wait_loadcnt_dscnt 0x200
	v_mul_f64_e32 v[160:161], v[154:155], v[144:145]
	v_mul_f64_e32 v[144:145], v[156:157], v[144:145]
	v_add_f64_e32 v[10:11], 0, v[162:163]
	v_add_f64_e32 v[158:159], 0, v[164:165]
	v_fmac_f64_e32 v[168:169], v[6:7], v[12:13]
	v_fma_f64 v[12:13], v[4:5], v[12:13], -v[14:15]
	ds_load_b128 v[4:7], v2 offset:1968
	v_fmac_f64_e32 v[160:161], v[156:157], v[142:143]
	v_fma_f64 v[142:143], v[154:155], v[142:143], -v[144:145]
	v_add_f64_e32 v[8:9], v[10:11], v[8:9]
	v_add_f64_e32 v[10:11], v[158:159], v[166:167]
	s_wait_loadcnt_dscnt 0x100
	v_mul_f64_e32 v[14:15], v[4:5], v[148:149]
	v_mul_f64_e32 v[148:149], v[6:7], v[148:149]
	s_delay_alu instid0(VALU_DEP_4) | instskip(NEXT) | instid1(VALU_DEP_4)
	v_add_f64_e32 v[8:9], v[8:9], v[12:13]
	v_add_f64_e32 v[10:11], v[10:11], v[168:169]
	s_delay_alu instid0(VALU_DEP_4) | instskip(NEXT) | instid1(VALU_DEP_4)
	v_fmac_f64_e32 v[14:15], v[6:7], v[146:147]
	v_fma_f64 v[4:5], v[4:5], v[146:147], -v[148:149]
	s_delay_alu instid0(VALU_DEP_4) | instskip(NEXT) | instid1(VALU_DEP_4)
	v_add_f64_e32 v[6:7], v[8:9], v[142:143]
	v_add_f64_e32 v[8:9], v[10:11], v[160:161]
	s_delay_alu instid0(VALU_DEP_2) | instskip(NEXT) | instid1(VALU_DEP_2)
	v_add_f64_e32 v[4:5], v[6:7], v[4:5]
	v_add_f64_e32 v[6:7], v[8:9], v[14:15]
	s_wait_loadcnt 0x0
	s_delay_alu instid0(VALU_DEP_2) | instskip(NEXT) | instid1(VALU_DEP_2)
	v_add_f64_e64 v[4:5], v[150:151], -v[4:5]
	v_add_f64_e64 v[6:7], v[152:153], -v[6:7]
	scratch_store_b128 off, v[4:7], off offset:896
	s_wait_xcnt 0x0
	v_cmpx_lt_u32_e32 55, v1
	s_cbranch_execz .LBB61_287
; %bb.286:
	scratch_load_b128 v[6:9], off, s35
	v_dual_mov_b32 v3, v2 :: v_dual_mov_b32 v4, v2
	v_mov_b32_e32 v5, v2
	scratch_store_b128 off, v[2:5], off offset:880
	s_wait_loadcnt 0x0
	ds_store_b128 v16, v[6:9]
.LBB61_287:
	s_wait_xcnt 0x0
	s_or_b32 exec_lo, exec_lo, s2
	s_wait_storecnt_dscnt 0x0
	s_barrier_signal -1
	s_barrier_wait -1
	s_clause 0x6
	scratch_load_b128 v[4:7], off, off offset:896
	scratch_load_b128 v[8:11], off, off offset:912
	;; [unrolled: 1-line block ×7, first 2 shown]
	ds_load_b128 v[158:161], v2 offset:1888
	ds_load_b128 v[162:165], v2 offset:1904
	s_mov_b32 s2, exec_lo
	s_wait_loadcnt_dscnt 0x601
	v_mul_f64_e32 v[166:167], v[160:161], v[6:7]
	v_mul_f64_e32 v[168:169], v[158:159], v[6:7]
	s_wait_loadcnt_dscnt 0x500
	v_mul_f64_e32 v[170:171], v[162:163], v[10:11]
	v_mul_f64_e32 v[10:11], v[164:165], v[10:11]
	s_delay_alu instid0(VALU_DEP_4) | instskip(NEXT) | instid1(VALU_DEP_4)
	v_fma_f64 v[166:167], v[158:159], v[4:5], -v[166:167]
	v_fmac_f64_e32 v[168:169], v[160:161], v[4:5]
	ds_load_b128 v[4:7], v2 offset:1920
	ds_load_b128 v[158:161], v2 offset:1936
	v_fmac_f64_e32 v[170:171], v[164:165], v[8:9]
	v_fma_f64 v[8:9], v[162:163], v[8:9], -v[10:11]
	s_wait_loadcnt_dscnt 0x401
	v_mul_f64_e32 v[172:173], v[4:5], v[14:15]
	v_mul_f64_e32 v[14:15], v[6:7], v[14:15]
	s_wait_loadcnt_dscnt 0x300
	v_mul_f64_e32 v[164:165], v[158:159], v[144:145]
	v_mul_f64_e32 v[144:145], v[160:161], v[144:145]
	v_add_f64_e32 v[10:11], 0, v[166:167]
	v_add_f64_e32 v[162:163], 0, v[168:169]
	v_fmac_f64_e32 v[172:173], v[6:7], v[12:13]
	v_fma_f64 v[12:13], v[4:5], v[12:13], -v[14:15]
	v_fmac_f64_e32 v[164:165], v[160:161], v[142:143]
	v_fma_f64 v[142:143], v[158:159], v[142:143], -v[144:145]
	v_add_f64_e32 v[14:15], v[10:11], v[8:9]
	v_add_f64_e32 v[162:163], v[162:163], v[170:171]
	ds_load_b128 v[4:7], v2 offset:1952
	ds_load_b128 v[8:11], v2 offset:1968
	s_wait_loadcnt_dscnt 0x201
	v_mul_f64_e32 v[2:3], v[4:5], v[148:149]
	v_mul_f64_e32 v[148:149], v[6:7], v[148:149]
	s_wait_loadcnt_dscnt 0x100
	v_mul_f64_e32 v[144:145], v[8:9], v[152:153]
	v_mul_f64_e32 v[152:153], v[10:11], v[152:153]
	v_add_f64_e32 v[12:13], v[14:15], v[12:13]
	v_add_f64_e32 v[14:15], v[162:163], v[172:173]
	v_fmac_f64_e32 v[2:3], v[6:7], v[146:147]
	v_fma_f64 v[4:5], v[4:5], v[146:147], -v[148:149]
	v_fmac_f64_e32 v[144:145], v[10:11], v[150:151]
	v_fma_f64 v[8:9], v[8:9], v[150:151], -v[152:153]
	v_add_f64_e32 v[6:7], v[12:13], v[142:143]
	v_add_f64_e32 v[12:13], v[14:15], v[164:165]
	s_delay_alu instid0(VALU_DEP_2) | instskip(NEXT) | instid1(VALU_DEP_2)
	v_add_f64_e32 v[4:5], v[6:7], v[4:5]
	v_add_f64_e32 v[2:3], v[12:13], v[2:3]
	s_delay_alu instid0(VALU_DEP_2) | instskip(NEXT) | instid1(VALU_DEP_2)
	v_add_f64_e32 v[4:5], v[4:5], v[8:9]
	v_add_f64_e32 v[6:7], v[2:3], v[144:145]
	s_wait_loadcnt 0x0
	s_delay_alu instid0(VALU_DEP_2) | instskip(NEXT) | instid1(VALU_DEP_2)
	v_add_f64_e64 v[2:3], v[154:155], -v[4:5]
	v_add_f64_e64 v[4:5], v[156:157], -v[6:7]
	scratch_store_b128 off, v[2:5], off offset:880
	s_wait_xcnt 0x0
	v_cmpx_lt_u32_e32 54, v1
	s_cbranch_execz .LBB61_289
; %bb.288:
	scratch_load_b128 v[2:5], off, s11
	v_mov_b32_e32 v6, 0
	s_delay_alu instid0(VALU_DEP_1)
	v_dual_mov_b32 v7, v6 :: v_dual_mov_b32 v8, v6
	v_mov_b32_e32 v9, v6
	scratch_store_b128 off, v[6:9], off offset:864
	s_wait_loadcnt 0x0
	ds_store_b128 v16, v[2:5]
.LBB61_289:
	s_wait_xcnt 0x0
	s_or_b32 exec_lo, exec_lo, s2
	s_wait_storecnt_dscnt 0x0
	s_barrier_signal -1
	s_barrier_wait -1
	s_clause 0x7
	scratch_load_b128 v[4:7], off, off offset:880
	scratch_load_b128 v[8:11], off, off offset:896
	;; [unrolled: 1-line block ×8, first 2 shown]
	v_mov_b32_e32 v2, 0
	ds_load_b128 v[162:165], v2 offset:1872
	ds_load_b128 v[166:169], v2 offset:1888
	s_mov_b32 s2, exec_lo
	s_wait_loadcnt_dscnt 0x701
	v_mul_f64_e32 v[170:171], v[164:165], v[6:7]
	v_mul_f64_e32 v[172:173], v[162:163], v[6:7]
	s_wait_loadcnt_dscnt 0x600
	v_mul_f64_e32 v[174:175], v[166:167], v[10:11]
	v_mul_f64_e32 v[10:11], v[168:169], v[10:11]
	s_delay_alu instid0(VALU_DEP_4) | instskip(NEXT) | instid1(VALU_DEP_4)
	v_fma_f64 v[170:171], v[162:163], v[4:5], -v[170:171]
	v_fmac_f64_e32 v[172:173], v[164:165], v[4:5]
	ds_load_b128 v[4:7], v2 offset:1904
	ds_load_b128 v[162:165], v2 offset:1920
	v_fmac_f64_e32 v[174:175], v[168:169], v[8:9]
	v_fma_f64 v[8:9], v[166:167], v[8:9], -v[10:11]
	s_wait_loadcnt_dscnt 0x501
	v_mul_f64_e32 v[176:177], v[4:5], v[14:15]
	v_mul_f64_e32 v[14:15], v[6:7], v[14:15]
	s_wait_loadcnt_dscnt 0x400
	v_mul_f64_e32 v[168:169], v[162:163], v[144:145]
	v_mul_f64_e32 v[144:145], v[164:165], v[144:145]
	v_add_f64_e32 v[10:11], 0, v[170:171]
	v_add_f64_e32 v[166:167], 0, v[172:173]
	v_fmac_f64_e32 v[176:177], v[6:7], v[12:13]
	v_fma_f64 v[12:13], v[4:5], v[12:13], -v[14:15]
	v_fmac_f64_e32 v[168:169], v[164:165], v[142:143]
	v_fma_f64 v[142:143], v[162:163], v[142:143], -v[144:145]
	v_add_f64_e32 v[14:15], v[10:11], v[8:9]
	v_add_f64_e32 v[166:167], v[166:167], v[174:175]
	ds_load_b128 v[4:7], v2 offset:1936
	ds_load_b128 v[8:11], v2 offset:1952
	s_wait_loadcnt_dscnt 0x301
	v_mul_f64_e32 v[170:171], v[4:5], v[148:149]
	v_mul_f64_e32 v[148:149], v[6:7], v[148:149]
	s_wait_loadcnt_dscnt 0x200
	v_mul_f64_e32 v[144:145], v[8:9], v[152:153]
	v_mul_f64_e32 v[152:153], v[10:11], v[152:153]
	v_add_f64_e32 v[12:13], v[14:15], v[12:13]
	v_add_f64_e32 v[14:15], v[166:167], v[176:177]
	v_fmac_f64_e32 v[170:171], v[6:7], v[146:147]
	v_fma_f64 v[146:147], v[4:5], v[146:147], -v[148:149]
	ds_load_b128 v[4:7], v2 offset:1968
	v_fmac_f64_e32 v[144:145], v[10:11], v[150:151]
	v_fma_f64 v[8:9], v[8:9], v[150:151], -v[152:153]
	v_add_f64_e32 v[12:13], v[12:13], v[142:143]
	v_add_f64_e32 v[14:15], v[14:15], v[168:169]
	s_wait_loadcnt_dscnt 0x100
	v_mul_f64_e32 v[142:143], v[4:5], v[156:157]
	v_mul_f64_e32 v[148:149], v[6:7], v[156:157]
	s_delay_alu instid0(VALU_DEP_4) | instskip(NEXT) | instid1(VALU_DEP_4)
	v_add_f64_e32 v[10:11], v[12:13], v[146:147]
	v_add_f64_e32 v[12:13], v[14:15], v[170:171]
	s_delay_alu instid0(VALU_DEP_4) | instskip(NEXT) | instid1(VALU_DEP_4)
	v_fmac_f64_e32 v[142:143], v[6:7], v[154:155]
	v_fma_f64 v[4:5], v[4:5], v[154:155], -v[148:149]
	s_delay_alu instid0(VALU_DEP_4) | instskip(NEXT) | instid1(VALU_DEP_4)
	v_add_f64_e32 v[6:7], v[10:11], v[8:9]
	v_add_f64_e32 v[8:9], v[12:13], v[144:145]
	s_delay_alu instid0(VALU_DEP_2) | instskip(NEXT) | instid1(VALU_DEP_2)
	v_add_f64_e32 v[4:5], v[6:7], v[4:5]
	v_add_f64_e32 v[6:7], v[8:9], v[142:143]
	s_wait_loadcnt 0x0
	s_delay_alu instid0(VALU_DEP_2) | instskip(NEXT) | instid1(VALU_DEP_2)
	v_add_f64_e64 v[4:5], v[158:159], -v[4:5]
	v_add_f64_e64 v[6:7], v[160:161], -v[6:7]
	scratch_store_b128 off, v[4:7], off offset:864
	s_wait_xcnt 0x0
	v_cmpx_lt_u32_e32 53, v1
	s_cbranch_execz .LBB61_291
; %bb.290:
	scratch_load_b128 v[6:9], off, s10
	v_dual_mov_b32 v3, v2 :: v_dual_mov_b32 v4, v2
	v_mov_b32_e32 v5, v2
	scratch_store_b128 off, v[2:5], off offset:848
	s_wait_loadcnt 0x0
	ds_store_b128 v16, v[6:9]
.LBB61_291:
	s_wait_xcnt 0x0
	s_or_b32 exec_lo, exec_lo, s2
	s_wait_storecnt_dscnt 0x0
	s_barrier_signal -1
	s_barrier_wait -1
	s_clause 0x7
	scratch_load_b128 v[4:7], off, off offset:864
	scratch_load_b128 v[8:11], off, off offset:880
	;; [unrolled: 1-line block ×8, first 2 shown]
	ds_load_b128 v[162:165], v2 offset:1856
	ds_load_b128 v[166:169], v2 offset:1872
	scratch_load_b128 v[170:173], off, off offset:848
	s_mov_b32 s2, exec_lo
	s_wait_loadcnt_dscnt 0x801
	v_mul_f64_e32 v[174:175], v[164:165], v[6:7]
	v_mul_f64_e32 v[176:177], v[162:163], v[6:7]
	s_wait_loadcnt_dscnt 0x700
	v_mul_f64_e32 v[178:179], v[166:167], v[10:11]
	v_mul_f64_e32 v[10:11], v[168:169], v[10:11]
	s_delay_alu instid0(VALU_DEP_4) | instskip(NEXT) | instid1(VALU_DEP_4)
	v_fma_f64 v[174:175], v[162:163], v[4:5], -v[174:175]
	v_fmac_f64_e32 v[176:177], v[164:165], v[4:5]
	ds_load_b128 v[4:7], v2 offset:1888
	ds_load_b128 v[162:165], v2 offset:1904
	v_fmac_f64_e32 v[178:179], v[168:169], v[8:9]
	v_fma_f64 v[8:9], v[166:167], v[8:9], -v[10:11]
	s_wait_loadcnt_dscnt 0x601
	v_mul_f64_e32 v[180:181], v[4:5], v[14:15]
	v_mul_f64_e32 v[14:15], v[6:7], v[14:15]
	s_wait_loadcnt_dscnt 0x500
	v_mul_f64_e32 v[168:169], v[162:163], v[144:145]
	v_mul_f64_e32 v[144:145], v[164:165], v[144:145]
	v_add_f64_e32 v[10:11], 0, v[174:175]
	v_add_f64_e32 v[166:167], 0, v[176:177]
	v_fmac_f64_e32 v[180:181], v[6:7], v[12:13]
	v_fma_f64 v[12:13], v[4:5], v[12:13], -v[14:15]
	v_fmac_f64_e32 v[168:169], v[164:165], v[142:143]
	v_fma_f64 v[142:143], v[162:163], v[142:143], -v[144:145]
	v_add_f64_e32 v[14:15], v[10:11], v[8:9]
	v_add_f64_e32 v[166:167], v[166:167], v[178:179]
	ds_load_b128 v[4:7], v2 offset:1920
	ds_load_b128 v[8:11], v2 offset:1936
	s_wait_loadcnt_dscnt 0x401
	v_mul_f64_e32 v[174:175], v[4:5], v[148:149]
	v_mul_f64_e32 v[148:149], v[6:7], v[148:149]
	s_wait_loadcnt_dscnt 0x300
	v_mul_f64_e32 v[144:145], v[8:9], v[152:153]
	v_mul_f64_e32 v[152:153], v[10:11], v[152:153]
	v_add_f64_e32 v[12:13], v[14:15], v[12:13]
	v_add_f64_e32 v[14:15], v[166:167], v[180:181]
	v_fmac_f64_e32 v[174:175], v[6:7], v[146:147]
	v_fma_f64 v[146:147], v[4:5], v[146:147], -v[148:149]
	v_fmac_f64_e32 v[144:145], v[10:11], v[150:151]
	v_fma_f64 v[8:9], v[8:9], v[150:151], -v[152:153]
	v_add_f64_e32 v[142:143], v[12:13], v[142:143]
	v_add_f64_e32 v[148:149], v[14:15], v[168:169]
	ds_load_b128 v[4:7], v2 offset:1952
	ds_load_b128 v[12:15], v2 offset:1968
	s_wait_loadcnt_dscnt 0x201
	v_mul_f64_e32 v[2:3], v[4:5], v[156:157]
	v_mul_f64_e32 v[156:157], v[6:7], v[156:157]
	v_add_f64_e32 v[10:11], v[142:143], v[146:147]
	v_add_f64_e32 v[142:143], v[148:149], v[174:175]
	s_wait_loadcnt_dscnt 0x100
	v_mul_f64_e32 v[146:147], v[12:13], v[160:161]
	v_mul_f64_e32 v[148:149], v[14:15], v[160:161]
	v_fmac_f64_e32 v[2:3], v[6:7], v[154:155]
	v_fma_f64 v[4:5], v[4:5], v[154:155], -v[156:157]
	v_add_f64_e32 v[6:7], v[10:11], v[8:9]
	v_add_f64_e32 v[8:9], v[142:143], v[144:145]
	v_fmac_f64_e32 v[146:147], v[14:15], v[158:159]
	v_fma_f64 v[10:11], v[12:13], v[158:159], -v[148:149]
	s_delay_alu instid0(VALU_DEP_4) | instskip(NEXT) | instid1(VALU_DEP_4)
	v_add_f64_e32 v[4:5], v[6:7], v[4:5]
	v_add_f64_e32 v[2:3], v[8:9], v[2:3]
	s_delay_alu instid0(VALU_DEP_2) | instskip(NEXT) | instid1(VALU_DEP_2)
	v_add_f64_e32 v[4:5], v[4:5], v[10:11]
	v_add_f64_e32 v[6:7], v[2:3], v[146:147]
	s_wait_loadcnt 0x0
	s_delay_alu instid0(VALU_DEP_2) | instskip(NEXT) | instid1(VALU_DEP_2)
	v_add_f64_e64 v[2:3], v[170:171], -v[4:5]
	v_add_f64_e64 v[4:5], v[172:173], -v[6:7]
	scratch_store_b128 off, v[2:5], off offset:848
	s_wait_xcnt 0x0
	v_cmpx_lt_u32_e32 52, v1
	s_cbranch_execz .LBB61_293
; %bb.292:
	scratch_load_b128 v[2:5], off, s13
	v_mov_b32_e32 v6, 0
	s_delay_alu instid0(VALU_DEP_1)
	v_dual_mov_b32 v7, v6 :: v_dual_mov_b32 v8, v6
	v_mov_b32_e32 v9, v6
	scratch_store_b128 off, v[6:9], off offset:832
	s_wait_loadcnt 0x0
	ds_store_b128 v16, v[2:5]
.LBB61_293:
	s_wait_xcnt 0x0
	s_or_b32 exec_lo, exec_lo, s2
	s_wait_storecnt_dscnt 0x0
	s_barrier_signal -1
	s_barrier_wait -1
	s_clause 0x8
	scratch_load_b128 v[4:7], off, off offset:848
	scratch_load_b128 v[8:11], off, off offset:864
	;; [unrolled: 1-line block ×9, first 2 shown]
	v_mov_b32_e32 v2, 0
	scratch_load_b128 v[170:173], off, off offset:832
	s_mov_b32 s2, exec_lo
	ds_load_b128 v[166:169], v2 offset:1840
	ds_load_b128 v[174:177], v2 offset:1856
	s_wait_loadcnt_dscnt 0x901
	v_mul_f64_e32 v[178:179], v[168:169], v[6:7]
	v_mul_f64_e32 v[180:181], v[166:167], v[6:7]
	s_wait_loadcnt_dscnt 0x800
	v_mul_f64_e32 v[182:183], v[174:175], v[10:11]
	v_mul_f64_e32 v[10:11], v[176:177], v[10:11]
	s_delay_alu instid0(VALU_DEP_4) | instskip(NEXT) | instid1(VALU_DEP_4)
	v_fma_f64 v[178:179], v[166:167], v[4:5], -v[178:179]
	v_fmac_f64_e32 v[180:181], v[168:169], v[4:5]
	ds_load_b128 v[4:7], v2 offset:1872
	ds_load_b128 v[166:169], v2 offset:1888
	v_fmac_f64_e32 v[182:183], v[176:177], v[8:9]
	v_fma_f64 v[8:9], v[174:175], v[8:9], -v[10:11]
	s_wait_loadcnt_dscnt 0x701
	v_mul_f64_e32 v[184:185], v[4:5], v[14:15]
	v_mul_f64_e32 v[14:15], v[6:7], v[14:15]
	s_wait_loadcnt_dscnt 0x600
	v_mul_f64_e32 v[176:177], v[166:167], v[144:145]
	v_mul_f64_e32 v[144:145], v[168:169], v[144:145]
	v_add_f64_e32 v[10:11], 0, v[178:179]
	v_add_f64_e32 v[174:175], 0, v[180:181]
	v_fmac_f64_e32 v[184:185], v[6:7], v[12:13]
	v_fma_f64 v[12:13], v[4:5], v[12:13], -v[14:15]
	v_fmac_f64_e32 v[176:177], v[168:169], v[142:143]
	v_fma_f64 v[142:143], v[166:167], v[142:143], -v[144:145]
	v_add_f64_e32 v[14:15], v[10:11], v[8:9]
	v_add_f64_e32 v[174:175], v[174:175], v[182:183]
	ds_load_b128 v[4:7], v2 offset:1904
	ds_load_b128 v[8:11], v2 offset:1920
	s_wait_loadcnt_dscnt 0x501
	v_mul_f64_e32 v[178:179], v[4:5], v[148:149]
	v_mul_f64_e32 v[148:149], v[6:7], v[148:149]
	s_wait_loadcnt_dscnt 0x400
	v_mul_f64_e32 v[144:145], v[8:9], v[152:153]
	v_mul_f64_e32 v[152:153], v[10:11], v[152:153]
	v_add_f64_e32 v[12:13], v[14:15], v[12:13]
	v_add_f64_e32 v[14:15], v[174:175], v[184:185]
	v_fmac_f64_e32 v[178:179], v[6:7], v[146:147]
	v_fma_f64 v[146:147], v[4:5], v[146:147], -v[148:149]
	v_fmac_f64_e32 v[144:145], v[10:11], v[150:151]
	v_fma_f64 v[8:9], v[8:9], v[150:151], -v[152:153]
	v_add_f64_e32 v[142:143], v[12:13], v[142:143]
	v_add_f64_e32 v[148:149], v[14:15], v[176:177]
	ds_load_b128 v[4:7], v2 offset:1936
	ds_load_b128 v[12:15], v2 offset:1952
	s_wait_loadcnt_dscnt 0x301
	v_mul_f64_e32 v[166:167], v[4:5], v[156:157]
	v_mul_f64_e32 v[156:157], v[6:7], v[156:157]
	v_add_f64_e32 v[10:11], v[142:143], v[146:147]
	v_add_f64_e32 v[142:143], v[148:149], v[178:179]
	s_wait_loadcnt_dscnt 0x200
	v_mul_f64_e32 v[146:147], v[12:13], v[160:161]
	v_mul_f64_e32 v[148:149], v[14:15], v[160:161]
	v_fmac_f64_e32 v[166:167], v[6:7], v[154:155]
	v_fma_f64 v[150:151], v[4:5], v[154:155], -v[156:157]
	ds_load_b128 v[4:7], v2 offset:1968
	v_add_f64_e32 v[8:9], v[10:11], v[8:9]
	v_add_f64_e32 v[10:11], v[142:143], v[144:145]
	v_fmac_f64_e32 v[146:147], v[14:15], v[158:159]
	v_fma_f64 v[12:13], v[12:13], v[158:159], -v[148:149]
	s_wait_loadcnt_dscnt 0x100
	v_mul_f64_e32 v[142:143], v[4:5], v[164:165]
	v_mul_f64_e32 v[144:145], v[6:7], v[164:165]
	v_add_f64_e32 v[8:9], v[8:9], v[150:151]
	v_add_f64_e32 v[10:11], v[10:11], v[166:167]
	s_delay_alu instid0(VALU_DEP_4) | instskip(NEXT) | instid1(VALU_DEP_4)
	v_fmac_f64_e32 v[142:143], v[6:7], v[162:163]
	v_fma_f64 v[4:5], v[4:5], v[162:163], -v[144:145]
	s_delay_alu instid0(VALU_DEP_4) | instskip(NEXT) | instid1(VALU_DEP_4)
	v_add_f64_e32 v[6:7], v[8:9], v[12:13]
	v_add_f64_e32 v[8:9], v[10:11], v[146:147]
	s_delay_alu instid0(VALU_DEP_2) | instskip(NEXT) | instid1(VALU_DEP_2)
	v_add_f64_e32 v[4:5], v[6:7], v[4:5]
	v_add_f64_e32 v[6:7], v[8:9], v[142:143]
	s_wait_loadcnt 0x0
	s_delay_alu instid0(VALU_DEP_2) | instskip(NEXT) | instid1(VALU_DEP_2)
	v_add_f64_e64 v[4:5], v[170:171], -v[4:5]
	v_add_f64_e64 v[6:7], v[172:173], -v[6:7]
	scratch_store_b128 off, v[4:7], off offset:832
	s_wait_xcnt 0x0
	v_cmpx_lt_u32_e32 51, v1
	s_cbranch_execz .LBB61_295
; %bb.294:
	scratch_load_b128 v[6:9], off, s12
	v_dual_mov_b32 v3, v2 :: v_dual_mov_b32 v4, v2
	v_mov_b32_e32 v5, v2
	scratch_store_b128 off, v[2:5], off offset:816
	s_wait_loadcnt 0x0
	ds_store_b128 v16, v[6:9]
.LBB61_295:
	s_wait_xcnt 0x0
	s_or_b32 exec_lo, exec_lo, s2
	s_wait_storecnt_dscnt 0x0
	s_barrier_signal -1
	s_barrier_wait -1
	s_clause 0x9
	scratch_load_b128 v[4:7], off, off offset:832
	scratch_load_b128 v[8:11], off, off offset:848
	scratch_load_b128 v[12:15], off, off offset:864
	scratch_load_b128 v[142:145], off, off offset:880
	scratch_load_b128 v[146:149], off, off offset:896
	scratch_load_b128 v[150:153], off, off offset:912
	scratch_load_b128 v[154:157], off, off offset:928
	scratch_load_b128 v[158:161], off, off offset:944
	scratch_load_b128 v[162:165], off, off offset:960
	scratch_load_b128 v[166:169], off, off offset:976
	ds_load_b128 v[170:173], v2 offset:1824
	ds_load_b128 v[174:177], v2 offset:1840
	scratch_load_b128 v[178:181], off, off offset:816
	s_mov_b32 s2, exec_lo
	s_wait_loadcnt_dscnt 0xa01
	v_mul_f64_e32 v[182:183], v[172:173], v[6:7]
	v_mul_f64_e32 v[184:185], v[170:171], v[6:7]
	s_wait_loadcnt_dscnt 0x900
	v_mul_f64_e32 v[186:187], v[174:175], v[10:11]
	v_mul_f64_e32 v[10:11], v[176:177], v[10:11]
	s_delay_alu instid0(VALU_DEP_4) | instskip(NEXT) | instid1(VALU_DEP_4)
	v_fma_f64 v[182:183], v[170:171], v[4:5], -v[182:183]
	v_fmac_f64_e32 v[184:185], v[172:173], v[4:5]
	ds_load_b128 v[4:7], v2 offset:1856
	ds_load_b128 v[170:173], v2 offset:1872
	v_fmac_f64_e32 v[186:187], v[176:177], v[8:9]
	v_fma_f64 v[8:9], v[174:175], v[8:9], -v[10:11]
	s_wait_loadcnt_dscnt 0x801
	v_mul_f64_e32 v[188:189], v[4:5], v[14:15]
	v_mul_f64_e32 v[14:15], v[6:7], v[14:15]
	s_wait_loadcnt_dscnt 0x700
	v_mul_f64_e32 v[176:177], v[170:171], v[144:145]
	v_mul_f64_e32 v[144:145], v[172:173], v[144:145]
	v_add_f64_e32 v[10:11], 0, v[182:183]
	v_add_f64_e32 v[174:175], 0, v[184:185]
	v_fmac_f64_e32 v[188:189], v[6:7], v[12:13]
	v_fma_f64 v[12:13], v[4:5], v[12:13], -v[14:15]
	v_fmac_f64_e32 v[176:177], v[172:173], v[142:143]
	v_fma_f64 v[142:143], v[170:171], v[142:143], -v[144:145]
	v_add_f64_e32 v[14:15], v[10:11], v[8:9]
	v_add_f64_e32 v[174:175], v[174:175], v[186:187]
	ds_load_b128 v[4:7], v2 offset:1888
	ds_load_b128 v[8:11], v2 offset:1904
	s_wait_loadcnt_dscnt 0x601
	v_mul_f64_e32 v[182:183], v[4:5], v[148:149]
	v_mul_f64_e32 v[148:149], v[6:7], v[148:149]
	s_wait_loadcnt_dscnt 0x500
	v_mul_f64_e32 v[144:145], v[8:9], v[152:153]
	v_mul_f64_e32 v[152:153], v[10:11], v[152:153]
	v_add_f64_e32 v[12:13], v[14:15], v[12:13]
	v_add_f64_e32 v[14:15], v[174:175], v[188:189]
	v_fmac_f64_e32 v[182:183], v[6:7], v[146:147]
	v_fma_f64 v[146:147], v[4:5], v[146:147], -v[148:149]
	v_fmac_f64_e32 v[144:145], v[10:11], v[150:151]
	v_fma_f64 v[8:9], v[8:9], v[150:151], -v[152:153]
	v_add_f64_e32 v[142:143], v[12:13], v[142:143]
	v_add_f64_e32 v[148:149], v[14:15], v[176:177]
	ds_load_b128 v[4:7], v2 offset:1920
	ds_load_b128 v[12:15], v2 offset:1936
	s_wait_loadcnt_dscnt 0x401
	v_mul_f64_e32 v[170:171], v[4:5], v[156:157]
	v_mul_f64_e32 v[156:157], v[6:7], v[156:157]
	v_add_f64_e32 v[10:11], v[142:143], v[146:147]
	v_add_f64_e32 v[142:143], v[148:149], v[182:183]
	s_wait_loadcnt_dscnt 0x300
	v_mul_f64_e32 v[146:147], v[12:13], v[160:161]
	v_mul_f64_e32 v[148:149], v[14:15], v[160:161]
	v_fmac_f64_e32 v[170:171], v[6:7], v[154:155]
	v_fma_f64 v[150:151], v[4:5], v[154:155], -v[156:157]
	v_add_f64_e32 v[152:153], v[10:11], v[8:9]
	v_add_f64_e32 v[142:143], v[142:143], v[144:145]
	ds_load_b128 v[4:7], v2 offset:1952
	ds_load_b128 v[8:11], v2 offset:1968
	v_fmac_f64_e32 v[146:147], v[14:15], v[158:159]
	v_fma_f64 v[12:13], v[12:13], v[158:159], -v[148:149]
	s_wait_loadcnt_dscnt 0x201
	v_mul_f64_e32 v[2:3], v[4:5], v[164:165]
	v_mul_f64_e32 v[144:145], v[6:7], v[164:165]
	s_wait_loadcnt_dscnt 0x100
	v_mul_f64_e32 v[148:149], v[8:9], v[168:169]
	v_add_f64_e32 v[14:15], v[152:153], v[150:151]
	v_add_f64_e32 v[142:143], v[142:143], v[170:171]
	v_mul_f64_e32 v[150:151], v[10:11], v[168:169]
	v_fmac_f64_e32 v[2:3], v[6:7], v[162:163]
	v_fma_f64 v[4:5], v[4:5], v[162:163], -v[144:145]
	v_fmac_f64_e32 v[148:149], v[10:11], v[166:167]
	v_add_f64_e32 v[6:7], v[14:15], v[12:13]
	v_add_f64_e32 v[12:13], v[142:143], v[146:147]
	v_fma_f64 v[8:9], v[8:9], v[166:167], -v[150:151]
	s_delay_alu instid0(VALU_DEP_3) | instskip(NEXT) | instid1(VALU_DEP_3)
	v_add_f64_e32 v[4:5], v[6:7], v[4:5]
	v_add_f64_e32 v[2:3], v[12:13], v[2:3]
	s_delay_alu instid0(VALU_DEP_2) | instskip(NEXT) | instid1(VALU_DEP_2)
	v_add_f64_e32 v[4:5], v[4:5], v[8:9]
	v_add_f64_e32 v[6:7], v[2:3], v[148:149]
	s_wait_loadcnt 0x0
	s_delay_alu instid0(VALU_DEP_2) | instskip(NEXT) | instid1(VALU_DEP_2)
	v_add_f64_e64 v[2:3], v[178:179], -v[4:5]
	v_add_f64_e64 v[4:5], v[180:181], -v[6:7]
	scratch_store_b128 off, v[2:5], off offset:816
	s_wait_xcnt 0x0
	v_cmpx_lt_u32_e32 50, v1
	s_cbranch_execz .LBB61_297
; %bb.296:
	scratch_load_b128 v[2:5], off, s15
	v_mov_b32_e32 v6, 0
	s_delay_alu instid0(VALU_DEP_1)
	v_dual_mov_b32 v7, v6 :: v_dual_mov_b32 v8, v6
	v_mov_b32_e32 v9, v6
	scratch_store_b128 off, v[6:9], off offset:800
	s_wait_loadcnt 0x0
	ds_store_b128 v16, v[2:5]
.LBB61_297:
	s_wait_xcnt 0x0
	s_or_b32 exec_lo, exec_lo, s2
	s_wait_storecnt_dscnt 0x0
	s_barrier_signal -1
	s_barrier_wait -1
	s_clause 0x9
	scratch_load_b128 v[4:7], off, off offset:816
	scratch_load_b128 v[8:11], off, off offset:832
	;; [unrolled: 1-line block ×10, first 2 shown]
	v_mov_b32_e32 v2, 0
	s_mov_b32 s2, exec_lo
	ds_load_b128 v[170:173], v2 offset:1808
	s_clause 0x1
	scratch_load_b128 v[174:177], off, off offset:976
	scratch_load_b128 v[178:181], off, off offset:800
	s_wait_loadcnt_dscnt 0xb00
	v_mul_f64_e32 v[186:187], v[172:173], v[6:7]
	v_mul_f64_e32 v[188:189], v[170:171], v[6:7]
	ds_load_b128 v[182:185], v2 offset:1824
	s_wait_loadcnt_dscnt 0xa00
	v_mul_f64_e32 v[190:191], v[182:183], v[10:11]
	v_mul_f64_e32 v[10:11], v[184:185], v[10:11]
	v_fma_f64 v[186:187], v[170:171], v[4:5], -v[186:187]
	v_fmac_f64_e32 v[188:189], v[172:173], v[4:5]
	ds_load_b128 v[4:7], v2 offset:1840
	ds_load_b128 v[170:173], v2 offset:1856
	s_wait_loadcnt_dscnt 0x901
	v_mul_f64_e32 v[192:193], v[4:5], v[14:15]
	v_mul_f64_e32 v[14:15], v[6:7], v[14:15]
	v_fmac_f64_e32 v[190:191], v[184:185], v[8:9]
	v_fma_f64 v[8:9], v[182:183], v[8:9], -v[10:11]
	s_wait_loadcnt_dscnt 0x800
	v_mul_f64_e32 v[184:185], v[170:171], v[144:145]
	v_mul_f64_e32 v[144:145], v[172:173], v[144:145]
	v_add_f64_e32 v[10:11], 0, v[186:187]
	v_add_f64_e32 v[182:183], 0, v[188:189]
	v_fmac_f64_e32 v[192:193], v[6:7], v[12:13]
	v_fma_f64 v[12:13], v[4:5], v[12:13], -v[14:15]
	v_fmac_f64_e32 v[184:185], v[172:173], v[142:143]
	v_fma_f64 v[142:143], v[170:171], v[142:143], -v[144:145]
	v_add_f64_e32 v[14:15], v[10:11], v[8:9]
	v_add_f64_e32 v[182:183], v[182:183], v[190:191]
	ds_load_b128 v[4:7], v2 offset:1872
	ds_load_b128 v[8:11], v2 offset:1888
	s_wait_loadcnt_dscnt 0x701
	v_mul_f64_e32 v[186:187], v[4:5], v[148:149]
	v_mul_f64_e32 v[148:149], v[6:7], v[148:149]
	s_wait_loadcnt_dscnt 0x600
	v_mul_f64_e32 v[144:145], v[8:9], v[152:153]
	v_mul_f64_e32 v[152:153], v[10:11], v[152:153]
	v_add_f64_e32 v[12:13], v[14:15], v[12:13]
	v_add_f64_e32 v[14:15], v[182:183], v[192:193]
	v_fmac_f64_e32 v[186:187], v[6:7], v[146:147]
	v_fma_f64 v[146:147], v[4:5], v[146:147], -v[148:149]
	v_fmac_f64_e32 v[144:145], v[10:11], v[150:151]
	v_fma_f64 v[8:9], v[8:9], v[150:151], -v[152:153]
	v_add_f64_e32 v[142:143], v[12:13], v[142:143]
	v_add_f64_e32 v[148:149], v[14:15], v[184:185]
	ds_load_b128 v[4:7], v2 offset:1904
	ds_load_b128 v[12:15], v2 offset:1920
	s_wait_loadcnt_dscnt 0x501
	v_mul_f64_e32 v[170:171], v[4:5], v[156:157]
	v_mul_f64_e32 v[156:157], v[6:7], v[156:157]
	v_add_f64_e32 v[10:11], v[142:143], v[146:147]
	v_add_f64_e32 v[142:143], v[148:149], v[186:187]
	s_wait_loadcnt_dscnt 0x400
	v_mul_f64_e32 v[146:147], v[12:13], v[160:161]
	v_mul_f64_e32 v[148:149], v[14:15], v[160:161]
	v_fmac_f64_e32 v[170:171], v[6:7], v[154:155]
	v_fma_f64 v[150:151], v[4:5], v[154:155], -v[156:157]
	v_add_f64_e32 v[152:153], v[10:11], v[8:9]
	v_add_f64_e32 v[142:143], v[142:143], v[144:145]
	ds_load_b128 v[4:7], v2 offset:1936
	ds_load_b128 v[8:11], v2 offset:1952
	v_fmac_f64_e32 v[146:147], v[14:15], v[158:159]
	v_fma_f64 v[12:13], v[12:13], v[158:159], -v[148:149]
	s_wait_loadcnt_dscnt 0x301
	v_mul_f64_e32 v[144:145], v[4:5], v[164:165]
	v_mul_f64_e32 v[154:155], v[6:7], v[164:165]
	s_wait_loadcnt_dscnt 0x200
	v_mul_f64_e32 v[148:149], v[8:9], v[168:169]
	v_add_f64_e32 v[14:15], v[152:153], v[150:151]
	v_add_f64_e32 v[142:143], v[142:143], v[170:171]
	v_mul_f64_e32 v[150:151], v[10:11], v[168:169]
	v_fmac_f64_e32 v[144:145], v[6:7], v[162:163]
	v_fma_f64 v[152:153], v[4:5], v[162:163], -v[154:155]
	ds_load_b128 v[4:7], v2 offset:1968
	v_fmac_f64_e32 v[148:149], v[10:11], v[166:167]
	v_add_f64_e32 v[12:13], v[14:15], v[12:13]
	v_add_f64_e32 v[14:15], v[142:143], v[146:147]
	v_fma_f64 v[8:9], v[8:9], v[166:167], -v[150:151]
	s_wait_loadcnt_dscnt 0x100
	v_mul_f64_e32 v[142:143], v[4:5], v[176:177]
	v_mul_f64_e32 v[146:147], v[6:7], v[176:177]
	v_add_f64_e32 v[10:11], v[12:13], v[152:153]
	v_add_f64_e32 v[12:13], v[14:15], v[144:145]
	s_delay_alu instid0(VALU_DEP_4) | instskip(NEXT) | instid1(VALU_DEP_4)
	v_fmac_f64_e32 v[142:143], v[6:7], v[174:175]
	v_fma_f64 v[4:5], v[4:5], v[174:175], -v[146:147]
	s_delay_alu instid0(VALU_DEP_4) | instskip(NEXT) | instid1(VALU_DEP_4)
	v_add_f64_e32 v[6:7], v[10:11], v[8:9]
	v_add_f64_e32 v[8:9], v[12:13], v[148:149]
	s_delay_alu instid0(VALU_DEP_2) | instskip(NEXT) | instid1(VALU_DEP_2)
	v_add_f64_e32 v[4:5], v[6:7], v[4:5]
	v_add_f64_e32 v[6:7], v[8:9], v[142:143]
	s_wait_loadcnt 0x0
	s_delay_alu instid0(VALU_DEP_2) | instskip(NEXT) | instid1(VALU_DEP_2)
	v_add_f64_e64 v[4:5], v[178:179], -v[4:5]
	v_add_f64_e64 v[6:7], v[180:181], -v[6:7]
	scratch_store_b128 off, v[4:7], off offset:800
	s_wait_xcnt 0x0
	v_cmpx_lt_u32_e32 49, v1
	s_cbranch_execz .LBB61_299
; %bb.298:
	scratch_load_b128 v[6:9], off, s14
	v_dual_mov_b32 v3, v2 :: v_dual_mov_b32 v4, v2
	v_mov_b32_e32 v5, v2
	scratch_store_b128 off, v[2:5], off offset:784
	s_wait_loadcnt 0x0
	ds_store_b128 v16, v[6:9]
.LBB61_299:
	s_wait_xcnt 0x0
	s_or_b32 exec_lo, exec_lo, s2
	s_wait_storecnt_dscnt 0x0
	s_barrier_signal -1
	s_barrier_wait -1
	s_clause 0x9
	scratch_load_b128 v[4:7], off, off offset:800
	scratch_load_b128 v[8:11], off, off offset:816
	;; [unrolled: 1-line block ×10, first 2 shown]
	ds_load_b128 v[170:173], v2 offset:1792
	ds_load_b128 v[178:181], v2 offset:1808
	s_clause 0x2
	scratch_load_b128 v[174:177], off, off offset:960
	scratch_load_b128 v[182:185], off, off offset:784
	;; [unrolled: 1-line block ×3, first 2 shown]
	s_mov_b32 s2, exec_lo
	s_wait_loadcnt_dscnt 0xc01
	v_mul_f64_e32 v[190:191], v[172:173], v[6:7]
	v_mul_f64_e32 v[192:193], v[170:171], v[6:7]
	s_wait_loadcnt_dscnt 0xb00
	v_mul_f64_e32 v[194:195], v[178:179], v[10:11]
	v_mul_f64_e32 v[10:11], v[180:181], v[10:11]
	s_delay_alu instid0(VALU_DEP_4) | instskip(NEXT) | instid1(VALU_DEP_4)
	v_fma_f64 v[190:191], v[170:171], v[4:5], -v[190:191]
	v_fmac_f64_e32 v[192:193], v[172:173], v[4:5]
	ds_load_b128 v[4:7], v2 offset:1824
	ds_load_b128 v[170:173], v2 offset:1840
	v_fmac_f64_e32 v[194:195], v[180:181], v[8:9]
	v_fma_f64 v[8:9], v[178:179], v[8:9], -v[10:11]
	s_wait_loadcnt_dscnt 0xa01
	v_mul_f64_e32 v[196:197], v[4:5], v[14:15]
	v_mul_f64_e32 v[14:15], v[6:7], v[14:15]
	s_wait_loadcnt_dscnt 0x900
	v_mul_f64_e32 v[180:181], v[170:171], v[144:145]
	v_mul_f64_e32 v[144:145], v[172:173], v[144:145]
	v_add_f64_e32 v[10:11], 0, v[190:191]
	v_add_f64_e32 v[178:179], 0, v[192:193]
	v_fmac_f64_e32 v[196:197], v[6:7], v[12:13]
	v_fma_f64 v[12:13], v[4:5], v[12:13], -v[14:15]
	v_fmac_f64_e32 v[180:181], v[172:173], v[142:143]
	v_fma_f64 v[142:143], v[170:171], v[142:143], -v[144:145]
	v_add_f64_e32 v[14:15], v[10:11], v[8:9]
	v_add_f64_e32 v[178:179], v[178:179], v[194:195]
	ds_load_b128 v[4:7], v2 offset:1856
	ds_load_b128 v[8:11], v2 offset:1872
	s_wait_loadcnt_dscnt 0x801
	v_mul_f64_e32 v[190:191], v[4:5], v[148:149]
	v_mul_f64_e32 v[148:149], v[6:7], v[148:149]
	s_wait_loadcnt_dscnt 0x700
	v_mul_f64_e32 v[144:145], v[8:9], v[152:153]
	v_mul_f64_e32 v[152:153], v[10:11], v[152:153]
	v_add_f64_e32 v[12:13], v[14:15], v[12:13]
	v_add_f64_e32 v[14:15], v[178:179], v[196:197]
	v_fmac_f64_e32 v[190:191], v[6:7], v[146:147]
	v_fma_f64 v[146:147], v[4:5], v[146:147], -v[148:149]
	v_fmac_f64_e32 v[144:145], v[10:11], v[150:151]
	v_fma_f64 v[8:9], v[8:9], v[150:151], -v[152:153]
	v_add_f64_e32 v[142:143], v[12:13], v[142:143]
	v_add_f64_e32 v[148:149], v[14:15], v[180:181]
	ds_load_b128 v[4:7], v2 offset:1888
	ds_load_b128 v[12:15], v2 offset:1904
	s_wait_loadcnt_dscnt 0x601
	v_mul_f64_e32 v[170:171], v[4:5], v[156:157]
	v_mul_f64_e32 v[156:157], v[6:7], v[156:157]
	v_add_f64_e32 v[10:11], v[142:143], v[146:147]
	v_add_f64_e32 v[142:143], v[148:149], v[190:191]
	s_wait_loadcnt_dscnt 0x500
	v_mul_f64_e32 v[146:147], v[12:13], v[160:161]
	v_mul_f64_e32 v[148:149], v[14:15], v[160:161]
	v_fmac_f64_e32 v[170:171], v[6:7], v[154:155]
	v_fma_f64 v[150:151], v[4:5], v[154:155], -v[156:157]
	v_add_f64_e32 v[152:153], v[10:11], v[8:9]
	v_add_f64_e32 v[142:143], v[142:143], v[144:145]
	ds_load_b128 v[4:7], v2 offset:1920
	ds_load_b128 v[8:11], v2 offset:1936
	v_fmac_f64_e32 v[146:147], v[14:15], v[158:159]
	v_fma_f64 v[12:13], v[12:13], v[158:159], -v[148:149]
	s_wait_loadcnt_dscnt 0x401
	v_mul_f64_e32 v[144:145], v[4:5], v[164:165]
	v_mul_f64_e32 v[154:155], v[6:7], v[164:165]
	s_wait_loadcnt_dscnt 0x300
	v_mul_f64_e32 v[148:149], v[8:9], v[168:169]
	v_add_f64_e32 v[14:15], v[152:153], v[150:151]
	v_add_f64_e32 v[142:143], v[142:143], v[170:171]
	v_mul_f64_e32 v[150:151], v[10:11], v[168:169]
	v_fmac_f64_e32 v[144:145], v[6:7], v[162:163]
	v_fma_f64 v[152:153], v[4:5], v[162:163], -v[154:155]
	v_fmac_f64_e32 v[148:149], v[10:11], v[166:167]
	v_add_f64_e32 v[154:155], v[14:15], v[12:13]
	v_add_f64_e32 v[142:143], v[142:143], v[146:147]
	ds_load_b128 v[4:7], v2 offset:1952
	ds_load_b128 v[12:15], v2 offset:1968
	v_fma_f64 v[8:9], v[8:9], v[166:167], -v[150:151]
	s_wait_loadcnt_dscnt 0x201
	v_mul_f64_e32 v[2:3], v[4:5], v[176:177]
	v_mul_f64_e32 v[146:147], v[6:7], v[176:177]
	s_wait_loadcnt_dscnt 0x0
	v_mul_f64_e32 v[150:151], v[14:15], v[188:189]
	v_add_f64_e32 v[10:11], v[154:155], v[152:153]
	v_add_f64_e32 v[142:143], v[142:143], v[144:145]
	v_mul_f64_e32 v[144:145], v[12:13], v[188:189]
	v_fmac_f64_e32 v[2:3], v[6:7], v[174:175]
	v_fma_f64 v[4:5], v[4:5], v[174:175], -v[146:147]
	v_add_f64_e32 v[6:7], v[10:11], v[8:9]
	v_add_f64_e32 v[8:9], v[142:143], v[148:149]
	v_fmac_f64_e32 v[144:145], v[14:15], v[186:187]
	v_fma_f64 v[10:11], v[12:13], v[186:187], -v[150:151]
	s_delay_alu instid0(VALU_DEP_4) | instskip(NEXT) | instid1(VALU_DEP_4)
	v_add_f64_e32 v[4:5], v[6:7], v[4:5]
	v_add_f64_e32 v[2:3], v[8:9], v[2:3]
	s_delay_alu instid0(VALU_DEP_2) | instskip(NEXT) | instid1(VALU_DEP_2)
	v_add_f64_e32 v[4:5], v[4:5], v[10:11]
	v_add_f64_e32 v[6:7], v[2:3], v[144:145]
	s_delay_alu instid0(VALU_DEP_2) | instskip(NEXT) | instid1(VALU_DEP_2)
	v_add_f64_e64 v[2:3], v[182:183], -v[4:5]
	v_add_f64_e64 v[4:5], v[184:185], -v[6:7]
	scratch_store_b128 off, v[2:5], off offset:784
	s_wait_xcnt 0x0
	v_cmpx_lt_u32_e32 48, v1
	s_cbranch_execz .LBB61_301
; %bb.300:
	scratch_load_b128 v[2:5], off, s21
	v_mov_b32_e32 v6, 0
	s_delay_alu instid0(VALU_DEP_1)
	v_dual_mov_b32 v7, v6 :: v_dual_mov_b32 v8, v6
	v_mov_b32_e32 v9, v6
	scratch_store_b128 off, v[6:9], off offset:768
	s_wait_loadcnt 0x0
	ds_store_b128 v16, v[2:5]
.LBB61_301:
	s_wait_xcnt 0x0
	s_or_b32 exec_lo, exec_lo, s2
	s_wait_storecnt_dscnt 0x0
	s_barrier_signal -1
	s_barrier_wait -1
	s_clause 0x9
	scratch_load_b128 v[4:7], off, off offset:784
	scratch_load_b128 v[8:11], off, off offset:800
	;; [unrolled: 1-line block ×10, first 2 shown]
	v_mov_b32_e32 v2, 0
	s_mov_b32 s2, exec_lo
	ds_load_b128 v[170:173], v2 offset:1776
	s_clause 0x2
	scratch_load_b128 v[174:177], off, off offset:944
	scratch_load_b128 v[178:181], off, off offset:768
	;; [unrolled: 1-line block ×3, first 2 shown]
	s_wait_loadcnt_dscnt 0xc00
	v_mul_f64_e32 v[190:191], v[172:173], v[6:7]
	v_mul_f64_e32 v[194:195], v[170:171], v[6:7]
	ds_load_b128 v[182:185], v2 offset:1792
	v_fma_f64 v[198:199], v[170:171], v[4:5], -v[190:191]
	v_fmac_f64_e32 v[194:195], v[172:173], v[4:5]
	ds_load_b128 v[4:7], v2 offset:1808
	s_wait_loadcnt_dscnt 0xb01
	v_mul_f64_e32 v[196:197], v[182:183], v[10:11]
	v_mul_f64_e32 v[10:11], v[184:185], v[10:11]
	scratch_load_b128 v[170:173], off, off offset:976
	ds_load_b128 v[190:193], v2 offset:1824
	s_wait_loadcnt_dscnt 0xb01
	v_mul_f64_e32 v[200:201], v[4:5], v[14:15]
	v_mul_f64_e32 v[14:15], v[6:7], v[14:15]
	v_fmac_f64_e32 v[196:197], v[184:185], v[8:9]
	v_fma_f64 v[8:9], v[182:183], v[8:9], -v[10:11]
	v_add_f64_e32 v[10:11], 0, v[198:199]
	v_add_f64_e32 v[182:183], 0, v[194:195]
	s_wait_loadcnt_dscnt 0xa00
	v_mul_f64_e32 v[184:185], v[190:191], v[144:145]
	v_mul_f64_e32 v[144:145], v[192:193], v[144:145]
	v_fmac_f64_e32 v[200:201], v[6:7], v[12:13]
	v_fma_f64 v[12:13], v[4:5], v[12:13], -v[14:15]
	v_add_f64_e32 v[14:15], v[10:11], v[8:9]
	v_add_f64_e32 v[182:183], v[182:183], v[196:197]
	ds_load_b128 v[4:7], v2 offset:1840
	ds_load_b128 v[8:11], v2 offset:1856
	v_fmac_f64_e32 v[184:185], v[192:193], v[142:143]
	v_fma_f64 v[142:143], v[190:191], v[142:143], -v[144:145]
	s_wait_loadcnt_dscnt 0x901
	v_mul_f64_e32 v[194:195], v[4:5], v[148:149]
	v_mul_f64_e32 v[148:149], v[6:7], v[148:149]
	s_wait_loadcnt_dscnt 0x800
	v_mul_f64_e32 v[144:145], v[8:9], v[152:153]
	v_mul_f64_e32 v[152:153], v[10:11], v[152:153]
	v_add_f64_e32 v[12:13], v[14:15], v[12:13]
	v_add_f64_e32 v[14:15], v[182:183], v[200:201]
	v_fmac_f64_e32 v[194:195], v[6:7], v[146:147]
	v_fma_f64 v[146:147], v[4:5], v[146:147], -v[148:149]
	v_fmac_f64_e32 v[144:145], v[10:11], v[150:151]
	v_fma_f64 v[8:9], v[8:9], v[150:151], -v[152:153]
	v_add_f64_e32 v[142:143], v[12:13], v[142:143]
	v_add_f64_e32 v[148:149], v[14:15], v[184:185]
	ds_load_b128 v[4:7], v2 offset:1872
	ds_load_b128 v[12:15], v2 offset:1888
	s_wait_loadcnt_dscnt 0x701
	v_mul_f64_e32 v[182:183], v[4:5], v[156:157]
	v_mul_f64_e32 v[156:157], v[6:7], v[156:157]
	v_add_f64_e32 v[10:11], v[142:143], v[146:147]
	v_add_f64_e32 v[142:143], v[148:149], v[194:195]
	s_wait_loadcnt_dscnt 0x600
	v_mul_f64_e32 v[146:147], v[12:13], v[160:161]
	v_mul_f64_e32 v[148:149], v[14:15], v[160:161]
	v_fmac_f64_e32 v[182:183], v[6:7], v[154:155]
	v_fma_f64 v[150:151], v[4:5], v[154:155], -v[156:157]
	v_add_f64_e32 v[152:153], v[10:11], v[8:9]
	v_add_f64_e32 v[142:143], v[142:143], v[144:145]
	ds_load_b128 v[4:7], v2 offset:1904
	ds_load_b128 v[8:11], v2 offset:1920
	v_fmac_f64_e32 v[146:147], v[14:15], v[158:159]
	v_fma_f64 v[12:13], v[12:13], v[158:159], -v[148:149]
	s_wait_loadcnt_dscnt 0x501
	v_mul_f64_e32 v[144:145], v[4:5], v[164:165]
	v_mul_f64_e32 v[154:155], v[6:7], v[164:165]
	s_wait_loadcnt_dscnt 0x400
	v_mul_f64_e32 v[148:149], v[8:9], v[168:169]
	v_add_f64_e32 v[14:15], v[152:153], v[150:151]
	v_add_f64_e32 v[142:143], v[142:143], v[182:183]
	v_mul_f64_e32 v[150:151], v[10:11], v[168:169]
	v_fmac_f64_e32 v[144:145], v[6:7], v[162:163]
	v_fma_f64 v[152:153], v[4:5], v[162:163], -v[154:155]
	v_fmac_f64_e32 v[148:149], v[10:11], v[166:167]
	v_add_f64_e32 v[154:155], v[14:15], v[12:13]
	v_add_f64_e32 v[142:143], v[142:143], v[146:147]
	ds_load_b128 v[4:7], v2 offset:1936
	ds_load_b128 v[12:15], v2 offset:1952
	v_fma_f64 v[8:9], v[8:9], v[166:167], -v[150:151]
	s_wait_loadcnt_dscnt 0x301
	v_mul_f64_e32 v[146:147], v[4:5], v[176:177]
	v_mul_f64_e32 v[156:157], v[6:7], v[176:177]
	s_wait_loadcnt_dscnt 0x100
	v_mul_f64_e32 v[150:151], v[14:15], v[188:189]
	v_add_f64_e32 v[10:11], v[154:155], v[152:153]
	v_add_f64_e32 v[142:143], v[142:143], v[144:145]
	v_mul_f64_e32 v[144:145], v[12:13], v[188:189]
	v_fmac_f64_e32 v[146:147], v[6:7], v[174:175]
	v_fma_f64 v[152:153], v[4:5], v[174:175], -v[156:157]
	ds_load_b128 v[4:7], v2 offset:1968
	v_fma_f64 v[12:13], v[12:13], v[186:187], -v[150:151]
	v_add_f64_e32 v[8:9], v[10:11], v[8:9]
	v_add_f64_e32 v[10:11], v[142:143], v[148:149]
	v_fmac_f64_e32 v[144:145], v[14:15], v[186:187]
	s_wait_loadcnt_dscnt 0x0
	v_mul_f64_e32 v[142:143], v[4:5], v[172:173]
	v_mul_f64_e32 v[148:149], v[6:7], v[172:173]
	v_add_f64_e32 v[8:9], v[8:9], v[152:153]
	v_add_f64_e32 v[10:11], v[10:11], v[146:147]
	s_delay_alu instid0(VALU_DEP_4) | instskip(NEXT) | instid1(VALU_DEP_4)
	v_fmac_f64_e32 v[142:143], v[6:7], v[170:171]
	v_fma_f64 v[4:5], v[4:5], v[170:171], -v[148:149]
	s_delay_alu instid0(VALU_DEP_4) | instskip(NEXT) | instid1(VALU_DEP_4)
	v_add_f64_e32 v[6:7], v[8:9], v[12:13]
	v_add_f64_e32 v[8:9], v[10:11], v[144:145]
	s_delay_alu instid0(VALU_DEP_2) | instskip(NEXT) | instid1(VALU_DEP_2)
	v_add_f64_e32 v[4:5], v[6:7], v[4:5]
	v_add_f64_e32 v[6:7], v[8:9], v[142:143]
	s_delay_alu instid0(VALU_DEP_2) | instskip(NEXT) | instid1(VALU_DEP_2)
	v_add_f64_e64 v[4:5], v[178:179], -v[4:5]
	v_add_f64_e64 v[6:7], v[180:181], -v[6:7]
	scratch_store_b128 off, v[4:7], off offset:768
	s_wait_xcnt 0x0
	v_cmpx_lt_u32_e32 47, v1
	s_cbranch_execz .LBB61_303
; %bb.302:
	scratch_load_b128 v[6:9], off, s20
	v_dual_mov_b32 v3, v2 :: v_dual_mov_b32 v4, v2
	v_mov_b32_e32 v5, v2
	scratch_store_b128 off, v[2:5], off offset:752
	s_wait_loadcnt 0x0
	ds_store_b128 v16, v[6:9]
.LBB61_303:
	s_wait_xcnt 0x0
	s_or_b32 exec_lo, exec_lo, s2
	s_wait_storecnt_dscnt 0x0
	s_barrier_signal -1
	s_barrier_wait -1
	s_clause 0x9
	scratch_load_b128 v[4:7], off, off offset:768
	scratch_load_b128 v[8:11], off, off offset:784
	;; [unrolled: 1-line block ×10, first 2 shown]
	ds_load_b128 v[170:173], v2 offset:1760
	ds_load_b128 v[178:181], v2 offset:1776
	s_clause 0x2
	scratch_load_b128 v[174:177], off, off offset:928
	scratch_load_b128 v[182:185], off, off offset:752
	;; [unrolled: 1-line block ×3, first 2 shown]
	s_mov_b32 s2, exec_lo
	s_wait_loadcnt_dscnt 0xc01
	v_mul_f64_e32 v[190:191], v[172:173], v[6:7]
	v_mul_f64_e32 v[194:195], v[170:171], v[6:7]
	s_wait_loadcnt_dscnt 0xb00
	v_mul_f64_e32 v[196:197], v[178:179], v[10:11]
	v_mul_f64_e32 v[10:11], v[180:181], v[10:11]
	s_delay_alu instid0(VALU_DEP_4) | instskip(NEXT) | instid1(VALU_DEP_4)
	v_fma_f64 v[198:199], v[170:171], v[4:5], -v[190:191]
	v_fmac_f64_e32 v[194:195], v[172:173], v[4:5]
	ds_load_b128 v[4:7], v2 offset:1792
	ds_load_b128 v[170:173], v2 offset:1808
	scratch_load_b128 v[190:193], off, off offset:960
	v_fmac_f64_e32 v[196:197], v[180:181], v[8:9]
	v_fma_f64 v[178:179], v[178:179], v[8:9], -v[10:11]
	scratch_load_b128 v[8:11], off, off offset:976
	s_wait_loadcnt_dscnt 0xc01
	v_mul_f64_e32 v[200:201], v[4:5], v[14:15]
	v_mul_f64_e32 v[14:15], v[6:7], v[14:15]
	v_add_f64_e32 v[180:181], 0, v[198:199]
	v_add_f64_e32 v[194:195], 0, v[194:195]
	s_wait_loadcnt_dscnt 0xb00
	v_mul_f64_e32 v[198:199], v[170:171], v[144:145]
	v_mul_f64_e32 v[144:145], v[172:173], v[144:145]
	v_fmac_f64_e32 v[200:201], v[6:7], v[12:13]
	v_fma_f64 v[202:203], v[4:5], v[12:13], -v[14:15]
	ds_load_b128 v[4:7], v2 offset:1824
	ds_load_b128 v[12:15], v2 offset:1840
	v_add_f64_e32 v[178:179], v[180:181], v[178:179]
	v_add_f64_e32 v[180:181], v[194:195], v[196:197]
	v_fmac_f64_e32 v[198:199], v[172:173], v[142:143]
	v_fma_f64 v[142:143], v[170:171], v[142:143], -v[144:145]
	s_wait_loadcnt_dscnt 0xa01
	v_mul_f64_e32 v[194:195], v[4:5], v[148:149]
	v_mul_f64_e32 v[148:149], v[6:7], v[148:149]
	s_wait_loadcnt_dscnt 0x900
	v_mul_f64_e32 v[172:173], v[12:13], v[152:153]
	v_mul_f64_e32 v[152:153], v[14:15], v[152:153]
	v_add_f64_e32 v[144:145], v[178:179], v[202:203]
	v_add_f64_e32 v[170:171], v[180:181], v[200:201]
	v_fmac_f64_e32 v[194:195], v[6:7], v[146:147]
	v_fma_f64 v[146:147], v[4:5], v[146:147], -v[148:149]
	v_fmac_f64_e32 v[172:173], v[14:15], v[150:151]
	v_fma_f64 v[12:13], v[12:13], v[150:151], -v[152:153]
	v_add_f64_e32 v[148:149], v[144:145], v[142:143]
	v_add_f64_e32 v[170:171], v[170:171], v[198:199]
	ds_load_b128 v[4:7], v2 offset:1856
	ds_load_b128 v[142:145], v2 offset:1872
	s_wait_loadcnt_dscnt 0x801
	v_mul_f64_e32 v[178:179], v[4:5], v[156:157]
	v_mul_f64_e32 v[156:157], v[6:7], v[156:157]
	s_wait_loadcnt_dscnt 0x700
	v_mul_f64_e32 v[150:151], v[144:145], v[160:161]
	v_add_f64_e32 v[14:15], v[148:149], v[146:147]
	v_add_f64_e32 v[146:147], v[170:171], v[194:195]
	v_mul_f64_e32 v[148:149], v[142:143], v[160:161]
	v_fmac_f64_e32 v[178:179], v[6:7], v[154:155]
	v_fma_f64 v[152:153], v[4:5], v[154:155], -v[156:157]
	v_fma_f64 v[142:143], v[142:143], v[158:159], -v[150:151]
	v_add_f64_e32 v[154:155], v[14:15], v[12:13]
	v_add_f64_e32 v[146:147], v[146:147], v[172:173]
	ds_load_b128 v[4:7], v2 offset:1888
	ds_load_b128 v[12:15], v2 offset:1904
	v_fmac_f64_e32 v[148:149], v[144:145], v[158:159]
	s_wait_loadcnt_dscnt 0x601
	v_mul_f64_e32 v[156:157], v[4:5], v[164:165]
	v_mul_f64_e32 v[160:161], v[6:7], v[164:165]
	s_wait_loadcnt_dscnt 0x500
	v_mul_f64_e32 v[150:151], v[12:13], v[168:169]
	v_add_f64_e32 v[144:145], v[154:155], v[152:153]
	v_add_f64_e32 v[146:147], v[146:147], v[178:179]
	v_mul_f64_e32 v[152:153], v[14:15], v[168:169]
	v_fmac_f64_e32 v[156:157], v[6:7], v[162:163]
	v_fma_f64 v[154:155], v[4:5], v[162:163], -v[160:161]
	v_fmac_f64_e32 v[150:151], v[14:15], v[166:167]
	v_add_f64_e32 v[158:159], v[144:145], v[142:143]
	v_add_f64_e32 v[146:147], v[146:147], v[148:149]
	ds_load_b128 v[4:7], v2 offset:1920
	ds_load_b128 v[142:145], v2 offset:1936
	v_fma_f64 v[12:13], v[12:13], v[166:167], -v[152:153]
	s_wait_loadcnt_dscnt 0x401
	v_mul_f64_e32 v[148:149], v[4:5], v[176:177]
	v_mul_f64_e32 v[160:161], v[6:7], v[176:177]
	s_wait_loadcnt_dscnt 0x200
	v_mul_f64_e32 v[152:153], v[142:143], v[188:189]
	v_add_f64_e32 v[14:15], v[158:159], v[154:155]
	v_add_f64_e32 v[146:147], v[146:147], v[156:157]
	v_mul_f64_e32 v[154:155], v[144:145], v[188:189]
	v_fmac_f64_e32 v[148:149], v[6:7], v[174:175]
	v_fma_f64 v[156:157], v[4:5], v[174:175], -v[160:161]
	v_fmac_f64_e32 v[152:153], v[144:145], v[186:187]
	v_add_f64_e32 v[158:159], v[14:15], v[12:13]
	v_add_f64_e32 v[146:147], v[146:147], v[150:151]
	ds_load_b128 v[4:7], v2 offset:1952
	ds_load_b128 v[12:15], v2 offset:1968
	v_fma_f64 v[142:143], v[142:143], v[186:187], -v[154:155]
	s_wait_loadcnt_dscnt 0x101
	v_mul_f64_e32 v[2:3], v[4:5], v[192:193]
	v_mul_f64_e32 v[150:151], v[6:7], v[192:193]
	v_add_f64_e32 v[144:145], v[158:159], v[156:157]
	v_add_f64_e32 v[146:147], v[146:147], v[148:149]
	s_wait_loadcnt_dscnt 0x0
	v_mul_f64_e32 v[148:149], v[12:13], v[10:11]
	v_mul_f64_e32 v[10:11], v[14:15], v[10:11]
	v_fmac_f64_e32 v[2:3], v[6:7], v[190:191]
	v_fma_f64 v[4:5], v[4:5], v[190:191], -v[150:151]
	v_add_f64_e32 v[6:7], v[144:145], v[142:143]
	v_add_f64_e32 v[142:143], v[146:147], v[152:153]
	v_fmac_f64_e32 v[148:149], v[14:15], v[8:9]
	v_fma_f64 v[8:9], v[12:13], v[8:9], -v[10:11]
	s_delay_alu instid0(VALU_DEP_4) | instskip(NEXT) | instid1(VALU_DEP_4)
	v_add_f64_e32 v[4:5], v[6:7], v[4:5]
	v_add_f64_e32 v[2:3], v[142:143], v[2:3]
	s_delay_alu instid0(VALU_DEP_2) | instskip(NEXT) | instid1(VALU_DEP_2)
	v_add_f64_e32 v[4:5], v[4:5], v[8:9]
	v_add_f64_e32 v[6:7], v[2:3], v[148:149]
	s_delay_alu instid0(VALU_DEP_2) | instskip(NEXT) | instid1(VALU_DEP_2)
	v_add_f64_e64 v[2:3], v[182:183], -v[4:5]
	v_add_f64_e64 v[4:5], v[184:185], -v[6:7]
	scratch_store_b128 off, v[2:5], off offset:752
	s_wait_xcnt 0x0
	v_cmpx_lt_u32_e32 46, v1
	s_cbranch_execz .LBB61_305
; %bb.304:
	scratch_load_b128 v[2:5], off, s23
	v_mov_b32_e32 v6, 0
	s_delay_alu instid0(VALU_DEP_1)
	v_dual_mov_b32 v7, v6 :: v_dual_mov_b32 v8, v6
	v_mov_b32_e32 v9, v6
	scratch_store_b128 off, v[6:9], off offset:736
	s_wait_loadcnt 0x0
	ds_store_b128 v16, v[2:5]
.LBB61_305:
	s_wait_xcnt 0x0
	s_or_b32 exec_lo, exec_lo, s2
	s_wait_storecnt_dscnt 0x0
	s_barrier_signal -1
	s_barrier_wait -1
	s_clause 0x9
	scratch_load_b128 v[4:7], off, off offset:752
	scratch_load_b128 v[8:11], off, off offset:768
	;; [unrolled: 1-line block ×10, first 2 shown]
	v_mov_b32_e32 v2, 0
	s_mov_b32 s2, exec_lo
	ds_load_b128 v[170:173], v2 offset:1744
	s_clause 0x2
	scratch_load_b128 v[174:177], off, off offset:912
	scratch_load_b128 v[178:181], off, off offset:736
	scratch_load_b128 v[186:189], off, off offset:928
	s_wait_loadcnt_dscnt 0xc00
	v_mul_f64_e32 v[190:191], v[172:173], v[6:7]
	v_mul_f64_e32 v[194:195], v[170:171], v[6:7]
	ds_load_b128 v[182:185], v2 offset:1760
	v_fma_f64 v[198:199], v[170:171], v[4:5], -v[190:191]
	v_fmac_f64_e32 v[194:195], v[172:173], v[4:5]
	ds_load_b128 v[4:7], v2 offset:1776
	s_wait_loadcnt_dscnt 0xb01
	v_mul_f64_e32 v[196:197], v[182:183], v[10:11]
	v_mul_f64_e32 v[10:11], v[184:185], v[10:11]
	scratch_load_b128 v[170:173], off, off offset:944
	ds_load_b128 v[190:193], v2 offset:1792
	s_wait_loadcnt_dscnt 0xb01
	v_mul_f64_e32 v[200:201], v[4:5], v[14:15]
	v_mul_f64_e32 v[14:15], v[6:7], v[14:15]
	v_add_f64_e32 v[194:195], 0, v[194:195]
	v_fmac_f64_e32 v[196:197], v[184:185], v[8:9]
	v_fma_f64 v[182:183], v[182:183], v[8:9], -v[10:11]
	v_add_f64_e32 v[184:185], 0, v[198:199]
	scratch_load_b128 v[8:11], off, off offset:960
	v_fmac_f64_e32 v[200:201], v[6:7], v[12:13]
	v_fma_f64 v[202:203], v[4:5], v[12:13], -v[14:15]
	ds_load_b128 v[4:7], v2 offset:1808
	s_wait_loadcnt_dscnt 0xb01
	v_mul_f64_e32 v[198:199], v[190:191], v[144:145]
	v_mul_f64_e32 v[144:145], v[192:193], v[144:145]
	scratch_load_b128 v[12:15], off, off offset:976
	v_add_f64_e32 v[194:195], v[194:195], v[196:197]
	v_add_f64_e32 v[204:205], v[184:185], v[182:183]
	ds_load_b128 v[182:185], v2 offset:1824
	s_wait_loadcnt_dscnt 0xb01
	v_mul_f64_e32 v[196:197], v[4:5], v[148:149]
	v_mul_f64_e32 v[148:149], v[6:7], v[148:149]
	v_fmac_f64_e32 v[198:199], v[192:193], v[142:143]
	v_fma_f64 v[142:143], v[190:191], v[142:143], -v[144:145]
	s_wait_loadcnt_dscnt 0xa00
	v_mul_f64_e32 v[192:193], v[182:183], v[152:153]
	v_mul_f64_e32 v[152:153], v[184:185], v[152:153]
	v_add_f64_e32 v[190:191], v[194:195], v[200:201]
	v_add_f64_e32 v[144:145], v[204:205], v[202:203]
	v_fmac_f64_e32 v[196:197], v[6:7], v[146:147]
	v_fma_f64 v[146:147], v[4:5], v[146:147], -v[148:149]
	v_fmac_f64_e32 v[192:193], v[184:185], v[150:151]
	v_fma_f64 v[150:151], v[182:183], v[150:151], -v[152:153]
	v_add_f64_e32 v[190:191], v[190:191], v[198:199]
	v_add_f64_e32 v[148:149], v[144:145], v[142:143]
	ds_load_b128 v[4:7], v2 offset:1840
	ds_load_b128 v[142:145], v2 offset:1856
	s_wait_loadcnt_dscnt 0x901
	v_mul_f64_e32 v[194:195], v[4:5], v[156:157]
	v_mul_f64_e32 v[156:157], v[6:7], v[156:157]
	s_wait_loadcnt_dscnt 0x800
	v_mul_f64_e32 v[152:153], v[142:143], v[160:161]
	v_mul_f64_e32 v[160:161], v[144:145], v[160:161]
	v_add_f64_e32 v[146:147], v[148:149], v[146:147]
	v_add_f64_e32 v[148:149], v[190:191], v[196:197]
	v_fmac_f64_e32 v[194:195], v[6:7], v[154:155]
	v_fma_f64 v[154:155], v[4:5], v[154:155], -v[156:157]
	v_fmac_f64_e32 v[152:153], v[144:145], v[158:159]
	v_fma_f64 v[142:143], v[142:143], v[158:159], -v[160:161]
	v_add_f64_e32 v[150:151], v[146:147], v[150:151]
	v_add_f64_e32 v[156:157], v[148:149], v[192:193]
	ds_load_b128 v[4:7], v2 offset:1872
	ds_load_b128 v[146:149], v2 offset:1888
	s_wait_loadcnt_dscnt 0x701
	v_mul_f64_e32 v[182:183], v[4:5], v[164:165]
	v_mul_f64_e32 v[164:165], v[6:7], v[164:165]
	v_add_f64_e32 v[144:145], v[150:151], v[154:155]
	v_add_f64_e32 v[150:151], v[156:157], v[194:195]
	s_wait_loadcnt_dscnt 0x600
	v_mul_f64_e32 v[154:155], v[146:147], v[168:169]
	v_mul_f64_e32 v[156:157], v[148:149], v[168:169]
	v_fmac_f64_e32 v[182:183], v[6:7], v[162:163]
	v_fma_f64 v[158:159], v[4:5], v[162:163], -v[164:165]
	v_add_f64_e32 v[160:161], v[144:145], v[142:143]
	v_add_f64_e32 v[150:151], v[150:151], v[152:153]
	ds_load_b128 v[4:7], v2 offset:1904
	ds_load_b128 v[142:145], v2 offset:1920
	v_fmac_f64_e32 v[154:155], v[148:149], v[166:167]
	v_fma_f64 v[146:147], v[146:147], v[166:167], -v[156:157]
	s_wait_loadcnt_dscnt 0x501
	v_mul_f64_e32 v[152:153], v[4:5], v[176:177]
	v_mul_f64_e32 v[162:163], v[6:7], v[176:177]
	s_wait_loadcnt_dscnt 0x300
	v_mul_f64_e32 v[156:157], v[142:143], v[188:189]
	v_add_f64_e32 v[148:149], v[160:161], v[158:159]
	v_add_f64_e32 v[150:151], v[150:151], v[182:183]
	v_mul_f64_e32 v[158:159], v[144:145], v[188:189]
	v_fmac_f64_e32 v[152:153], v[6:7], v[174:175]
	v_fma_f64 v[160:161], v[4:5], v[174:175], -v[162:163]
	v_fmac_f64_e32 v[156:157], v[144:145], v[186:187]
	v_add_f64_e32 v[162:163], v[148:149], v[146:147]
	v_add_f64_e32 v[150:151], v[150:151], v[154:155]
	ds_load_b128 v[4:7], v2 offset:1936
	ds_load_b128 v[146:149], v2 offset:1952
	v_fma_f64 v[142:143], v[142:143], v[186:187], -v[158:159]
	s_wait_loadcnt_dscnt 0x201
	v_mul_f64_e32 v[154:155], v[4:5], v[172:173]
	v_mul_f64_e32 v[164:165], v[6:7], v[172:173]
	v_add_f64_e32 v[144:145], v[162:163], v[160:161]
	v_add_f64_e32 v[150:151], v[150:151], v[152:153]
	s_wait_loadcnt_dscnt 0x100
	v_mul_f64_e32 v[152:153], v[146:147], v[10:11]
	v_mul_f64_e32 v[10:11], v[148:149], v[10:11]
	v_fmac_f64_e32 v[154:155], v[6:7], v[170:171]
	v_fma_f64 v[158:159], v[4:5], v[170:171], -v[164:165]
	ds_load_b128 v[4:7], v2 offset:1968
	v_add_f64_e32 v[142:143], v[144:145], v[142:143]
	v_add_f64_e32 v[144:145], v[150:151], v[156:157]
	v_fmac_f64_e32 v[152:153], v[148:149], v[8:9]
	v_fma_f64 v[8:9], v[146:147], v[8:9], -v[10:11]
	s_wait_loadcnt_dscnt 0x0
	v_mul_f64_e32 v[150:151], v[4:5], v[14:15]
	v_mul_f64_e32 v[14:15], v[6:7], v[14:15]
	v_add_f64_e32 v[10:11], v[142:143], v[158:159]
	v_add_f64_e32 v[142:143], v[144:145], v[154:155]
	s_delay_alu instid0(VALU_DEP_4) | instskip(NEXT) | instid1(VALU_DEP_4)
	v_fmac_f64_e32 v[150:151], v[6:7], v[12:13]
	v_fma_f64 v[4:5], v[4:5], v[12:13], -v[14:15]
	s_delay_alu instid0(VALU_DEP_4) | instskip(NEXT) | instid1(VALU_DEP_4)
	v_add_f64_e32 v[6:7], v[10:11], v[8:9]
	v_add_f64_e32 v[8:9], v[142:143], v[152:153]
	s_delay_alu instid0(VALU_DEP_2) | instskip(NEXT) | instid1(VALU_DEP_2)
	v_add_f64_e32 v[4:5], v[6:7], v[4:5]
	v_add_f64_e32 v[6:7], v[8:9], v[150:151]
	s_delay_alu instid0(VALU_DEP_2) | instskip(NEXT) | instid1(VALU_DEP_2)
	v_add_f64_e64 v[4:5], v[178:179], -v[4:5]
	v_add_f64_e64 v[6:7], v[180:181], -v[6:7]
	scratch_store_b128 off, v[4:7], off offset:736
	s_wait_xcnt 0x0
	v_cmpx_lt_u32_e32 45, v1
	s_cbranch_execz .LBB61_307
; %bb.306:
	scratch_load_b128 v[6:9], off, s22
	v_dual_mov_b32 v3, v2 :: v_dual_mov_b32 v4, v2
	v_mov_b32_e32 v5, v2
	scratch_store_b128 off, v[2:5], off offset:720
	s_wait_loadcnt 0x0
	ds_store_b128 v16, v[6:9]
.LBB61_307:
	s_wait_xcnt 0x0
	s_or_b32 exec_lo, exec_lo, s2
	s_wait_storecnt_dscnt 0x0
	s_barrier_signal -1
	s_barrier_wait -1
	s_clause 0x9
	scratch_load_b128 v[4:7], off, off offset:736
	scratch_load_b128 v[8:11], off, off offset:752
	;; [unrolled: 1-line block ×10, first 2 shown]
	ds_load_b128 v[170:173], v2 offset:1728
	ds_load_b128 v[178:181], v2 offset:1744
	s_clause 0x2
	scratch_load_b128 v[174:177], off, off offset:896
	scratch_load_b128 v[182:185], off, off offset:720
	;; [unrolled: 1-line block ×3, first 2 shown]
	s_mov_b32 s2, exec_lo
	s_wait_loadcnt_dscnt 0xc01
	v_mul_f64_e32 v[190:191], v[172:173], v[6:7]
	v_mul_f64_e32 v[194:195], v[170:171], v[6:7]
	s_wait_loadcnt_dscnt 0xb00
	v_mul_f64_e32 v[196:197], v[178:179], v[10:11]
	v_mul_f64_e32 v[10:11], v[180:181], v[10:11]
	s_delay_alu instid0(VALU_DEP_4) | instskip(NEXT) | instid1(VALU_DEP_4)
	v_fma_f64 v[198:199], v[170:171], v[4:5], -v[190:191]
	v_fmac_f64_e32 v[194:195], v[172:173], v[4:5]
	ds_load_b128 v[4:7], v2 offset:1760
	ds_load_b128 v[170:173], v2 offset:1776
	scratch_load_b128 v[190:193], off, off offset:928
	v_fmac_f64_e32 v[196:197], v[180:181], v[8:9]
	v_fma_f64 v[178:179], v[178:179], v[8:9], -v[10:11]
	scratch_load_b128 v[8:11], off, off offset:944
	s_wait_loadcnt_dscnt 0xc01
	v_mul_f64_e32 v[200:201], v[4:5], v[14:15]
	v_mul_f64_e32 v[14:15], v[6:7], v[14:15]
	v_add_f64_e32 v[180:181], 0, v[198:199]
	v_add_f64_e32 v[194:195], 0, v[194:195]
	s_wait_loadcnt_dscnt 0xb00
	v_mul_f64_e32 v[198:199], v[170:171], v[144:145]
	v_mul_f64_e32 v[144:145], v[172:173], v[144:145]
	v_fmac_f64_e32 v[200:201], v[6:7], v[12:13]
	v_fma_f64 v[202:203], v[4:5], v[12:13], -v[14:15]
	ds_load_b128 v[4:7], v2 offset:1792
	ds_load_b128 v[12:15], v2 offset:1808
	v_add_f64_e32 v[204:205], v[180:181], v[178:179]
	v_add_f64_e32 v[194:195], v[194:195], v[196:197]
	scratch_load_b128 v[178:181], off, off offset:960
	v_fmac_f64_e32 v[198:199], v[172:173], v[142:143]
	v_fma_f64 v[170:171], v[170:171], v[142:143], -v[144:145]
	scratch_load_b128 v[142:145], off, off offset:976
	s_wait_loadcnt_dscnt 0xc01
	v_mul_f64_e32 v[196:197], v[4:5], v[148:149]
	v_mul_f64_e32 v[148:149], v[6:7], v[148:149]
	v_add_f64_e32 v[172:173], v[204:205], v[202:203]
	v_add_f64_e32 v[194:195], v[194:195], v[200:201]
	s_wait_loadcnt_dscnt 0xb00
	v_mul_f64_e32 v[200:201], v[12:13], v[152:153]
	v_mul_f64_e32 v[152:153], v[14:15], v[152:153]
	v_fmac_f64_e32 v[196:197], v[6:7], v[146:147]
	v_fma_f64 v[202:203], v[4:5], v[146:147], -v[148:149]
	ds_load_b128 v[4:7], v2 offset:1824
	ds_load_b128 v[146:149], v2 offset:1840
	v_add_f64_e32 v[170:171], v[172:173], v[170:171]
	v_add_f64_e32 v[172:173], v[194:195], v[198:199]
	s_wait_loadcnt_dscnt 0xa01
	v_mul_f64_e32 v[194:195], v[4:5], v[156:157]
	v_mul_f64_e32 v[156:157], v[6:7], v[156:157]
	v_fmac_f64_e32 v[200:201], v[14:15], v[150:151]
	v_fma_f64 v[12:13], v[12:13], v[150:151], -v[152:153]
	s_wait_loadcnt_dscnt 0x900
	v_mul_f64_e32 v[152:153], v[146:147], v[160:161]
	v_mul_f64_e32 v[160:161], v[148:149], v[160:161]
	v_add_f64_e32 v[14:15], v[170:171], v[202:203]
	v_add_f64_e32 v[150:151], v[172:173], v[196:197]
	v_fmac_f64_e32 v[194:195], v[6:7], v[154:155]
	v_fma_f64 v[154:155], v[4:5], v[154:155], -v[156:157]
	v_fmac_f64_e32 v[152:153], v[148:149], v[158:159]
	v_fma_f64 v[146:147], v[146:147], v[158:159], -v[160:161]
	v_add_f64_e32 v[156:157], v[14:15], v[12:13]
	v_add_f64_e32 v[150:151], v[150:151], v[200:201]
	ds_load_b128 v[4:7], v2 offset:1856
	ds_load_b128 v[12:15], v2 offset:1872
	s_wait_loadcnt_dscnt 0x801
	v_mul_f64_e32 v[170:171], v[4:5], v[164:165]
	v_mul_f64_e32 v[164:165], v[6:7], v[164:165]
	v_add_f64_e32 v[148:149], v[156:157], v[154:155]
	v_add_f64_e32 v[150:151], v[150:151], v[194:195]
	s_wait_loadcnt_dscnt 0x700
	v_mul_f64_e32 v[154:155], v[12:13], v[168:169]
	v_mul_f64_e32 v[156:157], v[14:15], v[168:169]
	v_fmac_f64_e32 v[170:171], v[6:7], v[162:163]
	v_fma_f64 v[158:159], v[4:5], v[162:163], -v[164:165]
	v_add_f64_e32 v[160:161], v[148:149], v[146:147]
	v_add_f64_e32 v[150:151], v[150:151], v[152:153]
	ds_load_b128 v[4:7], v2 offset:1888
	ds_load_b128 v[146:149], v2 offset:1904
	v_fmac_f64_e32 v[154:155], v[14:15], v[166:167]
	v_fma_f64 v[12:13], v[12:13], v[166:167], -v[156:157]
	s_wait_loadcnt_dscnt 0x601
	v_mul_f64_e32 v[152:153], v[4:5], v[176:177]
	v_mul_f64_e32 v[162:163], v[6:7], v[176:177]
	s_wait_loadcnt_dscnt 0x400
	v_mul_f64_e32 v[156:157], v[146:147], v[188:189]
	v_add_f64_e32 v[14:15], v[160:161], v[158:159]
	v_add_f64_e32 v[150:151], v[150:151], v[170:171]
	v_mul_f64_e32 v[158:159], v[148:149], v[188:189]
	v_fmac_f64_e32 v[152:153], v[6:7], v[174:175]
	v_fma_f64 v[160:161], v[4:5], v[174:175], -v[162:163]
	v_fmac_f64_e32 v[156:157], v[148:149], v[186:187]
	v_add_f64_e32 v[162:163], v[14:15], v[12:13]
	v_add_f64_e32 v[150:151], v[150:151], v[154:155]
	ds_load_b128 v[4:7], v2 offset:1920
	ds_load_b128 v[12:15], v2 offset:1936
	v_fma_f64 v[146:147], v[146:147], v[186:187], -v[158:159]
	s_wait_loadcnt_dscnt 0x301
	v_mul_f64_e32 v[154:155], v[4:5], v[192:193]
	v_mul_f64_e32 v[164:165], v[6:7], v[192:193]
	v_add_f64_e32 v[148:149], v[162:163], v[160:161]
	v_add_f64_e32 v[150:151], v[150:151], v[152:153]
	s_wait_loadcnt_dscnt 0x200
	v_mul_f64_e32 v[152:153], v[12:13], v[10:11]
	v_mul_f64_e32 v[10:11], v[14:15], v[10:11]
	v_fmac_f64_e32 v[154:155], v[6:7], v[190:191]
	v_fma_f64 v[158:159], v[4:5], v[190:191], -v[164:165]
	v_add_f64_e32 v[160:161], v[148:149], v[146:147]
	v_add_f64_e32 v[150:151], v[150:151], v[156:157]
	ds_load_b128 v[4:7], v2 offset:1952
	ds_load_b128 v[146:149], v2 offset:1968
	v_fmac_f64_e32 v[152:153], v[14:15], v[8:9]
	v_fma_f64 v[8:9], v[12:13], v[8:9], -v[10:11]
	s_wait_loadcnt_dscnt 0x101
	v_mul_f64_e32 v[2:3], v[4:5], v[180:181]
	v_mul_f64_e32 v[156:157], v[6:7], v[180:181]
	s_wait_loadcnt_dscnt 0x0
	v_mul_f64_e32 v[14:15], v[146:147], v[144:145]
	v_mul_f64_e32 v[144:145], v[148:149], v[144:145]
	v_add_f64_e32 v[10:11], v[160:161], v[158:159]
	v_add_f64_e32 v[12:13], v[150:151], v[154:155]
	v_fmac_f64_e32 v[2:3], v[6:7], v[178:179]
	v_fma_f64 v[4:5], v[4:5], v[178:179], -v[156:157]
	v_fmac_f64_e32 v[14:15], v[148:149], v[142:143]
	v_add_f64_e32 v[6:7], v[10:11], v[8:9]
	v_add_f64_e32 v[8:9], v[12:13], v[152:153]
	v_fma_f64 v[10:11], v[146:147], v[142:143], -v[144:145]
	s_delay_alu instid0(VALU_DEP_3) | instskip(NEXT) | instid1(VALU_DEP_3)
	v_add_f64_e32 v[4:5], v[6:7], v[4:5]
	v_add_f64_e32 v[2:3], v[8:9], v[2:3]
	s_delay_alu instid0(VALU_DEP_2) | instskip(NEXT) | instid1(VALU_DEP_2)
	v_add_f64_e32 v[4:5], v[4:5], v[10:11]
	v_add_f64_e32 v[6:7], v[2:3], v[14:15]
	s_delay_alu instid0(VALU_DEP_2) | instskip(NEXT) | instid1(VALU_DEP_2)
	v_add_f64_e64 v[2:3], v[182:183], -v[4:5]
	v_add_f64_e64 v[4:5], v[184:185], -v[6:7]
	scratch_store_b128 off, v[2:5], off offset:720
	s_wait_xcnt 0x0
	v_cmpx_lt_u32_e32 44, v1
	s_cbranch_execz .LBB61_309
; %bb.308:
	scratch_load_b128 v[2:5], off, s25
	v_mov_b32_e32 v6, 0
	s_delay_alu instid0(VALU_DEP_1)
	v_dual_mov_b32 v7, v6 :: v_dual_mov_b32 v8, v6
	v_mov_b32_e32 v9, v6
	scratch_store_b128 off, v[6:9], off offset:704
	s_wait_loadcnt 0x0
	ds_store_b128 v16, v[2:5]
.LBB61_309:
	s_wait_xcnt 0x0
	s_or_b32 exec_lo, exec_lo, s2
	s_wait_storecnt_dscnt 0x0
	s_barrier_signal -1
	s_barrier_wait -1
	s_clause 0x9
	scratch_load_b128 v[4:7], off, off offset:720
	scratch_load_b128 v[8:11], off, off offset:736
	scratch_load_b128 v[12:15], off, off offset:752
	scratch_load_b128 v[142:145], off, off offset:768
	scratch_load_b128 v[146:149], off, off offset:784
	scratch_load_b128 v[150:153], off, off offset:800
	scratch_load_b128 v[154:157], off, off offset:816
	scratch_load_b128 v[158:161], off, off offset:832
	scratch_load_b128 v[162:165], off, off offset:848
	scratch_load_b128 v[166:169], off, off offset:864
	v_mov_b32_e32 v2, 0
	s_mov_b32 s2, exec_lo
	ds_load_b128 v[170:173], v2 offset:1712
	s_clause 0x2
	scratch_load_b128 v[174:177], off, off offset:880
	scratch_load_b128 v[178:181], off, off offset:704
	;; [unrolled: 1-line block ×3, first 2 shown]
	s_wait_loadcnt_dscnt 0xc00
	v_mul_f64_e32 v[190:191], v[172:173], v[6:7]
	v_mul_f64_e32 v[194:195], v[170:171], v[6:7]
	ds_load_b128 v[182:185], v2 offset:1728
	v_fma_f64 v[198:199], v[170:171], v[4:5], -v[190:191]
	v_fmac_f64_e32 v[194:195], v[172:173], v[4:5]
	ds_load_b128 v[4:7], v2 offset:1744
	s_wait_loadcnt_dscnt 0xb01
	v_mul_f64_e32 v[196:197], v[182:183], v[10:11]
	v_mul_f64_e32 v[10:11], v[184:185], v[10:11]
	scratch_load_b128 v[170:173], off, off offset:912
	ds_load_b128 v[190:193], v2 offset:1760
	s_wait_loadcnt_dscnt 0xb01
	v_mul_f64_e32 v[200:201], v[4:5], v[14:15]
	v_mul_f64_e32 v[14:15], v[6:7], v[14:15]
	v_add_f64_e32 v[194:195], 0, v[194:195]
	v_fmac_f64_e32 v[196:197], v[184:185], v[8:9]
	v_fma_f64 v[182:183], v[182:183], v[8:9], -v[10:11]
	v_add_f64_e32 v[184:185], 0, v[198:199]
	scratch_load_b128 v[8:11], off, off offset:928
	v_fmac_f64_e32 v[200:201], v[6:7], v[12:13]
	v_fma_f64 v[202:203], v[4:5], v[12:13], -v[14:15]
	ds_load_b128 v[4:7], v2 offset:1776
	s_wait_loadcnt_dscnt 0xb01
	v_mul_f64_e32 v[198:199], v[190:191], v[144:145]
	v_mul_f64_e32 v[144:145], v[192:193], v[144:145]
	scratch_load_b128 v[12:15], off, off offset:944
	v_add_f64_e32 v[194:195], v[194:195], v[196:197]
	v_add_f64_e32 v[204:205], v[184:185], v[182:183]
	ds_load_b128 v[182:185], v2 offset:1792
	s_wait_loadcnt_dscnt 0xb01
	v_mul_f64_e32 v[196:197], v[4:5], v[148:149]
	v_mul_f64_e32 v[148:149], v[6:7], v[148:149]
	v_fmac_f64_e32 v[198:199], v[192:193], v[142:143]
	v_fma_f64 v[190:191], v[190:191], v[142:143], -v[144:145]
	scratch_load_b128 v[142:145], off, off offset:960
	v_add_f64_e32 v[194:195], v[194:195], v[200:201]
	v_add_f64_e32 v[192:193], v[204:205], v[202:203]
	v_fmac_f64_e32 v[196:197], v[6:7], v[146:147]
	v_fma_f64 v[202:203], v[4:5], v[146:147], -v[148:149]
	ds_load_b128 v[4:7], v2 offset:1808
	s_wait_loadcnt_dscnt 0xb01
	v_mul_f64_e32 v[200:201], v[182:183], v[152:153]
	v_mul_f64_e32 v[152:153], v[184:185], v[152:153]
	scratch_load_b128 v[146:149], off, off offset:976
	v_add_f64_e32 v[194:195], v[194:195], v[198:199]
	s_wait_loadcnt_dscnt 0xb00
	v_mul_f64_e32 v[198:199], v[4:5], v[156:157]
	v_add_f64_e32 v[204:205], v[192:193], v[190:191]
	v_mul_f64_e32 v[156:157], v[6:7], v[156:157]
	ds_load_b128 v[190:193], v2 offset:1824
	v_fmac_f64_e32 v[200:201], v[184:185], v[150:151]
	v_fma_f64 v[150:151], v[182:183], v[150:151], -v[152:153]
	s_wait_loadcnt_dscnt 0xa00
	v_mul_f64_e32 v[184:185], v[190:191], v[160:161]
	v_mul_f64_e32 v[160:161], v[192:193], v[160:161]
	v_add_f64_e32 v[182:183], v[194:195], v[196:197]
	v_fmac_f64_e32 v[198:199], v[6:7], v[154:155]
	v_add_f64_e32 v[152:153], v[204:205], v[202:203]
	v_fma_f64 v[154:155], v[4:5], v[154:155], -v[156:157]
	v_fmac_f64_e32 v[184:185], v[192:193], v[158:159]
	v_fma_f64 v[158:159], v[190:191], v[158:159], -v[160:161]
	v_add_f64_e32 v[182:183], v[182:183], v[200:201]
	v_add_f64_e32 v[156:157], v[152:153], v[150:151]
	ds_load_b128 v[4:7], v2 offset:1840
	ds_load_b128 v[150:153], v2 offset:1856
	s_wait_loadcnt_dscnt 0x901
	v_mul_f64_e32 v[194:195], v[4:5], v[164:165]
	v_mul_f64_e32 v[164:165], v[6:7], v[164:165]
	s_wait_loadcnt_dscnt 0x800
	v_mul_f64_e32 v[160:161], v[150:151], v[168:169]
	v_mul_f64_e32 v[168:169], v[152:153], v[168:169]
	v_add_f64_e32 v[154:155], v[156:157], v[154:155]
	v_add_f64_e32 v[156:157], v[182:183], v[198:199]
	v_fmac_f64_e32 v[194:195], v[6:7], v[162:163]
	v_fma_f64 v[162:163], v[4:5], v[162:163], -v[164:165]
	v_fmac_f64_e32 v[160:161], v[152:153], v[166:167]
	v_fma_f64 v[150:151], v[150:151], v[166:167], -v[168:169]
	v_add_f64_e32 v[158:159], v[154:155], v[158:159]
	v_add_f64_e32 v[164:165], v[156:157], v[184:185]
	ds_load_b128 v[4:7], v2 offset:1872
	ds_load_b128 v[154:157], v2 offset:1888
	s_wait_loadcnt_dscnt 0x701
	v_mul_f64_e32 v[182:183], v[4:5], v[176:177]
	v_mul_f64_e32 v[176:177], v[6:7], v[176:177]
	v_add_f64_e32 v[152:153], v[158:159], v[162:163]
	v_add_f64_e32 v[158:159], v[164:165], v[194:195]
	s_wait_loadcnt_dscnt 0x500
	v_mul_f64_e32 v[162:163], v[154:155], v[188:189]
	v_mul_f64_e32 v[164:165], v[156:157], v[188:189]
	v_fmac_f64_e32 v[182:183], v[6:7], v[174:175]
	v_fma_f64 v[166:167], v[4:5], v[174:175], -v[176:177]
	v_add_f64_e32 v[168:169], v[152:153], v[150:151]
	v_add_f64_e32 v[158:159], v[158:159], v[160:161]
	ds_load_b128 v[4:7], v2 offset:1904
	ds_load_b128 v[150:153], v2 offset:1920
	v_fmac_f64_e32 v[162:163], v[156:157], v[186:187]
	v_fma_f64 v[154:155], v[154:155], v[186:187], -v[164:165]
	s_wait_loadcnt_dscnt 0x401
	v_mul_f64_e32 v[160:161], v[4:5], v[172:173]
	v_mul_f64_e32 v[172:173], v[6:7], v[172:173]
	v_add_f64_e32 v[156:157], v[168:169], v[166:167]
	v_add_f64_e32 v[158:159], v[158:159], v[182:183]
	s_wait_loadcnt_dscnt 0x300
	v_mul_f64_e32 v[164:165], v[150:151], v[10:11]
	v_mul_f64_e32 v[10:11], v[152:153], v[10:11]
	v_fmac_f64_e32 v[160:161], v[6:7], v[170:171]
	v_fma_f64 v[166:167], v[4:5], v[170:171], -v[172:173]
	v_add_f64_e32 v[168:169], v[156:157], v[154:155]
	v_add_f64_e32 v[158:159], v[158:159], v[162:163]
	ds_load_b128 v[4:7], v2 offset:1936
	ds_load_b128 v[154:157], v2 offset:1952
	v_fmac_f64_e32 v[164:165], v[152:153], v[8:9]
	v_fma_f64 v[8:9], v[150:151], v[8:9], -v[10:11]
	s_wait_loadcnt_dscnt 0x201
	v_mul_f64_e32 v[162:163], v[4:5], v[14:15]
	v_mul_f64_e32 v[14:15], v[6:7], v[14:15]
	s_wait_loadcnt_dscnt 0x100
	v_mul_f64_e32 v[152:153], v[154:155], v[144:145]
	v_mul_f64_e32 v[144:145], v[156:157], v[144:145]
	v_add_f64_e32 v[10:11], v[168:169], v[166:167]
	v_add_f64_e32 v[150:151], v[158:159], v[160:161]
	v_fmac_f64_e32 v[162:163], v[6:7], v[12:13]
	v_fma_f64 v[12:13], v[4:5], v[12:13], -v[14:15]
	ds_load_b128 v[4:7], v2 offset:1968
	v_fmac_f64_e32 v[152:153], v[156:157], v[142:143]
	v_fma_f64 v[142:143], v[154:155], v[142:143], -v[144:145]
	v_add_f64_e32 v[8:9], v[10:11], v[8:9]
	v_add_f64_e32 v[10:11], v[150:151], v[164:165]
	s_wait_loadcnt_dscnt 0x0
	v_mul_f64_e32 v[14:15], v[4:5], v[148:149]
	v_mul_f64_e32 v[148:149], v[6:7], v[148:149]
	s_delay_alu instid0(VALU_DEP_4) | instskip(NEXT) | instid1(VALU_DEP_4)
	v_add_f64_e32 v[8:9], v[8:9], v[12:13]
	v_add_f64_e32 v[10:11], v[10:11], v[162:163]
	s_delay_alu instid0(VALU_DEP_4) | instskip(NEXT) | instid1(VALU_DEP_4)
	v_fmac_f64_e32 v[14:15], v[6:7], v[146:147]
	v_fma_f64 v[4:5], v[4:5], v[146:147], -v[148:149]
	s_delay_alu instid0(VALU_DEP_4) | instskip(NEXT) | instid1(VALU_DEP_4)
	v_add_f64_e32 v[6:7], v[8:9], v[142:143]
	v_add_f64_e32 v[8:9], v[10:11], v[152:153]
	s_delay_alu instid0(VALU_DEP_2) | instskip(NEXT) | instid1(VALU_DEP_2)
	v_add_f64_e32 v[4:5], v[6:7], v[4:5]
	v_add_f64_e32 v[6:7], v[8:9], v[14:15]
	s_delay_alu instid0(VALU_DEP_2) | instskip(NEXT) | instid1(VALU_DEP_2)
	v_add_f64_e64 v[4:5], v[178:179], -v[4:5]
	v_add_f64_e64 v[6:7], v[180:181], -v[6:7]
	scratch_store_b128 off, v[4:7], off offset:704
	s_wait_xcnt 0x0
	v_cmpx_lt_u32_e32 43, v1
	s_cbranch_execz .LBB61_311
; %bb.310:
	scratch_load_b128 v[6:9], off, s24
	v_dual_mov_b32 v3, v2 :: v_dual_mov_b32 v4, v2
	v_mov_b32_e32 v5, v2
	scratch_store_b128 off, v[2:5], off offset:688
	s_wait_loadcnt 0x0
	ds_store_b128 v16, v[6:9]
.LBB61_311:
	s_wait_xcnt 0x0
	s_or_b32 exec_lo, exec_lo, s2
	s_wait_storecnt_dscnt 0x0
	s_barrier_signal -1
	s_barrier_wait -1
	s_clause 0x9
	scratch_load_b128 v[4:7], off, off offset:704
	scratch_load_b128 v[8:11], off, off offset:720
	;; [unrolled: 1-line block ×10, first 2 shown]
	ds_load_b128 v[170:173], v2 offset:1696
	ds_load_b128 v[178:181], v2 offset:1712
	s_clause 0x2
	scratch_load_b128 v[174:177], off, off offset:864
	scratch_load_b128 v[182:185], off, off offset:688
	;; [unrolled: 1-line block ×3, first 2 shown]
	s_mov_b32 s2, exec_lo
	s_wait_loadcnt_dscnt 0xc01
	v_mul_f64_e32 v[190:191], v[172:173], v[6:7]
	v_mul_f64_e32 v[194:195], v[170:171], v[6:7]
	s_wait_loadcnt_dscnt 0xb00
	v_mul_f64_e32 v[196:197], v[178:179], v[10:11]
	v_mul_f64_e32 v[10:11], v[180:181], v[10:11]
	s_delay_alu instid0(VALU_DEP_4) | instskip(NEXT) | instid1(VALU_DEP_4)
	v_fma_f64 v[198:199], v[170:171], v[4:5], -v[190:191]
	v_fmac_f64_e32 v[194:195], v[172:173], v[4:5]
	ds_load_b128 v[4:7], v2 offset:1728
	ds_load_b128 v[170:173], v2 offset:1744
	scratch_load_b128 v[190:193], off, off offset:896
	v_fmac_f64_e32 v[196:197], v[180:181], v[8:9]
	v_fma_f64 v[178:179], v[178:179], v[8:9], -v[10:11]
	scratch_load_b128 v[8:11], off, off offset:912
	s_wait_loadcnt_dscnt 0xc01
	v_mul_f64_e32 v[200:201], v[4:5], v[14:15]
	v_mul_f64_e32 v[14:15], v[6:7], v[14:15]
	v_add_f64_e32 v[180:181], 0, v[198:199]
	v_add_f64_e32 v[194:195], 0, v[194:195]
	s_wait_loadcnt_dscnt 0xb00
	v_mul_f64_e32 v[198:199], v[170:171], v[144:145]
	v_mul_f64_e32 v[144:145], v[172:173], v[144:145]
	v_fmac_f64_e32 v[200:201], v[6:7], v[12:13]
	v_fma_f64 v[202:203], v[4:5], v[12:13], -v[14:15]
	ds_load_b128 v[4:7], v2 offset:1760
	ds_load_b128 v[12:15], v2 offset:1776
	v_add_f64_e32 v[204:205], v[180:181], v[178:179]
	v_add_f64_e32 v[194:195], v[194:195], v[196:197]
	scratch_load_b128 v[178:181], off, off offset:928
	v_fmac_f64_e32 v[198:199], v[172:173], v[142:143]
	v_fma_f64 v[170:171], v[170:171], v[142:143], -v[144:145]
	scratch_load_b128 v[142:145], off, off offset:944
	s_wait_loadcnt_dscnt 0xc01
	v_mul_f64_e32 v[196:197], v[4:5], v[148:149]
	v_mul_f64_e32 v[148:149], v[6:7], v[148:149]
	v_add_f64_e32 v[172:173], v[204:205], v[202:203]
	v_add_f64_e32 v[194:195], v[194:195], v[200:201]
	s_wait_loadcnt_dscnt 0xb00
	v_mul_f64_e32 v[200:201], v[12:13], v[152:153]
	v_mul_f64_e32 v[152:153], v[14:15], v[152:153]
	v_fmac_f64_e32 v[196:197], v[6:7], v[146:147]
	v_fma_f64 v[202:203], v[4:5], v[146:147], -v[148:149]
	ds_load_b128 v[4:7], v2 offset:1792
	ds_load_b128 v[146:149], v2 offset:1808
	v_add_f64_e32 v[204:205], v[172:173], v[170:171]
	v_add_f64_e32 v[194:195], v[194:195], v[198:199]
	scratch_load_b128 v[170:173], off, off offset:960
	s_wait_loadcnt_dscnt 0xb01
	v_mul_f64_e32 v[198:199], v[4:5], v[156:157]
	v_mul_f64_e32 v[156:157], v[6:7], v[156:157]
	v_fmac_f64_e32 v[200:201], v[14:15], v[150:151]
	v_fma_f64 v[150:151], v[12:13], v[150:151], -v[152:153]
	scratch_load_b128 v[12:15], off, off offset:976
	v_add_f64_e32 v[152:153], v[204:205], v[202:203]
	v_add_f64_e32 v[194:195], v[194:195], v[196:197]
	s_wait_loadcnt_dscnt 0xb00
	v_mul_f64_e32 v[196:197], v[146:147], v[160:161]
	v_mul_f64_e32 v[160:161], v[148:149], v[160:161]
	v_fmac_f64_e32 v[198:199], v[6:7], v[154:155]
	v_fma_f64 v[154:155], v[4:5], v[154:155], -v[156:157]
	v_add_f64_e32 v[156:157], v[152:153], v[150:151]
	v_add_f64_e32 v[194:195], v[194:195], v[200:201]
	ds_load_b128 v[4:7], v2 offset:1824
	ds_load_b128 v[150:153], v2 offset:1840
	v_fmac_f64_e32 v[196:197], v[148:149], v[158:159]
	v_fma_f64 v[146:147], v[146:147], v[158:159], -v[160:161]
	s_wait_loadcnt_dscnt 0xa01
	v_mul_f64_e32 v[200:201], v[4:5], v[164:165]
	v_mul_f64_e32 v[164:165], v[6:7], v[164:165]
	s_wait_loadcnt_dscnt 0x900
	v_mul_f64_e32 v[158:159], v[152:153], v[168:169]
	v_add_f64_e32 v[148:149], v[156:157], v[154:155]
	v_add_f64_e32 v[154:155], v[194:195], v[198:199]
	v_mul_f64_e32 v[156:157], v[150:151], v[168:169]
	v_fmac_f64_e32 v[200:201], v[6:7], v[162:163]
	v_fma_f64 v[160:161], v[4:5], v[162:163], -v[164:165]
	v_fma_f64 v[150:151], v[150:151], v[166:167], -v[158:159]
	v_add_f64_e32 v[162:163], v[148:149], v[146:147]
	v_add_f64_e32 v[154:155], v[154:155], v[196:197]
	ds_load_b128 v[4:7], v2 offset:1856
	ds_load_b128 v[146:149], v2 offset:1872
	v_fmac_f64_e32 v[156:157], v[152:153], v[166:167]
	s_wait_loadcnt_dscnt 0x801
	v_mul_f64_e32 v[164:165], v[4:5], v[176:177]
	v_mul_f64_e32 v[168:169], v[6:7], v[176:177]
	s_wait_loadcnt_dscnt 0x600
	v_mul_f64_e32 v[158:159], v[146:147], v[188:189]
	v_add_f64_e32 v[152:153], v[162:163], v[160:161]
	v_add_f64_e32 v[154:155], v[154:155], v[200:201]
	v_mul_f64_e32 v[160:161], v[148:149], v[188:189]
	v_fmac_f64_e32 v[164:165], v[6:7], v[174:175]
	v_fma_f64 v[162:163], v[4:5], v[174:175], -v[168:169]
	v_fmac_f64_e32 v[158:159], v[148:149], v[186:187]
	v_add_f64_e32 v[166:167], v[152:153], v[150:151]
	v_add_f64_e32 v[154:155], v[154:155], v[156:157]
	ds_load_b128 v[4:7], v2 offset:1888
	ds_load_b128 v[150:153], v2 offset:1904
	v_fma_f64 v[146:147], v[146:147], v[186:187], -v[160:161]
	s_wait_loadcnt_dscnt 0x501
	v_mul_f64_e32 v[156:157], v[4:5], v[192:193]
	v_mul_f64_e32 v[168:169], v[6:7], v[192:193]
	s_wait_loadcnt_dscnt 0x400
	v_mul_f64_e32 v[160:161], v[150:151], v[10:11]
	v_mul_f64_e32 v[10:11], v[152:153], v[10:11]
	v_add_f64_e32 v[148:149], v[166:167], v[162:163]
	v_add_f64_e32 v[154:155], v[154:155], v[164:165]
	v_fmac_f64_e32 v[156:157], v[6:7], v[190:191]
	v_fma_f64 v[162:163], v[4:5], v[190:191], -v[168:169]
	v_fmac_f64_e32 v[160:161], v[152:153], v[8:9]
	v_fma_f64 v[8:9], v[150:151], v[8:9], -v[10:11]
	v_add_f64_e32 v[164:165], v[148:149], v[146:147]
	v_add_f64_e32 v[154:155], v[154:155], v[158:159]
	ds_load_b128 v[4:7], v2 offset:1920
	ds_load_b128 v[146:149], v2 offset:1936
	s_wait_loadcnt_dscnt 0x301
	v_mul_f64_e32 v[158:159], v[4:5], v[180:181]
	v_mul_f64_e32 v[166:167], v[6:7], v[180:181]
	s_wait_loadcnt_dscnt 0x200
	v_mul_f64_e32 v[152:153], v[146:147], v[144:145]
	v_mul_f64_e32 v[144:145], v[148:149], v[144:145]
	v_add_f64_e32 v[10:11], v[164:165], v[162:163]
	v_add_f64_e32 v[150:151], v[154:155], v[156:157]
	v_fmac_f64_e32 v[158:159], v[6:7], v[178:179]
	v_fma_f64 v[154:155], v[4:5], v[178:179], -v[166:167]
	v_fmac_f64_e32 v[152:153], v[148:149], v[142:143]
	v_fma_f64 v[142:143], v[146:147], v[142:143], -v[144:145]
	v_add_f64_e32 v[156:157], v[10:11], v[8:9]
	v_add_f64_e32 v[150:151], v[150:151], v[160:161]
	ds_load_b128 v[4:7], v2 offset:1952
	ds_load_b128 v[8:11], v2 offset:1968
	s_wait_loadcnt_dscnt 0x101
	v_mul_f64_e32 v[2:3], v[4:5], v[172:173]
	v_mul_f64_e32 v[160:161], v[6:7], v[172:173]
	s_wait_loadcnt_dscnt 0x0
	v_mul_f64_e32 v[148:149], v[8:9], v[14:15]
	v_mul_f64_e32 v[14:15], v[10:11], v[14:15]
	v_add_f64_e32 v[144:145], v[156:157], v[154:155]
	v_add_f64_e32 v[146:147], v[150:151], v[158:159]
	v_fmac_f64_e32 v[2:3], v[6:7], v[170:171]
	v_fma_f64 v[4:5], v[4:5], v[170:171], -v[160:161]
	v_fmac_f64_e32 v[148:149], v[10:11], v[12:13]
	v_fma_f64 v[8:9], v[8:9], v[12:13], -v[14:15]
	v_add_f64_e32 v[6:7], v[144:145], v[142:143]
	v_add_f64_e32 v[142:143], v[146:147], v[152:153]
	s_delay_alu instid0(VALU_DEP_2) | instskip(NEXT) | instid1(VALU_DEP_2)
	v_add_f64_e32 v[4:5], v[6:7], v[4:5]
	v_add_f64_e32 v[2:3], v[142:143], v[2:3]
	s_delay_alu instid0(VALU_DEP_2) | instskip(NEXT) | instid1(VALU_DEP_2)
	;; [unrolled: 3-line block ×3, first 2 shown]
	v_add_f64_e64 v[2:3], v[182:183], -v[4:5]
	v_add_f64_e64 v[4:5], v[184:185], -v[6:7]
	scratch_store_b128 off, v[2:5], off offset:688
	s_wait_xcnt 0x0
	v_cmpx_lt_u32_e32 42, v1
	s_cbranch_execz .LBB61_313
; %bb.312:
	scratch_load_b128 v[2:5], off, s29
	v_mov_b32_e32 v6, 0
	s_delay_alu instid0(VALU_DEP_1)
	v_dual_mov_b32 v7, v6 :: v_dual_mov_b32 v8, v6
	v_mov_b32_e32 v9, v6
	scratch_store_b128 off, v[6:9], off offset:672
	s_wait_loadcnt 0x0
	ds_store_b128 v16, v[2:5]
.LBB61_313:
	s_wait_xcnt 0x0
	s_or_b32 exec_lo, exec_lo, s2
	s_wait_storecnt_dscnt 0x0
	s_barrier_signal -1
	s_barrier_wait -1
	s_clause 0x9
	scratch_load_b128 v[4:7], off, off offset:688
	scratch_load_b128 v[8:11], off, off offset:704
	;; [unrolled: 1-line block ×10, first 2 shown]
	v_mov_b32_e32 v2, 0
	s_mov_b32 s2, exec_lo
	ds_load_b128 v[170:173], v2 offset:1680
	s_clause 0x2
	scratch_load_b128 v[174:177], off, off offset:848
	scratch_load_b128 v[178:181], off, off offset:672
	;; [unrolled: 1-line block ×3, first 2 shown]
	s_wait_loadcnt_dscnt 0xc00
	v_mul_f64_e32 v[190:191], v[172:173], v[6:7]
	v_mul_f64_e32 v[194:195], v[170:171], v[6:7]
	ds_load_b128 v[182:185], v2 offset:1696
	v_fma_f64 v[198:199], v[170:171], v[4:5], -v[190:191]
	v_fmac_f64_e32 v[194:195], v[172:173], v[4:5]
	ds_load_b128 v[4:7], v2 offset:1712
	s_wait_loadcnt_dscnt 0xb01
	v_mul_f64_e32 v[196:197], v[182:183], v[10:11]
	v_mul_f64_e32 v[10:11], v[184:185], v[10:11]
	scratch_load_b128 v[170:173], off, off offset:880
	ds_load_b128 v[190:193], v2 offset:1728
	s_wait_loadcnt_dscnt 0xb01
	v_mul_f64_e32 v[200:201], v[4:5], v[14:15]
	v_mul_f64_e32 v[14:15], v[6:7], v[14:15]
	v_add_f64_e32 v[194:195], 0, v[194:195]
	v_fmac_f64_e32 v[196:197], v[184:185], v[8:9]
	v_fma_f64 v[182:183], v[182:183], v[8:9], -v[10:11]
	v_add_f64_e32 v[184:185], 0, v[198:199]
	scratch_load_b128 v[8:11], off, off offset:896
	v_fmac_f64_e32 v[200:201], v[6:7], v[12:13]
	v_fma_f64 v[202:203], v[4:5], v[12:13], -v[14:15]
	ds_load_b128 v[4:7], v2 offset:1744
	s_wait_loadcnt_dscnt 0xb01
	v_mul_f64_e32 v[198:199], v[190:191], v[144:145]
	v_mul_f64_e32 v[144:145], v[192:193], v[144:145]
	scratch_load_b128 v[12:15], off, off offset:912
	v_add_f64_e32 v[194:195], v[194:195], v[196:197]
	v_add_f64_e32 v[204:205], v[184:185], v[182:183]
	ds_load_b128 v[182:185], v2 offset:1760
	s_wait_loadcnt_dscnt 0xb01
	v_mul_f64_e32 v[196:197], v[4:5], v[148:149]
	v_mul_f64_e32 v[148:149], v[6:7], v[148:149]
	v_fmac_f64_e32 v[198:199], v[192:193], v[142:143]
	v_fma_f64 v[190:191], v[190:191], v[142:143], -v[144:145]
	scratch_load_b128 v[142:145], off, off offset:928
	v_add_f64_e32 v[194:195], v[194:195], v[200:201]
	v_add_f64_e32 v[192:193], v[204:205], v[202:203]
	v_fmac_f64_e32 v[196:197], v[6:7], v[146:147]
	v_fma_f64 v[202:203], v[4:5], v[146:147], -v[148:149]
	ds_load_b128 v[4:7], v2 offset:1776
	s_wait_loadcnt_dscnt 0xb01
	v_mul_f64_e32 v[200:201], v[182:183], v[152:153]
	v_mul_f64_e32 v[152:153], v[184:185], v[152:153]
	scratch_load_b128 v[146:149], off, off offset:944
	v_add_f64_e32 v[194:195], v[194:195], v[198:199]
	s_wait_loadcnt_dscnt 0xb00
	v_mul_f64_e32 v[198:199], v[4:5], v[156:157]
	v_add_f64_e32 v[204:205], v[192:193], v[190:191]
	v_mul_f64_e32 v[156:157], v[6:7], v[156:157]
	ds_load_b128 v[190:193], v2 offset:1792
	v_fmac_f64_e32 v[200:201], v[184:185], v[150:151]
	v_fma_f64 v[182:183], v[182:183], v[150:151], -v[152:153]
	scratch_load_b128 v[150:153], off, off offset:960
	v_add_f64_e32 v[194:195], v[194:195], v[196:197]
	v_fmac_f64_e32 v[198:199], v[6:7], v[154:155]
	v_add_f64_e32 v[184:185], v[204:205], v[202:203]
	v_fma_f64 v[202:203], v[4:5], v[154:155], -v[156:157]
	ds_load_b128 v[4:7], v2 offset:1808
	s_wait_loadcnt_dscnt 0xb01
	v_mul_f64_e32 v[196:197], v[190:191], v[160:161]
	v_mul_f64_e32 v[160:161], v[192:193], v[160:161]
	scratch_load_b128 v[154:157], off, off offset:976
	v_add_f64_e32 v[194:195], v[194:195], v[200:201]
	s_wait_loadcnt_dscnt 0xb00
	v_mul_f64_e32 v[200:201], v[4:5], v[164:165]
	v_add_f64_e32 v[204:205], v[184:185], v[182:183]
	v_mul_f64_e32 v[164:165], v[6:7], v[164:165]
	ds_load_b128 v[182:185], v2 offset:1824
	v_fmac_f64_e32 v[196:197], v[192:193], v[158:159]
	v_fma_f64 v[158:159], v[190:191], v[158:159], -v[160:161]
	s_wait_loadcnt_dscnt 0xa00
	v_mul_f64_e32 v[192:193], v[182:183], v[168:169]
	v_mul_f64_e32 v[168:169], v[184:185], v[168:169]
	v_add_f64_e32 v[190:191], v[194:195], v[198:199]
	v_fmac_f64_e32 v[200:201], v[6:7], v[162:163]
	v_add_f64_e32 v[160:161], v[204:205], v[202:203]
	v_fma_f64 v[162:163], v[4:5], v[162:163], -v[164:165]
	v_fmac_f64_e32 v[192:193], v[184:185], v[166:167]
	v_fma_f64 v[166:167], v[182:183], v[166:167], -v[168:169]
	v_add_f64_e32 v[190:191], v[190:191], v[196:197]
	v_add_f64_e32 v[164:165], v[160:161], v[158:159]
	ds_load_b128 v[4:7], v2 offset:1840
	ds_load_b128 v[158:161], v2 offset:1856
	s_wait_loadcnt_dscnt 0x901
	v_mul_f64_e32 v[194:195], v[4:5], v[176:177]
	v_mul_f64_e32 v[176:177], v[6:7], v[176:177]
	s_wait_loadcnt_dscnt 0x700
	v_mul_f64_e32 v[168:169], v[158:159], v[188:189]
	v_mul_f64_e32 v[182:183], v[160:161], v[188:189]
	v_add_f64_e32 v[162:163], v[164:165], v[162:163]
	v_add_f64_e32 v[164:165], v[190:191], v[200:201]
	v_fmac_f64_e32 v[194:195], v[6:7], v[174:175]
	v_fma_f64 v[174:175], v[4:5], v[174:175], -v[176:177]
	v_fmac_f64_e32 v[168:169], v[160:161], v[186:187]
	v_fma_f64 v[158:159], v[158:159], v[186:187], -v[182:183]
	v_add_f64_e32 v[166:167], v[162:163], v[166:167]
	v_add_f64_e32 v[176:177], v[164:165], v[192:193]
	ds_load_b128 v[4:7], v2 offset:1872
	ds_load_b128 v[162:165], v2 offset:1888
	s_wait_loadcnt_dscnt 0x601
	v_mul_f64_e32 v[184:185], v[4:5], v[172:173]
	v_mul_f64_e32 v[172:173], v[6:7], v[172:173]
	v_add_f64_e32 v[160:161], v[166:167], v[174:175]
	v_add_f64_e32 v[166:167], v[176:177], v[194:195]
	s_wait_loadcnt_dscnt 0x500
	v_mul_f64_e32 v[174:175], v[162:163], v[10:11]
	v_mul_f64_e32 v[10:11], v[164:165], v[10:11]
	v_fmac_f64_e32 v[184:185], v[6:7], v[170:171]
	v_fma_f64 v[170:171], v[4:5], v[170:171], -v[172:173]
	v_add_f64_e32 v[172:173], v[160:161], v[158:159]
	v_add_f64_e32 v[166:167], v[166:167], v[168:169]
	ds_load_b128 v[4:7], v2 offset:1904
	ds_load_b128 v[158:161], v2 offset:1920
	v_fmac_f64_e32 v[174:175], v[164:165], v[8:9]
	v_fma_f64 v[8:9], v[162:163], v[8:9], -v[10:11]
	s_wait_loadcnt_dscnt 0x401
	v_mul_f64_e32 v[168:169], v[4:5], v[14:15]
	v_mul_f64_e32 v[14:15], v[6:7], v[14:15]
	s_wait_loadcnt_dscnt 0x300
	v_mul_f64_e32 v[164:165], v[158:159], v[144:145]
	v_mul_f64_e32 v[144:145], v[160:161], v[144:145]
	v_add_f64_e32 v[10:11], v[172:173], v[170:171]
	v_add_f64_e32 v[162:163], v[166:167], v[184:185]
	v_fmac_f64_e32 v[168:169], v[6:7], v[12:13]
	v_fma_f64 v[12:13], v[4:5], v[12:13], -v[14:15]
	v_fmac_f64_e32 v[164:165], v[160:161], v[142:143]
	v_fma_f64 v[142:143], v[158:159], v[142:143], -v[144:145]
	v_add_f64_e32 v[14:15], v[10:11], v[8:9]
	v_add_f64_e32 v[162:163], v[162:163], v[174:175]
	ds_load_b128 v[4:7], v2 offset:1936
	ds_load_b128 v[8:11], v2 offset:1952
	s_wait_loadcnt_dscnt 0x201
	v_mul_f64_e32 v[166:167], v[4:5], v[148:149]
	v_mul_f64_e32 v[148:149], v[6:7], v[148:149]
	s_wait_loadcnt_dscnt 0x100
	v_mul_f64_e32 v[144:145], v[8:9], v[152:153]
	v_mul_f64_e32 v[152:153], v[10:11], v[152:153]
	v_add_f64_e32 v[12:13], v[14:15], v[12:13]
	v_add_f64_e32 v[14:15], v[162:163], v[168:169]
	v_fmac_f64_e32 v[166:167], v[6:7], v[146:147]
	v_fma_f64 v[146:147], v[4:5], v[146:147], -v[148:149]
	ds_load_b128 v[4:7], v2 offset:1968
	v_fmac_f64_e32 v[144:145], v[10:11], v[150:151]
	v_fma_f64 v[8:9], v[8:9], v[150:151], -v[152:153]
	v_add_f64_e32 v[12:13], v[12:13], v[142:143]
	v_add_f64_e32 v[14:15], v[14:15], v[164:165]
	s_wait_loadcnt_dscnt 0x0
	v_mul_f64_e32 v[142:143], v[4:5], v[156:157]
	v_mul_f64_e32 v[148:149], v[6:7], v[156:157]
	s_delay_alu instid0(VALU_DEP_4) | instskip(NEXT) | instid1(VALU_DEP_4)
	v_add_f64_e32 v[10:11], v[12:13], v[146:147]
	v_add_f64_e32 v[12:13], v[14:15], v[166:167]
	s_delay_alu instid0(VALU_DEP_4) | instskip(NEXT) | instid1(VALU_DEP_4)
	v_fmac_f64_e32 v[142:143], v[6:7], v[154:155]
	v_fma_f64 v[4:5], v[4:5], v[154:155], -v[148:149]
	s_delay_alu instid0(VALU_DEP_4) | instskip(NEXT) | instid1(VALU_DEP_4)
	v_add_f64_e32 v[6:7], v[10:11], v[8:9]
	v_add_f64_e32 v[8:9], v[12:13], v[144:145]
	s_delay_alu instid0(VALU_DEP_2) | instskip(NEXT) | instid1(VALU_DEP_2)
	v_add_f64_e32 v[4:5], v[6:7], v[4:5]
	v_add_f64_e32 v[6:7], v[8:9], v[142:143]
	s_delay_alu instid0(VALU_DEP_2) | instskip(NEXT) | instid1(VALU_DEP_2)
	v_add_f64_e64 v[4:5], v[178:179], -v[4:5]
	v_add_f64_e64 v[6:7], v[180:181], -v[6:7]
	scratch_store_b128 off, v[4:7], off offset:672
	s_wait_xcnt 0x0
	v_cmpx_lt_u32_e32 41, v1
	s_cbranch_execz .LBB61_315
; %bb.314:
	scratch_load_b128 v[6:9], off, s27
	v_dual_mov_b32 v3, v2 :: v_dual_mov_b32 v4, v2
	v_mov_b32_e32 v5, v2
	scratch_store_b128 off, v[2:5], off offset:656
	s_wait_loadcnt 0x0
	ds_store_b128 v16, v[6:9]
.LBB61_315:
	s_wait_xcnt 0x0
	s_or_b32 exec_lo, exec_lo, s2
	s_wait_storecnt_dscnt 0x0
	s_barrier_signal -1
	s_barrier_wait -1
	s_clause 0x9
	scratch_load_b128 v[4:7], off, off offset:672
	scratch_load_b128 v[8:11], off, off offset:688
	;; [unrolled: 1-line block ×10, first 2 shown]
	ds_load_b128 v[170:173], v2 offset:1664
	ds_load_b128 v[178:181], v2 offset:1680
	s_clause 0x2
	scratch_load_b128 v[174:177], off, off offset:832
	scratch_load_b128 v[182:185], off, off offset:656
	;; [unrolled: 1-line block ×3, first 2 shown]
	s_mov_b32 s2, exec_lo
	s_wait_loadcnt_dscnt 0xc01
	v_mul_f64_e32 v[190:191], v[172:173], v[6:7]
	v_mul_f64_e32 v[194:195], v[170:171], v[6:7]
	s_wait_loadcnt_dscnt 0xb00
	v_mul_f64_e32 v[196:197], v[178:179], v[10:11]
	v_mul_f64_e32 v[10:11], v[180:181], v[10:11]
	s_delay_alu instid0(VALU_DEP_4) | instskip(NEXT) | instid1(VALU_DEP_4)
	v_fma_f64 v[198:199], v[170:171], v[4:5], -v[190:191]
	v_fmac_f64_e32 v[194:195], v[172:173], v[4:5]
	ds_load_b128 v[4:7], v2 offset:1696
	ds_load_b128 v[170:173], v2 offset:1712
	scratch_load_b128 v[190:193], off, off offset:864
	v_fmac_f64_e32 v[196:197], v[180:181], v[8:9]
	v_fma_f64 v[178:179], v[178:179], v[8:9], -v[10:11]
	scratch_load_b128 v[8:11], off, off offset:880
	s_wait_loadcnt_dscnt 0xc01
	v_mul_f64_e32 v[200:201], v[4:5], v[14:15]
	v_mul_f64_e32 v[14:15], v[6:7], v[14:15]
	v_add_f64_e32 v[180:181], 0, v[198:199]
	v_add_f64_e32 v[194:195], 0, v[194:195]
	s_wait_loadcnt_dscnt 0xb00
	v_mul_f64_e32 v[198:199], v[170:171], v[144:145]
	v_mul_f64_e32 v[144:145], v[172:173], v[144:145]
	v_fmac_f64_e32 v[200:201], v[6:7], v[12:13]
	v_fma_f64 v[202:203], v[4:5], v[12:13], -v[14:15]
	ds_load_b128 v[4:7], v2 offset:1728
	ds_load_b128 v[12:15], v2 offset:1744
	v_add_f64_e32 v[204:205], v[180:181], v[178:179]
	v_add_f64_e32 v[194:195], v[194:195], v[196:197]
	scratch_load_b128 v[178:181], off, off offset:896
	v_fmac_f64_e32 v[198:199], v[172:173], v[142:143]
	v_fma_f64 v[170:171], v[170:171], v[142:143], -v[144:145]
	scratch_load_b128 v[142:145], off, off offset:912
	s_wait_loadcnt_dscnt 0xc01
	v_mul_f64_e32 v[196:197], v[4:5], v[148:149]
	v_mul_f64_e32 v[148:149], v[6:7], v[148:149]
	v_add_f64_e32 v[172:173], v[204:205], v[202:203]
	v_add_f64_e32 v[194:195], v[194:195], v[200:201]
	s_wait_loadcnt_dscnt 0xb00
	v_mul_f64_e32 v[200:201], v[12:13], v[152:153]
	v_mul_f64_e32 v[152:153], v[14:15], v[152:153]
	v_fmac_f64_e32 v[196:197], v[6:7], v[146:147]
	v_fma_f64 v[202:203], v[4:5], v[146:147], -v[148:149]
	ds_load_b128 v[4:7], v2 offset:1760
	ds_load_b128 v[146:149], v2 offset:1776
	v_add_f64_e32 v[204:205], v[172:173], v[170:171]
	v_add_f64_e32 v[194:195], v[194:195], v[198:199]
	scratch_load_b128 v[170:173], off, off offset:928
	s_wait_loadcnt_dscnt 0xb01
	v_mul_f64_e32 v[198:199], v[4:5], v[156:157]
	v_mul_f64_e32 v[156:157], v[6:7], v[156:157]
	v_fmac_f64_e32 v[200:201], v[14:15], v[150:151]
	v_fma_f64 v[150:151], v[12:13], v[150:151], -v[152:153]
	scratch_load_b128 v[12:15], off, off offset:944
	v_add_f64_e32 v[152:153], v[204:205], v[202:203]
	v_add_f64_e32 v[194:195], v[194:195], v[196:197]
	s_wait_loadcnt_dscnt 0xb00
	v_mul_f64_e32 v[196:197], v[146:147], v[160:161]
	v_mul_f64_e32 v[160:161], v[148:149], v[160:161]
	v_fmac_f64_e32 v[198:199], v[6:7], v[154:155]
	v_fma_f64 v[202:203], v[4:5], v[154:155], -v[156:157]
	v_add_f64_e32 v[204:205], v[152:153], v[150:151]
	v_add_f64_e32 v[194:195], v[194:195], v[200:201]
	ds_load_b128 v[4:7], v2 offset:1792
	ds_load_b128 v[150:153], v2 offset:1808
	scratch_load_b128 v[154:157], off, off offset:960
	v_fmac_f64_e32 v[196:197], v[148:149], v[158:159]
	v_fma_f64 v[158:159], v[146:147], v[158:159], -v[160:161]
	scratch_load_b128 v[146:149], off, off offset:976
	s_wait_loadcnt_dscnt 0xc01
	v_mul_f64_e32 v[200:201], v[4:5], v[164:165]
	v_mul_f64_e32 v[164:165], v[6:7], v[164:165]
	v_add_f64_e32 v[160:161], v[204:205], v[202:203]
	v_add_f64_e32 v[194:195], v[194:195], v[198:199]
	s_wait_loadcnt_dscnt 0xb00
	v_mul_f64_e32 v[198:199], v[150:151], v[168:169]
	v_mul_f64_e32 v[168:169], v[152:153], v[168:169]
	v_fmac_f64_e32 v[200:201], v[6:7], v[162:163]
	v_fma_f64 v[162:163], v[4:5], v[162:163], -v[164:165]
	v_add_f64_e32 v[164:165], v[160:161], v[158:159]
	v_add_f64_e32 v[194:195], v[194:195], v[196:197]
	ds_load_b128 v[4:7], v2 offset:1824
	ds_load_b128 v[158:161], v2 offset:1840
	v_fmac_f64_e32 v[198:199], v[152:153], v[166:167]
	v_fma_f64 v[150:151], v[150:151], v[166:167], -v[168:169]
	s_wait_loadcnt_dscnt 0xa01
	v_mul_f64_e32 v[196:197], v[4:5], v[176:177]
	v_mul_f64_e32 v[176:177], v[6:7], v[176:177]
	s_wait_loadcnt_dscnt 0x800
	v_mul_f64_e32 v[166:167], v[160:161], v[188:189]
	v_add_f64_e32 v[152:153], v[164:165], v[162:163]
	v_add_f64_e32 v[162:163], v[194:195], v[200:201]
	v_mul_f64_e32 v[164:165], v[158:159], v[188:189]
	v_fmac_f64_e32 v[196:197], v[6:7], v[174:175]
	v_fma_f64 v[168:169], v[4:5], v[174:175], -v[176:177]
	v_fma_f64 v[158:159], v[158:159], v[186:187], -v[166:167]
	v_add_f64_e32 v[174:175], v[152:153], v[150:151]
	v_add_f64_e32 v[162:163], v[162:163], v[198:199]
	ds_load_b128 v[4:7], v2 offset:1856
	ds_load_b128 v[150:153], v2 offset:1872
	v_fmac_f64_e32 v[164:165], v[160:161], v[186:187]
	s_wait_loadcnt_dscnt 0x701
	v_mul_f64_e32 v[176:177], v[4:5], v[192:193]
	v_mul_f64_e32 v[188:189], v[6:7], v[192:193]
	s_wait_loadcnt_dscnt 0x600
	v_mul_f64_e32 v[166:167], v[150:151], v[10:11]
	v_mul_f64_e32 v[10:11], v[152:153], v[10:11]
	v_add_f64_e32 v[160:161], v[174:175], v[168:169]
	v_add_f64_e32 v[162:163], v[162:163], v[196:197]
	v_fmac_f64_e32 v[176:177], v[6:7], v[190:191]
	v_fma_f64 v[168:169], v[4:5], v[190:191], -v[188:189]
	v_fmac_f64_e32 v[166:167], v[152:153], v[8:9]
	v_fma_f64 v[8:9], v[150:151], v[8:9], -v[10:11]
	v_add_f64_e32 v[174:175], v[160:161], v[158:159]
	v_add_f64_e32 v[162:163], v[162:163], v[164:165]
	ds_load_b128 v[4:7], v2 offset:1888
	ds_load_b128 v[158:161], v2 offset:1904
	s_wait_loadcnt_dscnt 0x501
	v_mul_f64_e32 v[164:165], v[4:5], v[180:181]
	v_mul_f64_e32 v[180:181], v[6:7], v[180:181]
	s_wait_loadcnt_dscnt 0x400
	v_mul_f64_e32 v[152:153], v[158:159], v[144:145]
	v_mul_f64_e32 v[144:145], v[160:161], v[144:145]
	v_add_f64_e32 v[10:11], v[174:175], v[168:169]
	v_add_f64_e32 v[150:151], v[162:163], v[176:177]
	v_fmac_f64_e32 v[164:165], v[6:7], v[178:179]
	v_fma_f64 v[162:163], v[4:5], v[178:179], -v[180:181]
	v_fmac_f64_e32 v[152:153], v[160:161], v[142:143]
	v_fma_f64 v[142:143], v[158:159], v[142:143], -v[144:145]
	v_add_f64_e32 v[168:169], v[10:11], v[8:9]
	v_add_f64_e32 v[150:151], v[150:151], v[166:167]
	ds_load_b128 v[4:7], v2 offset:1920
	ds_load_b128 v[8:11], v2 offset:1936
	;; [unrolled: 16-line block ×3, first 2 shown]
	s_wait_loadcnt_dscnt 0x101
	v_mul_f64_e32 v[2:3], v[4:5], v[156:157]
	v_mul_f64_e32 v[152:153], v[6:7], v[156:157]
	s_wait_loadcnt_dscnt 0x0
	v_mul_f64_e32 v[14:15], v[142:143], v[148:149]
	v_mul_f64_e32 v[148:149], v[144:145], v[148:149]
	v_add_f64_e32 v[10:11], v[162:163], v[160:161]
	v_add_f64_e32 v[12:13], v[150:151], v[166:167]
	v_fmac_f64_e32 v[2:3], v[6:7], v[154:155]
	v_fma_f64 v[4:5], v[4:5], v[154:155], -v[152:153]
	v_fmac_f64_e32 v[14:15], v[144:145], v[146:147]
	v_add_f64_e32 v[6:7], v[10:11], v[8:9]
	v_add_f64_e32 v[8:9], v[12:13], v[158:159]
	v_fma_f64 v[10:11], v[142:143], v[146:147], -v[148:149]
	s_delay_alu instid0(VALU_DEP_3) | instskip(NEXT) | instid1(VALU_DEP_3)
	v_add_f64_e32 v[4:5], v[6:7], v[4:5]
	v_add_f64_e32 v[2:3], v[8:9], v[2:3]
	s_delay_alu instid0(VALU_DEP_2) | instskip(NEXT) | instid1(VALU_DEP_2)
	v_add_f64_e32 v[4:5], v[4:5], v[10:11]
	v_add_f64_e32 v[6:7], v[2:3], v[14:15]
	s_delay_alu instid0(VALU_DEP_2) | instskip(NEXT) | instid1(VALU_DEP_2)
	v_add_f64_e64 v[2:3], v[182:183], -v[4:5]
	v_add_f64_e64 v[4:5], v[184:185], -v[6:7]
	scratch_store_b128 off, v[2:5], off offset:656
	s_wait_xcnt 0x0
	v_cmpx_lt_u32_e32 40, v1
	s_cbranch_execz .LBB61_317
; %bb.316:
	scratch_load_b128 v[2:5], off, s33
	v_mov_b32_e32 v6, 0
	s_delay_alu instid0(VALU_DEP_1)
	v_dual_mov_b32 v7, v6 :: v_dual_mov_b32 v8, v6
	v_mov_b32_e32 v9, v6
	scratch_store_b128 off, v[6:9], off offset:640
	s_wait_loadcnt 0x0
	ds_store_b128 v16, v[2:5]
.LBB61_317:
	s_wait_xcnt 0x0
	s_or_b32 exec_lo, exec_lo, s2
	s_wait_storecnt_dscnt 0x0
	s_barrier_signal -1
	s_barrier_wait -1
	s_clause 0x9
	scratch_load_b128 v[4:7], off, off offset:656
	scratch_load_b128 v[8:11], off, off offset:672
	;; [unrolled: 1-line block ×10, first 2 shown]
	v_mov_b32_e32 v2, 0
	s_mov_b32 s2, exec_lo
	ds_load_b128 v[170:173], v2 offset:1648
	s_clause 0x2
	scratch_load_b128 v[174:177], off, off offset:816
	scratch_load_b128 v[178:181], off, off offset:640
	;; [unrolled: 1-line block ×3, first 2 shown]
	s_wait_loadcnt_dscnt 0xc00
	v_mul_f64_e32 v[190:191], v[172:173], v[6:7]
	v_mul_f64_e32 v[194:195], v[170:171], v[6:7]
	ds_load_b128 v[182:185], v2 offset:1664
	v_fma_f64 v[198:199], v[170:171], v[4:5], -v[190:191]
	v_fmac_f64_e32 v[194:195], v[172:173], v[4:5]
	ds_load_b128 v[4:7], v2 offset:1680
	s_wait_loadcnt_dscnt 0xb01
	v_mul_f64_e32 v[196:197], v[182:183], v[10:11]
	v_mul_f64_e32 v[10:11], v[184:185], v[10:11]
	scratch_load_b128 v[170:173], off, off offset:848
	ds_load_b128 v[190:193], v2 offset:1696
	s_wait_loadcnt_dscnt 0xb01
	v_mul_f64_e32 v[200:201], v[4:5], v[14:15]
	v_mul_f64_e32 v[14:15], v[6:7], v[14:15]
	v_add_f64_e32 v[194:195], 0, v[194:195]
	v_fmac_f64_e32 v[196:197], v[184:185], v[8:9]
	v_fma_f64 v[182:183], v[182:183], v[8:9], -v[10:11]
	v_add_f64_e32 v[184:185], 0, v[198:199]
	scratch_load_b128 v[8:11], off, off offset:864
	v_fmac_f64_e32 v[200:201], v[6:7], v[12:13]
	v_fma_f64 v[202:203], v[4:5], v[12:13], -v[14:15]
	ds_load_b128 v[4:7], v2 offset:1712
	s_wait_loadcnt_dscnt 0xb01
	v_mul_f64_e32 v[198:199], v[190:191], v[144:145]
	v_mul_f64_e32 v[144:145], v[192:193], v[144:145]
	scratch_load_b128 v[12:15], off, off offset:880
	v_add_f64_e32 v[194:195], v[194:195], v[196:197]
	v_add_f64_e32 v[204:205], v[184:185], v[182:183]
	ds_load_b128 v[182:185], v2 offset:1728
	s_wait_loadcnt_dscnt 0xb01
	v_mul_f64_e32 v[196:197], v[4:5], v[148:149]
	v_mul_f64_e32 v[148:149], v[6:7], v[148:149]
	v_fmac_f64_e32 v[198:199], v[192:193], v[142:143]
	v_fma_f64 v[190:191], v[190:191], v[142:143], -v[144:145]
	scratch_load_b128 v[142:145], off, off offset:896
	v_add_f64_e32 v[194:195], v[194:195], v[200:201]
	v_add_f64_e32 v[192:193], v[204:205], v[202:203]
	v_fmac_f64_e32 v[196:197], v[6:7], v[146:147]
	v_fma_f64 v[202:203], v[4:5], v[146:147], -v[148:149]
	ds_load_b128 v[4:7], v2 offset:1744
	s_wait_loadcnt_dscnt 0xb01
	v_mul_f64_e32 v[200:201], v[182:183], v[152:153]
	v_mul_f64_e32 v[152:153], v[184:185], v[152:153]
	scratch_load_b128 v[146:149], off, off offset:912
	v_add_f64_e32 v[194:195], v[194:195], v[198:199]
	s_wait_loadcnt_dscnt 0xb00
	v_mul_f64_e32 v[198:199], v[4:5], v[156:157]
	v_add_f64_e32 v[204:205], v[192:193], v[190:191]
	v_mul_f64_e32 v[156:157], v[6:7], v[156:157]
	ds_load_b128 v[190:193], v2 offset:1760
	v_fmac_f64_e32 v[200:201], v[184:185], v[150:151]
	v_fma_f64 v[182:183], v[182:183], v[150:151], -v[152:153]
	scratch_load_b128 v[150:153], off, off offset:928
	v_add_f64_e32 v[194:195], v[194:195], v[196:197]
	v_fmac_f64_e32 v[198:199], v[6:7], v[154:155]
	v_add_f64_e32 v[184:185], v[204:205], v[202:203]
	v_fma_f64 v[202:203], v[4:5], v[154:155], -v[156:157]
	ds_load_b128 v[4:7], v2 offset:1776
	s_wait_loadcnt_dscnt 0xb01
	v_mul_f64_e32 v[196:197], v[190:191], v[160:161]
	v_mul_f64_e32 v[160:161], v[192:193], v[160:161]
	scratch_load_b128 v[154:157], off, off offset:944
	v_add_f64_e32 v[194:195], v[194:195], v[200:201]
	s_wait_loadcnt_dscnt 0xb00
	v_mul_f64_e32 v[200:201], v[4:5], v[164:165]
	v_add_f64_e32 v[204:205], v[184:185], v[182:183]
	v_mul_f64_e32 v[164:165], v[6:7], v[164:165]
	ds_load_b128 v[182:185], v2 offset:1792
	v_fmac_f64_e32 v[196:197], v[192:193], v[158:159]
	v_fma_f64 v[190:191], v[190:191], v[158:159], -v[160:161]
	scratch_load_b128 v[158:161], off, off offset:960
	v_add_f64_e32 v[194:195], v[194:195], v[198:199]
	v_fmac_f64_e32 v[200:201], v[6:7], v[162:163]
	v_add_f64_e32 v[192:193], v[204:205], v[202:203]
	v_fma_f64 v[202:203], v[4:5], v[162:163], -v[164:165]
	ds_load_b128 v[4:7], v2 offset:1808
	s_wait_loadcnt_dscnt 0xb01
	v_mul_f64_e32 v[198:199], v[182:183], v[168:169]
	v_mul_f64_e32 v[168:169], v[184:185], v[168:169]
	scratch_load_b128 v[162:165], off, off offset:976
	v_add_f64_e32 v[194:195], v[194:195], v[196:197]
	s_wait_loadcnt_dscnt 0xb00
	v_mul_f64_e32 v[196:197], v[4:5], v[176:177]
	v_add_f64_e32 v[204:205], v[192:193], v[190:191]
	v_mul_f64_e32 v[176:177], v[6:7], v[176:177]
	ds_load_b128 v[190:193], v2 offset:1824
	v_fmac_f64_e32 v[198:199], v[184:185], v[166:167]
	v_fma_f64 v[166:167], v[182:183], v[166:167], -v[168:169]
	s_wait_loadcnt_dscnt 0x900
	v_mul_f64_e32 v[184:185], v[190:191], v[188:189]
	v_mul_f64_e32 v[188:189], v[192:193], v[188:189]
	v_add_f64_e32 v[182:183], v[194:195], v[200:201]
	v_fmac_f64_e32 v[196:197], v[6:7], v[174:175]
	v_add_f64_e32 v[168:169], v[204:205], v[202:203]
	v_fma_f64 v[174:175], v[4:5], v[174:175], -v[176:177]
	v_fmac_f64_e32 v[184:185], v[192:193], v[186:187]
	v_fma_f64 v[186:187], v[190:191], v[186:187], -v[188:189]
	v_add_f64_e32 v[182:183], v[182:183], v[198:199]
	v_add_f64_e32 v[176:177], v[168:169], v[166:167]
	ds_load_b128 v[4:7], v2 offset:1840
	ds_load_b128 v[166:169], v2 offset:1856
	s_wait_loadcnt_dscnt 0x801
	v_mul_f64_e32 v[194:195], v[4:5], v[172:173]
	v_mul_f64_e32 v[172:173], v[6:7], v[172:173]
	v_add_f64_e32 v[174:175], v[176:177], v[174:175]
	v_add_f64_e32 v[176:177], v[182:183], v[196:197]
	s_wait_loadcnt_dscnt 0x700
	v_mul_f64_e32 v[182:183], v[166:167], v[10:11]
	v_mul_f64_e32 v[10:11], v[168:169], v[10:11]
	v_fmac_f64_e32 v[194:195], v[6:7], v[170:171]
	v_fma_f64 v[188:189], v[4:5], v[170:171], -v[172:173]
	ds_load_b128 v[4:7], v2 offset:1872
	ds_load_b128 v[170:173], v2 offset:1888
	v_add_f64_e32 v[174:175], v[174:175], v[186:187]
	v_add_f64_e32 v[176:177], v[176:177], v[184:185]
	v_fmac_f64_e32 v[182:183], v[168:169], v[8:9]
	v_fma_f64 v[8:9], v[166:167], v[8:9], -v[10:11]
	s_wait_loadcnt_dscnt 0x601
	v_mul_f64_e32 v[184:185], v[4:5], v[14:15]
	v_mul_f64_e32 v[14:15], v[6:7], v[14:15]
	s_wait_loadcnt_dscnt 0x500
	v_mul_f64_e32 v[168:169], v[170:171], v[144:145]
	v_mul_f64_e32 v[144:145], v[172:173], v[144:145]
	v_add_f64_e32 v[10:11], v[174:175], v[188:189]
	v_add_f64_e32 v[166:167], v[176:177], v[194:195]
	v_fmac_f64_e32 v[184:185], v[6:7], v[12:13]
	v_fma_f64 v[12:13], v[4:5], v[12:13], -v[14:15]
	v_fmac_f64_e32 v[168:169], v[172:173], v[142:143]
	v_fma_f64 v[142:143], v[170:171], v[142:143], -v[144:145]
	v_add_f64_e32 v[14:15], v[10:11], v[8:9]
	v_add_f64_e32 v[166:167], v[166:167], v[182:183]
	ds_load_b128 v[4:7], v2 offset:1904
	ds_load_b128 v[8:11], v2 offset:1920
	s_wait_loadcnt_dscnt 0x401
	v_mul_f64_e32 v[174:175], v[4:5], v[148:149]
	v_mul_f64_e32 v[148:149], v[6:7], v[148:149]
	s_wait_loadcnt_dscnt 0x300
	v_mul_f64_e32 v[144:145], v[8:9], v[152:153]
	v_mul_f64_e32 v[152:153], v[10:11], v[152:153]
	v_add_f64_e32 v[12:13], v[14:15], v[12:13]
	v_add_f64_e32 v[14:15], v[166:167], v[184:185]
	v_fmac_f64_e32 v[174:175], v[6:7], v[146:147]
	v_fma_f64 v[146:147], v[4:5], v[146:147], -v[148:149]
	v_fmac_f64_e32 v[144:145], v[10:11], v[150:151]
	v_fma_f64 v[8:9], v[8:9], v[150:151], -v[152:153]
	v_add_f64_e32 v[142:143], v[12:13], v[142:143]
	v_add_f64_e32 v[148:149], v[14:15], v[168:169]
	ds_load_b128 v[4:7], v2 offset:1936
	ds_load_b128 v[12:15], v2 offset:1952
	s_wait_loadcnt_dscnt 0x201
	v_mul_f64_e32 v[166:167], v[4:5], v[156:157]
	v_mul_f64_e32 v[156:157], v[6:7], v[156:157]
	v_add_f64_e32 v[10:11], v[142:143], v[146:147]
	v_add_f64_e32 v[142:143], v[148:149], v[174:175]
	s_wait_loadcnt_dscnt 0x100
	v_mul_f64_e32 v[146:147], v[12:13], v[160:161]
	v_mul_f64_e32 v[148:149], v[14:15], v[160:161]
	v_fmac_f64_e32 v[166:167], v[6:7], v[154:155]
	v_fma_f64 v[150:151], v[4:5], v[154:155], -v[156:157]
	ds_load_b128 v[4:7], v2 offset:1968
	v_add_f64_e32 v[8:9], v[10:11], v[8:9]
	v_add_f64_e32 v[10:11], v[142:143], v[144:145]
	v_fmac_f64_e32 v[146:147], v[14:15], v[158:159]
	v_fma_f64 v[12:13], v[12:13], v[158:159], -v[148:149]
	s_wait_loadcnt_dscnt 0x0
	v_mul_f64_e32 v[142:143], v[4:5], v[164:165]
	v_mul_f64_e32 v[144:145], v[6:7], v[164:165]
	v_add_f64_e32 v[8:9], v[8:9], v[150:151]
	v_add_f64_e32 v[10:11], v[10:11], v[166:167]
	s_delay_alu instid0(VALU_DEP_4) | instskip(NEXT) | instid1(VALU_DEP_4)
	v_fmac_f64_e32 v[142:143], v[6:7], v[162:163]
	v_fma_f64 v[4:5], v[4:5], v[162:163], -v[144:145]
	s_delay_alu instid0(VALU_DEP_4) | instskip(NEXT) | instid1(VALU_DEP_4)
	v_add_f64_e32 v[6:7], v[8:9], v[12:13]
	v_add_f64_e32 v[8:9], v[10:11], v[146:147]
	s_delay_alu instid0(VALU_DEP_2) | instskip(NEXT) | instid1(VALU_DEP_2)
	v_add_f64_e32 v[4:5], v[6:7], v[4:5]
	v_add_f64_e32 v[6:7], v[8:9], v[142:143]
	s_delay_alu instid0(VALU_DEP_2) | instskip(NEXT) | instid1(VALU_DEP_2)
	v_add_f64_e64 v[4:5], v[178:179], -v[4:5]
	v_add_f64_e64 v[6:7], v[180:181], -v[6:7]
	scratch_store_b128 off, v[4:7], off offset:640
	s_wait_xcnt 0x0
	v_cmpx_lt_u32_e32 39, v1
	s_cbranch_execz .LBB61_319
; %bb.318:
	scratch_load_b128 v[6:9], off, s31
	v_dual_mov_b32 v3, v2 :: v_dual_mov_b32 v4, v2
	v_mov_b32_e32 v5, v2
	scratch_store_b128 off, v[2:5], off offset:624
	s_wait_loadcnt 0x0
	ds_store_b128 v16, v[6:9]
.LBB61_319:
	s_wait_xcnt 0x0
	s_or_b32 exec_lo, exec_lo, s2
	s_wait_storecnt_dscnt 0x0
	s_barrier_signal -1
	s_barrier_wait -1
	s_clause 0x9
	scratch_load_b128 v[4:7], off, off offset:640
	scratch_load_b128 v[8:11], off, off offset:656
	;; [unrolled: 1-line block ×10, first 2 shown]
	ds_load_b128 v[170:173], v2 offset:1632
	ds_load_b128 v[178:181], v2 offset:1648
	s_clause 0x2
	scratch_load_b128 v[174:177], off, off offset:800
	scratch_load_b128 v[182:185], off, off offset:624
	;; [unrolled: 1-line block ×3, first 2 shown]
	s_mov_b32 s2, exec_lo
	s_wait_loadcnt_dscnt 0xc01
	v_mul_f64_e32 v[190:191], v[172:173], v[6:7]
	v_mul_f64_e32 v[194:195], v[170:171], v[6:7]
	s_wait_loadcnt_dscnt 0xb00
	v_mul_f64_e32 v[196:197], v[178:179], v[10:11]
	v_mul_f64_e32 v[10:11], v[180:181], v[10:11]
	s_delay_alu instid0(VALU_DEP_4) | instskip(NEXT) | instid1(VALU_DEP_4)
	v_fma_f64 v[198:199], v[170:171], v[4:5], -v[190:191]
	v_fmac_f64_e32 v[194:195], v[172:173], v[4:5]
	ds_load_b128 v[4:7], v2 offset:1664
	ds_load_b128 v[170:173], v2 offset:1680
	scratch_load_b128 v[190:193], off, off offset:832
	v_fmac_f64_e32 v[196:197], v[180:181], v[8:9]
	v_fma_f64 v[178:179], v[178:179], v[8:9], -v[10:11]
	scratch_load_b128 v[8:11], off, off offset:848
	s_wait_loadcnt_dscnt 0xc01
	v_mul_f64_e32 v[200:201], v[4:5], v[14:15]
	v_mul_f64_e32 v[14:15], v[6:7], v[14:15]
	v_add_f64_e32 v[180:181], 0, v[198:199]
	v_add_f64_e32 v[194:195], 0, v[194:195]
	s_wait_loadcnt_dscnt 0xb00
	v_mul_f64_e32 v[198:199], v[170:171], v[144:145]
	v_mul_f64_e32 v[144:145], v[172:173], v[144:145]
	v_fmac_f64_e32 v[200:201], v[6:7], v[12:13]
	v_fma_f64 v[202:203], v[4:5], v[12:13], -v[14:15]
	ds_load_b128 v[4:7], v2 offset:1696
	ds_load_b128 v[12:15], v2 offset:1712
	v_add_f64_e32 v[204:205], v[180:181], v[178:179]
	v_add_f64_e32 v[194:195], v[194:195], v[196:197]
	scratch_load_b128 v[178:181], off, off offset:864
	v_fmac_f64_e32 v[198:199], v[172:173], v[142:143]
	v_fma_f64 v[170:171], v[170:171], v[142:143], -v[144:145]
	scratch_load_b128 v[142:145], off, off offset:880
	s_wait_loadcnt_dscnt 0xc01
	v_mul_f64_e32 v[196:197], v[4:5], v[148:149]
	v_mul_f64_e32 v[148:149], v[6:7], v[148:149]
	v_add_f64_e32 v[172:173], v[204:205], v[202:203]
	v_add_f64_e32 v[194:195], v[194:195], v[200:201]
	s_wait_loadcnt_dscnt 0xb00
	v_mul_f64_e32 v[200:201], v[12:13], v[152:153]
	v_mul_f64_e32 v[152:153], v[14:15], v[152:153]
	v_fmac_f64_e32 v[196:197], v[6:7], v[146:147]
	v_fma_f64 v[202:203], v[4:5], v[146:147], -v[148:149]
	ds_load_b128 v[4:7], v2 offset:1728
	ds_load_b128 v[146:149], v2 offset:1744
	v_add_f64_e32 v[204:205], v[172:173], v[170:171]
	v_add_f64_e32 v[194:195], v[194:195], v[198:199]
	scratch_load_b128 v[170:173], off, off offset:896
	s_wait_loadcnt_dscnt 0xb01
	v_mul_f64_e32 v[198:199], v[4:5], v[156:157]
	v_mul_f64_e32 v[156:157], v[6:7], v[156:157]
	v_fmac_f64_e32 v[200:201], v[14:15], v[150:151]
	v_fma_f64 v[150:151], v[12:13], v[150:151], -v[152:153]
	scratch_load_b128 v[12:15], off, off offset:912
	v_add_f64_e32 v[152:153], v[204:205], v[202:203]
	v_add_f64_e32 v[194:195], v[194:195], v[196:197]
	s_wait_loadcnt_dscnt 0xb00
	v_mul_f64_e32 v[196:197], v[146:147], v[160:161]
	v_mul_f64_e32 v[160:161], v[148:149], v[160:161]
	v_fmac_f64_e32 v[198:199], v[6:7], v[154:155]
	v_fma_f64 v[202:203], v[4:5], v[154:155], -v[156:157]
	v_add_f64_e32 v[204:205], v[152:153], v[150:151]
	v_add_f64_e32 v[194:195], v[194:195], v[200:201]
	ds_load_b128 v[4:7], v2 offset:1760
	ds_load_b128 v[150:153], v2 offset:1776
	scratch_load_b128 v[154:157], off, off offset:928
	v_fmac_f64_e32 v[196:197], v[148:149], v[158:159]
	v_fma_f64 v[158:159], v[146:147], v[158:159], -v[160:161]
	scratch_load_b128 v[146:149], off, off offset:944
	s_wait_loadcnt_dscnt 0xc01
	v_mul_f64_e32 v[200:201], v[4:5], v[164:165]
	v_mul_f64_e32 v[164:165], v[6:7], v[164:165]
	v_add_f64_e32 v[160:161], v[204:205], v[202:203]
	v_add_f64_e32 v[194:195], v[194:195], v[198:199]
	s_wait_loadcnt_dscnt 0xb00
	v_mul_f64_e32 v[198:199], v[150:151], v[168:169]
	v_mul_f64_e32 v[168:169], v[152:153], v[168:169]
	v_fmac_f64_e32 v[200:201], v[6:7], v[162:163]
	v_fma_f64 v[202:203], v[4:5], v[162:163], -v[164:165]
	v_add_f64_e32 v[204:205], v[160:161], v[158:159]
	v_add_f64_e32 v[194:195], v[194:195], v[196:197]
	ds_load_b128 v[4:7], v2 offset:1792
	ds_load_b128 v[158:161], v2 offset:1808
	scratch_load_b128 v[162:165], off, off offset:960
	v_fmac_f64_e32 v[198:199], v[152:153], v[166:167]
	v_fma_f64 v[166:167], v[150:151], v[166:167], -v[168:169]
	scratch_load_b128 v[150:153], off, off offset:976
	s_wait_loadcnt_dscnt 0xc01
	v_mul_f64_e32 v[196:197], v[4:5], v[176:177]
	v_mul_f64_e32 v[176:177], v[6:7], v[176:177]
	v_add_f64_e32 v[168:169], v[204:205], v[202:203]
	v_add_f64_e32 v[194:195], v[194:195], v[200:201]
	s_wait_loadcnt_dscnt 0xa00
	v_mul_f64_e32 v[200:201], v[158:159], v[188:189]
	v_mul_f64_e32 v[188:189], v[160:161], v[188:189]
	v_fmac_f64_e32 v[196:197], v[6:7], v[174:175]
	v_fma_f64 v[174:175], v[4:5], v[174:175], -v[176:177]
	v_add_f64_e32 v[176:177], v[168:169], v[166:167]
	v_add_f64_e32 v[194:195], v[194:195], v[198:199]
	ds_load_b128 v[4:7], v2 offset:1824
	ds_load_b128 v[166:169], v2 offset:1840
	v_fmac_f64_e32 v[200:201], v[160:161], v[186:187]
	v_fma_f64 v[158:159], v[158:159], v[186:187], -v[188:189]
	s_wait_loadcnt_dscnt 0x901
	v_mul_f64_e32 v[198:199], v[4:5], v[192:193]
	v_mul_f64_e32 v[192:193], v[6:7], v[192:193]
	v_add_f64_e32 v[160:161], v[176:177], v[174:175]
	v_add_f64_e32 v[174:175], v[194:195], v[196:197]
	s_wait_loadcnt_dscnt 0x800
	v_mul_f64_e32 v[176:177], v[166:167], v[10:11]
	v_mul_f64_e32 v[10:11], v[168:169], v[10:11]
	v_fmac_f64_e32 v[198:199], v[6:7], v[190:191]
	v_fma_f64 v[186:187], v[4:5], v[190:191], -v[192:193]
	v_add_f64_e32 v[188:189], v[160:161], v[158:159]
	v_add_f64_e32 v[174:175], v[174:175], v[200:201]
	ds_load_b128 v[4:7], v2 offset:1856
	ds_load_b128 v[158:161], v2 offset:1872
	v_fmac_f64_e32 v[176:177], v[168:169], v[8:9]
	v_fma_f64 v[8:9], v[166:167], v[8:9], -v[10:11]
	s_wait_loadcnt_dscnt 0x701
	v_mul_f64_e32 v[190:191], v[4:5], v[180:181]
	v_mul_f64_e32 v[180:181], v[6:7], v[180:181]
	s_wait_loadcnt_dscnt 0x600
	v_mul_f64_e32 v[168:169], v[158:159], v[144:145]
	v_mul_f64_e32 v[144:145], v[160:161], v[144:145]
	v_add_f64_e32 v[10:11], v[188:189], v[186:187]
	v_add_f64_e32 v[166:167], v[174:175], v[198:199]
	v_fmac_f64_e32 v[190:191], v[6:7], v[178:179]
	v_fma_f64 v[174:175], v[4:5], v[178:179], -v[180:181]
	v_fmac_f64_e32 v[168:169], v[160:161], v[142:143]
	v_fma_f64 v[142:143], v[158:159], v[142:143], -v[144:145]
	v_add_f64_e32 v[178:179], v[10:11], v[8:9]
	v_add_f64_e32 v[166:167], v[166:167], v[176:177]
	ds_load_b128 v[4:7], v2 offset:1888
	ds_load_b128 v[8:11], v2 offset:1904
	s_wait_loadcnt_dscnt 0x501
	v_mul_f64_e32 v[176:177], v[4:5], v[172:173]
	v_mul_f64_e32 v[172:173], v[6:7], v[172:173]
	s_wait_loadcnt_dscnt 0x400
	v_mul_f64_e32 v[160:161], v[8:9], v[14:15]
	v_mul_f64_e32 v[14:15], v[10:11], v[14:15]
	v_add_f64_e32 v[144:145], v[178:179], v[174:175]
	v_add_f64_e32 v[158:159], v[166:167], v[190:191]
	v_fmac_f64_e32 v[176:177], v[6:7], v[170:171]
	v_fma_f64 v[166:167], v[4:5], v[170:171], -v[172:173]
	v_fmac_f64_e32 v[160:161], v[10:11], v[12:13]
	v_fma_f64 v[8:9], v[8:9], v[12:13], -v[14:15]
	v_add_f64_e32 v[170:171], v[144:145], v[142:143]
	v_add_f64_e32 v[158:159], v[158:159], v[168:169]
	ds_load_b128 v[4:7], v2 offset:1920
	ds_load_b128 v[142:145], v2 offset:1936
	s_wait_loadcnt_dscnt 0x301
	v_mul_f64_e32 v[168:169], v[4:5], v[156:157]
	v_mul_f64_e32 v[156:157], v[6:7], v[156:157]
	s_wait_loadcnt_dscnt 0x200
	v_mul_f64_e32 v[14:15], v[142:143], v[148:149]
	v_mul_f64_e32 v[148:149], v[144:145], v[148:149]
	v_add_f64_e32 v[10:11], v[170:171], v[166:167]
	v_add_f64_e32 v[12:13], v[158:159], v[176:177]
	v_fmac_f64_e32 v[168:169], v[6:7], v[154:155]
	v_fma_f64 v[154:155], v[4:5], v[154:155], -v[156:157]
	v_fmac_f64_e32 v[14:15], v[144:145], v[146:147]
	v_fma_f64 v[142:143], v[142:143], v[146:147], -v[148:149]
	v_add_f64_e32 v[156:157], v[10:11], v[8:9]
	v_add_f64_e32 v[12:13], v[12:13], v[160:161]
	ds_load_b128 v[4:7], v2 offset:1952
	ds_load_b128 v[8:11], v2 offset:1968
	s_wait_loadcnt_dscnt 0x101
	v_mul_f64_e32 v[2:3], v[4:5], v[164:165]
	v_mul_f64_e32 v[158:159], v[6:7], v[164:165]
	s_wait_loadcnt_dscnt 0x0
	v_mul_f64_e32 v[146:147], v[8:9], v[152:153]
	v_mul_f64_e32 v[148:149], v[10:11], v[152:153]
	v_add_f64_e32 v[144:145], v[156:157], v[154:155]
	v_add_f64_e32 v[12:13], v[12:13], v[168:169]
	v_fmac_f64_e32 v[2:3], v[6:7], v[162:163]
	v_fma_f64 v[4:5], v[4:5], v[162:163], -v[158:159]
	v_fmac_f64_e32 v[146:147], v[10:11], v[150:151]
	v_fma_f64 v[8:9], v[8:9], v[150:151], -v[148:149]
	v_add_f64_e32 v[6:7], v[144:145], v[142:143]
	v_add_f64_e32 v[12:13], v[12:13], v[14:15]
	s_delay_alu instid0(VALU_DEP_2) | instskip(NEXT) | instid1(VALU_DEP_2)
	v_add_f64_e32 v[4:5], v[6:7], v[4:5]
	v_add_f64_e32 v[2:3], v[12:13], v[2:3]
	s_delay_alu instid0(VALU_DEP_2) | instskip(NEXT) | instid1(VALU_DEP_2)
	;; [unrolled: 3-line block ×3, first 2 shown]
	v_add_f64_e64 v[2:3], v[182:183], -v[4:5]
	v_add_f64_e64 v[4:5], v[184:185], -v[6:7]
	scratch_store_b128 off, v[2:5], off offset:624
	s_wait_xcnt 0x0
	v_cmpx_lt_u32_e32 38, v1
	s_cbranch_execz .LBB61_321
; %bb.320:
	scratch_load_b128 v[2:5], off, s38
	v_mov_b32_e32 v6, 0
	s_delay_alu instid0(VALU_DEP_1)
	v_dual_mov_b32 v7, v6 :: v_dual_mov_b32 v8, v6
	v_mov_b32_e32 v9, v6
	scratch_store_b128 off, v[6:9], off offset:608
	s_wait_loadcnt 0x0
	ds_store_b128 v16, v[2:5]
.LBB61_321:
	s_wait_xcnt 0x0
	s_or_b32 exec_lo, exec_lo, s2
	s_wait_storecnt_dscnt 0x0
	s_barrier_signal -1
	s_barrier_wait -1
	s_clause 0x9
	scratch_load_b128 v[4:7], off, off offset:624
	scratch_load_b128 v[8:11], off, off offset:640
	;; [unrolled: 1-line block ×10, first 2 shown]
	v_mov_b32_e32 v2, 0
	s_mov_b32 s2, exec_lo
	ds_load_b128 v[170:173], v2 offset:1616
	s_clause 0x2
	scratch_load_b128 v[174:177], off, off offset:784
	scratch_load_b128 v[178:181], off, off offset:608
	;; [unrolled: 1-line block ×3, first 2 shown]
	s_wait_loadcnt_dscnt 0xc00
	v_mul_f64_e32 v[190:191], v[172:173], v[6:7]
	v_mul_f64_e32 v[194:195], v[170:171], v[6:7]
	ds_load_b128 v[182:185], v2 offset:1632
	v_fma_f64 v[198:199], v[170:171], v[4:5], -v[190:191]
	v_fmac_f64_e32 v[194:195], v[172:173], v[4:5]
	ds_load_b128 v[4:7], v2 offset:1648
	s_wait_loadcnt_dscnt 0xb01
	v_mul_f64_e32 v[196:197], v[182:183], v[10:11]
	v_mul_f64_e32 v[10:11], v[184:185], v[10:11]
	scratch_load_b128 v[170:173], off, off offset:816
	ds_load_b128 v[190:193], v2 offset:1664
	s_wait_loadcnt_dscnt 0xb01
	v_mul_f64_e32 v[200:201], v[4:5], v[14:15]
	v_mul_f64_e32 v[14:15], v[6:7], v[14:15]
	v_add_f64_e32 v[194:195], 0, v[194:195]
	v_fmac_f64_e32 v[196:197], v[184:185], v[8:9]
	v_fma_f64 v[182:183], v[182:183], v[8:9], -v[10:11]
	v_add_f64_e32 v[184:185], 0, v[198:199]
	scratch_load_b128 v[8:11], off, off offset:832
	v_fmac_f64_e32 v[200:201], v[6:7], v[12:13]
	v_fma_f64 v[202:203], v[4:5], v[12:13], -v[14:15]
	ds_load_b128 v[4:7], v2 offset:1680
	s_wait_loadcnt_dscnt 0xb01
	v_mul_f64_e32 v[198:199], v[190:191], v[144:145]
	v_mul_f64_e32 v[144:145], v[192:193], v[144:145]
	scratch_load_b128 v[12:15], off, off offset:848
	v_add_f64_e32 v[194:195], v[194:195], v[196:197]
	v_add_f64_e32 v[204:205], v[184:185], v[182:183]
	ds_load_b128 v[182:185], v2 offset:1696
	s_wait_loadcnt_dscnt 0xb01
	v_mul_f64_e32 v[196:197], v[4:5], v[148:149]
	v_mul_f64_e32 v[148:149], v[6:7], v[148:149]
	v_fmac_f64_e32 v[198:199], v[192:193], v[142:143]
	v_fma_f64 v[190:191], v[190:191], v[142:143], -v[144:145]
	scratch_load_b128 v[142:145], off, off offset:864
	v_add_f64_e32 v[194:195], v[194:195], v[200:201]
	v_add_f64_e32 v[192:193], v[204:205], v[202:203]
	v_fmac_f64_e32 v[196:197], v[6:7], v[146:147]
	v_fma_f64 v[202:203], v[4:5], v[146:147], -v[148:149]
	ds_load_b128 v[4:7], v2 offset:1712
	s_wait_loadcnt_dscnt 0xb01
	v_mul_f64_e32 v[200:201], v[182:183], v[152:153]
	v_mul_f64_e32 v[152:153], v[184:185], v[152:153]
	scratch_load_b128 v[146:149], off, off offset:880
	v_add_f64_e32 v[194:195], v[194:195], v[198:199]
	s_wait_loadcnt_dscnt 0xb00
	v_mul_f64_e32 v[198:199], v[4:5], v[156:157]
	v_add_f64_e32 v[204:205], v[192:193], v[190:191]
	v_mul_f64_e32 v[156:157], v[6:7], v[156:157]
	ds_load_b128 v[190:193], v2 offset:1728
	v_fmac_f64_e32 v[200:201], v[184:185], v[150:151]
	v_fma_f64 v[182:183], v[182:183], v[150:151], -v[152:153]
	scratch_load_b128 v[150:153], off, off offset:896
	v_add_f64_e32 v[194:195], v[194:195], v[196:197]
	v_fmac_f64_e32 v[198:199], v[6:7], v[154:155]
	v_add_f64_e32 v[184:185], v[204:205], v[202:203]
	v_fma_f64 v[202:203], v[4:5], v[154:155], -v[156:157]
	ds_load_b128 v[4:7], v2 offset:1744
	s_wait_loadcnt_dscnt 0xb01
	v_mul_f64_e32 v[196:197], v[190:191], v[160:161]
	v_mul_f64_e32 v[160:161], v[192:193], v[160:161]
	scratch_load_b128 v[154:157], off, off offset:912
	v_add_f64_e32 v[194:195], v[194:195], v[200:201]
	s_wait_loadcnt_dscnt 0xb00
	v_mul_f64_e32 v[200:201], v[4:5], v[164:165]
	v_add_f64_e32 v[204:205], v[184:185], v[182:183]
	v_mul_f64_e32 v[164:165], v[6:7], v[164:165]
	ds_load_b128 v[182:185], v2 offset:1760
	v_fmac_f64_e32 v[196:197], v[192:193], v[158:159]
	v_fma_f64 v[190:191], v[190:191], v[158:159], -v[160:161]
	scratch_load_b128 v[158:161], off, off offset:928
	v_add_f64_e32 v[194:195], v[194:195], v[198:199]
	v_fmac_f64_e32 v[200:201], v[6:7], v[162:163]
	v_add_f64_e32 v[192:193], v[204:205], v[202:203]
	;; [unrolled: 18-line block ×3, first 2 shown]
	v_fma_f64 v[202:203], v[4:5], v[174:175], -v[176:177]
	ds_load_b128 v[4:7], v2 offset:1808
	s_wait_loadcnt_dscnt 0xa01
	v_mul_f64_e32 v[200:201], v[190:191], v[188:189]
	v_mul_f64_e32 v[188:189], v[192:193], v[188:189]
	scratch_load_b128 v[174:177], off, off offset:976
	v_add_f64_e32 v[194:195], v[194:195], v[198:199]
	v_add_f64_e32 v[204:205], v[184:185], v[182:183]
	s_wait_loadcnt_dscnt 0xa00
	v_mul_f64_e32 v[198:199], v[4:5], v[172:173]
	v_mul_f64_e32 v[172:173], v[6:7], v[172:173]
	v_fmac_f64_e32 v[200:201], v[192:193], v[186:187]
	v_fma_f64 v[186:187], v[190:191], v[186:187], -v[188:189]
	ds_load_b128 v[182:185], v2 offset:1824
	v_add_f64_e32 v[190:191], v[194:195], v[196:197]
	v_add_f64_e32 v[188:189], v[204:205], v[202:203]
	s_wait_loadcnt_dscnt 0x900
	v_mul_f64_e32 v[192:193], v[182:183], v[10:11]
	v_mul_f64_e32 v[10:11], v[184:185], v[10:11]
	v_fmac_f64_e32 v[198:199], v[6:7], v[170:171]
	v_fma_f64 v[194:195], v[4:5], v[170:171], -v[172:173]
	ds_load_b128 v[4:7], v2 offset:1840
	ds_load_b128 v[170:173], v2 offset:1856
	v_add_f64_e32 v[186:187], v[188:189], v[186:187]
	v_add_f64_e32 v[188:189], v[190:191], v[200:201]
	s_wait_loadcnt_dscnt 0x801
	v_mul_f64_e32 v[190:191], v[4:5], v[14:15]
	v_mul_f64_e32 v[14:15], v[6:7], v[14:15]
	v_fmac_f64_e32 v[192:193], v[184:185], v[8:9]
	v_fma_f64 v[8:9], v[182:183], v[8:9], -v[10:11]
	s_wait_loadcnt_dscnt 0x700
	v_mul_f64_e32 v[184:185], v[170:171], v[144:145]
	v_mul_f64_e32 v[144:145], v[172:173], v[144:145]
	v_add_f64_e32 v[10:11], v[186:187], v[194:195]
	v_add_f64_e32 v[182:183], v[188:189], v[198:199]
	v_fmac_f64_e32 v[190:191], v[6:7], v[12:13]
	v_fma_f64 v[12:13], v[4:5], v[12:13], -v[14:15]
	v_fmac_f64_e32 v[184:185], v[172:173], v[142:143]
	v_fma_f64 v[142:143], v[170:171], v[142:143], -v[144:145]
	v_add_f64_e32 v[14:15], v[10:11], v[8:9]
	v_add_f64_e32 v[182:183], v[182:183], v[192:193]
	ds_load_b128 v[4:7], v2 offset:1872
	ds_load_b128 v[8:11], v2 offset:1888
	s_wait_loadcnt_dscnt 0x601
	v_mul_f64_e32 v[186:187], v[4:5], v[148:149]
	v_mul_f64_e32 v[148:149], v[6:7], v[148:149]
	s_wait_loadcnt_dscnt 0x500
	v_mul_f64_e32 v[144:145], v[8:9], v[152:153]
	v_mul_f64_e32 v[152:153], v[10:11], v[152:153]
	v_add_f64_e32 v[12:13], v[14:15], v[12:13]
	v_add_f64_e32 v[14:15], v[182:183], v[190:191]
	v_fmac_f64_e32 v[186:187], v[6:7], v[146:147]
	v_fma_f64 v[146:147], v[4:5], v[146:147], -v[148:149]
	v_fmac_f64_e32 v[144:145], v[10:11], v[150:151]
	v_fma_f64 v[8:9], v[8:9], v[150:151], -v[152:153]
	v_add_f64_e32 v[142:143], v[12:13], v[142:143]
	v_add_f64_e32 v[148:149], v[14:15], v[184:185]
	ds_load_b128 v[4:7], v2 offset:1904
	ds_load_b128 v[12:15], v2 offset:1920
	s_wait_loadcnt_dscnt 0x401
	v_mul_f64_e32 v[170:171], v[4:5], v[156:157]
	v_mul_f64_e32 v[156:157], v[6:7], v[156:157]
	v_add_f64_e32 v[10:11], v[142:143], v[146:147]
	v_add_f64_e32 v[142:143], v[148:149], v[186:187]
	s_wait_loadcnt_dscnt 0x300
	v_mul_f64_e32 v[146:147], v[12:13], v[160:161]
	v_mul_f64_e32 v[148:149], v[14:15], v[160:161]
	v_fmac_f64_e32 v[170:171], v[6:7], v[154:155]
	v_fma_f64 v[150:151], v[4:5], v[154:155], -v[156:157]
	v_add_f64_e32 v[152:153], v[10:11], v[8:9]
	v_add_f64_e32 v[142:143], v[142:143], v[144:145]
	ds_load_b128 v[4:7], v2 offset:1936
	ds_load_b128 v[8:11], v2 offset:1952
	v_fmac_f64_e32 v[146:147], v[14:15], v[158:159]
	v_fma_f64 v[12:13], v[12:13], v[158:159], -v[148:149]
	s_wait_loadcnt_dscnt 0x201
	v_mul_f64_e32 v[144:145], v[4:5], v[164:165]
	v_mul_f64_e32 v[154:155], v[6:7], v[164:165]
	s_wait_loadcnt_dscnt 0x100
	v_mul_f64_e32 v[148:149], v[8:9], v[168:169]
	v_add_f64_e32 v[14:15], v[152:153], v[150:151]
	v_add_f64_e32 v[142:143], v[142:143], v[170:171]
	v_mul_f64_e32 v[150:151], v[10:11], v[168:169]
	v_fmac_f64_e32 v[144:145], v[6:7], v[162:163]
	v_fma_f64 v[152:153], v[4:5], v[162:163], -v[154:155]
	ds_load_b128 v[4:7], v2 offset:1968
	v_fmac_f64_e32 v[148:149], v[10:11], v[166:167]
	v_add_f64_e32 v[12:13], v[14:15], v[12:13]
	v_add_f64_e32 v[14:15], v[142:143], v[146:147]
	v_fma_f64 v[8:9], v[8:9], v[166:167], -v[150:151]
	s_wait_loadcnt_dscnt 0x0
	v_mul_f64_e32 v[142:143], v[4:5], v[176:177]
	v_mul_f64_e32 v[146:147], v[6:7], v[176:177]
	v_add_f64_e32 v[10:11], v[12:13], v[152:153]
	v_add_f64_e32 v[12:13], v[14:15], v[144:145]
	s_delay_alu instid0(VALU_DEP_4) | instskip(NEXT) | instid1(VALU_DEP_4)
	v_fmac_f64_e32 v[142:143], v[6:7], v[174:175]
	v_fma_f64 v[4:5], v[4:5], v[174:175], -v[146:147]
	s_delay_alu instid0(VALU_DEP_4) | instskip(NEXT) | instid1(VALU_DEP_4)
	v_add_f64_e32 v[6:7], v[10:11], v[8:9]
	v_add_f64_e32 v[8:9], v[12:13], v[148:149]
	s_delay_alu instid0(VALU_DEP_2) | instskip(NEXT) | instid1(VALU_DEP_2)
	v_add_f64_e32 v[4:5], v[6:7], v[4:5]
	v_add_f64_e32 v[6:7], v[8:9], v[142:143]
	s_delay_alu instid0(VALU_DEP_2) | instskip(NEXT) | instid1(VALU_DEP_2)
	v_add_f64_e64 v[4:5], v[178:179], -v[4:5]
	v_add_f64_e64 v[6:7], v[180:181], -v[6:7]
	scratch_store_b128 off, v[4:7], off offset:608
	s_wait_xcnt 0x0
	v_cmpx_lt_u32_e32 37, v1
	s_cbranch_execz .LBB61_323
; %bb.322:
	scratch_load_b128 v[6:9], off, s36
	v_dual_mov_b32 v3, v2 :: v_dual_mov_b32 v4, v2
	v_mov_b32_e32 v5, v2
	scratch_store_b128 off, v[2:5], off offset:592
	s_wait_loadcnt 0x0
	ds_store_b128 v16, v[6:9]
.LBB61_323:
	s_wait_xcnt 0x0
	s_or_b32 exec_lo, exec_lo, s2
	s_wait_storecnt_dscnt 0x0
	s_barrier_signal -1
	s_barrier_wait -1
	s_clause 0x9
	scratch_load_b128 v[4:7], off, off offset:608
	scratch_load_b128 v[8:11], off, off offset:624
	;; [unrolled: 1-line block ×10, first 2 shown]
	ds_load_b128 v[170:173], v2 offset:1600
	ds_load_b128 v[178:181], v2 offset:1616
	s_clause 0x2
	scratch_load_b128 v[174:177], off, off offset:768
	scratch_load_b128 v[182:185], off, off offset:592
	;; [unrolled: 1-line block ×3, first 2 shown]
	s_mov_b32 s2, exec_lo
	s_wait_loadcnt_dscnt 0xc01
	v_mul_f64_e32 v[190:191], v[172:173], v[6:7]
	v_mul_f64_e32 v[194:195], v[170:171], v[6:7]
	s_wait_loadcnt_dscnt 0xb00
	v_mul_f64_e32 v[196:197], v[178:179], v[10:11]
	v_mul_f64_e32 v[10:11], v[180:181], v[10:11]
	s_delay_alu instid0(VALU_DEP_4) | instskip(NEXT) | instid1(VALU_DEP_4)
	v_fma_f64 v[198:199], v[170:171], v[4:5], -v[190:191]
	v_fmac_f64_e32 v[194:195], v[172:173], v[4:5]
	ds_load_b128 v[4:7], v2 offset:1632
	ds_load_b128 v[170:173], v2 offset:1648
	scratch_load_b128 v[190:193], off, off offset:800
	v_fmac_f64_e32 v[196:197], v[180:181], v[8:9]
	v_fma_f64 v[178:179], v[178:179], v[8:9], -v[10:11]
	scratch_load_b128 v[8:11], off, off offset:816
	s_wait_loadcnt_dscnt 0xc01
	v_mul_f64_e32 v[200:201], v[4:5], v[14:15]
	v_mul_f64_e32 v[14:15], v[6:7], v[14:15]
	v_add_f64_e32 v[180:181], 0, v[198:199]
	v_add_f64_e32 v[194:195], 0, v[194:195]
	s_wait_loadcnt_dscnt 0xb00
	v_mul_f64_e32 v[198:199], v[170:171], v[144:145]
	v_mul_f64_e32 v[144:145], v[172:173], v[144:145]
	v_fmac_f64_e32 v[200:201], v[6:7], v[12:13]
	v_fma_f64 v[202:203], v[4:5], v[12:13], -v[14:15]
	ds_load_b128 v[4:7], v2 offset:1664
	ds_load_b128 v[12:15], v2 offset:1680
	v_add_f64_e32 v[204:205], v[180:181], v[178:179]
	v_add_f64_e32 v[194:195], v[194:195], v[196:197]
	scratch_load_b128 v[178:181], off, off offset:832
	v_fmac_f64_e32 v[198:199], v[172:173], v[142:143]
	v_fma_f64 v[170:171], v[170:171], v[142:143], -v[144:145]
	scratch_load_b128 v[142:145], off, off offset:848
	s_wait_loadcnt_dscnt 0xc01
	v_mul_f64_e32 v[196:197], v[4:5], v[148:149]
	v_mul_f64_e32 v[148:149], v[6:7], v[148:149]
	v_add_f64_e32 v[172:173], v[204:205], v[202:203]
	v_add_f64_e32 v[194:195], v[194:195], v[200:201]
	s_wait_loadcnt_dscnt 0xb00
	v_mul_f64_e32 v[200:201], v[12:13], v[152:153]
	v_mul_f64_e32 v[152:153], v[14:15], v[152:153]
	v_fmac_f64_e32 v[196:197], v[6:7], v[146:147]
	v_fma_f64 v[202:203], v[4:5], v[146:147], -v[148:149]
	ds_load_b128 v[4:7], v2 offset:1696
	ds_load_b128 v[146:149], v2 offset:1712
	v_add_f64_e32 v[204:205], v[172:173], v[170:171]
	v_add_f64_e32 v[194:195], v[194:195], v[198:199]
	scratch_load_b128 v[170:173], off, off offset:864
	s_wait_loadcnt_dscnt 0xb01
	v_mul_f64_e32 v[198:199], v[4:5], v[156:157]
	v_mul_f64_e32 v[156:157], v[6:7], v[156:157]
	v_fmac_f64_e32 v[200:201], v[14:15], v[150:151]
	v_fma_f64 v[150:151], v[12:13], v[150:151], -v[152:153]
	scratch_load_b128 v[12:15], off, off offset:880
	v_add_f64_e32 v[152:153], v[204:205], v[202:203]
	v_add_f64_e32 v[194:195], v[194:195], v[196:197]
	s_wait_loadcnt_dscnt 0xb00
	v_mul_f64_e32 v[196:197], v[146:147], v[160:161]
	v_mul_f64_e32 v[160:161], v[148:149], v[160:161]
	v_fmac_f64_e32 v[198:199], v[6:7], v[154:155]
	v_fma_f64 v[202:203], v[4:5], v[154:155], -v[156:157]
	v_add_f64_e32 v[204:205], v[152:153], v[150:151]
	v_add_f64_e32 v[194:195], v[194:195], v[200:201]
	ds_load_b128 v[4:7], v2 offset:1728
	ds_load_b128 v[150:153], v2 offset:1744
	scratch_load_b128 v[154:157], off, off offset:896
	v_fmac_f64_e32 v[196:197], v[148:149], v[158:159]
	v_fma_f64 v[158:159], v[146:147], v[158:159], -v[160:161]
	scratch_load_b128 v[146:149], off, off offset:912
	s_wait_loadcnt_dscnt 0xc01
	v_mul_f64_e32 v[200:201], v[4:5], v[164:165]
	v_mul_f64_e32 v[164:165], v[6:7], v[164:165]
	v_add_f64_e32 v[160:161], v[204:205], v[202:203]
	v_add_f64_e32 v[194:195], v[194:195], v[198:199]
	s_wait_loadcnt_dscnt 0xb00
	v_mul_f64_e32 v[198:199], v[150:151], v[168:169]
	v_mul_f64_e32 v[168:169], v[152:153], v[168:169]
	v_fmac_f64_e32 v[200:201], v[6:7], v[162:163]
	v_fma_f64 v[202:203], v[4:5], v[162:163], -v[164:165]
	v_add_f64_e32 v[204:205], v[160:161], v[158:159]
	v_add_f64_e32 v[194:195], v[194:195], v[196:197]
	ds_load_b128 v[4:7], v2 offset:1760
	ds_load_b128 v[158:161], v2 offset:1776
	scratch_load_b128 v[162:165], off, off offset:928
	v_fmac_f64_e32 v[198:199], v[152:153], v[166:167]
	v_fma_f64 v[166:167], v[150:151], v[166:167], -v[168:169]
	scratch_load_b128 v[150:153], off, off offset:944
	s_wait_loadcnt_dscnt 0xc01
	v_mul_f64_e32 v[196:197], v[4:5], v[176:177]
	v_mul_f64_e32 v[176:177], v[6:7], v[176:177]
	;; [unrolled: 18-line block ×3, first 2 shown]
	v_add_f64_e32 v[188:189], v[204:205], v[202:203]
	v_add_f64_e32 v[194:195], v[194:195], v[196:197]
	s_wait_loadcnt_dscnt 0xa00
	v_mul_f64_e32 v[196:197], v[166:167], v[10:11]
	v_mul_f64_e32 v[10:11], v[168:169], v[10:11]
	v_fmac_f64_e32 v[198:199], v[6:7], v[190:191]
	v_fma_f64 v[190:191], v[4:5], v[190:191], -v[192:193]
	v_add_f64_e32 v[192:193], v[188:189], v[186:187]
	v_add_f64_e32 v[194:195], v[194:195], v[200:201]
	ds_load_b128 v[4:7], v2 offset:1824
	ds_load_b128 v[186:189], v2 offset:1840
	v_fmac_f64_e32 v[196:197], v[168:169], v[8:9]
	v_fma_f64 v[8:9], v[166:167], v[8:9], -v[10:11]
	s_wait_loadcnt_dscnt 0x901
	v_mul_f64_e32 v[200:201], v[4:5], v[180:181]
	v_mul_f64_e32 v[180:181], v[6:7], v[180:181]
	s_wait_loadcnt_dscnt 0x800
	v_mul_f64_e32 v[168:169], v[186:187], v[144:145]
	v_mul_f64_e32 v[144:145], v[188:189], v[144:145]
	v_add_f64_e32 v[10:11], v[192:193], v[190:191]
	v_add_f64_e32 v[166:167], v[194:195], v[198:199]
	v_fmac_f64_e32 v[200:201], v[6:7], v[178:179]
	v_fma_f64 v[178:179], v[4:5], v[178:179], -v[180:181]
	v_fmac_f64_e32 v[168:169], v[188:189], v[142:143]
	v_fma_f64 v[142:143], v[186:187], v[142:143], -v[144:145]
	v_add_f64_e32 v[180:181], v[10:11], v[8:9]
	v_add_f64_e32 v[166:167], v[166:167], v[196:197]
	ds_load_b128 v[4:7], v2 offset:1856
	ds_load_b128 v[8:11], v2 offset:1872
	s_wait_loadcnt_dscnt 0x701
	v_mul_f64_e32 v[190:191], v[4:5], v[172:173]
	v_mul_f64_e32 v[172:173], v[6:7], v[172:173]
	v_add_f64_e32 v[144:145], v[180:181], v[178:179]
	v_add_f64_e32 v[166:167], v[166:167], v[200:201]
	s_wait_loadcnt_dscnt 0x600
	v_mul_f64_e32 v[178:179], v[8:9], v[14:15]
	v_mul_f64_e32 v[14:15], v[10:11], v[14:15]
	v_fmac_f64_e32 v[190:191], v[6:7], v[170:171]
	v_fma_f64 v[170:171], v[4:5], v[170:171], -v[172:173]
	v_add_f64_e32 v[172:173], v[144:145], v[142:143]
	v_add_f64_e32 v[166:167], v[166:167], v[168:169]
	ds_load_b128 v[4:7], v2 offset:1888
	ds_load_b128 v[142:145], v2 offset:1904
	v_fmac_f64_e32 v[178:179], v[10:11], v[12:13]
	v_fma_f64 v[8:9], v[8:9], v[12:13], -v[14:15]
	s_wait_loadcnt_dscnt 0x501
	v_mul_f64_e32 v[168:169], v[4:5], v[156:157]
	v_mul_f64_e32 v[156:157], v[6:7], v[156:157]
	s_wait_loadcnt_dscnt 0x400
	v_mul_f64_e32 v[14:15], v[142:143], v[148:149]
	v_mul_f64_e32 v[148:149], v[144:145], v[148:149]
	v_add_f64_e32 v[10:11], v[172:173], v[170:171]
	v_add_f64_e32 v[12:13], v[166:167], v[190:191]
	v_fmac_f64_e32 v[168:169], v[6:7], v[154:155]
	v_fma_f64 v[154:155], v[4:5], v[154:155], -v[156:157]
	v_fmac_f64_e32 v[14:15], v[144:145], v[146:147]
	v_fma_f64 v[142:143], v[142:143], v[146:147], -v[148:149]
	v_add_f64_e32 v[156:157], v[10:11], v[8:9]
	v_add_f64_e32 v[12:13], v[12:13], v[178:179]
	ds_load_b128 v[4:7], v2 offset:1920
	ds_load_b128 v[8:11], v2 offset:1936
	s_wait_loadcnt_dscnt 0x301
	v_mul_f64_e32 v[166:167], v[4:5], v[164:165]
	v_mul_f64_e32 v[164:165], v[6:7], v[164:165]
	s_wait_loadcnt_dscnt 0x200
	v_mul_f64_e32 v[146:147], v[8:9], v[152:153]
	v_mul_f64_e32 v[148:149], v[10:11], v[152:153]
	v_add_f64_e32 v[144:145], v[156:157], v[154:155]
	v_add_f64_e32 v[12:13], v[12:13], v[168:169]
	v_fmac_f64_e32 v[166:167], v[6:7], v[162:163]
	v_fma_f64 v[152:153], v[4:5], v[162:163], -v[164:165]
	v_fmac_f64_e32 v[146:147], v[10:11], v[150:151]
	v_fma_f64 v[8:9], v[8:9], v[150:151], -v[148:149]
	v_add_f64_e32 v[142:143], v[144:145], v[142:143]
	v_add_f64_e32 v[144:145], v[12:13], v[14:15]
	ds_load_b128 v[4:7], v2 offset:1952
	ds_load_b128 v[12:15], v2 offset:1968
	s_wait_loadcnt_dscnt 0x101
	v_mul_f64_e32 v[2:3], v[4:5], v[176:177]
	v_mul_f64_e32 v[154:155], v[6:7], v[176:177]
	s_wait_loadcnt_dscnt 0x0
	v_mul_f64_e32 v[148:149], v[14:15], v[160:161]
	v_add_f64_e32 v[10:11], v[142:143], v[152:153]
	v_add_f64_e32 v[142:143], v[144:145], v[166:167]
	v_mul_f64_e32 v[144:145], v[12:13], v[160:161]
	v_fmac_f64_e32 v[2:3], v[6:7], v[174:175]
	v_fma_f64 v[4:5], v[4:5], v[174:175], -v[154:155]
	v_add_f64_e32 v[6:7], v[10:11], v[8:9]
	v_add_f64_e32 v[8:9], v[142:143], v[146:147]
	v_fmac_f64_e32 v[144:145], v[14:15], v[158:159]
	v_fma_f64 v[10:11], v[12:13], v[158:159], -v[148:149]
	s_delay_alu instid0(VALU_DEP_4) | instskip(NEXT) | instid1(VALU_DEP_4)
	v_add_f64_e32 v[4:5], v[6:7], v[4:5]
	v_add_f64_e32 v[2:3], v[8:9], v[2:3]
	s_delay_alu instid0(VALU_DEP_2) | instskip(NEXT) | instid1(VALU_DEP_2)
	v_add_f64_e32 v[4:5], v[4:5], v[10:11]
	v_add_f64_e32 v[6:7], v[2:3], v[144:145]
	s_delay_alu instid0(VALU_DEP_2) | instskip(NEXT) | instid1(VALU_DEP_2)
	v_add_f64_e64 v[2:3], v[182:183], -v[4:5]
	v_add_f64_e64 v[4:5], v[184:185], -v[6:7]
	scratch_store_b128 off, v[2:5], off offset:592
	s_wait_xcnt 0x0
	v_cmpx_lt_u32_e32 36, v1
	s_cbranch_execz .LBB61_325
; %bb.324:
	scratch_load_b128 v[2:5], off, s40
	v_mov_b32_e32 v6, 0
	s_delay_alu instid0(VALU_DEP_1)
	v_dual_mov_b32 v7, v6 :: v_dual_mov_b32 v8, v6
	v_mov_b32_e32 v9, v6
	scratch_store_b128 off, v[6:9], off offset:576
	s_wait_loadcnt 0x0
	ds_store_b128 v16, v[2:5]
.LBB61_325:
	s_wait_xcnt 0x0
	s_or_b32 exec_lo, exec_lo, s2
	s_wait_storecnt_dscnt 0x0
	s_barrier_signal -1
	s_barrier_wait -1
	s_clause 0x9
	scratch_load_b128 v[4:7], off, off offset:592
	scratch_load_b128 v[8:11], off, off offset:608
	;; [unrolled: 1-line block ×10, first 2 shown]
	v_mov_b32_e32 v2, 0
	s_mov_b32 s2, exec_lo
	ds_load_b128 v[170:173], v2 offset:1584
	s_clause 0x2
	scratch_load_b128 v[174:177], off, off offset:752
	scratch_load_b128 v[178:181], off, off offset:576
	;; [unrolled: 1-line block ×3, first 2 shown]
	s_wait_loadcnt_dscnt 0xc00
	v_mul_f64_e32 v[190:191], v[172:173], v[6:7]
	v_mul_f64_e32 v[194:195], v[170:171], v[6:7]
	ds_load_b128 v[182:185], v2 offset:1600
	v_fma_f64 v[198:199], v[170:171], v[4:5], -v[190:191]
	v_fmac_f64_e32 v[194:195], v[172:173], v[4:5]
	ds_load_b128 v[4:7], v2 offset:1616
	s_wait_loadcnt_dscnt 0xb01
	v_mul_f64_e32 v[196:197], v[182:183], v[10:11]
	v_mul_f64_e32 v[10:11], v[184:185], v[10:11]
	scratch_load_b128 v[170:173], off, off offset:784
	ds_load_b128 v[190:193], v2 offset:1632
	s_wait_loadcnt_dscnt 0xb01
	v_mul_f64_e32 v[200:201], v[4:5], v[14:15]
	v_mul_f64_e32 v[14:15], v[6:7], v[14:15]
	v_add_f64_e32 v[194:195], 0, v[194:195]
	v_fmac_f64_e32 v[196:197], v[184:185], v[8:9]
	v_fma_f64 v[182:183], v[182:183], v[8:9], -v[10:11]
	v_add_f64_e32 v[184:185], 0, v[198:199]
	scratch_load_b128 v[8:11], off, off offset:800
	v_fmac_f64_e32 v[200:201], v[6:7], v[12:13]
	v_fma_f64 v[202:203], v[4:5], v[12:13], -v[14:15]
	ds_load_b128 v[4:7], v2 offset:1648
	s_wait_loadcnt_dscnt 0xb01
	v_mul_f64_e32 v[198:199], v[190:191], v[144:145]
	v_mul_f64_e32 v[144:145], v[192:193], v[144:145]
	scratch_load_b128 v[12:15], off, off offset:816
	v_add_f64_e32 v[194:195], v[194:195], v[196:197]
	v_add_f64_e32 v[204:205], v[184:185], v[182:183]
	ds_load_b128 v[182:185], v2 offset:1664
	s_wait_loadcnt_dscnt 0xb01
	v_mul_f64_e32 v[196:197], v[4:5], v[148:149]
	v_mul_f64_e32 v[148:149], v[6:7], v[148:149]
	v_fmac_f64_e32 v[198:199], v[192:193], v[142:143]
	v_fma_f64 v[190:191], v[190:191], v[142:143], -v[144:145]
	scratch_load_b128 v[142:145], off, off offset:832
	v_add_f64_e32 v[194:195], v[194:195], v[200:201]
	v_add_f64_e32 v[192:193], v[204:205], v[202:203]
	v_fmac_f64_e32 v[196:197], v[6:7], v[146:147]
	v_fma_f64 v[202:203], v[4:5], v[146:147], -v[148:149]
	ds_load_b128 v[4:7], v2 offset:1680
	s_wait_loadcnt_dscnt 0xb01
	v_mul_f64_e32 v[200:201], v[182:183], v[152:153]
	v_mul_f64_e32 v[152:153], v[184:185], v[152:153]
	scratch_load_b128 v[146:149], off, off offset:848
	v_add_f64_e32 v[194:195], v[194:195], v[198:199]
	s_wait_loadcnt_dscnt 0xb00
	v_mul_f64_e32 v[198:199], v[4:5], v[156:157]
	v_add_f64_e32 v[204:205], v[192:193], v[190:191]
	v_mul_f64_e32 v[156:157], v[6:7], v[156:157]
	ds_load_b128 v[190:193], v2 offset:1696
	v_fmac_f64_e32 v[200:201], v[184:185], v[150:151]
	v_fma_f64 v[182:183], v[182:183], v[150:151], -v[152:153]
	scratch_load_b128 v[150:153], off, off offset:864
	v_add_f64_e32 v[194:195], v[194:195], v[196:197]
	v_fmac_f64_e32 v[198:199], v[6:7], v[154:155]
	v_add_f64_e32 v[184:185], v[204:205], v[202:203]
	v_fma_f64 v[202:203], v[4:5], v[154:155], -v[156:157]
	ds_load_b128 v[4:7], v2 offset:1712
	s_wait_loadcnt_dscnt 0xb01
	v_mul_f64_e32 v[196:197], v[190:191], v[160:161]
	v_mul_f64_e32 v[160:161], v[192:193], v[160:161]
	scratch_load_b128 v[154:157], off, off offset:880
	v_add_f64_e32 v[194:195], v[194:195], v[200:201]
	s_wait_loadcnt_dscnt 0xb00
	v_mul_f64_e32 v[200:201], v[4:5], v[164:165]
	v_add_f64_e32 v[204:205], v[184:185], v[182:183]
	v_mul_f64_e32 v[164:165], v[6:7], v[164:165]
	ds_load_b128 v[182:185], v2 offset:1728
	v_fmac_f64_e32 v[196:197], v[192:193], v[158:159]
	v_fma_f64 v[190:191], v[190:191], v[158:159], -v[160:161]
	scratch_load_b128 v[158:161], off, off offset:896
	v_add_f64_e32 v[194:195], v[194:195], v[198:199]
	v_fmac_f64_e32 v[200:201], v[6:7], v[162:163]
	v_add_f64_e32 v[192:193], v[204:205], v[202:203]
	;; [unrolled: 18-line block ×3, first 2 shown]
	v_fma_f64 v[202:203], v[4:5], v[174:175], -v[176:177]
	ds_load_b128 v[4:7], v2 offset:1776
	s_wait_loadcnt_dscnt 0xa01
	v_mul_f64_e32 v[200:201], v[190:191], v[188:189]
	v_mul_f64_e32 v[188:189], v[192:193], v[188:189]
	scratch_load_b128 v[174:177], off, off offset:944
	v_add_f64_e32 v[194:195], v[194:195], v[198:199]
	v_add_f64_e32 v[204:205], v[184:185], v[182:183]
	s_wait_loadcnt_dscnt 0xa00
	v_mul_f64_e32 v[198:199], v[4:5], v[172:173]
	v_mul_f64_e32 v[172:173], v[6:7], v[172:173]
	v_fmac_f64_e32 v[200:201], v[192:193], v[186:187]
	v_fma_f64 v[190:191], v[190:191], v[186:187], -v[188:189]
	ds_load_b128 v[182:185], v2 offset:1792
	scratch_load_b128 v[186:189], off, off offset:960
	v_add_f64_e32 v[194:195], v[194:195], v[196:197]
	v_add_f64_e32 v[192:193], v[204:205], v[202:203]
	v_fmac_f64_e32 v[198:199], v[6:7], v[170:171]
	v_fma_f64 v[202:203], v[4:5], v[170:171], -v[172:173]
	ds_load_b128 v[4:7], v2 offset:1808
	s_wait_loadcnt_dscnt 0xa01
	v_mul_f64_e32 v[196:197], v[182:183], v[10:11]
	v_mul_f64_e32 v[10:11], v[184:185], v[10:11]
	scratch_load_b128 v[170:173], off, off offset:976
	v_add_f64_e32 v[194:195], v[194:195], v[200:201]
	s_wait_loadcnt_dscnt 0xa00
	v_mul_f64_e32 v[200:201], v[4:5], v[14:15]
	v_add_f64_e32 v[204:205], v[192:193], v[190:191]
	v_mul_f64_e32 v[14:15], v[6:7], v[14:15]
	ds_load_b128 v[190:193], v2 offset:1824
	v_fmac_f64_e32 v[196:197], v[184:185], v[8:9]
	v_fma_f64 v[8:9], v[182:183], v[8:9], -v[10:11]
	s_wait_loadcnt_dscnt 0x900
	v_mul_f64_e32 v[184:185], v[190:191], v[144:145]
	v_mul_f64_e32 v[144:145], v[192:193], v[144:145]
	v_add_f64_e32 v[182:183], v[194:195], v[198:199]
	v_fmac_f64_e32 v[200:201], v[6:7], v[12:13]
	v_add_f64_e32 v[10:11], v[204:205], v[202:203]
	v_fma_f64 v[12:13], v[4:5], v[12:13], -v[14:15]
	v_fmac_f64_e32 v[184:185], v[192:193], v[142:143]
	v_fma_f64 v[142:143], v[190:191], v[142:143], -v[144:145]
	v_add_f64_e32 v[182:183], v[182:183], v[196:197]
	v_add_f64_e32 v[14:15], v[10:11], v[8:9]
	ds_load_b128 v[4:7], v2 offset:1840
	ds_load_b128 v[8:11], v2 offset:1856
	s_wait_loadcnt_dscnt 0x801
	v_mul_f64_e32 v[194:195], v[4:5], v[148:149]
	v_mul_f64_e32 v[148:149], v[6:7], v[148:149]
	s_wait_loadcnt_dscnt 0x700
	v_mul_f64_e32 v[144:145], v[8:9], v[152:153]
	v_mul_f64_e32 v[152:153], v[10:11], v[152:153]
	v_add_f64_e32 v[12:13], v[14:15], v[12:13]
	v_add_f64_e32 v[14:15], v[182:183], v[200:201]
	v_fmac_f64_e32 v[194:195], v[6:7], v[146:147]
	v_fma_f64 v[146:147], v[4:5], v[146:147], -v[148:149]
	v_fmac_f64_e32 v[144:145], v[10:11], v[150:151]
	v_fma_f64 v[8:9], v[8:9], v[150:151], -v[152:153]
	v_add_f64_e32 v[142:143], v[12:13], v[142:143]
	v_add_f64_e32 v[148:149], v[14:15], v[184:185]
	ds_load_b128 v[4:7], v2 offset:1872
	ds_load_b128 v[12:15], v2 offset:1888
	s_wait_loadcnt_dscnt 0x601
	v_mul_f64_e32 v[182:183], v[4:5], v[156:157]
	v_mul_f64_e32 v[156:157], v[6:7], v[156:157]
	v_add_f64_e32 v[10:11], v[142:143], v[146:147]
	v_add_f64_e32 v[142:143], v[148:149], v[194:195]
	s_wait_loadcnt_dscnt 0x500
	v_mul_f64_e32 v[146:147], v[12:13], v[160:161]
	v_mul_f64_e32 v[148:149], v[14:15], v[160:161]
	v_fmac_f64_e32 v[182:183], v[6:7], v[154:155]
	v_fma_f64 v[150:151], v[4:5], v[154:155], -v[156:157]
	v_add_f64_e32 v[152:153], v[10:11], v[8:9]
	v_add_f64_e32 v[142:143], v[142:143], v[144:145]
	ds_load_b128 v[4:7], v2 offset:1904
	ds_load_b128 v[8:11], v2 offset:1920
	v_fmac_f64_e32 v[146:147], v[14:15], v[158:159]
	v_fma_f64 v[12:13], v[12:13], v[158:159], -v[148:149]
	s_wait_loadcnt_dscnt 0x401
	v_mul_f64_e32 v[144:145], v[4:5], v[164:165]
	v_mul_f64_e32 v[154:155], v[6:7], v[164:165]
	s_wait_loadcnt_dscnt 0x300
	v_mul_f64_e32 v[148:149], v[8:9], v[168:169]
	v_add_f64_e32 v[14:15], v[152:153], v[150:151]
	v_add_f64_e32 v[142:143], v[142:143], v[182:183]
	v_mul_f64_e32 v[150:151], v[10:11], v[168:169]
	v_fmac_f64_e32 v[144:145], v[6:7], v[162:163]
	v_fma_f64 v[152:153], v[4:5], v[162:163], -v[154:155]
	v_fmac_f64_e32 v[148:149], v[10:11], v[166:167]
	v_add_f64_e32 v[154:155], v[14:15], v[12:13]
	v_add_f64_e32 v[142:143], v[142:143], v[146:147]
	ds_load_b128 v[4:7], v2 offset:1936
	ds_load_b128 v[12:15], v2 offset:1952
	v_fma_f64 v[8:9], v[8:9], v[166:167], -v[150:151]
	s_wait_loadcnt_dscnt 0x201
	v_mul_f64_e32 v[146:147], v[4:5], v[176:177]
	v_mul_f64_e32 v[156:157], v[6:7], v[176:177]
	s_wait_loadcnt_dscnt 0x100
	v_mul_f64_e32 v[150:151], v[14:15], v[188:189]
	v_add_f64_e32 v[10:11], v[154:155], v[152:153]
	v_add_f64_e32 v[142:143], v[142:143], v[144:145]
	v_mul_f64_e32 v[144:145], v[12:13], v[188:189]
	v_fmac_f64_e32 v[146:147], v[6:7], v[174:175]
	v_fma_f64 v[152:153], v[4:5], v[174:175], -v[156:157]
	ds_load_b128 v[4:7], v2 offset:1968
	v_fma_f64 v[12:13], v[12:13], v[186:187], -v[150:151]
	v_add_f64_e32 v[8:9], v[10:11], v[8:9]
	v_add_f64_e32 v[10:11], v[142:143], v[148:149]
	v_fmac_f64_e32 v[144:145], v[14:15], v[186:187]
	s_wait_loadcnt_dscnt 0x0
	v_mul_f64_e32 v[142:143], v[4:5], v[172:173]
	v_mul_f64_e32 v[148:149], v[6:7], v[172:173]
	v_add_f64_e32 v[8:9], v[8:9], v[152:153]
	v_add_f64_e32 v[10:11], v[10:11], v[146:147]
	s_delay_alu instid0(VALU_DEP_4) | instskip(NEXT) | instid1(VALU_DEP_4)
	v_fmac_f64_e32 v[142:143], v[6:7], v[170:171]
	v_fma_f64 v[4:5], v[4:5], v[170:171], -v[148:149]
	s_delay_alu instid0(VALU_DEP_4) | instskip(NEXT) | instid1(VALU_DEP_4)
	v_add_f64_e32 v[6:7], v[8:9], v[12:13]
	v_add_f64_e32 v[8:9], v[10:11], v[144:145]
	s_delay_alu instid0(VALU_DEP_2) | instskip(NEXT) | instid1(VALU_DEP_2)
	v_add_f64_e32 v[4:5], v[6:7], v[4:5]
	v_add_f64_e32 v[6:7], v[8:9], v[142:143]
	s_delay_alu instid0(VALU_DEP_2) | instskip(NEXT) | instid1(VALU_DEP_2)
	v_add_f64_e64 v[4:5], v[178:179], -v[4:5]
	v_add_f64_e64 v[6:7], v[180:181], -v[6:7]
	scratch_store_b128 off, v[4:7], off offset:576
	s_wait_xcnt 0x0
	v_cmpx_lt_u32_e32 35, v1
	s_cbranch_execz .LBB61_327
; %bb.326:
	scratch_load_b128 v[6:9], off, s39
	v_dual_mov_b32 v3, v2 :: v_dual_mov_b32 v4, v2
	v_mov_b32_e32 v5, v2
	scratch_store_b128 off, v[2:5], off offset:560
	s_wait_loadcnt 0x0
	ds_store_b128 v16, v[6:9]
.LBB61_327:
	s_wait_xcnt 0x0
	s_or_b32 exec_lo, exec_lo, s2
	s_wait_storecnt_dscnt 0x0
	s_barrier_signal -1
	s_barrier_wait -1
	s_clause 0x9
	scratch_load_b128 v[4:7], off, off offset:576
	scratch_load_b128 v[8:11], off, off offset:592
	;; [unrolled: 1-line block ×10, first 2 shown]
	ds_load_b128 v[170:173], v2 offset:1568
	ds_load_b128 v[178:181], v2 offset:1584
	s_clause 0x2
	scratch_load_b128 v[174:177], off, off offset:736
	scratch_load_b128 v[182:185], off, off offset:560
	;; [unrolled: 1-line block ×3, first 2 shown]
	s_mov_b32 s2, exec_lo
	s_wait_loadcnt_dscnt 0xc01
	v_mul_f64_e32 v[190:191], v[172:173], v[6:7]
	v_mul_f64_e32 v[194:195], v[170:171], v[6:7]
	s_wait_loadcnt_dscnt 0xb00
	v_mul_f64_e32 v[196:197], v[178:179], v[10:11]
	v_mul_f64_e32 v[10:11], v[180:181], v[10:11]
	s_delay_alu instid0(VALU_DEP_4) | instskip(NEXT) | instid1(VALU_DEP_4)
	v_fma_f64 v[198:199], v[170:171], v[4:5], -v[190:191]
	v_fmac_f64_e32 v[194:195], v[172:173], v[4:5]
	ds_load_b128 v[4:7], v2 offset:1600
	ds_load_b128 v[170:173], v2 offset:1616
	scratch_load_b128 v[190:193], off, off offset:768
	v_fmac_f64_e32 v[196:197], v[180:181], v[8:9]
	v_fma_f64 v[178:179], v[178:179], v[8:9], -v[10:11]
	scratch_load_b128 v[8:11], off, off offset:784
	s_wait_loadcnt_dscnt 0xc01
	v_mul_f64_e32 v[200:201], v[4:5], v[14:15]
	v_mul_f64_e32 v[14:15], v[6:7], v[14:15]
	v_add_f64_e32 v[180:181], 0, v[198:199]
	v_add_f64_e32 v[194:195], 0, v[194:195]
	s_wait_loadcnt_dscnt 0xb00
	v_mul_f64_e32 v[198:199], v[170:171], v[144:145]
	v_mul_f64_e32 v[144:145], v[172:173], v[144:145]
	v_fmac_f64_e32 v[200:201], v[6:7], v[12:13]
	v_fma_f64 v[202:203], v[4:5], v[12:13], -v[14:15]
	ds_load_b128 v[4:7], v2 offset:1632
	ds_load_b128 v[12:15], v2 offset:1648
	v_add_f64_e32 v[204:205], v[180:181], v[178:179]
	v_add_f64_e32 v[194:195], v[194:195], v[196:197]
	scratch_load_b128 v[178:181], off, off offset:800
	v_fmac_f64_e32 v[198:199], v[172:173], v[142:143]
	v_fma_f64 v[170:171], v[170:171], v[142:143], -v[144:145]
	scratch_load_b128 v[142:145], off, off offset:816
	s_wait_loadcnt_dscnt 0xc01
	v_mul_f64_e32 v[196:197], v[4:5], v[148:149]
	v_mul_f64_e32 v[148:149], v[6:7], v[148:149]
	v_add_f64_e32 v[172:173], v[204:205], v[202:203]
	v_add_f64_e32 v[194:195], v[194:195], v[200:201]
	s_wait_loadcnt_dscnt 0xb00
	v_mul_f64_e32 v[200:201], v[12:13], v[152:153]
	v_mul_f64_e32 v[152:153], v[14:15], v[152:153]
	v_fmac_f64_e32 v[196:197], v[6:7], v[146:147]
	v_fma_f64 v[202:203], v[4:5], v[146:147], -v[148:149]
	ds_load_b128 v[4:7], v2 offset:1664
	ds_load_b128 v[146:149], v2 offset:1680
	v_add_f64_e32 v[204:205], v[172:173], v[170:171]
	v_add_f64_e32 v[194:195], v[194:195], v[198:199]
	scratch_load_b128 v[170:173], off, off offset:832
	s_wait_loadcnt_dscnt 0xb01
	v_mul_f64_e32 v[198:199], v[4:5], v[156:157]
	v_mul_f64_e32 v[156:157], v[6:7], v[156:157]
	v_fmac_f64_e32 v[200:201], v[14:15], v[150:151]
	v_fma_f64 v[150:151], v[12:13], v[150:151], -v[152:153]
	scratch_load_b128 v[12:15], off, off offset:848
	v_add_f64_e32 v[152:153], v[204:205], v[202:203]
	v_add_f64_e32 v[194:195], v[194:195], v[196:197]
	s_wait_loadcnt_dscnt 0xb00
	v_mul_f64_e32 v[196:197], v[146:147], v[160:161]
	v_mul_f64_e32 v[160:161], v[148:149], v[160:161]
	v_fmac_f64_e32 v[198:199], v[6:7], v[154:155]
	v_fma_f64 v[202:203], v[4:5], v[154:155], -v[156:157]
	v_add_f64_e32 v[204:205], v[152:153], v[150:151]
	v_add_f64_e32 v[194:195], v[194:195], v[200:201]
	ds_load_b128 v[4:7], v2 offset:1696
	ds_load_b128 v[150:153], v2 offset:1712
	scratch_load_b128 v[154:157], off, off offset:864
	v_fmac_f64_e32 v[196:197], v[148:149], v[158:159]
	v_fma_f64 v[158:159], v[146:147], v[158:159], -v[160:161]
	scratch_load_b128 v[146:149], off, off offset:880
	s_wait_loadcnt_dscnt 0xc01
	v_mul_f64_e32 v[200:201], v[4:5], v[164:165]
	v_mul_f64_e32 v[164:165], v[6:7], v[164:165]
	v_add_f64_e32 v[160:161], v[204:205], v[202:203]
	v_add_f64_e32 v[194:195], v[194:195], v[198:199]
	s_wait_loadcnt_dscnt 0xb00
	v_mul_f64_e32 v[198:199], v[150:151], v[168:169]
	v_mul_f64_e32 v[168:169], v[152:153], v[168:169]
	v_fmac_f64_e32 v[200:201], v[6:7], v[162:163]
	v_fma_f64 v[202:203], v[4:5], v[162:163], -v[164:165]
	v_add_f64_e32 v[204:205], v[160:161], v[158:159]
	v_add_f64_e32 v[194:195], v[194:195], v[196:197]
	ds_load_b128 v[4:7], v2 offset:1728
	ds_load_b128 v[158:161], v2 offset:1744
	scratch_load_b128 v[162:165], off, off offset:896
	v_fmac_f64_e32 v[198:199], v[152:153], v[166:167]
	v_fma_f64 v[166:167], v[150:151], v[166:167], -v[168:169]
	scratch_load_b128 v[150:153], off, off offset:912
	s_wait_loadcnt_dscnt 0xc01
	v_mul_f64_e32 v[196:197], v[4:5], v[176:177]
	v_mul_f64_e32 v[176:177], v[6:7], v[176:177]
	;; [unrolled: 18-line block ×4, first 2 shown]
	v_add_f64_e32 v[168:169], v[204:205], v[202:203]
	v_add_f64_e32 v[194:195], v[194:195], v[198:199]
	s_wait_loadcnt_dscnt 0xa00
	v_mul_f64_e32 v[198:199], v[186:187], v[144:145]
	v_mul_f64_e32 v[144:145], v[188:189], v[144:145]
	v_fmac_f64_e32 v[200:201], v[6:7], v[178:179]
	v_fma_f64 v[178:179], v[4:5], v[178:179], -v[180:181]
	v_add_f64_e32 v[180:181], v[168:169], v[166:167]
	v_add_f64_e32 v[194:195], v[194:195], v[196:197]
	ds_load_b128 v[4:7], v2 offset:1824
	ds_load_b128 v[166:169], v2 offset:1840
	v_fmac_f64_e32 v[198:199], v[188:189], v[142:143]
	v_fma_f64 v[142:143], v[186:187], v[142:143], -v[144:145]
	s_wait_loadcnt_dscnt 0x901
	v_mul_f64_e32 v[196:197], v[4:5], v[172:173]
	v_mul_f64_e32 v[172:173], v[6:7], v[172:173]
	v_add_f64_e32 v[144:145], v[180:181], v[178:179]
	v_add_f64_e32 v[178:179], v[194:195], v[200:201]
	s_wait_loadcnt_dscnt 0x800
	v_mul_f64_e32 v[180:181], v[166:167], v[14:15]
	v_mul_f64_e32 v[14:15], v[168:169], v[14:15]
	v_fmac_f64_e32 v[196:197], v[6:7], v[170:171]
	v_fma_f64 v[170:171], v[4:5], v[170:171], -v[172:173]
	v_add_f64_e32 v[172:173], v[144:145], v[142:143]
	v_add_f64_e32 v[178:179], v[178:179], v[198:199]
	ds_load_b128 v[4:7], v2 offset:1856
	ds_load_b128 v[142:145], v2 offset:1872
	v_fmac_f64_e32 v[180:181], v[168:169], v[12:13]
	v_fma_f64 v[12:13], v[166:167], v[12:13], -v[14:15]
	s_wait_loadcnt_dscnt 0x701
	v_mul_f64_e32 v[186:187], v[4:5], v[156:157]
	v_mul_f64_e32 v[156:157], v[6:7], v[156:157]
	s_wait_loadcnt_dscnt 0x600
	v_mul_f64_e32 v[168:169], v[142:143], v[148:149]
	v_mul_f64_e32 v[148:149], v[144:145], v[148:149]
	v_add_f64_e32 v[14:15], v[172:173], v[170:171]
	v_add_f64_e32 v[166:167], v[178:179], v[196:197]
	v_fmac_f64_e32 v[186:187], v[6:7], v[154:155]
	v_fma_f64 v[154:155], v[4:5], v[154:155], -v[156:157]
	v_fmac_f64_e32 v[168:169], v[144:145], v[146:147]
	v_fma_f64 v[142:143], v[142:143], v[146:147], -v[148:149]
	v_add_f64_e32 v[156:157], v[14:15], v[12:13]
	v_add_f64_e32 v[166:167], v[166:167], v[180:181]
	ds_load_b128 v[4:7], v2 offset:1888
	ds_load_b128 v[12:15], v2 offset:1904
	s_wait_loadcnt_dscnt 0x501
	v_mul_f64_e32 v[170:171], v[4:5], v[164:165]
	v_mul_f64_e32 v[164:165], v[6:7], v[164:165]
	s_wait_loadcnt_dscnt 0x400
	v_mul_f64_e32 v[148:149], v[12:13], v[152:153]
	v_mul_f64_e32 v[152:153], v[14:15], v[152:153]
	v_add_f64_e32 v[144:145], v[156:157], v[154:155]
	v_add_f64_e32 v[146:147], v[166:167], v[186:187]
	v_fmac_f64_e32 v[170:171], v[6:7], v[162:163]
	v_fma_f64 v[154:155], v[4:5], v[162:163], -v[164:165]
	v_fmac_f64_e32 v[148:149], v[14:15], v[150:151]
	v_fma_f64 v[12:13], v[12:13], v[150:151], -v[152:153]
	v_add_f64_e32 v[156:157], v[144:145], v[142:143]
	v_add_f64_e32 v[146:147], v[146:147], v[168:169]
	ds_load_b128 v[4:7], v2 offset:1920
	ds_load_b128 v[142:145], v2 offset:1936
	;; [unrolled: 16-line block ×3, first 2 shown]
	s_wait_loadcnt_dscnt 0x101
	v_mul_f64_e32 v[2:3], v[4:5], v[192:193]
	v_mul_f64_e32 v[148:149], v[6:7], v[192:193]
	s_wait_loadcnt_dscnt 0x0
	v_mul_f64_e32 v[152:153], v[12:13], v[10:11]
	v_mul_f64_e32 v[10:11], v[14:15], v[10:11]
	v_add_f64_e32 v[144:145], v[156:157], v[154:155]
	v_add_f64_e32 v[146:147], v[146:147], v[162:163]
	v_fmac_f64_e32 v[2:3], v[6:7], v[190:191]
	v_fma_f64 v[4:5], v[4:5], v[190:191], -v[148:149]
	v_fmac_f64_e32 v[152:153], v[14:15], v[8:9]
	v_fma_f64 v[8:9], v[12:13], v[8:9], -v[10:11]
	v_add_f64_e32 v[6:7], v[144:145], v[142:143]
	v_add_f64_e32 v[142:143], v[146:147], v[150:151]
	s_delay_alu instid0(VALU_DEP_2) | instskip(NEXT) | instid1(VALU_DEP_2)
	v_add_f64_e32 v[4:5], v[6:7], v[4:5]
	v_add_f64_e32 v[2:3], v[142:143], v[2:3]
	s_delay_alu instid0(VALU_DEP_2) | instskip(NEXT) | instid1(VALU_DEP_2)
	;; [unrolled: 3-line block ×3, first 2 shown]
	v_add_f64_e64 v[2:3], v[182:183], -v[4:5]
	v_add_f64_e64 v[4:5], v[184:185], -v[6:7]
	scratch_store_b128 off, v[2:5], off offset:560
	s_wait_xcnt 0x0
	v_cmpx_lt_u32_e32 34, v1
	s_cbranch_execz .LBB61_329
; %bb.328:
	scratch_load_b128 v[2:5], off, s42
	v_mov_b32_e32 v6, 0
	s_delay_alu instid0(VALU_DEP_1)
	v_dual_mov_b32 v7, v6 :: v_dual_mov_b32 v8, v6
	v_mov_b32_e32 v9, v6
	scratch_store_b128 off, v[6:9], off offset:544
	s_wait_loadcnt 0x0
	ds_store_b128 v16, v[2:5]
.LBB61_329:
	s_wait_xcnt 0x0
	s_or_b32 exec_lo, exec_lo, s2
	s_wait_storecnt_dscnt 0x0
	s_barrier_signal -1
	s_barrier_wait -1
	s_clause 0x9
	scratch_load_b128 v[4:7], off, off offset:560
	scratch_load_b128 v[8:11], off, off offset:576
	;; [unrolled: 1-line block ×10, first 2 shown]
	v_mov_b32_e32 v2, 0
	s_mov_b32 s2, exec_lo
	ds_load_b128 v[170:173], v2 offset:1552
	s_clause 0x2
	scratch_load_b128 v[174:177], off, off offset:720
	scratch_load_b128 v[178:181], off, off offset:544
	;; [unrolled: 1-line block ×3, first 2 shown]
	s_wait_loadcnt_dscnt 0xc00
	v_mul_f64_e32 v[190:191], v[172:173], v[6:7]
	v_mul_f64_e32 v[194:195], v[170:171], v[6:7]
	ds_load_b128 v[182:185], v2 offset:1568
	v_fma_f64 v[198:199], v[170:171], v[4:5], -v[190:191]
	v_fmac_f64_e32 v[194:195], v[172:173], v[4:5]
	ds_load_b128 v[4:7], v2 offset:1584
	s_wait_loadcnt_dscnt 0xb01
	v_mul_f64_e32 v[196:197], v[182:183], v[10:11]
	v_mul_f64_e32 v[10:11], v[184:185], v[10:11]
	scratch_load_b128 v[170:173], off, off offset:752
	ds_load_b128 v[190:193], v2 offset:1600
	s_wait_loadcnt_dscnt 0xb01
	v_mul_f64_e32 v[200:201], v[4:5], v[14:15]
	v_mul_f64_e32 v[14:15], v[6:7], v[14:15]
	v_add_f64_e32 v[194:195], 0, v[194:195]
	v_fmac_f64_e32 v[196:197], v[184:185], v[8:9]
	v_fma_f64 v[182:183], v[182:183], v[8:9], -v[10:11]
	v_add_f64_e32 v[184:185], 0, v[198:199]
	scratch_load_b128 v[8:11], off, off offset:768
	v_fmac_f64_e32 v[200:201], v[6:7], v[12:13]
	v_fma_f64 v[202:203], v[4:5], v[12:13], -v[14:15]
	ds_load_b128 v[4:7], v2 offset:1616
	s_wait_loadcnt_dscnt 0xb01
	v_mul_f64_e32 v[198:199], v[190:191], v[144:145]
	v_mul_f64_e32 v[144:145], v[192:193], v[144:145]
	scratch_load_b128 v[12:15], off, off offset:784
	v_add_f64_e32 v[194:195], v[194:195], v[196:197]
	v_add_f64_e32 v[204:205], v[184:185], v[182:183]
	ds_load_b128 v[182:185], v2 offset:1632
	s_wait_loadcnt_dscnt 0xb01
	v_mul_f64_e32 v[196:197], v[4:5], v[148:149]
	v_mul_f64_e32 v[148:149], v[6:7], v[148:149]
	v_fmac_f64_e32 v[198:199], v[192:193], v[142:143]
	v_fma_f64 v[190:191], v[190:191], v[142:143], -v[144:145]
	scratch_load_b128 v[142:145], off, off offset:800
	v_add_f64_e32 v[194:195], v[194:195], v[200:201]
	v_add_f64_e32 v[192:193], v[204:205], v[202:203]
	v_fmac_f64_e32 v[196:197], v[6:7], v[146:147]
	v_fma_f64 v[202:203], v[4:5], v[146:147], -v[148:149]
	ds_load_b128 v[4:7], v2 offset:1648
	s_wait_loadcnt_dscnt 0xb01
	v_mul_f64_e32 v[200:201], v[182:183], v[152:153]
	v_mul_f64_e32 v[152:153], v[184:185], v[152:153]
	scratch_load_b128 v[146:149], off, off offset:816
	v_add_f64_e32 v[194:195], v[194:195], v[198:199]
	s_wait_loadcnt_dscnt 0xb00
	v_mul_f64_e32 v[198:199], v[4:5], v[156:157]
	v_add_f64_e32 v[204:205], v[192:193], v[190:191]
	v_mul_f64_e32 v[156:157], v[6:7], v[156:157]
	ds_load_b128 v[190:193], v2 offset:1664
	v_fmac_f64_e32 v[200:201], v[184:185], v[150:151]
	v_fma_f64 v[182:183], v[182:183], v[150:151], -v[152:153]
	scratch_load_b128 v[150:153], off, off offset:832
	v_add_f64_e32 v[194:195], v[194:195], v[196:197]
	v_fmac_f64_e32 v[198:199], v[6:7], v[154:155]
	v_add_f64_e32 v[184:185], v[204:205], v[202:203]
	v_fma_f64 v[202:203], v[4:5], v[154:155], -v[156:157]
	ds_load_b128 v[4:7], v2 offset:1680
	s_wait_loadcnt_dscnt 0xb01
	v_mul_f64_e32 v[196:197], v[190:191], v[160:161]
	v_mul_f64_e32 v[160:161], v[192:193], v[160:161]
	scratch_load_b128 v[154:157], off, off offset:848
	v_add_f64_e32 v[194:195], v[194:195], v[200:201]
	s_wait_loadcnt_dscnt 0xb00
	v_mul_f64_e32 v[200:201], v[4:5], v[164:165]
	v_add_f64_e32 v[204:205], v[184:185], v[182:183]
	v_mul_f64_e32 v[164:165], v[6:7], v[164:165]
	ds_load_b128 v[182:185], v2 offset:1696
	v_fmac_f64_e32 v[196:197], v[192:193], v[158:159]
	v_fma_f64 v[190:191], v[190:191], v[158:159], -v[160:161]
	scratch_load_b128 v[158:161], off, off offset:864
	v_add_f64_e32 v[194:195], v[194:195], v[198:199]
	v_fmac_f64_e32 v[200:201], v[6:7], v[162:163]
	v_add_f64_e32 v[192:193], v[204:205], v[202:203]
	v_fma_f64 v[202:203], v[4:5], v[162:163], -v[164:165]
	ds_load_b128 v[4:7], v2 offset:1712
	s_wait_loadcnt_dscnt 0xb01
	v_mul_f64_e32 v[198:199], v[182:183], v[168:169]
	v_mul_f64_e32 v[168:169], v[184:185], v[168:169]
	scratch_load_b128 v[162:165], off, off offset:880
	v_add_f64_e32 v[194:195], v[194:195], v[196:197]
	s_wait_loadcnt_dscnt 0xb00
	v_mul_f64_e32 v[196:197], v[4:5], v[176:177]
	v_add_f64_e32 v[204:205], v[192:193], v[190:191]
	v_mul_f64_e32 v[176:177], v[6:7], v[176:177]
	ds_load_b128 v[190:193], v2 offset:1728
	v_fmac_f64_e32 v[198:199], v[184:185], v[166:167]
	v_fma_f64 v[182:183], v[182:183], v[166:167], -v[168:169]
	scratch_load_b128 v[166:169], off, off offset:896
	v_add_f64_e32 v[194:195], v[194:195], v[200:201]
	v_fmac_f64_e32 v[196:197], v[6:7], v[174:175]
	v_add_f64_e32 v[184:185], v[204:205], v[202:203]
	v_fma_f64 v[202:203], v[4:5], v[174:175], -v[176:177]
	ds_load_b128 v[4:7], v2 offset:1744
	s_wait_loadcnt_dscnt 0xa01
	v_mul_f64_e32 v[200:201], v[190:191], v[188:189]
	v_mul_f64_e32 v[188:189], v[192:193], v[188:189]
	scratch_load_b128 v[174:177], off, off offset:912
	v_add_f64_e32 v[194:195], v[194:195], v[198:199]
	v_add_f64_e32 v[204:205], v[184:185], v[182:183]
	s_wait_loadcnt_dscnt 0xa00
	v_mul_f64_e32 v[198:199], v[4:5], v[172:173]
	v_mul_f64_e32 v[172:173], v[6:7], v[172:173]
	v_fmac_f64_e32 v[200:201], v[192:193], v[186:187]
	v_fma_f64 v[190:191], v[190:191], v[186:187], -v[188:189]
	ds_load_b128 v[182:185], v2 offset:1760
	scratch_load_b128 v[186:189], off, off offset:928
	v_add_f64_e32 v[194:195], v[194:195], v[196:197]
	v_add_f64_e32 v[192:193], v[204:205], v[202:203]
	v_fmac_f64_e32 v[198:199], v[6:7], v[170:171]
	v_fma_f64 v[202:203], v[4:5], v[170:171], -v[172:173]
	ds_load_b128 v[4:7], v2 offset:1776
	s_wait_loadcnt_dscnt 0xa01
	v_mul_f64_e32 v[196:197], v[182:183], v[10:11]
	v_mul_f64_e32 v[10:11], v[184:185], v[10:11]
	scratch_load_b128 v[170:173], off, off offset:944
	v_add_f64_e32 v[194:195], v[194:195], v[200:201]
	s_wait_loadcnt_dscnt 0xa00
	v_mul_f64_e32 v[200:201], v[4:5], v[14:15]
	v_add_f64_e32 v[204:205], v[192:193], v[190:191]
	v_mul_f64_e32 v[14:15], v[6:7], v[14:15]
	ds_load_b128 v[190:193], v2 offset:1792
	v_fmac_f64_e32 v[196:197], v[184:185], v[8:9]
	v_fma_f64 v[182:183], v[182:183], v[8:9], -v[10:11]
	scratch_load_b128 v[8:11], off, off offset:960
	v_add_f64_e32 v[194:195], v[194:195], v[198:199]
	v_fmac_f64_e32 v[200:201], v[6:7], v[12:13]
	v_add_f64_e32 v[184:185], v[204:205], v[202:203]
	v_fma_f64 v[202:203], v[4:5], v[12:13], -v[14:15]
	ds_load_b128 v[4:7], v2 offset:1808
	s_wait_loadcnt_dscnt 0xa01
	v_mul_f64_e32 v[198:199], v[190:191], v[144:145]
	v_mul_f64_e32 v[144:145], v[192:193], v[144:145]
	scratch_load_b128 v[12:15], off, off offset:976
	v_add_f64_e32 v[194:195], v[194:195], v[196:197]
	s_wait_loadcnt_dscnt 0xa00
	v_mul_f64_e32 v[196:197], v[4:5], v[148:149]
	v_add_f64_e32 v[204:205], v[184:185], v[182:183]
	v_mul_f64_e32 v[148:149], v[6:7], v[148:149]
	ds_load_b128 v[182:185], v2 offset:1824
	v_fmac_f64_e32 v[198:199], v[192:193], v[142:143]
	v_fma_f64 v[142:143], v[190:191], v[142:143], -v[144:145]
	s_wait_loadcnt_dscnt 0x900
	v_mul_f64_e32 v[192:193], v[182:183], v[152:153]
	v_mul_f64_e32 v[152:153], v[184:185], v[152:153]
	v_add_f64_e32 v[190:191], v[194:195], v[200:201]
	v_fmac_f64_e32 v[196:197], v[6:7], v[146:147]
	v_add_f64_e32 v[144:145], v[204:205], v[202:203]
	v_fma_f64 v[146:147], v[4:5], v[146:147], -v[148:149]
	v_fmac_f64_e32 v[192:193], v[184:185], v[150:151]
	v_fma_f64 v[150:151], v[182:183], v[150:151], -v[152:153]
	v_add_f64_e32 v[190:191], v[190:191], v[198:199]
	v_add_f64_e32 v[148:149], v[144:145], v[142:143]
	ds_load_b128 v[4:7], v2 offset:1840
	ds_load_b128 v[142:145], v2 offset:1856
	s_wait_loadcnt_dscnt 0x801
	v_mul_f64_e32 v[194:195], v[4:5], v[156:157]
	v_mul_f64_e32 v[156:157], v[6:7], v[156:157]
	s_wait_loadcnt_dscnt 0x700
	v_mul_f64_e32 v[152:153], v[142:143], v[160:161]
	v_mul_f64_e32 v[160:161], v[144:145], v[160:161]
	v_add_f64_e32 v[146:147], v[148:149], v[146:147]
	v_add_f64_e32 v[148:149], v[190:191], v[196:197]
	v_fmac_f64_e32 v[194:195], v[6:7], v[154:155]
	v_fma_f64 v[154:155], v[4:5], v[154:155], -v[156:157]
	v_fmac_f64_e32 v[152:153], v[144:145], v[158:159]
	v_fma_f64 v[142:143], v[142:143], v[158:159], -v[160:161]
	v_add_f64_e32 v[150:151], v[146:147], v[150:151]
	v_add_f64_e32 v[156:157], v[148:149], v[192:193]
	ds_load_b128 v[4:7], v2 offset:1872
	ds_load_b128 v[146:149], v2 offset:1888
	s_wait_loadcnt_dscnt 0x601
	v_mul_f64_e32 v[182:183], v[4:5], v[164:165]
	v_mul_f64_e32 v[164:165], v[6:7], v[164:165]
	v_add_f64_e32 v[144:145], v[150:151], v[154:155]
	v_add_f64_e32 v[150:151], v[156:157], v[194:195]
	s_wait_loadcnt_dscnt 0x500
	v_mul_f64_e32 v[154:155], v[146:147], v[168:169]
	v_mul_f64_e32 v[156:157], v[148:149], v[168:169]
	v_fmac_f64_e32 v[182:183], v[6:7], v[162:163]
	v_fma_f64 v[158:159], v[4:5], v[162:163], -v[164:165]
	v_add_f64_e32 v[160:161], v[144:145], v[142:143]
	v_add_f64_e32 v[150:151], v[150:151], v[152:153]
	ds_load_b128 v[4:7], v2 offset:1904
	ds_load_b128 v[142:145], v2 offset:1920
	v_fmac_f64_e32 v[154:155], v[148:149], v[166:167]
	v_fma_f64 v[146:147], v[146:147], v[166:167], -v[156:157]
	s_wait_loadcnt_dscnt 0x401
	v_mul_f64_e32 v[152:153], v[4:5], v[176:177]
	v_mul_f64_e32 v[162:163], v[6:7], v[176:177]
	s_wait_loadcnt_dscnt 0x300
	v_mul_f64_e32 v[156:157], v[142:143], v[188:189]
	v_add_f64_e32 v[148:149], v[160:161], v[158:159]
	v_add_f64_e32 v[150:151], v[150:151], v[182:183]
	v_mul_f64_e32 v[158:159], v[144:145], v[188:189]
	v_fmac_f64_e32 v[152:153], v[6:7], v[174:175]
	v_fma_f64 v[160:161], v[4:5], v[174:175], -v[162:163]
	v_fmac_f64_e32 v[156:157], v[144:145], v[186:187]
	v_add_f64_e32 v[162:163], v[148:149], v[146:147]
	v_add_f64_e32 v[150:151], v[150:151], v[154:155]
	ds_load_b128 v[4:7], v2 offset:1936
	ds_load_b128 v[146:149], v2 offset:1952
	v_fma_f64 v[142:143], v[142:143], v[186:187], -v[158:159]
	s_wait_loadcnt_dscnt 0x201
	v_mul_f64_e32 v[154:155], v[4:5], v[172:173]
	v_mul_f64_e32 v[164:165], v[6:7], v[172:173]
	v_add_f64_e32 v[144:145], v[162:163], v[160:161]
	v_add_f64_e32 v[150:151], v[150:151], v[152:153]
	s_wait_loadcnt_dscnt 0x100
	v_mul_f64_e32 v[152:153], v[146:147], v[10:11]
	v_mul_f64_e32 v[10:11], v[148:149], v[10:11]
	v_fmac_f64_e32 v[154:155], v[6:7], v[170:171]
	v_fma_f64 v[158:159], v[4:5], v[170:171], -v[164:165]
	ds_load_b128 v[4:7], v2 offset:1968
	v_add_f64_e32 v[142:143], v[144:145], v[142:143]
	v_add_f64_e32 v[144:145], v[150:151], v[156:157]
	v_fmac_f64_e32 v[152:153], v[148:149], v[8:9]
	v_fma_f64 v[8:9], v[146:147], v[8:9], -v[10:11]
	s_wait_loadcnt_dscnt 0x0
	v_mul_f64_e32 v[150:151], v[4:5], v[14:15]
	v_mul_f64_e32 v[14:15], v[6:7], v[14:15]
	v_add_f64_e32 v[10:11], v[142:143], v[158:159]
	v_add_f64_e32 v[142:143], v[144:145], v[154:155]
	s_delay_alu instid0(VALU_DEP_4) | instskip(NEXT) | instid1(VALU_DEP_4)
	v_fmac_f64_e32 v[150:151], v[6:7], v[12:13]
	v_fma_f64 v[4:5], v[4:5], v[12:13], -v[14:15]
	s_delay_alu instid0(VALU_DEP_4) | instskip(NEXT) | instid1(VALU_DEP_4)
	v_add_f64_e32 v[6:7], v[10:11], v[8:9]
	v_add_f64_e32 v[8:9], v[142:143], v[152:153]
	s_delay_alu instid0(VALU_DEP_2) | instskip(NEXT) | instid1(VALU_DEP_2)
	v_add_f64_e32 v[4:5], v[6:7], v[4:5]
	v_add_f64_e32 v[6:7], v[8:9], v[150:151]
	s_delay_alu instid0(VALU_DEP_2) | instskip(NEXT) | instid1(VALU_DEP_2)
	v_add_f64_e64 v[4:5], v[178:179], -v[4:5]
	v_add_f64_e64 v[6:7], v[180:181], -v[6:7]
	scratch_store_b128 off, v[4:7], off offset:544
	s_wait_xcnt 0x0
	v_cmpx_lt_u32_e32 33, v1
	s_cbranch_execz .LBB61_331
; %bb.330:
	scratch_load_b128 v[6:9], off, s41
	v_dual_mov_b32 v3, v2 :: v_dual_mov_b32 v4, v2
	v_mov_b32_e32 v5, v2
	scratch_store_b128 off, v[2:5], off offset:528
	s_wait_loadcnt 0x0
	ds_store_b128 v16, v[6:9]
.LBB61_331:
	s_wait_xcnt 0x0
	s_or_b32 exec_lo, exec_lo, s2
	s_wait_storecnt_dscnt 0x0
	s_barrier_signal -1
	s_barrier_wait -1
	s_clause 0x9
	scratch_load_b128 v[4:7], off, off offset:544
	scratch_load_b128 v[8:11], off, off offset:560
	;; [unrolled: 1-line block ×10, first 2 shown]
	ds_load_b128 v[170:173], v2 offset:1536
	ds_load_b128 v[178:181], v2 offset:1552
	s_clause 0x2
	scratch_load_b128 v[174:177], off, off offset:704
	scratch_load_b128 v[182:185], off, off offset:528
	;; [unrolled: 1-line block ×3, first 2 shown]
	s_mov_b32 s2, exec_lo
	s_wait_loadcnt_dscnt 0xc01
	v_mul_f64_e32 v[190:191], v[172:173], v[6:7]
	v_mul_f64_e32 v[194:195], v[170:171], v[6:7]
	s_wait_loadcnt_dscnt 0xb00
	v_mul_f64_e32 v[196:197], v[178:179], v[10:11]
	v_mul_f64_e32 v[10:11], v[180:181], v[10:11]
	s_delay_alu instid0(VALU_DEP_4) | instskip(NEXT) | instid1(VALU_DEP_4)
	v_fma_f64 v[198:199], v[170:171], v[4:5], -v[190:191]
	v_fmac_f64_e32 v[194:195], v[172:173], v[4:5]
	ds_load_b128 v[4:7], v2 offset:1568
	ds_load_b128 v[170:173], v2 offset:1584
	scratch_load_b128 v[190:193], off, off offset:736
	v_fmac_f64_e32 v[196:197], v[180:181], v[8:9]
	v_fma_f64 v[178:179], v[178:179], v[8:9], -v[10:11]
	scratch_load_b128 v[8:11], off, off offset:752
	s_wait_loadcnt_dscnt 0xc01
	v_mul_f64_e32 v[200:201], v[4:5], v[14:15]
	v_mul_f64_e32 v[14:15], v[6:7], v[14:15]
	v_add_f64_e32 v[180:181], 0, v[198:199]
	v_add_f64_e32 v[194:195], 0, v[194:195]
	s_wait_loadcnt_dscnt 0xb00
	v_mul_f64_e32 v[198:199], v[170:171], v[144:145]
	v_mul_f64_e32 v[144:145], v[172:173], v[144:145]
	v_fmac_f64_e32 v[200:201], v[6:7], v[12:13]
	v_fma_f64 v[202:203], v[4:5], v[12:13], -v[14:15]
	ds_load_b128 v[4:7], v2 offset:1600
	ds_load_b128 v[12:15], v2 offset:1616
	v_add_f64_e32 v[204:205], v[180:181], v[178:179]
	v_add_f64_e32 v[194:195], v[194:195], v[196:197]
	scratch_load_b128 v[178:181], off, off offset:768
	v_fmac_f64_e32 v[198:199], v[172:173], v[142:143]
	v_fma_f64 v[170:171], v[170:171], v[142:143], -v[144:145]
	scratch_load_b128 v[142:145], off, off offset:784
	s_wait_loadcnt_dscnt 0xc01
	v_mul_f64_e32 v[196:197], v[4:5], v[148:149]
	v_mul_f64_e32 v[148:149], v[6:7], v[148:149]
	v_add_f64_e32 v[172:173], v[204:205], v[202:203]
	v_add_f64_e32 v[194:195], v[194:195], v[200:201]
	s_wait_loadcnt_dscnt 0xb00
	v_mul_f64_e32 v[200:201], v[12:13], v[152:153]
	v_mul_f64_e32 v[152:153], v[14:15], v[152:153]
	v_fmac_f64_e32 v[196:197], v[6:7], v[146:147]
	v_fma_f64 v[202:203], v[4:5], v[146:147], -v[148:149]
	ds_load_b128 v[4:7], v2 offset:1632
	ds_load_b128 v[146:149], v2 offset:1648
	v_add_f64_e32 v[204:205], v[172:173], v[170:171]
	v_add_f64_e32 v[194:195], v[194:195], v[198:199]
	scratch_load_b128 v[170:173], off, off offset:800
	s_wait_loadcnt_dscnt 0xb01
	v_mul_f64_e32 v[198:199], v[4:5], v[156:157]
	v_mul_f64_e32 v[156:157], v[6:7], v[156:157]
	v_fmac_f64_e32 v[200:201], v[14:15], v[150:151]
	v_fma_f64 v[150:151], v[12:13], v[150:151], -v[152:153]
	scratch_load_b128 v[12:15], off, off offset:816
	v_add_f64_e32 v[152:153], v[204:205], v[202:203]
	v_add_f64_e32 v[194:195], v[194:195], v[196:197]
	s_wait_loadcnt_dscnt 0xb00
	v_mul_f64_e32 v[196:197], v[146:147], v[160:161]
	v_mul_f64_e32 v[160:161], v[148:149], v[160:161]
	v_fmac_f64_e32 v[198:199], v[6:7], v[154:155]
	v_fma_f64 v[202:203], v[4:5], v[154:155], -v[156:157]
	v_add_f64_e32 v[204:205], v[152:153], v[150:151]
	v_add_f64_e32 v[194:195], v[194:195], v[200:201]
	ds_load_b128 v[4:7], v2 offset:1664
	ds_load_b128 v[150:153], v2 offset:1680
	scratch_load_b128 v[154:157], off, off offset:832
	v_fmac_f64_e32 v[196:197], v[148:149], v[158:159]
	v_fma_f64 v[158:159], v[146:147], v[158:159], -v[160:161]
	scratch_load_b128 v[146:149], off, off offset:848
	s_wait_loadcnt_dscnt 0xc01
	v_mul_f64_e32 v[200:201], v[4:5], v[164:165]
	v_mul_f64_e32 v[164:165], v[6:7], v[164:165]
	v_add_f64_e32 v[160:161], v[204:205], v[202:203]
	v_add_f64_e32 v[194:195], v[194:195], v[198:199]
	s_wait_loadcnt_dscnt 0xb00
	v_mul_f64_e32 v[198:199], v[150:151], v[168:169]
	v_mul_f64_e32 v[168:169], v[152:153], v[168:169]
	v_fmac_f64_e32 v[200:201], v[6:7], v[162:163]
	v_fma_f64 v[202:203], v[4:5], v[162:163], -v[164:165]
	v_add_f64_e32 v[204:205], v[160:161], v[158:159]
	v_add_f64_e32 v[194:195], v[194:195], v[196:197]
	ds_load_b128 v[4:7], v2 offset:1696
	ds_load_b128 v[158:161], v2 offset:1712
	scratch_load_b128 v[162:165], off, off offset:864
	v_fmac_f64_e32 v[198:199], v[152:153], v[166:167]
	v_fma_f64 v[166:167], v[150:151], v[166:167], -v[168:169]
	scratch_load_b128 v[150:153], off, off offset:880
	s_wait_loadcnt_dscnt 0xc01
	v_mul_f64_e32 v[196:197], v[4:5], v[176:177]
	v_mul_f64_e32 v[176:177], v[6:7], v[176:177]
	;; [unrolled: 18-line block ×5, first 2 shown]
	v_add_f64_e32 v[188:189], v[204:205], v[202:203]
	v_add_f64_e32 v[194:195], v[194:195], v[200:201]
	s_wait_loadcnt_dscnt 0xa00
	v_mul_f64_e32 v[200:201], v[166:167], v[14:15]
	v_mul_f64_e32 v[14:15], v[168:169], v[14:15]
	v_fmac_f64_e32 v[196:197], v[6:7], v[170:171]
	v_fma_f64 v[202:203], v[4:5], v[170:171], -v[172:173]
	ds_load_b128 v[4:7], v2 offset:1824
	ds_load_b128 v[170:173], v2 offset:1840
	v_add_f64_e32 v[186:187], v[188:189], v[186:187]
	v_add_f64_e32 v[188:189], v[194:195], v[198:199]
	v_fmac_f64_e32 v[200:201], v[168:169], v[12:13]
	v_fma_f64 v[12:13], v[166:167], v[12:13], -v[14:15]
	s_wait_loadcnt_dscnt 0x901
	v_mul_f64_e32 v[194:195], v[4:5], v[156:157]
	v_mul_f64_e32 v[156:157], v[6:7], v[156:157]
	s_wait_loadcnt_dscnt 0x800
	v_mul_f64_e32 v[168:169], v[170:171], v[148:149]
	v_mul_f64_e32 v[148:149], v[172:173], v[148:149]
	v_add_f64_e32 v[14:15], v[186:187], v[202:203]
	v_add_f64_e32 v[166:167], v[188:189], v[196:197]
	v_fmac_f64_e32 v[194:195], v[6:7], v[154:155]
	v_fma_f64 v[154:155], v[4:5], v[154:155], -v[156:157]
	v_fmac_f64_e32 v[168:169], v[172:173], v[146:147]
	v_fma_f64 v[146:147], v[170:171], v[146:147], -v[148:149]
	v_add_f64_e32 v[156:157], v[14:15], v[12:13]
	v_add_f64_e32 v[166:167], v[166:167], v[200:201]
	ds_load_b128 v[4:7], v2 offset:1856
	ds_load_b128 v[12:15], v2 offset:1872
	s_wait_loadcnt_dscnt 0x701
	v_mul_f64_e32 v[186:187], v[4:5], v[164:165]
	v_mul_f64_e32 v[164:165], v[6:7], v[164:165]
	v_add_f64_e32 v[148:149], v[156:157], v[154:155]
	v_add_f64_e32 v[154:155], v[166:167], v[194:195]
	s_wait_loadcnt_dscnt 0x600
	v_mul_f64_e32 v[156:157], v[12:13], v[152:153]
	v_mul_f64_e32 v[152:153], v[14:15], v[152:153]
	v_fmac_f64_e32 v[186:187], v[6:7], v[162:163]
	v_fma_f64 v[162:163], v[4:5], v[162:163], -v[164:165]
	v_add_f64_e32 v[164:165], v[148:149], v[146:147]
	v_add_f64_e32 v[154:155], v[154:155], v[168:169]
	ds_load_b128 v[4:7], v2 offset:1888
	ds_load_b128 v[146:149], v2 offset:1904
	v_fmac_f64_e32 v[156:157], v[14:15], v[150:151]
	v_fma_f64 v[12:13], v[12:13], v[150:151], -v[152:153]
	s_wait_loadcnt_dscnt 0x501
	v_mul_f64_e32 v[166:167], v[4:5], v[176:177]
	v_mul_f64_e32 v[168:169], v[6:7], v[176:177]
	s_wait_loadcnt_dscnt 0x400
	v_mul_f64_e32 v[152:153], v[146:147], v[160:161]
	v_add_f64_e32 v[14:15], v[164:165], v[162:163]
	v_add_f64_e32 v[150:151], v[154:155], v[186:187]
	v_mul_f64_e32 v[154:155], v[148:149], v[160:161]
	v_fmac_f64_e32 v[166:167], v[6:7], v[174:175]
	v_fma_f64 v[160:161], v[4:5], v[174:175], -v[168:169]
	v_fmac_f64_e32 v[152:153], v[148:149], v[158:159]
	v_add_f64_e32 v[162:163], v[14:15], v[12:13]
	v_add_f64_e32 v[150:151], v[150:151], v[156:157]
	ds_load_b128 v[4:7], v2 offset:1920
	ds_load_b128 v[12:15], v2 offset:1936
	v_fma_f64 v[146:147], v[146:147], v[158:159], -v[154:155]
	s_wait_loadcnt_dscnt 0x301
	v_mul_f64_e32 v[156:157], v[4:5], v[192:193]
	v_mul_f64_e32 v[164:165], v[6:7], v[192:193]
	s_wait_loadcnt_dscnt 0x200
	v_mul_f64_e32 v[154:155], v[12:13], v[10:11]
	v_mul_f64_e32 v[10:11], v[14:15], v[10:11]
	v_add_f64_e32 v[148:149], v[162:163], v[160:161]
	v_add_f64_e32 v[150:151], v[150:151], v[166:167]
	v_fmac_f64_e32 v[156:157], v[6:7], v[190:191]
	v_fma_f64 v[158:159], v[4:5], v[190:191], -v[164:165]
	v_fmac_f64_e32 v[154:155], v[14:15], v[8:9]
	v_fma_f64 v[8:9], v[12:13], v[8:9], -v[10:11]
	v_add_f64_e32 v[160:161], v[148:149], v[146:147]
	v_add_f64_e32 v[150:151], v[150:151], v[152:153]
	ds_load_b128 v[4:7], v2 offset:1952
	ds_load_b128 v[146:149], v2 offset:1968
	s_wait_loadcnt_dscnt 0x101
	v_mul_f64_e32 v[2:3], v[4:5], v[180:181]
	v_mul_f64_e32 v[152:153], v[6:7], v[180:181]
	s_wait_loadcnt_dscnt 0x0
	v_mul_f64_e32 v[14:15], v[146:147], v[144:145]
	v_mul_f64_e32 v[144:145], v[148:149], v[144:145]
	v_add_f64_e32 v[10:11], v[160:161], v[158:159]
	v_add_f64_e32 v[12:13], v[150:151], v[156:157]
	v_fmac_f64_e32 v[2:3], v[6:7], v[178:179]
	v_fma_f64 v[4:5], v[4:5], v[178:179], -v[152:153]
	v_fmac_f64_e32 v[14:15], v[148:149], v[142:143]
	v_add_f64_e32 v[6:7], v[10:11], v[8:9]
	v_add_f64_e32 v[8:9], v[12:13], v[154:155]
	v_fma_f64 v[10:11], v[146:147], v[142:143], -v[144:145]
	s_delay_alu instid0(VALU_DEP_3) | instskip(NEXT) | instid1(VALU_DEP_3)
	v_add_f64_e32 v[4:5], v[6:7], v[4:5]
	v_add_f64_e32 v[2:3], v[8:9], v[2:3]
	s_delay_alu instid0(VALU_DEP_2) | instskip(NEXT) | instid1(VALU_DEP_2)
	v_add_f64_e32 v[4:5], v[4:5], v[10:11]
	v_add_f64_e32 v[6:7], v[2:3], v[14:15]
	s_delay_alu instid0(VALU_DEP_2) | instskip(NEXT) | instid1(VALU_DEP_2)
	v_add_f64_e64 v[2:3], v[182:183], -v[4:5]
	v_add_f64_e64 v[4:5], v[184:185], -v[6:7]
	scratch_store_b128 off, v[2:5], off offset:528
	s_wait_xcnt 0x0
	v_cmpx_lt_u32_e32 32, v1
	s_cbranch_execz .LBB61_333
; %bb.332:
	scratch_load_b128 v[2:5], off, s45
	v_mov_b32_e32 v6, 0
	s_delay_alu instid0(VALU_DEP_1)
	v_dual_mov_b32 v7, v6 :: v_dual_mov_b32 v8, v6
	v_mov_b32_e32 v9, v6
	scratch_store_b128 off, v[6:9], off offset:512
	s_wait_loadcnt 0x0
	ds_store_b128 v16, v[2:5]
.LBB61_333:
	s_wait_xcnt 0x0
	s_or_b32 exec_lo, exec_lo, s2
	s_wait_storecnt_dscnt 0x0
	s_barrier_signal -1
	s_barrier_wait -1
	s_clause 0x9
	scratch_load_b128 v[4:7], off, off offset:528
	scratch_load_b128 v[8:11], off, off offset:544
	;; [unrolled: 1-line block ×10, first 2 shown]
	v_mov_b32_e32 v2, 0
	s_mov_b32 s2, exec_lo
	ds_load_b128 v[170:173], v2 offset:1520
	s_clause 0x2
	scratch_load_b128 v[174:177], off, off offset:688
	scratch_load_b128 v[178:181], off, off offset:512
	;; [unrolled: 1-line block ×3, first 2 shown]
	s_wait_loadcnt_dscnt 0xc00
	v_mul_f64_e32 v[190:191], v[172:173], v[6:7]
	v_mul_f64_e32 v[194:195], v[170:171], v[6:7]
	ds_load_b128 v[182:185], v2 offset:1536
	v_fma_f64 v[198:199], v[170:171], v[4:5], -v[190:191]
	v_fmac_f64_e32 v[194:195], v[172:173], v[4:5]
	ds_load_b128 v[4:7], v2 offset:1552
	s_wait_loadcnt_dscnt 0xb01
	v_mul_f64_e32 v[196:197], v[182:183], v[10:11]
	v_mul_f64_e32 v[10:11], v[184:185], v[10:11]
	scratch_load_b128 v[170:173], off, off offset:720
	ds_load_b128 v[190:193], v2 offset:1568
	s_wait_loadcnt_dscnt 0xb01
	v_mul_f64_e32 v[200:201], v[4:5], v[14:15]
	v_mul_f64_e32 v[14:15], v[6:7], v[14:15]
	v_add_f64_e32 v[194:195], 0, v[194:195]
	v_fmac_f64_e32 v[196:197], v[184:185], v[8:9]
	v_fma_f64 v[182:183], v[182:183], v[8:9], -v[10:11]
	v_add_f64_e32 v[184:185], 0, v[198:199]
	scratch_load_b128 v[8:11], off, off offset:736
	v_fmac_f64_e32 v[200:201], v[6:7], v[12:13]
	v_fma_f64 v[202:203], v[4:5], v[12:13], -v[14:15]
	ds_load_b128 v[4:7], v2 offset:1584
	s_wait_loadcnt_dscnt 0xb01
	v_mul_f64_e32 v[198:199], v[190:191], v[144:145]
	v_mul_f64_e32 v[144:145], v[192:193], v[144:145]
	scratch_load_b128 v[12:15], off, off offset:752
	v_add_f64_e32 v[194:195], v[194:195], v[196:197]
	v_add_f64_e32 v[204:205], v[184:185], v[182:183]
	ds_load_b128 v[182:185], v2 offset:1600
	s_wait_loadcnt_dscnt 0xb01
	v_mul_f64_e32 v[196:197], v[4:5], v[148:149]
	v_mul_f64_e32 v[148:149], v[6:7], v[148:149]
	v_fmac_f64_e32 v[198:199], v[192:193], v[142:143]
	v_fma_f64 v[190:191], v[190:191], v[142:143], -v[144:145]
	scratch_load_b128 v[142:145], off, off offset:768
	v_add_f64_e32 v[194:195], v[194:195], v[200:201]
	v_add_f64_e32 v[192:193], v[204:205], v[202:203]
	v_fmac_f64_e32 v[196:197], v[6:7], v[146:147]
	v_fma_f64 v[202:203], v[4:5], v[146:147], -v[148:149]
	ds_load_b128 v[4:7], v2 offset:1616
	s_wait_loadcnt_dscnt 0xb01
	v_mul_f64_e32 v[200:201], v[182:183], v[152:153]
	v_mul_f64_e32 v[152:153], v[184:185], v[152:153]
	scratch_load_b128 v[146:149], off, off offset:784
	v_add_f64_e32 v[194:195], v[194:195], v[198:199]
	s_wait_loadcnt_dscnt 0xb00
	v_mul_f64_e32 v[198:199], v[4:5], v[156:157]
	v_add_f64_e32 v[204:205], v[192:193], v[190:191]
	v_mul_f64_e32 v[156:157], v[6:7], v[156:157]
	ds_load_b128 v[190:193], v2 offset:1632
	v_fmac_f64_e32 v[200:201], v[184:185], v[150:151]
	v_fma_f64 v[182:183], v[182:183], v[150:151], -v[152:153]
	scratch_load_b128 v[150:153], off, off offset:800
	v_add_f64_e32 v[194:195], v[194:195], v[196:197]
	v_fmac_f64_e32 v[198:199], v[6:7], v[154:155]
	v_add_f64_e32 v[184:185], v[204:205], v[202:203]
	v_fma_f64 v[202:203], v[4:5], v[154:155], -v[156:157]
	ds_load_b128 v[4:7], v2 offset:1648
	s_wait_loadcnt_dscnt 0xb01
	v_mul_f64_e32 v[196:197], v[190:191], v[160:161]
	v_mul_f64_e32 v[160:161], v[192:193], v[160:161]
	scratch_load_b128 v[154:157], off, off offset:816
	v_add_f64_e32 v[194:195], v[194:195], v[200:201]
	s_wait_loadcnt_dscnt 0xb00
	v_mul_f64_e32 v[200:201], v[4:5], v[164:165]
	v_add_f64_e32 v[204:205], v[184:185], v[182:183]
	v_mul_f64_e32 v[164:165], v[6:7], v[164:165]
	ds_load_b128 v[182:185], v2 offset:1664
	v_fmac_f64_e32 v[196:197], v[192:193], v[158:159]
	v_fma_f64 v[190:191], v[190:191], v[158:159], -v[160:161]
	scratch_load_b128 v[158:161], off, off offset:832
	v_add_f64_e32 v[194:195], v[194:195], v[198:199]
	v_fmac_f64_e32 v[200:201], v[6:7], v[162:163]
	v_add_f64_e32 v[192:193], v[204:205], v[202:203]
	;; [unrolled: 18-line block ×3, first 2 shown]
	v_fma_f64 v[202:203], v[4:5], v[174:175], -v[176:177]
	ds_load_b128 v[4:7], v2 offset:1712
	s_wait_loadcnt_dscnt 0xa01
	v_mul_f64_e32 v[200:201], v[190:191], v[188:189]
	v_mul_f64_e32 v[188:189], v[192:193], v[188:189]
	scratch_load_b128 v[174:177], off, off offset:880
	v_add_f64_e32 v[194:195], v[194:195], v[198:199]
	v_add_f64_e32 v[204:205], v[184:185], v[182:183]
	s_wait_loadcnt_dscnt 0xa00
	v_mul_f64_e32 v[198:199], v[4:5], v[172:173]
	v_mul_f64_e32 v[172:173], v[6:7], v[172:173]
	v_fmac_f64_e32 v[200:201], v[192:193], v[186:187]
	v_fma_f64 v[190:191], v[190:191], v[186:187], -v[188:189]
	ds_load_b128 v[182:185], v2 offset:1728
	scratch_load_b128 v[186:189], off, off offset:896
	v_add_f64_e32 v[194:195], v[194:195], v[196:197]
	v_add_f64_e32 v[192:193], v[204:205], v[202:203]
	v_fmac_f64_e32 v[198:199], v[6:7], v[170:171]
	v_fma_f64 v[202:203], v[4:5], v[170:171], -v[172:173]
	ds_load_b128 v[4:7], v2 offset:1744
	s_wait_loadcnt_dscnt 0xa01
	v_mul_f64_e32 v[196:197], v[182:183], v[10:11]
	v_mul_f64_e32 v[10:11], v[184:185], v[10:11]
	scratch_load_b128 v[170:173], off, off offset:912
	v_add_f64_e32 v[194:195], v[194:195], v[200:201]
	s_wait_loadcnt_dscnt 0xa00
	v_mul_f64_e32 v[200:201], v[4:5], v[14:15]
	v_add_f64_e32 v[204:205], v[192:193], v[190:191]
	v_mul_f64_e32 v[14:15], v[6:7], v[14:15]
	ds_load_b128 v[190:193], v2 offset:1760
	v_fmac_f64_e32 v[196:197], v[184:185], v[8:9]
	v_fma_f64 v[182:183], v[182:183], v[8:9], -v[10:11]
	scratch_load_b128 v[8:11], off, off offset:928
	v_add_f64_e32 v[194:195], v[194:195], v[198:199]
	v_fmac_f64_e32 v[200:201], v[6:7], v[12:13]
	v_add_f64_e32 v[184:185], v[204:205], v[202:203]
	v_fma_f64 v[202:203], v[4:5], v[12:13], -v[14:15]
	ds_load_b128 v[4:7], v2 offset:1776
	s_wait_loadcnt_dscnt 0xa01
	v_mul_f64_e32 v[198:199], v[190:191], v[144:145]
	v_mul_f64_e32 v[144:145], v[192:193], v[144:145]
	scratch_load_b128 v[12:15], off, off offset:944
	v_add_f64_e32 v[194:195], v[194:195], v[196:197]
	s_wait_loadcnt_dscnt 0xa00
	v_mul_f64_e32 v[196:197], v[4:5], v[148:149]
	v_add_f64_e32 v[204:205], v[184:185], v[182:183]
	v_mul_f64_e32 v[148:149], v[6:7], v[148:149]
	ds_load_b128 v[182:185], v2 offset:1792
	v_fmac_f64_e32 v[198:199], v[192:193], v[142:143]
	v_fma_f64 v[190:191], v[190:191], v[142:143], -v[144:145]
	scratch_load_b128 v[142:145], off, off offset:960
	v_add_f64_e32 v[194:195], v[194:195], v[200:201]
	v_fmac_f64_e32 v[196:197], v[6:7], v[146:147]
	v_add_f64_e32 v[192:193], v[204:205], v[202:203]
	v_fma_f64 v[202:203], v[4:5], v[146:147], -v[148:149]
	ds_load_b128 v[4:7], v2 offset:1808
	s_wait_loadcnt_dscnt 0xa01
	v_mul_f64_e32 v[200:201], v[182:183], v[152:153]
	v_mul_f64_e32 v[152:153], v[184:185], v[152:153]
	scratch_load_b128 v[146:149], off, off offset:976
	v_add_f64_e32 v[194:195], v[194:195], v[198:199]
	s_wait_loadcnt_dscnt 0xa00
	v_mul_f64_e32 v[198:199], v[4:5], v[156:157]
	v_add_f64_e32 v[204:205], v[192:193], v[190:191]
	v_mul_f64_e32 v[156:157], v[6:7], v[156:157]
	ds_load_b128 v[190:193], v2 offset:1824
	v_fmac_f64_e32 v[200:201], v[184:185], v[150:151]
	v_fma_f64 v[150:151], v[182:183], v[150:151], -v[152:153]
	s_wait_loadcnt_dscnt 0x900
	v_mul_f64_e32 v[184:185], v[190:191], v[160:161]
	v_mul_f64_e32 v[160:161], v[192:193], v[160:161]
	v_add_f64_e32 v[182:183], v[194:195], v[196:197]
	v_fmac_f64_e32 v[198:199], v[6:7], v[154:155]
	v_add_f64_e32 v[152:153], v[204:205], v[202:203]
	v_fma_f64 v[154:155], v[4:5], v[154:155], -v[156:157]
	v_fmac_f64_e32 v[184:185], v[192:193], v[158:159]
	v_fma_f64 v[158:159], v[190:191], v[158:159], -v[160:161]
	v_add_f64_e32 v[182:183], v[182:183], v[200:201]
	v_add_f64_e32 v[156:157], v[152:153], v[150:151]
	ds_load_b128 v[4:7], v2 offset:1840
	ds_load_b128 v[150:153], v2 offset:1856
	s_wait_loadcnt_dscnt 0x801
	v_mul_f64_e32 v[194:195], v[4:5], v[164:165]
	v_mul_f64_e32 v[164:165], v[6:7], v[164:165]
	s_wait_loadcnt_dscnt 0x700
	v_mul_f64_e32 v[160:161], v[150:151], v[168:169]
	v_mul_f64_e32 v[168:169], v[152:153], v[168:169]
	v_add_f64_e32 v[154:155], v[156:157], v[154:155]
	v_add_f64_e32 v[156:157], v[182:183], v[198:199]
	v_fmac_f64_e32 v[194:195], v[6:7], v[162:163]
	v_fma_f64 v[162:163], v[4:5], v[162:163], -v[164:165]
	v_fmac_f64_e32 v[160:161], v[152:153], v[166:167]
	v_fma_f64 v[150:151], v[150:151], v[166:167], -v[168:169]
	v_add_f64_e32 v[158:159], v[154:155], v[158:159]
	v_add_f64_e32 v[164:165], v[156:157], v[184:185]
	ds_load_b128 v[4:7], v2 offset:1872
	ds_load_b128 v[154:157], v2 offset:1888
	s_wait_loadcnt_dscnt 0x601
	v_mul_f64_e32 v[182:183], v[4:5], v[176:177]
	v_mul_f64_e32 v[176:177], v[6:7], v[176:177]
	v_add_f64_e32 v[152:153], v[158:159], v[162:163]
	v_add_f64_e32 v[158:159], v[164:165], v[194:195]
	s_wait_loadcnt_dscnt 0x500
	v_mul_f64_e32 v[162:163], v[154:155], v[188:189]
	v_mul_f64_e32 v[164:165], v[156:157], v[188:189]
	v_fmac_f64_e32 v[182:183], v[6:7], v[174:175]
	v_fma_f64 v[166:167], v[4:5], v[174:175], -v[176:177]
	v_add_f64_e32 v[168:169], v[152:153], v[150:151]
	v_add_f64_e32 v[158:159], v[158:159], v[160:161]
	ds_load_b128 v[4:7], v2 offset:1904
	ds_load_b128 v[150:153], v2 offset:1920
	v_fmac_f64_e32 v[162:163], v[156:157], v[186:187]
	v_fma_f64 v[154:155], v[154:155], v[186:187], -v[164:165]
	s_wait_loadcnt_dscnt 0x401
	v_mul_f64_e32 v[160:161], v[4:5], v[172:173]
	v_mul_f64_e32 v[172:173], v[6:7], v[172:173]
	s_wait_loadcnt_dscnt 0x300
	v_mul_f64_e32 v[164:165], v[150:151], v[10:11]
	v_mul_f64_e32 v[10:11], v[152:153], v[10:11]
	v_add_f64_e32 v[156:157], v[168:169], v[166:167]
	v_add_f64_e32 v[158:159], v[158:159], v[182:183]
	v_fmac_f64_e32 v[160:161], v[6:7], v[170:171]
	v_fma_f64 v[166:167], v[4:5], v[170:171], -v[172:173]
	v_fmac_f64_e32 v[164:165], v[152:153], v[8:9]
	v_fma_f64 v[8:9], v[150:151], v[8:9], -v[10:11]
	v_add_f64_e32 v[168:169], v[156:157], v[154:155]
	v_add_f64_e32 v[158:159], v[158:159], v[162:163]
	ds_load_b128 v[4:7], v2 offset:1936
	ds_load_b128 v[154:157], v2 offset:1952
	s_wait_loadcnt_dscnt 0x201
	v_mul_f64_e32 v[162:163], v[4:5], v[14:15]
	v_mul_f64_e32 v[14:15], v[6:7], v[14:15]
	s_wait_loadcnt_dscnt 0x100
	v_mul_f64_e32 v[152:153], v[154:155], v[144:145]
	v_mul_f64_e32 v[144:145], v[156:157], v[144:145]
	v_add_f64_e32 v[10:11], v[168:169], v[166:167]
	v_add_f64_e32 v[150:151], v[158:159], v[160:161]
	v_fmac_f64_e32 v[162:163], v[6:7], v[12:13]
	v_fma_f64 v[12:13], v[4:5], v[12:13], -v[14:15]
	ds_load_b128 v[4:7], v2 offset:1968
	v_fmac_f64_e32 v[152:153], v[156:157], v[142:143]
	v_fma_f64 v[142:143], v[154:155], v[142:143], -v[144:145]
	v_add_f64_e32 v[8:9], v[10:11], v[8:9]
	v_add_f64_e32 v[10:11], v[150:151], v[164:165]
	s_wait_loadcnt_dscnt 0x0
	v_mul_f64_e32 v[14:15], v[4:5], v[148:149]
	v_mul_f64_e32 v[148:149], v[6:7], v[148:149]
	s_delay_alu instid0(VALU_DEP_4) | instskip(NEXT) | instid1(VALU_DEP_4)
	v_add_f64_e32 v[8:9], v[8:9], v[12:13]
	v_add_f64_e32 v[10:11], v[10:11], v[162:163]
	s_delay_alu instid0(VALU_DEP_4) | instskip(NEXT) | instid1(VALU_DEP_4)
	v_fmac_f64_e32 v[14:15], v[6:7], v[146:147]
	v_fma_f64 v[4:5], v[4:5], v[146:147], -v[148:149]
	s_delay_alu instid0(VALU_DEP_4) | instskip(NEXT) | instid1(VALU_DEP_4)
	v_add_f64_e32 v[6:7], v[8:9], v[142:143]
	v_add_f64_e32 v[8:9], v[10:11], v[152:153]
	s_delay_alu instid0(VALU_DEP_2) | instskip(NEXT) | instid1(VALU_DEP_2)
	v_add_f64_e32 v[4:5], v[6:7], v[4:5]
	v_add_f64_e32 v[6:7], v[8:9], v[14:15]
	s_delay_alu instid0(VALU_DEP_2) | instskip(NEXT) | instid1(VALU_DEP_2)
	v_add_f64_e64 v[4:5], v[178:179], -v[4:5]
	v_add_f64_e64 v[6:7], v[180:181], -v[6:7]
	scratch_store_b128 off, v[4:7], off offset:512
	s_wait_xcnt 0x0
	v_cmpx_lt_u32_e32 31, v1
	s_cbranch_execz .LBB61_335
; %bb.334:
	scratch_load_b128 v[6:9], off, s43
	v_dual_mov_b32 v3, v2 :: v_dual_mov_b32 v4, v2
	v_mov_b32_e32 v5, v2
	scratch_store_b128 off, v[2:5], off offset:496
	s_wait_loadcnt 0x0
	ds_store_b128 v16, v[6:9]
.LBB61_335:
	s_wait_xcnt 0x0
	s_or_b32 exec_lo, exec_lo, s2
	s_wait_storecnt_dscnt 0x0
	s_barrier_signal -1
	s_barrier_wait -1
	s_clause 0x9
	scratch_load_b128 v[4:7], off, off offset:512
	scratch_load_b128 v[8:11], off, off offset:528
	scratch_load_b128 v[12:15], off, off offset:544
	scratch_load_b128 v[142:145], off, off offset:560
	scratch_load_b128 v[146:149], off, off offset:576
	scratch_load_b128 v[150:153], off, off offset:592
	scratch_load_b128 v[154:157], off, off offset:608
	scratch_load_b128 v[158:161], off, off offset:624
	scratch_load_b128 v[162:165], off, off offset:640
	scratch_load_b128 v[166:169], off, off offset:656
	ds_load_b128 v[170:173], v2 offset:1504
	ds_load_b128 v[178:181], v2 offset:1520
	s_clause 0x2
	scratch_load_b128 v[174:177], off, off offset:672
	scratch_load_b128 v[182:185], off, off offset:496
	;; [unrolled: 1-line block ×3, first 2 shown]
	s_mov_b32 s2, exec_lo
	s_wait_loadcnt_dscnt 0xc01
	v_mul_f64_e32 v[190:191], v[172:173], v[6:7]
	v_mul_f64_e32 v[194:195], v[170:171], v[6:7]
	s_wait_loadcnt_dscnt 0xb00
	v_mul_f64_e32 v[196:197], v[178:179], v[10:11]
	v_mul_f64_e32 v[10:11], v[180:181], v[10:11]
	s_delay_alu instid0(VALU_DEP_4) | instskip(NEXT) | instid1(VALU_DEP_4)
	v_fma_f64 v[198:199], v[170:171], v[4:5], -v[190:191]
	v_fmac_f64_e32 v[194:195], v[172:173], v[4:5]
	ds_load_b128 v[4:7], v2 offset:1536
	ds_load_b128 v[170:173], v2 offset:1552
	scratch_load_b128 v[190:193], off, off offset:704
	v_fmac_f64_e32 v[196:197], v[180:181], v[8:9]
	v_fma_f64 v[178:179], v[178:179], v[8:9], -v[10:11]
	scratch_load_b128 v[8:11], off, off offset:720
	s_wait_loadcnt_dscnt 0xc01
	v_mul_f64_e32 v[200:201], v[4:5], v[14:15]
	v_mul_f64_e32 v[14:15], v[6:7], v[14:15]
	v_add_f64_e32 v[180:181], 0, v[198:199]
	v_add_f64_e32 v[194:195], 0, v[194:195]
	s_wait_loadcnt_dscnt 0xb00
	v_mul_f64_e32 v[198:199], v[170:171], v[144:145]
	v_mul_f64_e32 v[144:145], v[172:173], v[144:145]
	v_fmac_f64_e32 v[200:201], v[6:7], v[12:13]
	v_fma_f64 v[202:203], v[4:5], v[12:13], -v[14:15]
	ds_load_b128 v[4:7], v2 offset:1568
	ds_load_b128 v[12:15], v2 offset:1584
	v_add_f64_e32 v[204:205], v[180:181], v[178:179]
	v_add_f64_e32 v[194:195], v[194:195], v[196:197]
	scratch_load_b128 v[178:181], off, off offset:736
	v_fmac_f64_e32 v[198:199], v[172:173], v[142:143]
	v_fma_f64 v[170:171], v[170:171], v[142:143], -v[144:145]
	scratch_load_b128 v[142:145], off, off offset:752
	s_wait_loadcnt_dscnt 0xc01
	v_mul_f64_e32 v[196:197], v[4:5], v[148:149]
	v_mul_f64_e32 v[148:149], v[6:7], v[148:149]
	v_add_f64_e32 v[172:173], v[204:205], v[202:203]
	v_add_f64_e32 v[194:195], v[194:195], v[200:201]
	s_wait_loadcnt_dscnt 0xb00
	v_mul_f64_e32 v[200:201], v[12:13], v[152:153]
	v_mul_f64_e32 v[152:153], v[14:15], v[152:153]
	v_fmac_f64_e32 v[196:197], v[6:7], v[146:147]
	v_fma_f64 v[202:203], v[4:5], v[146:147], -v[148:149]
	ds_load_b128 v[4:7], v2 offset:1600
	ds_load_b128 v[146:149], v2 offset:1616
	v_add_f64_e32 v[204:205], v[172:173], v[170:171]
	v_add_f64_e32 v[194:195], v[194:195], v[198:199]
	scratch_load_b128 v[170:173], off, off offset:768
	s_wait_loadcnt_dscnt 0xb01
	v_mul_f64_e32 v[198:199], v[4:5], v[156:157]
	v_mul_f64_e32 v[156:157], v[6:7], v[156:157]
	v_fmac_f64_e32 v[200:201], v[14:15], v[150:151]
	v_fma_f64 v[150:151], v[12:13], v[150:151], -v[152:153]
	scratch_load_b128 v[12:15], off, off offset:784
	v_add_f64_e32 v[152:153], v[204:205], v[202:203]
	v_add_f64_e32 v[194:195], v[194:195], v[196:197]
	s_wait_loadcnt_dscnt 0xb00
	v_mul_f64_e32 v[196:197], v[146:147], v[160:161]
	v_mul_f64_e32 v[160:161], v[148:149], v[160:161]
	v_fmac_f64_e32 v[198:199], v[6:7], v[154:155]
	v_fma_f64 v[202:203], v[4:5], v[154:155], -v[156:157]
	v_add_f64_e32 v[204:205], v[152:153], v[150:151]
	v_add_f64_e32 v[194:195], v[194:195], v[200:201]
	ds_load_b128 v[4:7], v2 offset:1632
	ds_load_b128 v[150:153], v2 offset:1648
	scratch_load_b128 v[154:157], off, off offset:800
	v_fmac_f64_e32 v[196:197], v[148:149], v[158:159]
	v_fma_f64 v[158:159], v[146:147], v[158:159], -v[160:161]
	scratch_load_b128 v[146:149], off, off offset:816
	s_wait_loadcnt_dscnt 0xc01
	v_mul_f64_e32 v[200:201], v[4:5], v[164:165]
	v_mul_f64_e32 v[164:165], v[6:7], v[164:165]
	v_add_f64_e32 v[160:161], v[204:205], v[202:203]
	v_add_f64_e32 v[194:195], v[194:195], v[198:199]
	s_wait_loadcnt_dscnt 0xb00
	v_mul_f64_e32 v[198:199], v[150:151], v[168:169]
	v_mul_f64_e32 v[168:169], v[152:153], v[168:169]
	v_fmac_f64_e32 v[200:201], v[6:7], v[162:163]
	v_fma_f64 v[202:203], v[4:5], v[162:163], -v[164:165]
	v_add_f64_e32 v[204:205], v[160:161], v[158:159]
	v_add_f64_e32 v[194:195], v[194:195], v[196:197]
	ds_load_b128 v[4:7], v2 offset:1664
	ds_load_b128 v[158:161], v2 offset:1680
	scratch_load_b128 v[162:165], off, off offset:832
	v_fmac_f64_e32 v[198:199], v[152:153], v[166:167]
	v_fma_f64 v[166:167], v[150:151], v[166:167], -v[168:169]
	scratch_load_b128 v[150:153], off, off offset:848
	s_wait_loadcnt_dscnt 0xc01
	v_mul_f64_e32 v[196:197], v[4:5], v[176:177]
	v_mul_f64_e32 v[176:177], v[6:7], v[176:177]
	;; [unrolled: 18-line block ×5, first 2 shown]
	v_add_f64_e32 v[188:189], v[204:205], v[202:203]
	v_add_f64_e32 v[194:195], v[194:195], v[200:201]
	s_wait_loadcnt_dscnt 0xa00
	v_mul_f64_e32 v[200:201], v[166:167], v[14:15]
	v_mul_f64_e32 v[14:15], v[168:169], v[14:15]
	v_fmac_f64_e32 v[196:197], v[6:7], v[170:171]
	v_fma_f64 v[202:203], v[4:5], v[170:171], -v[172:173]
	ds_load_b128 v[4:7], v2 offset:1792
	ds_load_b128 v[170:173], v2 offset:1808
	v_add_f64_e32 v[204:205], v[188:189], v[186:187]
	v_add_f64_e32 v[194:195], v[194:195], v[198:199]
	scratch_load_b128 v[186:189], off, off offset:960
	v_fmac_f64_e32 v[200:201], v[168:169], v[12:13]
	v_fma_f64 v[166:167], v[166:167], v[12:13], -v[14:15]
	scratch_load_b128 v[12:15], off, off offset:976
	s_wait_loadcnt_dscnt 0xb01
	v_mul_f64_e32 v[198:199], v[4:5], v[156:157]
	v_mul_f64_e32 v[156:157], v[6:7], v[156:157]
	v_add_f64_e32 v[168:169], v[204:205], v[202:203]
	v_add_f64_e32 v[194:195], v[194:195], v[196:197]
	s_wait_loadcnt_dscnt 0xa00
	v_mul_f64_e32 v[196:197], v[170:171], v[148:149]
	v_mul_f64_e32 v[148:149], v[172:173], v[148:149]
	v_fmac_f64_e32 v[198:199], v[6:7], v[154:155]
	v_fma_f64 v[202:203], v[4:5], v[154:155], -v[156:157]
	ds_load_b128 v[4:7], v2 offset:1824
	ds_load_b128 v[154:157], v2 offset:1840
	v_add_f64_e32 v[166:167], v[168:169], v[166:167]
	v_add_f64_e32 v[168:169], v[194:195], v[200:201]
	v_fmac_f64_e32 v[196:197], v[172:173], v[146:147]
	s_wait_loadcnt_dscnt 0x901
	v_mul_f64_e32 v[194:195], v[4:5], v[164:165]
	v_mul_f64_e32 v[164:165], v[6:7], v[164:165]
	v_fma_f64 v[146:147], v[170:171], v[146:147], -v[148:149]
	v_add_f64_e32 v[148:149], v[166:167], v[202:203]
	v_add_f64_e32 v[166:167], v[168:169], v[198:199]
	s_wait_loadcnt_dscnt 0x800
	v_mul_f64_e32 v[168:169], v[154:155], v[152:153]
	v_mul_f64_e32 v[152:153], v[156:157], v[152:153]
	v_fmac_f64_e32 v[194:195], v[6:7], v[162:163]
	v_fma_f64 v[162:163], v[4:5], v[162:163], -v[164:165]
	v_add_f64_e32 v[164:165], v[148:149], v[146:147]
	v_add_f64_e32 v[166:167], v[166:167], v[196:197]
	ds_load_b128 v[4:7], v2 offset:1856
	ds_load_b128 v[146:149], v2 offset:1872
	v_fmac_f64_e32 v[168:169], v[156:157], v[150:151]
	v_fma_f64 v[150:151], v[154:155], v[150:151], -v[152:153]
	s_wait_loadcnt_dscnt 0x701
	v_mul_f64_e32 v[170:171], v[4:5], v[176:177]
	v_mul_f64_e32 v[172:173], v[6:7], v[176:177]
	s_wait_loadcnt_dscnt 0x600
	v_mul_f64_e32 v[156:157], v[146:147], v[160:161]
	v_mul_f64_e32 v[160:161], v[148:149], v[160:161]
	v_add_f64_e32 v[152:153], v[164:165], v[162:163]
	v_add_f64_e32 v[154:155], v[166:167], v[194:195]
	v_fmac_f64_e32 v[170:171], v[6:7], v[174:175]
	v_fma_f64 v[162:163], v[4:5], v[174:175], -v[172:173]
	v_fmac_f64_e32 v[156:157], v[148:149], v[158:159]
	v_fma_f64 v[146:147], v[146:147], v[158:159], -v[160:161]
	v_add_f64_e32 v[164:165], v[152:153], v[150:151]
	v_add_f64_e32 v[154:155], v[154:155], v[168:169]
	ds_load_b128 v[4:7], v2 offset:1888
	ds_load_b128 v[150:153], v2 offset:1904
	s_wait_loadcnt_dscnt 0x501
	v_mul_f64_e32 v[166:167], v[4:5], v[192:193]
	v_mul_f64_e32 v[168:169], v[6:7], v[192:193]
	s_wait_loadcnt_dscnt 0x400
	v_mul_f64_e32 v[158:159], v[150:151], v[10:11]
	v_mul_f64_e32 v[10:11], v[152:153], v[10:11]
	v_add_f64_e32 v[148:149], v[164:165], v[162:163]
	v_add_f64_e32 v[154:155], v[154:155], v[170:171]
	v_fmac_f64_e32 v[166:167], v[6:7], v[190:191]
	v_fma_f64 v[160:161], v[4:5], v[190:191], -v[168:169]
	v_fmac_f64_e32 v[158:159], v[152:153], v[8:9]
	v_fma_f64 v[8:9], v[150:151], v[8:9], -v[10:11]
	v_add_f64_e32 v[162:163], v[148:149], v[146:147]
	v_add_f64_e32 v[154:155], v[154:155], v[156:157]
	ds_load_b128 v[4:7], v2 offset:1920
	ds_load_b128 v[146:149], v2 offset:1936
	s_wait_loadcnt_dscnt 0x301
	v_mul_f64_e32 v[156:157], v[4:5], v[180:181]
	v_mul_f64_e32 v[164:165], v[6:7], v[180:181]
	s_wait_loadcnt_dscnt 0x200
	v_mul_f64_e32 v[152:153], v[146:147], v[144:145]
	v_mul_f64_e32 v[144:145], v[148:149], v[144:145]
	v_add_f64_e32 v[10:11], v[162:163], v[160:161]
	v_add_f64_e32 v[150:151], v[154:155], v[166:167]
	v_fmac_f64_e32 v[156:157], v[6:7], v[178:179]
	v_fma_f64 v[154:155], v[4:5], v[178:179], -v[164:165]
	v_fmac_f64_e32 v[152:153], v[148:149], v[142:143]
	v_fma_f64 v[142:143], v[146:147], v[142:143], -v[144:145]
	v_add_f64_e32 v[160:161], v[10:11], v[8:9]
	v_add_f64_e32 v[150:151], v[150:151], v[158:159]
	ds_load_b128 v[4:7], v2 offset:1952
	ds_load_b128 v[8:11], v2 offset:1968
	s_wait_loadcnt_dscnt 0x101
	v_mul_f64_e32 v[2:3], v[4:5], v[188:189]
	v_mul_f64_e32 v[158:159], v[6:7], v[188:189]
	s_wait_loadcnt_dscnt 0x0
	v_mul_f64_e32 v[148:149], v[8:9], v[14:15]
	v_mul_f64_e32 v[14:15], v[10:11], v[14:15]
	v_add_f64_e32 v[144:145], v[160:161], v[154:155]
	v_add_f64_e32 v[146:147], v[150:151], v[156:157]
	v_fmac_f64_e32 v[2:3], v[6:7], v[186:187]
	v_fma_f64 v[4:5], v[4:5], v[186:187], -v[158:159]
	v_fmac_f64_e32 v[148:149], v[10:11], v[12:13]
	v_fma_f64 v[8:9], v[8:9], v[12:13], -v[14:15]
	v_add_f64_e32 v[6:7], v[144:145], v[142:143]
	v_add_f64_e32 v[142:143], v[146:147], v[152:153]
	s_delay_alu instid0(VALU_DEP_2) | instskip(NEXT) | instid1(VALU_DEP_2)
	v_add_f64_e32 v[4:5], v[6:7], v[4:5]
	v_add_f64_e32 v[2:3], v[142:143], v[2:3]
	s_delay_alu instid0(VALU_DEP_2) | instskip(NEXT) | instid1(VALU_DEP_2)
	;; [unrolled: 3-line block ×3, first 2 shown]
	v_add_f64_e64 v[2:3], v[182:183], -v[4:5]
	v_add_f64_e64 v[4:5], v[184:185], -v[6:7]
	scratch_store_b128 off, v[2:5], off offset:496
	s_wait_xcnt 0x0
	v_cmpx_lt_u32_e32 30, v1
	s_cbranch_execz .LBB61_337
; %bb.336:
	scratch_load_b128 v[2:5], off, s49
	v_mov_b32_e32 v6, 0
	s_delay_alu instid0(VALU_DEP_1)
	v_dual_mov_b32 v7, v6 :: v_dual_mov_b32 v8, v6
	v_mov_b32_e32 v9, v6
	scratch_store_b128 off, v[6:9], off offset:480
	s_wait_loadcnt 0x0
	ds_store_b128 v16, v[2:5]
.LBB61_337:
	s_wait_xcnt 0x0
	s_or_b32 exec_lo, exec_lo, s2
	s_wait_storecnt_dscnt 0x0
	s_barrier_signal -1
	s_barrier_wait -1
	s_clause 0x9
	scratch_load_b128 v[4:7], off, off offset:496
	scratch_load_b128 v[8:11], off, off offset:512
	;; [unrolled: 1-line block ×10, first 2 shown]
	v_mov_b32_e32 v2, 0
	s_mov_b32 s2, exec_lo
	ds_load_b128 v[170:173], v2 offset:1488
	s_clause 0x2
	scratch_load_b128 v[174:177], off, off offset:656
	scratch_load_b128 v[178:181], off, off offset:480
	;; [unrolled: 1-line block ×3, first 2 shown]
	s_wait_loadcnt_dscnt 0xc00
	v_mul_f64_e32 v[190:191], v[172:173], v[6:7]
	v_mul_f64_e32 v[194:195], v[170:171], v[6:7]
	ds_load_b128 v[182:185], v2 offset:1504
	v_fma_f64 v[198:199], v[170:171], v[4:5], -v[190:191]
	v_fmac_f64_e32 v[194:195], v[172:173], v[4:5]
	ds_load_b128 v[4:7], v2 offset:1520
	s_wait_loadcnt_dscnt 0xb01
	v_mul_f64_e32 v[196:197], v[182:183], v[10:11]
	v_mul_f64_e32 v[10:11], v[184:185], v[10:11]
	scratch_load_b128 v[170:173], off, off offset:688
	ds_load_b128 v[190:193], v2 offset:1536
	s_wait_loadcnt_dscnt 0xb01
	v_mul_f64_e32 v[200:201], v[4:5], v[14:15]
	v_mul_f64_e32 v[14:15], v[6:7], v[14:15]
	v_add_f64_e32 v[194:195], 0, v[194:195]
	v_fmac_f64_e32 v[196:197], v[184:185], v[8:9]
	v_fma_f64 v[182:183], v[182:183], v[8:9], -v[10:11]
	v_add_f64_e32 v[184:185], 0, v[198:199]
	scratch_load_b128 v[8:11], off, off offset:704
	v_fmac_f64_e32 v[200:201], v[6:7], v[12:13]
	v_fma_f64 v[202:203], v[4:5], v[12:13], -v[14:15]
	ds_load_b128 v[4:7], v2 offset:1552
	s_wait_loadcnt_dscnt 0xb01
	v_mul_f64_e32 v[198:199], v[190:191], v[144:145]
	v_mul_f64_e32 v[144:145], v[192:193], v[144:145]
	scratch_load_b128 v[12:15], off, off offset:720
	v_add_f64_e32 v[194:195], v[194:195], v[196:197]
	v_add_f64_e32 v[204:205], v[184:185], v[182:183]
	ds_load_b128 v[182:185], v2 offset:1568
	s_wait_loadcnt_dscnt 0xb01
	v_mul_f64_e32 v[196:197], v[4:5], v[148:149]
	v_mul_f64_e32 v[148:149], v[6:7], v[148:149]
	v_fmac_f64_e32 v[198:199], v[192:193], v[142:143]
	v_fma_f64 v[190:191], v[190:191], v[142:143], -v[144:145]
	scratch_load_b128 v[142:145], off, off offset:736
	v_add_f64_e32 v[194:195], v[194:195], v[200:201]
	v_add_f64_e32 v[192:193], v[204:205], v[202:203]
	v_fmac_f64_e32 v[196:197], v[6:7], v[146:147]
	v_fma_f64 v[202:203], v[4:5], v[146:147], -v[148:149]
	ds_load_b128 v[4:7], v2 offset:1584
	s_wait_loadcnt_dscnt 0xb01
	v_mul_f64_e32 v[200:201], v[182:183], v[152:153]
	v_mul_f64_e32 v[152:153], v[184:185], v[152:153]
	scratch_load_b128 v[146:149], off, off offset:752
	v_add_f64_e32 v[194:195], v[194:195], v[198:199]
	s_wait_loadcnt_dscnt 0xb00
	v_mul_f64_e32 v[198:199], v[4:5], v[156:157]
	v_add_f64_e32 v[204:205], v[192:193], v[190:191]
	v_mul_f64_e32 v[156:157], v[6:7], v[156:157]
	ds_load_b128 v[190:193], v2 offset:1600
	v_fmac_f64_e32 v[200:201], v[184:185], v[150:151]
	v_fma_f64 v[182:183], v[182:183], v[150:151], -v[152:153]
	scratch_load_b128 v[150:153], off, off offset:768
	v_add_f64_e32 v[194:195], v[194:195], v[196:197]
	v_fmac_f64_e32 v[198:199], v[6:7], v[154:155]
	v_add_f64_e32 v[184:185], v[204:205], v[202:203]
	v_fma_f64 v[202:203], v[4:5], v[154:155], -v[156:157]
	ds_load_b128 v[4:7], v2 offset:1616
	s_wait_loadcnt_dscnt 0xb01
	v_mul_f64_e32 v[196:197], v[190:191], v[160:161]
	v_mul_f64_e32 v[160:161], v[192:193], v[160:161]
	scratch_load_b128 v[154:157], off, off offset:784
	v_add_f64_e32 v[194:195], v[194:195], v[200:201]
	s_wait_loadcnt_dscnt 0xb00
	v_mul_f64_e32 v[200:201], v[4:5], v[164:165]
	v_add_f64_e32 v[204:205], v[184:185], v[182:183]
	v_mul_f64_e32 v[164:165], v[6:7], v[164:165]
	ds_load_b128 v[182:185], v2 offset:1632
	v_fmac_f64_e32 v[196:197], v[192:193], v[158:159]
	v_fma_f64 v[190:191], v[190:191], v[158:159], -v[160:161]
	scratch_load_b128 v[158:161], off, off offset:800
	v_add_f64_e32 v[194:195], v[194:195], v[198:199]
	v_fmac_f64_e32 v[200:201], v[6:7], v[162:163]
	v_add_f64_e32 v[192:193], v[204:205], v[202:203]
	;; [unrolled: 18-line block ×3, first 2 shown]
	v_fma_f64 v[202:203], v[4:5], v[174:175], -v[176:177]
	ds_load_b128 v[4:7], v2 offset:1680
	s_wait_loadcnt_dscnt 0xa01
	v_mul_f64_e32 v[200:201], v[190:191], v[188:189]
	v_mul_f64_e32 v[188:189], v[192:193], v[188:189]
	scratch_load_b128 v[174:177], off, off offset:848
	v_add_f64_e32 v[194:195], v[194:195], v[198:199]
	v_add_f64_e32 v[204:205], v[184:185], v[182:183]
	s_wait_loadcnt_dscnt 0xa00
	v_mul_f64_e32 v[198:199], v[4:5], v[172:173]
	v_mul_f64_e32 v[172:173], v[6:7], v[172:173]
	v_fmac_f64_e32 v[200:201], v[192:193], v[186:187]
	v_fma_f64 v[190:191], v[190:191], v[186:187], -v[188:189]
	ds_load_b128 v[182:185], v2 offset:1696
	scratch_load_b128 v[186:189], off, off offset:864
	v_add_f64_e32 v[194:195], v[194:195], v[196:197]
	v_add_f64_e32 v[192:193], v[204:205], v[202:203]
	v_fmac_f64_e32 v[198:199], v[6:7], v[170:171]
	v_fma_f64 v[202:203], v[4:5], v[170:171], -v[172:173]
	ds_load_b128 v[4:7], v2 offset:1712
	s_wait_loadcnt_dscnt 0xa01
	v_mul_f64_e32 v[196:197], v[182:183], v[10:11]
	v_mul_f64_e32 v[10:11], v[184:185], v[10:11]
	scratch_load_b128 v[170:173], off, off offset:880
	v_add_f64_e32 v[194:195], v[194:195], v[200:201]
	s_wait_loadcnt_dscnt 0xa00
	v_mul_f64_e32 v[200:201], v[4:5], v[14:15]
	v_add_f64_e32 v[204:205], v[192:193], v[190:191]
	v_mul_f64_e32 v[14:15], v[6:7], v[14:15]
	ds_load_b128 v[190:193], v2 offset:1728
	v_fmac_f64_e32 v[196:197], v[184:185], v[8:9]
	v_fma_f64 v[182:183], v[182:183], v[8:9], -v[10:11]
	scratch_load_b128 v[8:11], off, off offset:896
	v_add_f64_e32 v[194:195], v[194:195], v[198:199]
	v_fmac_f64_e32 v[200:201], v[6:7], v[12:13]
	v_add_f64_e32 v[184:185], v[204:205], v[202:203]
	v_fma_f64 v[202:203], v[4:5], v[12:13], -v[14:15]
	ds_load_b128 v[4:7], v2 offset:1744
	s_wait_loadcnt_dscnt 0xa01
	v_mul_f64_e32 v[198:199], v[190:191], v[144:145]
	v_mul_f64_e32 v[144:145], v[192:193], v[144:145]
	scratch_load_b128 v[12:15], off, off offset:912
	v_add_f64_e32 v[194:195], v[194:195], v[196:197]
	s_wait_loadcnt_dscnt 0xa00
	v_mul_f64_e32 v[196:197], v[4:5], v[148:149]
	v_add_f64_e32 v[204:205], v[184:185], v[182:183]
	v_mul_f64_e32 v[148:149], v[6:7], v[148:149]
	ds_load_b128 v[182:185], v2 offset:1760
	v_fmac_f64_e32 v[198:199], v[192:193], v[142:143]
	v_fma_f64 v[190:191], v[190:191], v[142:143], -v[144:145]
	scratch_load_b128 v[142:145], off, off offset:928
	v_add_f64_e32 v[194:195], v[194:195], v[200:201]
	v_fmac_f64_e32 v[196:197], v[6:7], v[146:147]
	v_add_f64_e32 v[192:193], v[204:205], v[202:203]
	;; [unrolled: 18-line block ×3, first 2 shown]
	v_fma_f64 v[202:203], v[4:5], v[154:155], -v[156:157]
	ds_load_b128 v[4:7], v2 offset:1808
	s_wait_loadcnt_dscnt 0xa01
	v_mul_f64_e32 v[196:197], v[190:191], v[160:161]
	v_mul_f64_e32 v[160:161], v[192:193], v[160:161]
	scratch_load_b128 v[154:157], off, off offset:976
	v_add_f64_e32 v[194:195], v[194:195], v[200:201]
	s_wait_loadcnt_dscnt 0xa00
	v_mul_f64_e32 v[200:201], v[4:5], v[164:165]
	v_add_f64_e32 v[204:205], v[184:185], v[182:183]
	v_mul_f64_e32 v[164:165], v[6:7], v[164:165]
	ds_load_b128 v[182:185], v2 offset:1824
	v_fmac_f64_e32 v[196:197], v[192:193], v[158:159]
	v_fma_f64 v[158:159], v[190:191], v[158:159], -v[160:161]
	s_wait_loadcnt_dscnt 0x900
	v_mul_f64_e32 v[192:193], v[182:183], v[168:169]
	v_mul_f64_e32 v[168:169], v[184:185], v[168:169]
	v_add_f64_e32 v[190:191], v[194:195], v[198:199]
	v_fmac_f64_e32 v[200:201], v[6:7], v[162:163]
	v_add_f64_e32 v[160:161], v[204:205], v[202:203]
	v_fma_f64 v[162:163], v[4:5], v[162:163], -v[164:165]
	v_fmac_f64_e32 v[192:193], v[184:185], v[166:167]
	v_fma_f64 v[166:167], v[182:183], v[166:167], -v[168:169]
	v_add_f64_e32 v[190:191], v[190:191], v[196:197]
	v_add_f64_e32 v[164:165], v[160:161], v[158:159]
	ds_load_b128 v[4:7], v2 offset:1840
	ds_load_b128 v[158:161], v2 offset:1856
	s_wait_loadcnt_dscnt 0x801
	v_mul_f64_e32 v[194:195], v[4:5], v[176:177]
	v_mul_f64_e32 v[176:177], v[6:7], v[176:177]
	s_wait_loadcnt_dscnt 0x700
	v_mul_f64_e32 v[168:169], v[158:159], v[188:189]
	v_mul_f64_e32 v[182:183], v[160:161], v[188:189]
	v_add_f64_e32 v[162:163], v[164:165], v[162:163]
	v_add_f64_e32 v[164:165], v[190:191], v[200:201]
	v_fmac_f64_e32 v[194:195], v[6:7], v[174:175]
	v_fma_f64 v[174:175], v[4:5], v[174:175], -v[176:177]
	v_fmac_f64_e32 v[168:169], v[160:161], v[186:187]
	v_fma_f64 v[158:159], v[158:159], v[186:187], -v[182:183]
	v_add_f64_e32 v[166:167], v[162:163], v[166:167]
	v_add_f64_e32 v[176:177], v[164:165], v[192:193]
	ds_load_b128 v[4:7], v2 offset:1872
	ds_load_b128 v[162:165], v2 offset:1888
	s_wait_loadcnt_dscnt 0x601
	v_mul_f64_e32 v[184:185], v[4:5], v[172:173]
	v_mul_f64_e32 v[172:173], v[6:7], v[172:173]
	v_add_f64_e32 v[160:161], v[166:167], v[174:175]
	v_add_f64_e32 v[166:167], v[176:177], v[194:195]
	s_wait_loadcnt_dscnt 0x500
	v_mul_f64_e32 v[174:175], v[162:163], v[10:11]
	v_mul_f64_e32 v[10:11], v[164:165], v[10:11]
	v_fmac_f64_e32 v[184:185], v[6:7], v[170:171]
	v_fma_f64 v[170:171], v[4:5], v[170:171], -v[172:173]
	v_add_f64_e32 v[172:173], v[160:161], v[158:159]
	v_add_f64_e32 v[166:167], v[166:167], v[168:169]
	ds_load_b128 v[4:7], v2 offset:1904
	ds_load_b128 v[158:161], v2 offset:1920
	v_fmac_f64_e32 v[174:175], v[164:165], v[8:9]
	v_fma_f64 v[8:9], v[162:163], v[8:9], -v[10:11]
	s_wait_loadcnt_dscnt 0x401
	v_mul_f64_e32 v[168:169], v[4:5], v[14:15]
	v_mul_f64_e32 v[14:15], v[6:7], v[14:15]
	s_wait_loadcnt_dscnt 0x300
	v_mul_f64_e32 v[164:165], v[158:159], v[144:145]
	v_mul_f64_e32 v[144:145], v[160:161], v[144:145]
	v_add_f64_e32 v[10:11], v[172:173], v[170:171]
	v_add_f64_e32 v[162:163], v[166:167], v[184:185]
	v_fmac_f64_e32 v[168:169], v[6:7], v[12:13]
	v_fma_f64 v[12:13], v[4:5], v[12:13], -v[14:15]
	v_fmac_f64_e32 v[164:165], v[160:161], v[142:143]
	v_fma_f64 v[142:143], v[158:159], v[142:143], -v[144:145]
	v_add_f64_e32 v[14:15], v[10:11], v[8:9]
	v_add_f64_e32 v[162:163], v[162:163], v[174:175]
	ds_load_b128 v[4:7], v2 offset:1936
	ds_load_b128 v[8:11], v2 offset:1952
	s_wait_loadcnt_dscnt 0x201
	v_mul_f64_e32 v[166:167], v[4:5], v[148:149]
	v_mul_f64_e32 v[148:149], v[6:7], v[148:149]
	s_wait_loadcnt_dscnt 0x100
	v_mul_f64_e32 v[144:145], v[8:9], v[152:153]
	v_mul_f64_e32 v[152:153], v[10:11], v[152:153]
	v_add_f64_e32 v[12:13], v[14:15], v[12:13]
	v_add_f64_e32 v[14:15], v[162:163], v[168:169]
	v_fmac_f64_e32 v[166:167], v[6:7], v[146:147]
	v_fma_f64 v[146:147], v[4:5], v[146:147], -v[148:149]
	ds_load_b128 v[4:7], v2 offset:1968
	v_fmac_f64_e32 v[144:145], v[10:11], v[150:151]
	v_fma_f64 v[8:9], v[8:9], v[150:151], -v[152:153]
	v_add_f64_e32 v[12:13], v[12:13], v[142:143]
	v_add_f64_e32 v[14:15], v[14:15], v[164:165]
	s_wait_loadcnt_dscnt 0x0
	v_mul_f64_e32 v[142:143], v[4:5], v[156:157]
	v_mul_f64_e32 v[148:149], v[6:7], v[156:157]
	s_delay_alu instid0(VALU_DEP_4) | instskip(NEXT) | instid1(VALU_DEP_4)
	v_add_f64_e32 v[10:11], v[12:13], v[146:147]
	v_add_f64_e32 v[12:13], v[14:15], v[166:167]
	s_delay_alu instid0(VALU_DEP_4) | instskip(NEXT) | instid1(VALU_DEP_4)
	v_fmac_f64_e32 v[142:143], v[6:7], v[154:155]
	v_fma_f64 v[4:5], v[4:5], v[154:155], -v[148:149]
	s_delay_alu instid0(VALU_DEP_4) | instskip(NEXT) | instid1(VALU_DEP_4)
	v_add_f64_e32 v[6:7], v[10:11], v[8:9]
	v_add_f64_e32 v[8:9], v[12:13], v[144:145]
	s_delay_alu instid0(VALU_DEP_2) | instskip(NEXT) | instid1(VALU_DEP_2)
	v_add_f64_e32 v[4:5], v[6:7], v[4:5]
	v_add_f64_e32 v[6:7], v[8:9], v[142:143]
	s_delay_alu instid0(VALU_DEP_2) | instskip(NEXT) | instid1(VALU_DEP_2)
	v_add_f64_e64 v[4:5], v[178:179], -v[4:5]
	v_add_f64_e64 v[6:7], v[180:181], -v[6:7]
	scratch_store_b128 off, v[4:7], off offset:480
	s_wait_xcnt 0x0
	v_cmpx_lt_u32_e32 29, v1
	s_cbranch_execz .LBB61_339
; %bb.338:
	scratch_load_b128 v[6:9], off, s48
	v_dual_mov_b32 v3, v2 :: v_dual_mov_b32 v4, v2
	v_mov_b32_e32 v5, v2
	scratch_store_b128 off, v[2:5], off offset:464
	s_wait_loadcnt 0x0
	ds_store_b128 v16, v[6:9]
.LBB61_339:
	s_wait_xcnt 0x0
	s_or_b32 exec_lo, exec_lo, s2
	s_wait_storecnt_dscnt 0x0
	s_barrier_signal -1
	s_barrier_wait -1
	s_clause 0x9
	scratch_load_b128 v[4:7], off, off offset:480
	scratch_load_b128 v[8:11], off, off offset:496
	;; [unrolled: 1-line block ×10, first 2 shown]
	ds_load_b128 v[170:173], v2 offset:1472
	ds_load_b128 v[178:181], v2 offset:1488
	s_clause 0x2
	scratch_load_b128 v[174:177], off, off offset:640
	scratch_load_b128 v[182:185], off, off offset:464
	;; [unrolled: 1-line block ×3, first 2 shown]
	s_mov_b32 s2, exec_lo
	s_wait_loadcnt_dscnt 0xc01
	v_mul_f64_e32 v[190:191], v[172:173], v[6:7]
	v_mul_f64_e32 v[194:195], v[170:171], v[6:7]
	s_wait_loadcnt_dscnt 0xb00
	v_mul_f64_e32 v[196:197], v[178:179], v[10:11]
	v_mul_f64_e32 v[10:11], v[180:181], v[10:11]
	s_delay_alu instid0(VALU_DEP_4) | instskip(NEXT) | instid1(VALU_DEP_4)
	v_fma_f64 v[198:199], v[170:171], v[4:5], -v[190:191]
	v_fmac_f64_e32 v[194:195], v[172:173], v[4:5]
	ds_load_b128 v[4:7], v2 offset:1504
	ds_load_b128 v[170:173], v2 offset:1520
	scratch_load_b128 v[190:193], off, off offset:672
	v_fmac_f64_e32 v[196:197], v[180:181], v[8:9]
	v_fma_f64 v[178:179], v[178:179], v[8:9], -v[10:11]
	scratch_load_b128 v[8:11], off, off offset:688
	s_wait_loadcnt_dscnt 0xc01
	v_mul_f64_e32 v[200:201], v[4:5], v[14:15]
	v_mul_f64_e32 v[14:15], v[6:7], v[14:15]
	v_add_f64_e32 v[180:181], 0, v[198:199]
	v_add_f64_e32 v[194:195], 0, v[194:195]
	s_wait_loadcnt_dscnt 0xb00
	v_mul_f64_e32 v[198:199], v[170:171], v[144:145]
	v_mul_f64_e32 v[144:145], v[172:173], v[144:145]
	v_fmac_f64_e32 v[200:201], v[6:7], v[12:13]
	v_fma_f64 v[202:203], v[4:5], v[12:13], -v[14:15]
	ds_load_b128 v[4:7], v2 offset:1536
	ds_load_b128 v[12:15], v2 offset:1552
	v_add_f64_e32 v[204:205], v[180:181], v[178:179]
	v_add_f64_e32 v[194:195], v[194:195], v[196:197]
	scratch_load_b128 v[178:181], off, off offset:704
	v_fmac_f64_e32 v[198:199], v[172:173], v[142:143]
	v_fma_f64 v[170:171], v[170:171], v[142:143], -v[144:145]
	scratch_load_b128 v[142:145], off, off offset:720
	s_wait_loadcnt_dscnt 0xc01
	v_mul_f64_e32 v[196:197], v[4:5], v[148:149]
	v_mul_f64_e32 v[148:149], v[6:7], v[148:149]
	v_add_f64_e32 v[172:173], v[204:205], v[202:203]
	v_add_f64_e32 v[194:195], v[194:195], v[200:201]
	s_wait_loadcnt_dscnt 0xb00
	v_mul_f64_e32 v[200:201], v[12:13], v[152:153]
	v_mul_f64_e32 v[152:153], v[14:15], v[152:153]
	v_fmac_f64_e32 v[196:197], v[6:7], v[146:147]
	v_fma_f64 v[202:203], v[4:5], v[146:147], -v[148:149]
	ds_load_b128 v[4:7], v2 offset:1568
	ds_load_b128 v[146:149], v2 offset:1584
	v_add_f64_e32 v[204:205], v[172:173], v[170:171]
	v_add_f64_e32 v[194:195], v[194:195], v[198:199]
	scratch_load_b128 v[170:173], off, off offset:736
	s_wait_loadcnt_dscnt 0xb01
	v_mul_f64_e32 v[198:199], v[4:5], v[156:157]
	v_mul_f64_e32 v[156:157], v[6:7], v[156:157]
	v_fmac_f64_e32 v[200:201], v[14:15], v[150:151]
	v_fma_f64 v[150:151], v[12:13], v[150:151], -v[152:153]
	scratch_load_b128 v[12:15], off, off offset:752
	v_add_f64_e32 v[152:153], v[204:205], v[202:203]
	v_add_f64_e32 v[194:195], v[194:195], v[196:197]
	s_wait_loadcnt_dscnt 0xb00
	v_mul_f64_e32 v[196:197], v[146:147], v[160:161]
	v_mul_f64_e32 v[160:161], v[148:149], v[160:161]
	v_fmac_f64_e32 v[198:199], v[6:7], v[154:155]
	v_fma_f64 v[202:203], v[4:5], v[154:155], -v[156:157]
	v_add_f64_e32 v[204:205], v[152:153], v[150:151]
	v_add_f64_e32 v[194:195], v[194:195], v[200:201]
	ds_load_b128 v[4:7], v2 offset:1600
	ds_load_b128 v[150:153], v2 offset:1616
	scratch_load_b128 v[154:157], off, off offset:768
	v_fmac_f64_e32 v[196:197], v[148:149], v[158:159]
	v_fma_f64 v[158:159], v[146:147], v[158:159], -v[160:161]
	scratch_load_b128 v[146:149], off, off offset:784
	s_wait_loadcnt_dscnt 0xc01
	v_mul_f64_e32 v[200:201], v[4:5], v[164:165]
	v_mul_f64_e32 v[164:165], v[6:7], v[164:165]
	v_add_f64_e32 v[160:161], v[204:205], v[202:203]
	v_add_f64_e32 v[194:195], v[194:195], v[198:199]
	s_wait_loadcnt_dscnt 0xb00
	v_mul_f64_e32 v[198:199], v[150:151], v[168:169]
	v_mul_f64_e32 v[168:169], v[152:153], v[168:169]
	v_fmac_f64_e32 v[200:201], v[6:7], v[162:163]
	v_fma_f64 v[202:203], v[4:5], v[162:163], -v[164:165]
	v_add_f64_e32 v[204:205], v[160:161], v[158:159]
	v_add_f64_e32 v[194:195], v[194:195], v[196:197]
	ds_load_b128 v[4:7], v2 offset:1632
	ds_load_b128 v[158:161], v2 offset:1648
	scratch_load_b128 v[162:165], off, off offset:800
	v_fmac_f64_e32 v[198:199], v[152:153], v[166:167]
	v_fma_f64 v[166:167], v[150:151], v[166:167], -v[168:169]
	scratch_load_b128 v[150:153], off, off offset:816
	s_wait_loadcnt_dscnt 0xc01
	v_mul_f64_e32 v[196:197], v[4:5], v[176:177]
	v_mul_f64_e32 v[176:177], v[6:7], v[176:177]
	;; [unrolled: 18-line block ×5, first 2 shown]
	v_add_f64_e32 v[188:189], v[204:205], v[202:203]
	v_add_f64_e32 v[194:195], v[194:195], v[200:201]
	s_wait_loadcnt_dscnt 0xa00
	v_mul_f64_e32 v[200:201], v[166:167], v[14:15]
	v_mul_f64_e32 v[14:15], v[168:169], v[14:15]
	v_fmac_f64_e32 v[196:197], v[6:7], v[170:171]
	v_fma_f64 v[202:203], v[4:5], v[170:171], -v[172:173]
	ds_load_b128 v[4:7], v2 offset:1760
	ds_load_b128 v[170:173], v2 offset:1776
	v_add_f64_e32 v[204:205], v[188:189], v[186:187]
	v_add_f64_e32 v[194:195], v[194:195], v[198:199]
	scratch_load_b128 v[186:189], off, off offset:928
	v_fmac_f64_e32 v[200:201], v[168:169], v[12:13]
	v_fma_f64 v[166:167], v[166:167], v[12:13], -v[14:15]
	scratch_load_b128 v[12:15], off, off offset:944
	s_wait_loadcnt_dscnt 0xb01
	v_mul_f64_e32 v[198:199], v[4:5], v[156:157]
	v_mul_f64_e32 v[156:157], v[6:7], v[156:157]
	v_add_f64_e32 v[168:169], v[204:205], v[202:203]
	v_add_f64_e32 v[194:195], v[194:195], v[196:197]
	s_wait_loadcnt_dscnt 0xa00
	v_mul_f64_e32 v[196:197], v[170:171], v[148:149]
	v_mul_f64_e32 v[148:149], v[172:173], v[148:149]
	v_fmac_f64_e32 v[198:199], v[6:7], v[154:155]
	v_fma_f64 v[202:203], v[4:5], v[154:155], -v[156:157]
	ds_load_b128 v[4:7], v2 offset:1792
	ds_load_b128 v[154:157], v2 offset:1808
	v_add_f64_e32 v[204:205], v[168:169], v[166:167]
	v_add_f64_e32 v[194:195], v[194:195], v[200:201]
	scratch_load_b128 v[166:169], off, off offset:960
	s_wait_loadcnt_dscnt 0xa01
	v_mul_f64_e32 v[200:201], v[4:5], v[164:165]
	v_mul_f64_e32 v[164:165], v[6:7], v[164:165]
	v_fmac_f64_e32 v[196:197], v[172:173], v[146:147]
	v_fma_f64 v[170:171], v[170:171], v[146:147], -v[148:149]
	scratch_load_b128 v[146:149], off, off offset:976
	v_add_f64_e32 v[172:173], v[204:205], v[202:203]
	v_add_f64_e32 v[194:195], v[194:195], v[198:199]
	s_wait_loadcnt_dscnt 0xa00
	v_mul_f64_e32 v[198:199], v[154:155], v[152:153]
	v_mul_f64_e32 v[152:153], v[156:157], v[152:153]
	v_fmac_f64_e32 v[200:201], v[6:7], v[162:163]
	v_fma_f64 v[202:203], v[4:5], v[162:163], -v[164:165]
	ds_load_b128 v[4:7], v2 offset:1824
	ds_load_b128 v[162:165], v2 offset:1840
	v_add_f64_e32 v[170:171], v[172:173], v[170:171]
	v_add_f64_e32 v[172:173], v[194:195], v[196:197]
	v_fmac_f64_e32 v[198:199], v[156:157], v[150:151]
	s_wait_loadcnt_dscnt 0x901
	v_mul_f64_e32 v[194:195], v[4:5], v[176:177]
	v_mul_f64_e32 v[176:177], v[6:7], v[176:177]
	v_fma_f64 v[150:151], v[154:155], v[150:151], -v[152:153]
	s_wait_loadcnt_dscnt 0x800
	v_mul_f64_e32 v[156:157], v[162:163], v[160:161]
	v_mul_f64_e32 v[160:161], v[164:165], v[160:161]
	v_add_f64_e32 v[152:153], v[170:171], v[202:203]
	v_add_f64_e32 v[154:155], v[172:173], v[200:201]
	v_fmac_f64_e32 v[194:195], v[6:7], v[174:175]
	v_fma_f64 v[170:171], v[4:5], v[174:175], -v[176:177]
	v_fmac_f64_e32 v[156:157], v[164:165], v[158:159]
	v_fma_f64 v[158:159], v[162:163], v[158:159], -v[160:161]
	v_add_f64_e32 v[172:173], v[152:153], v[150:151]
	v_add_f64_e32 v[154:155], v[154:155], v[198:199]
	ds_load_b128 v[4:7], v2 offset:1856
	ds_load_b128 v[150:153], v2 offset:1872
	s_wait_loadcnt_dscnt 0x701
	v_mul_f64_e32 v[174:175], v[4:5], v[192:193]
	v_mul_f64_e32 v[176:177], v[6:7], v[192:193]
	s_wait_loadcnt_dscnt 0x600
	v_mul_f64_e32 v[162:163], v[150:151], v[10:11]
	v_mul_f64_e32 v[10:11], v[152:153], v[10:11]
	v_add_f64_e32 v[160:161], v[172:173], v[170:171]
	v_add_f64_e32 v[154:155], v[154:155], v[194:195]
	v_fmac_f64_e32 v[174:175], v[6:7], v[190:191]
	v_fma_f64 v[164:165], v[4:5], v[190:191], -v[176:177]
	v_fmac_f64_e32 v[162:163], v[152:153], v[8:9]
	v_fma_f64 v[8:9], v[150:151], v[8:9], -v[10:11]
	v_add_f64_e32 v[158:159], v[160:161], v[158:159]
	v_add_f64_e32 v[160:161], v[154:155], v[156:157]
	ds_load_b128 v[4:7], v2 offset:1888
	ds_load_b128 v[154:157], v2 offset:1904
	s_wait_loadcnt_dscnt 0x501
	v_mul_f64_e32 v[170:171], v[4:5], v[180:181]
	v_mul_f64_e32 v[172:173], v[6:7], v[180:181]
	;; [unrolled: 16-line block ×4, first 2 shown]
	s_wait_loadcnt_dscnt 0x0
	v_mul_f64_e32 v[14:15], v[142:143], v[148:149]
	v_mul_f64_e32 v[148:149], v[144:145], v[148:149]
	v_add_f64_e32 v[10:11], v[158:159], v[156:157]
	v_add_f64_e32 v[12:13], v[150:151], v[162:163]
	v_fmac_f64_e32 v[2:3], v[6:7], v[166:167]
	v_fma_f64 v[4:5], v[4:5], v[166:167], -v[152:153]
	v_fmac_f64_e32 v[14:15], v[144:145], v[146:147]
	v_add_f64_e32 v[6:7], v[10:11], v[8:9]
	v_add_f64_e32 v[8:9], v[12:13], v[154:155]
	v_fma_f64 v[10:11], v[142:143], v[146:147], -v[148:149]
	s_delay_alu instid0(VALU_DEP_3) | instskip(NEXT) | instid1(VALU_DEP_3)
	v_add_f64_e32 v[4:5], v[6:7], v[4:5]
	v_add_f64_e32 v[2:3], v[8:9], v[2:3]
	s_delay_alu instid0(VALU_DEP_2) | instskip(NEXT) | instid1(VALU_DEP_2)
	v_add_f64_e32 v[4:5], v[4:5], v[10:11]
	v_add_f64_e32 v[6:7], v[2:3], v[14:15]
	s_delay_alu instid0(VALU_DEP_2) | instskip(NEXT) | instid1(VALU_DEP_2)
	v_add_f64_e64 v[2:3], v[182:183], -v[4:5]
	v_add_f64_e64 v[4:5], v[184:185], -v[6:7]
	scratch_store_b128 off, v[2:5], off offset:464
	s_wait_xcnt 0x0
	v_cmpx_lt_u32_e32 28, v1
	s_cbranch_execz .LBB61_341
; %bb.340:
	scratch_load_b128 v[2:5], off, s46
	v_mov_b32_e32 v6, 0
	s_delay_alu instid0(VALU_DEP_1)
	v_dual_mov_b32 v7, v6 :: v_dual_mov_b32 v8, v6
	v_mov_b32_e32 v9, v6
	scratch_store_b128 off, v[6:9], off offset:448
	s_wait_loadcnt 0x0
	ds_store_b128 v16, v[2:5]
.LBB61_341:
	s_wait_xcnt 0x0
	s_or_b32 exec_lo, exec_lo, s2
	s_wait_storecnt_dscnt 0x0
	s_barrier_signal -1
	s_barrier_wait -1
	s_clause 0x9
	scratch_load_b128 v[4:7], off, off offset:464
	scratch_load_b128 v[8:11], off, off offset:480
	;; [unrolled: 1-line block ×10, first 2 shown]
	v_mov_b32_e32 v2, 0
	s_mov_b32 s2, exec_lo
	ds_load_b128 v[170:173], v2 offset:1456
	s_clause 0x2
	scratch_load_b128 v[174:177], off, off offset:624
	scratch_load_b128 v[178:181], off, off offset:448
	scratch_load_b128 v[186:189], off, off offset:640
	s_wait_loadcnt_dscnt 0xc00
	v_mul_f64_e32 v[190:191], v[172:173], v[6:7]
	v_mul_f64_e32 v[194:195], v[170:171], v[6:7]
	ds_load_b128 v[182:185], v2 offset:1472
	v_fma_f64 v[198:199], v[170:171], v[4:5], -v[190:191]
	v_fmac_f64_e32 v[194:195], v[172:173], v[4:5]
	ds_load_b128 v[4:7], v2 offset:1488
	s_wait_loadcnt_dscnt 0xb01
	v_mul_f64_e32 v[196:197], v[182:183], v[10:11]
	v_mul_f64_e32 v[10:11], v[184:185], v[10:11]
	scratch_load_b128 v[170:173], off, off offset:656
	ds_load_b128 v[190:193], v2 offset:1504
	s_wait_loadcnt_dscnt 0xb01
	v_mul_f64_e32 v[200:201], v[4:5], v[14:15]
	v_mul_f64_e32 v[14:15], v[6:7], v[14:15]
	v_add_f64_e32 v[194:195], 0, v[194:195]
	v_fmac_f64_e32 v[196:197], v[184:185], v[8:9]
	v_fma_f64 v[182:183], v[182:183], v[8:9], -v[10:11]
	v_add_f64_e32 v[184:185], 0, v[198:199]
	scratch_load_b128 v[8:11], off, off offset:672
	v_fmac_f64_e32 v[200:201], v[6:7], v[12:13]
	v_fma_f64 v[202:203], v[4:5], v[12:13], -v[14:15]
	ds_load_b128 v[4:7], v2 offset:1520
	s_wait_loadcnt_dscnt 0xb01
	v_mul_f64_e32 v[198:199], v[190:191], v[144:145]
	v_mul_f64_e32 v[144:145], v[192:193], v[144:145]
	scratch_load_b128 v[12:15], off, off offset:688
	v_add_f64_e32 v[194:195], v[194:195], v[196:197]
	v_add_f64_e32 v[204:205], v[184:185], v[182:183]
	ds_load_b128 v[182:185], v2 offset:1536
	s_wait_loadcnt_dscnt 0xb01
	v_mul_f64_e32 v[196:197], v[4:5], v[148:149]
	v_mul_f64_e32 v[148:149], v[6:7], v[148:149]
	v_fmac_f64_e32 v[198:199], v[192:193], v[142:143]
	v_fma_f64 v[190:191], v[190:191], v[142:143], -v[144:145]
	scratch_load_b128 v[142:145], off, off offset:704
	v_add_f64_e32 v[194:195], v[194:195], v[200:201]
	v_add_f64_e32 v[192:193], v[204:205], v[202:203]
	v_fmac_f64_e32 v[196:197], v[6:7], v[146:147]
	v_fma_f64 v[202:203], v[4:5], v[146:147], -v[148:149]
	ds_load_b128 v[4:7], v2 offset:1552
	s_wait_loadcnt_dscnt 0xb01
	v_mul_f64_e32 v[200:201], v[182:183], v[152:153]
	v_mul_f64_e32 v[152:153], v[184:185], v[152:153]
	scratch_load_b128 v[146:149], off, off offset:720
	v_add_f64_e32 v[194:195], v[194:195], v[198:199]
	s_wait_loadcnt_dscnt 0xb00
	v_mul_f64_e32 v[198:199], v[4:5], v[156:157]
	v_add_f64_e32 v[204:205], v[192:193], v[190:191]
	v_mul_f64_e32 v[156:157], v[6:7], v[156:157]
	ds_load_b128 v[190:193], v2 offset:1568
	v_fmac_f64_e32 v[200:201], v[184:185], v[150:151]
	v_fma_f64 v[182:183], v[182:183], v[150:151], -v[152:153]
	scratch_load_b128 v[150:153], off, off offset:736
	v_add_f64_e32 v[194:195], v[194:195], v[196:197]
	v_fmac_f64_e32 v[198:199], v[6:7], v[154:155]
	v_add_f64_e32 v[184:185], v[204:205], v[202:203]
	v_fma_f64 v[202:203], v[4:5], v[154:155], -v[156:157]
	ds_load_b128 v[4:7], v2 offset:1584
	s_wait_loadcnt_dscnt 0xb01
	v_mul_f64_e32 v[196:197], v[190:191], v[160:161]
	v_mul_f64_e32 v[160:161], v[192:193], v[160:161]
	scratch_load_b128 v[154:157], off, off offset:752
	v_add_f64_e32 v[194:195], v[194:195], v[200:201]
	s_wait_loadcnt_dscnt 0xb00
	v_mul_f64_e32 v[200:201], v[4:5], v[164:165]
	v_add_f64_e32 v[204:205], v[184:185], v[182:183]
	v_mul_f64_e32 v[164:165], v[6:7], v[164:165]
	ds_load_b128 v[182:185], v2 offset:1600
	v_fmac_f64_e32 v[196:197], v[192:193], v[158:159]
	v_fma_f64 v[190:191], v[190:191], v[158:159], -v[160:161]
	scratch_load_b128 v[158:161], off, off offset:768
	v_add_f64_e32 v[194:195], v[194:195], v[198:199]
	v_fmac_f64_e32 v[200:201], v[6:7], v[162:163]
	v_add_f64_e32 v[192:193], v[204:205], v[202:203]
	;; [unrolled: 18-line block ×3, first 2 shown]
	v_fma_f64 v[202:203], v[4:5], v[174:175], -v[176:177]
	ds_load_b128 v[4:7], v2 offset:1648
	s_wait_loadcnt_dscnt 0xa01
	v_mul_f64_e32 v[200:201], v[190:191], v[188:189]
	v_mul_f64_e32 v[188:189], v[192:193], v[188:189]
	scratch_load_b128 v[174:177], off, off offset:816
	v_add_f64_e32 v[194:195], v[194:195], v[198:199]
	v_add_f64_e32 v[204:205], v[184:185], v[182:183]
	s_wait_loadcnt_dscnt 0xa00
	v_mul_f64_e32 v[198:199], v[4:5], v[172:173]
	v_mul_f64_e32 v[172:173], v[6:7], v[172:173]
	v_fmac_f64_e32 v[200:201], v[192:193], v[186:187]
	v_fma_f64 v[190:191], v[190:191], v[186:187], -v[188:189]
	ds_load_b128 v[182:185], v2 offset:1664
	scratch_load_b128 v[186:189], off, off offset:832
	v_add_f64_e32 v[194:195], v[194:195], v[196:197]
	v_add_f64_e32 v[192:193], v[204:205], v[202:203]
	v_fmac_f64_e32 v[198:199], v[6:7], v[170:171]
	v_fma_f64 v[202:203], v[4:5], v[170:171], -v[172:173]
	ds_load_b128 v[4:7], v2 offset:1680
	s_wait_loadcnt_dscnt 0xa01
	v_mul_f64_e32 v[196:197], v[182:183], v[10:11]
	v_mul_f64_e32 v[10:11], v[184:185], v[10:11]
	scratch_load_b128 v[170:173], off, off offset:848
	v_add_f64_e32 v[194:195], v[194:195], v[200:201]
	s_wait_loadcnt_dscnt 0xa00
	v_mul_f64_e32 v[200:201], v[4:5], v[14:15]
	v_add_f64_e32 v[204:205], v[192:193], v[190:191]
	v_mul_f64_e32 v[14:15], v[6:7], v[14:15]
	ds_load_b128 v[190:193], v2 offset:1696
	v_fmac_f64_e32 v[196:197], v[184:185], v[8:9]
	v_fma_f64 v[182:183], v[182:183], v[8:9], -v[10:11]
	scratch_load_b128 v[8:11], off, off offset:864
	v_add_f64_e32 v[194:195], v[194:195], v[198:199]
	v_fmac_f64_e32 v[200:201], v[6:7], v[12:13]
	v_add_f64_e32 v[184:185], v[204:205], v[202:203]
	v_fma_f64 v[202:203], v[4:5], v[12:13], -v[14:15]
	ds_load_b128 v[4:7], v2 offset:1712
	s_wait_loadcnt_dscnt 0xa01
	v_mul_f64_e32 v[198:199], v[190:191], v[144:145]
	v_mul_f64_e32 v[144:145], v[192:193], v[144:145]
	scratch_load_b128 v[12:15], off, off offset:880
	v_add_f64_e32 v[194:195], v[194:195], v[196:197]
	s_wait_loadcnt_dscnt 0xa00
	v_mul_f64_e32 v[196:197], v[4:5], v[148:149]
	v_add_f64_e32 v[204:205], v[184:185], v[182:183]
	v_mul_f64_e32 v[148:149], v[6:7], v[148:149]
	ds_load_b128 v[182:185], v2 offset:1728
	v_fmac_f64_e32 v[198:199], v[192:193], v[142:143]
	v_fma_f64 v[190:191], v[190:191], v[142:143], -v[144:145]
	scratch_load_b128 v[142:145], off, off offset:896
	v_add_f64_e32 v[194:195], v[194:195], v[200:201]
	v_fmac_f64_e32 v[196:197], v[6:7], v[146:147]
	v_add_f64_e32 v[192:193], v[204:205], v[202:203]
	;; [unrolled: 18-line block ×4, first 2 shown]
	v_fma_f64 v[202:203], v[4:5], v[162:163], -v[164:165]
	ds_load_b128 v[4:7], v2 offset:1808
	s_wait_loadcnt_dscnt 0xa01
	v_mul_f64_e32 v[198:199], v[182:183], v[168:169]
	v_mul_f64_e32 v[168:169], v[184:185], v[168:169]
	scratch_load_b128 v[162:165], off, off offset:976
	v_add_f64_e32 v[194:195], v[194:195], v[196:197]
	s_wait_loadcnt_dscnt 0xa00
	v_mul_f64_e32 v[196:197], v[4:5], v[176:177]
	v_add_f64_e32 v[204:205], v[192:193], v[190:191]
	v_mul_f64_e32 v[176:177], v[6:7], v[176:177]
	ds_load_b128 v[190:193], v2 offset:1824
	v_fmac_f64_e32 v[198:199], v[184:185], v[166:167]
	v_fma_f64 v[166:167], v[182:183], v[166:167], -v[168:169]
	s_wait_loadcnt_dscnt 0x900
	v_mul_f64_e32 v[184:185], v[190:191], v[188:189]
	v_mul_f64_e32 v[188:189], v[192:193], v[188:189]
	v_add_f64_e32 v[182:183], v[194:195], v[200:201]
	v_fmac_f64_e32 v[196:197], v[6:7], v[174:175]
	v_add_f64_e32 v[168:169], v[204:205], v[202:203]
	v_fma_f64 v[174:175], v[4:5], v[174:175], -v[176:177]
	v_fmac_f64_e32 v[184:185], v[192:193], v[186:187]
	v_fma_f64 v[186:187], v[190:191], v[186:187], -v[188:189]
	v_add_f64_e32 v[182:183], v[182:183], v[198:199]
	v_add_f64_e32 v[176:177], v[168:169], v[166:167]
	ds_load_b128 v[4:7], v2 offset:1840
	ds_load_b128 v[166:169], v2 offset:1856
	s_wait_loadcnt_dscnt 0x801
	v_mul_f64_e32 v[194:195], v[4:5], v[172:173]
	v_mul_f64_e32 v[172:173], v[6:7], v[172:173]
	v_add_f64_e32 v[174:175], v[176:177], v[174:175]
	v_add_f64_e32 v[176:177], v[182:183], v[196:197]
	s_wait_loadcnt_dscnt 0x700
	v_mul_f64_e32 v[182:183], v[166:167], v[10:11]
	v_mul_f64_e32 v[10:11], v[168:169], v[10:11]
	v_fmac_f64_e32 v[194:195], v[6:7], v[170:171]
	v_fma_f64 v[188:189], v[4:5], v[170:171], -v[172:173]
	ds_load_b128 v[4:7], v2 offset:1872
	ds_load_b128 v[170:173], v2 offset:1888
	v_add_f64_e32 v[174:175], v[174:175], v[186:187]
	v_add_f64_e32 v[176:177], v[176:177], v[184:185]
	v_fmac_f64_e32 v[182:183], v[168:169], v[8:9]
	v_fma_f64 v[8:9], v[166:167], v[8:9], -v[10:11]
	s_wait_loadcnt_dscnt 0x601
	v_mul_f64_e32 v[184:185], v[4:5], v[14:15]
	v_mul_f64_e32 v[14:15], v[6:7], v[14:15]
	s_wait_loadcnt_dscnt 0x500
	v_mul_f64_e32 v[168:169], v[170:171], v[144:145]
	v_mul_f64_e32 v[144:145], v[172:173], v[144:145]
	v_add_f64_e32 v[10:11], v[174:175], v[188:189]
	v_add_f64_e32 v[166:167], v[176:177], v[194:195]
	v_fmac_f64_e32 v[184:185], v[6:7], v[12:13]
	v_fma_f64 v[12:13], v[4:5], v[12:13], -v[14:15]
	v_fmac_f64_e32 v[168:169], v[172:173], v[142:143]
	v_fma_f64 v[142:143], v[170:171], v[142:143], -v[144:145]
	v_add_f64_e32 v[14:15], v[10:11], v[8:9]
	v_add_f64_e32 v[166:167], v[166:167], v[182:183]
	ds_load_b128 v[4:7], v2 offset:1904
	ds_load_b128 v[8:11], v2 offset:1920
	s_wait_loadcnt_dscnt 0x401
	v_mul_f64_e32 v[174:175], v[4:5], v[148:149]
	v_mul_f64_e32 v[148:149], v[6:7], v[148:149]
	s_wait_loadcnt_dscnt 0x300
	v_mul_f64_e32 v[144:145], v[8:9], v[152:153]
	v_mul_f64_e32 v[152:153], v[10:11], v[152:153]
	v_add_f64_e32 v[12:13], v[14:15], v[12:13]
	v_add_f64_e32 v[14:15], v[166:167], v[184:185]
	v_fmac_f64_e32 v[174:175], v[6:7], v[146:147]
	v_fma_f64 v[146:147], v[4:5], v[146:147], -v[148:149]
	v_fmac_f64_e32 v[144:145], v[10:11], v[150:151]
	v_fma_f64 v[8:9], v[8:9], v[150:151], -v[152:153]
	v_add_f64_e32 v[142:143], v[12:13], v[142:143]
	v_add_f64_e32 v[148:149], v[14:15], v[168:169]
	ds_load_b128 v[4:7], v2 offset:1936
	ds_load_b128 v[12:15], v2 offset:1952
	s_wait_loadcnt_dscnt 0x201
	v_mul_f64_e32 v[166:167], v[4:5], v[156:157]
	v_mul_f64_e32 v[156:157], v[6:7], v[156:157]
	v_add_f64_e32 v[10:11], v[142:143], v[146:147]
	v_add_f64_e32 v[142:143], v[148:149], v[174:175]
	s_wait_loadcnt_dscnt 0x100
	v_mul_f64_e32 v[146:147], v[12:13], v[160:161]
	v_mul_f64_e32 v[148:149], v[14:15], v[160:161]
	v_fmac_f64_e32 v[166:167], v[6:7], v[154:155]
	v_fma_f64 v[150:151], v[4:5], v[154:155], -v[156:157]
	ds_load_b128 v[4:7], v2 offset:1968
	v_add_f64_e32 v[8:9], v[10:11], v[8:9]
	v_add_f64_e32 v[10:11], v[142:143], v[144:145]
	v_fmac_f64_e32 v[146:147], v[14:15], v[158:159]
	v_fma_f64 v[12:13], v[12:13], v[158:159], -v[148:149]
	s_wait_loadcnt_dscnt 0x0
	v_mul_f64_e32 v[142:143], v[4:5], v[164:165]
	v_mul_f64_e32 v[144:145], v[6:7], v[164:165]
	v_add_f64_e32 v[8:9], v[8:9], v[150:151]
	v_add_f64_e32 v[10:11], v[10:11], v[166:167]
	s_delay_alu instid0(VALU_DEP_4) | instskip(NEXT) | instid1(VALU_DEP_4)
	v_fmac_f64_e32 v[142:143], v[6:7], v[162:163]
	v_fma_f64 v[4:5], v[4:5], v[162:163], -v[144:145]
	s_delay_alu instid0(VALU_DEP_4) | instskip(NEXT) | instid1(VALU_DEP_4)
	v_add_f64_e32 v[6:7], v[8:9], v[12:13]
	v_add_f64_e32 v[8:9], v[10:11], v[146:147]
	s_delay_alu instid0(VALU_DEP_2) | instskip(NEXT) | instid1(VALU_DEP_2)
	v_add_f64_e32 v[4:5], v[6:7], v[4:5]
	v_add_f64_e32 v[6:7], v[8:9], v[142:143]
	s_delay_alu instid0(VALU_DEP_2) | instskip(NEXT) | instid1(VALU_DEP_2)
	v_add_f64_e64 v[4:5], v[178:179], -v[4:5]
	v_add_f64_e64 v[6:7], v[180:181], -v[6:7]
	scratch_store_b128 off, v[4:7], off offset:448
	s_wait_xcnt 0x0
	v_cmpx_lt_u32_e32 27, v1
	s_cbranch_execz .LBB61_343
; %bb.342:
	scratch_load_b128 v[6:9], off, s44
	v_dual_mov_b32 v3, v2 :: v_dual_mov_b32 v4, v2
	v_mov_b32_e32 v5, v2
	scratch_store_b128 off, v[2:5], off offset:432
	s_wait_loadcnt 0x0
	ds_store_b128 v16, v[6:9]
.LBB61_343:
	s_wait_xcnt 0x0
	s_or_b32 exec_lo, exec_lo, s2
	s_wait_storecnt_dscnt 0x0
	s_barrier_signal -1
	s_barrier_wait -1
	s_clause 0x9
	scratch_load_b128 v[4:7], off, off offset:448
	scratch_load_b128 v[8:11], off, off offset:464
	;; [unrolled: 1-line block ×10, first 2 shown]
	ds_load_b128 v[170:173], v2 offset:1440
	ds_load_b128 v[178:181], v2 offset:1456
	s_clause 0x2
	scratch_load_b128 v[174:177], off, off offset:608
	scratch_load_b128 v[182:185], off, off offset:432
	;; [unrolled: 1-line block ×3, first 2 shown]
	s_mov_b32 s2, exec_lo
	s_wait_loadcnt_dscnt 0xc01
	v_mul_f64_e32 v[190:191], v[172:173], v[6:7]
	v_mul_f64_e32 v[194:195], v[170:171], v[6:7]
	s_wait_loadcnt_dscnt 0xb00
	v_mul_f64_e32 v[196:197], v[178:179], v[10:11]
	v_mul_f64_e32 v[10:11], v[180:181], v[10:11]
	s_delay_alu instid0(VALU_DEP_4) | instskip(NEXT) | instid1(VALU_DEP_4)
	v_fma_f64 v[198:199], v[170:171], v[4:5], -v[190:191]
	v_fmac_f64_e32 v[194:195], v[172:173], v[4:5]
	ds_load_b128 v[4:7], v2 offset:1472
	ds_load_b128 v[170:173], v2 offset:1488
	scratch_load_b128 v[190:193], off, off offset:640
	v_fmac_f64_e32 v[196:197], v[180:181], v[8:9]
	v_fma_f64 v[178:179], v[178:179], v[8:9], -v[10:11]
	scratch_load_b128 v[8:11], off, off offset:656
	s_wait_loadcnt_dscnt 0xc01
	v_mul_f64_e32 v[200:201], v[4:5], v[14:15]
	v_mul_f64_e32 v[14:15], v[6:7], v[14:15]
	v_add_f64_e32 v[180:181], 0, v[198:199]
	v_add_f64_e32 v[194:195], 0, v[194:195]
	s_wait_loadcnt_dscnt 0xb00
	v_mul_f64_e32 v[198:199], v[170:171], v[144:145]
	v_mul_f64_e32 v[144:145], v[172:173], v[144:145]
	v_fmac_f64_e32 v[200:201], v[6:7], v[12:13]
	v_fma_f64 v[202:203], v[4:5], v[12:13], -v[14:15]
	ds_load_b128 v[4:7], v2 offset:1504
	ds_load_b128 v[12:15], v2 offset:1520
	v_add_f64_e32 v[204:205], v[180:181], v[178:179]
	v_add_f64_e32 v[194:195], v[194:195], v[196:197]
	scratch_load_b128 v[178:181], off, off offset:672
	v_fmac_f64_e32 v[198:199], v[172:173], v[142:143]
	v_fma_f64 v[170:171], v[170:171], v[142:143], -v[144:145]
	scratch_load_b128 v[142:145], off, off offset:688
	s_wait_loadcnt_dscnt 0xc01
	v_mul_f64_e32 v[196:197], v[4:5], v[148:149]
	v_mul_f64_e32 v[148:149], v[6:7], v[148:149]
	v_add_f64_e32 v[172:173], v[204:205], v[202:203]
	v_add_f64_e32 v[194:195], v[194:195], v[200:201]
	s_wait_loadcnt_dscnt 0xb00
	v_mul_f64_e32 v[200:201], v[12:13], v[152:153]
	v_mul_f64_e32 v[152:153], v[14:15], v[152:153]
	v_fmac_f64_e32 v[196:197], v[6:7], v[146:147]
	v_fma_f64 v[202:203], v[4:5], v[146:147], -v[148:149]
	ds_load_b128 v[4:7], v2 offset:1536
	ds_load_b128 v[146:149], v2 offset:1552
	v_add_f64_e32 v[204:205], v[172:173], v[170:171]
	v_add_f64_e32 v[194:195], v[194:195], v[198:199]
	scratch_load_b128 v[170:173], off, off offset:704
	s_wait_loadcnt_dscnt 0xb01
	v_mul_f64_e32 v[198:199], v[4:5], v[156:157]
	v_mul_f64_e32 v[156:157], v[6:7], v[156:157]
	v_fmac_f64_e32 v[200:201], v[14:15], v[150:151]
	v_fma_f64 v[150:151], v[12:13], v[150:151], -v[152:153]
	scratch_load_b128 v[12:15], off, off offset:720
	v_add_f64_e32 v[152:153], v[204:205], v[202:203]
	v_add_f64_e32 v[194:195], v[194:195], v[196:197]
	s_wait_loadcnt_dscnt 0xb00
	v_mul_f64_e32 v[196:197], v[146:147], v[160:161]
	v_mul_f64_e32 v[160:161], v[148:149], v[160:161]
	v_fmac_f64_e32 v[198:199], v[6:7], v[154:155]
	v_fma_f64 v[202:203], v[4:5], v[154:155], -v[156:157]
	v_add_f64_e32 v[204:205], v[152:153], v[150:151]
	v_add_f64_e32 v[194:195], v[194:195], v[200:201]
	ds_load_b128 v[4:7], v2 offset:1568
	ds_load_b128 v[150:153], v2 offset:1584
	scratch_load_b128 v[154:157], off, off offset:736
	v_fmac_f64_e32 v[196:197], v[148:149], v[158:159]
	v_fma_f64 v[158:159], v[146:147], v[158:159], -v[160:161]
	scratch_load_b128 v[146:149], off, off offset:752
	s_wait_loadcnt_dscnt 0xc01
	v_mul_f64_e32 v[200:201], v[4:5], v[164:165]
	v_mul_f64_e32 v[164:165], v[6:7], v[164:165]
	v_add_f64_e32 v[160:161], v[204:205], v[202:203]
	v_add_f64_e32 v[194:195], v[194:195], v[198:199]
	s_wait_loadcnt_dscnt 0xb00
	v_mul_f64_e32 v[198:199], v[150:151], v[168:169]
	v_mul_f64_e32 v[168:169], v[152:153], v[168:169]
	v_fmac_f64_e32 v[200:201], v[6:7], v[162:163]
	v_fma_f64 v[202:203], v[4:5], v[162:163], -v[164:165]
	v_add_f64_e32 v[204:205], v[160:161], v[158:159]
	v_add_f64_e32 v[194:195], v[194:195], v[196:197]
	ds_load_b128 v[4:7], v2 offset:1600
	ds_load_b128 v[158:161], v2 offset:1616
	scratch_load_b128 v[162:165], off, off offset:768
	v_fmac_f64_e32 v[198:199], v[152:153], v[166:167]
	v_fma_f64 v[166:167], v[150:151], v[166:167], -v[168:169]
	scratch_load_b128 v[150:153], off, off offset:784
	s_wait_loadcnt_dscnt 0xc01
	v_mul_f64_e32 v[196:197], v[4:5], v[176:177]
	v_mul_f64_e32 v[176:177], v[6:7], v[176:177]
	;; [unrolled: 18-line block ×5, first 2 shown]
	v_add_f64_e32 v[188:189], v[204:205], v[202:203]
	v_add_f64_e32 v[194:195], v[194:195], v[200:201]
	s_wait_loadcnt_dscnt 0xa00
	v_mul_f64_e32 v[200:201], v[166:167], v[14:15]
	v_mul_f64_e32 v[14:15], v[168:169], v[14:15]
	v_fmac_f64_e32 v[196:197], v[6:7], v[170:171]
	v_fma_f64 v[202:203], v[4:5], v[170:171], -v[172:173]
	ds_load_b128 v[4:7], v2 offset:1728
	ds_load_b128 v[170:173], v2 offset:1744
	v_add_f64_e32 v[204:205], v[188:189], v[186:187]
	v_add_f64_e32 v[194:195], v[194:195], v[198:199]
	scratch_load_b128 v[186:189], off, off offset:896
	v_fmac_f64_e32 v[200:201], v[168:169], v[12:13]
	v_fma_f64 v[166:167], v[166:167], v[12:13], -v[14:15]
	scratch_load_b128 v[12:15], off, off offset:912
	s_wait_loadcnt_dscnt 0xb01
	v_mul_f64_e32 v[198:199], v[4:5], v[156:157]
	v_mul_f64_e32 v[156:157], v[6:7], v[156:157]
	v_add_f64_e32 v[168:169], v[204:205], v[202:203]
	v_add_f64_e32 v[194:195], v[194:195], v[196:197]
	s_wait_loadcnt_dscnt 0xa00
	v_mul_f64_e32 v[196:197], v[170:171], v[148:149]
	v_mul_f64_e32 v[148:149], v[172:173], v[148:149]
	v_fmac_f64_e32 v[198:199], v[6:7], v[154:155]
	v_fma_f64 v[202:203], v[4:5], v[154:155], -v[156:157]
	ds_load_b128 v[4:7], v2 offset:1760
	ds_load_b128 v[154:157], v2 offset:1776
	v_add_f64_e32 v[204:205], v[168:169], v[166:167]
	v_add_f64_e32 v[194:195], v[194:195], v[200:201]
	scratch_load_b128 v[166:169], off, off offset:928
	s_wait_loadcnt_dscnt 0xa01
	v_mul_f64_e32 v[200:201], v[4:5], v[164:165]
	v_mul_f64_e32 v[164:165], v[6:7], v[164:165]
	v_fmac_f64_e32 v[196:197], v[172:173], v[146:147]
	v_fma_f64 v[170:171], v[170:171], v[146:147], -v[148:149]
	scratch_load_b128 v[146:149], off, off offset:944
	v_add_f64_e32 v[172:173], v[204:205], v[202:203]
	v_add_f64_e32 v[194:195], v[194:195], v[198:199]
	s_wait_loadcnt_dscnt 0xa00
	v_mul_f64_e32 v[198:199], v[154:155], v[152:153]
	v_mul_f64_e32 v[152:153], v[156:157], v[152:153]
	v_fmac_f64_e32 v[200:201], v[6:7], v[162:163]
	v_fma_f64 v[202:203], v[4:5], v[162:163], -v[164:165]
	ds_load_b128 v[4:7], v2 offset:1792
	ds_load_b128 v[162:165], v2 offset:1808
	v_add_f64_e32 v[204:205], v[172:173], v[170:171]
	v_add_f64_e32 v[194:195], v[194:195], v[196:197]
	scratch_load_b128 v[170:173], off, off offset:960
	s_wait_loadcnt_dscnt 0xa01
	v_mul_f64_e32 v[196:197], v[4:5], v[176:177]
	v_mul_f64_e32 v[176:177], v[6:7], v[176:177]
	v_fmac_f64_e32 v[198:199], v[156:157], v[150:151]
	v_fma_f64 v[154:155], v[154:155], v[150:151], -v[152:153]
	scratch_load_b128 v[150:153], off, off offset:976
	v_add_f64_e32 v[156:157], v[204:205], v[202:203]
	v_add_f64_e32 v[194:195], v[194:195], v[200:201]
	s_wait_loadcnt_dscnt 0xa00
	v_mul_f64_e32 v[200:201], v[162:163], v[160:161]
	v_mul_f64_e32 v[160:161], v[164:165], v[160:161]
	v_fmac_f64_e32 v[196:197], v[6:7], v[174:175]
	v_fma_f64 v[174:175], v[4:5], v[174:175], -v[176:177]
	v_add_f64_e32 v[176:177], v[156:157], v[154:155]
	v_add_f64_e32 v[194:195], v[194:195], v[198:199]
	ds_load_b128 v[4:7], v2 offset:1824
	ds_load_b128 v[154:157], v2 offset:1840
	v_fmac_f64_e32 v[200:201], v[164:165], v[158:159]
	v_fma_f64 v[158:159], v[162:163], v[158:159], -v[160:161]
	s_wait_loadcnt_dscnt 0x901
	v_mul_f64_e32 v[198:199], v[4:5], v[192:193]
	v_mul_f64_e32 v[192:193], v[6:7], v[192:193]
	s_wait_loadcnt_dscnt 0x800
	v_mul_f64_e32 v[164:165], v[154:155], v[10:11]
	v_mul_f64_e32 v[10:11], v[156:157], v[10:11]
	v_add_f64_e32 v[160:161], v[176:177], v[174:175]
	v_add_f64_e32 v[162:163], v[194:195], v[196:197]
	v_fmac_f64_e32 v[198:199], v[6:7], v[190:191]
	v_fma_f64 v[174:175], v[4:5], v[190:191], -v[192:193]
	v_fmac_f64_e32 v[164:165], v[156:157], v[8:9]
	v_fma_f64 v[8:9], v[154:155], v[8:9], -v[10:11]
	v_add_f64_e32 v[176:177], v[160:161], v[158:159]
	v_add_f64_e32 v[162:163], v[162:163], v[200:201]
	ds_load_b128 v[4:7], v2 offset:1856
	ds_load_b128 v[158:161], v2 offset:1872
	s_wait_loadcnt_dscnt 0x701
	v_mul_f64_e32 v[190:191], v[4:5], v[180:181]
	v_mul_f64_e32 v[180:181], v[6:7], v[180:181]
	s_wait_loadcnt_dscnt 0x600
	v_mul_f64_e32 v[156:157], v[158:159], v[144:145]
	v_mul_f64_e32 v[144:145], v[160:161], v[144:145]
	v_add_f64_e32 v[10:11], v[176:177], v[174:175]
	v_add_f64_e32 v[154:155], v[162:163], v[198:199]
	v_fmac_f64_e32 v[190:191], v[6:7], v[178:179]
	v_fma_f64 v[162:163], v[4:5], v[178:179], -v[180:181]
	v_fmac_f64_e32 v[156:157], v[160:161], v[142:143]
	v_fma_f64 v[142:143], v[158:159], v[142:143], -v[144:145]
	v_add_f64_e32 v[174:175], v[10:11], v[8:9]
	v_add_f64_e32 v[154:155], v[154:155], v[164:165]
	ds_load_b128 v[4:7], v2 offset:1888
	ds_load_b128 v[8:11], v2 offset:1904
	;; [unrolled: 16-line block ×4, first 2 shown]
	s_wait_loadcnt_dscnt 0x101
	v_mul_f64_e32 v[2:3], v[4:5], v[172:173]
	v_mul_f64_e32 v[158:159], v[6:7], v[172:173]
	s_wait_loadcnt_dscnt 0x0
	v_mul_f64_e32 v[146:147], v[8:9], v[152:153]
	v_mul_f64_e32 v[148:149], v[10:11], v[152:153]
	v_add_f64_e32 v[144:145], v[160:161], v[154:155]
	v_add_f64_e32 v[12:13], v[12:13], v[156:157]
	v_fmac_f64_e32 v[2:3], v[6:7], v[170:171]
	v_fma_f64 v[4:5], v[4:5], v[170:171], -v[158:159]
	v_fmac_f64_e32 v[146:147], v[10:11], v[150:151]
	v_fma_f64 v[8:9], v[8:9], v[150:151], -v[148:149]
	v_add_f64_e32 v[6:7], v[144:145], v[142:143]
	v_add_f64_e32 v[12:13], v[12:13], v[14:15]
	s_delay_alu instid0(VALU_DEP_2) | instskip(NEXT) | instid1(VALU_DEP_2)
	v_add_f64_e32 v[4:5], v[6:7], v[4:5]
	v_add_f64_e32 v[2:3], v[12:13], v[2:3]
	s_delay_alu instid0(VALU_DEP_2) | instskip(NEXT) | instid1(VALU_DEP_2)
	v_add_f64_e32 v[4:5], v[4:5], v[8:9]
	v_add_f64_e32 v[6:7], v[2:3], v[146:147]
	s_delay_alu instid0(VALU_DEP_2) | instskip(NEXT) | instid1(VALU_DEP_2)
	v_add_f64_e64 v[2:3], v[182:183], -v[4:5]
	v_add_f64_e64 v[4:5], v[184:185], -v[6:7]
	scratch_store_b128 off, v[2:5], off offset:432
	s_wait_xcnt 0x0
	v_cmpx_lt_u32_e32 26, v1
	s_cbranch_execz .LBB61_345
; %bb.344:
	scratch_load_b128 v[2:5], off, s47
	v_mov_b32_e32 v6, 0
	s_delay_alu instid0(VALU_DEP_1)
	v_dual_mov_b32 v7, v6 :: v_dual_mov_b32 v8, v6
	v_mov_b32_e32 v9, v6
	scratch_store_b128 off, v[6:9], off offset:416
	s_wait_loadcnt 0x0
	ds_store_b128 v16, v[2:5]
.LBB61_345:
	s_wait_xcnt 0x0
	s_or_b32 exec_lo, exec_lo, s2
	s_wait_storecnt_dscnt 0x0
	s_barrier_signal -1
	s_barrier_wait -1
	s_clause 0x9
	scratch_load_b128 v[4:7], off, off offset:432
	scratch_load_b128 v[8:11], off, off offset:448
	;; [unrolled: 1-line block ×10, first 2 shown]
	v_mov_b32_e32 v2, 0
	s_mov_b32 s2, exec_lo
	ds_load_b128 v[170:173], v2 offset:1424
	s_clause 0x2
	scratch_load_b128 v[174:177], off, off offset:592
	scratch_load_b128 v[178:181], off, off offset:416
	;; [unrolled: 1-line block ×3, first 2 shown]
	s_wait_loadcnt_dscnt 0xc00
	v_mul_f64_e32 v[190:191], v[172:173], v[6:7]
	v_mul_f64_e32 v[194:195], v[170:171], v[6:7]
	ds_load_b128 v[182:185], v2 offset:1440
	v_fma_f64 v[198:199], v[170:171], v[4:5], -v[190:191]
	v_fmac_f64_e32 v[194:195], v[172:173], v[4:5]
	ds_load_b128 v[4:7], v2 offset:1456
	s_wait_loadcnt_dscnt 0xb01
	v_mul_f64_e32 v[196:197], v[182:183], v[10:11]
	v_mul_f64_e32 v[10:11], v[184:185], v[10:11]
	scratch_load_b128 v[170:173], off, off offset:624
	ds_load_b128 v[190:193], v2 offset:1472
	s_wait_loadcnt_dscnt 0xb01
	v_mul_f64_e32 v[200:201], v[4:5], v[14:15]
	v_mul_f64_e32 v[14:15], v[6:7], v[14:15]
	v_add_f64_e32 v[194:195], 0, v[194:195]
	v_fmac_f64_e32 v[196:197], v[184:185], v[8:9]
	v_fma_f64 v[182:183], v[182:183], v[8:9], -v[10:11]
	v_add_f64_e32 v[184:185], 0, v[198:199]
	scratch_load_b128 v[8:11], off, off offset:640
	v_fmac_f64_e32 v[200:201], v[6:7], v[12:13]
	v_fma_f64 v[202:203], v[4:5], v[12:13], -v[14:15]
	ds_load_b128 v[4:7], v2 offset:1488
	s_wait_loadcnt_dscnt 0xb01
	v_mul_f64_e32 v[198:199], v[190:191], v[144:145]
	v_mul_f64_e32 v[144:145], v[192:193], v[144:145]
	scratch_load_b128 v[12:15], off, off offset:656
	v_add_f64_e32 v[194:195], v[194:195], v[196:197]
	v_add_f64_e32 v[204:205], v[184:185], v[182:183]
	ds_load_b128 v[182:185], v2 offset:1504
	s_wait_loadcnt_dscnt 0xb01
	v_mul_f64_e32 v[196:197], v[4:5], v[148:149]
	v_mul_f64_e32 v[148:149], v[6:7], v[148:149]
	v_fmac_f64_e32 v[198:199], v[192:193], v[142:143]
	v_fma_f64 v[190:191], v[190:191], v[142:143], -v[144:145]
	scratch_load_b128 v[142:145], off, off offset:672
	v_add_f64_e32 v[194:195], v[194:195], v[200:201]
	v_add_f64_e32 v[192:193], v[204:205], v[202:203]
	v_fmac_f64_e32 v[196:197], v[6:7], v[146:147]
	v_fma_f64 v[202:203], v[4:5], v[146:147], -v[148:149]
	ds_load_b128 v[4:7], v2 offset:1520
	s_wait_loadcnt_dscnt 0xb01
	v_mul_f64_e32 v[200:201], v[182:183], v[152:153]
	v_mul_f64_e32 v[152:153], v[184:185], v[152:153]
	scratch_load_b128 v[146:149], off, off offset:688
	v_add_f64_e32 v[194:195], v[194:195], v[198:199]
	s_wait_loadcnt_dscnt 0xb00
	v_mul_f64_e32 v[198:199], v[4:5], v[156:157]
	v_add_f64_e32 v[204:205], v[192:193], v[190:191]
	v_mul_f64_e32 v[156:157], v[6:7], v[156:157]
	ds_load_b128 v[190:193], v2 offset:1536
	v_fmac_f64_e32 v[200:201], v[184:185], v[150:151]
	v_fma_f64 v[182:183], v[182:183], v[150:151], -v[152:153]
	scratch_load_b128 v[150:153], off, off offset:704
	v_add_f64_e32 v[194:195], v[194:195], v[196:197]
	v_fmac_f64_e32 v[198:199], v[6:7], v[154:155]
	v_add_f64_e32 v[184:185], v[204:205], v[202:203]
	v_fma_f64 v[202:203], v[4:5], v[154:155], -v[156:157]
	ds_load_b128 v[4:7], v2 offset:1552
	s_wait_loadcnt_dscnt 0xb01
	v_mul_f64_e32 v[196:197], v[190:191], v[160:161]
	v_mul_f64_e32 v[160:161], v[192:193], v[160:161]
	scratch_load_b128 v[154:157], off, off offset:720
	v_add_f64_e32 v[194:195], v[194:195], v[200:201]
	s_wait_loadcnt_dscnt 0xb00
	v_mul_f64_e32 v[200:201], v[4:5], v[164:165]
	v_add_f64_e32 v[204:205], v[184:185], v[182:183]
	v_mul_f64_e32 v[164:165], v[6:7], v[164:165]
	ds_load_b128 v[182:185], v2 offset:1568
	v_fmac_f64_e32 v[196:197], v[192:193], v[158:159]
	v_fma_f64 v[190:191], v[190:191], v[158:159], -v[160:161]
	scratch_load_b128 v[158:161], off, off offset:736
	v_add_f64_e32 v[194:195], v[194:195], v[198:199]
	v_fmac_f64_e32 v[200:201], v[6:7], v[162:163]
	v_add_f64_e32 v[192:193], v[204:205], v[202:203]
	;; [unrolled: 18-line block ×3, first 2 shown]
	v_fma_f64 v[202:203], v[4:5], v[174:175], -v[176:177]
	ds_load_b128 v[4:7], v2 offset:1616
	s_wait_loadcnt_dscnt 0xa01
	v_mul_f64_e32 v[200:201], v[190:191], v[188:189]
	v_mul_f64_e32 v[188:189], v[192:193], v[188:189]
	scratch_load_b128 v[174:177], off, off offset:784
	v_add_f64_e32 v[194:195], v[194:195], v[198:199]
	v_add_f64_e32 v[204:205], v[184:185], v[182:183]
	s_wait_loadcnt_dscnt 0xa00
	v_mul_f64_e32 v[198:199], v[4:5], v[172:173]
	v_mul_f64_e32 v[172:173], v[6:7], v[172:173]
	v_fmac_f64_e32 v[200:201], v[192:193], v[186:187]
	v_fma_f64 v[190:191], v[190:191], v[186:187], -v[188:189]
	ds_load_b128 v[182:185], v2 offset:1632
	scratch_load_b128 v[186:189], off, off offset:800
	v_add_f64_e32 v[194:195], v[194:195], v[196:197]
	v_add_f64_e32 v[192:193], v[204:205], v[202:203]
	v_fmac_f64_e32 v[198:199], v[6:7], v[170:171]
	v_fma_f64 v[202:203], v[4:5], v[170:171], -v[172:173]
	ds_load_b128 v[4:7], v2 offset:1648
	s_wait_loadcnt_dscnt 0xa01
	v_mul_f64_e32 v[196:197], v[182:183], v[10:11]
	v_mul_f64_e32 v[10:11], v[184:185], v[10:11]
	scratch_load_b128 v[170:173], off, off offset:816
	v_add_f64_e32 v[194:195], v[194:195], v[200:201]
	s_wait_loadcnt_dscnt 0xa00
	v_mul_f64_e32 v[200:201], v[4:5], v[14:15]
	v_add_f64_e32 v[204:205], v[192:193], v[190:191]
	v_mul_f64_e32 v[14:15], v[6:7], v[14:15]
	ds_load_b128 v[190:193], v2 offset:1664
	v_fmac_f64_e32 v[196:197], v[184:185], v[8:9]
	v_fma_f64 v[182:183], v[182:183], v[8:9], -v[10:11]
	scratch_load_b128 v[8:11], off, off offset:832
	v_add_f64_e32 v[194:195], v[194:195], v[198:199]
	v_fmac_f64_e32 v[200:201], v[6:7], v[12:13]
	v_add_f64_e32 v[184:185], v[204:205], v[202:203]
	v_fma_f64 v[202:203], v[4:5], v[12:13], -v[14:15]
	ds_load_b128 v[4:7], v2 offset:1680
	s_wait_loadcnt_dscnt 0xa01
	v_mul_f64_e32 v[198:199], v[190:191], v[144:145]
	v_mul_f64_e32 v[144:145], v[192:193], v[144:145]
	scratch_load_b128 v[12:15], off, off offset:848
	v_add_f64_e32 v[194:195], v[194:195], v[196:197]
	s_wait_loadcnt_dscnt 0xa00
	v_mul_f64_e32 v[196:197], v[4:5], v[148:149]
	v_add_f64_e32 v[204:205], v[184:185], v[182:183]
	v_mul_f64_e32 v[148:149], v[6:7], v[148:149]
	ds_load_b128 v[182:185], v2 offset:1696
	v_fmac_f64_e32 v[198:199], v[192:193], v[142:143]
	v_fma_f64 v[190:191], v[190:191], v[142:143], -v[144:145]
	scratch_load_b128 v[142:145], off, off offset:864
	v_add_f64_e32 v[194:195], v[194:195], v[200:201]
	v_fmac_f64_e32 v[196:197], v[6:7], v[146:147]
	v_add_f64_e32 v[192:193], v[204:205], v[202:203]
	;; [unrolled: 18-line block ×5, first 2 shown]
	v_fma_f64 v[202:203], v[4:5], v[174:175], -v[176:177]
	ds_load_b128 v[4:7], v2 offset:1808
	s_wait_loadcnt_dscnt 0xa01
	v_mul_f64_e32 v[200:201], v[190:191], v[188:189]
	v_mul_f64_e32 v[188:189], v[192:193], v[188:189]
	scratch_load_b128 v[174:177], off, off offset:976
	v_add_f64_e32 v[194:195], v[194:195], v[198:199]
	s_wait_loadcnt_dscnt 0xa00
	v_mul_f64_e32 v[198:199], v[4:5], v[172:173]
	v_add_f64_e32 v[204:205], v[184:185], v[182:183]
	v_mul_f64_e32 v[172:173], v[6:7], v[172:173]
	ds_load_b128 v[182:185], v2 offset:1824
	v_fmac_f64_e32 v[200:201], v[192:193], v[186:187]
	v_fma_f64 v[186:187], v[190:191], v[186:187], -v[188:189]
	s_wait_loadcnt_dscnt 0x900
	v_mul_f64_e32 v[192:193], v[182:183], v[10:11]
	v_mul_f64_e32 v[10:11], v[184:185], v[10:11]
	v_add_f64_e32 v[190:191], v[194:195], v[196:197]
	v_fmac_f64_e32 v[198:199], v[6:7], v[170:171]
	v_add_f64_e32 v[188:189], v[204:205], v[202:203]
	v_fma_f64 v[194:195], v[4:5], v[170:171], -v[172:173]
	ds_load_b128 v[4:7], v2 offset:1840
	ds_load_b128 v[170:173], v2 offset:1856
	v_fmac_f64_e32 v[192:193], v[184:185], v[8:9]
	v_fma_f64 v[8:9], v[182:183], v[8:9], -v[10:11]
	v_add_f64_e32 v[186:187], v[188:189], v[186:187]
	v_add_f64_e32 v[188:189], v[190:191], v[200:201]
	s_wait_loadcnt_dscnt 0x801
	v_mul_f64_e32 v[190:191], v[4:5], v[14:15]
	v_mul_f64_e32 v[14:15], v[6:7], v[14:15]
	s_wait_loadcnt_dscnt 0x700
	v_mul_f64_e32 v[184:185], v[170:171], v[144:145]
	v_mul_f64_e32 v[144:145], v[172:173], v[144:145]
	v_add_f64_e32 v[10:11], v[186:187], v[194:195]
	v_add_f64_e32 v[182:183], v[188:189], v[198:199]
	v_fmac_f64_e32 v[190:191], v[6:7], v[12:13]
	v_fma_f64 v[12:13], v[4:5], v[12:13], -v[14:15]
	v_fmac_f64_e32 v[184:185], v[172:173], v[142:143]
	v_fma_f64 v[142:143], v[170:171], v[142:143], -v[144:145]
	v_add_f64_e32 v[14:15], v[10:11], v[8:9]
	v_add_f64_e32 v[182:183], v[182:183], v[192:193]
	ds_load_b128 v[4:7], v2 offset:1872
	ds_load_b128 v[8:11], v2 offset:1888
	s_wait_loadcnt_dscnt 0x601
	v_mul_f64_e32 v[186:187], v[4:5], v[148:149]
	v_mul_f64_e32 v[148:149], v[6:7], v[148:149]
	s_wait_loadcnt_dscnt 0x500
	v_mul_f64_e32 v[144:145], v[8:9], v[152:153]
	v_mul_f64_e32 v[152:153], v[10:11], v[152:153]
	v_add_f64_e32 v[12:13], v[14:15], v[12:13]
	v_add_f64_e32 v[14:15], v[182:183], v[190:191]
	v_fmac_f64_e32 v[186:187], v[6:7], v[146:147]
	v_fma_f64 v[146:147], v[4:5], v[146:147], -v[148:149]
	v_fmac_f64_e32 v[144:145], v[10:11], v[150:151]
	v_fma_f64 v[8:9], v[8:9], v[150:151], -v[152:153]
	v_add_f64_e32 v[142:143], v[12:13], v[142:143]
	v_add_f64_e32 v[148:149], v[14:15], v[184:185]
	ds_load_b128 v[4:7], v2 offset:1904
	ds_load_b128 v[12:15], v2 offset:1920
	s_wait_loadcnt_dscnt 0x401
	v_mul_f64_e32 v[170:171], v[4:5], v[156:157]
	v_mul_f64_e32 v[156:157], v[6:7], v[156:157]
	v_add_f64_e32 v[10:11], v[142:143], v[146:147]
	v_add_f64_e32 v[142:143], v[148:149], v[186:187]
	s_wait_loadcnt_dscnt 0x300
	v_mul_f64_e32 v[146:147], v[12:13], v[160:161]
	v_mul_f64_e32 v[148:149], v[14:15], v[160:161]
	v_fmac_f64_e32 v[170:171], v[6:7], v[154:155]
	v_fma_f64 v[150:151], v[4:5], v[154:155], -v[156:157]
	v_add_f64_e32 v[152:153], v[10:11], v[8:9]
	v_add_f64_e32 v[142:143], v[142:143], v[144:145]
	ds_load_b128 v[4:7], v2 offset:1936
	ds_load_b128 v[8:11], v2 offset:1952
	v_fmac_f64_e32 v[146:147], v[14:15], v[158:159]
	v_fma_f64 v[12:13], v[12:13], v[158:159], -v[148:149]
	s_wait_loadcnt_dscnt 0x201
	v_mul_f64_e32 v[144:145], v[4:5], v[164:165]
	v_mul_f64_e32 v[154:155], v[6:7], v[164:165]
	s_wait_loadcnt_dscnt 0x100
	v_mul_f64_e32 v[148:149], v[8:9], v[168:169]
	v_add_f64_e32 v[14:15], v[152:153], v[150:151]
	v_add_f64_e32 v[142:143], v[142:143], v[170:171]
	v_mul_f64_e32 v[150:151], v[10:11], v[168:169]
	v_fmac_f64_e32 v[144:145], v[6:7], v[162:163]
	v_fma_f64 v[152:153], v[4:5], v[162:163], -v[154:155]
	ds_load_b128 v[4:7], v2 offset:1968
	v_fmac_f64_e32 v[148:149], v[10:11], v[166:167]
	v_add_f64_e32 v[12:13], v[14:15], v[12:13]
	v_add_f64_e32 v[14:15], v[142:143], v[146:147]
	v_fma_f64 v[8:9], v[8:9], v[166:167], -v[150:151]
	s_wait_loadcnt_dscnt 0x0
	v_mul_f64_e32 v[142:143], v[4:5], v[176:177]
	v_mul_f64_e32 v[146:147], v[6:7], v[176:177]
	v_add_f64_e32 v[10:11], v[12:13], v[152:153]
	v_add_f64_e32 v[12:13], v[14:15], v[144:145]
	s_delay_alu instid0(VALU_DEP_4) | instskip(NEXT) | instid1(VALU_DEP_4)
	v_fmac_f64_e32 v[142:143], v[6:7], v[174:175]
	v_fma_f64 v[4:5], v[4:5], v[174:175], -v[146:147]
	s_delay_alu instid0(VALU_DEP_4) | instskip(NEXT) | instid1(VALU_DEP_4)
	v_add_f64_e32 v[6:7], v[10:11], v[8:9]
	v_add_f64_e32 v[8:9], v[12:13], v[148:149]
	s_delay_alu instid0(VALU_DEP_2) | instskip(NEXT) | instid1(VALU_DEP_2)
	v_add_f64_e32 v[4:5], v[6:7], v[4:5]
	v_add_f64_e32 v[6:7], v[8:9], v[142:143]
	s_delay_alu instid0(VALU_DEP_2) | instskip(NEXT) | instid1(VALU_DEP_2)
	v_add_f64_e64 v[4:5], v[178:179], -v[4:5]
	v_add_f64_e64 v[6:7], v[180:181], -v[6:7]
	scratch_store_b128 off, v[4:7], off offset:416
	s_wait_xcnt 0x0
	v_cmpx_lt_u32_e32 25, v1
	s_cbranch_execz .LBB61_347
; %bb.346:
	scratch_load_b128 v[6:9], off, s69
	v_dual_mov_b32 v3, v2 :: v_dual_mov_b32 v4, v2
	v_mov_b32_e32 v5, v2
	scratch_store_b128 off, v[2:5], off offset:400
	s_wait_loadcnt 0x0
	ds_store_b128 v16, v[6:9]
.LBB61_347:
	s_wait_xcnt 0x0
	s_or_b32 exec_lo, exec_lo, s2
	s_wait_storecnt_dscnt 0x0
	s_barrier_signal -1
	s_barrier_wait -1
	s_clause 0x9
	scratch_load_b128 v[4:7], off, off offset:416
	scratch_load_b128 v[8:11], off, off offset:432
	;; [unrolled: 1-line block ×10, first 2 shown]
	ds_load_b128 v[170:173], v2 offset:1408
	ds_load_b128 v[178:181], v2 offset:1424
	s_clause 0x2
	scratch_load_b128 v[174:177], off, off offset:576
	scratch_load_b128 v[182:185], off, off offset:400
	;; [unrolled: 1-line block ×3, first 2 shown]
	s_mov_b32 s2, exec_lo
	s_wait_loadcnt_dscnt 0xc01
	v_mul_f64_e32 v[190:191], v[172:173], v[6:7]
	v_mul_f64_e32 v[194:195], v[170:171], v[6:7]
	s_wait_loadcnt_dscnt 0xb00
	v_mul_f64_e32 v[196:197], v[178:179], v[10:11]
	v_mul_f64_e32 v[10:11], v[180:181], v[10:11]
	s_delay_alu instid0(VALU_DEP_4) | instskip(NEXT) | instid1(VALU_DEP_4)
	v_fma_f64 v[198:199], v[170:171], v[4:5], -v[190:191]
	v_fmac_f64_e32 v[194:195], v[172:173], v[4:5]
	ds_load_b128 v[4:7], v2 offset:1440
	ds_load_b128 v[170:173], v2 offset:1456
	scratch_load_b128 v[190:193], off, off offset:608
	v_fmac_f64_e32 v[196:197], v[180:181], v[8:9]
	v_fma_f64 v[178:179], v[178:179], v[8:9], -v[10:11]
	scratch_load_b128 v[8:11], off, off offset:624
	s_wait_loadcnt_dscnt 0xc01
	v_mul_f64_e32 v[200:201], v[4:5], v[14:15]
	v_mul_f64_e32 v[14:15], v[6:7], v[14:15]
	v_add_f64_e32 v[180:181], 0, v[198:199]
	v_add_f64_e32 v[194:195], 0, v[194:195]
	s_wait_loadcnt_dscnt 0xb00
	v_mul_f64_e32 v[198:199], v[170:171], v[144:145]
	v_mul_f64_e32 v[144:145], v[172:173], v[144:145]
	v_fmac_f64_e32 v[200:201], v[6:7], v[12:13]
	v_fma_f64 v[202:203], v[4:5], v[12:13], -v[14:15]
	ds_load_b128 v[4:7], v2 offset:1472
	ds_load_b128 v[12:15], v2 offset:1488
	v_add_f64_e32 v[204:205], v[180:181], v[178:179]
	v_add_f64_e32 v[194:195], v[194:195], v[196:197]
	scratch_load_b128 v[178:181], off, off offset:640
	v_fmac_f64_e32 v[198:199], v[172:173], v[142:143]
	v_fma_f64 v[170:171], v[170:171], v[142:143], -v[144:145]
	scratch_load_b128 v[142:145], off, off offset:656
	s_wait_loadcnt_dscnt 0xc01
	v_mul_f64_e32 v[196:197], v[4:5], v[148:149]
	v_mul_f64_e32 v[148:149], v[6:7], v[148:149]
	v_add_f64_e32 v[172:173], v[204:205], v[202:203]
	v_add_f64_e32 v[194:195], v[194:195], v[200:201]
	s_wait_loadcnt_dscnt 0xb00
	v_mul_f64_e32 v[200:201], v[12:13], v[152:153]
	v_mul_f64_e32 v[152:153], v[14:15], v[152:153]
	v_fmac_f64_e32 v[196:197], v[6:7], v[146:147]
	v_fma_f64 v[202:203], v[4:5], v[146:147], -v[148:149]
	ds_load_b128 v[4:7], v2 offset:1504
	ds_load_b128 v[146:149], v2 offset:1520
	v_add_f64_e32 v[204:205], v[172:173], v[170:171]
	v_add_f64_e32 v[194:195], v[194:195], v[198:199]
	scratch_load_b128 v[170:173], off, off offset:672
	s_wait_loadcnt_dscnt 0xb01
	v_mul_f64_e32 v[198:199], v[4:5], v[156:157]
	v_mul_f64_e32 v[156:157], v[6:7], v[156:157]
	v_fmac_f64_e32 v[200:201], v[14:15], v[150:151]
	v_fma_f64 v[150:151], v[12:13], v[150:151], -v[152:153]
	scratch_load_b128 v[12:15], off, off offset:688
	v_add_f64_e32 v[152:153], v[204:205], v[202:203]
	v_add_f64_e32 v[194:195], v[194:195], v[196:197]
	s_wait_loadcnt_dscnt 0xb00
	v_mul_f64_e32 v[196:197], v[146:147], v[160:161]
	v_mul_f64_e32 v[160:161], v[148:149], v[160:161]
	v_fmac_f64_e32 v[198:199], v[6:7], v[154:155]
	v_fma_f64 v[202:203], v[4:5], v[154:155], -v[156:157]
	v_add_f64_e32 v[204:205], v[152:153], v[150:151]
	v_add_f64_e32 v[194:195], v[194:195], v[200:201]
	ds_load_b128 v[4:7], v2 offset:1536
	ds_load_b128 v[150:153], v2 offset:1552
	scratch_load_b128 v[154:157], off, off offset:704
	v_fmac_f64_e32 v[196:197], v[148:149], v[158:159]
	v_fma_f64 v[158:159], v[146:147], v[158:159], -v[160:161]
	scratch_load_b128 v[146:149], off, off offset:720
	s_wait_loadcnt_dscnt 0xc01
	v_mul_f64_e32 v[200:201], v[4:5], v[164:165]
	v_mul_f64_e32 v[164:165], v[6:7], v[164:165]
	v_add_f64_e32 v[160:161], v[204:205], v[202:203]
	v_add_f64_e32 v[194:195], v[194:195], v[198:199]
	s_wait_loadcnt_dscnt 0xb00
	v_mul_f64_e32 v[198:199], v[150:151], v[168:169]
	v_mul_f64_e32 v[168:169], v[152:153], v[168:169]
	v_fmac_f64_e32 v[200:201], v[6:7], v[162:163]
	v_fma_f64 v[202:203], v[4:5], v[162:163], -v[164:165]
	v_add_f64_e32 v[204:205], v[160:161], v[158:159]
	v_add_f64_e32 v[194:195], v[194:195], v[196:197]
	ds_load_b128 v[4:7], v2 offset:1568
	ds_load_b128 v[158:161], v2 offset:1584
	scratch_load_b128 v[162:165], off, off offset:736
	v_fmac_f64_e32 v[198:199], v[152:153], v[166:167]
	v_fma_f64 v[166:167], v[150:151], v[166:167], -v[168:169]
	scratch_load_b128 v[150:153], off, off offset:752
	s_wait_loadcnt_dscnt 0xc01
	v_mul_f64_e32 v[196:197], v[4:5], v[176:177]
	v_mul_f64_e32 v[176:177], v[6:7], v[176:177]
	;; [unrolled: 18-line block ×5, first 2 shown]
	v_add_f64_e32 v[188:189], v[204:205], v[202:203]
	v_add_f64_e32 v[194:195], v[194:195], v[200:201]
	s_wait_loadcnt_dscnt 0xa00
	v_mul_f64_e32 v[200:201], v[166:167], v[14:15]
	v_mul_f64_e32 v[14:15], v[168:169], v[14:15]
	v_fmac_f64_e32 v[196:197], v[6:7], v[170:171]
	v_fma_f64 v[202:203], v[4:5], v[170:171], -v[172:173]
	ds_load_b128 v[4:7], v2 offset:1696
	ds_load_b128 v[170:173], v2 offset:1712
	v_add_f64_e32 v[204:205], v[188:189], v[186:187]
	v_add_f64_e32 v[194:195], v[194:195], v[198:199]
	scratch_load_b128 v[186:189], off, off offset:864
	v_fmac_f64_e32 v[200:201], v[168:169], v[12:13]
	v_fma_f64 v[166:167], v[166:167], v[12:13], -v[14:15]
	scratch_load_b128 v[12:15], off, off offset:880
	s_wait_loadcnt_dscnt 0xb01
	v_mul_f64_e32 v[198:199], v[4:5], v[156:157]
	v_mul_f64_e32 v[156:157], v[6:7], v[156:157]
	v_add_f64_e32 v[168:169], v[204:205], v[202:203]
	v_add_f64_e32 v[194:195], v[194:195], v[196:197]
	s_wait_loadcnt_dscnt 0xa00
	v_mul_f64_e32 v[196:197], v[170:171], v[148:149]
	v_mul_f64_e32 v[148:149], v[172:173], v[148:149]
	v_fmac_f64_e32 v[198:199], v[6:7], v[154:155]
	v_fma_f64 v[202:203], v[4:5], v[154:155], -v[156:157]
	ds_load_b128 v[4:7], v2 offset:1728
	ds_load_b128 v[154:157], v2 offset:1744
	v_add_f64_e32 v[204:205], v[168:169], v[166:167]
	v_add_f64_e32 v[194:195], v[194:195], v[200:201]
	scratch_load_b128 v[166:169], off, off offset:896
	s_wait_loadcnt_dscnt 0xa01
	v_mul_f64_e32 v[200:201], v[4:5], v[164:165]
	v_mul_f64_e32 v[164:165], v[6:7], v[164:165]
	v_fmac_f64_e32 v[196:197], v[172:173], v[146:147]
	v_fma_f64 v[170:171], v[170:171], v[146:147], -v[148:149]
	scratch_load_b128 v[146:149], off, off offset:912
	v_add_f64_e32 v[172:173], v[204:205], v[202:203]
	v_add_f64_e32 v[194:195], v[194:195], v[198:199]
	s_wait_loadcnt_dscnt 0xa00
	v_mul_f64_e32 v[198:199], v[154:155], v[152:153]
	v_mul_f64_e32 v[152:153], v[156:157], v[152:153]
	v_fmac_f64_e32 v[200:201], v[6:7], v[162:163]
	v_fma_f64 v[202:203], v[4:5], v[162:163], -v[164:165]
	ds_load_b128 v[4:7], v2 offset:1760
	ds_load_b128 v[162:165], v2 offset:1776
	v_add_f64_e32 v[204:205], v[172:173], v[170:171]
	v_add_f64_e32 v[194:195], v[194:195], v[196:197]
	scratch_load_b128 v[170:173], off, off offset:928
	s_wait_loadcnt_dscnt 0xa01
	v_mul_f64_e32 v[196:197], v[4:5], v[176:177]
	v_mul_f64_e32 v[176:177], v[6:7], v[176:177]
	v_fmac_f64_e32 v[198:199], v[156:157], v[150:151]
	v_fma_f64 v[154:155], v[154:155], v[150:151], -v[152:153]
	scratch_load_b128 v[150:153], off, off offset:944
	v_add_f64_e32 v[156:157], v[204:205], v[202:203]
	v_add_f64_e32 v[194:195], v[194:195], v[200:201]
	s_wait_loadcnt_dscnt 0xa00
	v_mul_f64_e32 v[200:201], v[162:163], v[160:161]
	v_mul_f64_e32 v[160:161], v[164:165], v[160:161]
	v_fmac_f64_e32 v[196:197], v[6:7], v[174:175]
	v_fma_f64 v[202:203], v[4:5], v[174:175], -v[176:177]
	v_add_f64_e32 v[204:205], v[156:157], v[154:155]
	v_add_f64_e32 v[194:195], v[194:195], v[198:199]
	ds_load_b128 v[4:7], v2 offset:1792
	ds_load_b128 v[154:157], v2 offset:1808
	scratch_load_b128 v[174:177], off, off offset:960
	v_fmac_f64_e32 v[200:201], v[164:165], v[158:159]
	v_fma_f64 v[162:163], v[162:163], v[158:159], -v[160:161]
	scratch_load_b128 v[158:161], off, off offset:976
	s_wait_loadcnt_dscnt 0xb01
	v_mul_f64_e32 v[198:199], v[4:5], v[192:193]
	v_mul_f64_e32 v[192:193], v[6:7], v[192:193]
	v_add_f64_e32 v[164:165], v[204:205], v[202:203]
	v_add_f64_e32 v[194:195], v[194:195], v[196:197]
	s_wait_loadcnt_dscnt 0xa00
	v_mul_f64_e32 v[196:197], v[154:155], v[10:11]
	v_mul_f64_e32 v[10:11], v[156:157], v[10:11]
	v_fmac_f64_e32 v[198:199], v[6:7], v[190:191]
	v_fma_f64 v[190:191], v[4:5], v[190:191], -v[192:193]
	v_add_f64_e32 v[192:193], v[164:165], v[162:163]
	v_add_f64_e32 v[194:195], v[194:195], v[200:201]
	ds_load_b128 v[4:7], v2 offset:1824
	ds_load_b128 v[162:165], v2 offset:1840
	v_fmac_f64_e32 v[196:197], v[156:157], v[8:9]
	v_fma_f64 v[8:9], v[154:155], v[8:9], -v[10:11]
	s_wait_loadcnt_dscnt 0x901
	v_mul_f64_e32 v[200:201], v[4:5], v[180:181]
	v_mul_f64_e32 v[180:181], v[6:7], v[180:181]
	s_wait_loadcnt_dscnt 0x800
	v_mul_f64_e32 v[156:157], v[162:163], v[144:145]
	v_mul_f64_e32 v[144:145], v[164:165], v[144:145]
	v_add_f64_e32 v[10:11], v[192:193], v[190:191]
	v_add_f64_e32 v[154:155], v[194:195], v[198:199]
	v_fmac_f64_e32 v[200:201], v[6:7], v[178:179]
	v_fma_f64 v[178:179], v[4:5], v[178:179], -v[180:181]
	v_fmac_f64_e32 v[156:157], v[164:165], v[142:143]
	v_fma_f64 v[142:143], v[162:163], v[142:143], -v[144:145]
	v_add_f64_e32 v[180:181], v[10:11], v[8:9]
	v_add_f64_e32 v[154:155], v[154:155], v[196:197]
	ds_load_b128 v[4:7], v2 offset:1856
	ds_load_b128 v[8:11], v2 offset:1872
	s_wait_loadcnt_dscnt 0x701
	v_mul_f64_e32 v[190:191], v[4:5], v[188:189]
	v_mul_f64_e32 v[188:189], v[6:7], v[188:189]
	s_wait_loadcnt_dscnt 0x600
	v_mul_f64_e32 v[162:163], v[8:9], v[14:15]
	v_mul_f64_e32 v[14:15], v[10:11], v[14:15]
	v_add_f64_e32 v[144:145], v[180:181], v[178:179]
	v_add_f64_e32 v[154:155], v[154:155], v[200:201]
	v_fmac_f64_e32 v[190:191], v[6:7], v[186:187]
	v_fma_f64 v[164:165], v[4:5], v[186:187], -v[188:189]
	v_fmac_f64_e32 v[162:163], v[10:11], v[12:13]
	v_fma_f64 v[8:9], v[8:9], v[12:13], -v[14:15]
	v_add_f64_e32 v[178:179], v[144:145], v[142:143]
	v_add_f64_e32 v[154:155], v[154:155], v[156:157]
	ds_load_b128 v[4:7], v2 offset:1888
	ds_load_b128 v[142:145], v2 offset:1904
	;; [unrolled: 16-line block ×4, first 2 shown]
	s_wait_loadcnt_dscnt 0x101
	v_mul_f64_e32 v[2:3], v[4:5], v[176:177]
	v_mul_f64_e32 v[154:155], v[6:7], v[176:177]
	s_wait_loadcnt_dscnt 0x0
	v_mul_f64_e32 v[148:149], v[14:15], v[160:161]
	v_add_f64_e32 v[10:11], v[142:143], v[152:153]
	v_add_f64_e32 v[142:143], v[144:145], v[162:163]
	v_mul_f64_e32 v[144:145], v[12:13], v[160:161]
	v_fmac_f64_e32 v[2:3], v[6:7], v[174:175]
	v_fma_f64 v[4:5], v[4:5], v[174:175], -v[154:155]
	v_add_f64_e32 v[6:7], v[10:11], v[8:9]
	v_add_f64_e32 v[8:9], v[142:143], v[146:147]
	v_fmac_f64_e32 v[144:145], v[14:15], v[158:159]
	v_fma_f64 v[10:11], v[12:13], v[158:159], -v[148:149]
	s_delay_alu instid0(VALU_DEP_4) | instskip(NEXT) | instid1(VALU_DEP_4)
	v_add_f64_e32 v[4:5], v[6:7], v[4:5]
	v_add_f64_e32 v[2:3], v[8:9], v[2:3]
	s_delay_alu instid0(VALU_DEP_2) | instskip(NEXT) | instid1(VALU_DEP_2)
	v_add_f64_e32 v[4:5], v[4:5], v[10:11]
	v_add_f64_e32 v[6:7], v[2:3], v[144:145]
	s_delay_alu instid0(VALU_DEP_2) | instskip(NEXT) | instid1(VALU_DEP_2)
	v_add_f64_e64 v[2:3], v[182:183], -v[4:5]
	v_add_f64_e64 v[4:5], v[184:185], -v[6:7]
	scratch_store_b128 off, v[2:5], off offset:400
	s_wait_xcnt 0x0
	v_cmpx_lt_u32_e32 24, v1
	s_cbranch_execz .LBB61_349
; %bb.348:
	scratch_load_b128 v[2:5], off, s67
	v_mov_b32_e32 v6, 0
	s_delay_alu instid0(VALU_DEP_1)
	v_dual_mov_b32 v7, v6 :: v_dual_mov_b32 v8, v6
	v_mov_b32_e32 v9, v6
	scratch_store_b128 off, v[6:9], off offset:384
	s_wait_loadcnt 0x0
	ds_store_b128 v16, v[2:5]
.LBB61_349:
	s_wait_xcnt 0x0
	s_or_b32 exec_lo, exec_lo, s2
	s_wait_storecnt_dscnt 0x0
	s_barrier_signal -1
	s_barrier_wait -1
	s_clause 0x9
	scratch_load_b128 v[4:7], off, off offset:400
	scratch_load_b128 v[8:11], off, off offset:416
	;; [unrolled: 1-line block ×10, first 2 shown]
	v_mov_b32_e32 v2, 0
	s_mov_b32 s2, exec_lo
	ds_load_b128 v[170:173], v2 offset:1392
	s_clause 0x2
	scratch_load_b128 v[174:177], off, off offset:560
	scratch_load_b128 v[178:181], off, off offset:384
	;; [unrolled: 1-line block ×3, first 2 shown]
	s_wait_loadcnt_dscnt 0xc00
	v_mul_f64_e32 v[190:191], v[172:173], v[6:7]
	v_mul_f64_e32 v[194:195], v[170:171], v[6:7]
	ds_load_b128 v[182:185], v2 offset:1408
	v_fma_f64 v[198:199], v[170:171], v[4:5], -v[190:191]
	v_fmac_f64_e32 v[194:195], v[172:173], v[4:5]
	ds_load_b128 v[4:7], v2 offset:1424
	s_wait_loadcnt_dscnt 0xb01
	v_mul_f64_e32 v[196:197], v[182:183], v[10:11]
	v_mul_f64_e32 v[10:11], v[184:185], v[10:11]
	scratch_load_b128 v[170:173], off, off offset:592
	ds_load_b128 v[190:193], v2 offset:1440
	s_wait_loadcnt_dscnt 0xb01
	v_mul_f64_e32 v[200:201], v[4:5], v[14:15]
	v_mul_f64_e32 v[14:15], v[6:7], v[14:15]
	v_add_f64_e32 v[194:195], 0, v[194:195]
	v_fmac_f64_e32 v[196:197], v[184:185], v[8:9]
	v_fma_f64 v[182:183], v[182:183], v[8:9], -v[10:11]
	v_add_f64_e32 v[184:185], 0, v[198:199]
	scratch_load_b128 v[8:11], off, off offset:608
	v_fmac_f64_e32 v[200:201], v[6:7], v[12:13]
	v_fma_f64 v[202:203], v[4:5], v[12:13], -v[14:15]
	ds_load_b128 v[4:7], v2 offset:1456
	s_wait_loadcnt_dscnt 0xb01
	v_mul_f64_e32 v[198:199], v[190:191], v[144:145]
	v_mul_f64_e32 v[144:145], v[192:193], v[144:145]
	scratch_load_b128 v[12:15], off, off offset:624
	v_add_f64_e32 v[194:195], v[194:195], v[196:197]
	v_add_f64_e32 v[204:205], v[184:185], v[182:183]
	ds_load_b128 v[182:185], v2 offset:1472
	s_wait_loadcnt_dscnt 0xb01
	v_mul_f64_e32 v[196:197], v[4:5], v[148:149]
	v_mul_f64_e32 v[148:149], v[6:7], v[148:149]
	v_fmac_f64_e32 v[198:199], v[192:193], v[142:143]
	v_fma_f64 v[190:191], v[190:191], v[142:143], -v[144:145]
	scratch_load_b128 v[142:145], off, off offset:640
	v_add_f64_e32 v[194:195], v[194:195], v[200:201]
	v_add_f64_e32 v[192:193], v[204:205], v[202:203]
	v_fmac_f64_e32 v[196:197], v[6:7], v[146:147]
	v_fma_f64 v[202:203], v[4:5], v[146:147], -v[148:149]
	ds_load_b128 v[4:7], v2 offset:1488
	s_wait_loadcnt_dscnt 0xb01
	v_mul_f64_e32 v[200:201], v[182:183], v[152:153]
	v_mul_f64_e32 v[152:153], v[184:185], v[152:153]
	scratch_load_b128 v[146:149], off, off offset:656
	v_add_f64_e32 v[194:195], v[194:195], v[198:199]
	s_wait_loadcnt_dscnt 0xb00
	v_mul_f64_e32 v[198:199], v[4:5], v[156:157]
	v_add_f64_e32 v[204:205], v[192:193], v[190:191]
	v_mul_f64_e32 v[156:157], v[6:7], v[156:157]
	ds_load_b128 v[190:193], v2 offset:1504
	v_fmac_f64_e32 v[200:201], v[184:185], v[150:151]
	v_fma_f64 v[182:183], v[182:183], v[150:151], -v[152:153]
	scratch_load_b128 v[150:153], off, off offset:672
	v_add_f64_e32 v[194:195], v[194:195], v[196:197]
	v_fmac_f64_e32 v[198:199], v[6:7], v[154:155]
	v_add_f64_e32 v[184:185], v[204:205], v[202:203]
	v_fma_f64 v[202:203], v[4:5], v[154:155], -v[156:157]
	ds_load_b128 v[4:7], v2 offset:1520
	s_wait_loadcnt_dscnt 0xb01
	v_mul_f64_e32 v[196:197], v[190:191], v[160:161]
	v_mul_f64_e32 v[160:161], v[192:193], v[160:161]
	scratch_load_b128 v[154:157], off, off offset:688
	v_add_f64_e32 v[194:195], v[194:195], v[200:201]
	s_wait_loadcnt_dscnt 0xb00
	v_mul_f64_e32 v[200:201], v[4:5], v[164:165]
	v_add_f64_e32 v[204:205], v[184:185], v[182:183]
	v_mul_f64_e32 v[164:165], v[6:7], v[164:165]
	ds_load_b128 v[182:185], v2 offset:1536
	v_fmac_f64_e32 v[196:197], v[192:193], v[158:159]
	v_fma_f64 v[190:191], v[190:191], v[158:159], -v[160:161]
	scratch_load_b128 v[158:161], off, off offset:704
	v_add_f64_e32 v[194:195], v[194:195], v[198:199]
	v_fmac_f64_e32 v[200:201], v[6:7], v[162:163]
	v_add_f64_e32 v[192:193], v[204:205], v[202:203]
	;; [unrolled: 18-line block ×3, first 2 shown]
	v_fma_f64 v[202:203], v[4:5], v[174:175], -v[176:177]
	ds_load_b128 v[4:7], v2 offset:1584
	s_wait_loadcnt_dscnt 0xa01
	v_mul_f64_e32 v[200:201], v[190:191], v[188:189]
	v_mul_f64_e32 v[188:189], v[192:193], v[188:189]
	scratch_load_b128 v[174:177], off, off offset:752
	v_add_f64_e32 v[194:195], v[194:195], v[198:199]
	v_add_f64_e32 v[204:205], v[184:185], v[182:183]
	s_wait_loadcnt_dscnt 0xa00
	v_mul_f64_e32 v[198:199], v[4:5], v[172:173]
	v_mul_f64_e32 v[172:173], v[6:7], v[172:173]
	v_fmac_f64_e32 v[200:201], v[192:193], v[186:187]
	v_fma_f64 v[190:191], v[190:191], v[186:187], -v[188:189]
	ds_load_b128 v[182:185], v2 offset:1600
	scratch_load_b128 v[186:189], off, off offset:768
	v_add_f64_e32 v[194:195], v[194:195], v[196:197]
	v_add_f64_e32 v[192:193], v[204:205], v[202:203]
	v_fmac_f64_e32 v[198:199], v[6:7], v[170:171]
	v_fma_f64 v[202:203], v[4:5], v[170:171], -v[172:173]
	ds_load_b128 v[4:7], v2 offset:1616
	s_wait_loadcnt_dscnt 0xa01
	v_mul_f64_e32 v[196:197], v[182:183], v[10:11]
	v_mul_f64_e32 v[10:11], v[184:185], v[10:11]
	scratch_load_b128 v[170:173], off, off offset:784
	v_add_f64_e32 v[194:195], v[194:195], v[200:201]
	s_wait_loadcnt_dscnt 0xa00
	v_mul_f64_e32 v[200:201], v[4:5], v[14:15]
	v_add_f64_e32 v[204:205], v[192:193], v[190:191]
	v_mul_f64_e32 v[14:15], v[6:7], v[14:15]
	ds_load_b128 v[190:193], v2 offset:1632
	v_fmac_f64_e32 v[196:197], v[184:185], v[8:9]
	v_fma_f64 v[182:183], v[182:183], v[8:9], -v[10:11]
	scratch_load_b128 v[8:11], off, off offset:800
	v_add_f64_e32 v[194:195], v[194:195], v[198:199]
	v_fmac_f64_e32 v[200:201], v[6:7], v[12:13]
	v_add_f64_e32 v[184:185], v[204:205], v[202:203]
	v_fma_f64 v[202:203], v[4:5], v[12:13], -v[14:15]
	ds_load_b128 v[4:7], v2 offset:1648
	s_wait_loadcnt_dscnt 0xa01
	v_mul_f64_e32 v[198:199], v[190:191], v[144:145]
	v_mul_f64_e32 v[144:145], v[192:193], v[144:145]
	scratch_load_b128 v[12:15], off, off offset:816
	v_add_f64_e32 v[194:195], v[194:195], v[196:197]
	s_wait_loadcnt_dscnt 0xa00
	v_mul_f64_e32 v[196:197], v[4:5], v[148:149]
	v_add_f64_e32 v[204:205], v[184:185], v[182:183]
	v_mul_f64_e32 v[148:149], v[6:7], v[148:149]
	ds_load_b128 v[182:185], v2 offset:1664
	v_fmac_f64_e32 v[198:199], v[192:193], v[142:143]
	v_fma_f64 v[190:191], v[190:191], v[142:143], -v[144:145]
	scratch_load_b128 v[142:145], off, off offset:832
	v_add_f64_e32 v[194:195], v[194:195], v[200:201]
	v_fmac_f64_e32 v[196:197], v[6:7], v[146:147]
	v_add_f64_e32 v[192:193], v[204:205], v[202:203]
	;; [unrolled: 18-line block ×6, first 2 shown]
	v_fma_f64 v[202:203], v[4:5], v[170:171], -v[172:173]
	ds_load_b128 v[4:7], v2 offset:1808
	s_wait_loadcnt_dscnt 0xa01
	v_mul_f64_e32 v[196:197], v[182:183], v[10:11]
	v_mul_f64_e32 v[10:11], v[184:185], v[10:11]
	scratch_load_b128 v[170:173], off, off offset:976
	v_add_f64_e32 v[194:195], v[194:195], v[200:201]
	s_wait_loadcnt_dscnt 0xa00
	v_mul_f64_e32 v[200:201], v[4:5], v[14:15]
	v_add_f64_e32 v[204:205], v[192:193], v[190:191]
	v_mul_f64_e32 v[14:15], v[6:7], v[14:15]
	ds_load_b128 v[190:193], v2 offset:1824
	v_fmac_f64_e32 v[196:197], v[184:185], v[8:9]
	v_fma_f64 v[8:9], v[182:183], v[8:9], -v[10:11]
	s_wait_loadcnt_dscnt 0x900
	v_mul_f64_e32 v[184:185], v[190:191], v[144:145]
	v_mul_f64_e32 v[144:145], v[192:193], v[144:145]
	v_add_f64_e32 v[182:183], v[194:195], v[198:199]
	v_fmac_f64_e32 v[200:201], v[6:7], v[12:13]
	v_add_f64_e32 v[10:11], v[204:205], v[202:203]
	v_fma_f64 v[12:13], v[4:5], v[12:13], -v[14:15]
	v_fmac_f64_e32 v[184:185], v[192:193], v[142:143]
	v_fma_f64 v[142:143], v[190:191], v[142:143], -v[144:145]
	v_add_f64_e32 v[182:183], v[182:183], v[196:197]
	v_add_f64_e32 v[14:15], v[10:11], v[8:9]
	ds_load_b128 v[4:7], v2 offset:1840
	ds_load_b128 v[8:11], v2 offset:1856
	s_wait_loadcnt_dscnt 0x801
	v_mul_f64_e32 v[194:195], v[4:5], v[148:149]
	v_mul_f64_e32 v[148:149], v[6:7], v[148:149]
	s_wait_loadcnt_dscnt 0x700
	v_mul_f64_e32 v[144:145], v[8:9], v[152:153]
	v_mul_f64_e32 v[152:153], v[10:11], v[152:153]
	v_add_f64_e32 v[12:13], v[14:15], v[12:13]
	v_add_f64_e32 v[14:15], v[182:183], v[200:201]
	v_fmac_f64_e32 v[194:195], v[6:7], v[146:147]
	v_fma_f64 v[146:147], v[4:5], v[146:147], -v[148:149]
	v_fmac_f64_e32 v[144:145], v[10:11], v[150:151]
	v_fma_f64 v[8:9], v[8:9], v[150:151], -v[152:153]
	v_add_f64_e32 v[142:143], v[12:13], v[142:143]
	v_add_f64_e32 v[148:149], v[14:15], v[184:185]
	ds_load_b128 v[4:7], v2 offset:1872
	ds_load_b128 v[12:15], v2 offset:1888
	s_wait_loadcnt_dscnt 0x601
	v_mul_f64_e32 v[182:183], v[4:5], v[156:157]
	v_mul_f64_e32 v[156:157], v[6:7], v[156:157]
	v_add_f64_e32 v[10:11], v[142:143], v[146:147]
	v_add_f64_e32 v[142:143], v[148:149], v[194:195]
	s_wait_loadcnt_dscnt 0x500
	v_mul_f64_e32 v[146:147], v[12:13], v[160:161]
	v_mul_f64_e32 v[148:149], v[14:15], v[160:161]
	v_fmac_f64_e32 v[182:183], v[6:7], v[154:155]
	v_fma_f64 v[150:151], v[4:5], v[154:155], -v[156:157]
	v_add_f64_e32 v[152:153], v[10:11], v[8:9]
	v_add_f64_e32 v[142:143], v[142:143], v[144:145]
	ds_load_b128 v[4:7], v2 offset:1904
	ds_load_b128 v[8:11], v2 offset:1920
	v_fmac_f64_e32 v[146:147], v[14:15], v[158:159]
	v_fma_f64 v[12:13], v[12:13], v[158:159], -v[148:149]
	s_wait_loadcnt_dscnt 0x401
	v_mul_f64_e32 v[144:145], v[4:5], v[164:165]
	v_mul_f64_e32 v[154:155], v[6:7], v[164:165]
	s_wait_loadcnt_dscnt 0x300
	v_mul_f64_e32 v[148:149], v[8:9], v[168:169]
	v_add_f64_e32 v[14:15], v[152:153], v[150:151]
	v_add_f64_e32 v[142:143], v[142:143], v[182:183]
	v_mul_f64_e32 v[150:151], v[10:11], v[168:169]
	v_fmac_f64_e32 v[144:145], v[6:7], v[162:163]
	v_fma_f64 v[152:153], v[4:5], v[162:163], -v[154:155]
	v_fmac_f64_e32 v[148:149], v[10:11], v[166:167]
	v_add_f64_e32 v[154:155], v[14:15], v[12:13]
	v_add_f64_e32 v[142:143], v[142:143], v[146:147]
	ds_load_b128 v[4:7], v2 offset:1936
	ds_load_b128 v[12:15], v2 offset:1952
	v_fma_f64 v[8:9], v[8:9], v[166:167], -v[150:151]
	s_wait_loadcnt_dscnt 0x201
	v_mul_f64_e32 v[146:147], v[4:5], v[176:177]
	v_mul_f64_e32 v[156:157], v[6:7], v[176:177]
	s_wait_loadcnt_dscnt 0x100
	v_mul_f64_e32 v[150:151], v[14:15], v[188:189]
	v_add_f64_e32 v[10:11], v[154:155], v[152:153]
	v_add_f64_e32 v[142:143], v[142:143], v[144:145]
	v_mul_f64_e32 v[144:145], v[12:13], v[188:189]
	v_fmac_f64_e32 v[146:147], v[6:7], v[174:175]
	v_fma_f64 v[152:153], v[4:5], v[174:175], -v[156:157]
	ds_load_b128 v[4:7], v2 offset:1968
	v_fma_f64 v[12:13], v[12:13], v[186:187], -v[150:151]
	v_add_f64_e32 v[8:9], v[10:11], v[8:9]
	v_add_f64_e32 v[10:11], v[142:143], v[148:149]
	v_fmac_f64_e32 v[144:145], v[14:15], v[186:187]
	s_wait_loadcnt_dscnt 0x0
	v_mul_f64_e32 v[142:143], v[4:5], v[172:173]
	v_mul_f64_e32 v[148:149], v[6:7], v[172:173]
	v_add_f64_e32 v[8:9], v[8:9], v[152:153]
	v_add_f64_e32 v[10:11], v[10:11], v[146:147]
	s_delay_alu instid0(VALU_DEP_4) | instskip(NEXT) | instid1(VALU_DEP_4)
	v_fmac_f64_e32 v[142:143], v[6:7], v[170:171]
	v_fma_f64 v[4:5], v[4:5], v[170:171], -v[148:149]
	s_delay_alu instid0(VALU_DEP_4) | instskip(NEXT) | instid1(VALU_DEP_4)
	v_add_f64_e32 v[6:7], v[8:9], v[12:13]
	v_add_f64_e32 v[8:9], v[10:11], v[144:145]
	s_delay_alu instid0(VALU_DEP_2) | instskip(NEXT) | instid1(VALU_DEP_2)
	v_add_f64_e32 v[4:5], v[6:7], v[4:5]
	v_add_f64_e32 v[6:7], v[8:9], v[142:143]
	s_delay_alu instid0(VALU_DEP_2) | instskip(NEXT) | instid1(VALU_DEP_2)
	v_add_f64_e64 v[4:5], v[178:179], -v[4:5]
	v_add_f64_e64 v[6:7], v[180:181], -v[6:7]
	scratch_store_b128 off, v[4:7], off offset:384
	s_wait_xcnt 0x0
	v_cmpx_lt_u32_e32 23, v1
	s_cbranch_execz .LBB61_351
; %bb.350:
	scratch_load_b128 v[6:9], off, s64
	v_dual_mov_b32 v3, v2 :: v_dual_mov_b32 v4, v2
	v_mov_b32_e32 v5, v2
	scratch_store_b128 off, v[2:5], off offset:368
	s_wait_loadcnt 0x0
	ds_store_b128 v16, v[6:9]
.LBB61_351:
	s_wait_xcnt 0x0
	s_or_b32 exec_lo, exec_lo, s2
	s_wait_storecnt_dscnt 0x0
	s_barrier_signal -1
	s_barrier_wait -1
	s_clause 0x9
	scratch_load_b128 v[4:7], off, off offset:384
	scratch_load_b128 v[8:11], off, off offset:400
	;; [unrolled: 1-line block ×10, first 2 shown]
	ds_load_b128 v[170:173], v2 offset:1376
	ds_load_b128 v[178:181], v2 offset:1392
	s_clause 0x2
	scratch_load_b128 v[174:177], off, off offset:544
	scratch_load_b128 v[182:185], off, off offset:368
	;; [unrolled: 1-line block ×3, first 2 shown]
	s_mov_b32 s2, exec_lo
	s_wait_loadcnt_dscnt 0xc01
	v_mul_f64_e32 v[190:191], v[172:173], v[6:7]
	v_mul_f64_e32 v[194:195], v[170:171], v[6:7]
	s_wait_loadcnt_dscnt 0xb00
	v_mul_f64_e32 v[196:197], v[178:179], v[10:11]
	v_mul_f64_e32 v[10:11], v[180:181], v[10:11]
	s_delay_alu instid0(VALU_DEP_4) | instskip(NEXT) | instid1(VALU_DEP_4)
	v_fma_f64 v[198:199], v[170:171], v[4:5], -v[190:191]
	v_fmac_f64_e32 v[194:195], v[172:173], v[4:5]
	ds_load_b128 v[4:7], v2 offset:1408
	ds_load_b128 v[170:173], v2 offset:1424
	scratch_load_b128 v[190:193], off, off offset:576
	v_fmac_f64_e32 v[196:197], v[180:181], v[8:9]
	v_fma_f64 v[178:179], v[178:179], v[8:9], -v[10:11]
	scratch_load_b128 v[8:11], off, off offset:592
	s_wait_loadcnt_dscnt 0xc01
	v_mul_f64_e32 v[200:201], v[4:5], v[14:15]
	v_mul_f64_e32 v[14:15], v[6:7], v[14:15]
	v_add_f64_e32 v[180:181], 0, v[198:199]
	v_add_f64_e32 v[194:195], 0, v[194:195]
	s_wait_loadcnt_dscnt 0xb00
	v_mul_f64_e32 v[198:199], v[170:171], v[144:145]
	v_mul_f64_e32 v[144:145], v[172:173], v[144:145]
	v_fmac_f64_e32 v[200:201], v[6:7], v[12:13]
	v_fma_f64 v[202:203], v[4:5], v[12:13], -v[14:15]
	ds_load_b128 v[4:7], v2 offset:1440
	ds_load_b128 v[12:15], v2 offset:1456
	v_add_f64_e32 v[204:205], v[180:181], v[178:179]
	v_add_f64_e32 v[194:195], v[194:195], v[196:197]
	scratch_load_b128 v[178:181], off, off offset:608
	v_fmac_f64_e32 v[198:199], v[172:173], v[142:143]
	v_fma_f64 v[170:171], v[170:171], v[142:143], -v[144:145]
	scratch_load_b128 v[142:145], off, off offset:624
	s_wait_loadcnt_dscnt 0xc01
	v_mul_f64_e32 v[196:197], v[4:5], v[148:149]
	v_mul_f64_e32 v[148:149], v[6:7], v[148:149]
	v_add_f64_e32 v[172:173], v[204:205], v[202:203]
	v_add_f64_e32 v[194:195], v[194:195], v[200:201]
	s_wait_loadcnt_dscnt 0xb00
	v_mul_f64_e32 v[200:201], v[12:13], v[152:153]
	v_mul_f64_e32 v[152:153], v[14:15], v[152:153]
	v_fmac_f64_e32 v[196:197], v[6:7], v[146:147]
	v_fma_f64 v[202:203], v[4:5], v[146:147], -v[148:149]
	ds_load_b128 v[4:7], v2 offset:1472
	ds_load_b128 v[146:149], v2 offset:1488
	v_add_f64_e32 v[204:205], v[172:173], v[170:171]
	v_add_f64_e32 v[194:195], v[194:195], v[198:199]
	scratch_load_b128 v[170:173], off, off offset:640
	s_wait_loadcnt_dscnt 0xb01
	v_mul_f64_e32 v[198:199], v[4:5], v[156:157]
	v_mul_f64_e32 v[156:157], v[6:7], v[156:157]
	v_fmac_f64_e32 v[200:201], v[14:15], v[150:151]
	v_fma_f64 v[150:151], v[12:13], v[150:151], -v[152:153]
	scratch_load_b128 v[12:15], off, off offset:656
	v_add_f64_e32 v[152:153], v[204:205], v[202:203]
	v_add_f64_e32 v[194:195], v[194:195], v[196:197]
	s_wait_loadcnt_dscnt 0xb00
	v_mul_f64_e32 v[196:197], v[146:147], v[160:161]
	v_mul_f64_e32 v[160:161], v[148:149], v[160:161]
	v_fmac_f64_e32 v[198:199], v[6:7], v[154:155]
	v_fma_f64 v[202:203], v[4:5], v[154:155], -v[156:157]
	v_add_f64_e32 v[204:205], v[152:153], v[150:151]
	v_add_f64_e32 v[194:195], v[194:195], v[200:201]
	ds_load_b128 v[4:7], v2 offset:1504
	ds_load_b128 v[150:153], v2 offset:1520
	scratch_load_b128 v[154:157], off, off offset:672
	v_fmac_f64_e32 v[196:197], v[148:149], v[158:159]
	v_fma_f64 v[158:159], v[146:147], v[158:159], -v[160:161]
	scratch_load_b128 v[146:149], off, off offset:688
	s_wait_loadcnt_dscnt 0xc01
	v_mul_f64_e32 v[200:201], v[4:5], v[164:165]
	v_mul_f64_e32 v[164:165], v[6:7], v[164:165]
	v_add_f64_e32 v[160:161], v[204:205], v[202:203]
	v_add_f64_e32 v[194:195], v[194:195], v[198:199]
	s_wait_loadcnt_dscnt 0xb00
	v_mul_f64_e32 v[198:199], v[150:151], v[168:169]
	v_mul_f64_e32 v[168:169], v[152:153], v[168:169]
	v_fmac_f64_e32 v[200:201], v[6:7], v[162:163]
	v_fma_f64 v[202:203], v[4:5], v[162:163], -v[164:165]
	v_add_f64_e32 v[204:205], v[160:161], v[158:159]
	v_add_f64_e32 v[194:195], v[194:195], v[196:197]
	ds_load_b128 v[4:7], v2 offset:1536
	ds_load_b128 v[158:161], v2 offset:1552
	scratch_load_b128 v[162:165], off, off offset:704
	v_fmac_f64_e32 v[198:199], v[152:153], v[166:167]
	v_fma_f64 v[166:167], v[150:151], v[166:167], -v[168:169]
	scratch_load_b128 v[150:153], off, off offset:720
	s_wait_loadcnt_dscnt 0xc01
	v_mul_f64_e32 v[196:197], v[4:5], v[176:177]
	v_mul_f64_e32 v[176:177], v[6:7], v[176:177]
	;; [unrolled: 18-line block ×5, first 2 shown]
	v_add_f64_e32 v[188:189], v[204:205], v[202:203]
	v_add_f64_e32 v[194:195], v[194:195], v[200:201]
	s_wait_loadcnt_dscnt 0xa00
	v_mul_f64_e32 v[200:201], v[166:167], v[14:15]
	v_mul_f64_e32 v[14:15], v[168:169], v[14:15]
	v_fmac_f64_e32 v[196:197], v[6:7], v[170:171]
	v_fma_f64 v[202:203], v[4:5], v[170:171], -v[172:173]
	ds_load_b128 v[4:7], v2 offset:1664
	ds_load_b128 v[170:173], v2 offset:1680
	v_add_f64_e32 v[204:205], v[188:189], v[186:187]
	v_add_f64_e32 v[194:195], v[194:195], v[198:199]
	scratch_load_b128 v[186:189], off, off offset:832
	v_fmac_f64_e32 v[200:201], v[168:169], v[12:13]
	v_fma_f64 v[166:167], v[166:167], v[12:13], -v[14:15]
	scratch_load_b128 v[12:15], off, off offset:848
	s_wait_loadcnt_dscnt 0xb01
	v_mul_f64_e32 v[198:199], v[4:5], v[156:157]
	v_mul_f64_e32 v[156:157], v[6:7], v[156:157]
	v_add_f64_e32 v[168:169], v[204:205], v[202:203]
	v_add_f64_e32 v[194:195], v[194:195], v[196:197]
	s_wait_loadcnt_dscnt 0xa00
	v_mul_f64_e32 v[196:197], v[170:171], v[148:149]
	v_mul_f64_e32 v[148:149], v[172:173], v[148:149]
	v_fmac_f64_e32 v[198:199], v[6:7], v[154:155]
	v_fma_f64 v[202:203], v[4:5], v[154:155], -v[156:157]
	ds_load_b128 v[4:7], v2 offset:1696
	ds_load_b128 v[154:157], v2 offset:1712
	v_add_f64_e32 v[204:205], v[168:169], v[166:167]
	v_add_f64_e32 v[194:195], v[194:195], v[200:201]
	scratch_load_b128 v[166:169], off, off offset:864
	s_wait_loadcnt_dscnt 0xa01
	v_mul_f64_e32 v[200:201], v[4:5], v[164:165]
	v_mul_f64_e32 v[164:165], v[6:7], v[164:165]
	v_fmac_f64_e32 v[196:197], v[172:173], v[146:147]
	v_fma_f64 v[170:171], v[170:171], v[146:147], -v[148:149]
	scratch_load_b128 v[146:149], off, off offset:880
	v_add_f64_e32 v[172:173], v[204:205], v[202:203]
	v_add_f64_e32 v[194:195], v[194:195], v[198:199]
	s_wait_loadcnt_dscnt 0xa00
	v_mul_f64_e32 v[198:199], v[154:155], v[152:153]
	v_mul_f64_e32 v[152:153], v[156:157], v[152:153]
	v_fmac_f64_e32 v[200:201], v[6:7], v[162:163]
	v_fma_f64 v[202:203], v[4:5], v[162:163], -v[164:165]
	ds_load_b128 v[4:7], v2 offset:1728
	ds_load_b128 v[162:165], v2 offset:1744
	v_add_f64_e32 v[204:205], v[172:173], v[170:171]
	v_add_f64_e32 v[194:195], v[194:195], v[196:197]
	scratch_load_b128 v[170:173], off, off offset:896
	s_wait_loadcnt_dscnt 0xa01
	v_mul_f64_e32 v[196:197], v[4:5], v[176:177]
	v_mul_f64_e32 v[176:177], v[6:7], v[176:177]
	v_fmac_f64_e32 v[198:199], v[156:157], v[150:151]
	v_fma_f64 v[154:155], v[154:155], v[150:151], -v[152:153]
	scratch_load_b128 v[150:153], off, off offset:912
	v_add_f64_e32 v[156:157], v[204:205], v[202:203]
	v_add_f64_e32 v[194:195], v[194:195], v[200:201]
	s_wait_loadcnt_dscnt 0xa00
	v_mul_f64_e32 v[200:201], v[162:163], v[160:161]
	v_mul_f64_e32 v[160:161], v[164:165], v[160:161]
	v_fmac_f64_e32 v[196:197], v[6:7], v[174:175]
	v_fma_f64 v[202:203], v[4:5], v[174:175], -v[176:177]
	v_add_f64_e32 v[204:205], v[156:157], v[154:155]
	v_add_f64_e32 v[194:195], v[194:195], v[198:199]
	ds_load_b128 v[4:7], v2 offset:1760
	ds_load_b128 v[154:157], v2 offset:1776
	scratch_load_b128 v[174:177], off, off offset:928
	v_fmac_f64_e32 v[200:201], v[164:165], v[158:159]
	v_fma_f64 v[162:163], v[162:163], v[158:159], -v[160:161]
	scratch_load_b128 v[158:161], off, off offset:944
	s_wait_loadcnt_dscnt 0xb01
	v_mul_f64_e32 v[198:199], v[4:5], v[192:193]
	v_mul_f64_e32 v[192:193], v[6:7], v[192:193]
	v_add_f64_e32 v[164:165], v[204:205], v[202:203]
	v_add_f64_e32 v[194:195], v[194:195], v[196:197]
	s_wait_loadcnt_dscnt 0xa00
	v_mul_f64_e32 v[196:197], v[154:155], v[10:11]
	v_mul_f64_e32 v[10:11], v[156:157], v[10:11]
	v_fmac_f64_e32 v[198:199], v[6:7], v[190:191]
	v_fma_f64 v[202:203], v[4:5], v[190:191], -v[192:193]
	v_add_f64_e32 v[204:205], v[164:165], v[162:163]
	v_add_f64_e32 v[194:195], v[194:195], v[200:201]
	ds_load_b128 v[4:7], v2 offset:1792
	ds_load_b128 v[162:165], v2 offset:1808
	scratch_load_b128 v[190:193], off, off offset:960
	v_fmac_f64_e32 v[196:197], v[156:157], v[8:9]
	v_fma_f64 v[154:155], v[154:155], v[8:9], -v[10:11]
	scratch_load_b128 v[8:11], off, off offset:976
	s_wait_loadcnt_dscnt 0xb01
	v_mul_f64_e32 v[200:201], v[4:5], v[180:181]
	v_mul_f64_e32 v[180:181], v[6:7], v[180:181]
	v_add_f64_e32 v[156:157], v[204:205], v[202:203]
	v_add_f64_e32 v[194:195], v[194:195], v[198:199]
	s_wait_loadcnt_dscnt 0xa00
	v_mul_f64_e32 v[198:199], v[162:163], v[144:145]
	v_mul_f64_e32 v[144:145], v[164:165], v[144:145]
	v_fmac_f64_e32 v[200:201], v[6:7], v[178:179]
	v_fma_f64 v[178:179], v[4:5], v[178:179], -v[180:181]
	v_add_f64_e32 v[180:181], v[156:157], v[154:155]
	v_add_f64_e32 v[194:195], v[194:195], v[196:197]
	ds_load_b128 v[4:7], v2 offset:1824
	ds_load_b128 v[154:157], v2 offset:1840
	v_fmac_f64_e32 v[198:199], v[164:165], v[142:143]
	v_fma_f64 v[142:143], v[162:163], v[142:143], -v[144:145]
	s_wait_loadcnt_dscnt 0x901
	v_mul_f64_e32 v[196:197], v[4:5], v[188:189]
	v_mul_f64_e32 v[188:189], v[6:7], v[188:189]
	s_wait_loadcnt_dscnt 0x800
	v_mul_f64_e32 v[164:165], v[154:155], v[14:15]
	v_mul_f64_e32 v[14:15], v[156:157], v[14:15]
	v_add_f64_e32 v[144:145], v[180:181], v[178:179]
	v_add_f64_e32 v[162:163], v[194:195], v[200:201]
	v_fmac_f64_e32 v[196:197], v[6:7], v[186:187]
	v_fma_f64 v[178:179], v[4:5], v[186:187], -v[188:189]
	v_fmac_f64_e32 v[164:165], v[156:157], v[12:13]
	v_fma_f64 v[12:13], v[154:155], v[12:13], -v[14:15]
	v_add_f64_e32 v[180:181], v[144:145], v[142:143]
	v_add_f64_e32 v[162:163], v[162:163], v[198:199]
	ds_load_b128 v[4:7], v2 offset:1856
	ds_load_b128 v[142:145], v2 offset:1872
	s_wait_loadcnt_dscnt 0x701
	v_mul_f64_e32 v[186:187], v[4:5], v[168:169]
	v_mul_f64_e32 v[168:169], v[6:7], v[168:169]
	s_wait_loadcnt_dscnt 0x600
	v_mul_f64_e32 v[156:157], v[142:143], v[148:149]
	v_mul_f64_e32 v[148:149], v[144:145], v[148:149]
	v_add_f64_e32 v[14:15], v[180:181], v[178:179]
	v_add_f64_e32 v[154:155], v[162:163], v[196:197]
	v_fmac_f64_e32 v[186:187], v[6:7], v[166:167]
	v_fma_f64 v[162:163], v[4:5], v[166:167], -v[168:169]
	v_fmac_f64_e32 v[156:157], v[144:145], v[146:147]
	v_fma_f64 v[142:143], v[142:143], v[146:147], -v[148:149]
	v_add_f64_e32 v[166:167], v[14:15], v[12:13]
	v_add_f64_e32 v[154:155], v[154:155], v[164:165]
	ds_load_b128 v[4:7], v2 offset:1888
	ds_load_b128 v[12:15], v2 offset:1904
	;; [unrolled: 16-line block ×4, first 2 shown]
	s_wait_loadcnt_dscnt 0x101
	v_mul_f64_e32 v[2:3], v[4:5], v[192:193]
	v_mul_f64_e32 v[148:149], v[6:7], v[192:193]
	s_wait_loadcnt_dscnt 0x0
	v_mul_f64_e32 v[152:153], v[12:13], v[10:11]
	v_mul_f64_e32 v[10:11], v[14:15], v[10:11]
	v_add_f64_e32 v[144:145], v[160:161], v[154:155]
	v_add_f64_e32 v[146:147], v[146:147], v[156:157]
	v_fmac_f64_e32 v[2:3], v[6:7], v[190:191]
	v_fma_f64 v[4:5], v[4:5], v[190:191], -v[148:149]
	v_fmac_f64_e32 v[152:153], v[14:15], v[8:9]
	v_fma_f64 v[8:9], v[12:13], v[8:9], -v[10:11]
	v_add_f64_e32 v[6:7], v[144:145], v[142:143]
	v_add_f64_e32 v[142:143], v[146:147], v[150:151]
	s_delay_alu instid0(VALU_DEP_2) | instskip(NEXT) | instid1(VALU_DEP_2)
	v_add_f64_e32 v[4:5], v[6:7], v[4:5]
	v_add_f64_e32 v[2:3], v[142:143], v[2:3]
	s_delay_alu instid0(VALU_DEP_2) | instskip(NEXT) | instid1(VALU_DEP_2)
	;; [unrolled: 3-line block ×3, first 2 shown]
	v_add_f64_e64 v[2:3], v[182:183], -v[4:5]
	v_add_f64_e64 v[4:5], v[184:185], -v[6:7]
	scratch_store_b128 off, v[2:5], off offset:368
	s_wait_xcnt 0x0
	v_cmpx_lt_u32_e32 22, v1
	s_cbranch_execz .LBB61_353
; %bb.352:
	scratch_load_b128 v[2:5], off, s61
	v_mov_b32_e32 v6, 0
	s_delay_alu instid0(VALU_DEP_1)
	v_dual_mov_b32 v7, v6 :: v_dual_mov_b32 v8, v6
	v_mov_b32_e32 v9, v6
	scratch_store_b128 off, v[6:9], off offset:352
	s_wait_loadcnt 0x0
	ds_store_b128 v16, v[2:5]
.LBB61_353:
	s_wait_xcnt 0x0
	s_or_b32 exec_lo, exec_lo, s2
	s_wait_storecnt_dscnt 0x0
	s_barrier_signal -1
	s_barrier_wait -1
	s_clause 0x9
	scratch_load_b128 v[4:7], off, off offset:368
	scratch_load_b128 v[8:11], off, off offset:384
	scratch_load_b128 v[12:15], off, off offset:400
	scratch_load_b128 v[142:145], off, off offset:416
	scratch_load_b128 v[146:149], off, off offset:432
	scratch_load_b128 v[150:153], off, off offset:448
	scratch_load_b128 v[154:157], off, off offset:464
	scratch_load_b128 v[158:161], off, off offset:480
	scratch_load_b128 v[162:165], off, off offset:496
	scratch_load_b128 v[166:169], off, off offset:512
	v_mov_b32_e32 v2, 0
	s_mov_b32 s2, exec_lo
	ds_load_b128 v[170:173], v2 offset:1360
	s_clause 0x2
	scratch_load_b128 v[174:177], off, off offset:528
	scratch_load_b128 v[178:181], off, off offset:352
	;; [unrolled: 1-line block ×3, first 2 shown]
	s_wait_loadcnt_dscnt 0xc00
	v_mul_f64_e32 v[190:191], v[172:173], v[6:7]
	v_mul_f64_e32 v[194:195], v[170:171], v[6:7]
	ds_load_b128 v[182:185], v2 offset:1376
	v_fma_f64 v[198:199], v[170:171], v[4:5], -v[190:191]
	v_fmac_f64_e32 v[194:195], v[172:173], v[4:5]
	ds_load_b128 v[4:7], v2 offset:1392
	s_wait_loadcnt_dscnt 0xb01
	v_mul_f64_e32 v[196:197], v[182:183], v[10:11]
	v_mul_f64_e32 v[10:11], v[184:185], v[10:11]
	scratch_load_b128 v[170:173], off, off offset:560
	ds_load_b128 v[190:193], v2 offset:1408
	s_wait_loadcnt_dscnt 0xb01
	v_mul_f64_e32 v[200:201], v[4:5], v[14:15]
	v_mul_f64_e32 v[14:15], v[6:7], v[14:15]
	v_add_f64_e32 v[194:195], 0, v[194:195]
	v_fmac_f64_e32 v[196:197], v[184:185], v[8:9]
	v_fma_f64 v[182:183], v[182:183], v[8:9], -v[10:11]
	v_add_f64_e32 v[184:185], 0, v[198:199]
	scratch_load_b128 v[8:11], off, off offset:576
	v_fmac_f64_e32 v[200:201], v[6:7], v[12:13]
	v_fma_f64 v[202:203], v[4:5], v[12:13], -v[14:15]
	ds_load_b128 v[4:7], v2 offset:1424
	s_wait_loadcnt_dscnt 0xb01
	v_mul_f64_e32 v[198:199], v[190:191], v[144:145]
	v_mul_f64_e32 v[144:145], v[192:193], v[144:145]
	scratch_load_b128 v[12:15], off, off offset:592
	v_add_f64_e32 v[194:195], v[194:195], v[196:197]
	v_add_f64_e32 v[204:205], v[184:185], v[182:183]
	ds_load_b128 v[182:185], v2 offset:1440
	s_wait_loadcnt_dscnt 0xb01
	v_mul_f64_e32 v[196:197], v[4:5], v[148:149]
	v_mul_f64_e32 v[148:149], v[6:7], v[148:149]
	v_fmac_f64_e32 v[198:199], v[192:193], v[142:143]
	v_fma_f64 v[190:191], v[190:191], v[142:143], -v[144:145]
	scratch_load_b128 v[142:145], off, off offset:608
	v_add_f64_e32 v[194:195], v[194:195], v[200:201]
	v_add_f64_e32 v[192:193], v[204:205], v[202:203]
	v_fmac_f64_e32 v[196:197], v[6:7], v[146:147]
	v_fma_f64 v[202:203], v[4:5], v[146:147], -v[148:149]
	ds_load_b128 v[4:7], v2 offset:1456
	s_wait_loadcnt_dscnt 0xb01
	v_mul_f64_e32 v[200:201], v[182:183], v[152:153]
	v_mul_f64_e32 v[152:153], v[184:185], v[152:153]
	scratch_load_b128 v[146:149], off, off offset:624
	v_add_f64_e32 v[194:195], v[194:195], v[198:199]
	s_wait_loadcnt_dscnt 0xb00
	v_mul_f64_e32 v[198:199], v[4:5], v[156:157]
	v_add_f64_e32 v[204:205], v[192:193], v[190:191]
	v_mul_f64_e32 v[156:157], v[6:7], v[156:157]
	ds_load_b128 v[190:193], v2 offset:1472
	v_fmac_f64_e32 v[200:201], v[184:185], v[150:151]
	v_fma_f64 v[182:183], v[182:183], v[150:151], -v[152:153]
	scratch_load_b128 v[150:153], off, off offset:640
	v_add_f64_e32 v[194:195], v[194:195], v[196:197]
	v_fmac_f64_e32 v[198:199], v[6:7], v[154:155]
	v_add_f64_e32 v[184:185], v[204:205], v[202:203]
	v_fma_f64 v[202:203], v[4:5], v[154:155], -v[156:157]
	ds_load_b128 v[4:7], v2 offset:1488
	s_wait_loadcnt_dscnt 0xb01
	v_mul_f64_e32 v[196:197], v[190:191], v[160:161]
	v_mul_f64_e32 v[160:161], v[192:193], v[160:161]
	scratch_load_b128 v[154:157], off, off offset:656
	v_add_f64_e32 v[194:195], v[194:195], v[200:201]
	s_wait_loadcnt_dscnt 0xb00
	v_mul_f64_e32 v[200:201], v[4:5], v[164:165]
	v_add_f64_e32 v[204:205], v[184:185], v[182:183]
	v_mul_f64_e32 v[164:165], v[6:7], v[164:165]
	ds_load_b128 v[182:185], v2 offset:1504
	v_fmac_f64_e32 v[196:197], v[192:193], v[158:159]
	v_fma_f64 v[190:191], v[190:191], v[158:159], -v[160:161]
	scratch_load_b128 v[158:161], off, off offset:672
	v_add_f64_e32 v[194:195], v[194:195], v[198:199]
	v_fmac_f64_e32 v[200:201], v[6:7], v[162:163]
	v_add_f64_e32 v[192:193], v[204:205], v[202:203]
	;; [unrolled: 18-line block ×3, first 2 shown]
	v_fma_f64 v[202:203], v[4:5], v[174:175], -v[176:177]
	ds_load_b128 v[4:7], v2 offset:1552
	s_wait_loadcnt_dscnt 0xa01
	v_mul_f64_e32 v[200:201], v[190:191], v[188:189]
	v_mul_f64_e32 v[188:189], v[192:193], v[188:189]
	scratch_load_b128 v[174:177], off, off offset:720
	v_add_f64_e32 v[194:195], v[194:195], v[198:199]
	v_add_f64_e32 v[204:205], v[184:185], v[182:183]
	s_wait_loadcnt_dscnt 0xa00
	v_mul_f64_e32 v[198:199], v[4:5], v[172:173]
	v_mul_f64_e32 v[172:173], v[6:7], v[172:173]
	v_fmac_f64_e32 v[200:201], v[192:193], v[186:187]
	v_fma_f64 v[190:191], v[190:191], v[186:187], -v[188:189]
	ds_load_b128 v[182:185], v2 offset:1568
	scratch_load_b128 v[186:189], off, off offset:736
	v_add_f64_e32 v[194:195], v[194:195], v[196:197]
	v_add_f64_e32 v[192:193], v[204:205], v[202:203]
	v_fmac_f64_e32 v[198:199], v[6:7], v[170:171]
	v_fma_f64 v[202:203], v[4:5], v[170:171], -v[172:173]
	ds_load_b128 v[4:7], v2 offset:1584
	s_wait_loadcnt_dscnt 0xa01
	v_mul_f64_e32 v[196:197], v[182:183], v[10:11]
	v_mul_f64_e32 v[10:11], v[184:185], v[10:11]
	scratch_load_b128 v[170:173], off, off offset:752
	v_add_f64_e32 v[194:195], v[194:195], v[200:201]
	s_wait_loadcnt_dscnt 0xa00
	v_mul_f64_e32 v[200:201], v[4:5], v[14:15]
	v_add_f64_e32 v[204:205], v[192:193], v[190:191]
	v_mul_f64_e32 v[14:15], v[6:7], v[14:15]
	ds_load_b128 v[190:193], v2 offset:1600
	v_fmac_f64_e32 v[196:197], v[184:185], v[8:9]
	v_fma_f64 v[182:183], v[182:183], v[8:9], -v[10:11]
	scratch_load_b128 v[8:11], off, off offset:768
	v_add_f64_e32 v[194:195], v[194:195], v[198:199]
	v_fmac_f64_e32 v[200:201], v[6:7], v[12:13]
	v_add_f64_e32 v[184:185], v[204:205], v[202:203]
	v_fma_f64 v[202:203], v[4:5], v[12:13], -v[14:15]
	ds_load_b128 v[4:7], v2 offset:1616
	s_wait_loadcnt_dscnt 0xa01
	v_mul_f64_e32 v[198:199], v[190:191], v[144:145]
	v_mul_f64_e32 v[144:145], v[192:193], v[144:145]
	scratch_load_b128 v[12:15], off, off offset:784
	v_add_f64_e32 v[194:195], v[194:195], v[196:197]
	s_wait_loadcnt_dscnt 0xa00
	v_mul_f64_e32 v[196:197], v[4:5], v[148:149]
	v_add_f64_e32 v[204:205], v[184:185], v[182:183]
	v_mul_f64_e32 v[148:149], v[6:7], v[148:149]
	ds_load_b128 v[182:185], v2 offset:1632
	v_fmac_f64_e32 v[198:199], v[192:193], v[142:143]
	v_fma_f64 v[190:191], v[190:191], v[142:143], -v[144:145]
	scratch_load_b128 v[142:145], off, off offset:800
	v_add_f64_e32 v[194:195], v[194:195], v[200:201]
	v_fmac_f64_e32 v[196:197], v[6:7], v[146:147]
	v_add_f64_e32 v[192:193], v[204:205], v[202:203]
	;; [unrolled: 18-line block ×7, first 2 shown]
	v_fma_f64 v[202:203], v[4:5], v[12:13], -v[14:15]
	ds_load_b128 v[4:7], v2 offset:1808
	s_wait_loadcnt_dscnt 0xa01
	v_mul_f64_e32 v[198:199], v[190:191], v[144:145]
	v_mul_f64_e32 v[144:145], v[192:193], v[144:145]
	scratch_load_b128 v[12:15], off, off offset:976
	v_add_f64_e32 v[194:195], v[194:195], v[196:197]
	s_wait_loadcnt_dscnt 0xa00
	v_mul_f64_e32 v[196:197], v[4:5], v[148:149]
	v_add_f64_e32 v[204:205], v[184:185], v[182:183]
	v_mul_f64_e32 v[148:149], v[6:7], v[148:149]
	ds_load_b128 v[182:185], v2 offset:1824
	v_fmac_f64_e32 v[198:199], v[192:193], v[142:143]
	v_fma_f64 v[142:143], v[190:191], v[142:143], -v[144:145]
	s_wait_loadcnt_dscnt 0x900
	v_mul_f64_e32 v[192:193], v[182:183], v[152:153]
	v_mul_f64_e32 v[152:153], v[184:185], v[152:153]
	v_add_f64_e32 v[190:191], v[194:195], v[200:201]
	v_fmac_f64_e32 v[196:197], v[6:7], v[146:147]
	v_add_f64_e32 v[144:145], v[204:205], v[202:203]
	v_fma_f64 v[146:147], v[4:5], v[146:147], -v[148:149]
	v_fmac_f64_e32 v[192:193], v[184:185], v[150:151]
	v_fma_f64 v[150:151], v[182:183], v[150:151], -v[152:153]
	v_add_f64_e32 v[190:191], v[190:191], v[198:199]
	v_add_f64_e32 v[148:149], v[144:145], v[142:143]
	ds_load_b128 v[4:7], v2 offset:1840
	ds_load_b128 v[142:145], v2 offset:1856
	s_wait_loadcnt_dscnt 0x801
	v_mul_f64_e32 v[194:195], v[4:5], v[156:157]
	v_mul_f64_e32 v[156:157], v[6:7], v[156:157]
	s_wait_loadcnt_dscnt 0x700
	v_mul_f64_e32 v[152:153], v[142:143], v[160:161]
	v_mul_f64_e32 v[160:161], v[144:145], v[160:161]
	v_add_f64_e32 v[146:147], v[148:149], v[146:147]
	v_add_f64_e32 v[148:149], v[190:191], v[196:197]
	v_fmac_f64_e32 v[194:195], v[6:7], v[154:155]
	v_fma_f64 v[154:155], v[4:5], v[154:155], -v[156:157]
	v_fmac_f64_e32 v[152:153], v[144:145], v[158:159]
	v_fma_f64 v[142:143], v[142:143], v[158:159], -v[160:161]
	v_add_f64_e32 v[150:151], v[146:147], v[150:151]
	v_add_f64_e32 v[156:157], v[148:149], v[192:193]
	ds_load_b128 v[4:7], v2 offset:1872
	ds_load_b128 v[146:149], v2 offset:1888
	s_wait_loadcnt_dscnt 0x601
	v_mul_f64_e32 v[182:183], v[4:5], v[164:165]
	v_mul_f64_e32 v[164:165], v[6:7], v[164:165]
	v_add_f64_e32 v[144:145], v[150:151], v[154:155]
	v_add_f64_e32 v[150:151], v[156:157], v[194:195]
	s_wait_loadcnt_dscnt 0x500
	v_mul_f64_e32 v[154:155], v[146:147], v[168:169]
	v_mul_f64_e32 v[156:157], v[148:149], v[168:169]
	v_fmac_f64_e32 v[182:183], v[6:7], v[162:163]
	v_fma_f64 v[158:159], v[4:5], v[162:163], -v[164:165]
	v_add_f64_e32 v[160:161], v[144:145], v[142:143]
	v_add_f64_e32 v[150:151], v[150:151], v[152:153]
	ds_load_b128 v[4:7], v2 offset:1904
	ds_load_b128 v[142:145], v2 offset:1920
	v_fmac_f64_e32 v[154:155], v[148:149], v[166:167]
	v_fma_f64 v[146:147], v[146:147], v[166:167], -v[156:157]
	s_wait_loadcnt_dscnt 0x401
	v_mul_f64_e32 v[152:153], v[4:5], v[176:177]
	v_mul_f64_e32 v[162:163], v[6:7], v[176:177]
	s_wait_loadcnt_dscnt 0x300
	v_mul_f64_e32 v[156:157], v[142:143], v[188:189]
	v_add_f64_e32 v[148:149], v[160:161], v[158:159]
	v_add_f64_e32 v[150:151], v[150:151], v[182:183]
	v_mul_f64_e32 v[158:159], v[144:145], v[188:189]
	v_fmac_f64_e32 v[152:153], v[6:7], v[174:175]
	v_fma_f64 v[160:161], v[4:5], v[174:175], -v[162:163]
	v_fmac_f64_e32 v[156:157], v[144:145], v[186:187]
	v_add_f64_e32 v[162:163], v[148:149], v[146:147]
	v_add_f64_e32 v[150:151], v[150:151], v[154:155]
	ds_load_b128 v[4:7], v2 offset:1936
	ds_load_b128 v[146:149], v2 offset:1952
	v_fma_f64 v[142:143], v[142:143], v[186:187], -v[158:159]
	s_wait_loadcnt_dscnt 0x201
	v_mul_f64_e32 v[154:155], v[4:5], v[172:173]
	v_mul_f64_e32 v[164:165], v[6:7], v[172:173]
	v_add_f64_e32 v[144:145], v[162:163], v[160:161]
	v_add_f64_e32 v[150:151], v[150:151], v[152:153]
	s_wait_loadcnt_dscnt 0x100
	v_mul_f64_e32 v[152:153], v[146:147], v[10:11]
	v_mul_f64_e32 v[10:11], v[148:149], v[10:11]
	v_fmac_f64_e32 v[154:155], v[6:7], v[170:171]
	v_fma_f64 v[158:159], v[4:5], v[170:171], -v[164:165]
	ds_load_b128 v[4:7], v2 offset:1968
	v_add_f64_e32 v[142:143], v[144:145], v[142:143]
	v_add_f64_e32 v[144:145], v[150:151], v[156:157]
	v_fmac_f64_e32 v[152:153], v[148:149], v[8:9]
	v_fma_f64 v[8:9], v[146:147], v[8:9], -v[10:11]
	s_wait_loadcnt_dscnt 0x0
	v_mul_f64_e32 v[150:151], v[4:5], v[14:15]
	v_mul_f64_e32 v[14:15], v[6:7], v[14:15]
	v_add_f64_e32 v[10:11], v[142:143], v[158:159]
	v_add_f64_e32 v[142:143], v[144:145], v[154:155]
	s_delay_alu instid0(VALU_DEP_4) | instskip(NEXT) | instid1(VALU_DEP_4)
	v_fmac_f64_e32 v[150:151], v[6:7], v[12:13]
	v_fma_f64 v[4:5], v[4:5], v[12:13], -v[14:15]
	s_delay_alu instid0(VALU_DEP_4) | instskip(NEXT) | instid1(VALU_DEP_4)
	v_add_f64_e32 v[6:7], v[10:11], v[8:9]
	v_add_f64_e32 v[8:9], v[142:143], v[152:153]
	s_delay_alu instid0(VALU_DEP_2) | instskip(NEXT) | instid1(VALU_DEP_2)
	v_add_f64_e32 v[4:5], v[6:7], v[4:5]
	v_add_f64_e32 v[6:7], v[8:9], v[150:151]
	s_delay_alu instid0(VALU_DEP_2) | instskip(NEXT) | instid1(VALU_DEP_2)
	v_add_f64_e64 v[4:5], v[178:179], -v[4:5]
	v_add_f64_e64 v[6:7], v[180:181], -v[6:7]
	scratch_store_b128 off, v[4:7], off offset:352
	s_wait_xcnt 0x0
	v_cmpx_lt_u32_e32 21, v1
	s_cbranch_execz .LBB61_355
; %bb.354:
	scratch_load_b128 v[6:9], off, s59
	v_dual_mov_b32 v3, v2 :: v_dual_mov_b32 v4, v2
	v_mov_b32_e32 v5, v2
	scratch_store_b128 off, v[2:5], off offset:336
	s_wait_loadcnt 0x0
	ds_store_b128 v16, v[6:9]
.LBB61_355:
	s_wait_xcnt 0x0
	s_or_b32 exec_lo, exec_lo, s2
	s_wait_storecnt_dscnt 0x0
	s_barrier_signal -1
	s_barrier_wait -1
	s_clause 0x9
	scratch_load_b128 v[4:7], off, off offset:352
	scratch_load_b128 v[8:11], off, off offset:368
	;; [unrolled: 1-line block ×10, first 2 shown]
	ds_load_b128 v[170:173], v2 offset:1344
	ds_load_b128 v[178:181], v2 offset:1360
	s_clause 0x2
	scratch_load_b128 v[174:177], off, off offset:512
	scratch_load_b128 v[182:185], off, off offset:336
	;; [unrolled: 1-line block ×3, first 2 shown]
	s_mov_b32 s2, exec_lo
	s_wait_loadcnt_dscnt 0xc01
	v_mul_f64_e32 v[190:191], v[172:173], v[6:7]
	v_mul_f64_e32 v[194:195], v[170:171], v[6:7]
	s_wait_loadcnt_dscnt 0xb00
	v_mul_f64_e32 v[196:197], v[178:179], v[10:11]
	v_mul_f64_e32 v[10:11], v[180:181], v[10:11]
	s_delay_alu instid0(VALU_DEP_4) | instskip(NEXT) | instid1(VALU_DEP_4)
	v_fma_f64 v[198:199], v[170:171], v[4:5], -v[190:191]
	v_fmac_f64_e32 v[194:195], v[172:173], v[4:5]
	ds_load_b128 v[4:7], v2 offset:1376
	ds_load_b128 v[170:173], v2 offset:1392
	scratch_load_b128 v[190:193], off, off offset:544
	v_fmac_f64_e32 v[196:197], v[180:181], v[8:9]
	v_fma_f64 v[178:179], v[178:179], v[8:9], -v[10:11]
	scratch_load_b128 v[8:11], off, off offset:560
	s_wait_loadcnt_dscnt 0xc01
	v_mul_f64_e32 v[200:201], v[4:5], v[14:15]
	v_mul_f64_e32 v[14:15], v[6:7], v[14:15]
	v_add_f64_e32 v[180:181], 0, v[198:199]
	v_add_f64_e32 v[194:195], 0, v[194:195]
	s_wait_loadcnt_dscnt 0xb00
	v_mul_f64_e32 v[198:199], v[170:171], v[144:145]
	v_mul_f64_e32 v[144:145], v[172:173], v[144:145]
	v_fmac_f64_e32 v[200:201], v[6:7], v[12:13]
	v_fma_f64 v[202:203], v[4:5], v[12:13], -v[14:15]
	ds_load_b128 v[4:7], v2 offset:1408
	ds_load_b128 v[12:15], v2 offset:1424
	v_add_f64_e32 v[204:205], v[180:181], v[178:179]
	v_add_f64_e32 v[194:195], v[194:195], v[196:197]
	scratch_load_b128 v[178:181], off, off offset:576
	v_fmac_f64_e32 v[198:199], v[172:173], v[142:143]
	v_fma_f64 v[170:171], v[170:171], v[142:143], -v[144:145]
	scratch_load_b128 v[142:145], off, off offset:592
	s_wait_loadcnt_dscnt 0xc01
	v_mul_f64_e32 v[196:197], v[4:5], v[148:149]
	v_mul_f64_e32 v[148:149], v[6:7], v[148:149]
	v_add_f64_e32 v[172:173], v[204:205], v[202:203]
	v_add_f64_e32 v[194:195], v[194:195], v[200:201]
	s_wait_loadcnt_dscnt 0xb00
	v_mul_f64_e32 v[200:201], v[12:13], v[152:153]
	v_mul_f64_e32 v[152:153], v[14:15], v[152:153]
	v_fmac_f64_e32 v[196:197], v[6:7], v[146:147]
	v_fma_f64 v[202:203], v[4:5], v[146:147], -v[148:149]
	ds_load_b128 v[4:7], v2 offset:1440
	ds_load_b128 v[146:149], v2 offset:1456
	v_add_f64_e32 v[204:205], v[172:173], v[170:171]
	v_add_f64_e32 v[194:195], v[194:195], v[198:199]
	scratch_load_b128 v[170:173], off, off offset:608
	s_wait_loadcnt_dscnt 0xb01
	v_mul_f64_e32 v[198:199], v[4:5], v[156:157]
	v_mul_f64_e32 v[156:157], v[6:7], v[156:157]
	v_fmac_f64_e32 v[200:201], v[14:15], v[150:151]
	v_fma_f64 v[150:151], v[12:13], v[150:151], -v[152:153]
	scratch_load_b128 v[12:15], off, off offset:624
	v_add_f64_e32 v[152:153], v[204:205], v[202:203]
	v_add_f64_e32 v[194:195], v[194:195], v[196:197]
	s_wait_loadcnt_dscnt 0xb00
	v_mul_f64_e32 v[196:197], v[146:147], v[160:161]
	v_mul_f64_e32 v[160:161], v[148:149], v[160:161]
	v_fmac_f64_e32 v[198:199], v[6:7], v[154:155]
	v_fma_f64 v[202:203], v[4:5], v[154:155], -v[156:157]
	v_add_f64_e32 v[204:205], v[152:153], v[150:151]
	v_add_f64_e32 v[194:195], v[194:195], v[200:201]
	ds_load_b128 v[4:7], v2 offset:1472
	ds_load_b128 v[150:153], v2 offset:1488
	scratch_load_b128 v[154:157], off, off offset:640
	v_fmac_f64_e32 v[196:197], v[148:149], v[158:159]
	v_fma_f64 v[158:159], v[146:147], v[158:159], -v[160:161]
	scratch_load_b128 v[146:149], off, off offset:656
	s_wait_loadcnt_dscnt 0xc01
	v_mul_f64_e32 v[200:201], v[4:5], v[164:165]
	v_mul_f64_e32 v[164:165], v[6:7], v[164:165]
	v_add_f64_e32 v[160:161], v[204:205], v[202:203]
	v_add_f64_e32 v[194:195], v[194:195], v[198:199]
	s_wait_loadcnt_dscnt 0xb00
	v_mul_f64_e32 v[198:199], v[150:151], v[168:169]
	v_mul_f64_e32 v[168:169], v[152:153], v[168:169]
	v_fmac_f64_e32 v[200:201], v[6:7], v[162:163]
	v_fma_f64 v[202:203], v[4:5], v[162:163], -v[164:165]
	v_add_f64_e32 v[204:205], v[160:161], v[158:159]
	v_add_f64_e32 v[194:195], v[194:195], v[196:197]
	ds_load_b128 v[4:7], v2 offset:1504
	ds_load_b128 v[158:161], v2 offset:1520
	scratch_load_b128 v[162:165], off, off offset:672
	v_fmac_f64_e32 v[198:199], v[152:153], v[166:167]
	v_fma_f64 v[166:167], v[150:151], v[166:167], -v[168:169]
	scratch_load_b128 v[150:153], off, off offset:688
	s_wait_loadcnt_dscnt 0xc01
	v_mul_f64_e32 v[196:197], v[4:5], v[176:177]
	v_mul_f64_e32 v[176:177], v[6:7], v[176:177]
	;; [unrolled: 18-line block ×5, first 2 shown]
	v_add_f64_e32 v[188:189], v[204:205], v[202:203]
	v_add_f64_e32 v[194:195], v[194:195], v[200:201]
	s_wait_loadcnt_dscnt 0xa00
	v_mul_f64_e32 v[200:201], v[166:167], v[14:15]
	v_mul_f64_e32 v[14:15], v[168:169], v[14:15]
	v_fmac_f64_e32 v[196:197], v[6:7], v[170:171]
	v_fma_f64 v[202:203], v[4:5], v[170:171], -v[172:173]
	ds_load_b128 v[4:7], v2 offset:1632
	ds_load_b128 v[170:173], v2 offset:1648
	v_add_f64_e32 v[204:205], v[188:189], v[186:187]
	v_add_f64_e32 v[194:195], v[194:195], v[198:199]
	scratch_load_b128 v[186:189], off, off offset:800
	v_fmac_f64_e32 v[200:201], v[168:169], v[12:13]
	v_fma_f64 v[166:167], v[166:167], v[12:13], -v[14:15]
	scratch_load_b128 v[12:15], off, off offset:816
	s_wait_loadcnt_dscnt 0xb01
	v_mul_f64_e32 v[198:199], v[4:5], v[156:157]
	v_mul_f64_e32 v[156:157], v[6:7], v[156:157]
	v_add_f64_e32 v[168:169], v[204:205], v[202:203]
	v_add_f64_e32 v[194:195], v[194:195], v[196:197]
	s_wait_loadcnt_dscnt 0xa00
	v_mul_f64_e32 v[196:197], v[170:171], v[148:149]
	v_mul_f64_e32 v[148:149], v[172:173], v[148:149]
	v_fmac_f64_e32 v[198:199], v[6:7], v[154:155]
	v_fma_f64 v[202:203], v[4:5], v[154:155], -v[156:157]
	ds_load_b128 v[4:7], v2 offset:1664
	ds_load_b128 v[154:157], v2 offset:1680
	v_add_f64_e32 v[204:205], v[168:169], v[166:167]
	v_add_f64_e32 v[194:195], v[194:195], v[200:201]
	scratch_load_b128 v[166:169], off, off offset:832
	s_wait_loadcnt_dscnt 0xa01
	v_mul_f64_e32 v[200:201], v[4:5], v[164:165]
	v_mul_f64_e32 v[164:165], v[6:7], v[164:165]
	v_fmac_f64_e32 v[196:197], v[172:173], v[146:147]
	v_fma_f64 v[170:171], v[170:171], v[146:147], -v[148:149]
	scratch_load_b128 v[146:149], off, off offset:848
	v_add_f64_e32 v[172:173], v[204:205], v[202:203]
	v_add_f64_e32 v[194:195], v[194:195], v[198:199]
	s_wait_loadcnt_dscnt 0xa00
	v_mul_f64_e32 v[198:199], v[154:155], v[152:153]
	v_mul_f64_e32 v[152:153], v[156:157], v[152:153]
	v_fmac_f64_e32 v[200:201], v[6:7], v[162:163]
	v_fma_f64 v[202:203], v[4:5], v[162:163], -v[164:165]
	ds_load_b128 v[4:7], v2 offset:1696
	ds_load_b128 v[162:165], v2 offset:1712
	v_add_f64_e32 v[204:205], v[172:173], v[170:171]
	v_add_f64_e32 v[194:195], v[194:195], v[196:197]
	scratch_load_b128 v[170:173], off, off offset:864
	s_wait_loadcnt_dscnt 0xa01
	v_mul_f64_e32 v[196:197], v[4:5], v[176:177]
	v_mul_f64_e32 v[176:177], v[6:7], v[176:177]
	v_fmac_f64_e32 v[198:199], v[156:157], v[150:151]
	v_fma_f64 v[154:155], v[154:155], v[150:151], -v[152:153]
	scratch_load_b128 v[150:153], off, off offset:880
	v_add_f64_e32 v[156:157], v[204:205], v[202:203]
	v_add_f64_e32 v[194:195], v[194:195], v[200:201]
	s_wait_loadcnt_dscnt 0xa00
	v_mul_f64_e32 v[200:201], v[162:163], v[160:161]
	v_mul_f64_e32 v[160:161], v[164:165], v[160:161]
	v_fmac_f64_e32 v[196:197], v[6:7], v[174:175]
	v_fma_f64 v[202:203], v[4:5], v[174:175], -v[176:177]
	v_add_f64_e32 v[204:205], v[156:157], v[154:155]
	v_add_f64_e32 v[194:195], v[194:195], v[198:199]
	ds_load_b128 v[4:7], v2 offset:1728
	ds_load_b128 v[154:157], v2 offset:1744
	scratch_load_b128 v[174:177], off, off offset:896
	v_fmac_f64_e32 v[200:201], v[164:165], v[158:159]
	v_fma_f64 v[162:163], v[162:163], v[158:159], -v[160:161]
	scratch_load_b128 v[158:161], off, off offset:912
	s_wait_loadcnt_dscnt 0xb01
	v_mul_f64_e32 v[198:199], v[4:5], v[192:193]
	v_mul_f64_e32 v[192:193], v[6:7], v[192:193]
	v_add_f64_e32 v[164:165], v[204:205], v[202:203]
	v_add_f64_e32 v[194:195], v[194:195], v[196:197]
	s_wait_loadcnt_dscnt 0xa00
	v_mul_f64_e32 v[196:197], v[154:155], v[10:11]
	v_mul_f64_e32 v[10:11], v[156:157], v[10:11]
	v_fmac_f64_e32 v[198:199], v[6:7], v[190:191]
	v_fma_f64 v[202:203], v[4:5], v[190:191], -v[192:193]
	v_add_f64_e32 v[204:205], v[164:165], v[162:163]
	v_add_f64_e32 v[194:195], v[194:195], v[200:201]
	ds_load_b128 v[4:7], v2 offset:1760
	ds_load_b128 v[162:165], v2 offset:1776
	scratch_load_b128 v[190:193], off, off offset:928
	v_fmac_f64_e32 v[196:197], v[156:157], v[8:9]
	v_fma_f64 v[154:155], v[154:155], v[8:9], -v[10:11]
	scratch_load_b128 v[8:11], off, off offset:944
	s_wait_loadcnt_dscnt 0xb01
	v_mul_f64_e32 v[200:201], v[4:5], v[180:181]
	v_mul_f64_e32 v[180:181], v[6:7], v[180:181]
	v_add_f64_e32 v[156:157], v[204:205], v[202:203]
	v_add_f64_e32 v[194:195], v[194:195], v[198:199]
	s_wait_loadcnt_dscnt 0xa00
	v_mul_f64_e32 v[198:199], v[162:163], v[144:145]
	v_mul_f64_e32 v[144:145], v[164:165], v[144:145]
	v_fmac_f64_e32 v[200:201], v[6:7], v[178:179]
	v_fma_f64 v[202:203], v[4:5], v[178:179], -v[180:181]
	v_add_f64_e32 v[204:205], v[156:157], v[154:155]
	v_add_f64_e32 v[194:195], v[194:195], v[196:197]
	ds_load_b128 v[4:7], v2 offset:1792
	ds_load_b128 v[154:157], v2 offset:1808
	scratch_load_b128 v[178:181], off, off offset:960
	v_fmac_f64_e32 v[198:199], v[164:165], v[142:143]
	v_fma_f64 v[162:163], v[162:163], v[142:143], -v[144:145]
	scratch_load_b128 v[142:145], off, off offset:976
	s_wait_loadcnt_dscnt 0xb01
	v_mul_f64_e32 v[196:197], v[4:5], v[188:189]
	v_mul_f64_e32 v[188:189], v[6:7], v[188:189]
	v_add_f64_e32 v[164:165], v[204:205], v[202:203]
	v_add_f64_e32 v[194:195], v[194:195], v[200:201]
	s_wait_loadcnt_dscnt 0xa00
	v_mul_f64_e32 v[200:201], v[154:155], v[14:15]
	v_mul_f64_e32 v[14:15], v[156:157], v[14:15]
	v_fmac_f64_e32 v[196:197], v[6:7], v[186:187]
	v_fma_f64 v[186:187], v[4:5], v[186:187], -v[188:189]
	v_add_f64_e32 v[188:189], v[164:165], v[162:163]
	v_add_f64_e32 v[194:195], v[194:195], v[198:199]
	ds_load_b128 v[4:7], v2 offset:1824
	ds_load_b128 v[162:165], v2 offset:1840
	v_fmac_f64_e32 v[200:201], v[156:157], v[12:13]
	v_fma_f64 v[12:13], v[154:155], v[12:13], -v[14:15]
	s_wait_loadcnt_dscnt 0x901
	v_mul_f64_e32 v[198:199], v[4:5], v[168:169]
	v_mul_f64_e32 v[168:169], v[6:7], v[168:169]
	s_wait_loadcnt_dscnt 0x800
	v_mul_f64_e32 v[156:157], v[162:163], v[148:149]
	v_mul_f64_e32 v[148:149], v[164:165], v[148:149]
	v_add_f64_e32 v[14:15], v[188:189], v[186:187]
	v_add_f64_e32 v[154:155], v[194:195], v[196:197]
	v_fmac_f64_e32 v[198:199], v[6:7], v[166:167]
	v_fma_f64 v[166:167], v[4:5], v[166:167], -v[168:169]
	v_fmac_f64_e32 v[156:157], v[164:165], v[146:147]
	v_fma_f64 v[146:147], v[162:163], v[146:147], -v[148:149]
	v_add_f64_e32 v[168:169], v[14:15], v[12:13]
	v_add_f64_e32 v[154:155], v[154:155], v[200:201]
	ds_load_b128 v[4:7], v2 offset:1856
	ds_load_b128 v[12:15], v2 offset:1872
	s_wait_loadcnt_dscnt 0x701
	v_mul_f64_e32 v[186:187], v[4:5], v[172:173]
	v_mul_f64_e32 v[172:173], v[6:7], v[172:173]
	s_wait_loadcnt_dscnt 0x600
	v_mul_f64_e32 v[162:163], v[12:13], v[152:153]
	v_mul_f64_e32 v[152:153], v[14:15], v[152:153]
	v_add_f64_e32 v[148:149], v[168:169], v[166:167]
	v_add_f64_e32 v[154:155], v[154:155], v[198:199]
	v_fmac_f64_e32 v[186:187], v[6:7], v[170:171]
	v_fma_f64 v[164:165], v[4:5], v[170:171], -v[172:173]
	v_fmac_f64_e32 v[162:163], v[14:15], v[150:151]
	v_fma_f64 v[12:13], v[12:13], v[150:151], -v[152:153]
	v_add_f64_e32 v[166:167], v[148:149], v[146:147]
	v_add_f64_e32 v[154:155], v[154:155], v[156:157]
	ds_load_b128 v[4:7], v2 offset:1888
	ds_load_b128 v[146:149], v2 offset:1904
	s_wait_loadcnt_dscnt 0x501
	v_mul_f64_e32 v[156:157], v[4:5], v[176:177]
	v_mul_f64_e32 v[168:169], v[6:7], v[176:177]
	s_wait_loadcnt_dscnt 0x400
	v_mul_f64_e32 v[152:153], v[146:147], v[160:161]
	v_add_f64_e32 v[14:15], v[166:167], v[164:165]
	v_add_f64_e32 v[150:151], v[154:155], v[186:187]
	v_mul_f64_e32 v[154:155], v[148:149], v[160:161]
	v_fmac_f64_e32 v[156:157], v[6:7], v[174:175]
	v_fma_f64 v[160:161], v[4:5], v[174:175], -v[168:169]
	v_fmac_f64_e32 v[152:153], v[148:149], v[158:159]
	v_add_f64_e32 v[164:165], v[14:15], v[12:13]
	v_add_f64_e32 v[150:151], v[150:151], v[162:163]
	ds_load_b128 v[4:7], v2 offset:1920
	ds_load_b128 v[12:15], v2 offset:1936
	v_fma_f64 v[146:147], v[146:147], v[158:159], -v[154:155]
	s_wait_loadcnt_dscnt 0x301
	v_mul_f64_e32 v[162:163], v[4:5], v[192:193]
	v_mul_f64_e32 v[166:167], v[6:7], v[192:193]
	s_wait_loadcnt_dscnt 0x200
	v_mul_f64_e32 v[154:155], v[12:13], v[10:11]
	v_mul_f64_e32 v[10:11], v[14:15], v[10:11]
	v_add_f64_e32 v[148:149], v[164:165], v[160:161]
	v_add_f64_e32 v[150:151], v[150:151], v[156:157]
	v_fmac_f64_e32 v[162:163], v[6:7], v[190:191]
	v_fma_f64 v[156:157], v[4:5], v[190:191], -v[166:167]
	v_fmac_f64_e32 v[154:155], v[14:15], v[8:9]
	v_fma_f64 v[8:9], v[12:13], v[8:9], -v[10:11]
	v_add_f64_e32 v[158:159], v[148:149], v[146:147]
	v_add_f64_e32 v[150:151], v[150:151], v[152:153]
	ds_load_b128 v[4:7], v2 offset:1952
	ds_load_b128 v[146:149], v2 offset:1968
	s_wait_loadcnt_dscnt 0x101
	v_mul_f64_e32 v[2:3], v[4:5], v[180:181]
	v_mul_f64_e32 v[152:153], v[6:7], v[180:181]
	s_wait_loadcnt_dscnt 0x0
	v_mul_f64_e32 v[14:15], v[146:147], v[144:145]
	v_mul_f64_e32 v[144:145], v[148:149], v[144:145]
	v_add_f64_e32 v[10:11], v[158:159], v[156:157]
	v_add_f64_e32 v[12:13], v[150:151], v[162:163]
	v_fmac_f64_e32 v[2:3], v[6:7], v[178:179]
	v_fma_f64 v[4:5], v[4:5], v[178:179], -v[152:153]
	v_fmac_f64_e32 v[14:15], v[148:149], v[142:143]
	v_add_f64_e32 v[6:7], v[10:11], v[8:9]
	v_add_f64_e32 v[8:9], v[12:13], v[154:155]
	v_fma_f64 v[10:11], v[146:147], v[142:143], -v[144:145]
	s_delay_alu instid0(VALU_DEP_3) | instskip(NEXT) | instid1(VALU_DEP_3)
	v_add_f64_e32 v[4:5], v[6:7], v[4:5]
	v_add_f64_e32 v[2:3], v[8:9], v[2:3]
	s_delay_alu instid0(VALU_DEP_2) | instskip(NEXT) | instid1(VALU_DEP_2)
	v_add_f64_e32 v[4:5], v[4:5], v[10:11]
	v_add_f64_e32 v[6:7], v[2:3], v[14:15]
	s_delay_alu instid0(VALU_DEP_2) | instskip(NEXT) | instid1(VALU_DEP_2)
	v_add_f64_e64 v[2:3], v[182:183], -v[4:5]
	v_add_f64_e64 v[4:5], v[184:185], -v[6:7]
	scratch_store_b128 off, v[2:5], off offset:336
	s_wait_xcnt 0x0
	v_cmpx_lt_u32_e32 20, v1
	s_cbranch_execz .LBB61_357
; %bb.356:
	scratch_load_b128 v[2:5], off, s68
	v_mov_b32_e32 v6, 0
	s_delay_alu instid0(VALU_DEP_1)
	v_dual_mov_b32 v7, v6 :: v_dual_mov_b32 v8, v6
	v_mov_b32_e32 v9, v6
	scratch_store_b128 off, v[6:9], off offset:320
	s_wait_loadcnt 0x0
	ds_store_b128 v16, v[2:5]
.LBB61_357:
	s_wait_xcnt 0x0
	s_or_b32 exec_lo, exec_lo, s2
	s_wait_storecnt_dscnt 0x0
	s_barrier_signal -1
	s_barrier_wait -1
	s_clause 0x9
	scratch_load_b128 v[4:7], off, off offset:336
	scratch_load_b128 v[8:11], off, off offset:352
	;; [unrolled: 1-line block ×10, first 2 shown]
	v_mov_b32_e32 v2, 0
	s_mov_b32 s2, exec_lo
	ds_load_b128 v[170:173], v2 offset:1328
	s_clause 0x2
	scratch_load_b128 v[174:177], off, off offset:496
	scratch_load_b128 v[178:181], off, off offset:320
	;; [unrolled: 1-line block ×3, first 2 shown]
	s_wait_loadcnt_dscnt 0xc00
	v_mul_f64_e32 v[190:191], v[172:173], v[6:7]
	v_mul_f64_e32 v[194:195], v[170:171], v[6:7]
	ds_load_b128 v[182:185], v2 offset:1344
	v_fma_f64 v[198:199], v[170:171], v[4:5], -v[190:191]
	v_fmac_f64_e32 v[194:195], v[172:173], v[4:5]
	ds_load_b128 v[4:7], v2 offset:1360
	s_wait_loadcnt_dscnt 0xb01
	v_mul_f64_e32 v[196:197], v[182:183], v[10:11]
	v_mul_f64_e32 v[10:11], v[184:185], v[10:11]
	scratch_load_b128 v[170:173], off, off offset:528
	ds_load_b128 v[190:193], v2 offset:1376
	s_wait_loadcnt_dscnt 0xb01
	v_mul_f64_e32 v[200:201], v[4:5], v[14:15]
	v_mul_f64_e32 v[14:15], v[6:7], v[14:15]
	v_add_f64_e32 v[194:195], 0, v[194:195]
	v_fmac_f64_e32 v[196:197], v[184:185], v[8:9]
	v_fma_f64 v[182:183], v[182:183], v[8:9], -v[10:11]
	v_add_f64_e32 v[184:185], 0, v[198:199]
	scratch_load_b128 v[8:11], off, off offset:544
	v_fmac_f64_e32 v[200:201], v[6:7], v[12:13]
	v_fma_f64 v[202:203], v[4:5], v[12:13], -v[14:15]
	ds_load_b128 v[4:7], v2 offset:1392
	s_wait_loadcnt_dscnt 0xb01
	v_mul_f64_e32 v[198:199], v[190:191], v[144:145]
	v_mul_f64_e32 v[144:145], v[192:193], v[144:145]
	scratch_load_b128 v[12:15], off, off offset:560
	v_add_f64_e32 v[194:195], v[194:195], v[196:197]
	v_add_f64_e32 v[204:205], v[184:185], v[182:183]
	ds_load_b128 v[182:185], v2 offset:1408
	s_wait_loadcnt_dscnt 0xb01
	v_mul_f64_e32 v[196:197], v[4:5], v[148:149]
	v_mul_f64_e32 v[148:149], v[6:7], v[148:149]
	v_fmac_f64_e32 v[198:199], v[192:193], v[142:143]
	v_fma_f64 v[190:191], v[190:191], v[142:143], -v[144:145]
	scratch_load_b128 v[142:145], off, off offset:576
	v_add_f64_e32 v[194:195], v[194:195], v[200:201]
	v_add_f64_e32 v[192:193], v[204:205], v[202:203]
	v_fmac_f64_e32 v[196:197], v[6:7], v[146:147]
	v_fma_f64 v[202:203], v[4:5], v[146:147], -v[148:149]
	ds_load_b128 v[4:7], v2 offset:1424
	s_wait_loadcnt_dscnt 0xb01
	v_mul_f64_e32 v[200:201], v[182:183], v[152:153]
	v_mul_f64_e32 v[152:153], v[184:185], v[152:153]
	scratch_load_b128 v[146:149], off, off offset:592
	v_add_f64_e32 v[194:195], v[194:195], v[198:199]
	s_wait_loadcnt_dscnt 0xb00
	v_mul_f64_e32 v[198:199], v[4:5], v[156:157]
	v_add_f64_e32 v[204:205], v[192:193], v[190:191]
	v_mul_f64_e32 v[156:157], v[6:7], v[156:157]
	ds_load_b128 v[190:193], v2 offset:1440
	v_fmac_f64_e32 v[200:201], v[184:185], v[150:151]
	v_fma_f64 v[182:183], v[182:183], v[150:151], -v[152:153]
	scratch_load_b128 v[150:153], off, off offset:608
	v_add_f64_e32 v[194:195], v[194:195], v[196:197]
	v_fmac_f64_e32 v[198:199], v[6:7], v[154:155]
	v_add_f64_e32 v[184:185], v[204:205], v[202:203]
	v_fma_f64 v[202:203], v[4:5], v[154:155], -v[156:157]
	ds_load_b128 v[4:7], v2 offset:1456
	s_wait_loadcnt_dscnt 0xb01
	v_mul_f64_e32 v[196:197], v[190:191], v[160:161]
	v_mul_f64_e32 v[160:161], v[192:193], v[160:161]
	scratch_load_b128 v[154:157], off, off offset:624
	v_add_f64_e32 v[194:195], v[194:195], v[200:201]
	s_wait_loadcnt_dscnt 0xb00
	v_mul_f64_e32 v[200:201], v[4:5], v[164:165]
	v_add_f64_e32 v[204:205], v[184:185], v[182:183]
	v_mul_f64_e32 v[164:165], v[6:7], v[164:165]
	ds_load_b128 v[182:185], v2 offset:1472
	v_fmac_f64_e32 v[196:197], v[192:193], v[158:159]
	v_fma_f64 v[190:191], v[190:191], v[158:159], -v[160:161]
	scratch_load_b128 v[158:161], off, off offset:640
	v_add_f64_e32 v[194:195], v[194:195], v[198:199]
	v_fmac_f64_e32 v[200:201], v[6:7], v[162:163]
	v_add_f64_e32 v[192:193], v[204:205], v[202:203]
	;; [unrolled: 18-line block ×3, first 2 shown]
	v_fma_f64 v[202:203], v[4:5], v[174:175], -v[176:177]
	ds_load_b128 v[4:7], v2 offset:1520
	s_wait_loadcnt_dscnt 0xa01
	v_mul_f64_e32 v[200:201], v[190:191], v[188:189]
	v_mul_f64_e32 v[188:189], v[192:193], v[188:189]
	scratch_load_b128 v[174:177], off, off offset:688
	v_add_f64_e32 v[194:195], v[194:195], v[198:199]
	v_add_f64_e32 v[204:205], v[184:185], v[182:183]
	s_wait_loadcnt_dscnt 0xa00
	v_mul_f64_e32 v[198:199], v[4:5], v[172:173]
	v_mul_f64_e32 v[172:173], v[6:7], v[172:173]
	v_fmac_f64_e32 v[200:201], v[192:193], v[186:187]
	v_fma_f64 v[190:191], v[190:191], v[186:187], -v[188:189]
	ds_load_b128 v[182:185], v2 offset:1536
	scratch_load_b128 v[186:189], off, off offset:704
	v_add_f64_e32 v[194:195], v[194:195], v[196:197]
	v_add_f64_e32 v[192:193], v[204:205], v[202:203]
	v_fmac_f64_e32 v[198:199], v[6:7], v[170:171]
	v_fma_f64 v[202:203], v[4:5], v[170:171], -v[172:173]
	ds_load_b128 v[4:7], v2 offset:1552
	s_wait_loadcnt_dscnt 0xa01
	v_mul_f64_e32 v[196:197], v[182:183], v[10:11]
	v_mul_f64_e32 v[10:11], v[184:185], v[10:11]
	scratch_load_b128 v[170:173], off, off offset:720
	v_add_f64_e32 v[194:195], v[194:195], v[200:201]
	s_wait_loadcnt_dscnt 0xa00
	v_mul_f64_e32 v[200:201], v[4:5], v[14:15]
	v_add_f64_e32 v[204:205], v[192:193], v[190:191]
	v_mul_f64_e32 v[14:15], v[6:7], v[14:15]
	ds_load_b128 v[190:193], v2 offset:1568
	v_fmac_f64_e32 v[196:197], v[184:185], v[8:9]
	v_fma_f64 v[182:183], v[182:183], v[8:9], -v[10:11]
	scratch_load_b128 v[8:11], off, off offset:736
	v_add_f64_e32 v[194:195], v[194:195], v[198:199]
	v_fmac_f64_e32 v[200:201], v[6:7], v[12:13]
	v_add_f64_e32 v[184:185], v[204:205], v[202:203]
	v_fma_f64 v[202:203], v[4:5], v[12:13], -v[14:15]
	ds_load_b128 v[4:7], v2 offset:1584
	s_wait_loadcnt_dscnt 0xa01
	v_mul_f64_e32 v[198:199], v[190:191], v[144:145]
	v_mul_f64_e32 v[144:145], v[192:193], v[144:145]
	scratch_load_b128 v[12:15], off, off offset:752
	v_add_f64_e32 v[194:195], v[194:195], v[196:197]
	s_wait_loadcnt_dscnt 0xa00
	v_mul_f64_e32 v[196:197], v[4:5], v[148:149]
	v_add_f64_e32 v[204:205], v[184:185], v[182:183]
	v_mul_f64_e32 v[148:149], v[6:7], v[148:149]
	ds_load_b128 v[182:185], v2 offset:1600
	v_fmac_f64_e32 v[198:199], v[192:193], v[142:143]
	v_fma_f64 v[190:191], v[190:191], v[142:143], -v[144:145]
	scratch_load_b128 v[142:145], off, off offset:768
	v_add_f64_e32 v[194:195], v[194:195], v[200:201]
	v_fmac_f64_e32 v[196:197], v[6:7], v[146:147]
	v_add_f64_e32 v[192:193], v[204:205], v[202:203]
	;; [unrolled: 18-line block ×8, first 2 shown]
	v_fma_f64 v[202:203], v[4:5], v[146:147], -v[148:149]
	ds_load_b128 v[4:7], v2 offset:1808
	s_wait_loadcnt_dscnt 0xa01
	v_mul_f64_e32 v[200:201], v[182:183], v[152:153]
	v_mul_f64_e32 v[152:153], v[184:185], v[152:153]
	scratch_load_b128 v[146:149], off, off offset:976
	v_add_f64_e32 v[194:195], v[194:195], v[198:199]
	s_wait_loadcnt_dscnt 0xa00
	v_mul_f64_e32 v[198:199], v[4:5], v[156:157]
	v_add_f64_e32 v[204:205], v[192:193], v[190:191]
	v_mul_f64_e32 v[156:157], v[6:7], v[156:157]
	ds_load_b128 v[190:193], v2 offset:1824
	v_fmac_f64_e32 v[200:201], v[184:185], v[150:151]
	v_fma_f64 v[150:151], v[182:183], v[150:151], -v[152:153]
	s_wait_loadcnt_dscnt 0x900
	v_mul_f64_e32 v[184:185], v[190:191], v[160:161]
	v_mul_f64_e32 v[160:161], v[192:193], v[160:161]
	v_add_f64_e32 v[182:183], v[194:195], v[196:197]
	v_fmac_f64_e32 v[198:199], v[6:7], v[154:155]
	v_add_f64_e32 v[152:153], v[204:205], v[202:203]
	v_fma_f64 v[154:155], v[4:5], v[154:155], -v[156:157]
	v_fmac_f64_e32 v[184:185], v[192:193], v[158:159]
	v_fma_f64 v[158:159], v[190:191], v[158:159], -v[160:161]
	v_add_f64_e32 v[182:183], v[182:183], v[200:201]
	v_add_f64_e32 v[156:157], v[152:153], v[150:151]
	ds_load_b128 v[4:7], v2 offset:1840
	ds_load_b128 v[150:153], v2 offset:1856
	s_wait_loadcnt_dscnt 0x801
	v_mul_f64_e32 v[194:195], v[4:5], v[164:165]
	v_mul_f64_e32 v[164:165], v[6:7], v[164:165]
	s_wait_loadcnt_dscnt 0x700
	v_mul_f64_e32 v[160:161], v[150:151], v[168:169]
	v_mul_f64_e32 v[168:169], v[152:153], v[168:169]
	v_add_f64_e32 v[154:155], v[156:157], v[154:155]
	v_add_f64_e32 v[156:157], v[182:183], v[198:199]
	v_fmac_f64_e32 v[194:195], v[6:7], v[162:163]
	v_fma_f64 v[162:163], v[4:5], v[162:163], -v[164:165]
	v_fmac_f64_e32 v[160:161], v[152:153], v[166:167]
	v_fma_f64 v[150:151], v[150:151], v[166:167], -v[168:169]
	v_add_f64_e32 v[158:159], v[154:155], v[158:159]
	v_add_f64_e32 v[164:165], v[156:157], v[184:185]
	ds_load_b128 v[4:7], v2 offset:1872
	ds_load_b128 v[154:157], v2 offset:1888
	s_wait_loadcnt_dscnt 0x601
	v_mul_f64_e32 v[182:183], v[4:5], v[176:177]
	v_mul_f64_e32 v[176:177], v[6:7], v[176:177]
	v_add_f64_e32 v[152:153], v[158:159], v[162:163]
	v_add_f64_e32 v[158:159], v[164:165], v[194:195]
	s_wait_loadcnt_dscnt 0x500
	v_mul_f64_e32 v[162:163], v[154:155], v[188:189]
	v_mul_f64_e32 v[164:165], v[156:157], v[188:189]
	v_fmac_f64_e32 v[182:183], v[6:7], v[174:175]
	v_fma_f64 v[166:167], v[4:5], v[174:175], -v[176:177]
	v_add_f64_e32 v[168:169], v[152:153], v[150:151]
	v_add_f64_e32 v[158:159], v[158:159], v[160:161]
	ds_load_b128 v[4:7], v2 offset:1904
	ds_load_b128 v[150:153], v2 offset:1920
	v_fmac_f64_e32 v[162:163], v[156:157], v[186:187]
	v_fma_f64 v[154:155], v[154:155], v[186:187], -v[164:165]
	s_wait_loadcnt_dscnt 0x401
	v_mul_f64_e32 v[160:161], v[4:5], v[172:173]
	v_mul_f64_e32 v[172:173], v[6:7], v[172:173]
	s_wait_loadcnt_dscnt 0x300
	v_mul_f64_e32 v[164:165], v[150:151], v[10:11]
	v_mul_f64_e32 v[10:11], v[152:153], v[10:11]
	v_add_f64_e32 v[156:157], v[168:169], v[166:167]
	v_add_f64_e32 v[158:159], v[158:159], v[182:183]
	v_fmac_f64_e32 v[160:161], v[6:7], v[170:171]
	v_fma_f64 v[166:167], v[4:5], v[170:171], -v[172:173]
	v_fmac_f64_e32 v[164:165], v[152:153], v[8:9]
	v_fma_f64 v[8:9], v[150:151], v[8:9], -v[10:11]
	v_add_f64_e32 v[168:169], v[156:157], v[154:155]
	v_add_f64_e32 v[158:159], v[158:159], v[162:163]
	ds_load_b128 v[4:7], v2 offset:1936
	ds_load_b128 v[154:157], v2 offset:1952
	s_wait_loadcnt_dscnt 0x201
	v_mul_f64_e32 v[162:163], v[4:5], v[14:15]
	v_mul_f64_e32 v[14:15], v[6:7], v[14:15]
	s_wait_loadcnt_dscnt 0x100
	v_mul_f64_e32 v[152:153], v[154:155], v[144:145]
	v_mul_f64_e32 v[144:145], v[156:157], v[144:145]
	v_add_f64_e32 v[10:11], v[168:169], v[166:167]
	v_add_f64_e32 v[150:151], v[158:159], v[160:161]
	v_fmac_f64_e32 v[162:163], v[6:7], v[12:13]
	v_fma_f64 v[12:13], v[4:5], v[12:13], -v[14:15]
	ds_load_b128 v[4:7], v2 offset:1968
	v_fmac_f64_e32 v[152:153], v[156:157], v[142:143]
	v_fma_f64 v[142:143], v[154:155], v[142:143], -v[144:145]
	v_add_f64_e32 v[8:9], v[10:11], v[8:9]
	v_add_f64_e32 v[10:11], v[150:151], v[164:165]
	s_wait_loadcnt_dscnt 0x0
	v_mul_f64_e32 v[14:15], v[4:5], v[148:149]
	v_mul_f64_e32 v[148:149], v[6:7], v[148:149]
	s_delay_alu instid0(VALU_DEP_4) | instskip(NEXT) | instid1(VALU_DEP_4)
	v_add_f64_e32 v[8:9], v[8:9], v[12:13]
	v_add_f64_e32 v[10:11], v[10:11], v[162:163]
	s_delay_alu instid0(VALU_DEP_4) | instskip(NEXT) | instid1(VALU_DEP_4)
	v_fmac_f64_e32 v[14:15], v[6:7], v[146:147]
	v_fma_f64 v[4:5], v[4:5], v[146:147], -v[148:149]
	s_delay_alu instid0(VALU_DEP_4) | instskip(NEXT) | instid1(VALU_DEP_4)
	v_add_f64_e32 v[6:7], v[8:9], v[142:143]
	v_add_f64_e32 v[8:9], v[10:11], v[152:153]
	s_delay_alu instid0(VALU_DEP_2) | instskip(NEXT) | instid1(VALU_DEP_2)
	v_add_f64_e32 v[4:5], v[6:7], v[4:5]
	v_add_f64_e32 v[6:7], v[8:9], v[14:15]
	s_delay_alu instid0(VALU_DEP_2) | instskip(NEXT) | instid1(VALU_DEP_2)
	v_add_f64_e64 v[4:5], v[178:179], -v[4:5]
	v_add_f64_e64 v[6:7], v[180:181], -v[6:7]
	scratch_store_b128 off, v[4:7], off offset:320
	s_wait_xcnt 0x0
	v_cmpx_lt_u32_e32 19, v1
	s_cbranch_execz .LBB61_359
; %bb.358:
	scratch_load_b128 v[6:9], off, s66
	v_dual_mov_b32 v3, v2 :: v_dual_mov_b32 v4, v2
	v_mov_b32_e32 v5, v2
	scratch_store_b128 off, v[2:5], off offset:304
	s_wait_loadcnt 0x0
	ds_store_b128 v16, v[6:9]
.LBB61_359:
	s_wait_xcnt 0x0
	s_or_b32 exec_lo, exec_lo, s2
	s_wait_storecnt_dscnt 0x0
	s_barrier_signal -1
	s_barrier_wait -1
	s_clause 0x9
	scratch_load_b128 v[4:7], off, off offset:320
	scratch_load_b128 v[8:11], off, off offset:336
	;; [unrolled: 1-line block ×10, first 2 shown]
	ds_load_b128 v[170:173], v2 offset:1312
	ds_load_b128 v[178:181], v2 offset:1328
	s_clause 0x2
	scratch_load_b128 v[174:177], off, off offset:480
	scratch_load_b128 v[182:185], off, off offset:304
	scratch_load_b128 v[186:189], off, off offset:496
	s_mov_b32 s2, exec_lo
	s_wait_loadcnt_dscnt 0xc01
	v_mul_f64_e32 v[190:191], v[172:173], v[6:7]
	v_mul_f64_e32 v[194:195], v[170:171], v[6:7]
	s_wait_loadcnt_dscnt 0xb00
	v_mul_f64_e32 v[196:197], v[178:179], v[10:11]
	v_mul_f64_e32 v[10:11], v[180:181], v[10:11]
	s_delay_alu instid0(VALU_DEP_4) | instskip(NEXT) | instid1(VALU_DEP_4)
	v_fma_f64 v[198:199], v[170:171], v[4:5], -v[190:191]
	v_fmac_f64_e32 v[194:195], v[172:173], v[4:5]
	ds_load_b128 v[4:7], v2 offset:1344
	ds_load_b128 v[170:173], v2 offset:1360
	scratch_load_b128 v[190:193], off, off offset:512
	v_fmac_f64_e32 v[196:197], v[180:181], v[8:9]
	v_fma_f64 v[178:179], v[178:179], v[8:9], -v[10:11]
	scratch_load_b128 v[8:11], off, off offset:528
	s_wait_loadcnt_dscnt 0xc01
	v_mul_f64_e32 v[200:201], v[4:5], v[14:15]
	v_mul_f64_e32 v[14:15], v[6:7], v[14:15]
	v_add_f64_e32 v[180:181], 0, v[198:199]
	v_add_f64_e32 v[194:195], 0, v[194:195]
	s_wait_loadcnt_dscnt 0xb00
	v_mul_f64_e32 v[198:199], v[170:171], v[144:145]
	v_mul_f64_e32 v[144:145], v[172:173], v[144:145]
	v_fmac_f64_e32 v[200:201], v[6:7], v[12:13]
	v_fma_f64 v[202:203], v[4:5], v[12:13], -v[14:15]
	ds_load_b128 v[4:7], v2 offset:1376
	ds_load_b128 v[12:15], v2 offset:1392
	v_add_f64_e32 v[204:205], v[180:181], v[178:179]
	v_add_f64_e32 v[194:195], v[194:195], v[196:197]
	scratch_load_b128 v[178:181], off, off offset:544
	v_fmac_f64_e32 v[198:199], v[172:173], v[142:143]
	v_fma_f64 v[170:171], v[170:171], v[142:143], -v[144:145]
	scratch_load_b128 v[142:145], off, off offset:560
	s_wait_loadcnt_dscnt 0xc01
	v_mul_f64_e32 v[196:197], v[4:5], v[148:149]
	v_mul_f64_e32 v[148:149], v[6:7], v[148:149]
	v_add_f64_e32 v[172:173], v[204:205], v[202:203]
	v_add_f64_e32 v[194:195], v[194:195], v[200:201]
	s_wait_loadcnt_dscnt 0xb00
	v_mul_f64_e32 v[200:201], v[12:13], v[152:153]
	v_mul_f64_e32 v[152:153], v[14:15], v[152:153]
	v_fmac_f64_e32 v[196:197], v[6:7], v[146:147]
	v_fma_f64 v[202:203], v[4:5], v[146:147], -v[148:149]
	ds_load_b128 v[4:7], v2 offset:1408
	ds_load_b128 v[146:149], v2 offset:1424
	v_add_f64_e32 v[204:205], v[172:173], v[170:171]
	v_add_f64_e32 v[194:195], v[194:195], v[198:199]
	scratch_load_b128 v[170:173], off, off offset:576
	s_wait_loadcnt_dscnt 0xb01
	v_mul_f64_e32 v[198:199], v[4:5], v[156:157]
	v_mul_f64_e32 v[156:157], v[6:7], v[156:157]
	v_fmac_f64_e32 v[200:201], v[14:15], v[150:151]
	v_fma_f64 v[150:151], v[12:13], v[150:151], -v[152:153]
	scratch_load_b128 v[12:15], off, off offset:592
	v_add_f64_e32 v[152:153], v[204:205], v[202:203]
	v_add_f64_e32 v[194:195], v[194:195], v[196:197]
	s_wait_loadcnt_dscnt 0xb00
	v_mul_f64_e32 v[196:197], v[146:147], v[160:161]
	v_mul_f64_e32 v[160:161], v[148:149], v[160:161]
	v_fmac_f64_e32 v[198:199], v[6:7], v[154:155]
	v_fma_f64 v[202:203], v[4:5], v[154:155], -v[156:157]
	v_add_f64_e32 v[204:205], v[152:153], v[150:151]
	v_add_f64_e32 v[194:195], v[194:195], v[200:201]
	ds_load_b128 v[4:7], v2 offset:1440
	ds_load_b128 v[150:153], v2 offset:1456
	scratch_load_b128 v[154:157], off, off offset:608
	v_fmac_f64_e32 v[196:197], v[148:149], v[158:159]
	v_fma_f64 v[158:159], v[146:147], v[158:159], -v[160:161]
	scratch_load_b128 v[146:149], off, off offset:624
	s_wait_loadcnt_dscnt 0xc01
	v_mul_f64_e32 v[200:201], v[4:5], v[164:165]
	v_mul_f64_e32 v[164:165], v[6:7], v[164:165]
	v_add_f64_e32 v[160:161], v[204:205], v[202:203]
	v_add_f64_e32 v[194:195], v[194:195], v[198:199]
	s_wait_loadcnt_dscnt 0xb00
	v_mul_f64_e32 v[198:199], v[150:151], v[168:169]
	v_mul_f64_e32 v[168:169], v[152:153], v[168:169]
	v_fmac_f64_e32 v[200:201], v[6:7], v[162:163]
	v_fma_f64 v[202:203], v[4:5], v[162:163], -v[164:165]
	v_add_f64_e32 v[204:205], v[160:161], v[158:159]
	v_add_f64_e32 v[194:195], v[194:195], v[196:197]
	ds_load_b128 v[4:7], v2 offset:1472
	ds_load_b128 v[158:161], v2 offset:1488
	scratch_load_b128 v[162:165], off, off offset:640
	v_fmac_f64_e32 v[198:199], v[152:153], v[166:167]
	v_fma_f64 v[166:167], v[150:151], v[166:167], -v[168:169]
	scratch_load_b128 v[150:153], off, off offset:656
	s_wait_loadcnt_dscnt 0xc01
	v_mul_f64_e32 v[196:197], v[4:5], v[176:177]
	v_mul_f64_e32 v[176:177], v[6:7], v[176:177]
	;; [unrolled: 18-line block ×5, first 2 shown]
	v_add_f64_e32 v[188:189], v[204:205], v[202:203]
	v_add_f64_e32 v[194:195], v[194:195], v[200:201]
	s_wait_loadcnt_dscnt 0xa00
	v_mul_f64_e32 v[200:201], v[166:167], v[14:15]
	v_mul_f64_e32 v[14:15], v[168:169], v[14:15]
	v_fmac_f64_e32 v[196:197], v[6:7], v[170:171]
	v_fma_f64 v[202:203], v[4:5], v[170:171], -v[172:173]
	ds_load_b128 v[4:7], v2 offset:1600
	ds_load_b128 v[170:173], v2 offset:1616
	v_add_f64_e32 v[204:205], v[188:189], v[186:187]
	v_add_f64_e32 v[194:195], v[194:195], v[198:199]
	scratch_load_b128 v[186:189], off, off offset:768
	v_fmac_f64_e32 v[200:201], v[168:169], v[12:13]
	v_fma_f64 v[166:167], v[166:167], v[12:13], -v[14:15]
	scratch_load_b128 v[12:15], off, off offset:784
	s_wait_loadcnt_dscnt 0xb01
	v_mul_f64_e32 v[198:199], v[4:5], v[156:157]
	v_mul_f64_e32 v[156:157], v[6:7], v[156:157]
	v_add_f64_e32 v[168:169], v[204:205], v[202:203]
	v_add_f64_e32 v[194:195], v[194:195], v[196:197]
	s_wait_loadcnt_dscnt 0xa00
	v_mul_f64_e32 v[196:197], v[170:171], v[148:149]
	v_mul_f64_e32 v[148:149], v[172:173], v[148:149]
	v_fmac_f64_e32 v[198:199], v[6:7], v[154:155]
	v_fma_f64 v[202:203], v[4:5], v[154:155], -v[156:157]
	ds_load_b128 v[4:7], v2 offset:1632
	ds_load_b128 v[154:157], v2 offset:1648
	v_add_f64_e32 v[204:205], v[168:169], v[166:167]
	v_add_f64_e32 v[194:195], v[194:195], v[200:201]
	scratch_load_b128 v[166:169], off, off offset:800
	s_wait_loadcnt_dscnt 0xa01
	v_mul_f64_e32 v[200:201], v[4:5], v[164:165]
	v_mul_f64_e32 v[164:165], v[6:7], v[164:165]
	v_fmac_f64_e32 v[196:197], v[172:173], v[146:147]
	v_fma_f64 v[170:171], v[170:171], v[146:147], -v[148:149]
	scratch_load_b128 v[146:149], off, off offset:816
	v_add_f64_e32 v[172:173], v[204:205], v[202:203]
	v_add_f64_e32 v[194:195], v[194:195], v[198:199]
	s_wait_loadcnt_dscnt 0xa00
	v_mul_f64_e32 v[198:199], v[154:155], v[152:153]
	v_mul_f64_e32 v[152:153], v[156:157], v[152:153]
	v_fmac_f64_e32 v[200:201], v[6:7], v[162:163]
	v_fma_f64 v[202:203], v[4:5], v[162:163], -v[164:165]
	ds_load_b128 v[4:7], v2 offset:1664
	ds_load_b128 v[162:165], v2 offset:1680
	v_add_f64_e32 v[204:205], v[172:173], v[170:171]
	v_add_f64_e32 v[194:195], v[194:195], v[196:197]
	scratch_load_b128 v[170:173], off, off offset:832
	s_wait_loadcnt_dscnt 0xa01
	v_mul_f64_e32 v[196:197], v[4:5], v[176:177]
	v_mul_f64_e32 v[176:177], v[6:7], v[176:177]
	v_fmac_f64_e32 v[198:199], v[156:157], v[150:151]
	v_fma_f64 v[154:155], v[154:155], v[150:151], -v[152:153]
	scratch_load_b128 v[150:153], off, off offset:848
	v_add_f64_e32 v[156:157], v[204:205], v[202:203]
	v_add_f64_e32 v[194:195], v[194:195], v[200:201]
	s_wait_loadcnt_dscnt 0xa00
	v_mul_f64_e32 v[200:201], v[162:163], v[160:161]
	v_mul_f64_e32 v[160:161], v[164:165], v[160:161]
	v_fmac_f64_e32 v[196:197], v[6:7], v[174:175]
	v_fma_f64 v[202:203], v[4:5], v[174:175], -v[176:177]
	v_add_f64_e32 v[204:205], v[156:157], v[154:155]
	v_add_f64_e32 v[194:195], v[194:195], v[198:199]
	ds_load_b128 v[4:7], v2 offset:1696
	ds_load_b128 v[154:157], v2 offset:1712
	scratch_load_b128 v[174:177], off, off offset:864
	v_fmac_f64_e32 v[200:201], v[164:165], v[158:159]
	v_fma_f64 v[162:163], v[162:163], v[158:159], -v[160:161]
	scratch_load_b128 v[158:161], off, off offset:880
	s_wait_loadcnt_dscnt 0xb01
	v_mul_f64_e32 v[198:199], v[4:5], v[192:193]
	v_mul_f64_e32 v[192:193], v[6:7], v[192:193]
	v_add_f64_e32 v[164:165], v[204:205], v[202:203]
	v_add_f64_e32 v[194:195], v[194:195], v[196:197]
	s_wait_loadcnt_dscnt 0xa00
	v_mul_f64_e32 v[196:197], v[154:155], v[10:11]
	v_mul_f64_e32 v[10:11], v[156:157], v[10:11]
	v_fmac_f64_e32 v[198:199], v[6:7], v[190:191]
	v_fma_f64 v[202:203], v[4:5], v[190:191], -v[192:193]
	v_add_f64_e32 v[204:205], v[164:165], v[162:163]
	v_add_f64_e32 v[194:195], v[194:195], v[200:201]
	ds_load_b128 v[4:7], v2 offset:1728
	ds_load_b128 v[162:165], v2 offset:1744
	scratch_load_b128 v[190:193], off, off offset:896
	v_fmac_f64_e32 v[196:197], v[156:157], v[8:9]
	v_fma_f64 v[154:155], v[154:155], v[8:9], -v[10:11]
	scratch_load_b128 v[8:11], off, off offset:912
	s_wait_loadcnt_dscnt 0xb01
	v_mul_f64_e32 v[200:201], v[4:5], v[180:181]
	v_mul_f64_e32 v[180:181], v[6:7], v[180:181]
	;; [unrolled: 18-line block ×4, first 2 shown]
	v_add_f64_e32 v[156:157], v[204:205], v[202:203]
	v_add_f64_e32 v[194:195], v[194:195], v[196:197]
	s_wait_loadcnt_dscnt 0xa00
	v_mul_f64_e32 v[196:197], v[162:163], v[148:149]
	v_mul_f64_e32 v[148:149], v[164:165], v[148:149]
	v_fmac_f64_e32 v[198:199], v[6:7], v[166:167]
	v_fma_f64 v[166:167], v[4:5], v[166:167], -v[168:169]
	v_add_f64_e32 v[168:169], v[156:157], v[154:155]
	v_add_f64_e32 v[194:195], v[194:195], v[200:201]
	ds_load_b128 v[4:7], v2 offset:1824
	ds_load_b128 v[154:157], v2 offset:1840
	v_fmac_f64_e32 v[196:197], v[164:165], v[146:147]
	v_fma_f64 v[146:147], v[162:163], v[146:147], -v[148:149]
	s_wait_loadcnt_dscnt 0x901
	v_mul_f64_e32 v[200:201], v[4:5], v[172:173]
	v_mul_f64_e32 v[172:173], v[6:7], v[172:173]
	s_wait_loadcnt_dscnt 0x800
	v_mul_f64_e32 v[164:165], v[154:155], v[152:153]
	v_mul_f64_e32 v[152:153], v[156:157], v[152:153]
	v_add_f64_e32 v[148:149], v[168:169], v[166:167]
	v_add_f64_e32 v[162:163], v[194:195], v[198:199]
	v_fmac_f64_e32 v[200:201], v[6:7], v[170:171]
	v_fma_f64 v[166:167], v[4:5], v[170:171], -v[172:173]
	v_fmac_f64_e32 v[164:165], v[156:157], v[150:151]
	v_fma_f64 v[150:151], v[154:155], v[150:151], -v[152:153]
	v_add_f64_e32 v[168:169], v[148:149], v[146:147]
	v_add_f64_e32 v[162:163], v[162:163], v[196:197]
	ds_load_b128 v[4:7], v2 offset:1856
	ds_load_b128 v[146:149], v2 offset:1872
	s_wait_loadcnt_dscnt 0x701
	v_mul_f64_e32 v[170:171], v[4:5], v[176:177]
	v_mul_f64_e32 v[172:173], v[6:7], v[176:177]
	s_wait_loadcnt_dscnt 0x600
	v_mul_f64_e32 v[156:157], v[146:147], v[160:161]
	v_mul_f64_e32 v[160:161], v[148:149], v[160:161]
	v_add_f64_e32 v[152:153], v[168:169], v[166:167]
	v_add_f64_e32 v[154:155], v[162:163], v[200:201]
	v_fmac_f64_e32 v[170:171], v[6:7], v[174:175]
	v_fma_f64 v[162:163], v[4:5], v[174:175], -v[172:173]
	v_fmac_f64_e32 v[156:157], v[148:149], v[158:159]
	v_fma_f64 v[146:147], v[146:147], v[158:159], -v[160:161]
	v_add_f64_e32 v[166:167], v[152:153], v[150:151]
	v_add_f64_e32 v[154:155], v[154:155], v[164:165]
	ds_load_b128 v[4:7], v2 offset:1888
	ds_load_b128 v[150:153], v2 offset:1904
	s_wait_loadcnt_dscnt 0x501
	v_mul_f64_e32 v[164:165], v[4:5], v[192:193]
	v_mul_f64_e32 v[168:169], v[6:7], v[192:193]
	s_wait_loadcnt_dscnt 0x400
	v_mul_f64_e32 v[158:159], v[150:151], v[10:11]
	v_mul_f64_e32 v[10:11], v[152:153], v[10:11]
	v_add_f64_e32 v[148:149], v[166:167], v[162:163]
	v_add_f64_e32 v[154:155], v[154:155], v[170:171]
	v_fmac_f64_e32 v[164:165], v[6:7], v[190:191]
	v_fma_f64 v[160:161], v[4:5], v[190:191], -v[168:169]
	v_fmac_f64_e32 v[158:159], v[152:153], v[8:9]
	v_fma_f64 v[8:9], v[150:151], v[8:9], -v[10:11]
	v_add_f64_e32 v[162:163], v[148:149], v[146:147]
	v_add_f64_e32 v[154:155], v[154:155], v[156:157]
	ds_load_b128 v[4:7], v2 offset:1920
	ds_load_b128 v[146:149], v2 offset:1936
	s_wait_loadcnt_dscnt 0x301
	v_mul_f64_e32 v[156:157], v[4:5], v[180:181]
	v_mul_f64_e32 v[166:167], v[6:7], v[180:181]
	s_wait_loadcnt_dscnt 0x200
	v_mul_f64_e32 v[152:153], v[146:147], v[144:145]
	v_mul_f64_e32 v[144:145], v[148:149], v[144:145]
	v_add_f64_e32 v[10:11], v[162:163], v[160:161]
	v_add_f64_e32 v[150:151], v[154:155], v[164:165]
	v_fmac_f64_e32 v[156:157], v[6:7], v[178:179]
	v_fma_f64 v[154:155], v[4:5], v[178:179], -v[166:167]
	v_fmac_f64_e32 v[152:153], v[148:149], v[142:143]
	v_fma_f64 v[142:143], v[146:147], v[142:143], -v[144:145]
	v_add_f64_e32 v[160:161], v[10:11], v[8:9]
	v_add_f64_e32 v[150:151], v[150:151], v[158:159]
	ds_load_b128 v[4:7], v2 offset:1952
	ds_load_b128 v[8:11], v2 offset:1968
	s_wait_loadcnt_dscnt 0x101
	v_mul_f64_e32 v[2:3], v[4:5], v[188:189]
	v_mul_f64_e32 v[158:159], v[6:7], v[188:189]
	s_wait_loadcnt_dscnt 0x0
	v_mul_f64_e32 v[148:149], v[8:9], v[14:15]
	v_mul_f64_e32 v[14:15], v[10:11], v[14:15]
	v_add_f64_e32 v[144:145], v[160:161], v[154:155]
	v_add_f64_e32 v[146:147], v[150:151], v[156:157]
	v_fmac_f64_e32 v[2:3], v[6:7], v[186:187]
	v_fma_f64 v[4:5], v[4:5], v[186:187], -v[158:159]
	v_fmac_f64_e32 v[148:149], v[10:11], v[12:13]
	v_fma_f64 v[8:9], v[8:9], v[12:13], -v[14:15]
	v_add_f64_e32 v[6:7], v[144:145], v[142:143]
	v_add_f64_e32 v[142:143], v[146:147], v[152:153]
	s_delay_alu instid0(VALU_DEP_2) | instskip(NEXT) | instid1(VALU_DEP_2)
	v_add_f64_e32 v[4:5], v[6:7], v[4:5]
	v_add_f64_e32 v[2:3], v[142:143], v[2:3]
	s_delay_alu instid0(VALU_DEP_2) | instskip(NEXT) | instid1(VALU_DEP_2)
	;; [unrolled: 3-line block ×3, first 2 shown]
	v_add_f64_e64 v[2:3], v[182:183], -v[4:5]
	v_add_f64_e64 v[4:5], v[184:185], -v[6:7]
	scratch_store_b128 off, v[2:5], off offset:304
	s_wait_xcnt 0x0
	v_cmpx_lt_u32_e32 18, v1
	s_cbranch_execz .LBB61_361
; %bb.360:
	scratch_load_b128 v[2:5], off, s63
	v_mov_b32_e32 v6, 0
	s_delay_alu instid0(VALU_DEP_1)
	v_dual_mov_b32 v7, v6 :: v_dual_mov_b32 v8, v6
	v_mov_b32_e32 v9, v6
	scratch_store_b128 off, v[6:9], off offset:288
	s_wait_loadcnt 0x0
	ds_store_b128 v16, v[2:5]
.LBB61_361:
	s_wait_xcnt 0x0
	s_or_b32 exec_lo, exec_lo, s2
	s_wait_storecnt_dscnt 0x0
	s_barrier_signal -1
	s_barrier_wait -1
	s_clause 0x9
	scratch_load_b128 v[4:7], off, off offset:304
	scratch_load_b128 v[8:11], off, off offset:320
	;; [unrolled: 1-line block ×10, first 2 shown]
	v_mov_b32_e32 v2, 0
	s_mov_b32 s2, exec_lo
	ds_load_b128 v[170:173], v2 offset:1296
	s_clause 0x2
	scratch_load_b128 v[174:177], off, off offset:464
	scratch_load_b128 v[178:181], off, off offset:288
	;; [unrolled: 1-line block ×3, first 2 shown]
	s_wait_loadcnt_dscnt 0xc00
	v_mul_f64_e32 v[190:191], v[172:173], v[6:7]
	v_mul_f64_e32 v[194:195], v[170:171], v[6:7]
	ds_load_b128 v[182:185], v2 offset:1312
	v_fma_f64 v[198:199], v[170:171], v[4:5], -v[190:191]
	v_fmac_f64_e32 v[194:195], v[172:173], v[4:5]
	ds_load_b128 v[4:7], v2 offset:1328
	s_wait_loadcnt_dscnt 0xb01
	v_mul_f64_e32 v[196:197], v[182:183], v[10:11]
	v_mul_f64_e32 v[10:11], v[184:185], v[10:11]
	scratch_load_b128 v[170:173], off, off offset:496
	ds_load_b128 v[190:193], v2 offset:1344
	s_wait_loadcnt_dscnt 0xb01
	v_mul_f64_e32 v[200:201], v[4:5], v[14:15]
	v_mul_f64_e32 v[14:15], v[6:7], v[14:15]
	v_add_f64_e32 v[194:195], 0, v[194:195]
	v_fmac_f64_e32 v[196:197], v[184:185], v[8:9]
	v_fma_f64 v[182:183], v[182:183], v[8:9], -v[10:11]
	v_add_f64_e32 v[184:185], 0, v[198:199]
	scratch_load_b128 v[8:11], off, off offset:512
	v_fmac_f64_e32 v[200:201], v[6:7], v[12:13]
	v_fma_f64 v[202:203], v[4:5], v[12:13], -v[14:15]
	ds_load_b128 v[4:7], v2 offset:1360
	s_wait_loadcnt_dscnt 0xb01
	v_mul_f64_e32 v[198:199], v[190:191], v[144:145]
	v_mul_f64_e32 v[144:145], v[192:193], v[144:145]
	scratch_load_b128 v[12:15], off, off offset:528
	v_add_f64_e32 v[194:195], v[194:195], v[196:197]
	v_add_f64_e32 v[204:205], v[184:185], v[182:183]
	ds_load_b128 v[182:185], v2 offset:1376
	s_wait_loadcnt_dscnt 0xb01
	v_mul_f64_e32 v[196:197], v[4:5], v[148:149]
	v_mul_f64_e32 v[148:149], v[6:7], v[148:149]
	v_fmac_f64_e32 v[198:199], v[192:193], v[142:143]
	v_fma_f64 v[190:191], v[190:191], v[142:143], -v[144:145]
	scratch_load_b128 v[142:145], off, off offset:544
	v_add_f64_e32 v[194:195], v[194:195], v[200:201]
	v_add_f64_e32 v[192:193], v[204:205], v[202:203]
	v_fmac_f64_e32 v[196:197], v[6:7], v[146:147]
	v_fma_f64 v[202:203], v[4:5], v[146:147], -v[148:149]
	ds_load_b128 v[4:7], v2 offset:1392
	s_wait_loadcnt_dscnt 0xb01
	v_mul_f64_e32 v[200:201], v[182:183], v[152:153]
	v_mul_f64_e32 v[152:153], v[184:185], v[152:153]
	scratch_load_b128 v[146:149], off, off offset:560
	v_add_f64_e32 v[194:195], v[194:195], v[198:199]
	s_wait_loadcnt_dscnt 0xb00
	v_mul_f64_e32 v[198:199], v[4:5], v[156:157]
	v_add_f64_e32 v[204:205], v[192:193], v[190:191]
	v_mul_f64_e32 v[156:157], v[6:7], v[156:157]
	ds_load_b128 v[190:193], v2 offset:1408
	v_fmac_f64_e32 v[200:201], v[184:185], v[150:151]
	v_fma_f64 v[182:183], v[182:183], v[150:151], -v[152:153]
	scratch_load_b128 v[150:153], off, off offset:576
	v_add_f64_e32 v[194:195], v[194:195], v[196:197]
	v_fmac_f64_e32 v[198:199], v[6:7], v[154:155]
	v_add_f64_e32 v[184:185], v[204:205], v[202:203]
	v_fma_f64 v[202:203], v[4:5], v[154:155], -v[156:157]
	ds_load_b128 v[4:7], v2 offset:1424
	s_wait_loadcnt_dscnt 0xb01
	v_mul_f64_e32 v[196:197], v[190:191], v[160:161]
	v_mul_f64_e32 v[160:161], v[192:193], v[160:161]
	scratch_load_b128 v[154:157], off, off offset:592
	v_add_f64_e32 v[194:195], v[194:195], v[200:201]
	s_wait_loadcnt_dscnt 0xb00
	v_mul_f64_e32 v[200:201], v[4:5], v[164:165]
	v_add_f64_e32 v[204:205], v[184:185], v[182:183]
	v_mul_f64_e32 v[164:165], v[6:7], v[164:165]
	ds_load_b128 v[182:185], v2 offset:1440
	v_fmac_f64_e32 v[196:197], v[192:193], v[158:159]
	v_fma_f64 v[190:191], v[190:191], v[158:159], -v[160:161]
	scratch_load_b128 v[158:161], off, off offset:608
	v_add_f64_e32 v[194:195], v[194:195], v[198:199]
	v_fmac_f64_e32 v[200:201], v[6:7], v[162:163]
	v_add_f64_e32 v[192:193], v[204:205], v[202:203]
	v_fma_f64 v[202:203], v[4:5], v[162:163], -v[164:165]
	ds_load_b128 v[4:7], v2 offset:1456
	s_wait_loadcnt_dscnt 0xb01
	v_mul_f64_e32 v[198:199], v[182:183], v[168:169]
	v_mul_f64_e32 v[168:169], v[184:185], v[168:169]
	scratch_load_b128 v[162:165], off, off offset:624
	v_add_f64_e32 v[194:195], v[194:195], v[196:197]
	s_wait_loadcnt_dscnt 0xb00
	v_mul_f64_e32 v[196:197], v[4:5], v[176:177]
	v_add_f64_e32 v[204:205], v[192:193], v[190:191]
	v_mul_f64_e32 v[176:177], v[6:7], v[176:177]
	ds_load_b128 v[190:193], v2 offset:1472
	v_fmac_f64_e32 v[198:199], v[184:185], v[166:167]
	v_fma_f64 v[182:183], v[182:183], v[166:167], -v[168:169]
	scratch_load_b128 v[166:169], off, off offset:640
	v_add_f64_e32 v[194:195], v[194:195], v[200:201]
	v_fmac_f64_e32 v[196:197], v[6:7], v[174:175]
	v_add_f64_e32 v[184:185], v[204:205], v[202:203]
	v_fma_f64 v[202:203], v[4:5], v[174:175], -v[176:177]
	ds_load_b128 v[4:7], v2 offset:1488
	s_wait_loadcnt_dscnt 0xa01
	v_mul_f64_e32 v[200:201], v[190:191], v[188:189]
	v_mul_f64_e32 v[188:189], v[192:193], v[188:189]
	scratch_load_b128 v[174:177], off, off offset:656
	v_add_f64_e32 v[194:195], v[194:195], v[198:199]
	v_add_f64_e32 v[204:205], v[184:185], v[182:183]
	s_wait_loadcnt_dscnt 0xa00
	v_mul_f64_e32 v[198:199], v[4:5], v[172:173]
	v_mul_f64_e32 v[172:173], v[6:7], v[172:173]
	v_fmac_f64_e32 v[200:201], v[192:193], v[186:187]
	v_fma_f64 v[190:191], v[190:191], v[186:187], -v[188:189]
	ds_load_b128 v[182:185], v2 offset:1504
	scratch_load_b128 v[186:189], off, off offset:672
	v_add_f64_e32 v[194:195], v[194:195], v[196:197]
	v_add_f64_e32 v[192:193], v[204:205], v[202:203]
	v_fmac_f64_e32 v[198:199], v[6:7], v[170:171]
	v_fma_f64 v[202:203], v[4:5], v[170:171], -v[172:173]
	ds_load_b128 v[4:7], v2 offset:1520
	s_wait_loadcnt_dscnt 0xa01
	v_mul_f64_e32 v[196:197], v[182:183], v[10:11]
	v_mul_f64_e32 v[10:11], v[184:185], v[10:11]
	scratch_load_b128 v[170:173], off, off offset:688
	v_add_f64_e32 v[194:195], v[194:195], v[200:201]
	s_wait_loadcnt_dscnt 0xa00
	v_mul_f64_e32 v[200:201], v[4:5], v[14:15]
	v_add_f64_e32 v[204:205], v[192:193], v[190:191]
	v_mul_f64_e32 v[14:15], v[6:7], v[14:15]
	ds_load_b128 v[190:193], v2 offset:1536
	v_fmac_f64_e32 v[196:197], v[184:185], v[8:9]
	v_fma_f64 v[182:183], v[182:183], v[8:9], -v[10:11]
	scratch_load_b128 v[8:11], off, off offset:704
	v_add_f64_e32 v[194:195], v[194:195], v[198:199]
	v_fmac_f64_e32 v[200:201], v[6:7], v[12:13]
	v_add_f64_e32 v[184:185], v[204:205], v[202:203]
	v_fma_f64 v[202:203], v[4:5], v[12:13], -v[14:15]
	ds_load_b128 v[4:7], v2 offset:1552
	s_wait_loadcnt_dscnt 0xa01
	v_mul_f64_e32 v[198:199], v[190:191], v[144:145]
	v_mul_f64_e32 v[144:145], v[192:193], v[144:145]
	scratch_load_b128 v[12:15], off, off offset:720
	v_add_f64_e32 v[194:195], v[194:195], v[196:197]
	s_wait_loadcnt_dscnt 0xa00
	v_mul_f64_e32 v[196:197], v[4:5], v[148:149]
	v_add_f64_e32 v[204:205], v[184:185], v[182:183]
	v_mul_f64_e32 v[148:149], v[6:7], v[148:149]
	ds_load_b128 v[182:185], v2 offset:1568
	v_fmac_f64_e32 v[198:199], v[192:193], v[142:143]
	v_fma_f64 v[190:191], v[190:191], v[142:143], -v[144:145]
	scratch_load_b128 v[142:145], off, off offset:736
	v_add_f64_e32 v[194:195], v[194:195], v[200:201]
	v_fmac_f64_e32 v[196:197], v[6:7], v[146:147]
	v_add_f64_e32 v[192:193], v[204:205], v[202:203]
	;; [unrolled: 18-line block ×9, first 2 shown]
	v_fma_f64 v[202:203], v[4:5], v[154:155], -v[156:157]
	ds_load_b128 v[4:7], v2 offset:1808
	s_wait_loadcnt_dscnt 0xa01
	v_mul_f64_e32 v[196:197], v[190:191], v[160:161]
	v_mul_f64_e32 v[160:161], v[192:193], v[160:161]
	scratch_load_b128 v[154:157], off, off offset:976
	v_add_f64_e32 v[194:195], v[194:195], v[200:201]
	s_wait_loadcnt_dscnt 0xa00
	v_mul_f64_e32 v[200:201], v[4:5], v[164:165]
	v_add_f64_e32 v[204:205], v[184:185], v[182:183]
	v_mul_f64_e32 v[164:165], v[6:7], v[164:165]
	ds_load_b128 v[182:185], v2 offset:1824
	v_fmac_f64_e32 v[196:197], v[192:193], v[158:159]
	v_fma_f64 v[158:159], v[190:191], v[158:159], -v[160:161]
	s_wait_loadcnt_dscnt 0x900
	v_mul_f64_e32 v[192:193], v[182:183], v[168:169]
	v_mul_f64_e32 v[168:169], v[184:185], v[168:169]
	v_add_f64_e32 v[190:191], v[194:195], v[198:199]
	v_fmac_f64_e32 v[200:201], v[6:7], v[162:163]
	v_add_f64_e32 v[160:161], v[204:205], v[202:203]
	v_fma_f64 v[162:163], v[4:5], v[162:163], -v[164:165]
	v_fmac_f64_e32 v[192:193], v[184:185], v[166:167]
	v_fma_f64 v[166:167], v[182:183], v[166:167], -v[168:169]
	v_add_f64_e32 v[190:191], v[190:191], v[196:197]
	v_add_f64_e32 v[164:165], v[160:161], v[158:159]
	ds_load_b128 v[4:7], v2 offset:1840
	ds_load_b128 v[158:161], v2 offset:1856
	s_wait_loadcnt_dscnt 0x801
	v_mul_f64_e32 v[194:195], v[4:5], v[176:177]
	v_mul_f64_e32 v[176:177], v[6:7], v[176:177]
	s_wait_loadcnt_dscnt 0x700
	v_mul_f64_e32 v[168:169], v[158:159], v[188:189]
	v_mul_f64_e32 v[182:183], v[160:161], v[188:189]
	v_add_f64_e32 v[162:163], v[164:165], v[162:163]
	v_add_f64_e32 v[164:165], v[190:191], v[200:201]
	v_fmac_f64_e32 v[194:195], v[6:7], v[174:175]
	v_fma_f64 v[174:175], v[4:5], v[174:175], -v[176:177]
	v_fmac_f64_e32 v[168:169], v[160:161], v[186:187]
	v_fma_f64 v[158:159], v[158:159], v[186:187], -v[182:183]
	v_add_f64_e32 v[166:167], v[162:163], v[166:167]
	v_add_f64_e32 v[176:177], v[164:165], v[192:193]
	ds_load_b128 v[4:7], v2 offset:1872
	ds_load_b128 v[162:165], v2 offset:1888
	s_wait_loadcnt_dscnt 0x601
	v_mul_f64_e32 v[184:185], v[4:5], v[172:173]
	v_mul_f64_e32 v[172:173], v[6:7], v[172:173]
	v_add_f64_e32 v[160:161], v[166:167], v[174:175]
	v_add_f64_e32 v[166:167], v[176:177], v[194:195]
	s_wait_loadcnt_dscnt 0x500
	v_mul_f64_e32 v[174:175], v[162:163], v[10:11]
	v_mul_f64_e32 v[10:11], v[164:165], v[10:11]
	v_fmac_f64_e32 v[184:185], v[6:7], v[170:171]
	v_fma_f64 v[170:171], v[4:5], v[170:171], -v[172:173]
	v_add_f64_e32 v[172:173], v[160:161], v[158:159]
	v_add_f64_e32 v[166:167], v[166:167], v[168:169]
	ds_load_b128 v[4:7], v2 offset:1904
	ds_load_b128 v[158:161], v2 offset:1920
	v_fmac_f64_e32 v[174:175], v[164:165], v[8:9]
	v_fma_f64 v[8:9], v[162:163], v[8:9], -v[10:11]
	s_wait_loadcnt_dscnt 0x401
	v_mul_f64_e32 v[168:169], v[4:5], v[14:15]
	v_mul_f64_e32 v[14:15], v[6:7], v[14:15]
	s_wait_loadcnt_dscnt 0x300
	v_mul_f64_e32 v[164:165], v[158:159], v[144:145]
	v_mul_f64_e32 v[144:145], v[160:161], v[144:145]
	v_add_f64_e32 v[10:11], v[172:173], v[170:171]
	v_add_f64_e32 v[162:163], v[166:167], v[184:185]
	v_fmac_f64_e32 v[168:169], v[6:7], v[12:13]
	v_fma_f64 v[12:13], v[4:5], v[12:13], -v[14:15]
	v_fmac_f64_e32 v[164:165], v[160:161], v[142:143]
	v_fma_f64 v[142:143], v[158:159], v[142:143], -v[144:145]
	v_add_f64_e32 v[14:15], v[10:11], v[8:9]
	v_add_f64_e32 v[162:163], v[162:163], v[174:175]
	ds_load_b128 v[4:7], v2 offset:1936
	ds_load_b128 v[8:11], v2 offset:1952
	s_wait_loadcnt_dscnt 0x201
	v_mul_f64_e32 v[166:167], v[4:5], v[148:149]
	v_mul_f64_e32 v[148:149], v[6:7], v[148:149]
	s_wait_loadcnt_dscnt 0x100
	v_mul_f64_e32 v[144:145], v[8:9], v[152:153]
	v_mul_f64_e32 v[152:153], v[10:11], v[152:153]
	v_add_f64_e32 v[12:13], v[14:15], v[12:13]
	v_add_f64_e32 v[14:15], v[162:163], v[168:169]
	v_fmac_f64_e32 v[166:167], v[6:7], v[146:147]
	v_fma_f64 v[146:147], v[4:5], v[146:147], -v[148:149]
	ds_load_b128 v[4:7], v2 offset:1968
	v_fmac_f64_e32 v[144:145], v[10:11], v[150:151]
	v_fma_f64 v[8:9], v[8:9], v[150:151], -v[152:153]
	v_add_f64_e32 v[12:13], v[12:13], v[142:143]
	v_add_f64_e32 v[14:15], v[14:15], v[164:165]
	s_wait_loadcnt_dscnt 0x0
	v_mul_f64_e32 v[142:143], v[4:5], v[156:157]
	v_mul_f64_e32 v[148:149], v[6:7], v[156:157]
	s_delay_alu instid0(VALU_DEP_4) | instskip(NEXT) | instid1(VALU_DEP_4)
	v_add_f64_e32 v[10:11], v[12:13], v[146:147]
	v_add_f64_e32 v[12:13], v[14:15], v[166:167]
	s_delay_alu instid0(VALU_DEP_4) | instskip(NEXT) | instid1(VALU_DEP_4)
	v_fmac_f64_e32 v[142:143], v[6:7], v[154:155]
	v_fma_f64 v[4:5], v[4:5], v[154:155], -v[148:149]
	s_delay_alu instid0(VALU_DEP_4) | instskip(NEXT) | instid1(VALU_DEP_4)
	v_add_f64_e32 v[6:7], v[10:11], v[8:9]
	v_add_f64_e32 v[8:9], v[12:13], v[144:145]
	s_delay_alu instid0(VALU_DEP_2) | instskip(NEXT) | instid1(VALU_DEP_2)
	v_add_f64_e32 v[4:5], v[6:7], v[4:5]
	v_add_f64_e32 v[6:7], v[8:9], v[142:143]
	s_delay_alu instid0(VALU_DEP_2) | instskip(NEXT) | instid1(VALU_DEP_2)
	v_add_f64_e64 v[4:5], v[178:179], -v[4:5]
	v_add_f64_e64 v[6:7], v[180:181], -v[6:7]
	scratch_store_b128 off, v[4:7], off offset:288
	s_wait_xcnt 0x0
	v_cmpx_lt_u32_e32 17, v1
	s_cbranch_execz .LBB61_363
; %bb.362:
	scratch_load_b128 v[6:9], off, s60
	v_dual_mov_b32 v3, v2 :: v_dual_mov_b32 v4, v2
	v_mov_b32_e32 v5, v2
	scratch_store_b128 off, v[2:5], off offset:272
	s_wait_loadcnt 0x0
	ds_store_b128 v16, v[6:9]
.LBB61_363:
	s_wait_xcnt 0x0
	s_or_b32 exec_lo, exec_lo, s2
	s_wait_storecnt_dscnt 0x0
	s_barrier_signal -1
	s_barrier_wait -1
	s_clause 0x9
	scratch_load_b128 v[4:7], off, off offset:288
	scratch_load_b128 v[8:11], off, off offset:304
	;; [unrolled: 1-line block ×10, first 2 shown]
	ds_load_b128 v[170:173], v2 offset:1280
	ds_load_b128 v[178:181], v2 offset:1296
	s_clause 0x2
	scratch_load_b128 v[174:177], off, off offset:448
	scratch_load_b128 v[182:185], off, off offset:272
	scratch_load_b128 v[186:189], off, off offset:464
	s_mov_b32 s2, exec_lo
	s_wait_loadcnt_dscnt 0xc01
	v_mul_f64_e32 v[190:191], v[172:173], v[6:7]
	v_mul_f64_e32 v[194:195], v[170:171], v[6:7]
	s_wait_loadcnt_dscnt 0xb00
	v_mul_f64_e32 v[196:197], v[178:179], v[10:11]
	v_mul_f64_e32 v[10:11], v[180:181], v[10:11]
	s_delay_alu instid0(VALU_DEP_4) | instskip(NEXT) | instid1(VALU_DEP_4)
	v_fma_f64 v[198:199], v[170:171], v[4:5], -v[190:191]
	v_fmac_f64_e32 v[194:195], v[172:173], v[4:5]
	ds_load_b128 v[4:7], v2 offset:1312
	ds_load_b128 v[170:173], v2 offset:1328
	scratch_load_b128 v[190:193], off, off offset:480
	v_fmac_f64_e32 v[196:197], v[180:181], v[8:9]
	v_fma_f64 v[178:179], v[178:179], v[8:9], -v[10:11]
	scratch_load_b128 v[8:11], off, off offset:496
	s_wait_loadcnt_dscnt 0xc01
	v_mul_f64_e32 v[200:201], v[4:5], v[14:15]
	v_mul_f64_e32 v[14:15], v[6:7], v[14:15]
	v_add_f64_e32 v[180:181], 0, v[198:199]
	v_add_f64_e32 v[194:195], 0, v[194:195]
	s_wait_loadcnt_dscnt 0xb00
	v_mul_f64_e32 v[198:199], v[170:171], v[144:145]
	v_mul_f64_e32 v[144:145], v[172:173], v[144:145]
	v_fmac_f64_e32 v[200:201], v[6:7], v[12:13]
	v_fma_f64 v[202:203], v[4:5], v[12:13], -v[14:15]
	ds_load_b128 v[4:7], v2 offset:1344
	ds_load_b128 v[12:15], v2 offset:1360
	v_add_f64_e32 v[204:205], v[180:181], v[178:179]
	v_add_f64_e32 v[194:195], v[194:195], v[196:197]
	scratch_load_b128 v[178:181], off, off offset:512
	v_fmac_f64_e32 v[198:199], v[172:173], v[142:143]
	v_fma_f64 v[170:171], v[170:171], v[142:143], -v[144:145]
	scratch_load_b128 v[142:145], off, off offset:528
	s_wait_loadcnt_dscnt 0xc01
	v_mul_f64_e32 v[196:197], v[4:5], v[148:149]
	v_mul_f64_e32 v[148:149], v[6:7], v[148:149]
	v_add_f64_e32 v[172:173], v[204:205], v[202:203]
	v_add_f64_e32 v[194:195], v[194:195], v[200:201]
	s_wait_loadcnt_dscnt 0xb00
	v_mul_f64_e32 v[200:201], v[12:13], v[152:153]
	v_mul_f64_e32 v[152:153], v[14:15], v[152:153]
	v_fmac_f64_e32 v[196:197], v[6:7], v[146:147]
	v_fma_f64 v[202:203], v[4:5], v[146:147], -v[148:149]
	ds_load_b128 v[4:7], v2 offset:1376
	ds_load_b128 v[146:149], v2 offset:1392
	v_add_f64_e32 v[204:205], v[172:173], v[170:171]
	v_add_f64_e32 v[194:195], v[194:195], v[198:199]
	scratch_load_b128 v[170:173], off, off offset:544
	s_wait_loadcnt_dscnt 0xb01
	v_mul_f64_e32 v[198:199], v[4:5], v[156:157]
	v_mul_f64_e32 v[156:157], v[6:7], v[156:157]
	v_fmac_f64_e32 v[200:201], v[14:15], v[150:151]
	v_fma_f64 v[150:151], v[12:13], v[150:151], -v[152:153]
	scratch_load_b128 v[12:15], off, off offset:560
	v_add_f64_e32 v[152:153], v[204:205], v[202:203]
	v_add_f64_e32 v[194:195], v[194:195], v[196:197]
	s_wait_loadcnt_dscnt 0xb00
	v_mul_f64_e32 v[196:197], v[146:147], v[160:161]
	v_mul_f64_e32 v[160:161], v[148:149], v[160:161]
	v_fmac_f64_e32 v[198:199], v[6:7], v[154:155]
	v_fma_f64 v[202:203], v[4:5], v[154:155], -v[156:157]
	v_add_f64_e32 v[204:205], v[152:153], v[150:151]
	v_add_f64_e32 v[194:195], v[194:195], v[200:201]
	ds_load_b128 v[4:7], v2 offset:1408
	ds_load_b128 v[150:153], v2 offset:1424
	scratch_load_b128 v[154:157], off, off offset:576
	v_fmac_f64_e32 v[196:197], v[148:149], v[158:159]
	v_fma_f64 v[158:159], v[146:147], v[158:159], -v[160:161]
	scratch_load_b128 v[146:149], off, off offset:592
	s_wait_loadcnt_dscnt 0xc01
	v_mul_f64_e32 v[200:201], v[4:5], v[164:165]
	v_mul_f64_e32 v[164:165], v[6:7], v[164:165]
	v_add_f64_e32 v[160:161], v[204:205], v[202:203]
	v_add_f64_e32 v[194:195], v[194:195], v[198:199]
	s_wait_loadcnt_dscnt 0xb00
	v_mul_f64_e32 v[198:199], v[150:151], v[168:169]
	v_mul_f64_e32 v[168:169], v[152:153], v[168:169]
	v_fmac_f64_e32 v[200:201], v[6:7], v[162:163]
	v_fma_f64 v[202:203], v[4:5], v[162:163], -v[164:165]
	v_add_f64_e32 v[204:205], v[160:161], v[158:159]
	v_add_f64_e32 v[194:195], v[194:195], v[196:197]
	ds_load_b128 v[4:7], v2 offset:1440
	ds_load_b128 v[158:161], v2 offset:1456
	scratch_load_b128 v[162:165], off, off offset:608
	v_fmac_f64_e32 v[198:199], v[152:153], v[166:167]
	v_fma_f64 v[166:167], v[150:151], v[166:167], -v[168:169]
	scratch_load_b128 v[150:153], off, off offset:624
	s_wait_loadcnt_dscnt 0xc01
	v_mul_f64_e32 v[196:197], v[4:5], v[176:177]
	v_mul_f64_e32 v[176:177], v[6:7], v[176:177]
	;; [unrolled: 18-line block ×5, first 2 shown]
	v_add_f64_e32 v[188:189], v[204:205], v[202:203]
	v_add_f64_e32 v[194:195], v[194:195], v[200:201]
	s_wait_loadcnt_dscnt 0xa00
	v_mul_f64_e32 v[200:201], v[166:167], v[14:15]
	v_mul_f64_e32 v[14:15], v[168:169], v[14:15]
	v_fmac_f64_e32 v[196:197], v[6:7], v[170:171]
	v_fma_f64 v[202:203], v[4:5], v[170:171], -v[172:173]
	ds_load_b128 v[4:7], v2 offset:1568
	ds_load_b128 v[170:173], v2 offset:1584
	v_add_f64_e32 v[204:205], v[188:189], v[186:187]
	v_add_f64_e32 v[194:195], v[194:195], v[198:199]
	scratch_load_b128 v[186:189], off, off offset:736
	v_fmac_f64_e32 v[200:201], v[168:169], v[12:13]
	v_fma_f64 v[166:167], v[166:167], v[12:13], -v[14:15]
	scratch_load_b128 v[12:15], off, off offset:752
	s_wait_loadcnt_dscnt 0xb01
	v_mul_f64_e32 v[198:199], v[4:5], v[156:157]
	v_mul_f64_e32 v[156:157], v[6:7], v[156:157]
	v_add_f64_e32 v[168:169], v[204:205], v[202:203]
	v_add_f64_e32 v[194:195], v[194:195], v[196:197]
	s_wait_loadcnt_dscnt 0xa00
	v_mul_f64_e32 v[196:197], v[170:171], v[148:149]
	v_mul_f64_e32 v[148:149], v[172:173], v[148:149]
	v_fmac_f64_e32 v[198:199], v[6:7], v[154:155]
	v_fma_f64 v[202:203], v[4:5], v[154:155], -v[156:157]
	ds_load_b128 v[4:7], v2 offset:1600
	ds_load_b128 v[154:157], v2 offset:1616
	v_add_f64_e32 v[204:205], v[168:169], v[166:167]
	v_add_f64_e32 v[194:195], v[194:195], v[200:201]
	scratch_load_b128 v[166:169], off, off offset:768
	s_wait_loadcnt_dscnt 0xa01
	v_mul_f64_e32 v[200:201], v[4:5], v[164:165]
	v_mul_f64_e32 v[164:165], v[6:7], v[164:165]
	v_fmac_f64_e32 v[196:197], v[172:173], v[146:147]
	v_fma_f64 v[170:171], v[170:171], v[146:147], -v[148:149]
	scratch_load_b128 v[146:149], off, off offset:784
	v_add_f64_e32 v[172:173], v[204:205], v[202:203]
	v_add_f64_e32 v[194:195], v[194:195], v[198:199]
	s_wait_loadcnt_dscnt 0xa00
	v_mul_f64_e32 v[198:199], v[154:155], v[152:153]
	v_mul_f64_e32 v[152:153], v[156:157], v[152:153]
	v_fmac_f64_e32 v[200:201], v[6:7], v[162:163]
	v_fma_f64 v[202:203], v[4:5], v[162:163], -v[164:165]
	ds_load_b128 v[4:7], v2 offset:1632
	ds_load_b128 v[162:165], v2 offset:1648
	v_add_f64_e32 v[204:205], v[172:173], v[170:171]
	v_add_f64_e32 v[194:195], v[194:195], v[196:197]
	scratch_load_b128 v[170:173], off, off offset:800
	s_wait_loadcnt_dscnt 0xa01
	v_mul_f64_e32 v[196:197], v[4:5], v[176:177]
	v_mul_f64_e32 v[176:177], v[6:7], v[176:177]
	v_fmac_f64_e32 v[198:199], v[156:157], v[150:151]
	v_fma_f64 v[154:155], v[154:155], v[150:151], -v[152:153]
	scratch_load_b128 v[150:153], off, off offset:816
	v_add_f64_e32 v[156:157], v[204:205], v[202:203]
	v_add_f64_e32 v[194:195], v[194:195], v[200:201]
	s_wait_loadcnt_dscnt 0xa00
	v_mul_f64_e32 v[200:201], v[162:163], v[160:161]
	v_mul_f64_e32 v[160:161], v[164:165], v[160:161]
	v_fmac_f64_e32 v[196:197], v[6:7], v[174:175]
	v_fma_f64 v[202:203], v[4:5], v[174:175], -v[176:177]
	v_add_f64_e32 v[204:205], v[156:157], v[154:155]
	v_add_f64_e32 v[194:195], v[194:195], v[198:199]
	ds_load_b128 v[4:7], v2 offset:1664
	ds_load_b128 v[154:157], v2 offset:1680
	scratch_load_b128 v[174:177], off, off offset:832
	v_fmac_f64_e32 v[200:201], v[164:165], v[158:159]
	v_fma_f64 v[162:163], v[162:163], v[158:159], -v[160:161]
	scratch_load_b128 v[158:161], off, off offset:848
	s_wait_loadcnt_dscnt 0xb01
	v_mul_f64_e32 v[198:199], v[4:5], v[192:193]
	v_mul_f64_e32 v[192:193], v[6:7], v[192:193]
	v_add_f64_e32 v[164:165], v[204:205], v[202:203]
	v_add_f64_e32 v[194:195], v[194:195], v[196:197]
	s_wait_loadcnt_dscnt 0xa00
	v_mul_f64_e32 v[196:197], v[154:155], v[10:11]
	v_mul_f64_e32 v[10:11], v[156:157], v[10:11]
	v_fmac_f64_e32 v[198:199], v[6:7], v[190:191]
	v_fma_f64 v[202:203], v[4:5], v[190:191], -v[192:193]
	v_add_f64_e32 v[204:205], v[164:165], v[162:163]
	v_add_f64_e32 v[194:195], v[194:195], v[200:201]
	ds_load_b128 v[4:7], v2 offset:1696
	ds_load_b128 v[162:165], v2 offset:1712
	scratch_load_b128 v[190:193], off, off offset:864
	v_fmac_f64_e32 v[196:197], v[156:157], v[8:9]
	v_fma_f64 v[154:155], v[154:155], v[8:9], -v[10:11]
	scratch_load_b128 v[8:11], off, off offset:880
	s_wait_loadcnt_dscnt 0xb01
	v_mul_f64_e32 v[200:201], v[4:5], v[180:181]
	v_mul_f64_e32 v[180:181], v[6:7], v[180:181]
	;; [unrolled: 18-line block ×5, first 2 shown]
	v_add_f64_e32 v[164:165], v[204:205], v[202:203]
	v_add_f64_e32 v[194:195], v[194:195], v[198:199]
	s_wait_loadcnt_dscnt 0xa00
	v_mul_f64_e32 v[198:199], v[154:155], v[152:153]
	v_mul_f64_e32 v[152:153], v[156:157], v[152:153]
	v_fmac_f64_e32 v[200:201], v[6:7], v[170:171]
	v_fma_f64 v[170:171], v[4:5], v[170:171], -v[172:173]
	v_add_f64_e32 v[172:173], v[164:165], v[162:163]
	v_add_f64_e32 v[194:195], v[194:195], v[196:197]
	ds_load_b128 v[4:7], v2 offset:1824
	ds_load_b128 v[162:165], v2 offset:1840
	v_fmac_f64_e32 v[198:199], v[156:157], v[150:151]
	v_fma_f64 v[150:151], v[154:155], v[150:151], -v[152:153]
	s_wait_loadcnt_dscnt 0x901
	v_mul_f64_e32 v[196:197], v[4:5], v[176:177]
	v_mul_f64_e32 v[176:177], v[6:7], v[176:177]
	s_wait_loadcnt_dscnt 0x800
	v_mul_f64_e32 v[156:157], v[162:163], v[160:161]
	v_mul_f64_e32 v[160:161], v[164:165], v[160:161]
	v_add_f64_e32 v[152:153], v[172:173], v[170:171]
	v_add_f64_e32 v[154:155], v[194:195], v[200:201]
	v_fmac_f64_e32 v[196:197], v[6:7], v[174:175]
	v_fma_f64 v[170:171], v[4:5], v[174:175], -v[176:177]
	v_fmac_f64_e32 v[156:157], v[164:165], v[158:159]
	v_fma_f64 v[158:159], v[162:163], v[158:159], -v[160:161]
	v_add_f64_e32 v[172:173], v[152:153], v[150:151]
	v_add_f64_e32 v[154:155], v[154:155], v[198:199]
	ds_load_b128 v[4:7], v2 offset:1856
	ds_load_b128 v[150:153], v2 offset:1872
	s_wait_loadcnt_dscnt 0x701
	v_mul_f64_e32 v[174:175], v[4:5], v[192:193]
	v_mul_f64_e32 v[176:177], v[6:7], v[192:193]
	s_wait_loadcnt_dscnt 0x600
	v_mul_f64_e32 v[162:163], v[150:151], v[10:11]
	v_mul_f64_e32 v[10:11], v[152:153], v[10:11]
	v_add_f64_e32 v[160:161], v[172:173], v[170:171]
	v_add_f64_e32 v[154:155], v[154:155], v[196:197]
	v_fmac_f64_e32 v[174:175], v[6:7], v[190:191]
	v_fma_f64 v[164:165], v[4:5], v[190:191], -v[176:177]
	v_fmac_f64_e32 v[162:163], v[152:153], v[8:9]
	v_fma_f64 v[8:9], v[150:151], v[8:9], -v[10:11]
	v_add_f64_e32 v[158:159], v[160:161], v[158:159]
	v_add_f64_e32 v[160:161], v[154:155], v[156:157]
	ds_load_b128 v[4:7], v2 offset:1888
	ds_load_b128 v[154:157], v2 offset:1904
	;; [unrolled: 16-line block ×4, first 2 shown]
	s_wait_loadcnt_dscnt 0x101
	v_mul_f64_e32 v[2:3], v[4:5], v[168:169]
	v_mul_f64_e32 v[152:153], v[6:7], v[168:169]
	s_wait_loadcnt_dscnt 0x0
	v_mul_f64_e32 v[14:15], v[142:143], v[148:149]
	v_mul_f64_e32 v[148:149], v[144:145], v[148:149]
	v_add_f64_e32 v[10:11], v[158:159], v[156:157]
	v_add_f64_e32 v[12:13], v[150:151], v[162:163]
	v_fmac_f64_e32 v[2:3], v[6:7], v[166:167]
	v_fma_f64 v[4:5], v[4:5], v[166:167], -v[152:153]
	v_fmac_f64_e32 v[14:15], v[144:145], v[146:147]
	v_add_f64_e32 v[6:7], v[10:11], v[8:9]
	v_add_f64_e32 v[8:9], v[12:13], v[154:155]
	v_fma_f64 v[10:11], v[142:143], v[146:147], -v[148:149]
	s_delay_alu instid0(VALU_DEP_3) | instskip(NEXT) | instid1(VALU_DEP_3)
	v_add_f64_e32 v[4:5], v[6:7], v[4:5]
	v_add_f64_e32 v[2:3], v[8:9], v[2:3]
	s_delay_alu instid0(VALU_DEP_2) | instskip(NEXT) | instid1(VALU_DEP_2)
	v_add_f64_e32 v[4:5], v[4:5], v[10:11]
	v_add_f64_e32 v[6:7], v[2:3], v[14:15]
	s_delay_alu instid0(VALU_DEP_2) | instskip(NEXT) | instid1(VALU_DEP_2)
	v_add_f64_e64 v[2:3], v[182:183], -v[4:5]
	v_add_f64_e64 v[4:5], v[184:185], -v[6:7]
	scratch_store_b128 off, v[2:5], off offset:272
	s_wait_xcnt 0x0
	v_cmpx_lt_u32_e32 16, v1
	s_cbranch_execz .LBB61_365
; %bb.364:
	scratch_load_b128 v[2:5], off, s57
	v_mov_b32_e32 v6, 0
	s_delay_alu instid0(VALU_DEP_1)
	v_dual_mov_b32 v7, v6 :: v_dual_mov_b32 v8, v6
	v_mov_b32_e32 v9, v6
	scratch_store_b128 off, v[6:9], off offset:256
	s_wait_loadcnt 0x0
	ds_store_b128 v16, v[2:5]
.LBB61_365:
	s_wait_xcnt 0x0
	s_or_b32 exec_lo, exec_lo, s2
	s_wait_storecnt_dscnt 0x0
	s_barrier_signal -1
	s_barrier_wait -1
	s_clause 0x9
	scratch_load_b128 v[4:7], off, off offset:272
	scratch_load_b128 v[8:11], off, off offset:288
	;; [unrolled: 1-line block ×10, first 2 shown]
	v_mov_b32_e32 v2, 0
	s_mov_b32 s2, exec_lo
	ds_load_b128 v[170:173], v2 offset:1264
	s_clause 0x2
	scratch_load_b128 v[174:177], off, off offset:432
	scratch_load_b128 v[178:181], off, off offset:256
	;; [unrolled: 1-line block ×3, first 2 shown]
	s_wait_loadcnt_dscnt 0xc00
	v_mul_f64_e32 v[190:191], v[172:173], v[6:7]
	v_mul_f64_e32 v[194:195], v[170:171], v[6:7]
	ds_load_b128 v[182:185], v2 offset:1280
	v_fma_f64 v[198:199], v[170:171], v[4:5], -v[190:191]
	v_fmac_f64_e32 v[194:195], v[172:173], v[4:5]
	ds_load_b128 v[4:7], v2 offset:1296
	s_wait_loadcnt_dscnt 0xb01
	v_mul_f64_e32 v[196:197], v[182:183], v[10:11]
	v_mul_f64_e32 v[10:11], v[184:185], v[10:11]
	scratch_load_b128 v[170:173], off, off offset:464
	ds_load_b128 v[190:193], v2 offset:1312
	s_wait_loadcnt_dscnt 0xb01
	v_mul_f64_e32 v[200:201], v[4:5], v[14:15]
	v_mul_f64_e32 v[14:15], v[6:7], v[14:15]
	v_add_f64_e32 v[194:195], 0, v[194:195]
	v_fmac_f64_e32 v[196:197], v[184:185], v[8:9]
	v_fma_f64 v[182:183], v[182:183], v[8:9], -v[10:11]
	v_add_f64_e32 v[184:185], 0, v[198:199]
	scratch_load_b128 v[8:11], off, off offset:480
	v_fmac_f64_e32 v[200:201], v[6:7], v[12:13]
	v_fma_f64 v[202:203], v[4:5], v[12:13], -v[14:15]
	ds_load_b128 v[4:7], v2 offset:1328
	s_wait_loadcnt_dscnt 0xb01
	v_mul_f64_e32 v[198:199], v[190:191], v[144:145]
	v_mul_f64_e32 v[144:145], v[192:193], v[144:145]
	scratch_load_b128 v[12:15], off, off offset:496
	v_add_f64_e32 v[194:195], v[194:195], v[196:197]
	v_add_f64_e32 v[204:205], v[184:185], v[182:183]
	ds_load_b128 v[182:185], v2 offset:1344
	s_wait_loadcnt_dscnt 0xb01
	v_mul_f64_e32 v[196:197], v[4:5], v[148:149]
	v_mul_f64_e32 v[148:149], v[6:7], v[148:149]
	v_fmac_f64_e32 v[198:199], v[192:193], v[142:143]
	v_fma_f64 v[190:191], v[190:191], v[142:143], -v[144:145]
	scratch_load_b128 v[142:145], off, off offset:512
	v_add_f64_e32 v[194:195], v[194:195], v[200:201]
	v_add_f64_e32 v[192:193], v[204:205], v[202:203]
	v_fmac_f64_e32 v[196:197], v[6:7], v[146:147]
	v_fma_f64 v[202:203], v[4:5], v[146:147], -v[148:149]
	ds_load_b128 v[4:7], v2 offset:1360
	s_wait_loadcnt_dscnt 0xb01
	v_mul_f64_e32 v[200:201], v[182:183], v[152:153]
	v_mul_f64_e32 v[152:153], v[184:185], v[152:153]
	scratch_load_b128 v[146:149], off, off offset:528
	v_add_f64_e32 v[194:195], v[194:195], v[198:199]
	s_wait_loadcnt_dscnt 0xb00
	v_mul_f64_e32 v[198:199], v[4:5], v[156:157]
	v_add_f64_e32 v[204:205], v[192:193], v[190:191]
	v_mul_f64_e32 v[156:157], v[6:7], v[156:157]
	ds_load_b128 v[190:193], v2 offset:1376
	v_fmac_f64_e32 v[200:201], v[184:185], v[150:151]
	v_fma_f64 v[182:183], v[182:183], v[150:151], -v[152:153]
	scratch_load_b128 v[150:153], off, off offset:544
	v_add_f64_e32 v[194:195], v[194:195], v[196:197]
	v_fmac_f64_e32 v[198:199], v[6:7], v[154:155]
	v_add_f64_e32 v[184:185], v[204:205], v[202:203]
	v_fma_f64 v[202:203], v[4:5], v[154:155], -v[156:157]
	ds_load_b128 v[4:7], v2 offset:1392
	s_wait_loadcnt_dscnt 0xb01
	v_mul_f64_e32 v[196:197], v[190:191], v[160:161]
	v_mul_f64_e32 v[160:161], v[192:193], v[160:161]
	scratch_load_b128 v[154:157], off, off offset:560
	v_add_f64_e32 v[194:195], v[194:195], v[200:201]
	s_wait_loadcnt_dscnt 0xb00
	v_mul_f64_e32 v[200:201], v[4:5], v[164:165]
	v_add_f64_e32 v[204:205], v[184:185], v[182:183]
	v_mul_f64_e32 v[164:165], v[6:7], v[164:165]
	ds_load_b128 v[182:185], v2 offset:1408
	v_fmac_f64_e32 v[196:197], v[192:193], v[158:159]
	v_fma_f64 v[190:191], v[190:191], v[158:159], -v[160:161]
	scratch_load_b128 v[158:161], off, off offset:576
	v_add_f64_e32 v[194:195], v[194:195], v[198:199]
	v_fmac_f64_e32 v[200:201], v[6:7], v[162:163]
	v_add_f64_e32 v[192:193], v[204:205], v[202:203]
	;; [unrolled: 18-line block ×3, first 2 shown]
	v_fma_f64 v[202:203], v[4:5], v[174:175], -v[176:177]
	ds_load_b128 v[4:7], v2 offset:1456
	s_wait_loadcnt_dscnt 0xa01
	v_mul_f64_e32 v[200:201], v[190:191], v[188:189]
	v_mul_f64_e32 v[188:189], v[192:193], v[188:189]
	scratch_load_b128 v[174:177], off, off offset:624
	v_add_f64_e32 v[194:195], v[194:195], v[198:199]
	v_add_f64_e32 v[204:205], v[184:185], v[182:183]
	s_wait_loadcnt_dscnt 0xa00
	v_mul_f64_e32 v[198:199], v[4:5], v[172:173]
	v_mul_f64_e32 v[172:173], v[6:7], v[172:173]
	v_fmac_f64_e32 v[200:201], v[192:193], v[186:187]
	v_fma_f64 v[190:191], v[190:191], v[186:187], -v[188:189]
	ds_load_b128 v[182:185], v2 offset:1472
	scratch_load_b128 v[186:189], off, off offset:640
	v_add_f64_e32 v[194:195], v[194:195], v[196:197]
	v_add_f64_e32 v[192:193], v[204:205], v[202:203]
	v_fmac_f64_e32 v[198:199], v[6:7], v[170:171]
	v_fma_f64 v[202:203], v[4:5], v[170:171], -v[172:173]
	ds_load_b128 v[4:7], v2 offset:1488
	s_wait_loadcnt_dscnt 0xa01
	v_mul_f64_e32 v[196:197], v[182:183], v[10:11]
	v_mul_f64_e32 v[10:11], v[184:185], v[10:11]
	scratch_load_b128 v[170:173], off, off offset:656
	v_add_f64_e32 v[194:195], v[194:195], v[200:201]
	s_wait_loadcnt_dscnt 0xa00
	v_mul_f64_e32 v[200:201], v[4:5], v[14:15]
	v_add_f64_e32 v[204:205], v[192:193], v[190:191]
	v_mul_f64_e32 v[14:15], v[6:7], v[14:15]
	ds_load_b128 v[190:193], v2 offset:1504
	v_fmac_f64_e32 v[196:197], v[184:185], v[8:9]
	v_fma_f64 v[182:183], v[182:183], v[8:9], -v[10:11]
	scratch_load_b128 v[8:11], off, off offset:672
	v_add_f64_e32 v[194:195], v[194:195], v[198:199]
	v_fmac_f64_e32 v[200:201], v[6:7], v[12:13]
	v_add_f64_e32 v[184:185], v[204:205], v[202:203]
	v_fma_f64 v[202:203], v[4:5], v[12:13], -v[14:15]
	ds_load_b128 v[4:7], v2 offset:1520
	s_wait_loadcnt_dscnt 0xa01
	v_mul_f64_e32 v[198:199], v[190:191], v[144:145]
	v_mul_f64_e32 v[144:145], v[192:193], v[144:145]
	scratch_load_b128 v[12:15], off, off offset:688
	v_add_f64_e32 v[194:195], v[194:195], v[196:197]
	s_wait_loadcnt_dscnt 0xa00
	v_mul_f64_e32 v[196:197], v[4:5], v[148:149]
	v_add_f64_e32 v[204:205], v[184:185], v[182:183]
	v_mul_f64_e32 v[148:149], v[6:7], v[148:149]
	ds_load_b128 v[182:185], v2 offset:1536
	v_fmac_f64_e32 v[198:199], v[192:193], v[142:143]
	v_fma_f64 v[190:191], v[190:191], v[142:143], -v[144:145]
	scratch_load_b128 v[142:145], off, off offset:704
	v_add_f64_e32 v[194:195], v[194:195], v[200:201]
	v_fmac_f64_e32 v[196:197], v[6:7], v[146:147]
	v_add_f64_e32 v[192:193], v[204:205], v[202:203]
	v_fma_f64 v[202:203], v[4:5], v[146:147], -v[148:149]
	ds_load_b128 v[4:7], v2 offset:1552
	s_wait_loadcnt_dscnt 0xa01
	v_mul_f64_e32 v[200:201], v[182:183], v[152:153]
	v_mul_f64_e32 v[152:153], v[184:185], v[152:153]
	scratch_load_b128 v[146:149], off, off offset:720
	v_add_f64_e32 v[194:195], v[194:195], v[198:199]
	s_wait_loadcnt_dscnt 0xa00
	v_mul_f64_e32 v[198:199], v[4:5], v[156:157]
	v_add_f64_e32 v[204:205], v[192:193], v[190:191]
	v_mul_f64_e32 v[156:157], v[6:7], v[156:157]
	ds_load_b128 v[190:193], v2 offset:1568
	v_fmac_f64_e32 v[200:201], v[184:185], v[150:151]
	v_fma_f64 v[182:183], v[182:183], v[150:151], -v[152:153]
	scratch_load_b128 v[150:153], off, off offset:736
	v_add_f64_e32 v[194:195], v[194:195], v[196:197]
	v_fmac_f64_e32 v[198:199], v[6:7], v[154:155]
	v_add_f64_e32 v[184:185], v[204:205], v[202:203]
	v_fma_f64 v[202:203], v[4:5], v[154:155], -v[156:157]
	ds_load_b128 v[4:7], v2 offset:1584
	s_wait_loadcnt_dscnt 0xa01
	v_mul_f64_e32 v[196:197], v[190:191], v[160:161]
	v_mul_f64_e32 v[160:161], v[192:193], v[160:161]
	scratch_load_b128 v[154:157], off, off offset:752
	v_add_f64_e32 v[194:195], v[194:195], v[200:201]
	s_wait_loadcnt_dscnt 0xa00
	v_mul_f64_e32 v[200:201], v[4:5], v[164:165]
	v_add_f64_e32 v[204:205], v[184:185], v[182:183]
	v_mul_f64_e32 v[164:165], v[6:7], v[164:165]
	ds_load_b128 v[182:185], v2 offset:1600
	v_fmac_f64_e32 v[196:197], v[192:193], v[158:159]
	v_fma_f64 v[190:191], v[190:191], v[158:159], -v[160:161]
	scratch_load_b128 v[158:161], off, off offset:768
	v_add_f64_e32 v[194:195], v[194:195], v[198:199]
	v_fmac_f64_e32 v[200:201], v[6:7], v[162:163]
	v_add_f64_e32 v[192:193], v[204:205], v[202:203]
	v_fma_f64 v[202:203], v[4:5], v[162:163], -v[164:165]
	ds_load_b128 v[4:7], v2 offset:1616
	s_wait_loadcnt_dscnt 0xa01
	v_mul_f64_e32 v[198:199], v[182:183], v[168:169]
	v_mul_f64_e32 v[168:169], v[184:185], v[168:169]
	scratch_load_b128 v[162:165], off, off offset:784
	v_add_f64_e32 v[194:195], v[194:195], v[196:197]
	s_wait_loadcnt_dscnt 0xa00
	v_mul_f64_e32 v[196:197], v[4:5], v[176:177]
	v_add_f64_e32 v[204:205], v[192:193], v[190:191]
	v_mul_f64_e32 v[176:177], v[6:7], v[176:177]
	ds_load_b128 v[190:193], v2 offset:1632
	v_fmac_f64_e32 v[198:199], v[184:185], v[166:167]
	v_fma_f64 v[182:183], v[182:183], v[166:167], -v[168:169]
	scratch_load_b128 v[166:169], off, off offset:800
	v_add_f64_e32 v[194:195], v[194:195], v[200:201]
	v_fmac_f64_e32 v[196:197], v[6:7], v[174:175]
	v_add_f64_e32 v[184:185], v[204:205], v[202:203]
	v_fma_f64 v[202:203], v[4:5], v[174:175], -v[176:177]
	ds_load_b128 v[4:7], v2 offset:1648
	s_wait_loadcnt_dscnt 0xa01
	v_mul_f64_e32 v[200:201], v[190:191], v[188:189]
	v_mul_f64_e32 v[188:189], v[192:193], v[188:189]
	scratch_load_b128 v[174:177], off, off offset:816
	v_add_f64_e32 v[194:195], v[194:195], v[198:199]
	s_wait_loadcnt_dscnt 0xa00
	v_mul_f64_e32 v[198:199], v[4:5], v[172:173]
	v_add_f64_e32 v[204:205], v[184:185], v[182:183]
	v_mul_f64_e32 v[172:173], v[6:7], v[172:173]
	ds_load_b128 v[182:185], v2 offset:1664
	v_fmac_f64_e32 v[200:201], v[192:193], v[186:187]
	v_fma_f64 v[190:191], v[190:191], v[186:187], -v[188:189]
	scratch_load_b128 v[186:189], off, off offset:832
	v_add_f64_e32 v[194:195], v[194:195], v[196:197]
	v_fmac_f64_e32 v[198:199], v[6:7], v[170:171]
	v_add_f64_e32 v[192:193], v[204:205], v[202:203]
	v_fma_f64 v[202:203], v[4:5], v[170:171], -v[172:173]
	ds_load_b128 v[4:7], v2 offset:1680
	s_wait_loadcnt_dscnt 0xa01
	v_mul_f64_e32 v[196:197], v[182:183], v[10:11]
	v_mul_f64_e32 v[10:11], v[184:185], v[10:11]
	scratch_load_b128 v[170:173], off, off offset:848
	v_add_f64_e32 v[194:195], v[194:195], v[200:201]
	s_wait_loadcnt_dscnt 0xa00
	v_mul_f64_e32 v[200:201], v[4:5], v[14:15]
	v_add_f64_e32 v[204:205], v[192:193], v[190:191]
	v_mul_f64_e32 v[14:15], v[6:7], v[14:15]
	ds_load_b128 v[190:193], v2 offset:1696
	v_fmac_f64_e32 v[196:197], v[184:185], v[8:9]
	v_fma_f64 v[182:183], v[182:183], v[8:9], -v[10:11]
	scratch_load_b128 v[8:11], off, off offset:864
	v_add_f64_e32 v[194:195], v[194:195], v[198:199]
	v_fmac_f64_e32 v[200:201], v[6:7], v[12:13]
	v_add_f64_e32 v[184:185], v[204:205], v[202:203]
	v_fma_f64 v[202:203], v[4:5], v[12:13], -v[14:15]
	ds_load_b128 v[4:7], v2 offset:1712
	s_wait_loadcnt_dscnt 0xa01
	v_mul_f64_e32 v[198:199], v[190:191], v[144:145]
	v_mul_f64_e32 v[144:145], v[192:193], v[144:145]
	scratch_load_b128 v[12:15], off, off offset:880
	v_add_f64_e32 v[194:195], v[194:195], v[196:197]
	s_wait_loadcnt_dscnt 0xa00
	v_mul_f64_e32 v[196:197], v[4:5], v[148:149]
	v_add_f64_e32 v[204:205], v[184:185], v[182:183]
	v_mul_f64_e32 v[148:149], v[6:7], v[148:149]
	ds_load_b128 v[182:185], v2 offset:1728
	v_fmac_f64_e32 v[198:199], v[192:193], v[142:143]
	v_fma_f64 v[190:191], v[190:191], v[142:143], -v[144:145]
	scratch_load_b128 v[142:145], off, off offset:896
	v_add_f64_e32 v[194:195], v[194:195], v[200:201]
	v_fmac_f64_e32 v[196:197], v[6:7], v[146:147]
	v_add_f64_e32 v[192:193], v[204:205], v[202:203]
	v_fma_f64 v[202:203], v[4:5], v[146:147], -v[148:149]
	ds_load_b128 v[4:7], v2 offset:1744
	s_wait_loadcnt_dscnt 0xa01
	v_mul_f64_e32 v[200:201], v[182:183], v[152:153]
	v_mul_f64_e32 v[152:153], v[184:185], v[152:153]
	scratch_load_b128 v[146:149], off, off offset:912
	v_add_f64_e32 v[194:195], v[194:195], v[198:199]
	s_wait_loadcnt_dscnt 0xa00
	v_mul_f64_e32 v[198:199], v[4:5], v[156:157]
	v_add_f64_e32 v[204:205], v[192:193], v[190:191]
	v_mul_f64_e32 v[156:157], v[6:7], v[156:157]
	ds_load_b128 v[190:193], v2 offset:1760
	v_fmac_f64_e32 v[200:201], v[184:185], v[150:151]
	v_fma_f64 v[182:183], v[182:183], v[150:151], -v[152:153]
	scratch_load_b128 v[150:153], off, off offset:928
	v_add_f64_e32 v[194:195], v[194:195], v[196:197]
	v_fmac_f64_e32 v[198:199], v[6:7], v[154:155]
	v_add_f64_e32 v[184:185], v[204:205], v[202:203]
	v_fma_f64 v[202:203], v[4:5], v[154:155], -v[156:157]
	ds_load_b128 v[4:7], v2 offset:1776
	s_wait_loadcnt_dscnt 0xa01
	v_mul_f64_e32 v[196:197], v[190:191], v[160:161]
	v_mul_f64_e32 v[160:161], v[192:193], v[160:161]
	scratch_load_b128 v[154:157], off, off offset:944
	v_add_f64_e32 v[194:195], v[194:195], v[200:201]
	s_wait_loadcnt_dscnt 0xa00
	v_mul_f64_e32 v[200:201], v[4:5], v[164:165]
	v_add_f64_e32 v[204:205], v[184:185], v[182:183]
	v_mul_f64_e32 v[164:165], v[6:7], v[164:165]
	ds_load_b128 v[182:185], v2 offset:1792
	v_fmac_f64_e32 v[196:197], v[192:193], v[158:159]
	v_fma_f64 v[190:191], v[190:191], v[158:159], -v[160:161]
	scratch_load_b128 v[158:161], off, off offset:960
	v_add_f64_e32 v[194:195], v[194:195], v[198:199]
	v_fmac_f64_e32 v[200:201], v[6:7], v[162:163]
	v_add_f64_e32 v[192:193], v[204:205], v[202:203]
	v_fma_f64 v[202:203], v[4:5], v[162:163], -v[164:165]
	ds_load_b128 v[4:7], v2 offset:1808
	s_wait_loadcnt_dscnt 0xa01
	v_mul_f64_e32 v[198:199], v[182:183], v[168:169]
	v_mul_f64_e32 v[168:169], v[184:185], v[168:169]
	scratch_load_b128 v[162:165], off, off offset:976
	v_add_f64_e32 v[194:195], v[194:195], v[196:197]
	s_wait_loadcnt_dscnt 0xa00
	v_mul_f64_e32 v[196:197], v[4:5], v[176:177]
	v_add_f64_e32 v[204:205], v[192:193], v[190:191]
	v_mul_f64_e32 v[176:177], v[6:7], v[176:177]
	ds_load_b128 v[190:193], v2 offset:1824
	v_fmac_f64_e32 v[198:199], v[184:185], v[166:167]
	v_fma_f64 v[166:167], v[182:183], v[166:167], -v[168:169]
	s_wait_loadcnt_dscnt 0x900
	v_mul_f64_e32 v[184:185], v[190:191], v[188:189]
	v_mul_f64_e32 v[188:189], v[192:193], v[188:189]
	v_add_f64_e32 v[182:183], v[194:195], v[200:201]
	v_fmac_f64_e32 v[196:197], v[6:7], v[174:175]
	v_add_f64_e32 v[168:169], v[204:205], v[202:203]
	v_fma_f64 v[174:175], v[4:5], v[174:175], -v[176:177]
	v_fmac_f64_e32 v[184:185], v[192:193], v[186:187]
	v_fma_f64 v[186:187], v[190:191], v[186:187], -v[188:189]
	v_add_f64_e32 v[182:183], v[182:183], v[198:199]
	v_add_f64_e32 v[176:177], v[168:169], v[166:167]
	ds_load_b128 v[4:7], v2 offset:1840
	ds_load_b128 v[166:169], v2 offset:1856
	s_wait_loadcnt_dscnt 0x801
	v_mul_f64_e32 v[194:195], v[4:5], v[172:173]
	v_mul_f64_e32 v[172:173], v[6:7], v[172:173]
	v_add_f64_e32 v[174:175], v[176:177], v[174:175]
	v_add_f64_e32 v[176:177], v[182:183], v[196:197]
	s_wait_loadcnt_dscnt 0x700
	v_mul_f64_e32 v[182:183], v[166:167], v[10:11]
	v_mul_f64_e32 v[10:11], v[168:169], v[10:11]
	v_fmac_f64_e32 v[194:195], v[6:7], v[170:171]
	v_fma_f64 v[188:189], v[4:5], v[170:171], -v[172:173]
	ds_load_b128 v[4:7], v2 offset:1872
	ds_load_b128 v[170:173], v2 offset:1888
	v_add_f64_e32 v[174:175], v[174:175], v[186:187]
	v_add_f64_e32 v[176:177], v[176:177], v[184:185]
	v_fmac_f64_e32 v[182:183], v[168:169], v[8:9]
	v_fma_f64 v[8:9], v[166:167], v[8:9], -v[10:11]
	s_wait_loadcnt_dscnt 0x601
	v_mul_f64_e32 v[184:185], v[4:5], v[14:15]
	v_mul_f64_e32 v[14:15], v[6:7], v[14:15]
	s_wait_loadcnt_dscnt 0x500
	v_mul_f64_e32 v[168:169], v[170:171], v[144:145]
	v_mul_f64_e32 v[144:145], v[172:173], v[144:145]
	v_add_f64_e32 v[10:11], v[174:175], v[188:189]
	v_add_f64_e32 v[166:167], v[176:177], v[194:195]
	v_fmac_f64_e32 v[184:185], v[6:7], v[12:13]
	v_fma_f64 v[12:13], v[4:5], v[12:13], -v[14:15]
	v_fmac_f64_e32 v[168:169], v[172:173], v[142:143]
	v_fma_f64 v[142:143], v[170:171], v[142:143], -v[144:145]
	v_add_f64_e32 v[14:15], v[10:11], v[8:9]
	v_add_f64_e32 v[166:167], v[166:167], v[182:183]
	ds_load_b128 v[4:7], v2 offset:1904
	ds_load_b128 v[8:11], v2 offset:1920
	s_wait_loadcnt_dscnt 0x401
	v_mul_f64_e32 v[174:175], v[4:5], v[148:149]
	v_mul_f64_e32 v[148:149], v[6:7], v[148:149]
	s_wait_loadcnt_dscnt 0x300
	v_mul_f64_e32 v[144:145], v[8:9], v[152:153]
	v_mul_f64_e32 v[152:153], v[10:11], v[152:153]
	v_add_f64_e32 v[12:13], v[14:15], v[12:13]
	v_add_f64_e32 v[14:15], v[166:167], v[184:185]
	v_fmac_f64_e32 v[174:175], v[6:7], v[146:147]
	v_fma_f64 v[146:147], v[4:5], v[146:147], -v[148:149]
	v_fmac_f64_e32 v[144:145], v[10:11], v[150:151]
	v_fma_f64 v[8:9], v[8:9], v[150:151], -v[152:153]
	v_add_f64_e32 v[142:143], v[12:13], v[142:143]
	v_add_f64_e32 v[148:149], v[14:15], v[168:169]
	ds_load_b128 v[4:7], v2 offset:1936
	ds_load_b128 v[12:15], v2 offset:1952
	s_wait_loadcnt_dscnt 0x201
	v_mul_f64_e32 v[166:167], v[4:5], v[156:157]
	v_mul_f64_e32 v[156:157], v[6:7], v[156:157]
	v_add_f64_e32 v[10:11], v[142:143], v[146:147]
	v_add_f64_e32 v[142:143], v[148:149], v[174:175]
	s_wait_loadcnt_dscnt 0x100
	v_mul_f64_e32 v[146:147], v[12:13], v[160:161]
	v_mul_f64_e32 v[148:149], v[14:15], v[160:161]
	v_fmac_f64_e32 v[166:167], v[6:7], v[154:155]
	v_fma_f64 v[150:151], v[4:5], v[154:155], -v[156:157]
	ds_load_b128 v[4:7], v2 offset:1968
	v_add_f64_e32 v[8:9], v[10:11], v[8:9]
	v_add_f64_e32 v[10:11], v[142:143], v[144:145]
	v_fmac_f64_e32 v[146:147], v[14:15], v[158:159]
	v_fma_f64 v[12:13], v[12:13], v[158:159], -v[148:149]
	s_wait_loadcnt_dscnt 0x0
	v_mul_f64_e32 v[142:143], v[4:5], v[164:165]
	v_mul_f64_e32 v[144:145], v[6:7], v[164:165]
	v_add_f64_e32 v[8:9], v[8:9], v[150:151]
	v_add_f64_e32 v[10:11], v[10:11], v[166:167]
	s_delay_alu instid0(VALU_DEP_4) | instskip(NEXT) | instid1(VALU_DEP_4)
	v_fmac_f64_e32 v[142:143], v[6:7], v[162:163]
	v_fma_f64 v[4:5], v[4:5], v[162:163], -v[144:145]
	s_delay_alu instid0(VALU_DEP_4) | instskip(NEXT) | instid1(VALU_DEP_4)
	v_add_f64_e32 v[6:7], v[8:9], v[12:13]
	v_add_f64_e32 v[8:9], v[10:11], v[146:147]
	s_delay_alu instid0(VALU_DEP_2) | instskip(NEXT) | instid1(VALU_DEP_2)
	v_add_f64_e32 v[4:5], v[6:7], v[4:5]
	v_add_f64_e32 v[6:7], v[8:9], v[142:143]
	s_delay_alu instid0(VALU_DEP_2) | instskip(NEXT) | instid1(VALU_DEP_2)
	v_add_f64_e64 v[4:5], v[178:179], -v[4:5]
	v_add_f64_e64 v[6:7], v[180:181], -v[6:7]
	scratch_store_b128 off, v[4:7], off offset:256
	s_wait_xcnt 0x0
	v_cmpx_lt_u32_e32 15, v1
	s_cbranch_execz .LBB61_367
; %bb.366:
	scratch_load_b128 v[6:9], off, s55
	v_dual_mov_b32 v3, v2 :: v_dual_mov_b32 v4, v2
	v_mov_b32_e32 v5, v2
	scratch_store_b128 off, v[2:5], off offset:240
	s_wait_loadcnt 0x0
	ds_store_b128 v16, v[6:9]
.LBB61_367:
	s_wait_xcnt 0x0
	s_or_b32 exec_lo, exec_lo, s2
	s_wait_storecnt_dscnt 0x0
	s_barrier_signal -1
	s_barrier_wait -1
	s_clause 0x9
	scratch_load_b128 v[4:7], off, off offset:256
	scratch_load_b128 v[8:11], off, off offset:272
	;; [unrolled: 1-line block ×10, first 2 shown]
	ds_load_b128 v[170:173], v2 offset:1248
	ds_load_b128 v[178:181], v2 offset:1264
	s_clause 0x2
	scratch_load_b128 v[174:177], off, off offset:416
	scratch_load_b128 v[182:185], off, off offset:240
	;; [unrolled: 1-line block ×3, first 2 shown]
	s_mov_b32 s2, exec_lo
	s_wait_loadcnt_dscnt 0xc01
	v_mul_f64_e32 v[190:191], v[172:173], v[6:7]
	v_mul_f64_e32 v[194:195], v[170:171], v[6:7]
	s_wait_loadcnt_dscnt 0xb00
	v_mul_f64_e32 v[196:197], v[178:179], v[10:11]
	v_mul_f64_e32 v[10:11], v[180:181], v[10:11]
	s_delay_alu instid0(VALU_DEP_4) | instskip(NEXT) | instid1(VALU_DEP_4)
	v_fma_f64 v[198:199], v[170:171], v[4:5], -v[190:191]
	v_fmac_f64_e32 v[194:195], v[172:173], v[4:5]
	ds_load_b128 v[4:7], v2 offset:1280
	ds_load_b128 v[170:173], v2 offset:1296
	scratch_load_b128 v[190:193], off, off offset:448
	v_fmac_f64_e32 v[196:197], v[180:181], v[8:9]
	v_fma_f64 v[178:179], v[178:179], v[8:9], -v[10:11]
	scratch_load_b128 v[8:11], off, off offset:464
	s_wait_loadcnt_dscnt 0xc01
	v_mul_f64_e32 v[200:201], v[4:5], v[14:15]
	v_mul_f64_e32 v[14:15], v[6:7], v[14:15]
	v_add_f64_e32 v[180:181], 0, v[198:199]
	v_add_f64_e32 v[194:195], 0, v[194:195]
	s_wait_loadcnt_dscnt 0xb00
	v_mul_f64_e32 v[198:199], v[170:171], v[144:145]
	v_mul_f64_e32 v[144:145], v[172:173], v[144:145]
	v_fmac_f64_e32 v[200:201], v[6:7], v[12:13]
	v_fma_f64 v[202:203], v[4:5], v[12:13], -v[14:15]
	ds_load_b128 v[4:7], v2 offset:1312
	ds_load_b128 v[12:15], v2 offset:1328
	v_add_f64_e32 v[204:205], v[180:181], v[178:179]
	v_add_f64_e32 v[194:195], v[194:195], v[196:197]
	scratch_load_b128 v[178:181], off, off offset:480
	v_fmac_f64_e32 v[198:199], v[172:173], v[142:143]
	v_fma_f64 v[170:171], v[170:171], v[142:143], -v[144:145]
	scratch_load_b128 v[142:145], off, off offset:496
	s_wait_loadcnt_dscnt 0xc01
	v_mul_f64_e32 v[196:197], v[4:5], v[148:149]
	v_mul_f64_e32 v[148:149], v[6:7], v[148:149]
	v_add_f64_e32 v[172:173], v[204:205], v[202:203]
	v_add_f64_e32 v[194:195], v[194:195], v[200:201]
	s_wait_loadcnt_dscnt 0xb00
	v_mul_f64_e32 v[200:201], v[12:13], v[152:153]
	v_mul_f64_e32 v[152:153], v[14:15], v[152:153]
	v_fmac_f64_e32 v[196:197], v[6:7], v[146:147]
	v_fma_f64 v[202:203], v[4:5], v[146:147], -v[148:149]
	ds_load_b128 v[4:7], v2 offset:1344
	ds_load_b128 v[146:149], v2 offset:1360
	v_add_f64_e32 v[204:205], v[172:173], v[170:171]
	v_add_f64_e32 v[194:195], v[194:195], v[198:199]
	scratch_load_b128 v[170:173], off, off offset:512
	s_wait_loadcnt_dscnt 0xb01
	v_mul_f64_e32 v[198:199], v[4:5], v[156:157]
	v_mul_f64_e32 v[156:157], v[6:7], v[156:157]
	v_fmac_f64_e32 v[200:201], v[14:15], v[150:151]
	v_fma_f64 v[150:151], v[12:13], v[150:151], -v[152:153]
	scratch_load_b128 v[12:15], off, off offset:528
	v_add_f64_e32 v[152:153], v[204:205], v[202:203]
	v_add_f64_e32 v[194:195], v[194:195], v[196:197]
	s_wait_loadcnt_dscnt 0xb00
	v_mul_f64_e32 v[196:197], v[146:147], v[160:161]
	v_mul_f64_e32 v[160:161], v[148:149], v[160:161]
	v_fmac_f64_e32 v[198:199], v[6:7], v[154:155]
	v_fma_f64 v[202:203], v[4:5], v[154:155], -v[156:157]
	v_add_f64_e32 v[204:205], v[152:153], v[150:151]
	v_add_f64_e32 v[194:195], v[194:195], v[200:201]
	ds_load_b128 v[4:7], v2 offset:1376
	ds_load_b128 v[150:153], v2 offset:1392
	scratch_load_b128 v[154:157], off, off offset:544
	v_fmac_f64_e32 v[196:197], v[148:149], v[158:159]
	v_fma_f64 v[158:159], v[146:147], v[158:159], -v[160:161]
	scratch_load_b128 v[146:149], off, off offset:560
	s_wait_loadcnt_dscnt 0xc01
	v_mul_f64_e32 v[200:201], v[4:5], v[164:165]
	v_mul_f64_e32 v[164:165], v[6:7], v[164:165]
	v_add_f64_e32 v[160:161], v[204:205], v[202:203]
	v_add_f64_e32 v[194:195], v[194:195], v[198:199]
	s_wait_loadcnt_dscnt 0xb00
	v_mul_f64_e32 v[198:199], v[150:151], v[168:169]
	v_mul_f64_e32 v[168:169], v[152:153], v[168:169]
	v_fmac_f64_e32 v[200:201], v[6:7], v[162:163]
	v_fma_f64 v[202:203], v[4:5], v[162:163], -v[164:165]
	v_add_f64_e32 v[204:205], v[160:161], v[158:159]
	v_add_f64_e32 v[194:195], v[194:195], v[196:197]
	ds_load_b128 v[4:7], v2 offset:1408
	ds_load_b128 v[158:161], v2 offset:1424
	scratch_load_b128 v[162:165], off, off offset:576
	v_fmac_f64_e32 v[198:199], v[152:153], v[166:167]
	v_fma_f64 v[166:167], v[150:151], v[166:167], -v[168:169]
	scratch_load_b128 v[150:153], off, off offset:592
	s_wait_loadcnt_dscnt 0xc01
	v_mul_f64_e32 v[196:197], v[4:5], v[176:177]
	v_mul_f64_e32 v[176:177], v[6:7], v[176:177]
	;; [unrolled: 18-line block ×5, first 2 shown]
	v_add_f64_e32 v[188:189], v[204:205], v[202:203]
	v_add_f64_e32 v[194:195], v[194:195], v[200:201]
	s_wait_loadcnt_dscnt 0xa00
	v_mul_f64_e32 v[200:201], v[166:167], v[14:15]
	v_mul_f64_e32 v[14:15], v[168:169], v[14:15]
	v_fmac_f64_e32 v[196:197], v[6:7], v[170:171]
	v_fma_f64 v[202:203], v[4:5], v[170:171], -v[172:173]
	ds_load_b128 v[4:7], v2 offset:1536
	ds_load_b128 v[170:173], v2 offset:1552
	v_add_f64_e32 v[204:205], v[188:189], v[186:187]
	v_add_f64_e32 v[194:195], v[194:195], v[198:199]
	scratch_load_b128 v[186:189], off, off offset:704
	v_fmac_f64_e32 v[200:201], v[168:169], v[12:13]
	v_fma_f64 v[166:167], v[166:167], v[12:13], -v[14:15]
	scratch_load_b128 v[12:15], off, off offset:720
	s_wait_loadcnt_dscnt 0xb01
	v_mul_f64_e32 v[198:199], v[4:5], v[156:157]
	v_mul_f64_e32 v[156:157], v[6:7], v[156:157]
	v_add_f64_e32 v[168:169], v[204:205], v[202:203]
	v_add_f64_e32 v[194:195], v[194:195], v[196:197]
	s_wait_loadcnt_dscnt 0xa00
	v_mul_f64_e32 v[196:197], v[170:171], v[148:149]
	v_mul_f64_e32 v[148:149], v[172:173], v[148:149]
	v_fmac_f64_e32 v[198:199], v[6:7], v[154:155]
	v_fma_f64 v[202:203], v[4:5], v[154:155], -v[156:157]
	ds_load_b128 v[4:7], v2 offset:1568
	ds_load_b128 v[154:157], v2 offset:1584
	v_add_f64_e32 v[204:205], v[168:169], v[166:167]
	v_add_f64_e32 v[194:195], v[194:195], v[200:201]
	scratch_load_b128 v[166:169], off, off offset:736
	s_wait_loadcnt_dscnt 0xa01
	v_mul_f64_e32 v[200:201], v[4:5], v[164:165]
	v_mul_f64_e32 v[164:165], v[6:7], v[164:165]
	v_fmac_f64_e32 v[196:197], v[172:173], v[146:147]
	v_fma_f64 v[170:171], v[170:171], v[146:147], -v[148:149]
	scratch_load_b128 v[146:149], off, off offset:752
	v_add_f64_e32 v[172:173], v[204:205], v[202:203]
	v_add_f64_e32 v[194:195], v[194:195], v[198:199]
	s_wait_loadcnt_dscnt 0xa00
	v_mul_f64_e32 v[198:199], v[154:155], v[152:153]
	v_mul_f64_e32 v[152:153], v[156:157], v[152:153]
	v_fmac_f64_e32 v[200:201], v[6:7], v[162:163]
	v_fma_f64 v[202:203], v[4:5], v[162:163], -v[164:165]
	ds_load_b128 v[4:7], v2 offset:1600
	ds_load_b128 v[162:165], v2 offset:1616
	v_add_f64_e32 v[204:205], v[172:173], v[170:171]
	v_add_f64_e32 v[194:195], v[194:195], v[196:197]
	scratch_load_b128 v[170:173], off, off offset:768
	s_wait_loadcnt_dscnt 0xa01
	v_mul_f64_e32 v[196:197], v[4:5], v[176:177]
	v_mul_f64_e32 v[176:177], v[6:7], v[176:177]
	v_fmac_f64_e32 v[198:199], v[156:157], v[150:151]
	v_fma_f64 v[154:155], v[154:155], v[150:151], -v[152:153]
	scratch_load_b128 v[150:153], off, off offset:784
	v_add_f64_e32 v[156:157], v[204:205], v[202:203]
	v_add_f64_e32 v[194:195], v[194:195], v[200:201]
	s_wait_loadcnt_dscnt 0xa00
	v_mul_f64_e32 v[200:201], v[162:163], v[160:161]
	v_mul_f64_e32 v[160:161], v[164:165], v[160:161]
	v_fmac_f64_e32 v[196:197], v[6:7], v[174:175]
	v_fma_f64 v[202:203], v[4:5], v[174:175], -v[176:177]
	v_add_f64_e32 v[204:205], v[156:157], v[154:155]
	v_add_f64_e32 v[194:195], v[194:195], v[198:199]
	ds_load_b128 v[4:7], v2 offset:1632
	ds_load_b128 v[154:157], v2 offset:1648
	scratch_load_b128 v[174:177], off, off offset:800
	v_fmac_f64_e32 v[200:201], v[164:165], v[158:159]
	v_fma_f64 v[162:163], v[162:163], v[158:159], -v[160:161]
	scratch_load_b128 v[158:161], off, off offset:816
	s_wait_loadcnt_dscnt 0xb01
	v_mul_f64_e32 v[198:199], v[4:5], v[192:193]
	v_mul_f64_e32 v[192:193], v[6:7], v[192:193]
	v_add_f64_e32 v[164:165], v[204:205], v[202:203]
	v_add_f64_e32 v[194:195], v[194:195], v[196:197]
	s_wait_loadcnt_dscnt 0xa00
	v_mul_f64_e32 v[196:197], v[154:155], v[10:11]
	v_mul_f64_e32 v[10:11], v[156:157], v[10:11]
	v_fmac_f64_e32 v[198:199], v[6:7], v[190:191]
	v_fma_f64 v[202:203], v[4:5], v[190:191], -v[192:193]
	v_add_f64_e32 v[204:205], v[164:165], v[162:163]
	v_add_f64_e32 v[194:195], v[194:195], v[200:201]
	ds_load_b128 v[4:7], v2 offset:1664
	ds_load_b128 v[162:165], v2 offset:1680
	scratch_load_b128 v[190:193], off, off offset:832
	v_fmac_f64_e32 v[196:197], v[156:157], v[8:9]
	v_fma_f64 v[154:155], v[154:155], v[8:9], -v[10:11]
	scratch_load_b128 v[8:11], off, off offset:848
	s_wait_loadcnt_dscnt 0xb01
	v_mul_f64_e32 v[200:201], v[4:5], v[180:181]
	v_mul_f64_e32 v[180:181], v[6:7], v[180:181]
	;; [unrolled: 18-line block ×6, first 2 shown]
	v_add_f64_e32 v[156:157], v[204:205], v[202:203]
	v_add_f64_e32 v[194:195], v[194:195], v[200:201]
	s_wait_loadcnt_dscnt 0xa00
	v_mul_f64_e32 v[200:201], v[162:163], v[160:161]
	v_mul_f64_e32 v[160:161], v[164:165], v[160:161]
	v_fmac_f64_e32 v[196:197], v[6:7], v[174:175]
	v_fma_f64 v[174:175], v[4:5], v[174:175], -v[176:177]
	v_add_f64_e32 v[176:177], v[156:157], v[154:155]
	v_add_f64_e32 v[194:195], v[194:195], v[198:199]
	ds_load_b128 v[4:7], v2 offset:1824
	ds_load_b128 v[154:157], v2 offset:1840
	v_fmac_f64_e32 v[200:201], v[164:165], v[158:159]
	v_fma_f64 v[158:159], v[162:163], v[158:159], -v[160:161]
	s_wait_loadcnt_dscnt 0x901
	v_mul_f64_e32 v[198:199], v[4:5], v[192:193]
	v_mul_f64_e32 v[192:193], v[6:7], v[192:193]
	s_wait_loadcnt_dscnt 0x800
	v_mul_f64_e32 v[164:165], v[154:155], v[10:11]
	v_mul_f64_e32 v[10:11], v[156:157], v[10:11]
	v_add_f64_e32 v[160:161], v[176:177], v[174:175]
	v_add_f64_e32 v[162:163], v[194:195], v[196:197]
	v_fmac_f64_e32 v[198:199], v[6:7], v[190:191]
	v_fma_f64 v[174:175], v[4:5], v[190:191], -v[192:193]
	v_fmac_f64_e32 v[164:165], v[156:157], v[8:9]
	v_fma_f64 v[8:9], v[154:155], v[8:9], -v[10:11]
	v_add_f64_e32 v[176:177], v[160:161], v[158:159]
	v_add_f64_e32 v[162:163], v[162:163], v[200:201]
	ds_load_b128 v[4:7], v2 offset:1856
	ds_load_b128 v[158:161], v2 offset:1872
	s_wait_loadcnt_dscnt 0x701
	v_mul_f64_e32 v[190:191], v[4:5], v[180:181]
	v_mul_f64_e32 v[180:181], v[6:7], v[180:181]
	s_wait_loadcnt_dscnt 0x600
	v_mul_f64_e32 v[156:157], v[158:159], v[144:145]
	v_mul_f64_e32 v[144:145], v[160:161], v[144:145]
	v_add_f64_e32 v[10:11], v[176:177], v[174:175]
	v_add_f64_e32 v[154:155], v[162:163], v[198:199]
	v_fmac_f64_e32 v[190:191], v[6:7], v[178:179]
	v_fma_f64 v[162:163], v[4:5], v[178:179], -v[180:181]
	v_fmac_f64_e32 v[156:157], v[160:161], v[142:143]
	v_fma_f64 v[142:143], v[158:159], v[142:143], -v[144:145]
	v_add_f64_e32 v[174:175], v[10:11], v[8:9]
	v_add_f64_e32 v[154:155], v[154:155], v[164:165]
	ds_load_b128 v[4:7], v2 offset:1888
	ds_load_b128 v[8:11], v2 offset:1904
	;; [unrolled: 16-line block ×4, first 2 shown]
	s_wait_loadcnt_dscnt 0x101
	v_mul_f64_e32 v[2:3], v[4:5], v[172:173]
	v_mul_f64_e32 v[158:159], v[6:7], v[172:173]
	s_wait_loadcnt_dscnt 0x0
	v_mul_f64_e32 v[146:147], v[8:9], v[152:153]
	v_mul_f64_e32 v[148:149], v[10:11], v[152:153]
	v_add_f64_e32 v[144:145], v[160:161], v[154:155]
	v_add_f64_e32 v[12:13], v[12:13], v[156:157]
	v_fmac_f64_e32 v[2:3], v[6:7], v[170:171]
	v_fma_f64 v[4:5], v[4:5], v[170:171], -v[158:159]
	v_fmac_f64_e32 v[146:147], v[10:11], v[150:151]
	v_fma_f64 v[8:9], v[8:9], v[150:151], -v[148:149]
	v_add_f64_e32 v[6:7], v[144:145], v[142:143]
	v_add_f64_e32 v[12:13], v[12:13], v[14:15]
	s_delay_alu instid0(VALU_DEP_2) | instskip(NEXT) | instid1(VALU_DEP_2)
	v_add_f64_e32 v[4:5], v[6:7], v[4:5]
	v_add_f64_e32 v[2:3], v[12:13], v[2:3]
	s_delay_alu instid0(VALU_DEP_2) | instskip(NEXT) | instid1(VALU_DEP_2)
	;; [unrolled: 3-line block ×3, first 2 shown]
	v_add_f64_e64 v[2:3], v[182:183], -v[4:5]
	v_add_f64_e64 v[4:5], v[184:185], -v[6:7]
	scratch_store_b128 off, v[2:5], off offset:240
	s_wait_xcnt 0x0
	v_cmpx_lt_u32_e32 14, v1
	s_cbranch_execz .LBB61_369
; %bb.368:
	scratch_load_b128 v[2:5], off, s65
	v_mov_b32_e32 v6, 0
	s_delay_alu instid0(VALU_DEP_1)
	v_dual_mov_b32 v7, v6 :: v_dual_mov_b32 v8, v6
	v_mov_b32_e32 v9, v6
	scratch_store_b128 off, v[6:9], off offset:224
	s_wait_loadcnt 0x0
	ds_store_b128 v16, v[2:5]
.LBB61_369:
	s_wait_xcnt 0x0
	s_or_b32 exec_lo, exec_lo, s2
	s_wait_storecnt_dscnt 0x0
	s_barrier_signal -1
	s_barrier_wait -1
	s_clause 0x9
	scratch_load_b128 v[4:7], off, off offset:240
	scratch_load_b128 v[8:11], off, off offset:256
	;; [unrolled: 1-line block ×10, first 2 shown]
	v_mov_b32_e32 v2, 0
	s_mov_b32 s2, exec_lo
	ds_load_b128 v[170:173], v2 offset:1232
	s_clause 0x2
	scratch_load_b128 v[174:177], off, off offset:400
	scratch_load_b128 v[178:181], off, off offset:224
	;; [unrolled: 1-line block ×3, first 2 shown]
	s_wait_loadcnt_dscnt 0xc00
	v_mul_f64_e32 v[190:191], v[172:173], v[6:7]
	v_mul_f64_e32 v[194:195], v[170:171], v[6:7]
	ds_load_b128 v[182:185], v2 offset:1248
	v_fma_f64 v[198:199], v[170:171], v[4:5], -v[190:191]
	v_fmac_f64_e32 v[194:195], v[172:173], v[4:5]
	ds_load_b128 v[4:7], v2 offset:1264
	s_wait_loadcnt_dscnt 0xb01
	v_mul_f64_e32 v[196:197], v[182:183], v[10:11]
	v_mul_f64_e32 v[10:11], v[184:185], v[10:11]
	scratch_load_b128 v[170:173], off, off offset:432
	ds_load_b128 v[190:193], v2 offset:1280
	s_wait_loadcnt_dscnt 0xb01
	v_mul_f64_e32 v[200:201], v[4:5], v[14:15]
	v_mul_f64_e32 v[14:15], v[6:7], v[14:15]
	v_add_f64_e32 v[194:195], 0, v[194:195]
	v_fmac_f64_e32 v[196:197], v[184:185], v[8:9]
	v_fma_f64 v[182:183], v[182:183], v[8:9], -v[10:11]
	v_add_f64_e32 v[184:185], 0, v[198:199]
	scratch_load_b128 v[8:11], off, off offset:448
	v_fmac_f64_e32 v[200:201], v[6:7], v[12:13]
	v_fma_f64 v[202:203], v[4:5], v[12:13], -v[14:15]
	ds_load_b128 v[4:7], v2 offset:1296
	s_wait_loadcnt_dscnt 0xb01
	v_mul_f64_e32 v[198:199], v[190:191], v[144:145]
	v_mul_f64_e32 v[144:145], v[192:193], v[144:145]
	scratch_load_b128 v[12:15], off, off offset:464
	v_add_f64_e32 v[194:195], v[194:195], v[196:197]
	v_add_f64_e32 v[204:205], v[184:185], v[182:183]
	ds_load_b128 v[182:185], v2 offset:1312
	s_wait_loadcnt_dscnt 0xb01
	v_mul_f64_e32 v[196:197], v[4:5], v[148:149]
	v_mul_f64_e32 v[148:149], v[6:7], v[148:149]
	v_fmac_f64_e32 v[198:199], v[192:193], v[142:143]
	v_fma_f64 v[190:191], v[190:191], v[142:143], -v[144:145]
	scratch_load_b128 v[142:145], off, off offset:480
	v_add_f64_e32 v[194:195], v[194:195], v[200:201]
	v_add_f64_e32 v[192:193], v[204:205], v[202:203]
	v_fmac_f64_e32 v[196:197], v[6:7], v[146:147]
	v_fma_f64 v[202:203], v[4:5], v[146:147], -v[148:149]
	ds_load_b128 v[4:7], v2 offset:1328
	s_wait_loadcnt_dscnt 0xb01
	v_mul_f64_e32 v[200:201], v[182:183], v[152:153]
	v_mul_f64_e32 v[152:153], v[184:185], v[152:153]
	scratch_load_b128 v[146:149], off, off offset:496
	v_add_f64_e32 v[194:195], v[194:195], v[198:199]
	s_wait_loadcnt_dscnt 0xb00
	v_mul_f64_e32 v[198:199], v[4:5], v[156:157]
	v_add_f64_e32 v[204:205], v[192:193], v[190:191]
	v_mul_f64_e32 v[156:157], v[6:7], v[156:157]
	ds_load_b128 v[190:193], v2 offset:1344
	v_fmac_f64_e32 v[200:201], v[184:185], v[150:151]
	v_fma_f64 v[182:183], v[182:183], v[150:151], -v[152:153]
	scratch_load_b128 v[150:153], off, off offset:512
	v_add_f64_e32 v[194:195], v[194:195], v[196:197]
	v_fmac_f64_e32 v[198:199], v[6:7], v[154:155]
	v_add_f64_e32 v[184:185], v[204:205], v[202:203]
	v_fma_f64 v[202:203], v[4:5], v[154:155], -v[156:157]
	ds_load_b128 v[4:7], v2 offset:1360
	s_wait_loadcnt_dscnt 0xb01
	v_mul_f64_e32 v[196:197], v[190:191], v[160:161]
	v_mul_f64_e32 v[160:161], v[192:193], v[160:161]
	scratch_load_b128 v[154:157], off, off offset:528
	v_add_f64_e32 v[194:195], v[194:195], v[200:201]
	s_wait_loadcnt_dscnt 0xb00
	v_mul_f64_e32 v[200:201], v[4:5], v[164:165]
	v_add_f64_e32 v[204:205], v[184:185], v[182:183]
	v_mul_f64_e32 v[164:165], v[6:7], v[164:165]
	ds_load_b128 v[182:185], v2 offset:1376
	v_fmac_f64_e32 v[196:197], v[192:193], v[158:159]
	v_fma_f64 v[190:191], v[190:191], v[158:159], -v[160:161]
	scratch_load_b128 v[158:161], off, off offset:544
	v_add_f64_e32 v[194:195], v[194:195], v[198:199]
	v_fmac_f64_e32 v[200:201], v[6:7], v[162:163]
	v_add_f64_e32 v[192:193], v[204:205], v[202:203]
	v_fma_f64 v[202:203], v[4:5], v[162:163], -v[164:165]
	ds_load_b128 v[4:7], v2 offset:1392
	s_wait_loadcnt_dscnt 0xb01
	v_mul_f64_e32 v[198:199], v[182:183], v[168:169]
	v_mul_f64_e32 v[168:169], v[184:185], v[168:169]
	scratch_load_b128 v[162:165], off, off offset:560
	v_add_f64_e32 v[194:195], v[194:195], v[196:197]
	s_wait_loadcnt_dscnt 0xb00
	v_mul_f64_e32 v[196:197], v[4:5], v[176:177]
	v_add_f64_e32 v[204:205], v[192:193], v[190:191]
	v_mul_f64_e32 v[176:177], v[6:7], v[176:177]
	ds_load_b128 v[190:193], v2 offset:1408
	v_fmac_f64_e32 v[198:199], v[184:185], v[166:167]
	v_fma_f64 v[182:183], v[182:183], v[166:167], -v[168:169]
	scratch_load_b128 v[166:169], off, off offset:576
	v_add_f64_e32 v[194:195], v[194:195], v[200:201]
	v_fmac_f64_e32 v[196:197], v[6:7], v[174:175]
	v_add_f64_e32 v[184:185], v[204:205], v[202:203]
	v_fma_f64 v[202:203], v[4:5], v[174:175], -v[176:177]
	ds_load_b128 v[4:7], v2 offset:1424
	s_wait_loadcnt_dscnt 0xa01
	v_mul_f64_e32 v[200:201], v[190:191], v[188:189]
	v_mul_f64_e32 v[188:189], v[192:193], v[188:189]
	scratch_load_b128 v[174:177], off, off offset:592
	v_add_f64_e32 v[194:195], v[194:195], v[198:199]
	v_add_f64_e32 v[204:205], v[184:185], v[182:183]
	s_wait_loadcnt_dscnt 0xa00
	v_mul_f64_e32 v[198:199], v[4:5], v[172:173]
	v_mul_f64_e32 v[172:173], v[6:7], v[172:173]
	v_fmac_f64_e32 v[200:201], v[192:193], v[186:187]
	v_fma_f64 v[190:191], v[190:191], v[186:187], -v[188:189]
	ds_load_b128 v[182:185], v2 offset:1440
	scratch_load_b128 v[186:189], off, off offset:608
	v_add_f64_e32 v[194:195], v[194:195], v[196:197]
	v_add_f64_e32 v[192:193], v[204:205], v[202:203]
	v_fmac_f64_e32 v[198:199], v[6:7], v[170:171]
	v_fma_f64 v[202:203], v[4:5], v[170:171], -v[172:173]
	ds_load_b128 v[4:7], v2 offset:1456
	s_wait_loadcnt_dscnt 0xa01
	v_mul_f64_e32 v[196:197], v[182:183], v[10:11]
	v_mul_f64_e32 v[10:11], v[184:185], v[10:11]
	scratch_load_b128 v[170:173], off, off offset:624
	v_add_f64_e32 v[194:195], v[194:195], v[200:201]
	s_wait_loadcnt_dscnt 0xa00
	v_mul_f64_e32 v[200:201], v[4:5], v[14:15]
	v_add_f64_e32 v[204:205], v[192:193], v[190:191]
	v_mul_f64_e32 v[14:15], v[6:7], v[14:15]
	ds_load_b128 v[190:193], v2 offset:1472
	v_fmac_f64_e32 v[196:197], v[184:185], v[8:9]
	v_fma_f64 v[182:183], v[182:183], v[8:9], -v[10:11]
	scratch_load_b128 v[8:11], off, off offset:640
	v_add_f64_e32 v[194:195], v[194:195], v[198:199]
	v_fmac_f64_e32 v[200:201], v[6:7], v[12:13]
	v_add_f64_e32 v[184:185], v[204:205], v[202:203]
	v_fma_f64 v[202:203], v[4:5], v[12:13], -v[14:15]
	ds_load_b128 v[4:7], v2 offset:1488
	s_wait_loadcnt_dscnt 0xa01
	v_mul_f64_e32 v[198:199], v[190:191], v[144:145]
	v_mul_f64_e32 v[144:145], v[192:193], v[144:145]
	scratch_load_b128 v[12:15], off, off offset:656
	v_add_f64_e32 v[194:195], v[194:195], v[196:197]
	s_wait_loadcnt_dscnt 0xa00
	v_mul_f64_e32 v[196:197], v[4:5], v[148:149]
	v_add_f64_e32 v[204:205], v[184:185], v[182:183]
	v_mul_f64_e32 v[148:149], v[6:7], v[148:149]
	ds_load_b128 v[182:185], v2 offset:1504
	v_fmac_f64_e32 v[198:199], v[192:193], v[142:143]
	v_fma_f64 v[190:191], v[190:191], v[142:143], -v[144:145]
	scratch_load_b128 v[142:145], off, off offset:672
	v_add_f64_e32 v[194:195], v[194:195], v[200:201]
	v_fmac_f64_e32 v[196:197], v[6:7], v[146:147]
	v_add_f64_e32 v[192:193], v[204:205], v[202:203]
	;; [unrolled: 18-line block ×11, first 2 shown]
	v_fma_f64 v[202:203], v[4:5], v[174:175], -v[176:177]
	ds_load_b128 v[4:7], v2 offset:1808
	s_wait_loadcnt_dscnt 0xa01
	v_mul_f64_e32 v[200:201], v[190:191], v[188:189]
	v_mul_f64_e32 v[188:189], v[192:193], v[188:189]
	scratch_load_b128 v[174:177], off, off offset:976
	v_add_f64_e32 v[194:195], v[194:195], v[198:199]
	s_wait_loadcnt_dscnt 0xa00
	v_mul_f64_e32 v[198:199], v[4:5], v[172:173]
	v_add_f64_e32 v[204:205], v[184:185], v[182:183]
	v_mul_f64_e32 v[172:173], v[6:7], v[172:173]
	ds_load_b128 v[182:185], v2 offset:1824
	v_fmac_f64_e32 v[200:201], v[192:193], v[186:187]
	v_fma_f64 v[186:187], v[190:191], v[186:187], -v[188:189]
	s_wait_loadcnt_dscnt 0x900
	v_mul_f64_e32 v[192:193], v[182:183], v[10:11]
	v_mul_f64_e32 v[10:11], v[184:185], v[10:11]
	v_add_f64_e32 v[190:191], v[194:195], v[196:197]
	v_fmac_f64_e32 v[198:199], v[6:7], v[170:171]
	v_add_f64_e32 v[188:189], v[204:205], v[202:203]
	v_fma_f64 v[194:195], v[4:5], v[170:171], -v[172:173]
	ds_load_b128 v[4:7], v2 offset:1840
	ds_load_b128 v[170:173], v2 offset:1856
	v_fmac_f64_e32 v[192:193], v[184:185], v[8:9]
	v_fma_f64 v[8:9], v[182:183], v[8:9], -v[10:11]
	v_add_f64_e32 v[186:187], v[188:189], v[186:187]
	v_add_f64_e32 v[188:189], v[190:191], v[200:201]
	s_wait_loadcnt_dscnt 0x801
	v_mul_f64_e32 v[190:191], v[4:5], v[14:15]
	v_mul_f64_e32 v[14:15], v[6:7], v[14:15]
	s_wait_loadcnt_dscnt 0x700
	v_mul_f64_e32 v[184:185], v[170:171], v[144:145]
	v_mul_f64_e32 v[144:145], v[172:173], v[144:145]
	v_add_f64_e32 v[10:11], v[186:187], v[194:195]
	v_add_f64_e32 v[182:183], v[188:189], v[198:199]
	v_fmac_f64_e32 v[190:191], v[6:7], v[12:13]
	v_fma_f64 v[12:13], v[4:5], v[12:13], -v[14:15]
	v_fmac_f64_e32 v[184:185], v[172:173], v[142:143]
	v_fma_f64 v[142:143], v[170:171], v[142:143], -v[144:145]
	v_add_f64_e32 v[14:15], v[10:11], v[8:9]
	v_add_f64_e32 v[182:183], v[182:183], v[192:193]
	ds_load_b128 v[4:7], v2 offset:1872
	ds_load_b128 v[8:11], v2 offset:1888
	s_wait_loadcnt_dscnt 0x601
	v_mul_f64_e32 v[186:187], v[4:5], v[148:149]
	v_mul_f64_e32 v[148:149], v[6:7], v[148:149]
	s_wait_loadcnt_dscnt 0x500
	v_mul_f64_e32 v[144:145], v[8:9], v[152:153]
	v_mul_f64_e32 v[152:153], v[10:11], v[152:153]
	v_add_f64_e32 v[12:13], v[14:15], v[12:13]
	v_add_f64_e32 v[14:15], v[182:183], v[190:191]
	v_fmac_f64_e32 v[186:187], v[6:7], v[146:147]
	v_fma_f64 v[146:147], v[4:5], v[146:147], -v[148:149]
	v_fmac_f64_e32 v[144:145], v[10:11], v[150:151]
	v_fma_f64 v[8:9], v[8:9], v[150:151], -v[152:153]
	v_add_f64_e32 v[142:143], v[12:13], v[142:143]
	v_add_f64_e32 v[148:149], v[14:15], v[184:185]
	ds_load_b128 v[4:7], v2 offset:1904
	ds_load_b128 v[12:15], v2 offset:1920
	s_wait_loadcnt_dscnt 0x401
	v_mul_f64_e32 v[170:171], v[4:5], v[156:157]
	v_mul_f64_e32 v[156:157], v[6:7], v[156:157]
	v_add_f64_e32 v[10:11], v[142:143], v[146:147]
	v_add_f64_e32 v[142:143], v[148:149], v[186:187]
	s_wait_loadcnt_dscnt 0x300
	v_mul_f64_e32 v[146:147], v[12:13], v[160:161]
	v_mul_f64_e32 v[148:149], v[14:15], v[160:161]
	v_fmac_f64_e32 v[170:171], v[6:7], v[154:155]
	v_fma_f64 v[150:151], v[4:5], v[154:155], -v[156:157]
	v_add_f64_e32 v[152:153], v[10:11], v[8:9]
	v_add_f64_e32 v[142:143], v[142:143], v[144:145]
	ds_load_b128 v[4:7], v2 offset:1936
	ds_load_b128 v[8:11], v2 offset:1952
	v_fmac_f64_e32 v[146:147], v[14:15], v[158:159]
	v_fma_f64 v[12:13], v[12:13], v[158:159], -v[148:149]
	s_wait_loadcnt_dscnt 0x201
	v_mul_f64_e32 v[144:145], v[4:5], v[164:165]
	v_mul_f64_e32 v[154:155], v[6:7], v[164:165]
	s_wait_loadcnt_dscnt 0x100
	v_mul_f64_e32 v[148:149], v[8:9], v[168:169]
	v_add_f64_e32 v[14:15], v[152:153], v[150:151]
	v_add_f64_e32 v[142:143], v[142:143], v[170:171]
	v_mul_f64_e32 v[150:151], v[10:11], v[168:169]
	v_fmac_f64_e32 v[144:145], v[6:7], v[162:163]
	v_fma_f64 v[152:153], v[4:5], v[162:163], -v[154:155]
	ds_load_b128 v[4:7], v2 offset:1968
	v_fmac_f64_e32 v[148:149], v[10:11], v[166:167]
	v_add_f64_e32 v[12:13], v[14:15], v[12:13]
	v_add_f64_e32 v[14:15], v[142:143], v[146:147]
	v_fma_f64 v[8:9], v[8:9], v[166:167], -v[150:151]
	s_wait_loadcnt_dscnt 0x0
	v_mul_f64_e32 v[142:143], v[4:5], v[176:177]
	v_mul_f64_e32 v[146:147], v[6:7], v[176:177]
	v_add_f64_e32 v[10:11], v[12:13], v[152:153]
	v_add_f64_e32 v[12:13], v[14:15], v[144:145]
	s_delay_alu instid0(VALU_DEP_4) | instskip(NEXT) | instid1(VALU_DEP_4)
	v_fmac_f64_e32 v[142:143], v[6:7], v[174:175]
	v_fma_f64 v[4:5], v[4:5], v[174:175], -v[146:147]
	s_delay_alu instid0(VALU_DEP_4) | instskip(NEXT) | instid1(VALU_DEP_4)
	v_add_f64_e32 v[6:7], v[10:11], v[8:9]
	v_add_f64_e32 v[8:9], v[12:13], v[148:149]
	s_delay_alu instid0(VALU_DEP_2) | instskip(NEXT) | instid1(VALU_DEP_2)
	v_add_f64_e32 v[4:5], v[6:7], v[4:5]
	v_add_f64_e32 v[6:7], v[8:9], v[142:143]
	s_delay_alu instid0(VALU_DEP_2) | instskip(NEXT) | instid1(VALU_DEP_2)
	v_add_f64_e64 v[4:5], v[178:179], -v[4:5]
	v_add_f64_e64 v[6:7], v[180:181], -v[6:7]
	scratch_store_b128 off, v[4:7], off offset:224
	s_wait_xcnt 0x0
	v_cmpx_lt_u32_e32 13, v1
	s_cbranch_execz .LBB61_371
; %bb.370:
	scratch_load_b128 v[6:9], off, s62
	v_dual_mov_b32 v3, v2 :: v_dual_mov_b32 v4, v2
	v_mov_b32_e32 v5, v2
	scratch_store_b128 off, v[2:5], off offset:208
	s_wait_loadcnt 0x0
	ds_store_b128 v16, v[6:9]
.LBB61_371:
	s_wait_xcnt 0x0
	s_or_b32 exec_lo, exec_lo, s2
	s_wait_storecnt_dscnt 0x0
	s_barrier_signal -1
	s_barrier_wait -1
	s_clause 0x9
	scratch_load_b128 v[4:7], off, off offset:224
	scratch_load_b128 v[8:11], off, off offset:240
	;; [unrolled: 1-line block ×10, first 2 shown]
	ds_load_b128 v[170:173], v2 offset:1216
	ds_load_b128 v[178:181], v2 offset:1232
	s_clause 0x2
	scratch_load_b128 v[174:177], off, off offset:384
	scratch_load_b128 v[182:185], off, off offset:208
	;; [unrolled: 1-line block ×3, first 2 shown]
	s_mov_b32 s2, exec_lo
	s_wait_loadcnt_dscnt 0xc01
	v_mul_f64_e32 v[190:191], v[172:173], v[6:7]
	v_mul_f64_e32 v[194:195], v[170:171], v[6:7]
	s_wait_loadcnt_dscnt 0xb00
	v_mul_f64_e32 v[196:197], v[178:179], v[10:11]
	v_mul_f64_e32 v[10:11], v[180:181], v[10:11]
	s_delay_alu instid0(VALU_DEP_4) | instskip(NEXT) | instid1(VALU_DEP_4)
	v_fma_f64 v[198:199], v[170:171], v[4:5], -v[190:191]
	v_fmac_f64_e32 v[194:195], v[172:173], v[4:5]
	ds_load_b128 v[4:7], v2 offset:1248
	ds_load_b128 v[170:173], v2 offset:1264
	scratch_load_b128 v[190:193], off, off offset:416
	v_fmac_f64_e32 v[196:197], v[180:181], v[8:9]
	v_fma_f64 v[178:179], v[178:179], v[8:9], -v[10:11]
	scratch_load_b128 v[8:11], off, off offset:432
	s_wait_loadcnt_dscnt 0xc01
	v_mul_f64_e32 v[200:201], v[4:5], v[14:15]
	v_mul_f64_e32 v[14:15], v[6:7], v[14:15]
	v_add_f64_e32 v[180:181], 0, v[198:199]
	v_add_f64_e32 v[194:195], 0, v[194:195]
	s_wait_loadcnt_dscnt 0xb00
	v_mul_f64_e32 v[198:199], v[170:171], v[144:145]
	v_mul_f64_e32 v[144:145], v[172:173], v[144:145]
	v_fmac_f64_e32 v[200:201], v[6:7], v[12:13]
	v_fma_f64 v[202:203], v[4:5], v[12:13], -v[14:15]
	ds_load_b128 v[4:7], v2 offset:1280
	ds_load_b128 v[12:15], v2 offset:1296
	v_add_f64_e32 v[204:205], v[180:181], v[178:179]
	v_add_f64_e32 v[194:195], v[194:195], v[196:197]
	scratch_load_b128 v[178:181], off, off offset:448
	v_fmac_f64_e32 v[198:199], v[172:173], v[142:143]
	v_fma_f64 v[170:171], v[170:171], v[142:143], -v[144:145]
	scratch_load_b128 v[142:145], off, off offset:464
	s_wait_loadcnt_dscnt 0xc01
	v_mul_f64_e32 v[196:197], v[4:5], v[148:149]
	v_mul_f64_e32 v[148:149], v[6:7], v[148:149]
	v_add_f64_e32 v[172:173], v[204:205], v[202:203]
	v_add_f64_e32 v[194:195], v[194:195], v[200:201]
	s_wait_loadcnt_dscnt 0xb00
	v_mul_f64_e32 v[200:201], v[12:13], v[152:153]
	v_mul_f64_e32 v[152:153], v[14:15], v[152:153]
	v_fmac_f64_e32 v[196:197], v[6:7], v[146:147]
	v_fma_f64 v[202:203], v[4:5], v[146:147], -v[148:149]
	ds_load_b128 v[4:7], v2 offset:1312
	ds_load_b128 v[146:149], v2 offset:1328
	v_add_f64_e32 v[204:205], v[172:173], v[170:171]
	v_add_f64_e32 v[194:195], v[194:195], v[198:199]
	scratch_load_b128 v[170:173], off, off offset:480
	s_wait_loadcnt_dscnt 0xb01
	v_mul_f64_e32 v[198:199], v[4:5], v[156:157]
	v_mul_f64_e32 v[156:157], v[6:7], v[156:157]
	v_fmac_f64_e32 v[200:201], v[14:15], v[150:151]
	v_fma_f64 v[150:151], v[12:13], v[150:151], -v[152:153]
	scratch_load_b128 v[12:15], off, off offset:496
	v_add_f64_e32 v[152:153], v[204:205], v[202:203]
	v_add_f64_e32 v[194:195], v[194:195], v[196:197]
	s_wait_loadcnt_dscnt 0xb00
	v_mul_f64_e32 v[196:197], v[146:147], v[160:161]
	v_mul_f64_e32 v[160:161], v[148:149], v[160:161]
	v_fmac_f64_e32 v[198:199], v[6:7], v[154:155]
	v_fma_f64 v[202:203], v[4:5], v[154:155], -v[156:157]
	v_add_f64_e32 v[204:205], v[152:153], v[150:151]
	v_add_f64_e32 v[194:195], v[194:195], v[200:201]
	ds_load_b128 v[4:7], v2 offset:1344
	ds_load_b128 v[150:153], v2 offset:1360
	scratch_load_b128 v[154:157], off, off offset:512
	v_fmac_f64_e32 v[196:197], v[148:149], v[158:159]
	v_fma_f64 v[158:159], v[146:147], v[158:159], -v[160:161]
	scratch_load_b128 v[146:149], off, off offset:528
	s_wait_loadcnt_dscnt 0xc01
	v_mul_f64_e32 v[200:201], v[4:5], v[164:165]
	v_mul_f64_e32 v[164:165], v[6:7], v[164:165]
	v_add_f64_e32 v[160:161], v[204:205], v[202:203]
	v_add_f64_e32 v[194:195], v[194:195], v[198:199]
	s_wait_loadcnt_dscnt 0xb00
	v_mul_f64_e32 v[198:199], v[150:151], v[168:169]
	v_mul_f64_e32 v[168:169], v[152:153], v[168:169]
	v_fmac_f64_e32 v[200:201], v[6:7], v[162:163]
	v_fma_f64 v[202:203], v[4:5], v[162:163], -v[164:165]
	v_add_f64_e32 v[204:205], v[160:161], v[158:159]
	v_add_f64_e32 v[194:195], v[194:195], v[196:197]
	ds_load_b128 v[4:7], v2 offset:1376
	ds_load_b128 v[158:161], v2 offset:1392
	scratch_load_b128 v[162:165], off, off offset:544
	v_fmac_f64_e32 v[198:199], v[152:153], v[166:167]
	v_fma_f64 v[166:167], v[150:151], v[166:167], -v[168:169]
	scratch_load_b128 v[150:153], off, off offset:560
	s_wait_loadcnt_dscnt 0xc01
	v_mul_f64_e32 v[196:197], v[4:5], v[176:177]
	v_mul_f64_e32 v[176:177], v[6:7], v[176:177]
	;; [unrolled: 18-line block ×5, first 2 shown]
	v_add_f64_e32 v[188:189], v[204:205], v[202:203]
	v_add_f64_e32 v[194:195], v[194:195], v[200:201]
	s_wait_loadcnt_dscnt 0xa00
	v_mul_f64_e32 v[200:201], v[166:167], v[14:15]
	v_mul_f64_e32 v[14:15], v[168:169], v[14:15]
	v_fmac_f64_e32 v[196:197], v[6:7], v[170:171]
	v_fma_f64 v[202:203], v[4:5], v[170:171], -v[172:173]
	ds_load_b128 v[4:7], v2 offset:1504
	ds_load_b128 v[170:173], v2 offset:1520
	v_add_f64_e32 v[204:205], v[188:189], v[186:187]
	v_add_f64_e32 v[194:195], v[194:195], v[198:199]
	scratch_load_b128 v[186:189], off, off offset:672
	v_fmac_f64_e32 v[200:201], v[168:169], v[12:13]
	v_fma_f64 v[166:167], v[166:167], v[12:13], -v[14:15]
	scratch_load_b128 v[12:15], off, off offset:688
	s_wait_loadcnt_dscnt 0xb01
	v_mul_f64_e32 v[198:199], v[4:5], v[156:157]
	v_mul_f64_e32 v[156:157], v[6:7], v[156:157]
	v_add_f64_e32 v[168:169], v[204:205], v[202:203]
	v_add_f64_e32 v[194:195], v[194:195], v[196:197]
	s_wait_loadcnt_dscnt 0xa00
	v_mul_f64_e32 v[196:197], v[170:171], v[148:149]
	v_mul_f64_e32 v[148:149], v[172:173], v[148:149]
	v_fmac_f64_e32 v[198:199], v[6:7], v[154:155]
	v_fma_f64 v[202:203], v[4:5], v[154:155], -v[156:157]
	ds_load_b128 v[4:7], v2 offset:1536
	ds_load_b128 v[154:157], v2 offset:1552
	v_add_f64_e32 v[204:205], v[168:169], v[166:167]
	v_add_f64_e32 v[194:195], v[194:195], v[200:201]
	scratch_load_b128 v[166:169], off, off offset:704
	s_wait_loadcnt_dscnt 0xa01
	v_mul_f64_e32 v[200:201], v[4:5], v[164:165]
	v_mul_f64_e32 v[164:165], v[6:7], v[164:165]
	v_fmac_f64_e32 v[196:197], v[172:173], v[146:147]
	v_fma_f64 v[170:171], v[170:171], v[146:147], -v[148:149]
	scratch_load_b128 v[146:149], off, off offset:720
	v_add_f64_e32 v[172:173], v[204:205], v[202:203]
	v_add_f64_e32 v[194:195], v[194:195], v[198:199]
	s_wait_loadcnt_dscnt 0xa00
	v_mul_f64_e32 v[198:199], v[154:155], v[152:153]
	v_mul_f64_e32 v[152:153], v[156:157], v[152:153]
	v_fmac_f64_e32 v[200:201], v[6:7], v[162:163]
	v_fma_f64 v[202:203], v[4:5], v[162:163], -v[164:165]
	ds_load_b128 v[4:7], v2 offset:1568
	ds_load_b128 v[162:165], v2 offset:1584
	v_add_f64_e32 v[204:205], v[172:173], v[170:171]
	v_add_f64_e32 v[194:195], v[194:195], v[196:197]
	scratch_load_b128 v[170:173], off, off offset:736
	s_wait_loadcnt_dscnt 0xa01
	v_mul_f64_e32 v[196:197], v[4:5], v[176:177]
	v_mul_f64_e32 v[176:177], v[6:7], v[176:177]
	v_fmac_f64_e32 v[198:199], v[156:157], v[150:151]
	v_fma_f64 v[154:155], v[154:155], v[150:151], -v[152:153]
	scratch_load_b128 v[150:153], off, off offset:752
	v_add_f64_e32 v[156:157], v[204:205], v[202:203]
	v_add_f64_e32 v[194:195], v[194:195], v[200:201]
	s_wait_loadcnt_dscnt 0xa00
	v_mul_f64_e32 v[200:201], v[162:163], v[160:161]
	v_mul_f64_e32 v[160:161], v[164:165], v[160:161]
	v_fmac_f64_e32 v[196:197], v[6:7], v[174:175]
	v_fma_f64 v[202:203], v[4:5], v[174:175], -v[176:177]
	v_add_f64_e32 v[204:205], v[156:157], v[154:155]
	v_add_f64_e32 v[194:195], v[194:195], v[198:199]
	ds_load_b128 v[4:7], v2 offset:1600
	ds_load_b128 v[154:157], v2 offset:1616
	scratch_load_b128 v[174:177], off, off offset:768
	v_fmac_f64_e32 v[200:201], v[164:165], v[158:159]
	v_fma_f64 v[162:163], v[162:163], v[158:159], -v[160:161]
	scratch_load_b128 v[158:161], off, off offset:784
	s_wait_loadcnt_dscnt 0xb01
	v_mul_f64_e32 v[198:199], v[4:5], v[192:193]
	v_mul_f64_e32 v[192:193], v[6:7], v[192:193]
	v_add_f64_e32 v[164:165], v[204:205], v[202:203]
	v_add_f64_e32 v[194:195], v[194:195], v[196:197]
	s_wait_loadcnt_dscnt 0xa00
	v_mul_f64_e32 v[196:197], v[154:155], v[10:11]
	v_mul_f64_e32 v[10:11], v[156:157], v[10:11]
	v_fmac_f64_e32 v[198:199], v[6:7], v[190:191]
	v_fma_f64 v[202:203], v[4:5], v[190:191], -v[192:193]
	v_add_f64_e32 v[204:205], v[164:165], v[162:163]
	v_add_f64_e32 v[194:195], v[194:195], v[200:201]
	ds_load_b128 v[4:7], v2 offset:1632
	ds_load_b128 v[162:165], v2 offset:1648
	scratch_load_b128 v[190:193], off, off offset:800
	v_fmac_f64_e32 v[196:197], v[156:157], v[8:9]
	v_fma_f64 v[154:155], v[154:155], v[8:9], -v[10:11]
	scratch_load_b128 v[8:11], off, off offset:816
	s_wait_loadcnt_dscnt 0xb01
	v_mul_f64_e32 v[200:201], v[4:5], v[180:181]
	v_mul_f64_e32 v[180:181], v[6:7], v[180:181]
	;; [unrolled: 18-line block ×7, first 2 shown]
	v_add_f64_e32 v[164:165], v[204:205], v[202:203]
	v_add_f64_e32 v[194:195], v[194:195], v[196:197]
	s_wait_loadcnt_dscnt 0xa00
	v_mul_f64_e32 v[196:197], v[154:155], v[10:11]
	v_mul_f64_e32 v[10:11], v[156:157], v[10:11]
	v_fmac_f64_e32 v[198:199], v[6:7], v[190:191]
	v_fma_f64 v[190:191], v[4:5], v[190:191], -v[192:193]
	v_add_f64_e32 v[192:193], v[164:165], v[162:163]
	v_add_f64_e32 v[194:195], v[194:195], v[200:201]
	ds_load_b128 v[4:7], v2 offset:1824
	ds_load_b128 v[162:165], v2 offset:1840
	v_fmac_f64_e32 v[196:197], v[156:157], v[8:9]
	v_fma_f64 v[8:9], v[154:155], v[8:9], -v[10:11]
	s_wait_loadcnt_dscnt 0x901
	v_mul_f64_e32 v[200:201], v[4:5], v[180:181]
	v_mul_f64_e32 v[180:181], v[6:7], v[180:181]
	s_wait_loadcnt_dscnt 0x800
	v_mul_f64_e32 v[156:157], v[162:163], v[144:145]
	v_mul_f64_e32 v[144:145], v[164:165], v[144:145]
	v_add_f64_e32 v[10:11], v[192:193], v[190:191]
	v_add_f64_e32 v[154:155], v[194:195], v[198:199]
	v_fmac_f64_e32 v[200:201], v[6:7], v[178:179]
	v_fma_f64 v[178:179], v[4:5], v[178:179], -v[180:181]
	v_fmac_f64_e32 v[156:157], v[164:165], v[142:143]
	v_fma_f64 v[142:143], v[162:163], v[142:143], -v[144:145]
	v_add_f64_e32 v[180:181], v[10:11], v[8:9]
	v_add_f64_e32 v[154:155], v[154:155], v[196:197]
	ds_load_b128 v[4:7], v2 offset:1856
	ds_load_b128 v[8:11], v2 offset:1872
	s_wait_loadcnt_dscnt 0x701
	v_mul_f64_e32 v[190:191], v[4:5], v[188:189]
	v_mul_f64_e32 v[188:189], v[6:7], v[188:189]
	s_wait_loadcnt_dscnt 0x600
	v_mul_f64_e32 v[162:163], v[8:9], v[14:15]
	v_mul_f64_e32 v[14:15], v[10:11], v[14:15]
	v_add_f64_e32 v[144:145], v[180:181], v[178:179]
	v_add_f64_e32 v[154:155], v[154:155], v[200:201]
	v_fmac_f64_e32 v[190:191], v[6:7], v[186:187]
	v_fma_f64 v[164:165], v[4:5], v[186:187], -v[188:189]
	v_fmac_f64_e32 v[162:163], v[10:11], v[12:13]
	v_fma_f64 v[8:9], v[8:9], v[12:13], -v[14:15]
	v_add_f64_e32 v[178:179], v[144:145], v[142:143]
	v_add_f64_e32 v[154:155], v[154:155], v[156:157]
	ds_load_b128 v[4:7], v2 offset:1888
	ds_load_b128 v[142:145], v2 offset:1904
	;; [unrolled: 16-line block ×4, first 2 shown]
	s_wait_loadcnt_dscnt 0x101
	v_mul_f64_e32 v[2:3], v[4:5], v[176:177]
	v_mul_f64_e32 v[154:155], v[6:7], v[176:177]
	s_wait_loadcnt_dscnt 0x0
	v_mul_f64_e32 v[148:149], v[14:15], v[160:161]
	v_add_f64_e32 v[10:11], v[142:143], v[152:153]
	v_add_f64_e32 v[142:143], v[144:145], v[162:163]
	v_mul_f64_e32 v[144:145], v[12:13], v[160:161]
	v_fmac_f64_e32 v[2:3], v[6:7], v[174:175]
	v_fma_f64 v[4:5], v[4:5], v[174:175], -v[154:155]
	v_add_f64_e32 v[6:7], v[10:11], v[8:9]
	v_add_f64_e32 v[8:9], v[142:143], v[146:147]
	v_fmac_f64_e32 v[144:145], v[14:15], v[158:159]
	v_fma_f64 v[10:11], v[12:13], v[158:159], -v[148:149]
	s_delay_alu instid0(VALU_DEP_4) | instskip(NEXT) | instid1(VALU_DEP_4)
	v_add_f64_e32 v[4:5], v[6:7], v[4:5]
	v_add_f64_e32 v[2:3], v[8:9], v[2:3]
	s_delay_alu instid0(VALU_DEP_2) | instskip(NEXT) | instid1(VALU_DEP_2)
	v_add_f64_e32 v[4:5], v[4:5], v[10:11]
	v_add_f64_e32 v[6:7], v[2:3], v[144:145]
	s_delay_alu instid0(VALU_DEP_2) | instskip(NEXT) | instid1(VALU_DEP_2)
	v_add_f64_e64 v[2:3], v[182:183], -v[4:5]
	v_add_f64_e64 v[4:5], v[184:185], -v[6:7]
	scratch_store_b128 off, v[2:5], off offset:208
	s_wait_xcnt 0x0
	v_cmpx_lt_u32_e32 12, v1
	s_cbranch_execz .LBB61_373
; %bb.372:
	scratch_load_b128 v[2:5], off, s58
	v_mov_b32_e32 v6, 0
	s_delay_alu instid0(VALU_DEP_1)
	v_dual_mov_b32 v7, v6 :: v_dual_mov_b32 v8, v6
	v_mov_b32_e32 v9, v6
	scratch_store_b128 off, v[6:9], off offset:192
	s_wait_loadcnt 0x0
	ds_store_b128 v16, v[2:5]
.LBB61_373:
	s_wait_xcnt 0x0
	s_or_b32 exec_lo, exec_lo, s2
	s_wait_storecnt_dscnt 0x0
	s_barrier_signal -1
	s_barrier_wait -1
	s_clause 0x9
	scratch_load_b128 v[4:7], off, off offset:208
	scratch_load_b128 v[8:11], off, off offset:224
	;; [unrolled: 1-line block ×10, first 2 shown]
	v_mov_b32_e32 v2, 0
	s_mov_b32 s2, exec_lo
	ds_load_b128 v[170:173], v2 offset:1200
	s_clause 0x2
	scratch_load_b128 v[174:177], off, off offset:368
	scratch_load_b128 v[178:181], off, off offset:192
	;; [unrolled: 1-line block ×3, first 2 shown]
	s_wait_loadcnt_dscnt 0xc00
	v_mul_f64_e32 v[190:191], v[172:173], v[6:7]
	v_mul_f64_e32 v[194:195], v[170:171], v[6:7]
	ds_load_b128 v[182:185], v2 offset:1216
	v_fma_f64 v[198:199], v[170:171], v[4:5], -v[190:191]
	v_fmac_f64_e32 v[194:195], v[172:173], v[4:5]
	ds_load_b128 v[4:7], v2 offset:1232
	s_wait_loadcnt_dscnt 0xb01
	v_mul_f64_e32 v[196:197], v[182:183], v[10:11]
	v_mul_f64_e32 v[10:11], v[184:185], v[10:11]
	scratch_load_b128 v[170:173], off, off offset:400
	ds_load_b128 v[190:193], v2 offset:1248
	s_wait_loadcnt_dscnt 0xb01
	v_mul_f64_e32 v[200:201], v[4:5], v[14:15]
	v_mul_f64_e32 v[14:15], v[6:7], v[14:15]
	v_add_f64_e32 v[194:195], 0, v[194:195]
	v_fmac_f64_e32 v[196:197], v[184:185], v[8:9]
	v_fma_f64 v[182:183], v[182:183], v[8:9], -v[10:11]
	v_add_f64_e32 v[184:185], 0, v[198:199]
	scratch_load_b128 v[8:11], off, off offset:416
	v_fmac_f64_e32 v[200:201], v[6:7], v[12:13]
	v_fma_f64 v[202:203], v[4:5], v[12:13], -v[14:15]
	ds_load_b128 v[4:7], v2 offset:1264
	s_wait_loadcnt_dscnt 0xb01
	v_mul_f64_e32 v[198:199], v[190:191], v[144:145]
	v_mul_f64_e32 v[144:145], v[192:193], v[144:145]
	scratch_load_b128 v[12:15], off, off offset:432
	v_add_f64_e32 v[194:195], v[194:195], v[196:197]
	v_add_f64_e32 v[204:205], v[184:185], v[182:183]
	ds_load_b128 v[182:185], v2 offset:1280
	s_wait_loadcnt_dscnt 0xb01
	v_mul_f64_e32 v[196:197], v[4:5], v[148:149]
	v_mul_f64_e32 v[148:149], v[6:7], v[148:149]
	v_fmac_f64_e32 v[198:199], v[192:193], v[142:143]
	v_fma_f64 v[190:191], v[190:191], v[142:143], -v[144:145]
	scratch_load_b128 v[142:145], off, off offset:448
	v_add_f64_e32 v[194:195], v[194:195], v[200:201]
	v_add_f64_e32 v[192:193], v[204:205], v[202:203]
	v_fmac_f64_e32 v[196:197], v[6:7], v[146:147]
	v_fma_f64 v[202:203], v[4:5], v[146:147], -v[148:149]
	ds_load_b128 v[4:7], v2 offset:1296
	s_wait_loadcnt_dscnt 0xb01
	v_mul_f64_e32 v[200:201], v[182:183], v[152:153]
	v_mul_f64_e32 v[152:153], v[184:185], v[152:153]
	scratch_load_b128 v[146:149], off, off offset:464
	v_add_f64_e32 v[194:195], v[194:195], v[198:199]
	s_wait_loadcnt_dscnt 0xb00
	v_mul_f64_e32 v[198:199], v[4:5], v[156:157]
	v_add_f64_e32 v[204:205], v[192:193], v[190:191]
	v_mul_f64_e32 v[156:157], v[6:7], v[156:157]
	ds_load_b128 v[190:193], v2 offset:1312
	v_fmac_f64_e32 v[200:201], v[184:185], v[150:151]
	v_fma_f64 v[182:183], v[182:183], v[150:151], -v[152:153]
	scratch_load_b128 v[150:153], off, off offset:480
	v_add_f64_e32 v[194:195], v[194:195], v[196:197]
	v_fmac_f64_e32 v[198:199], v[6:7], v[154:155]
	v_add_f64_e32 v[184:185], v[204:205], v[202:203]
	v_fma_f64 v[202:203], v[4:5], v[154:155], -v[156:157]
	ds_load_b128 v[4:7], v2 offset:1328
	s_wait_loadcnt_dscnt 0xb01
	v_mul_f64_e32 v[196:197], v[190:191], v[160:161]
	v_mul_f64_e32 v[160:161], v[192:193], v[160:161]
	scratch_load_b128 v[154:157], off, off offset:496
	v_add_f64_e32 v[194:195], v[194:195], v[200:201]
	s_wait_loadcnt_dscnt 0xb00
	v_mul_f64_e32 v[200:201], v[4:5], v[164:165]
	v_add_f64_e32 v[204:205], v[184:185], v[182:183]
	v_mul_f64_e32 v[164:165], v[6:7], v[164:165]
	ds_load_b128 v[182:185], v2 offset:1344
	v_fmac_f64_e32 v[196:197], v[192:193], v[158:159]
	v_fma_f64 v[190:191], v[190:191], v[158:159], -v[160:161]
	scratch_load_b128 v[158:161], off, off offset:512
	v_add_f64_e32 v[194:195], v[194:195], v[198:199]
	v_fmac_f64_e32 v[200:201], v[6:7], v[162:163]
	v_add_f64_e32 v[192:193], v[204:205], v[202:203]
	;; [unrolled: 18-line block ×3, first 2 shown]
	v_fma_f64 v[202:203], v[4:5], v[174:175], -v[176:177]
	ds_load_b128 v[4:7], v2 offset:1392
	s_wait_loadcnt_dscnt 0xa01
	v_mul_f64_e32 v[200:201], v[190:191], v[188:189]
	v_mul_f64_e32 v[188:189], v[192:193], v[188:189]
	scratch_load_b128 v[174:177], off, off offset:560
	v_add_f64_e32 v[194:195], v[194:195], v[198:199]
	v_add_f64_e32 v[204:205], v[184:185], v[182:183]
	s_wait_loadcnt_dscnt 0xa00
	v_mul_f64_e32 v[198:199], v[4:5], v[172:173]
	v_mul_f64_e32 v[172:173], v[6:7], v[172:173]
	v_fmac_f64_e32 v[200:201], v[192:193], v[186:187]
	v_fma_f64 v[190:191], v[190:191], v[186:187], -v[188:189]
	ds_load_b128 v[182:185], v2 offset:1408
	scratch_load_b128 v[186:189], off, off offset:576
	v_add_f64_e32 v[194:195], v[194:195], v[196:197]
	v_add_f64_e32 v[192:193], v[204:205], v[202:203]
	v_fmac_f64_e32 v[198:199], v[6:7], v[170:171]
	v_fma_f64 v[202:203], v[4:5], v[170:171], -v[172:173]
	ds_load_b128 v[4:7], v2 offset:1424
	s_wait_loadcnt_dscnt 0xa01
	v_mul_f64_e32 v[196:197], v[182:183], v[10:11]
	v_mul_f64_e32 v[10:11], v[184:185], v[10:11]
	scratch_load_b128 v[170:173], off, off offset:592
	v_add_f64_e32 v[194:195], v[194:195], v[200:201]
	s_wait_loadcnt_dscnt 0xa00
	v_mul_f64_e32 v[200:201], v[4:5], v[14:15]
	v_add_f64_e32 v[204:205], v[192:193], v[190:191]
	v_mul_f64_e32 v[14:15], v[6:7], v[14:15]
	ds_load_b128 v[190:193], v2 offset:1440
	v_fmac_f64_e32 v[196:197], v[184:185], v[8:9]
	v_fma_f64 v[182:183], v[182:183], v[8:9], -v[10:11]
	scratch_load_b128 v[8:11], off, off offset:608
	v_add_f64_e32 v[194:195], v[194:195], v[198:199]
	v_fmac_f64_e32 v[200:201], v[6:7], v[12:13]
	v_add_f64_e32 v[184:185], v[204:205], v[202:203]
	v_fma_f64 v[202:203], v[4:5], v[12:13], -v[14:15]
	ds_load_b128 v[4:7], v2 offset:1456
	s_wait_loadcnt_dscnt 0xa01
	v_mul_f64_e32 v[198:199], v[190:191], v[144:145]
	v_mul_f64_e32 v[144:145], v[192:193], v[144:145]
	scratch_load_b128 v[12:15], off, off offset:624
	v_add_f64_e32 v[194:195], v[194:195], v[196:197]
	s_wait_loadcnt_dscnt 0xa00
	v_mul_f64_e32 v[196:197], v[4:5], v[148:149]
	v_add_f64_e32 v[204:205], v[184:185], v[182:183]
	v_mul_f64_e32 v[148:149], v[6:7], v[148:149]
	ds_load_b128 v[182:185], v2 offset:1472
	v_fmac_f64_e32 v[198:199], v[192:193], v[142:143]
	v_fma_f64 v[190:191], v[190:191], v[142:143], -v[144:145]
	scratch_load_b128 v[142:145], off, off offset:640
	v_add_f64_e32 v[194:195], v[194:195], v[200:201]
	v_fmac_f64_e32 v[196:197], v[6:7], v[146:147]
	v_add_f64_e32 v[192:193], v[204:205], v[202:203]
	v_fma_f64 v[202:203], v[4:5], v[146:147], -v[148:149]
	ds_load_b128 v[4:7], v2 offset:1488
	s_wait_loadcnt_dscnt 0xa01
	v_mul_f64_e32 v[200:201], v[182:183], v[152:153]
	v_mul_f64_e32 v[152:153], v[184:185], v[152:153]
	scratch_load_b128 v[146:149], off, off offset:656
	v_add_f64_e32 v[194:195], v[194:195], v[198:199]
	s_wait_loadcnt_dscnt 0xa00
	v_mul_f64_e32 v[198:199], v[4:5], v[156:157]
	v_add_f64_e32 v[204:205], v[192:193], v[190:191]
	v_mul_f64_e32 v[156:157], v[6:7], v[156:157]
	ds_load_b128 v[190:193], v2 offset:1504
	v_fmac_f64_e32 v[200:201], v[184:185], v[150:151]
	v_fma_f64 v[182:183], v[182:183], v[150:151], -v[152:153]
	scratch_load_b128 v[150:153], off, off offset:672
	v_add_f64_e32 v[194:195], v[194:195], v[196:197]
	v_fmac_f64_e32 v[198:199], v[6:7], v[154:155]
	v_add_f64_e32 v[184:185], v[204:205], v[202:203]
	v_fma_f64 v[202:203], v[4:5], v[154:155], -v[156:157]
	ds_load_b128 v[4:7], v2 offset:1520
	s_wait_loadcnt_dscnt 0xa01
	v_mul_f64_e32 v[196:197], v[190:191], v[160:161]
	v_mul_f64_e32 v[160:161], v[192:193], v[160:161]
	scratch_load_b128 v[154:157], off, off offset:688
	v_add_f64_e32 v[194:195], v[194:195], v[200:201]
	s_wait_loadcnt_dscnt 0xa00
	v_mul_f64_e32 v[200:201], v[4:5], v[164:165]
	v_add_f64_e32 v[204:205], v[184:185], v[182:183]
	v_mul_f64_e32 v[164:165], v[6:7], v[164:165]
	ds_load_b128 v[182:185], v2 offset:1536
	v_fmac_f64_e32 v[196:197], v[192:193], v[158:159]
	v_fma_f64 v[190:191], v[190:191], v[158:159], -v[160:161]
	scratch_load_b128 v[158:161], off, off offset:704
	v_add_f64_e32 v[194:195], v[194:195], v[198:199]
	v_fmac_f64_e32 v[200:201], v[6:7], v[162:163]
	v_add_f64_e32 v[192:193], v[204:205], v[202:203]
	v_fma_f64 v[202:203], v[4:5], v[162:163], -v[164:165]
	ds_load_b128 v[4:7], v2 offset:1552
	s_wait_loadcnt_dscnt 0xa01
	v_mul_f64_e32 v[198:199], v[182:183], v[168:169]
	v_mul_f64_e32 v[168:169], v[184:185], v[168:169]
	scratch_load_b128 v[162:165], off, off offset:720
	v_add_f64_e32 v[194:195], v[194:195], v[196:197]
	s_wait_loadcnt_dscnt 0xa00
	v_mul_f64_e32 v[196:197], v[4:5], v[176:177]
	v_add_f64_e32 v[204:205], v[192:193], v[190:191]
	v_mul_f64_e32 v[176:177], v[6:7], v[176:177]
	ds_load_b128 v[190:193], v2 offset:1568
	v_fmac_f64_e32 v[198:199], v[184:185], v[166:167]
	v_fma_f64 v[182:183], v[182:183], v[166:167], -v[168:169]
	scratch_load_b128 v[166:169], off, off offset:736
	v_add_f64_e32 v[194:195], v[194:195], v[200:201]
	v_fmac_f64_e32 v[196:197], v[6:7], v[174:175]
	v_add_f64_e32 v[184:185], v[204:205], v[202:203]
	v_fma_f64 v[202:203], v[4:5], v[174:175], -v[176:177]
	ds_load_b128 v[4:7], v2 offset:1584
	s_wait_loadcnt_dscnt 0xa01
	v_mul_f64_e32 v[200:201], v[190:191], v[188:189]
	v_mul_f64_e32 v[188:189], v[192:193], v[188:189]
	scratch_load_b128 v[174:177], off, off offset:752
	v_add_f64_e32 v[194:195], v[194:195], v[198:199]
	s_wait_loadcnt_dscnt 0xa00
	v_mul_f64_e32 v[198:199], v[4:5], v[172:173]
	v_add_f64_e32 v[204:205], v[184:185], v[182:183]
	v_mul_f64_e32 v[172:173], v[6:7], v[172:173]
	ds_load_b128 v[182:185], v2 offset:1600
	v_fmac_f64_e32 v[200:201], v[192:193], v[186:187]
	v_fma_f64 v[190:191], v[190:191], v[186:187], -v[188:189]
	scratch_load_b128 v[186:189], off, off offset:768
	v_add_f64_e32 v[194:195], v[194:195], v[196:197]
	v_fmac_f64_e32 v[198:199], v[6:7], v[170:171]
	v_add_f64_e32 v[192:193], v[204:205], v[202:203]
	v_fma_f64 v[202:203], v[4:5], v[170:171], -v[172:173]
	ds_load_b128 v[4:7], v2 offset:1616
	s_wait_loadcnt_dscnt 0xa01
	v_mul_f64_e32 v[196:197], v[182:183], v[10:11]
	v_mul_f64_e32 v[10:11], v[184:185], v[10:11]
	scratch_load_b128 v[170:173], off, off offset:784
	v_add_f64_e32 v[194:195], v[194:195], v[200:201]
	s_wait_loadcnt_dscnt 0xa00
	v_mul_f64_e32 v[200:201], v[4:5], v[14:15]
	v_add_f64_e32 v[204:205], v[192:193], v[190:191]
	v_mul_f64_e32 v[14:15], v[6:7], v[14:15]
	ds_load_b128 v[190:193], v2 offset:1632
	v_fmac_f64_e32 v[196:197], v[184:185], v[8:9]
	v_fma_f64 v[182:183], v[182:183], v[8:9], -v[10:11]
	scratch_load_b128 v[8:11], off, off offset:800
	v_add_f64_e32 v[194:195], v[194:195], v[198:199]
	v_fmac_f64_e32 v[200:201], v[6:7], v[12:13]
	v_add_f64_e32 v[184:185], v[204:205], v[202:203]
	v_fma_f64 v[202:203], v[4:5], v[12:13], -v[14:15]
	ds_load_b128 v[4:7], v2 offset:1648
	s_wait_loadcnt_dscnt 0xa01
	v_mul_f64_e32 v[198:199], v[190:191], v[144:145]
	v_mul_f64_e32 v[144:145], v[192:193], v[144:145]
	scratch_load_b128 v[12:15], off, off offset:816
	v_add_f64_e32 v[194:195], v[194:195], v[196:197]
	s_wait_loadcnt_dscnt 0xa00
	v_mul_f64_e32 v[196:197], v[4:5], v[148:149]
	v_add_f64_e32 v[204:205], v[184:185], v[182:183]
	v_mul_f64_e32 v[148:149], v[6:7], v[148:149]
	ds_load_b128 v[182:185], v2 offset:1664
	v_fmac_f64_e32 v[198:199], v[192:193], v[142:143]
	v_fma_f64 v[190:191], v[190:191], v[142:143], -v[144:145]
	scratch_load_b128 v[142:145], off, off offset:832
	v_add_f64_e32 v[194:195], v[194:195], v[200:201]
	v_fmac_f64_e32 v[196:197], v[6:7], v[146:147]
	v_add_f64_e32 v[192:193], v[204:205], v[202:203]
	v_fma_f64 v[202:203], v[4:5], v[146:147], -v[148:149]
	ds_load_b128 v[4:7], v2 offset:1680
	s_wait_loadcnt_dscnt 0xa01
	v_mul_f64_e32 v[200:201], v[182:183], v[152:153]
	v_mul_f64_e32 v[152:153], v[184:185], v[152:153]
	scratch_load_b128 v[146:149], off, off offset:848
	v_add_f64_e32 v[194:195], v[194:195], v[198:199]
	s_wait_loadcnt_dscnt 0xa00
	v_mul_f64_e32 v[198:199], v[4:5], v[156:157]
	v_add_f64_e32 v[204:205], v[192:193], v[190:191]
	v_mul_f64_e32 v[156:157], v[6:7], v[156:157]
	ds_load_b128 v[190:193], v2 offset:1696
	v_fmac_f64_e32 v[200:201], v[184:185], v[150:151]
	v_fma_f64 v[182:183], v[182:183], v[150:151], -v[152:153]
	scratch_load_b128 v[150:153], off, off offset:864
	v_add_f64_e32 v[194:195], v[194:195], v[196:197]
	v_fmac_f64_e32 v[198:199], v[6:7], v[154:155]
	v_add_f64_e32 v[184:185], v[204:205], v[202:203]
	v_fma_f64 v[202:203], v[4:5], v[154:155], -v[156:157]
	ds_load_b128 v[4:7], v2 offset:1712
	s_wait_loadcnt_dscnt 0xa01
	v_mul_f64_e32 v[196:197], v[190:191], v[160:161]
	v_mul_f64_e32 v[160:161], v[192:193], v[160:161]
	scratch_load_b128 v[154:157], off, off offset:880
	v_add_f64_e32 v[194:195], v[194:195], v[200:201]
	s_wait_loadcnt_dscnt 0xa00
	v_mul_f64_e32 v[200:201], v[4:5], v[164:165]
	v_add_f64_e32 v[204:205], v[184:185], v[182:183]
	v_mul_f64_e32 v[164:165], v[6:7], v[164:165]
	ds_load_b128 v[182:185], v2 offset:1728
	v_fmac_f64_e32 v[196:197], v[192:193], v[158:159]
	v_fma_f64 v[190:191], v[190:191], v[158:159], -v[160:161]
	scratch_load_b128 v[158:161], off, off offset:896
	v_add_f64_e32 v[194:195], v[194:195], v[198:199]
	v_fmac_f64_e32 v[200:201], v[6:7], v[162:163]
	v_add_f64_e32 v[192:193], v[204:205], v[202:203]
	v_fma_f64 v[202:203], v[4:5], v[162:163], -v[164:165]
	ds_load_b128 v[4:7], v2 offset:1744
	s_wait_loadcnt_dscnt 0xa01
	v_mul_f64_e32 v[198:199], v[182:183], v[168:169]
	v_mul_f64_e32 v[168:169], v[184:185], v[168:169]
	scratch_load_b128 v[162:165], off, off offset:912
	v_add_f64_e32 v[194:195], v[194:195], v[196:197]
	s_wait_loadcnt_dscnt 0xa00
	v_mul_f64_e32 v[196:197], v[4:5], v[176:177]
	v_add_f64_e32 v[204:205], v[192:193], v[190:191]
	v_mul_f64_e32 v[176:177], v[6:7], v[176:177]
	ds_load_b128 v[190:193], v2 offset:1760
	v_fmac_f64_e32 v[198:199], v[184:185], v[166:167]
	v_fma_f64 v[182:183], v[182:183], v[166:167], -v[168:169]
	scratch_load_b128 v[166:169], off, off offset:928
	v_add_f64_e32 v[194:195], v[194:195], v[200:201]
	v_fmac_f64_e32 v[196:197], v[6:7], v[174:175]
	v_add_f64_e32 v[184:185], v[204:205], v[202:203]
	v_fma_f64 v[202:203], v[4:5], v[174:175], -v[176:177]
	ds_load_b128 v[4:7], v2 offset:1776
	s_wait_loadcnt_dscnt 0xa01
	v_mul_f64_e32 v[200:201], v[190:191], v[188:189]
	v_mul_f64_e32 v[188:189], v[192:193], v[188:189]
	scratch_load_b128 v[174:177], off, off offset:944
	v_add_f64_e32 v[194:195], v[194:195], v[198:199]
	s_wait_loadcnt_dscnt 0xa00
	v_mul_f64_e32 v[198:199], v[4:5], v[172:173]
	v_add_f64_e32 v[204:205], v[184:185], v[182:183]
	v_mul_f64_e32 v[172:173], v[6:7], v[172:173]
	ds_load_b128 v[182:185], v2 offset:1792
	v_fmac_f64_e32 v[200:201], v[192:193], v[186:187]
	v_fma_f64 v[190:191], v[190:191], v[186:187], -v[188:189]
	scratch_load_b128 v[186:189], off, off offset:960
	v_add_f64_e32 v[194:195], v[194:195], v[196:197]
	v_fmac_f64_e32 v[198:199], v[6:7], v[170:171]
	v_add_f64_e32 v[192:193], v[204:205], v[202:203]
	v_fma_f64 v[202:203], v[4:5], v[170:171], -v[172:173]
	ds_load_b128 v[4:7], v2 offset:1808
	s_wait_loadcnt_dscnt 0xa01
	v_mul_f64_e32 v[196:197], v[182:183], v[10:11]
	v_mul_f64_e32 v[10:11], v[184:185], v[10:11]
	scratch_load_b128 v[170:173], off, off offset:976
	v_add_f64_e32 v[194:195], v[194:195], v[200:201]
	s_wait_loadcnt_dscnt 0xa00
	v_mul_f64_e32 v[200:201], v[4:5], v[14:15]
	v_add_f64_e32 v[204:205], v[192:193], v[190:191]
	v_mul_f64_e32 v[14:15], v[6:7], v[14:15]
	ds_load_b128 v[190:193], v2 offset:1824
	v_fmac_f64_e32 v[196:197], v[184:185], v[8:9]
	v_fma_f64 v[8:9], v[182:183], v[8:9], -v[10:11]
	s_wait_loadcnt_dscnt 0x900
	v_mul_f64_e32 v[184:185], v[190:191], v[144:145]
	v_mul_f64_e32 v[144:145], v[192:193], v[144:145]
	v_add_f64_e32 v[182:183], v[194:195], v[198:199]
	v_fmac_f64_e32 v[200:201], v[6:7], v[12:13]
	v_add_f64_e32 v[10:11], v[204:205], v[202:203]
	v_fma_f64 v[12:13], v[4:5], v[12:13], -v[14:15]
	v_fmac_f64_e32 v[184:185], v[192:193], v[142:143]
	v_fma_f64 v[142:143], v[190:191], v[142:143], -v[144:145]
	v_add_f64_e32 v[182:183], v[182:183], v[196:197]
	v_add_f64_e32 v[14:15], v[10:11], v[8:9]
	ds_load_b128 v[4:7], v2 offset:1840
	ds_load_b128 v[8:11], v2 offset:1856
	s_wait_loadcnt_dscnt 0x801
	v_mul_f64_e32 v[194:195], v[4:5], v[148:149]
	v_mul_f64_e32 v[148:149], v[6:7], v[148:149]
	s_wait_loadcnt_dscnt 0x700
	v_mul_f64_e32 v[144:145], v[8:9], v[152:153]
	v_mul_f64_e32 v[152:153], v[10:11], v[152:153]
	v_add_f64_e32 v[12:13], v[14:15], v[12:13]
	v_add_f64_e32 v[14:15], v[182:183], v[200:201]
	v_fmac_f64_e32 v[194:195], v[6:7], v[146:147]
	v_fma_f64 v[146:147], v[4:5], v[146:147], -v[148:149]
	v_fmac_f64_e32 v[144:145], v[10:11], v[150:151]
	v_fma_f64 v[8:9], v[8:9], v[150:151], -v[152:153]
	v_add_f64_e32 v[142:143], v[12:13], v[142:143]
	v_add_f64_e32 v[148:149], v[14:15], v[184:185]
	ds_load_b128 v[4:7], v2 offset:1872
	ds_load_b128 v[12:15], v2 offset:1888
	s_wait_loadcnt_dscnt 0x601
	v_mul_f64_e32 v[182:183], v[4:5], v[156:157]
	v_mul_f64_e32 v[156:157], v[6:7], v[156:157]
	v_add_f64_e32 v[10:11], v[142:143], v[146:147]
	v_add_f64_e32 v[142:143], v[148:149], v[194:195]
	s_wait_loadcnt_dscnt 0x500
	v_mul_f64_e32 v[146:147], v[12:13], v[160:161]
	v_mul_f64_e32 v[148:149], v[14:15], v[160:161]
	v_fmac_f64_e32 v[182:183], v[6:7], v[154:155]
	v_fma_f64 v[150:151], v[4:5], v[154:155], -v[156:157]
	v_add_f64_e32 v[152:153], v[10:11], v[8:9]
	v_add_f64_e32 v[142:143], v[142:143], v[144:145]
	ds_load_b128 v[4:7], v2 offset:1904
	ds_load_b128 v[8:11], v2 offset:1920
	v_fmac_f64_e32 v[146:147], v[14:15], v[158:159]
	v_fma_f64 v[12:13], v[12:13], v[158:159], -v[148:149]
	s_wait_loadcnt_dscnt 0x401
	v_mul_f64_e32 v[144:145], v[4:5], v[164:165]
	v_mul_f64_e32 v[154:155], v[6:7], v[164:165]
	s_wait_loadcnt_dscnt 0x300
	v_mul_f64_e32 v[148:149], v[8:9], v[168:169]
	v_add_f64_e32 v[14:15], v[152:153], v[150:151]
	v_add_f64_e32 v[142:143], v[142:143], v[182:183]
	v_mul_f64_e32 v[150:151], v[10:11], v[168:169]
	v_fmac_f64_e32 v[144:145], v[6:7], v[162:163]
	v_fma_f64 v[152:153], v[4:5], v[162:163], -v[154:155]
	v_fmac_f64_e32 v[148:149], v[10:11], v[166:167]
	v_add_f64_e32 v[154:155], v[14:15], v[12:13]
	v_add_f64_e32 v[142:143], v[142:143], v[146:147]
	ds_load_b128 v[4:7], v2 offset:1936
	ds_load_b128 v[12:15], v2 offset:1952
	v_fma_f64 v[8:9], v[8:9], v[166:167], -v[150:151]
	s_wait_loadcnt_dscnt 0x201
	v_mul_f64_e32 v[146:147], v[4:5], v[176:177]
	v_mul_f64_e32 v[156:157], v[6:7], v[176:177]
	s_wait_loadcnt_dscnt 0x100
	v_mul_f64_e32 v[150:151], v[14:15], v[188:189]
	v_add_f64_e32 v[10:11], v[154:155], v[152:153]
	v_add_f64_e32 v[142:143], v[142:143], v[144:145]
	v_mul_f64_e32 v[144:145], v[12:13], v[188:189]
	v_fmac_f64_e32 v[146:147], v[6:7], v[174:175]
	v_fma_f64 v[152:153], v[4:5], v[174:175], -v[156:157]
	ds_load_b128 v[4:7], v2 offset:1968
	v_fma_f64 v[12:13], v[12:13], v[186:187], -v[150:151]
	v_add_f64_e32 v[8:9], v[10:11], v[8:9]
	v_add_f64_e32 v[10:11], v[142:143], v[148:149]
	v_fmac_f64_e32 v[144:145], v[14:15], v[186:187]
	s_wait_loadcnt_dscnt 0x0
	v_mul_f64_e32 v[142:143], v[4:5], v[172:173]
	v_mul_f64_e32 v[148:149], v[6:7], v[172:173]
	v_add_f64_e32 v[8:9], v[8:9], v[152:153]
	v_add_f64_e32 v[10:11], v[10:11], v[146:147]
	s_delay_alu instid0(VALU_DEP_4) | instskip(NEXT) | instid1(VALU_DEP_4)
	v_fmac_f64_e32 v[142:143], v[6:7], v[170:171]
	v_fma_f64 v[4:5], v[4:5], v[170:171], -v[148:149]
	s_delay_alu instid0(VALU_DEP_4) | instskip(NEXT) | instid1(VALU_DEP_4)
	v_add_f64_e32 v[6:7], v[8:9], v[12:13]
	v_add_f64_e32 v[8:9], v[10:11], v[144:145]
	s_delay_alu instid0(VALU_DEP_2) | instskip(NEXT) | instid1(VALU_DEP_2)
	v_add_f64_e32 v[4:5], v[6:7], v[4:5]
	v_add_f64_e32 v[6:7], v[8:9], v[142:143]
	s_delay_alu instid0(VALU_DEP_2) | instskip(NEXT) | instid1(VALU_DEP_2)
	v_add_f64_e64 v[4:5], v[178:179], -v[4:5]
	v_add_f64_e64 v[6:7], v[180:181], -v[6:7]
	scratch_store_b128 off, v[4:7], off offset:192
	s_wait_xcnt 0x0
	v_cmpx_lt_u32_e32 11, v1
	s_cbranch_execz .LBB61_375
; %bb.374:
	scratch_load_b128 v[6:9], off, s56
	v_dual_mov_b32 v3, v2 :: v_dual_mov_b32 v4, v2
	v_mov_b32_e32 v5, v2
	scratch_store_b128 off, v[2:5], off offset:176
	s_wait_loadcnt 0x0
	ds_store_b128 v16, v[6:9]
.LBB61_375:
	s_wait_xcnt 0x0
	s_or_b32 exec_lo, exec_lo, s2
	s_wait_storecnt_dscnt 0x0
	s_barrier_signal -1
	s_barrier_wait -1
	s_clause 0x9
	scratch_load_b128 v[4:7], off, off offset:192
	scratch_load_b128 v[8:11], off, off offset:208
	;; [unrolled: 1-line block ×10, first 2 shown]
	ds_load_b128 v[170:173], v2 offset:1184
	ds_load_b128 v[178:181], v2 offset:1200
	s_clause 0x2
	scratch_load_b128 v[174:177], off, off offset:352
	scratch_load_b128 v[182:185], off, off offset:176
	;; [unrolled: 1-line block ×3, first 2 shown]
	s_mov_b32 s2, exec_lo
	s_wait_loadcnt_dscnt 0xc01
	v_mul_f64_e32 v[190:191], v[172:173], v[6:7]
	v_mul_f64_e32 v[194:195], v[170:171], v[6:7]
	s_wait_loadcnt_dscnt 0xb00
	v_mul_f64_e32 v[196:197], v[178:179], v[10:11]
	v_mul_f64_e32 v[10:11], v[180:181], v[10:11]
	s_delay_alu instid0(VALU_DEP_4) | instskip(NEXT) | instid1(VALU_DEP_4)
	v_fma_f64 v[198:199], v[170:171], v[4:5], -v[190:191]
	v_fmac_f64_e32 v[194:195], v[172:173], v[4:5]
	ds_load_b128 v[4:7], v2 offset:1216
	ds_load_b128 v[170:173], v2 offset:1232
	scratch_load_b128 v[190:193], off, off offset:384
	v_fmac_f64_e32 v[196:197], v[180:181], v[8:9]
	v_fma_f64 v[178:179], v[178:179], v[8:9], -v[10:11]
	scratch_load_b128 v[8:11], off, off offset:400
	s_wait_loadcnt_dscnt 0xc01
	v_mul_f64_e32 v[200:201], v[4:5], v[14:15]
	v_mul_f64_e32 v[14:15], v[6:7], v[14:15]
	v_add_f64_e32 v[180:181], 0, v[198:199]
	v_add_f64_e32 v[194:195], 0, v[194:195]
	s_wait_loadcnt_dscnt 0xb00
	v_mul_f64_e32 v[198:199], v[170:171], v[144:145]
	v_mul_f64_e32 v[144:145], v[172:173], v[144:145]
	v_fmac_f64_e32 v[200:201], v[6:7], v[12:13]
	v_fma_f64 v[202:203], v[4:5], v[12:13], -v[14:15]
	ds_load_b128 v[4:7], v2 offset:1248
	ds_load_b128 v[12:15], v2 offset:1264
	v_add_f64_e32 v[204:205], v[180:181], v[178:179]
	v_add_f64_e32 v[194:195], v[194:195], v[196:197]
	scratch_load_b128 v[178:181], off, off offset:416
	v_fmac_f64_e32 v[198:199], v[172:173], v[142:143]
	v_fma_f64 v[170:171], v[170:171], v[142:143], -v[144:145]
	scratch_load_b128 v[142:145], off, off offset:432
	s_wait_loadcnt_dscnt 0xc01
	v_mul_f64_e32 v[196:197], v[4:5], v[148:149]
	v_mul_f64_e32 v[148:149], v[6:7], v[148:149]
	v_add_f64_e32 v[172:173], v[204:205], v[202:203]
	v_add_f64_e32 v[194:195], v[194:195], v[200:201]
	s_wait_loadcnt_dscnt 0xb00
	v_mul_f64_e32 v[200:201], v[12:13], v[152:153]
	v_mul_f64_e32 v[152:153], v[14:15], v[152:153]
	v_fmac_f64_e32 v[196:197], v[6:7], v[146:147]
	v_fma_f64 v[202:203], v[4:5], v[146:147], -v[148:149]
	ds_load_b128 v[4:7], v2 offset:1280
	ds_load_b128 v[146:149], v2 offset:1296
	v_add_f64_e32 v[204:205], v[172:173], v[170:171]
	v_add_f64_e32 v[194:195], v[194:195], v[198:199]
	scratch_load_b128 v[170:173], off, off offset:448
	s_wait_loadcnt_dscnt 0xb01
	v_mul_f64_e32 v[198:199], v[4:5], v[156:157]
	v_mul_f64_e32 v[156:157], v[6:7], v[156:157]
	v_fmac_f64_e32 v[200:201], v[14:15], v[150:151]
	v_fma_f64 v[150:151], v[12:13], v[150:151], -v[152:153]
	scratch_load_b128 v[12:15], off, off offset:464
	v_add_f64_e32 v[152:153], v[204:205], v[202:203]
	v_add_f64_e32 v[194:195], v[194:195], v[196:197]
	s_wait_loadcnt_dscnt 0xb00
	v_mul_f64_e32 v[196:197], v[146:147], v[160:161]
	v_mul_f64_e32 v[160:161], v[148:149], v[160:161]
	v_fmac_f64_e32 v[198:199], v[6:7], v[154:155]
	v_fma_f64 v[202:203], v[4:5], v[154:155], -v[156:157]
	v_add_f64_e32 v[204:205], v[152:153], v[150:151]
	v_add_f64_e32 v[194:195], v[194:195], v[200:201]
	ds_load_b128 v[4:7], v2 offset:1312
	ds_load_b128 v[150:153], v2 offset:1328
	scratch_load_b128 v[154:157], off, off offset:480
	v_fmac_f64_e32 v[196:197], v[148:149], v[158:159]
	v_fma_f64 v[158:159], v[146:147], v[158:159], -v[160:161]
	scratch_load_b128 v[146:149], off, off offset:496
	s_wait_loadcnt_dscnt 0xc01
	v_mul_f64_e32 v[200:201], v[4:5], v[164:165]
	v_mul_f64_e32 v[164:165], v[6:7], v[164:165]
	v_add_f64_e32 v[160:161], v[204:205], v[202:203]
	v_add_f64_e32 v[194:195], v[194:195], v[198:199]
	s_wait_loadcnt_dscnt 0xb00
	v_mul_f64_e32 v[198:199], v[150:151], v[168:169]
	v_mul_f64_e32 v[168:169], v[152:153], v[168:169]
	v_fmac_f64_e32 v[200:201], v[6:7], v[162:163]
	v_fma_f64 v[202:203], v[4:5], v[162:163], -v[164:165]
	v_add_f64_e32 v[204:205], v[160:161], v[158:159]
	v_add_f64_e32 v[194:195], v[194:195], v[196:197]
	ds_load_b128 v[4:7], v2 offset:1344
	ds_load_b128 v[158:161], v2 offset:1360
	scratch_load_b128 v[162:165], off, off offset:512
	v_fmac_f64_e32 v[198:199], v[152:153], v[166:167]
	v_fma_f64 v[166:167], v[150:151], v[166:167], -v[168:169]
	scratch_load_b128 v[150:153], off, off offset:528
	s_wait_loadcnt_dscnt 0xc01
	v_mul_f64_e32 v[196:197], v[4:5], v[176:177]
	v_mul_f64_e32 v[176:177], v[6:7], v[176:177]
	;; [unrolled: 18-line block ×5, first 2 shown]
	v_add_f64_e32 v[188:189], v[204:205], v[202:203]
	v_add_f64_e32 v[194:195], v[194:195], v[200:201]
	s_wait_loadcnt_dscnt 0xa00
	v_mul_f64_e32 v[200:201], v[166:167], v[14:15]
	v_mul_f64_e32 v[14:15], v[168:169], v[14:15]
	v_fmac_f64_e32 v[196:197], v[6:7], v[170:171]
	v_fma_f64 v[202:203], v[4:5], v[170:171], -v[172:173]
	ds_load_b128 v[4:7], v2 offset:1472
	ds_load_b128 v[170:173], v2 offset:1488
	v_add_f64_e32 v[204:205], v[188:189], v[186:187]
	v_add_f64_e32 v[194:195], v[194:195], v[198:199]
	scratch_load_b128 v[186:189], off, off offset:640
	v_fmac_f64_e32 v[200:201], v[168:169], v[12:13]
	v_fma_f64 v[166:167], v[166:167], v[12:13], -v[14:15]
	scratch_load_b128 v[12:15], off, off offset:656
	s_wait_loadcnt_dscnt 0xb01
	v_mul_f64_e32 v[198:199], v[4:5], v[156:157]
	v_mul_f64_e32 v[156:157], v[6:7], v[156:157]
	v_add_f64_e32 v[168:169], v[204:205], v[202:203]
	v_add_f64_e32 v[194:195], v[194:195], v[196:197]
	s_wait_loadcnt_dscnt 0xa00
	v_mul_f64_e32 v[196:197], v[170:171], v[148:149]
	v_mul_f64_e32 v[148:149], v[172:173], v[148:149]
	v_fmac_f64_e32 v[198:199], v[6:7], v[154:155]
	v_fma_f64 v[202:203], v[4:5], v[154:155], -v[156:157]
	ds_load_b128 v[4:7], v2 offset:1504
	ds_load_b128 v[154:157], v2 offset:1520
	v_add_f64_e32 v[204:205], v[168:169], v[166:167]
	v_add_f64_e32 v[194:195], v[194:195], v[200:201]
	scratch_load_b128 v[166:169], off, off offset:672
	s_wait_loadcnt_dscnt 0xa01
	v_mul_f64_e32 v[200:201], v[4:5], v[164:165]
	v_mul_f64_e32 v[164:165], v[6:7], v[164:165]
	v_fmac_f64_e32 v[196:197], v[172:173], v[146:147]
	v_fma_f64 v[170:171], v[170:171], v[146:147], -v[148:149]
	scratch_load_b128 v[146:149], off, off offset:688
	v_add_f64_e32 v[172:173], v[204:205], v[202:203]
	v_add_f64_e32 v[194:195], v[194:195], v[198:199]
	s_wait_loadcnt_dscnt 0xa00
	v_mul_f64_e32 v[198:199], v[154:155], v[152:153]
	v_mul_f64_e32 v[152:153], v[156:157], v[152:153]
	v_fmac_f64_e32 v[200:201], v[6:7], v[162:163]
	v_fma_f64 v[202:203], v[4:5], v[162:163], -v[164:165]
	ds_load_b128 v[4:7], v2 offset:1536
	ds_load_b128 v[162:165], v2 offset:1552
	v_add_f64_e32 v[204:205], v[172:173], v[170:171]
	v_add_f64_e32 v[194:195], v[194:195], v[196:197]
	scratch_load_b128 v[170:173], off, off offset:704
	s_wait_loadcnt_dscnt 0xa01
	v_mul_f64_e32 v[196:197], v[4:5], v[176:177]
	v_mul_f64_e32 v[176:177], v[6:7], v[176:177]
	v_fmac_f64_e32 v[198:199], v[156:157], v[150:151]
	v_fma_f64 v[154:155], v[154:155], v[150:151], -v[152:153]
	scratch_load_b128 v[150:153], off, off offset:720
	v_add_f64_e32 v[156:157], v[204:205], v[202:203]
	v_add_f64_e32 v[194:195], v[194:195], v[200:201]
	s_wait_loadcnt_dscnt 0xa00
	v_mul_f64_e32 v[200:201], v[162:163], v[160:161]
	v_mul_f64_e32 v[160:161], v[164:165], v[160:161]
	v_fmac_f64_e32 v[196:197], v[6:7], v[174:175]
	v_fma_f64 v[202:203], v[4:5], v[174:175], -v[176:177]
	v_add_f64_e32 v[204:205], v[156:157], v[154:155]
	v_add_f64_e32 v[194:195], v[194:195], v[198:199]
	ds_load_b128 v[4:7], v2 offset:1568
	ds_load_b128 v[154:157], v2 offset:1584
	scratch_load_b128 v[174:177], off, off offset:736
	v_fmac_f64_e32 v[200:201], v[164:165], v[158:159]
	v_fma_f64 v[162:163], v[162:163], v[158:159], -v[160:161]
	scratch_load_b128 v[158:161], off, off offset:752
	s_wait_loadcnt_dscnt 0xb01
	v_mul_f64_e32 v[198:199], v[4:5], v[192:193]
	v_mul_f64_e32 v[192:193], v[6:7], v[192:193]
	v_add_f64_e32 v[164:165], v[204:205], v[202:203]
	v_add_f64_e32 v[194:195], v[194:195], v[196:197]
	s_wait_loadcnt_dscnt 0xa00
	v_mul_f64_e32 v[196:197], v[154:155], v[10:11]
	v_mul_f64_e32 v[10:11], v[156:157], v[10:11]
	v_fmac_f64_e32 v[198:199], v[6:7], v[190:191]
	v_fma_f64 v[202:203], v[4:5], v[190:191], -v[192:193]
	v_add_f64_e32 v[204:205], v[164:165], v[162:163]
	v_add_f64_e32 v[194:195], v[194:195], v[200:201]
	ds_load_b128 v[4:7], v2 offset:1600
	ds_load_b128 v[162:165], v2 offset:1616
	scratch_load_b128 v[190:193], off, off offset:768
	v_fmac_f64_e32 v[196:197], v[156:157], v[8:9]
	v_fma_f64 v[154:155], v[154:155], v[8:9], -v[10:11]
	scratch_load_b128 v[8:11], off, off offset:784
	s_wait_loadcnt_dscnt 0xb01
	v_mul_f64_e32 v[200:201], v[4:5], v[180:181]
	v_mul_f64_e32 v[180:181], v[6:7], v[180:181]
	v_add_f64_e32 v[156:157], v[204:205], v[202:203]
	v_add_f64_e32 v[194:195], v[194:195], v[198:199]
	s_wait_loadcnt_dscnt 0xa00
	v_mul_f64_e32 v[198:199], v[162:163], v[144:145]
	v_mul_f64_e32 v[144:145], v[164:165], v[144:145]
	v_fmac_f64_e32 v[200:201], v[6:7], v[178:179]
	v_fma_f64 v[202:203], v[4:5], v[178:179], -v[180:181]
	v_add_f64_e32 v[204:205], v[156:157], v[154:155]
	v_add_f64_e32 v[194:195], v[194:195], v[196:197]
	ds_load_b128 v[4:7], v2 offset:1632
	ds_load_b128 v[154:157], v2 offset:1648
	scratch_load_b128 v[178:181], off, off offset:800
	v_fmac_f64_e32 v[198:199], v[164:165], v[142:143]
	v_fma_f64 v[162:163], v[162:163], v[142:143], -v[144:145]
	scratch_load_b128 v[142:145], off, off offset:816
	s_wait_loadcnt_dscnt 0xb01
	v_mul_f64_e32 v[196:197], v[4:5], v[188:189]
	v_mul_f64_e32 v[188:189], v[6:7], v[188:189]
	v_add_f64_e32 v[164:165], v[204:205], v[202:203]
	v_add_f64_e32 v[194:195], v[194:195], v[200:201]
	s_wait_loadcnt_dscnt 0xa00
	v_mul_f64_e32 v[200:201], v[154:155], v[14:15]
	v_mul_f64_e32 v[14:15], v[156:157], v[14:15]
	v_fmac_f64_e32 v[196:197], v[6:7], v[186:187]
	v_fma_f64 v[202:203], v[4:5], v[186:187], -v[188:189]
	v_add_f64_e32 v[204:205], v[164:165], v[162:163]
	v_add_f64_e32 v[194:195], v[194:195], v[198:199]
	ds_load_b128 v[4:7], v2 offset:1664
	ds_load_b128 v[162:165], v2 offset:1680
	scratch_load_b128 v[186:189], off, off offset:832
	v_fmac_f64_e32 v[200:201], v[156:157], v[12:13]
	v_fma_f64 v[154:155], v[154:155], v[12:13], -v[14:15]
	scratch_load_b128 v[12:15], off, off offset:848
	s_wait_loadcnt_dscnt 0xb01
	v_mul_f64_e32 v[198:199], v[4:5], v[168:169]
	v_mul_f64_e32 v[168:169], v[6:7], v[168:169]
	v_add_f64_e32 v[156:157], v[204:205], v[202:203]
	v_add_f64_e32 v[194:195], v[194:195], v[196:197]
	s_wait_loadcnt_dscnt 0xa00
	v_mul_f64_e32 v[196:197], v[162:163], v[148:149]
	v_mul_f64_e32 v[148:149], v[164:165], v[148:149]
	v_fmac_f64_e32 v[198:199], v[6:7], v[166:167]
	v_fma_f64 v[202:203], v[4:5], v[166:167], -v[168:169]
	v_add_f64_e32 v[204:205], v[156:157], v[154:155]
	v_add_f64_e32 v[194:195], v[194:195], v[200:201]
	ds_load_b128 v[4:7], v2 offset:1696
	ds_load_b128 v[154:157], v2 offset:1712
	scratch_load_b128 v[166:169], off, off offset:864
	v_fmac_f64_e32 v[196:197], v[164:165], v[146:147]
	v_fma_f64 v[162:163], v[162:163], v[146:147], -v[148:149]
	scratch_load_b128 v[146:149], off, off offset:880
	s_wait_loadcnt_dscnt 0xb01
	v_mul_f64_e32 v[200:201], v[4:5], v[172:173]
	v_mul_f64_e32 v[172:173], v[6:7], v[172:173]
	v_add_f64_e32 v[164:165], v[204:205], v[202:203]
	v_add_f64_e32 v[194:195], v[194:195], v[198:199]
	s_wait_loadcnt_dscnt 0xa00
	v_mul_f64_e32 v[198:199], v[154:155], v[152:153]
	v_mul_f64_e32 v[152:153], v[156:157], v[152:153]
	v_fmac_f64_e32 v[200:201], v[6:7], v[170:171]
	v_fma_f64 v[202:203], v[4:5], v[170:171], -v[172:173]
	v_add_f64_e32 v[204:205], v[164:165], v[162:163]
	v_add_f64_e32 v[194:195], v[194:195], v[196:197]
	ds_load_b128 v[4:7], v2 offset:1728
	ds_load_b128 v[162:165], v2 offset:1744
	scratch_load_b128 v[170:173], off, off offset:896
	v_fmac_f64_e32 v[198:199], v[156:157], v[150:151]
	v_fma_f64 v[154:155], v[154:155], v[150:151], -v[152:153]
	scratch_load_b128 v[150:153], off, off offset:912
	s_wait_loadcnt_dscnt 0xb01
	v_mul_f64_e32 v[196:197], v[4:5], v[176:177]
	v_mul_f64_e32 v[176:177], v[6:7], v[176:177]
	v_add_f64_e32 v[156:157], v[204:205], v[202:203]
	v_add_f64_e32 v[194:195], v[194:195], v[200:201]
	s_wait_loadcnt_dscnt 0xa00
	v_mul_f64_e32 v[200:201], v[162:163], v[160:161]
	v_mul_f64_e32 v[160:161], v[164:165], v[160:161]
	v_fmac_f64_e32 v[196:197], v[6:7], v[174:175]
	v_fma_f64 v[202:203], v[4:5], v[174:175], -v[176:177]
	v_add_f64_e32 v[204:205], v[156:157], v[154:155]
	v_add_f64_e32 v[194:195], v[194:195], v[198:199]
	ds_load_b128 v[4:7], v2 offset:1760
	ds_load_b128 v[154:157], v2 offset:1776
	scratch_load_b128 v[174:177], off, off offset:928
	v_fmac_f64_e32 v[200:201], v[164:165], v[158:159]
	v_fma_f64 v[162:163], v[162:163], v[158:159], -v[160:161]
	scratch_load_b128 v[158:161], off, off offset:944
	s_wait_loadcnt_dscnt 0xb01
	v_mul_f64_e32 v[198:199], v[4:5], v[192:193]
	v_mul_f64_e32 v[192:193], v[6:7], v[192:193]
	v_add_f64_e32 v[164:165], v[204:205], v[202:203]
	v_add_f64_e32 v[194:195], v[194:195], v[196:197]
	s_wait_loadcnt_dscnt 0xa00
	v_mul_f64_e32 v[196:197], v[154:155], v[10:11]
	v_mul_f64_e32 v[10:11], v[156:157], v[10:11]
	v_fmac_f64_e32 v[198:199], v[6:7], v[190:191]
	v_fma_f64 v[202:203], v[4:5], v[190:191], -v[192:193]
	v_add_f64_e32 v[204:205], v[164:165], v[162:163]
	v_add_f64_e32 v[194:195], v[194:195], v[200:201]
	ds_load_b128 v[4:7], v2 offset:1792
	ds_load_b128 v[162:165], v2 offset:1808
	scratch_load_b128 v[190:193], off, off offset:960
	v_fmac_f64_e32 v[196:197], v[156:157], v[8:9]
	v_fma_f64 v[154:155], v[154:155], v[8:9], -v[10:11]
	scratch_load_b128 v[8:11], off, off offset:976
	s_wait_loadcnt_dscnt 0xb01
	v_mul_f64_e32 v[200:201], v[4:5], v[180:181]
	v_mul_f64_e32 v[180:181], v[6:7], v[180:181]
	v_add_f64_e32 v[156:157], v[204:205], v[202:203]
	v_add_f64_e32 v[194:195], v[194:195], v[198:199]
	s_wait_loadcnt_dscnt 0xa00
	v_mul_f64_e32 v[198:199], v[162:163], v[144:145]
	v_mul_f64_e32 v[144:145], v[164:165], v[144:145]
	v_fmac_f64_e32 v[200:201], v[6:7], v[178:179]
	v_fma_f64 v[178:179], v[4:5], v[178:179], -v[180:181]
	v_add_f64_e32 v[180:181], v[156:157], v[154:155]
	v_add_f64_e32 v[194:195], v[194:195], v[196:197]
	ds_load_b128 v[4:7], v2 offset:1824
	ds_load_b128 v[154:157], v2 offset:1840
	v_fmac_f64_e32 v[198:199], v[164:165], v[142:143]
	v_fma_f64 v[142:143], v[162:163], v[142:143], -v[144:145]
	s_wait_loadcnt_dscnt 0x901
	v_mul_f64_e32 v[196:197], v[4:5], v[188:189]
	v_mul_f64_e32 v[188:189], v[6:7], v[188:189]
	s_wait_loadcnt_dscnt 0x800
	v_mul_f64_e32 v[164:165], v[154:155], v[14:15]
	v_mul_f64_e32 v[14:15], v[156:157], v[14:15]
	v_add_f64_e32 v[144:145], v[180:181], v[178:179]
	v_add_f64_e32 v[162:163], v[194:195], v[200:201]
	v_fmac_f64_e32 v[196:197], v[6:7], v[186:187]
	v_fma_f64 v[178:179], v[4:5], v[186:187], -v[188:189]
	v_fmac_f64_e32 v[164:165], v[156:157], v[12:13]
	v_fma_f64 v[12:13], v[154:155], v[12:13], -v[14:15]
	v_add_f64_e32 v[180:181], v[144:145], v[142:143]
	v_add_f64_e32 v[162:163], v[162:163], v[198:199]
	ds_load_b128 v[4:7], v2 offset:1856
	ds_load_b128 v[142:145], v2 offset:1872
	s_wait_loadcnt_dscnt 0x701
	v_mul_f64_e32 v[186:187], v[4:5], v[168:169]
	v_mul_f64_e32 v[168:169], v[6:7], v[168:169]
	s_wait_loadcnt_dscnt 0x600
	v_mul_f64_e32 v[156:157], v[142:143], v[148:149]
	v_mul_f64_e32 v[148:149], v[144:145], v[148:149]
	v_add_f64_e32 v[14:15], v[180:181], v[178:179]
	v_add_f64_e32 v[154:155], v[162:163], v[196:197]
	v_fmac_f64_e32 v[186:187], v[6:7], v[166:167]
	v_fma_f64 v[162:163], v[4:5], v[166:167], -v[168:169]
	v_fmac_f64_e32 v[156:157], v[144:145], v[146:147]
	v_fma_f64 v[142:143], v[142:143], v[146:147], -v[148:149]
	v_add_f64_e32 v[166:167], v[14:15], v[12:13]
	v_add_f64_e32 v[154:155], v[154:155], v[164:165]
	ds_load_b128 v[4:7], v2 offset:1888
	ds_load_b128 v[12:15], v2 offset:1904
	;; [unrolled: 16-line block ×4, first 2 shown]
	s_wait_loadcnt_dscnt 0x101
	v_mul_f64_e32 v[2:3], v[4:5], v[192:193]
	v_mul_f64_e32 v[148:149], v[6:7], v[192:193]
	s_wait_loadcnt_dscnt 0x0
	v_mul_f64_e32 v[152:153], v[12:13], v[10:11]
	v_mul_f64_e32 v[10:11], v[14:15], v[10:11]
	v_add_f64_e32 v[144:145], v[160:161], v[154:155]
	v_add_f64_e32 v[146:147], v[146:147], v[156:157]
	v_fmac_f64_e32 v[2:3], v[6:7], v[190:191]
	v_fma_f64 v[4:5], v[4:5], v[190:191], -v[148:149]
	v_fmac_f64_e32 v[152:153], v[14:15], v[8:9]
	v_fma_f64 v[8:9], v[12:13], v[8:9], -v[10:11]
	v_add_f64_e32 v[6:7], v[144:145], v[142:143]
	v_add_f64_e32 v[142:143], v[146:147], v[150:151]
	s_delay_alu instid0(VALU_DEP_2) | instskip(NEXT) | instid1(VALU_DEP_2)
	v_add_f64_e32 v[4:5], v[6:7], v[4:5]
	v_add_f64_e32 v[2:3], v[142:143], v[2:3]
	s_delay_alu instid0(VALU_DEP_2) | instskip(NEXT) | instid1(VALU_DEP_2)
	v_add_f64_e32 v[4:5], v[4:5], v[8:9]
	v_add_f64_e32 v[6:7], v[2:3], v[152:153]
	s_delay_alu instid0(VALU_DEP_2) | instskip(NEXT) | instid1(VALU_DEP_2)
	v_add_f64_e64 v[2:3], v[182:183], -v[4:5]
	v_add_f64_e64 v[4:5], v[184:185], -v[6:7]
	scratch_store_b128 off, v[2:5], off offset:176
	s_wait_xcnt 0x0
	v_cmpx_lt_u32_e32 10, v1
	s_cbranch_execz .LBB61_377
; %bb.376:
	scratch_load_b128 v[2:5], off, s70
	v_mov_b32_e32 v6, 0
	s_delay_alu instid0(VALU_DEP_1)
	v_dual_mov_b32 v7, v6 :: v_dual_mov_b32 v8, v6
	v_mov_b32_e32 v9, v6
	scratch_store_b128 off, v[6:9], off offset:160
	s_wait_loadcnt 0x0
	ds_store_b128 v16, v[2:5]
.LBB61_377:
	s_wait_xcnt 0x0
	s_or_b32 exec_lo, exec_lo, s2
	s_wait_storecnt_dscnt 0x0
	s_barrier_signal -1
	s_barrier_wait -1
	s_clause 0x9
	scratch_load_b128 v[4:7], off, off offset:176
	scratch_load_b128 v[8:11], off, off offset:192
	;; [unrolled: 1-line block ×10, first 2 shown]
	v_mov_b32_e32 v2, 0
	s_mov_b32 s2, exec_lo
	ds_load_b128 v[170:173], v2 offset:1168
	s_clause 0x2
	scratch_load_b128 v[174:177], off, off offset:336
	scratch_load_b128 v[178:181], off, off offset:160
	;; [unrolled: 1-line block ×3, first 2 shown]
	s_wait_loadcnt_dscnt 0xc00
	v_mul_f64_e32 v[190:191], v[172:173], v[6:7]
	v_mul_f64_e32 v[194:195], v[170:171], v[6:7]
	ds_load_b128 v[182:185], v2 offset:1184
	v_fma_f64 v[198:199], v[170:171], v[4:5], -v[190:191]
	v_fmac_f64_e32 v[194:195], v[172:173], v[4:5]
	ds_load_b128 v[4:7], v2 offset:1200
	s_wait_loadcnt_dscnt 0xb01
	v_mul_f64_e32 v[196:197], v[182:183], v[10:11]
	v_mul_f64_e32 v[10:11], v[184:185], v[10:11]
	scratch_load_b128 v[170:173], off, off offset:368
	ds_load_b128 v[190:193], v2 offset:1216
	s_wait_loadcnt_dscnt 0xb01
	v_mul_f64_e32 v[200:201], v[4:5], v[14:15]
	v_mul_f64_e32 v[14:15], v[6:7], v[14:15]
	v_add_f64_e32 v[194:195], 0, v[194:195]
	v_fmac_f64_e32 v[196:197], v[184:185], v[8:9]
	v_fma_f64 v[182:183], v[182:183], v[8:9], -v[10:11]
	v_add_f64_e32 v[184:185], 0, v[198:199]
	scratch_load_b128 v[8:11], off, off offset:384
	v_fmac_f64_e32 v[200:201], v[6:7], v[12:13]
	v_fma_f64 v[202:203], v[4:5], v[12:13], -v[14:15]
	ds_load_b128 v[4:7], v2 offset:1232
	s_wait_loadcnt_dscnt 0xb01
	v_mul_f64_e32 v[198:199], v[190:191], v[144:145]
	v_mul_f64_e32 v[144:145], v[192:193], v[144:145]
	scratch_load_b128 v[12:15], off, off offset:400
	v_add_f64_e32 v[194:195], v[194:195], v[196:197]
	v_add_f64_e32 v[204:205], v[184:185], v[182:183]
	ds_load_b128 v[182:185], v2 offset:1248
	s_wait_loadcnt_dscnt 0xb01
	v_mul_f64_e32 v[196:197], v[4:5], v[148:149]
	v_mul_f64_e32 v[148:149], v[6:7], v[148:149]
	v_fmac_f64_e32 v[198:199], v[192:193], v[142:143]
	v_fma_f64 v[190:191], v[190:191], v[142:143], -v[144:145]
	scratch_load_b128 v[142:145], off, off offset:416
	v_add_f64_e32 v[194:195], v[194:195], v[200:201]
	v_add_f64_e32 v[192:193], v[204:205], v[202:203]
	v_fmac_f64_e32 v[196:197], v[6:7], v[146:147]
	v_fma_f64 v[202:203], v[4:5], v[146:147], -v[148:149]
	ds_load_b128 v[4:7], v2 offset:1264
	s_wait_loadcnt_dscnt 0xb01
	v_mul_f64_e32 v[200:201], v[182:183], v[152:153]
	v_mul_f64_e32 v[152:153], v[184:185], v[152:153]
	scratch_load_b128 v[146:149], off, off offset:432
	v_add_f64_e32 v[194:195], v[194:195], v[198:199]
	s_wait_loadcnt_dscnt 0xb00
	v_mul_f64_e32 v[198:199], v[4:5], v[156:157]
	v_add_f64_e32 v[204:205], v[192:193], v[190:191]
	v_mul_f64_e32 v[156:157], v[6:7], v[156:157]
	ds_load_b128 v[190:193], v2 offset:1280
	v_fmac_f64_e32 v[200:201], v[184:185], v[150:151]
	v_fma_f64 v[182:183], v[182:183], v[150:151], -v[152:153]
	scratch_load_b128 v[150:153], off, off offset:448
	v_add_f64_e32 v[194:195], v[194:195], v[196:197]
	v_fmac_f64_e32 v[198:199], v[6:7], v[154:155]
	v_add_f64_e32 v[184:185], v[204:205], v[202:203]
	v_fma_f64 v[202:203], v[4:5], v[154:155], -v[156:157]
	ds_load_b128 v[4:7], v2 offset:1296
	s_wait_loadcnt_dscnt 0xb01
	v_mul_f64_e32 v[196:197], v[190:191], v[160:161]
	v_mul_f64_e32 v[160:161], v[192:193], v[160:161]
	scratch_load_b128 v[154:157], off, off offset:464
	v_add_f64_e32 v[194:195], v[194:195], v[200:201]
	s_wait_loadcnt_dscnt 0xb00
	v_mul_f64_e32 v[200:201], v[4:5], v[164:165]
	v_add_f64_e32 v[204:205], v[184:185], v[182:183]
	v_mul_f64_e32 v[164:165], v[6:7], v[164:165]
	ds_load_b128 v[182:185], v2 offset:1312
	v_fmac_f64_e32 v[196:197], v[192:193], v[158:159]
	v_fma_f64 v[190:191], v[190:191], v[158:159], -v[160:161]
	scratch_load_b128 v[158:161], off, off offset:480
	v_add_f64_e32 v[194:195], v[194:195], v[198:199]
	v_fmac_f64_e32 v[200:201], v[6:7], v[162:163]
	v_add_f64_e32 v[192:193], v[204:205], v[202:203]
	v_fma_f64 v[202:203], v[4:5], v[162:163], -v[164:165]
	ds_load_b128 v[4:7], v2 offset:1328
	s_wait_loadcnt_dscnt 0xb01
	v_mul_f64_e32 v[198:199], v[182:183], v[168:169]
	v_mul_f64_e32 v[168:169], v[184:185], v[168:169]
	scratch_load_b128 v[162:165], off, off offset:496
	v_add_f64_e32 v[194:195], v[194:195], v[196:197]
	s_wait_loadcnt_dscnt 0xb00
	v_mul_f64_e32 v[196:197], v[4:5], v[176:177]
	v_add_f64_e32 v[204:205], v[192:193], v[190:191]
	v_mul_f64_e32 v[176:177], v[6:7], v[176:177]
	ds_load_b128 v[190:193], v2 offset:1344
	v_fmac_f64_e32 v[198:199], v[184:185], v[166:167]
	v_fma_f64 v[182:183], v[182:183], v[166:167], -v[168:169]
	scratch_load_b128 v[166:169], off, off offset:512
	v_add_f64_e32 v[194:195], v[194:195], v[200:201]
	v_fmac_f64_e32 v[196:197], v[6:7], v[174:175]
	v_add_f64_e32 v[184:185], v[204:205], v[202:203]
	v_fma_f64 v[202:203], v[4:5], v[174:175], -v[176:177]
	ds_load_b128 v[4:7], v2 offset:1360
	s_wait_loadcnt_dscnt 0xa01
	v_mul_f64_e32 v[200:201], v[190:191], v[188:189]
	v_mul_f64_e32 v[188:189], v[192:193], v[188:189]
	scratch_load_b128 v[174:177], off, off offset:528
	v_add_f64_e32 v[194:195], v[194:195], v[198:199]
	v_add_f64_e32 v[204:205], v[184:185], v[182:183]
	s_wait_loadcnt_dscnt 0xa00
	v_mul_f64_e32 v[198:199], v[4:5], v[172:173]
	v_mul_f64_e32 v[172:173], v[6:7], v[172:173]
	v_fmac_f64_e32 v[200:201], v[192:193], v[186:187]
	v_fma_f64 v[190:191], v[190:191], v[186:187], -v[188:189]
	ds_load_b128 v[182:185], v2 offset:1376
	scratch_load_b128 v[186:189], off, off offset:544
	v_add_f64_e32 v[194:195], v[194:195], v[196:197]
	v_add_f64_e32 v[192:193], v[204:205], v[202:203]
	v_fmac_f64_e32 v[198:199], v[6:7], v[170:171]
	v_fma_f64 v[202:203], v[4:5], v[170:171], -v[172:173]
	ds_load_b128 v[4:7], v2 offset:1392
	s_wait_loadcnt_dscnt 0xa01
	v_mul_f64_e32 v[196:197], v[182:183], v[10:11]
	v_mul_f64_e32 v[10:11], v[184:185], v[10:11]
	scratch_load_b128 v[170:173], off, off offset:560
	v_add_f64_e32 v[194:195], v[194:195], v[200:201]
	s_wait_loadcnt_dscnt 0xa00
	v_mul_f64_e32 v[200:201], v[4:5], v[14:15]
	v_add_f64_e32 v[204:205], v[192:193], v[190:191]
	v_mul_f64_e32 v[14:15], v[6:7], v[14:15]
	ds_load_b128 v[190:193], v2 offset:1408
	v_fmac_f64_e32 v[196:197], v[184:185], v[8:9]
	v_fma_f64 v[182:183], v[182:183], v[8:9], -v[10:11]
	scratch_load_b128 v[8:11], off, off offset:576
	v_add_f64_e32 v[194:195], v[194:195], v[198:199]
	v_fmac_f64_e32 v[200:201], v[6:7], v[12:13]
	v_add_f64_e32 v[184:185], v[204:205], v[202:203]
	v_fma_f64 v[202:203], v[4:5], v[12:13], -v[14:15]
	ds_load_b128 v[4:7], v2 offset:1424
	s_wait_loadcnt_dscnt 0xa01
	v_mul_f64_e32 v[198:199], v[190:191], v[144:145]
	v_mul_f64_e32 v[144:145], v[192:193], v[144:145]
	scratch_load_b128 v[12:15], off, off offset:592
	v_add_f64_e32 v[194:195], v[194:195], v[196:197]
	s_wait_loadcnt_dscnt 0xa00
	v_mul_f64_e32 v[196:197], v[4:5], v[148:149]
	v_add_f64_e32 v[204:205], v[184:185], v[182:183]
	v_mul_f64_e32 v[148:149], v[6:7], v[148:149]
	ds_load_b128 v[182:185], v2 offset:1440
	v_fmac_f64_e32 v[198:199], v[192:193], v[142:143]
	v_fma_f64 v[190:191], v[190:191], v[142:143], -v[144:145]
	scratch_load_b128 v[142:145], off, off offset:608
	v_add_f64_e32 v[194:195], v[194:195], v[200:201]
	v_fmac_f64_e32 v[196:197], v[6:7], v[146:147]
	v_add_f64_e32 v[192:193], v[204:205], v[202:203]
	;; [unrolled: 18-line block ×13, first 2 shown]
	v_fma_f64 v[202:203], v[4:5], v[12:13], -v[14:15]
	ds_load_b128 v[4:7], v2 offset:1808
	s_wait_loadcnt_dscnt 0xa01
	v_mul_f64_e32 v[198:199], v[190:191], v[144:145]
	v_mul_f64_e32 v[144:145], v[192:193], v[144:145]
	scratch_load_b128 v[12:15], off, off offset:976
	v_add_f64_e32 v[194:195], v[194:195], v[196:197]
	s_wait_loadcnt_dscnt 0xa00
	v_mul_f64_e32 v[196:197], v[4:5], v[148:149]
	v_add_f64_e32 v[204:205], v[184:185], v[182:183]
	v_mul_f64_e32 v[148:149], v[6:7], v[148:149]
	ds_load_b128 v[182:185], v2 offset:1824
	v_fmac_f64_e32 v[198:199], v[192:193], v[142:143]
	v_fma_f64 v[142:143], v[190:191], v[142:143], -v[144:145]
	s_wait_loadcnt_dscnt 0x900
	v_mul_f64_e32 v[192:193], v[182:183], v[152:153]
	v_mul_f64_e32 v[152:153], v[184:185], v[152:153]
	v_add_f64_e32 v[190:191], v[194:195], v[200:201]
	v_fmac_f64_e32 v[196:197], v[6:7], v[146:147]
	v_add_f64_e32 v[144:145], v[204:205], v[202:203]
	v_fma_f64 v[146:147], v[4:5], v[146:147], -v[148:149]
	v_fmac_f64_e32 v[192:193], v[184:185], v[150:151]
	v_fma_f64 v[150:151], v[182:183], v[150:151], -v[152:153]
	v_add_f64_e32 v[190:191], v[190:191], v[198:199]
	v_add_f64_e32 v[148:149], v[144:145], v[142:143]
	ds_load_b128 v[4:7], v2 offset:1840
	ds_load_b128 v[142:145], v2 offset:1856
	s_wait_loadcnt_dscnt 0x801
	v_mul_f64_e32 v[194:195], v[4:5], v[156:157]
	v_mul_f64_e32 v[156:157], v[6:7], v[156:157]
	s_wait_loadcnt_dscnt 0x700
	v_mul_f64_e32 v[152:153], v[142:143], v[160:161]
	v_mul_f64_e32 v[160:161], v[144:145], v[160:161]
	v_add_f64_e32 v[146:147], v[148:149], v[146:147]
	v_add_f64_e32 v[148:149], v[190:191], v[196:197]
	v_fmac_f64_e32 v[194:195], v[6:7], v[154:155]
	v_fma_f64 v[154:155], v[4:5], v[154:155], -v[156:157]
	v_fmac_f64_e32 v[152:153], v[144:145], v[158:159]
	v_fma_f64 v[142:143], v[142:143], v[158:159], -v[160:161]
	v_add_f64_e32 v[150:151], v[146:147], v[150:151]
	v_add_f64_e32 v[156:157], v[148:149], v[192:193]
	ds_load_b128 v[4:7], v2 offset:1872
	ds_load_b128 v[146:149], v2 offset:1888
	s_wait_loadcnt_dscnt 0x601
	v_mul_f64_e32 v[182:183], v[4:5], v[164:165]
	v_mul_f64_e32 v[164:165], v[6:7], v[164:165]
	v_add_f64_e32 v[144:145], v[150:151], v[154:155]
	v_add_f64_e32 v[150:151], v[156:157], v[194:195]
	s_wait_loadcnt_dscnt 0x500
	v_mul_f64_e32 v[154:155], v[146:147], v[168:169]
	v_mul_f64_e32 v[156:157], v[148:149], v[168:169]
	v_fmac_f64_e32 v[182:183], v[6:7], v[162:163]
	v_fma_f64 v[158:159], v[4:5], v[162:163], -v[164:165]
	v_add_f64_e32 v[160:161], v[144:145], v[142:143]
	v_add_f64_e32 v[150:151], v[150:151], v[152:153]
	ds_load_b128 v[4:7], v2 offset:1904
	ds_load_b128 v[142:145], v2 offset:1920
	v_fmac_f64_e32 v[154:155], v[148:149], v[166:167]
	v_fma_f64 v[146:147], v[146:147], v[166:167], -v[156:157]
	s_wait_loadcnt_dscnt 0x401
	v_mul_f64_e32 v[152:153], v[4:5], v[176:177]
	v_mul_f64_e32 v[162:163], v[6:7], v[176:177]
	s_wait_loadcnt_dscnt 0x300
	v_mul_f64_e32 v[156:157], v[142:143], v[188:189]
	v_add_f64_e32 v[148:149], v[160:161], v[158:159]
	v_add_f64_e32 v[150:151], v[150:151], v[182:183]
	v_mul_f64_e32 v[158:159], v[144:145], v[188:189]
	v_fmac_f64_e32 v[152:153], v[6:7], v[174:175]
	v_fma_f64 v[160:161], v[4:5], v[174:175], -v[162:163]
	v_fmac_f64_e32 v[156:157], v[144:145], v[186:187]
	v_add_f64_e32 v[162:163], v[148:149], v[146:147]
	v_add_f64_e32 v[150:151], v[150:151], v[154:155]
	ds_load_b128 v[4:7], v2 offset:1936
	ds_load_b128 v[146:149], v2 offset:1952
	v_fma_f64 v[142:143], v[142:143], v[186:187], -v[158:159]
	s_wait_loadcnt_dscnt 0x201
	v_mul_f64_e32 v[154:155], v[4:5], v[172:173]
	v_mul_f64_e32 v[164:165], v[6:7], v[172:173]
	v_add_f64_e32 v[144:145], v[162:163], v[160:161]
	v_add_f64_e32 v[150:151], v[150:151], v[152:153]
	s_wait_loadcnt_dscnt 0x100
	v_mul_f64_e32 v[152:153], v[146:147], v[10:11]
	v_mul_f64_e32 v[10:11], v[148:149], v[10:11]
	v_fmac_f64_e32 v[154:155], v[6:7], v[170:171]
	v_fma_f64 v[158:159], v[4:5], v[170:171], -v[164:165]
	ds_load_b128 v[4:7], v2 offset:1968
	v_add_f64_e32 v[142:143], v[144:145], v[142:143]
	v_add_f64_e32 v[144:145], v[150:151], v[156:157]
	v_fmac_f64_e32 v[152:153], v[148:149], v[8:9]
	v_fma_f64 v[8:9], v[146:147], v[8:9], -v[10:11]
	s_wait_loadcnt_dscnt 0x0
	v_mul_f64_e32 v[150:151], v[4:5], v[14:15]
	v_mul_f64_e32 v[14:15], v[6:7], v[14:15]
	v_add_f64_e32 v[10:11], v[142:143], v[158:159]
	v_add_f64_e32 v[142:143], v[144:145], v[154:155]
	s_delay_alu instid0(VALU_DEP_4) | instskip(NEXT) | instid1(VALU_DEP_4)
	v_fmac_f64_e32 v[150:151], v[6:7], v[12:13]
	v_fma_f64 v[4:5], v[4:5], v[12:13], -v[14:15]
	s_delay_alu instid0(VALU_DEP_4) | instskip(NEXT) | instid1(VALU_DEP_4)
	v_add_f64_e32 v[6:7], v[10:11], v[8:9]
	v_add_f64_e32 v[8:9], v[142:143], v[152:153]
	s_delay_alu instid0(VALU_DEP_2) | instskip(NEXT) | instid1(VALU_DEP_2)
	v_add_f64_e32 v[4:5], v[6:7], v[4:5]
	v_add_f64_e32 v[6:7], v[8:9], v[150:151]
	s_delay_alu instid0(VALU_DEP_2) | instskip(NEXT) | instid1(VALU_DEP_2)
	v_add_f64_e64 v[4:5], v[178:179], -v[4:5]
	v_add_f64_e64 v[6:7], v[180:181], -v[6:7]
	scratch_store_b128 off, v[4:7], off offset:160
	s_wait_xcnt 0x0
	v_cmpx_lt_u32_e32 9, v1
	s_cbranch_execz .LBB61_379
; %bb.378:
	scratch_load_b128 v[6:9], off, s71
	v_dual_mov_b32 v3, v2 :: v_dual_mov_b32 v4, v2
	v_mov_b32_e32 v5, v2
	scratch_store_b128 off, v[2:5], off offset:144
	s_wait_loadcnt 0x0
	ds_store_b128 v16, v[6:9]
.LBB61_379:
	s_wait_xcnt 0x0
	s_or_b32 exec_lo, exec_lo, s2
	s_wait_storecnt_dscnt 0x0
	s_barrier_signal -1
	s_barrier_wait -1
	s_clause 0x9
	scratch_load_b128 v[4:7], off, off offset:160
	scratch_load_b128 v[8:11], off, off offset:176
	;; [unrolled: 1-line block ×10, first 2 shown]
	ds_load_b128 v[170:173], v2 offset:1152
	ds_load_b128 v[178:181], v2 offset:1168
	s_clause 0x2
	scratch_load_b128 v[174:177], off, off offset:320
	scratch_load_b128 v[182:185], off, off offset:144
	;; [unrolled: 1-line block ×3, first 2 shown]
	s_mov_b32 s2, exec_lo
	s_wait_loadcnt_dscnt 0xc01
	v_mul_f64_e32 v[190:191], v[172:173], v[6:7]
	v_mul_f64_e32 v[194:195], v[170:171], v[6:7]
	s_wait_loadcnt_dscnt 0xb00
	v_mul_f64_e32 v[196:197], v[178:179], v[10:11]
	v_mul_f64_e32 v[10:11], v[180:181], v[10:11]
	s_delay_alu instid0(VALU_DEP_4) | instskip(NEXT) | instid1(VALU_DEP_4)
	v_fma_f64 v[198:199], v[170:171], v[4:5], -v[190:191]
	v_fmac_f64_e32 v[194:195], v[172:173], v[4:5]
	ds_load_b128 v[4:7], v2 offset:1184
	ds_load_b128 v[170:173], v2 offset:1200
	scratch_load_b128 v[190:193], off, off offset:352
	v_fmac_f64_e32 v[196:197], v[180:181], v[8:9]
	v_fma_f64 v[178:179], v[178:179], v[8:9], -v[10:11]
	scratch_load_b128 v[8:11], off, off offset:368
	s_wait_loadcnt_dscnt 0xc01
	v_mul_f64_e32 v[200:201], v[4:5], v[14:15]
	v_mul_f64_e32 v[14:15], v[6:7], v[14:15]
	v_add_f64_e32 v[180:181], 0, v[198:199]
	v_add_f64_e32 v[194:195], 0, v[194:195]
	s_wait_loadcnt_dscnt 0xb00
	v_mul_f64_e32 v[198:199], v[170:171], v[144:145]
	v_mul_f64_e32 v[144:145], v[172:173], v[144:145]
	v_fmac_f64_e32 v[200:201], v[6:7], v[12:13]
	v_fma_f64 v[202:203], v[4:5], v[12:13], -v[14:15]
	ds_load_b128 v[4:7], v2 offset:1216
	ds_load_b128 v[12:15], v2 offset:1232
	v_add_f64_e32 v[204:205], v[180:181], v[178:179]
	v_add_f64_e32 v[194:195], v[194:195], v[196:197]
	scratch_load_b128 v[178:181], off, off offset:384
	v_fmac_f64_e32 v[198:199], v[172:173], v[142:143]
	v_fma_f64 v[170:171], v[170:171], v[142:143], -v[144:145]
	scratch_load_b128 v[142:145], off, off offset:400
	s_wait_loadcnt_dscnt 0xc01
	v_mul_f64_e32 v[196:197], v[4:5], v[148:149]
	v_mul_f64_e32 v[148:149], v[6:7], v[148:149]
	v_add_f64_e32 v[172:173], v[204:205], v[202:203]
	v_add_f64_e32 v[194:195], v[194:195], v[200:201]
	s_wait_loadcnt_dscnt 0xb00
	v_mul_f64_e32 v[200:201], v[12:13], v[152:153]
	v_mul_f64_e32 v[152:153], v[14:15], v[152:153]
	v_fmac_f64_e32 v[196:197], v[6:7], v[146:147]
	v_fma_f64 v[202:203], v[4:5], v[146:147], -v[148:149]
	ds_load_b128 v[4:7], v2 offset:1248
	ds_load_b128 v[146:149], v2 offset:1264
	v_add_f64_e32 v[204:205], v[172:173], v[170:171]
	v_add_f64_e32 v[194:195], v[194:195], v[198:199]
	scratch_load_b128 v[170:173], off, off offset:416
	s_wait_loadcnt_dscnt 0xb01
	v_mul_f64_e32 v[198:199], v[4:5], v[156:157]
	v_mul_f64_e32 v[156:157], v[6:7], v[156:157]
	v_fmac_f64_e32 v[200:201], v[14:15], v[150:151]
	v_fma_f64 v[150:151], v[12:13], v[150:151], -v[152:153]
	scratch_load_b128 v[12:15], off, off offset:432
	v_add_f64_e32 v[152:153], v[204:205], v[202:203]
	v_add_f64_e32 v[194:195], v[194:195], v[196:197]
	s_wait_loadcnt_dscnt 0xb00
	v_mul_f64_e32 v[196:197], v[146:147], v[160:161]
	v_mul_f64_e32 v[160:161], v[148:149], v[160:161]
	v_fmac_f64_e32 v[198:199], v[6:7], v[154:155]
	v_fma_f64 v[202:203], v[4:5], v[154:155], -v[156:157]
	v_add_f64_e32 v[204:205], v[152:153], v[150:151]
	v_add_f64_e32 v[194:195], v[194:195], v[200:201]
	ds_load_b128 v[4:7], v2 offset:1280
	ds_load_b128 v[150:153], v2 offset:1296
	scratch_load_b128 v[154:157], off, off offset:448
	v_fmac_f64_e32 v[196:197], v[148:149], v[158:159]
	v_fma_f64 v[158:159], v[146:147], v[158:159], -v[160:161]
	scratch_load_b128 v[146:149], off, off offset:464
	s_wait_loadcnt_dscnt 0xc01
	v_mul_f64_e32 v[200:201], v[4:5], v[164:165]
	v_mul_f64_e32 v[164:165], v[6:7], v[164:165]
	v_add_f64_e32 v[160:161], v[204:205], v[202:203]
	v_add_f64_e32 v[194:195], v[194:195], v[198:199]
	s_wait_loadcnt_dscnt 0xb00
	v_mul_f64_e32 v[198:199], v[150:151], v[168:169]
	v_mul_f64_e32 v[168:169], v[152:153], v[168:169]
	v_fmac_f64_e32 v[200:201], v[6:7], v[162:163]
	v_fma_f64 v[202:203], v[4:5], v[162:163], -v[164:165]
	v_add_f64_e32 v[204:205], v[160:161], v[158:159]
	v_add_f64_e32 v[194:195], v[194:195], v[196:197]
	ds_load_b128 v[4:7], v2 offset:1312
	ds_load_b128 v[158:161], v2 offset:1328
	scratch_load_b128 v[162:165], off, off offset:480
	v_fmac_f64_e32 v[198:199], v[152:153], v[166:167]
	v_fma_f64 v[166:167], v[150:151], v[166:167], -v[168:169]
	scratch_load_b128 v[150:153], off, off offset:496
	s_wait_loadcnt_dscnt 0xc01
	v_mul_f64_e32 v[196:197], v[4:5], v[176:177]
	v_mul_f64_e32 v[176:177], v[6:7], v[176:177]
	;; [unrolled: 18-line block ×5, first 2 shown]
	v_add_f64_e32 v[188:189], v[204:205], v[202:203]
	v_add_f64_e32 v[194:195], v[194:195], v[200:201]
	s_wait_loadcnt_dscnt 0xa00
	v_mul_f64_e32 v[200:201], v[166:167], v[14:15]
	v_mul_f64_e32 v[14:15], v[168:169], v[14:15]
	v_fmac_f64_e32 v[196:197], v[6:7], v[170:171]
	v_fma_f64 v[202:203], v[4:5], v[170:171], -v[172:173]
	ds_load_b128 v[4:7], v2 offset:1440
	ds_load_b128 v[170:173], v2 offset:1456
	v_add_f64_e32 v[204:205], v[188:189], v[186:187]
	v_add_f64_e32 v[194:195], v[194:195], v[198:199]
	scratch_load_b128 v[186:189], off, off offset:608
	v_fmac_f64_e32 v[200:201], v[168:169], v[12:13]
	v_fma_f64 v[166:167], v[166:167], v[12:13], -v[14:15]
	scratch_load_b128 v[12:15], off, off offset:624
	s_wait_loadcnt_dscnt 0xb01
	v_mul_f64_e32 v[198:199], v[4:5], v[156:157]
	v_mul_f64_e32 v[156:157], v[6:7], v[156:157]
	v_add_f64_e32 v[168:169], v[204:205], v[202:203]
	v_add_f64_e32 v[194:195], v[194:195], v[196:197]
	s_wait_loadcnt_dscnt 0xa00
	v_mul_f64_e32 v[196:197], v[170:171], v[148:149]
	v_mul_f64_e32 v[148:149], v[172:173], v[148:149]
	v_fmac_f64_e32 v[198:199], v[6:7], v[154:155]
	v_fma_f64 v[202:203], v[4:5], v[154:155], -v[156:157]
	ds_load_b128 v[4:7], v2 offset:1472
	ds_load_b128 v[154:157], v2 offset:1488
	v_add_f64_e32 v[204:205], v[168:169], v[166:167]
	v_add_f64_e32 v[194:195], v[194:195], v[200:201]
	scratch_load_b128 v[166:169], off, off offset:640
	s_wait_loadcnt_dscnt 0xa01
	v_mul_f64_e32 v[200:201], v[4:5], v[164:165]
	v_mul_f64_e32 v[164:165], v[6:7], v[164:165]
	v_fmac_f64_e32 v[196:197], v[172:173], v[146:147]
	v_fma_f64 v[170:171], v[170:171], v[146:147], -v[148:149]
	scratch_load_b128 v[146:149], off, off offset:656
	v_add_f64_e32 v[172:173], v[204:205], v[202:203]
	v_add_f64_e32 v[194:195], v[194:195], v[198:199]
	s_wait_loadcnt_dscnt 0xa00
	v_mul_f64_e32 v[198:199], v[154:155], v[152:153]
	v_mul_f64_e32 v[152:153], v[156:157], v[152:153]
	v_fmac_f64_e32 v[200:201], v[6:7], v[162:163]
	v_fma_f64 v[202:203], v[4:5], v[162:163], -v[164:165]
	ds_load_b128 v[4:7], v2 offset:1504
	ds_load_b128 v[162:165], v2 offset:1520
	v_add_f64_e32 v[204:205], v[172:173], v[170:171]
	v_add_f64_e32 v[194:195], v[194:195], v[196:197]
	scratch_load_b128 v[170:173], off, off offset:672
	s_wait_loadcnt_dscnt 0xa01
	v_mul_f64_e32 v[196:197], v[4:5], v[176:177]
	v_mul_f64_e32 v[176:177], v[6:7], v[176:177]
	v_fmac_f64_e32 v[198:199], v[156:157], v[150:151]
	v_fma_f64 v[154:155], v[154:155], v[150:151], -v[152:153]
	scratch_load_b128 v[150:153], off, off offset:688
	v_add_f64_e32 v[156:157], v[204:205], v[202:203]
	v_add_f64_e32 v[194:195], v[194:195], v[200:201]
	s_wait_loadcnt_dscnt 0xa00
	v_mul_f64_e32 v[200:201], v[162:163], v[160:161]
	v_mul_f64_e32 v[160:161], v[164:165], v[160:161]
	v_fmac_f64_e32 v[196:197], v[6:7], v[174:175]
	v_fma_f64 v[202:203], v[4:5], v[174:175], -v[176:177]
	v_add_f64_e32 v[204:205], v[156:157], v[154:155]
	v_add_f64_e32 v[194:195], v[194:195], v[198:199]
	ds_load_b128 v[4:7], v2 offset:1536
	ds_load_b128 v[154:157], v2 offset:1552
	scratch_load_b128 v[174:177], off, off offset:704
	v_fmac_f64_e32 v[200:201], v[164:165], v[158:159]
	v_fma_f64 v[162:163], v[162:163], v[158:159], -v[160:161]
	scratch_load_b128 v[158:161], off, off offset:720
	s_wait_loadcnt_dscnt 0xb01
	v_mul_f64_e32 v[198:199], v[4:5], v[192:193]
	v_mul_f64_e32 v[192:193], v[6:7], v[192:193]
	v_add_f64_e32 v[164:165], v[204:205], v[202:203]
	v_add_f64_e32 v[194:195], v[194:195], v[196:197]
	s_wait_loadcnt_dscnt 0xa00
	v_mul_f64_e32 v[196:197], v[154:155], v[10:11]
	v_mul_f64_e32 v[10:11], v[156:157], v[10:11]
	v_fmac_f64_e32 v[198:199], v[6:7], v[190:191]
	v_fma_f64 v[202:203], v[4:5], v[190:191], -v[192:193]
	v_add_f64_e32 v[204:205], v[164:165], v[162:163]
	v_add_f64_e32 v[194:195], v[194:195], v[200:201]
	ds_load_b128 v[4:7], v2 offset:1568
	ds_load_b128 v[162:165], v2 offset:1584
	scratch_load_b128 v[190:193], off, off offset:736
	v_fmac_f64_e32 v[196:197], v[156:157], v[8:9]
	v_fma_f64 v[154:155], v[154:155], v[8:9], -v[10:11]
	scratch_load_b128 v[8:11], off, off offset:752
	s_wait_loadcnt_dscnt 0xb01
	v_mul_f64_e32 v[200:201], v[4:5], v[180:181]
	v_mul_f64_e32 v[180:181], v[6:7], v[180:181]
	;; [unrolled: 18-line block ×9, first 2 shown]
	v_add_f64_e32 v[164:165], v[204:205], v[202:203]
	v_add_f64_e32 v[194:195], v[194:195], v[200:201]
	s_wait_loadcnt_dscnt 0xa00
	v_mul_f64_e32 v[200:201], v[154:155], v[14:15]
	v_mul_f64_e32 v[14:15], v[156:157], v[14:15]
	v_fmac_f64_e32 v[196:197], v[6:7], v[186:187]
	v_fma_f64 v[186:187], v[4:5], v[186:187], -v[188:189]
	v_add_f64_e32 v[188:189], v[164:165], v[162:163]
	v_add_f64_e32 v[194:195], v[194:195], v[198:199]
	ds_load_b128 v[4:7], v2 offset:1824
	ds_load_b128 v[162:165], v2 offset:1840
	v_fmac_f64_e32 v[200:201], v[156:157], v[12:13]
	v_fma_f64 v[12:13], v[154:155], v[12:13], -v[14:15]
	s_wait_loadcnt_dscnt 0x901
	v_mul_f64_e32 v[198:199], v[4:5], v[168:169]
	v_mul_f64_e32 v[168:169], v[6:7], v[168:169]
	s_wait_loadcnt_dscnt 0x800
	v_mul_f64_e32 v[156:157], v[162:163], v[148:149]
	v_mul_f64_e32 v[148:149], v[164:165], v[148:149]
	v_add_f64_e32 v[14:15], v[188:189], v[186:187]
	v_add_f64_e32 v[154:155], v[194:195], v[196:197]
	v_fmac_f64_e32 v[198:199], v[6:7], v[166:167]
	v_fma_f64 v[166:167], v[4:5], v[166:167], -v[168:169]
	v_fmac_f64_e32 v[156:157], v[164:165], v[146:147]
	v_fma_f64 v[146:147], v[162:163], v[146:147], -v[148:149]
	v_add_f64_e32 v[168:169], v[14:15], v[12:13]
	v_add_f64_e32 v[154:155], v[154:155], v[200:201]
	ds_load_b128 v[4:7], v2 offset:1856
	ds_load_b128 v[12:15], v2 offset:1872
	s_wait_loadcnt_dscnt 0x701
	v_mul_f64_e32 v[186:187], v[4:5], v[172:173]
	v_mul_f64_e32 v[172:173], v[6:7], v[172:173]
	s_wait_loadcnt_dscnt 0x600
	v_mul_f64_e32 v[162:163], v[12:13], v[152:153]
	v_mul_f64_e32 v[152:153], v[14:15], v[152:153]
	v_add_f64_e32 v[148:149], v[168:169], v[166:167]
	v_add_f64_e32 v[154:155], v[154:155], v[198:199]
	v_fmac_f64_e32 v[186:187], v[6:7], v[170:171]
	v_fma_f64 v[164:165], v[4:5], v[170:171], -v[172:173]
	v_fmac_f64_e32 v[162:163], v[14:15], v[150:151]
	v_fma_f64 v[12:13], v[12:13], v[150:151], -v[152:153]
	v_add_f64_e32 v[166:167], v[148:149], v[146:147]
	v_add_f64_e32 v[154:155], v[154:155], v[156:157]
	ds_load_b128 v[4:7], v2 offset:1888
	ds_load_b128 v[146:149], v2 offset:1904
	s_wait_loadcnt_dscnt 0x501
	v_mul_f64_e32 v[156:157], v[4:5], v[176:177]
	v_mul_f64_e32 v[168:169], v[6:7], v[176:177]
	s_wait_loadcnt_dscnt 0x400
	v_mul_f64_e32 v[152:153], v[146:147], v[160:161]
	v_add_f64_e32 v[14:15], v[166:167], v[164:165]
	v_add_f64_e32 v[150:151], v[154:155], v[186:187]
	v_mul_f64_e32 v[154:155], v[148:149], v[160:161]
	v_fmac_f64_e32 v[156:157], v[6:7], v[174:175]
	v_fma_f64 v[160:161], v[4:5], v[174:175], -v[168:169]
	v_fmac_f64_e32 v[152:153], v[148:149], v[158:159]
	v_add_f64_e32 v[164:165], v[14:15], v[12:13]
	v_add_f64_e32 v[150:151], v[150:151], v[162:163]
	ds_load_b128 v[4:7], v2 offset:1920
	ds_load_b128 v[12:15], v2 offset:1936
	v_fma_f64 v[146:147], v[146:147], v[158:159], -v[154:155]
	s_wait_loadcnt_dscnt 0x301
	v_mul_f64_e32 v[162:163], v[4:5], v[192:193]
	v_mul_f64_e32 v[166:167], v[6:7], v[192:193]
	s_wait_loadcnt_dscnt 0x200
	v_mul_f64_e32 v[154:155], v[12:13], v[10:11]
	v_mul_f64_e32 v[10:11], v[14:15], v[10:11]
	v_add_f64_e32 v[148:149], v[164:165], v[160:161]
	v_add_f64_e32 v[150:151], v[150:151], v[156:157]
	v_fmac_f64_e32 v[162:163], v[6:7], v[190:191]
	v_fma_f64 v[156:157], v[4:5], v[190:191], -v[166:167]
	v_fmac_f64_e32 v[154:155], v[14:15], v[8:9]
	v_fma_f64 v[8:9], v[12:13], v[8:9], -v[10:11]
	v_add_f64_e32 v[158:159], v[148:149], v[146:147]
	v_add_f64_e32 v[150:151], v[150:151], v[152:153]
	ds_load_b128 v[4:7], v2 offset:1952
	ds_load_b128 v[146:149], v2 offset:1968
	s_wait_loadcnt_dscnt 0x101
	v_mul_f64_e32 v[2:3], v[4:5], v[180:181]
	v_mul_f64_e32 v[152:153], v[6:7], v[180:181]
	s_wait_loadcnt_dscnt 0x0
	v_mul_f64_e32 v[14:15], v[146:147], v[144:145]
	v_mul_f64_e32 v[144:145], v[148:149], v[144:145]
	v_add_f64_e32 v[10:11], v[158:159], v[156:157]
	v_add_f64_e32 v[12:13], v[150:151], v[162:163]
	v_fmac_f64_e32 v[2:3], v[6:7], v[178:179]
	v_fma_f64 v[4:5], v[4:5], v[178:179], -v[152:153]
	v_fmac_f64_e32 v[14:15], v[148:149], v[142:143]
	v_add_f64_e32 v[6:7], v[10:11], v[8:9]
	v_add_f64_e32 v[8:9], v[12:13], v[154:155]
	v_fma_f64 v[10:11], v[146:147], v[142:143], -v[144:145]
	s_delay_alu instid0(VALU_DEP_3) | instskip(NEXT) | instid1(VALU_DEP_3)
	v_add_f64_e32 v[4:5], v[6:7], v[4:5]
	v_add_f64_e32 v[2:3], v[8:9], v[2:3]
	s_delay_alu instid0(VALU_DEP_2) | instskip(NEXT) | instid1(VALU_DEP_2)
	v_add_f64_e32 v[4:5], v[4:5], v[10:11]
	v_add_f64_e32 v[6:7], v[2:3], v[14:15]
	s_delay_alu instid0(VALU_DEP_2) | instskip(NEXT) | instid1(VALU_DEP_2)
	v_add_f64_e64 v[2:3], v[182:183], -v[4:5]
	v_add_f64_e64 v[4:5], v[184:185], -v[6:7]
	scratch_store_b128 off, v[2:5], off offset:144
	s_wait_xcnt 0x0
	v_cmpx_lt_u32_e32 8, v1
	s_cbranch_execz .LBB61_381
; %bb.380:
	scratch_load_b128 v[2:5], off, s72
	v_mov_b32_e32 v6, 0
	s_delay_alu instid0(VALU_DEP_1)
	v_dual_mov_b32 v7, v6 :: v_dual_mov_b32 v8, v6
	v_mov_b32_e32 v9, v6
	scratch_store_b128 off, v[6:9], off offset:128
	s_wait_loadcnt 0x0
	ds_store_b128 v16, v[2:5]
.LBB61_381:
	s_wait_xcnt 0x0
	s_or_b32 exec_lo, exec_lo, s2
	s_wait_storecnt_dscnt 0x0
	s_barrier_signal -1
	s_barrier_wait -1
	s_clause 0x9
	scratch_load_b128 v[4:7], off, off offset:144
	scratch_load_b128 v[8:11], off, off offset:160
	;; [unrolled: 1-line block ×10, first 2 shown]
	v_mov_b32_e32 v2, 0
	s_mov_b32 s2, exec_lo
	ds_load_b128 v[170:173], v2 offset:1136
	s_clause 0x2
	scratch_load_b128 v[174:177], off, off offset:304
	scratch_load_b128 v[178:181], off, off offset:128
	;; [unrolled: 1-line block ×3, first 2 shown]
	s_wait_loadcnt_dscnt 0xc00
	v_mul_f64_e32 v[190:191], v[172:173], v[6:7]
	v_mul_f64_e32 v[194:195], v[170:171], v[6:7]
	ds_load_b128 v[182:185], v2 offset:1152
	v_fma_f64 v[198:199], v[170:171], v[4:5], -v[190:191]
	v_fmac_f64_e32 v[194:195], v[172:173], v[4:5]
	ds_load_b128 v[4:7], v2 offset:1168
	s_wait_loadcnt_dscnt 0xb01
	v_mul_f64_e32 v[196:197], v[182:183], v[10:11]
	v_mul_f64_e32 v[10:11], v[184:185], v[10:11]
	scratch_load_b128 v[170:173], off, off offset:336
	ds_load_b128 v[190:193], v2 offset:1184
	s_wait_loadcnt_dscnt 0xb01
	v_mul_f64_e32 v[200:201], v[4:5], v[14:15]
	v_mul_f64_e32 v[14:15], v[6:7], v[14:15]
	v_add_f64_e32 v[194:195], 0, v[194:195]
	v_fmac_f64_e32 v[196:197], v[184:185], v[8:9]
	v_fma_f64 v[182:183], v[182:183], v[8:9], -v[10:11]
	v_add_f64_e32 v[184:185], 0, v[198:199]
	scratch_load_b128 v[8:11], off, off offset:352
	v_fmac_f64_e32 v[200:201], v[6:7], v[12:13]
	v_fma_f64 v[202:203], v[4:5], v[12:13], -v[14:15]
	ds_load_b128 v[4:7], v2 offset:1200
	s_wait_loadcnt_dscnt 0xb01
	v_mul_f64_e32 v[198:199], v[190:191], v[144:145]
	v_mul_f64_e32 v[144:145], v[192:193], v[144:145]
	scratch_load_b128 v[12:15], off, off offset:368
	v_add_f64_e32 v[194:195], v[194:195], v[196:197]
	v_add_f64_e32 v[204:205], v[184:185], v[182:183]
	ds_load_b128 v[182:185], v2 offset:1216
	s_wait_loadcnt_dscnt 0xb01
	v_mul_f64_e32 v[196:197], v[4:5], v[148:149]
	v_mul_f64_e32 v[148:149], v[6:7], v[148:149]
	v_fmac_f64_e32 v[198:199], v[192:193], v[142:143]
	v_fma_f64 v[190:191], v[190:191], v[142:143], -v[144:145]
	scratch_load_b128 v[142:145], off, off offset:384
	v_add_f64_e32 v[194:195], v[194:195], v[200:201]
	v_add_f64_e32 v[192:193], v[204:205], v[202:203]
	v_fmac_f64_e32 v[196:197], v[6:7], v[146:147]
	v_fma_f64 v[202:203], v[4:5], v[146:147], -v[148:149]
	ds_load_b128 v[4:7], v2 offset:1232
	s_wait_loadcnt_dscnt 0xb01
	v_mul_f64_e32 v[200:201], v[182:183], v[152:153]
	v_mul_f64_e32 v[152:153], v[184:185], v[152:153]
	scratch_load_b128 v[146:149], off, off offset:400
	v_add_f64_e32 v[194:195], v[194:195], v[198:199]
	s_wait_loadcnt_dscnt 0xb00
	v_mul_f64_e32 v[198:199], v[4:5], v[156:157]
	v_add_f64_e32 v[204:205], v[192:193], v[190:191]
	v_mul_f64_e32 v[156:157], v[6:7], v[156:157]
	ds_load_b128 v[190:193], v2 offset:1248
	v_fmac_f64_e32 v[200:201], v[184:185], v[150:151]
	v_fma_f64 v[182:183], v[182:183], v[150:151], -v[152:153]
	scratch_load_b128 v[150:153], off, off offset:416
	v_add_f64_e32 v[194:195], v[194:195], v[196:197]
	v_fmac_f64_e32 v[198:199], v[6:7], v[154:155]
	v_add_f64_e32 v[184:185], v[204:205], v[202:203]
	v_fma_f64 v[202:203], v[4:5], v[154:155], -v[156:157]
	ds_load_b128 v[4:7], v2 offset:1264
	s_wait_loadcnt_dscnt 0xb01
	v_mul_f64_e32 v[196:197], v[190:191], v[160:161]
	v_mul_f64_e32 v[160:161], v[192:193], v[160:161]
	scratch_load_b128 v[154:157], off, off offset:432
	v_add_f64_e32 v[194:195], v[194:195], v[200:201]
	s_wait_loadcnt_dscnt 0xb00
	v_mul_f64_e32 v[200:201], v[4:5], v[164:165]
	v_add_f64_e32 v[204:205], v[184:185], v[182:183]
	v_mul_f64_e32 v[164:165], v[6:7], v[164:165]
	ds_load_b128 v[182:185], v2 offset:1280
	v_fmac_f64_e32 v[196:197], v[192:193], v[158:159]
	v_fma_f64 v[190:191], v[190:191], v[158:159], -v[160:161]
	scratch_load_b128 v[158:161], off, off offset:448
	v_add_f64_e32 v[194:195], v[194:195], v[198:199]
	v_fmac_f64_e32 v[200:201], v[6:7], v[162:163]
	v_add_f64_e32 v[192:193], v[204:205], v[202:203]
	;; [unrolled: 18-line block ×3, first 2 shown]
	v_fma_f64 v[202:203], v[4:5], v[174:175], -v[176:177]
	ds_load_b128 v[4:7], v2 offset:1328
	s_wait_loadcnt_dscnt 0xa01
	v_mul_f64_e32 v[200:201], v[190:191], v[188:189]
	v_mul_f64_e32 v[188:189], v[192:193], v[188:189]
	scratch_load_b128 v[174:177], off, off offset:496
	v_add_f64_e32 v[194:195], v[194:195], v[198:199]
	v_add_f64_e32 v[204:205], v[184:185], v[182:183]
	s_wait_loadcnt_dscnt 0xa00
	v_mul_f64_e32 v[198:199], v[4:5], v[172:173]
	v_mul_f64_e32 v[172:173], v[6:7], v[172:173]
	v_fmac_f64_e32 v[200:201], v[192:193], v[186:187]
	v_fma_f64 v[190:191], v[190:191], v[186:187], -v[188:189]
	ds_load_b128 v[182:185], v2 offset:1344
	scratch_load_b128 v[186:189], off, off offset:512
	v_add_f64_e32 v[194:195], v[194:195], v[196:197]
	v_add_f64_e32 v[192:193], v[204:205], v[202:203]
	v_fmac_f64_e32 v[198:199], v[6:7], v[170:171]
	v_fma_f64 v[202:203], v[4:5], v[170:171], -v[172:173]
	ds_load_b128 v[4:7], v2 offset:1360
	s_wait_loadcnt_dscnt 0xa01
	v_mul_f64_e32 v[196:197], v[182:183], v[10:11]
	v_mul_f64_e32 v[10:11], v[184:185], v[10:11]
	scratch_load_b128 v[170:173], off, off offset:528
	v_add_f64_e32 v[194:195], v[194:195], v[200:201]
	s_wait_loadcnt_dscnt 0xa00
	v_mul_f64_e32 v[200:201], v[4:5], v[14:15]
	v_add_f64_e32 v[204:205], v[192:193], v[190:191]
	v_mul_f64_e32 v[14:15], v[6:7], v[14:15]
	ds_load_b128 v[190:193], v2 offset:1376
	v_fmac_f64_e32 v[196:197], v[184:185], v[8:9]
	v_fma_f64 v[182:183], v[182:183], v[8:9], -v[10:11]
	scratch_load_b128 v[8:11], off, off offset:544
	v_add_f64_e32 v[194:195], v[194:195], v[198:199]
	v_fmac_f64_e32 v[200:201], v[6:7], v[12:13]
	v_add_f64_e32 v[184:185], v[204:205], v[202:203]
	v_fma_f64 v[202:203], v[4:5], v[12:13], -v[14:15]
	ds_load_b128 v[4:7], v2 offset:1392
	s_wait_loadcnt_dscnt 0xa01
	v_mul_f64_e32 v[198:199], v[190:191], v[144:145]
	v_mul_f64_e32 v[144:145], v[192:193], v[144:145]
	scratch_load_b128 v[12:15], off, off offset:560
	v_add_f64_e32 v[194:195], v[194:195], v[196:197]
	s_wait_loadcnt_dscnt 0xa00
	v_mul_f64_e32 v[196:197], v[4:5], v[148:149]
	v_add_f64_e32 v[204:205], v[184:185], v[182:183]
	v_mul_f64_e32 v[148:149], v[6:7], v[148:149]
	ds_load_b128 v[182:185], v2 offset:1408
	v_fmac_f64_e32 v[198:199], v[192:193], v[142:143]
	v_fma_f64 v[190:191], v[190:191], v[142:143], -v[144:145]
	scratch_load_b128 v[142:145], off, off offset:576
	v_add_f64_e32 v[194:195], v[194:195], v[200:201]
	v_fmac_f64_e32 v[196:197], v[6:7], v[146:147]
	v_add_f64_e32 v[192:193], v[204:205], v[202:203]
	v_fma_f64 v[202:203], v[4:5], v[146:147], -v[148:149]
	ds_load_b128 v[4:7], v2 offset:1424
	s_wait_loadcnt_dscnt 0xa01
	v_mul_f64_e32 v[200:201], v[182:183], v[152:153]
	v_mul_f64_e32 v[152:153], v[184:185], v[152:153]
	scratch_load_b128 v[146:149], off, off offset:592
	v_add_f64_e32 v[194:195], v[194:195], v[198:199]
	s_wait_loadcnt_dscnt 0xa00
	v_mul_f64_e32 v[198:199], v[4:5], v[156:157]
	v_add_f64_e32 v[204:205], v[192:193], v[190:191]
	v_mul_f64_e32 v[156:157], v[6:7], v[156:157]
	ds_load_b128 v[190:193], v2 offset:1440
	v_fmac_f64_e32 v[200:201], v[184:185], v[150:151]
	v_fma_f64 v[182:183], v[182:183], v[150:151], -v[152:153]
	scratch_load_b128 v[150:153], off, off offset:608
	v_add_f64_e32 v[194:195], v[194:195], v[196:197]
	v_fmac_f64_e32 v[198:199], v[6:7], v[154:155]
	v_add_f64_e32 v[184:185], v[204:205], v[202:203]
	v_fma_f64 v[202:203], v[4:5], v[154:155], -v[156:157]
	ds_load_b128 v[4:7], v2 offset:1456
	s_wait_loadcnt_dscnt 0xa01
	v_mul_f64_e32 v[196:197], v[190:191], v[160:161]
	v_mul_f64_e32 v[160:161], v[192:193], v[160:161]
	scratch_load_b128 v[154:157], off, off offset:624
	v_add_f64_e32 v[194:195], v[194:195], v[200:201]
	s_wait_loadcnt_dscnt 0xa00
	v_mul_f64_e32 v[200:201], v[4:5], v[164:165]
	v_add_f64_e32 v[204:205], v[184:185], v[182:183]
	v_mul_f64_e32 v[164:165], v[6:7], v[164:165]
	ds_load_b128 v[182:185], v2 offset:1472
	v_fmac_f64_e32 v[196:197], v[192:193], v[158:159]
	v_fma_f64 v[190:191], v[190:191], v[158:159], -v[160:161]
	scratch_load_b128 v[158:161], off, off offset:640
	v_add_f64_e32 v[194:195], v[194:195], v[198:199]
	v_fmac_f64_e32 v[200:201], v[6:7], v[162:163]
	v_add_f64_e32 v[192:193], v[204:205], v[202:203]
	v_fma_f64 v[202:203], v[4:5], v[162:163], -v[164:165]
	ds_load_b128 v[4:7], v2 offset:1488
	s_wait_loadcnt_dscnt 0xa01
	v_mul_f64_e32 v[198:199], v[182:183], v[168:169]
	v_mul_f64_e32 v[168:169], v[184:185], v[168:169]
	scratch_load_b128 v[162:165], off, off offset:656
	v_add_f64_e32 v[194:195], v[194:195], v[196:197]
	s_wait_loadcnt_dscnt 0xa00
	v_mul_f64_e32 v[196:197], v[4:5], v[176:177]
	v_add_f64_e32 v[204:205], v[192:193], v[190:191]
	v_mul_f64_e32 v[176:177], v[6:7], v[176:177]
	ds_load_b128 v[190:193], v2 offset:1504
	v_fmac_f64_e32 v[198:199], v[184:185], v[166:167]
	v_fma_f64 v[182:183], v[182:183], v[166:167], -v[168:169]
	scratch_load_b128 v[166:169], off, off offset:672
	v_add_f64_e32 v[194:195], v[194:195], v[200:201]
	v_fmac_f64_e32 v[196:197], v[6:7], v[174:175]
	v_add_f64_e32 v[184:185], v[204:205], v[202:203]
	v_fma_f64 v[202:203], v[4:5], v[174:175], -v[176:177]
	ds_load_b128 v[4:7], v2 offset:1520
	s_wait_loadcnt_dscnt 0xa01
	v_mul_f64_e32 v[200:201], v[190:191], v[188:189]
	v_mul_f64_e32 v[188:189], v[192:193], v[188:189]
	scratch_load_b128 v[174:177], off, off offset:688
	v_add_f64_e32 v[194:195], v[194:195], v[198:199]
	s_wait_loadcnt_dscnt 0xa00
	v_mul_f64_e32 v[198:199], v[4:5], v[172:173]
	v_add_f64_e32 v[204:205], v[184:185], v[182:183]
	v_mul_f64_e32 v[172:173], v[6:7], v[172:173]
	ds_load_b128 v[182:185], v2 offset:1536
	v_fmac_f64_e32 v[200:201], v[192:193], v[186:187]
	v_fma_f64 v[190:191], v[190:191], v[186:187], -v[188:189]
	scratch_load_b128 v[186:189], off, off offset:704
	v_add_f64_e32 v[194:195], v[194:195], v[196:197]
	v_fmac_f64_e32 v[198:199], v[6:7], v[170:171]
	v_add_f64_e32 v[192:193], v[204:205], v[202:203]
	v_fma_f64 v[202:203], v[4:5], v[170:171], -v[172:173]
	ds_load_b128 v[4:7], v2 offset:1552
	s_wait_loadcnt_dscnt 0xa01
	v_mul_f64_e32 v[196:197], v[182:183], v[10:11]
	v_mul_f64_e32 v[10:11], v[184:185], v[10:11]
	scratch_load_b128 v[170:173], off, off offset:720
	v_add_f64_e32 v[194:195], v[194:195], v[200:201]
	s_wait_loadcnt_dscnt 0xa00
	v_mul_f64_e32 v[200:201], v[4:5], v[14:15]
	v_add_f64_e32 v[204:205], v[192:193], v[190:191]
	v_mul_f64_e32 v[14:15], v[6:7], v[14:15]
	ds_load_b128 v[190:193], v2 offset:1568
	v_fmac_f64_e32 v[196:197], v[184:185], v[8:9]
	v_fma_f64 v[182:183], v[182:183], v[8:9], -v[10:11]
	scratch_load_b128 v[8:11], off, off offset:736
	v_add_f64_e32 v[194:195], v[194:195], v[198:199]
	v_fmac_f64_e32 v[200:201], v[6:7], v[12:13]
	v_add_f64_e32 v[184:185], v[204:205], v[202:203]
	v_fma_f64 v[202:203], v[4:5], v[12:13], -v[14:15]
	ds_load_b128 v[4:7], v2 offset:1584
	s_wait_loadcnt_dscnt 0xa01
	v_mul_f64_e32 v[198:199], v[190:191], v[144:145]
	v_mul_f64_e32 v[144:145], v[192:193], v[144:145]
	scratch_load_b128 v[12:15], off, off offset:752
	v_add_f64_e32 v[194:195], v[194:195], v[196:197]
	s_wait_loadcnt_dscnt 0xa00
	v_mul_f64_e32 v[196:197], v[4:5], v[148:149]
	v_add_f64_e32 v[204:205], v[184:185], v[182:183]
	v_mul_f64_e32 v[148:149], v[6:7], v[148:149]
	ds_load_b128 v[182:185], v2 offset:1600
	v_fmac_f64_e32 v[198:199], v[192:193], v[142:143]
	v_fma_f64 v[190:191], v[190:191], v[142:143], -v[144:145]
	scratch_load_b128 v[142:145], off, off offset:768
	v_add_f64_e32 v[194:195], v[194:195], v[200:201]
	v_fmac_f64_e32 v[196:197], v[6:7], v[146:147]
	v_add_f64_e32 v[192:193], v[204:205], v[202:203]
	v_fma_f64 v[202:203], v[4:5], v[146:147], -v[148:149]
	ds_load_b128 v[4:7], v2 offset:1616
	s_wait_loadcnt_dscnt 0xa01
	v_mul_f64_e32 v[200:201], v[182:183], v[152:153]
	v_mul_f64_e32 v[152:153], v[184:185], v[152:153]
	scratch_load_b128 v[146:149], off, off offset:784
	v_add_f64_e32 v[194:195], v[194:195], v[198:199]
	s_wait_loadcnt_dscnt 0xa00
	v_mul_f64_e32 v[198:199], v[4:5], v[156:157]
	v_add_f64_e32 v[204:205], v[192:193], v[190:191]
	v_mul_f64_e32 v[156:157], v[6:7], v[156:157]
	ds_load_b128 v[190:193], v2 offset:1632
	v_fmac_f64_e32 v[200:201], v[184:185], v[150:151]
	v_fma_f64 v[182:183], v[182:183], v[150:151], -v[152:153]
	scratch_load_b128 v[150:153], off, off offset:800
	v_add_f64_e32 v[194:195], v[194:195], v[196:197]
	v_fmac_f64_e32 v[198:199], v[6:7], v[154:155]
	v_add_f64_e32 v[184:185], v[204:205], v[202:203]
	v_fma_f64 v[202:203], v[4:5], v[154:155], -v[156:157]
	ds_load_b128 v[4:7], v2 offset:1648
	s_wait_loadcnt_dscnt 0xa01
	v_mul_f64_e32 v[196:197], v[190:191], v[160:161]
	v_mul_f64_e32 v[160:161], v[192:193], v[160:161]
	scratch_load_b128 v[154:157], off, off offset:816
	v_add_f64_e32 v[194:195], v[194:195], v[200:201]
	s_wait_loadcnt_dscnt 0xa00
	v_mul_f64_e32 v[200:201], v[4:5], v[164:165]
	v_add_f64_e32 v[204:205], v[184:185], v[182:183]
	v_mul_f64_e32 v[164:165], v[6:7], v[164:165]
	ds_load_b128 v[182:185], v2 offset:1664
	v_fmac_f64_e32 v[196:197], v[192:193], v[158:159]
	v_fma_f64 v[190:191], v[190:191], v[158:159], -v[160:161]
	scratch_load_b128 v[158:161], off, off offset:832
	v_add_f64_e32 v[194:195], v[194:195], v[198:199]
	v_fmac_f64_e32 v[200:201], v[6:7], v[162:163]
	v_add_f64_e32 v[192:193], v[204:205], v[202:203]
	v_fma_f64 v[202:203], v[4:5], v[162:163], -v[164:165]
	ds_load_b128 v[4:7], v2 offset:1680
	s_wait_loadcnt_dscnt 0xa01
	v_mul_f64_e32 v[198:199], v[182:183], v[168:169]
	v_mul_f64_e32 v[168:169], v[184:185], v[168:169]
	scratch_load_b128 v[162:165], off, off offset:848
	v_add_f64_e32 v[194:195], v[194:195], v[196:197]
	s_wait_loadcnt_dscnt 0xa00
	v_mul_f64_e32 v[196:197], v[4:5], v[176:177]
	v_add_f64_e32 v[204:205], v[192:193], v[190:191]
	v_mul_f64_e32 v[176:177], v[6:7], v[176:177]
	ds_load_b128 v[190:193], v2 offset:1696
	v_fmac_f64_e32 v[198:199], v[184:185], v[166:167]
	v_fma_f64 v[182:183], v[182:183], v[166:167], -v[168:169]
	scratch_load_b128 v[166:169], off, off offset:864
	v_add_f64_e32 v[194:195], v[194:195], v[200:201]
	v_fmac_f64_e32 v[196:197], v[6:7], v[174:175]
	v_add_f64_e32 v[184:185], v[204:205], v[202:203]
	v_fma_f64 v[202:203], v[4:5], v[174:175], -v[176:177]
	ds_load_b128 v[4:7], v2 offset:1712
	s_wait_loadcnt_dscnt 0xa01
	v_mul_f64_e32 v[200:201], v[190:191], v[188:189]
	v_mul_f64_e32 v[188:189], v[192:193], v[188:189]
	scratch_load_b128 v[174:177], off, off offset:880
	v_add_f64_e32 v[194:195], v[194:195], v[198:199]
	s_wait_loadcnt_dscnt 0xa00
	v_mul_f64_e32 v[198:199], v[4:5], v[172:173]
	v_add_f64_e32 v[204:205], v[184:185], v[182:183]
	v_mul_f64_e32 v[172:173], v[6:7], v[172:173]
	ds_load_b128 v[182:185], v2 offset:1728
	v_fmac_f64_e32 v[200:201], v[192:193], v[186:187]
	v_fma_f64 v[190:191], v[190:191], v[186:187], -v[188:189]
	scratch_load_b128 v[186:189], off, off offset:896
	v_add_f64_e32 v[194:195], v[194:195], v[196:197]
	v_fmac_f64_e32 v[198:199], v[6:7], v[170:171]
	v_add_f64_e32 v[192:193], v[204:205], v[202:203]
	v_fma_f64 v[202:203], v[4:5], v[170:171], -v[172:173]
	ds_load_b128 v[4:7], v2 offset:1744
	s_wait_loadcnt_dscnt 0xa01
	v_mul_f64_e32 v[196:197], v[182:183], v[10:11]
	v_mul_f64_e32 v[10:11], v[184:185], v[10:11]
	scratch_load_b128 v[170:173], off, off offset:912
	v_add_f64_e32 v[194:195], v[194:195], v[200:201]
	s_wait_loadcnt_dscnt 0xa00
	v_mul_f64_e32 v[200:201], v[4:5], v[14:15]
	v_add_f64_e32 v[204:205], v[192:193], v[190:191]
	v_mul_f64_e32 v[14:15], v[6:7], v[14:15]
	ds_load_b128 v[190:193], v2 offset:1760
	v_fmac_f64_e32 v[196:197], v[184:185], v[8:9]
	v_fma_f64 v[182:183], v[182:183], v[8:9], -v[10:11]
	scratch_load_b128 v[8:11], off, off offset:928
	v_add_f64_e32 v[194:195], v[194:195], v[198:199]
	v_fmac_f64_e32 v[200:201], v[6:7], v[12:13]
	v_add_f64_e32 v[184:185], v[204:205], v[202:203]
	v_fma_f64 v[202:203], v[4:5], v[12:13], -v[14:15]
	ds_load_b128 v[4:7], v2 offset:1776
	s_wait_loadcnt_dscnt 0xa01
	v_mul_f64_e32 v[198:199], v[190:191], v[144:145]
	v_mul_f64_e32 v[144:145], v[192:193], v[144:145]
	scratch_load_b128 v[12:15], off, off offset:944
	v_add_f64_e32 v[194:195], v[194:195], v[196:197]
	s_wait_loadcnt_dscnt 0xa00
	v_mul_f64_e32 v[196:197], v[4:5], v[148:149]
	v_add_f64_e32 v[204:205], v[184:185], v[182:183]
	v_mul_f64_e32 v[148:149], v[6:7], v[148:149]
	ds_load_b128 v[182:185], v2 offset:1792
	v_fmac_f64_e32 v[198:199], v[192:193], v[142:143]
	v_fma_f64 v[190:191], v[190:191], v[142:143], -v[144:145]
	scratch_load_b128 v[142:145], off, off offset:960
	v_add_f64_e32 v[194:195], v[194:195], v[200:201]
	v_fmac_f64_e32 v[196:197], v[6:7], v[146:147]
	v_add_f64_e32 v[192:193], v[204:205], v[202:203]
	v_fma_f64 v[202:203], v[4:5], v[146:147], -v[148:149]
	ds_load_b128 v[4:7], v2 offset:1808
	s_wait_loadcnt_dscnt 0xa01
	v_mul_f64_e32 v[200:201], v[182:183], v[152:153]
	v_mul_f64_e32 v[152:153], v[184:185], v[152:153]
	scratch_load_b128 v[146:149], off, off offset:976
	v_add_f64_e32 v[194:195], v[194:195], v[198:199]
	s_wait_loadcnt_dscnt 0xa00
	v_mul_f64_e32 v[198:199], v[4:5], v[156:157]
	v_add_f64_e32 v[204:205], v[192:193], v[190:191]
	v_mul_f64_e32 v[156:157], v[6:7], v[156:157]
	ds_load_b128 v[190:193], v2 offset:1824
	v_fmac_f64_e32 v[200:201], v[184:185], v[150:151]
	v_fma_f64 v[150:151], v[182:183], v[150:151], -v[152:153]
	s_wait_loadcnt_dscnt 0x900
	v_mul_f64_e32 v[184:185], v[190:191], v[160:161]
	v_mul_f64_e32 v[160:161], v[192:193], v[160:161]
	v_add_f64_e32 v[182:183], v[194:195], v[196:197]
	v_fmac_f64_e32 v[198:199], v[6:7], v[154:155]
	v_add_f64_e32 v[152:153], v[204:205], v[202:203]
	v_fma_f64 v[154:155], v[4:5], v[154:155], -v[156:157]
	v_fmac_f64_e32 v[184:185], v[192:193], v[158:159]
	v_fma_f64 v[158:159], v[190:191], v[158:159], -v[160:161]
	v_add_f64_e32 v[182:183], v[182:183], v[200:201]
	v_add_f64_e32 v[156:157], v[152:153], v[150:151]
	ds_load_b128 v[4:7], v2 offset:1840
	ds_load_b128 v[150:153], v2 offset:1856
	s_wait_loadcnt_dscnt 0x801
	v_mul_f64_e32 v[194:195], v[4:5], v[164:165]
	v_mul_f64_e32 v[164:165], v[6:7], v[164:165]
	s_wait_loadcnt_dscnt 0x700
	v_mul_f64_e32 v[160:161], v[150:151], v[168:169]
	v_mul_f64_e32 v[168:169], v[152:153], v[168:169]
	v_add_f64_e32 v[154:155], v[156:157], v[154:155]
	v_add_f64_e32 v[156:157], v[182:183], v[198:199]
	v_fmac_f64_e32 v[194:195], v[6:7], v[162:163]
	v_fma_f64 v[162:163], v[4:5], v[162:163], -v[164:165]
	v_fmac_f64_e32 v[160:161], v[152:153], v[166:167]
	v_fma_f64 v[150:151], v[150:151], v[166:167], -v[168:169]
	v_add_f64_e32 v[158:159], v[154:155], v[158:159]
	v_add_f64_e32 v[164:165], v[156:157], v[184:185]
	ds_load_b128 v[4:7], v2 offset:1872
	ds_load_b128 v[154:157], v2 offset:1888
	s_wait_loadcnt_dscnt 0x601
	v_mul_f64_e32 v[182:183], v[4:5], v[176:177]
	v_mul_f64_e32 v[176:177], v[6:7], v[176:177]
	v_add_f64_e32 v[152:153], v[158:159], v[162:163]
	v_add_f64_e32 v[158:159], v[164:165], v[194:195]
	s_wait_loadcnt_dscnt 0x500
	v_mul_f64_e32 v[162:163], v[154:155], v[188:189]
	v_mul_f64_e32 v[164:165], v[156:157], v[188:189]
	v_fmac_f64_e32 v[182:183], v[6:7], v[174:175]
	v_fma_f64 v[166:167], v[4:5], v[174:175], -v[176:177]
	v_add_f64_e32 v[168:169], v[152:153], v[150:151]
	v_add_f64_e32 v[158:159], v[158:159], v[160:161]
	ds_load_b128 v[4:7], v2 offset:1904
	ds_load_b128 v[150:153], v2 offset:1920
	v_fmac_f64_e32 v[162:163], v[156:157], v[186:187]
	v_fma_f64 v[154:155], v[154:155], v[186:187], -v[164:165]
	s_wait_loadcnt_dscnt 0x401
	v_mul_f64_e32 v[160:161], v[4:5], v[172:173]
	v_mul_f64_e32 v[172:173], v[6:7], v[172:173]
	s_wait_loadcnt_dscnt 0x300
	v_mul_f64_e32 v[164:165], v[150:151], v[10:11]
	v_mul_f64_e32 v[10:11], v[152:153], v[10:11]
	v_add_f64_e32 v[156:157], v[168:169], v[166:167]
	v_add_f64_e32 v[158:159], v[158:159], v[182:183]
	v_fmac_f64_e32 v[160:161], v[6:7], v[170:171]
	v_fma_f64 v[166:167], v[4:5], v[170:171], -v[172:173]
	v_fmac_f64_e32 v[164:165], v[152:153], v[8:9]
	v_fma_f64 v[8:9], v[150:151], v[8:9], -v[10:11]
	v_add_f64_e32 v[168:169], v[156:157], v[154:155]
	v_add_f64_e32 v[158:159], v[158:159], v[162:163]
	ds_load_b128 v[4:7], v2 offset:1936
	ds_load_b128 v[154:157], v2 offset:1952
	s_wait_loadcnt_dscnt 0x201
	v_mul_f64_e32 v[162:163], v[4:5], v[14:15]
	v_mul_f64_e32 v[14:15], v[6:7], v[14:15]
	s_wait_loadcnt_dscnt 0x100
	v_mul_f64_e32 v[152:153], v[154:155], v[144:145]
	v_mul_f64_e32 v[144:145], v[156:157], v[144:145]
	v_add_f64_e32 v[10:11], v[168:169], v[166:167]
	v_add_f64_e32 v[150:151], v[158:159], v[160:161]
	v_fmac_f64_e32 v[162:163], v[6:7], v[12:13]
	v_fma_f64 v[12:13], v[4:5], v[12:13], -v[14:15]
	ds_load_b128 v[4:7], v2 offset:1968
	v_fmac_f64_e32 v[152:153], v[156:157], v[142:143]
	v_fma_f64 v[142:143], v[154:155], v[142:143], -v[144:145]
	v_add_f64_e32 v[8:9], v[10:11], v[8:9]
	v_add_f64_e32 v[10:11], v[150:151], v[164:165]
	s_wait_loadcnt_dscnt 0x0
	v_mul_f64_e32 v[14:15], v[4:5], v[148:149]
	v_mul_f64_e32 v[148:149], v[6:7], v[148:149]
	s_delay_alu instid0(VALU_DEP_4) | instskip(NEXT) | instid1(VALU_DEP_4)
	v_add_f64_e32 v[8:9], v[8:9], v[12:13]
	v_add_f64_e32 v[10:11], v[10:11], v[162:163]
	s_delay_alu instid0(VALU_DEP_4) | instskip(NEXT) | instid1(VALU_DEP_4)
	v_fmac_f64_e32 v[14:15], v[6:7], v[146:147]
	v_fma_f64 v[4:5], v[4:5], v[146:147], -v[148:149]
	s_delay_alu instid0(VALU_DEP_4) | instskip(NEXT) | instid1(VALU_DEP_4)
	v_add_f64_e32 v[6:7], v[8:9], v[142:143]
	v_add_f64_e32 v[8:9], v[10:11], v[152:153]
	s_delay_alu instid0(VALU_DEP_2) | instskip(NEXT) | instid1(VALU_DEP_2)
	v_add_f64_e32 v[4:5], v[6:7], v[4:5]
	v_add_f64_e32 v[6:7], v[8:9], v[14:15]
	s_delay_alu instid0(VALU_DEP_2) | instskip(NEXT) | instid1(VALU_DEP_2)
	v_add_f64_e64 v[4:5], v[178:179], -v[4:5]
	v_add_f64_e64 v[6:7], v[180:181], -v[6:7]
	scratch_store_b128 off, v[4:7], off offset:128
	s_wait_xcnt 0x0
	v_cmpx_lt_u32_e32 7, v1
	s_cbranch_execz .LBB61_383
; %bb.382:
	scratch_load_b128 v[6:9], off, s73
	v_dual_mov_b32 v3, v2 :: v_dual_mov_b32 v4, v2
	v_mov_b32_e32 v5, v2
	scratch_store_b128 off, v[2:5], off offset:112
	s_wait_loadcnt 0x0
	ds_store_b128 v16, v[6:9]
.LBB61_383:
	s_wait_xcnt 0x0
	s_or_b32 exec_lo, exec_lo, s2
	s_wait_storecnt_dscnt 0x0
	s_barrier_signal -1
	s_barrier_wait -1
	s_clause 0x9
	scratch_load_b128 v[4:7], off, off offset:128
	scratch_load_b128 v[8:11], off, off offset:144
	;; [unrolled: 1-line block ×10, first 2 shown]
	ds_load_b128 v[170:173], v2 offset:1120
	ds_load_b128 v[178:181], v2 offset:1136
	s_clause 0x2
	scratch_load_b128 v[174:177], off, off offset:288
	scratch_load_b128 v[182:185], off, off offset:112
	;; [unrolled: 1-line block ×3, first 2 shown]
	s_mov_b32 s2, exec_lo
	s_wait_loadcnt_dscnt 0xc01
	v_mul_f64_e32 v[190:191], v[172:173], v[6:7]
	v_mul_f64_e32 v[194:195], v[170:171], v[6:7]
	s_wait_loadcnt_dscnt 0xb00
	v_mul_f64_e32 v[196:197], v[178:179], v[10:11]
	v_mul_f64_e32 v[10:11], v[180:181], v[10:11]
	s_delay_alu instid0(VALU_DEP_4) | instskip(NEXT) | instid1(VALU_DEP_4)
	v_fma_f64 v[198:199], v[170:171], v[4:5], -v[190:191]
	v_fmac_f64_e32 v[194:195], v[172:173], v[4:5]
	ds_load_b128 v[4:7], v2 offset:1152
	ds_load_b128 v[170:173], v2 offset:1168
	scratch_load_b128 v[190:193], off, off offset:320
	v_fmac_f64_e32 v[196:197], v[180:181], v[8:9]
	v_fma_f64 v[178:179], v[178:179], v[8:9], -v[10:11]
	scratch_load_b128 v[8:11], off, off offset:336
	s_wait_loadcnt_dscnt 0xc01
	v_mul_f64_e32 v[200:201], v[4:5], v[14:15]
	v_mul_f64_e32 v[14:15], v[6:7], v[14:15]
	v_add_f64_e32 v[180:181], 0, v[198:199]
	v_add_f64_e32 v[194:195], 0, v[194:195]
	s_wait_loadcnt_dscnt 0xb00
	v_mul_f64_e32 v[198:199], v[170:171], v[144:145]
	v_mul_f64_e32 v[144:145], v[172:173], v[144:145]
	v_fmac_f64_e32 v[200:201], v[6:7], v[12:13]
	v_fma_f64 v[202:203], v[4:5], v[12:13], -v[14:15]
	ds_load_b128 v[4:7], v2 offset:1184
	ds_load_b128 v[12:15], v2 offset:1200
	v_add_f64_e32 v[204:205], v[180:181], v[178:179]
	v_add_f64_e32 v[194:195], v[194:195], v[196:197]
	scratch_load_b128 v[178:181], off, off offset:352
	v_fmac_f64_e32 v[198:199], v[172:173], v[142:143]
	v_fma_f64 v[170:171], v[170:171], v[142:143], -v[144:145]
	scratch_load_b128 v[142:145], off, off offset:368
	s_wait_loadcnt_dscnt 0xc01
	v_mul_f64_e32 v[196:197], v[4:5], v[148:149]
	v_mul_f64_e32 v[148:149], v[6:7], v[148:149]
	v_add_f64_e32 v[172:173], v[204:205], v[202:203]
	v_add_f64_e32 v[194:195], v[194:195], v[200:201]
	s_wait_loadcnt_dscnt 0xb00
	v_mul_f64_e32 v[200:201], v[12:13], v[152:153]
	v_mul_f64_e32 v[152:153], v[14:15], v[152:153]
	v_fmac_f64_e32 v[196:197], v[6:7], v[146:147]
	v_fma_f64 v[202:203], v[4:5], v[146:147], -v[148:149]
	ds_load_b128 v[4:7], v2 offset:1216
	ds_load_b128 v[146:149], v2 offset:1232
	v_add_f64_e32 v[204:205], v[172:173], v[170:171]
	v_add_f64_e32 v[194:195], v[194:195], v[198:199]
	scratch_load_b128 v[170:173], off, off offset:384
	s_wait_loadcnt_dscnt 0xb01
	v_mul_f64_e32 v[198:199], v[4:5], v[156:157]
	v_mul_f64_e32 v[156:157], v[6:7], v[156:157]
	v_fmac_f64_e32 v[200:201], v[14:15], v[150:151]
	v_fma_f64 v[150:151], v[12:13], v[150:151], -v[152:153]
	scratch_load_b128 v[12:15], off, off offset:400
	v_add_f64_e32 v[152:153], v[204:205], v[202:203]
	v_add_f64_e32 v[194:195], v[194:195], v[196:197]
	s_wait_loadcnt_dscnt 0xb00
	v_mul_f64_e32 v[196:197], v[146:147], v[160:161]
	v_mul_f64_e32 v[160:161], v[148:149], v[160:161]
	v_fmac_f64_e32 v[198:199], v[6:7], v[154:155]
	v_fma_f64 v[202:203], v[4:5], v[154:155], -v[156:157]
	v_add_f64_e32 v[204:205], v[152:153], v[150:151]
	v_add_f64_e32 v[194:195], v[194:195], v[200:201]
	ds_load_b128 v[4:7], v2 offset:1248
	ds_load_b128 v[150:153], v2 offset:1264
	scratch_load_b128 v[154:157], off, off offset:416
	v_fmac_f64_e32 v[196:197], v[148:149], v[158:159]
	v_fma_f64 v[158:159], v[146:147], v[158:159], -v[160:161]
	scratch_load_b128 v[146:149], off, off offset:432
	s_wait_loadcnt_dscnt 0xc01
	v_mul_f64_e32 v[200:201], v[4:5], v[164:165]
	v_mul_f64_e32 v[164:165], v[6:7], v[164:165]
	v_add_f64_e32 v[160:161], v[204:205], v[202:203]
	v_add_f64_e32 v[194:195], v[194:195], v[198:199]
	s_wait_loadcnt_dscnt 0xb00
	v_mul_f64_e32 v[198:199], v[150:151], v[168:169]
	v_mul_f64_e32 v[168:169], v[152:153], v[168:169]
	v_fmac_f64_e32 v[200:201], v[6:7], v[162:163]
	v_fma_f64 v[202:203], v[4:5], v[162:163], -v[164:165]
	v_add_f64_e32 v[204:205], v[160:161], v[158:159]
	v_add_f64_e32 v[194:195], v[194:195], v[196:197]
	ds_load_b128 v[4:7], v2 offset:1280
	ds_load_b128 v[158:161], v2 offset:1296
	scratch_load_b128 v[162:165], off, off offset:448
	v_fmac_f64_e32 v[198:199], v[152:153], v[166:167]
	v_fma_f64 v[166:167], v[150:151], v[166:167], -v[168:169]
	scratch_load_b128 v[150:153], off, off offset:464
	s_wait_loadcnt_dscnt 0xc01
	v_mul_f64_e32 v[196:197], v[4:5], v[176:177]
	v_mul_f64_e32 v[176:177], v[6:7], v[176:177]
	;; [unrolled: 18-line block ×5, first 2 shown]
	v_add_f64_e32 v[188:189], v[204:205], v[202:203]
	v_add_f64_e32 v[194:195], v[194:195], v[200:201]
	s_wait_loadcnt_dscnt 0xa00
	v_mul_f64_e32 v[200:201], v[166:167], v[14:15]
	v_mul_f64_e32 v[14:15], v[168:169], v[14:15]
	v_fmac_f64_e32 v[196:197], v[6:7], v[170:171]
	v_fma_f64 v[202:203], v[4:5], v[170:171], -v[172:173]
	ds_load_b128 v[4:7], v2 offset:1408
	ds_load_b128 v[170:173], v2 offset:1424
	v_add_f64_e32 v[204:205], v[188:189], v[186:187]
	v_add_f64_e32 v[194:195], v[194:195], v[198:199]
	scratch_load_b128 v[186:189], off, off offset:576
	v_fmac_f64_e32 v[200:201], v[168:169], v[12:13]
	v_fma_f64 v[166:167], v[166:167], v[12:13], -v[14:15]
	scratch_load_b128 v[12:15], off, off offset:592
	s_wait_loadcnt_dscnt 0xb01
	v_mul_f64_e32 v[198:199], v[4:5], v[156:157]
	v_mul_f64_e32 v[156:157], v[6:7], v[156:157]
	v_add_f64_e32 v[168:169], v[204:205], v[202:203]
	v_add_f64_e32 v[194:195], v[194:195], v[196:197]
	s_wait_loadcnt_dscnt 0xa00
	v_mul_f64_e32 v[196:197], v[170:171], v[148:149]
	v_mul_f64_e32 v[148:149], v[172:173], v[148:149]
	v_fmac_f64_e32 v[198:199], v[6:7], v[154:155]
	v_fma_f64 v[202:203], v[4:5], v[154:155], -v[156:157]
	ds_load_b128 v[4:7], v2 offset:1440
	ds_load_b128 v[154:157], v2 offset:1456
	v_add_f64_e32 v[204:205], v[168:169], v[166:167]
	v_add_f64_e32 v[194:195], v[194:195], v[200:201]
	scratch_load_b128 v[166:169], off, off offset:608
	s_wait_loadcnt_dscnt 0xa01
	v_mul_f64_e32 v[200:201], v[4:5], v[164:165]
	v_mul_f64_e32 v[164:165], v[6:7], v[164:165]
	v_fmac_f64_e32 v[196:197], v[172:173], v[146:147]
	v_fma_f64 v[170:171], v[170:171], v[146:147], -v[148:149]
	scratch_load_b128 v[146:149], off, off offset:624
	v_add_f64_e32 v[172:173], v[204:205], v[202:203]
	v_add_f64_e32 v[194:195], v[194:195], v[198:199]
	s_wait_loadcnt_dscnt 0xa00
	v_mul_f64_e32 v[198:199], v[154:155], v[152:153]
	v_mul_f64_e32 v[152:153], v[156:157], v[152:153]
	v_fmac_f64_e32 v[200:201], v[6:7], v[162:163]
	v_fma_f64 v[202:203], v[4:5], v[162:163], -v[164:165]
	ds_load_b128 v[4:7], v2 offset:1472
	ds_load_b128 v[162:165], v2 offset:1488
	v_add_f64_e32 v[204:205], v[172:173], v[170:171]
	v_add_f64_e32 v[194:195], v[194:195], v[196:197]
	scratch_load_b128 v[170:173], off, off offset:640
	s_wait_loadcnt_dscnt 0xa01
	v_mul_f64_e32 v[196:197], v[4:5], v[176:177]
	v_mul_f64_e32 v[176:177], v[6:7], v[176:177]
	v_fmac_f64_e32 v[198:199], v[156:157], v[150:151]
	v_fma_f64 v[154:155], v[154:155], v[150:151], -v[152:153]
	scratch_load_b128 v[150:153], off, off offset:656
	v_add_f64_e32 v[156:157], v[204:205], v[202:203]
	v_add_f64_e32 v[194:195], v[194:195], v[200:201]
	s_wait_loadcnt_dscnt 0xa00
	v_mul_f64_e32 v[200:201], v[162:163], v[160:161]
	v_mul_f64_e32 v[160:161], v[164:165], v[160:161]
	v_fmac_f64_e32 v[196:197], v[6:7], v[174:175]
	v_fma_f64 v[202:203], v[4:5], v[174:175], -v[176:177]
	v_add_f64_e32 v[204:205], v[156:157], v[154:155]
	v_add_f64_e32 v[194:195], v[194:195], v[198:199]
	ds_load_b128 v[4:7], v2 offset:1504
	ds_load_b128 v[154:157], v2 offset:1520
	scratch_load_b128 v[174:177], off, off offset:672
	v_fmac_f64_e32 v[200:201], v[164:165], v[158:159]
	v_fma_f64 v[162:163], v[162:163], v[158:159], -v[160:161]
	scratch_load_b128 v[158:161], off, off offset:688
	s_wait_loadcnt_dscnt 0xb01
	v_mul_f64_e32 v[198:199], v[4:5], v[192:193]
	v_mul_f64_e32 v[192:193], v[6:7], v[192:193]
	v_add_f64_e32 v[164:165], v[204:205], v[202:203]
	v_add_f64_e32 v[194:195], v[194:195], v[196:197]
	s_wait_loadcnt_dscnt 0xa00
	v_mul_f64_e32 v[196:197], v[154:155], v[10:11]
	v_mul_f64_e32 v[10:11], v[156:157], v[10:11]
	v_fmac_f64_e32 v[198:199], v[6:7], v[190:191]
	v_fma_f64 v[202:203], v[4:5], v[190:191], -v[192:193]
	v_add_f64_e32 v[204:205], v[164:165], v[162:163]
	v_add_f64_e32 v[194:195], v[194:195], v[200:201]
	ds_load_b128 v[4:7], v2 offset:1536
	ds_load_b128 v[162:165], v2 offset:1552
	scratch_load_b128 v[190:193], off, off offset:704
	v_fmac_f64_e32 v[196:197], v[156:157], v[8:9]
	v_fma_f64 v[154:155], v[154:155], v[8:9], -v[10:11]
	scratch_load_b128 v[8:11], off, off offset:720
	s_wait_loadcnt_dscnt 0xb01
	v_mul_f64_e32 v[200:201], v[4:5], v[180:181]
	v_mul_f64_e32 v[180:181], v[6:7], v[180:181]
	;; [unrolled: 18-line block ×10, first 2 shown]
	v_add_f64_e32 v[156:157], v[204:205], v[202:203]
	v_add_f64_e32 v[194:195], v[194:195], v[196:197]
	s_wait_loadcnt_dscnt 0xa00
	v_mul_f64_e32 v[196:197], v[162:163], v[148:149]
	v_mul_f64_e32 v[148:149], v[164:165], v[148:149]
	v_fmac_f64_e32 v[198:199], v[6:7], v[166:167]
	v_fma_f64 v[166:167], v[4:5], v[166:167], -v[168:169]
	v_add_f64_e32 v[168:169], v[156:157], v[154:155]
	v_add_f64_e32 v[194:195], v[194:195], v[200:201]
	ds_load_b128 v[4:7], v2 offset:1824
	ds_load_b128 v[154:157], v2 offset:1840
	v_fmac_f64_e32 v[196:197], v[164:165], v[146:147]
	v_fma_f64 v[146:147], v[162:163], v[146:147], -v[148:149]
	s_wait_loadcnt_dscnt 0x901
	v_mul_f64_e32 v[200:201], v[4:5], v[172:173]
	v_mul_f64_e32 v[172:173], v[6:7], v[172:173]
	s_wait_loadcnt_dscnt 0x800
	v_mul_f64_e32 v[164:165], v[154:155], v[152:153]
	v_mul_f64_e32 v[152:153], v[156:157], v[152:153]
	v_add_f64_e32 v[148:149], v[168:169], v[166:167]
	v_add_f64_e32 v[162:163], v[194:195], v[198:199]
	v_fmac_f64_e32 v[200:201], v[6:7], v[170:171]
	v_fma_f64 v[166:167], v[4:5], v[170:171], -v[172:173]
	v_fmac_f64_e32 v[164:165], v[156:157], v[150:151]
	v_fma_f64 v[150:151], v[154:155], v[150:151], -v[152:153]
	v_add_f64_e32 v[168:169], v[148:149], v[146:147]
	v_add_f64_e32 v[162:163], v[162:163], v[196:197]
	ds_load_b128 v[4:7], v2 offset:1856
	ds_load_b128 v[146:149], v2 offset:1872
	s_wait_loadcnt_dscnt 0x701
	v_mul_f64_e32 v[170:171], v[4:5], v[176:177]
	v_mul_f64_e32 v[172:173], v[6:7], v[176:177]
	s_wait_loadcnt_dscnt 0x600
	v_mul_f64_e32 v[156:157], v[146:147], v[160:161]
	v_mul_f64_e32 v[160:161], v[148:149], v[160:161]
	v_add_f64_e32 v[152:153], v[168:169], v[166:167]
	v_add_f64_e32 v[154:155], v[162:163], v[200:201]
	v_fmac_f64_e32 v[170:171], v[6:7], v[174:175]
	v_fma_f64 v[162:163], v[4:5], v[174:175], -v[172:173]
	v_fmac_f64_e32 v[156:157], v[148:149], v[158:159]
	v_fma_f64 v[146:147], v[146:147], v[158:159], -v[160:161]
	v_add_f64_e32 v[166:167], v[152:153], v[150:151]
	v_add_f64_e32 v[154:155], v[154:155], v[164:165]
	ds_load_b128 v[4:7], v2 offset:1888
	ds_load_b128 v[150:153], v2 offset:1904
	;; [unrolled: 16-line block ×4, first 2 shown]
	s_wait_loadcnt_dscnt 0x101
	v_mul_f64_e32 v[2:3], v[4:5], v[188:189]
	v_mul_f64_e32 v[158:159], v[6:7], v[188:189]
	s_wait_loadcnt_dscnt 0x0
	v_mul_f64_e32 v[148:149], v[8:9], v[14:15]
	v_mul_f64_e32 v[14:15], v[10:11], v[14:15]
	v_add_f64_e32 v[144:145], v[160:161], v[154:155]
	v_add_f64_e32 v[146:147], v[150:151], v[156:157]
	v_fmac_f64_e32 v[2:3], v[6:7], v[186:187]
	v_fma_f64 v[4:5], v[4:5], v[186:187], -v[158:159]
	v_fmac_f64_e32 v[148:149], v[10:11], v[12:13]
	v_fma_f64 v[8:9], v[8:9], v[12:13], -v[14:15]
	v_add_f64_e32 v[6:7], v[144:145], v[142:143]
	v_add_f64_e32 v[142:143], v[146:147], v[152:153]
	s_delay_alu instid0(VALU_DEP_2) | instskip(NEXT) | instid1(VALU_DEP_2)
	v_add_f64_e32 v[4:5], v[6:7], v[4:5]
	v_add_f64_e32 v[2:3], v[142:143], v[2:3]
	s_delay_alu instid0(VALU_DEP_2) | instskip(NEXT) | instid1(VALU_DEP_2)
	;; [unrolled: 3-line block ×3, first 2 shown]
	v_add_f64_e64 v[2:3], v[182:183], -v[4:5]
	v_add_f64_e64 v[4:5], v[184:185], -v[6:7]
	scratch_store_b128 off, v[2:5], off offset:112
	s_wait_xcnt 0x0
	v_cmpx_lt_u32_e32 6, v1
	s_cbranch_execz .LBB61_385
; %bb.384:
	scratch_load_b128 v[2:5], off, s74
	v_mov_b32_e32 v6, 0
	s_delay_alu instid0(VALU_DEP_1)
	v_dual_mov_b32 v7, v6 :: v_dual_mov_b32 v8, v6
	v_mov_b32_e32 v9, v6
	scratch_store_b128 off, v[6:9], off offset:96
	s_wait_loadcnt 0x0
	ds_store_b128 v16, v[2:5]
.LBB61_385:
	s_wait_xcnt 0x0
	s_or_b32 exec_lo, exec_lo, s2
	s_wait_storecnt_dscnt 0x0
	s_barrier_signal -1
	s_barrier_wait -1
	s_clause 0x9
	scratch_load_b128 v[4:7], off, off offset:112
	scratch_load_b128 v[8:11], off, off offset:128
	;; [unrolled: 1-line block ×10, first 2 shown]
	v_mov_b32_e32 v2, 0
	s_mov_b32 s2, exec_lo
	ds_load_b128 v[170:173], v2 offset:1104
	s_clause 0x2
	scratch_load_b128 v[174:177], off, off offset:272
	scratch_load_b128 v[178:181], off, off offset:96
	scratch_load_b128 v[186:189], off, off offset:288
	s_wait_loadcnt_dscnt 0xc00
	v_mul_f64_e32 v[190:191], v[172:173], v[6:7]
	v_mul_f64_e32 v[194:195], v[170:171], v[6:7]
	ds_load_b128 v[182:185], v2 offset:1120
	v_fma_f64 v[198:199], v[170:171], v[4:5], -v[190:191]
	v_fmac_f64_e32 v[194:195], v[172:173], v[4:5]
	ds_load_b128 v[4:7], v2 offset:1136
	s_wait_loadcnt_dscnt 0xb01
	v_mul_f64_e32 v[196:197], v[182:183], v[10:11]
	v_mul_f64_e32 v[10:11], v[184:185], v[10:11]
	scratch_load_b128 v[170:173], off, off offset:304
	ds_load_b128 v[190:193], v2 offset:1152
	s_wait_loadcnt_dscnt 0xb01
	v_mul_f64_e32 v[200:201], v[4:5], v[14:15]
	v_mul_f64_e32 v[14:15], v[6:7], v[14:15]
	v_add_f64_e32 v[194:195], 0, v[194:195]
	v_fmac_f64_e32 v[196:197], v[184:185], v[8:9]
	v_fma_f64 v[182:183], v[182:183], v[8:9], -v[10:11]
	v_add_f64_e32 v[184:185], 0, v[198:199]
	scratch_load_b128 v[8:11], off, off offset:320
	v_fmac_f64_e32 v[200:201], v[6:7], v[12:13]
	v_fma_f64 v[202:203], v[4:5], v[12:13], -v[14:15]
	ds_load_b128 v[4:7], v2 offset:1168
	s_wait_loadcnt_dscnt 0xb01
	v_mul_f64_e32 v[198:199], v[190:191], v[144:145]
	v_mul_f64_e32 v[144:145], v[192:193], v[144:145]
	scratch_load_b128 v[12:15], off, off offset:336
	v_add_f64_e32 v[194:195], v[194:195], v[196:197]
	v_add_f64_e32 v[204:205], v[184:185], v[182:183]
	ds_load_b128 v[182:185], v2 offset:1184
	s_wait_loadcnt_dscnt 0xb01
	v_mul_f64_e32 v[196:197], v[4:5], v[148:149]
	v_mul_f64_e32 v[148:149], v[6:7], v[148:149]
	v_fmac_f64_e32 v[198:199], v[192:193], v[142:143]
	v_fma_f64 v[190:191], v[190:191], v[142:143], -v[144:145]
	scratch_load_b128 v[142:145], off, off offset:352
	v_add_f64_e32 v[194:195], v[194:195], v[200:201]
	v_add_f64_e32 v[192:193], v[204:205], v[202:203]
	v_fmac_f64_e32 v[196:197], v[6:7], v[146:147]
	v_fma_f64 v[202:203], v[4:5], v[146:147], -v[148:149]
	ds_load_b128 v[4:7], v2 offset:1200
	s_wait_loadcnt_dscnt 0xb01
	v_mul_f64_e32 v[200:201], v[182:183], v[152:153]
	v_mul_f64_e32 v[152:153], v[184:185], v[152:153]
	scratch_load_b128 v[146:149], off, off offset:368
	v_add_f64_e32 v[194:195], v[194:195], v[198:199]
	s_wait_loadcnt_dscnt 0xb00
	v_mul_f64_e32 v[198:199], v[4:5], v[156:157]
	v_add_f64_e32 v[204:205], v[192:193], v[190:191]
	v_mul_f64_e32 v[156:157], v[6:7], v[156:157]
	ds_load_b128 v[190:193], v2 offset:1216
	v_fmac_f64_e32 v[200:201], v[184:185], v[150:151]
	v_fma_f64 v[182:183], v[182:183], v[150:151], -v[152:153]
	scratch_load_b128 v[150:153], off, off offset:384
	v_add_f64_e32 v[194:195], v[194:195], v[196:197]
	v_fmac_f64_e32 v[198:199], v[6:7], v[154:155]
	v_add_f64_e32 v[184:185], v[204:205], v[202:203]
	v_fma_f64 v[202:203], v[4:5], v[154:155], -v[156:157]
	ds_load_b128 v[4:7], v2 offset:1232
	s_wait_loadcnt_dscnt 0xb01
	v_mul_f64_e32 v[196:197], v[190:191], v[160:161]
	v_mul_f64_e32 v[160:161], v[192:193], v[160:161]
	scratch_load_b128 v[154:157], off, off offset:400
	v_add_f64_e32 v[194:195], v[194:195], v[200:201]
	s_wait_loadcnt_dscnt 0xb00
	v_mul_f64_e32 v[200:201], v[4:5], v[164:165]
	v_add_f64_e32 v[204:205], v[184:185], v[182:183]
	v_mul_f64_e32 v[164:165], v[6:7], v[164:165]
	ds_load_b128 v[182:185], v2 offset:1248
	v_fmac_f64_e32 v[196:197], v[192:193], v[158:159]
	v_fma_f64 v[190:191], v[190:191], v[158:159], -v[160:161]
	scratch_load_b128 v[158:161], off, off offset:416
	v_add_f64_e32 v[194:195], v[194:195], v[198:199]
	v_fmac_f64_e32 v[200:201], v[6:7], v[162:163]
	v_add_f64_e32 v[192:193], v[204:205], v[202:203]
	;; [unrolled: 18-line block ×3, first 2 shown]
	v_fma_f64 v[202:203], v[4:5], v[174:175], -v[176:177]
	ds_load_b128 v[4:7], v2 offset:1296
	s_wait_loadcnt_dscnt 0xa01
	v_mul_f64_e32 v[200:201], v[190:191], v[188:189]
	v_mul_f64_e32 v[188:189], v[192:193], v[188:189]
	scratch_load_b128 v[174:177], off, off offset:464
	v_add_f64_e32 v[194:195], v[194:195], v[198:199]
	v_add_f64_e32 v[204:205], v[184:185], v[182:183]
	s_wait_loadcnt_dscnt 0xa00
	v_mul_f64_e32 v[198:199], v[4:5], v[172:173]
	v_mul_f64_e32 v[172:173], v[6:7], v[172:173]
	v_fmac_f64_e32 v[200:201], v[192:193], v[186:187]
	v_fma_f64 v[190:191], v[190:191], v[186:187], -v[188:189]
	ds_load_b128 v[182:185], v2 offset:1312
	scratch_load_b128 v[186:189], off, off offset:480
	v_add_f64_e32 v[194:195], v[194:195], v[196:197]
	v_add_f64_e32 v[192:193], v[204:205], v[202:203]
	v_fmac_f64_e32 v[198:199], v[6:7], v[170:171]
	v_fma_f64 v[202:203], v[4:5], v[170:171], -v[172:173]
	ds_load_b128 v[4:7], v2 offset:1328
	s_wait_loadcnt_dscnt 0xa01
	v_mul_f64_e32 v[196:197], v[182:183], v[10:11]
	v_mul_f64_e32 v[10:11], v[184:185], v[10:11]
	scratch_load_b128 v[170:173], off, off offset:496
	v_add_f64_e32 v[194:195], v[194:195], v[200:201]
	s_wait_loadcnt_dscnt 0xa00
	v_mul_f64_e32 v[200:201], v[4:5], v[14:15]
	v_add_f64_e32 v[204:205], v[192:193], v[190:191]
	v_mul_f64_e32 v[14:15], v[6:7], v[14:15]
	ds_load_b128 v[190:193], v2 offset:1344
	v_fmac_f64_e32 v[196:197], v[184:185], v[8:9]
	v_fma_f64 v[182:183], v[182:183], v[8:9], -v[10:11]
	scratch_load_b128 v[8:11], off, off offset:512
	v_add_f64_e32 v[194:195], v[194:195], v[198:199]
	v_fmac_f64_e32 v[200:201], v[6:7], v[12:13]
	v_add_f64_e32 v[184:185], v[204:205], v[202:203]
	v_fma_f64 v[202:203], v[4:5], v[12:13], -v[14:15]
	ds_load_b128 v[4:7], v2 offset:1360
	s_wait_loadcnt_dscnt 0xa01
	v_mul_f64_e32 v[198:199], v[190:191], v[144:145]
	v_mul_f64_e32 v[144:145], v[192:193], v[144:145]
	scratch_load_b128 v[12:15], off, off offset:528
	v_add_f64_e32 v[194:195], v[194:195], v[196:197]
	s_wait_loadcnt_dscnt 0xa00
	v_mul_f64_e32 v[196:197], v[4:5], v[148:149]
	v_add_f64_e32 v[204:205], v[184:185], v[182:183]
	v_mul_f64_e32 v[148:149], v[6:7], v[148:149]
	ds_load_b128 v[182:185], v2 offset:1376
	v_fmac_f64_e32 v[198:199], v[192:193], v[142:143]
	v_fma_f64 v[190:191], v[190:191], v[142:143], -v[144:145]
	scratch_load_b128 v[142:145], off, off offset:544
	v_add_f64_e32 v[194:195], v[194:195], v[200:201]
	v_fmac_f64_e32 v[196:197], v[6:7], v[146:147]
	v_add_f64_e32 v[192:193], v[204:205], v[202:203]
	;; [unrolled: 18-line block ×15, first 2 shown]
	v_fma_f64 v[202:203], v[4:5], v[154:155], -v[156:157]
	ds_load_b128 v[4:7], v2 offset:1808
	s_wait_loadcnt_dscnt 0xa01
	v_mul_f64_e32 v[196:197], v[190:191], v[160:161]
	v_mul_f64_e32 v[160:161], v[192:193], v[160:161]
	scratch_load_b128 v[154:157], off, off offset:976
	v_add_f64_e32 v[194:195], v[194:195], v[200:201]
	s_wait_loadcnt_dscnt 0xa00
	v_mul_f64_e32 v[200:201], v[4:5], v[164:165]
	v_add_f64_e32 v[204:205], v[184:185], v[182:183]
	v_mul_f64_e32 v[164:165], v[6:7], v[164:165]
	ds_load_b128 v[182:185], v2 offset:1824
	v_fmac_f64_e32 v[196:197], v[192:193], v[158:159]
	v_fma_f64 v[158:159], v[190:191], v[158:159], -v[160:161]
	s_wait_loadcnt_dscnt 0x900
	v_mul_f64_e32 v[192:193], v[182:183], v[168:169]
	v_mul_f64_e32 v[168:169], v[184:185], v[168:169]
	v_add_f64_e32 v[190:191], v[194:195], v[198:199]
	v_fmac_f64_e32 v[200:201], v[6:7], v[162:163]
	v_add_f64_e32 v[160:161], v[204:205], v[202:203]
	v_fma_f64 v[162:163], v[4:5], v[162:163], -v[164:165]
	v_fmac_f64_e32 v[192:193], v[184:185], v[166:167]
	v_fma_f64 v[166:167], v[182:183], v[166:167], -v[168:169]
	v_add_f64_e32 v[190:191], v[190:191], v[196:197]
	v_add_f64_e32 v[164:165], v[160:161], v[158:159]
	ds_load_b128 v[4:7], v2 offset:1840
	ds_load_b128 v[158:161], v2 offset:1856
	s_wait_loadcnt_dscnt 0x801
	v_mul_f64_e32 v[194:195], v[4:5], v[176:177]
	v_mul_f64_e32 v[176:177], v[6:7], v[176:177]
	s_wait_loadcnt_dscnt 0x700
	v_mul_f64_e32 v[168:169], v[158:159], v[188:189]
	v_mul_f64_e32 v[182:183], v[160:161], v[188:189]
	v_add_f64_e32 v[162:163], v[164:165], v[162:163]
	v_add_f64_e32 v[164:165], v[190:191], v[200:201]
	v_fmac_f64_e32 v[194:195], v[6:7], v[174:175]
	v_fma_f64 v[174:175], v[4:5], v[174:175], -v[176:177]
	v_fmac_f64_e32 v[168:169], v[160:161], v[186:187]
	v_fma_f64 v[158:159], v[158:159], v[186:187], -v[182:183]
	v_add_f64_e32 v[166:167], v[162:163], v[166:167]
	v_add_f64_e32 v[176:177], v[164:165], v[192:193]
	ds_load_b128 v[4:7], v2 offset:1872
	ds_load_b128 v[162:165], v2 offset:1888
	s_wait_loadcnt_dscnt 0x601
	v_mul_f64_e32 v[184:185], v[4:5], v[172:173]
	v_mul_f64_e32 v[172:173], v[6:7], v[172:173]
	v_add_f64_e32 v[160:161], v[166:167], v[174:175]
	v_add_f64_e32 v[166:167], v[176:177], v[194:195]
	s_wait_loadcnt_dscnt 0x500
	v_mul_f64_e32 v[174:175], v[162:163], v[10:11]
	v_mul_f64_e32 v[10:11], v[164:165], v[10:11]
	v_fmac_f64_e32 v[184:185], v[6:7], v[170:171]
	v_fma_f64 v[170:171], v[4:5], v[170:171], -v[172:173]
	v_add_f64_e32 v[172:173], v[160:161], v[158:159]
	v_add_f64_e32 v[166:167], v[166:167], v[168:169]
	ds_load_b128 v[4:7], v2 offset:1904
	ds_load_b128 v[158:161], v2 offset:1920
	v_fmac_f64_e32 v[174:175], v[164:165], v[8:9]
	v_fma_f64 v[8:9], v[162:163], v[8:9], -v[10:11]
	s_wait_loadcnt_dscnt 0x401
	v_mul_f64_e32 v[168:169], v[4:5], v[14:15]
	v_mul_f64_e32 v[14:15], v[6:7], v[14:15]
	s_wait_loadcnt_dscnt 0x300
	v_mul_f64_e32 v[164:165], v[158:159], v[144:145]
	v_mul_f64_e32 v[144:145], v[160:161], v[144:145]
	v_add_f64_e32 v[10:11], v[172:173], v[170:171]
	v_add_f64_e32 v[162:163], v[166:167], v[184:185]
	v_fmac_f64_e32 v[168:169], v[6:7], v[12:13]
	v_fma_f64 v[12:13], v[4:5], v[12:13], -v[14:15]
	v_fmac_f64_e32 v[164:165], v[160:161], v[142:143]
	v_fma_f64 v[142:143], v[158:159], v[142:143], -v[144:145]
	v_add_f64_e32 v[14:15], v[10:11], v[8:9]
	v_add_f64_e32 v[162:163], v[162:163], v[174:175]
	ds_load_b128 v[4:7], v2 offset:1936
	ds_load_b128 v[8:11], v2 offset:1952
	s_wait_loadcnt_dscnt 0x201
	v_mul_f64_e32 v[166:167], v[4:5], v[148:149]
	v_mul_f64_e32 v[148:149], v[6:7], v[148:149]
	s_wait_loadcnt_dscnt 0x100
	v_mul_f64_e32 v[144:145], v[8:9], v[152:153]
	v_mul_f64_e32 v[152:153], v[10:11], v[152:153]
	v_add_f64_e32 v[12:13], v[14:15], v[12:13]
	v_add_f64_e32 v[14:15], v[162:163], v[168:169]
	v_fmac_f64_e32 v[166:167], v[6:7], v[146:147]
	v_fma_f64 v[146:147], v[4:5], v[146:147], -v[148:149]
	ds_load_b128 v[4:7], v2 offset:1968
	v_fmac_f64_e32 v[144:145], v[10:11], v[150:151]
	v_fma_f64 v[8:9], v[8:9], v[150:151], -v[152:153]
	v_add_f64_e32 v[12:13], v[12:13], v[142:143]
	v_add_f64_e32 v[14:15], v[14:15], v[164:165]
	s_wait_loadcnt_dscnt 0x0
	v_mul_f64_e32 v[142:143], v[4:5], v[156:157]
	v_mul_f64_e32 v[148:149], v[6:7], v[156:157]
	s_delay_alu instid0(VALU_DEP_4) | instskip(NEXT) | instid1(VALU_DEP_4)
	v_add_f64_e32 v[10:11], v[12:13], v[146:147]
	v_add_f64_e32 v[12:13], v[14:15], v[166:167]
	s_delay_alu instid0(VALU_DEP_4) | instskip(NEXT) | instid1(VALU_DEP_4)
	v_fmac_f64_e32 v[142:143], v[6:7], v[154:155]
	v_fma_f64 v[4:5], v[4:5], v[154:155], -v[148:149]
	s_delay_alu instid0(VALU_DEP_4) | instskip(NEXT) | instid1(VALU_DEP_4)
	v_add_f64_e32 v[6:7], v[10:11], v[8:9]
	v_add_f64_e32 v[8:9], v[12:13], v[144:145]
	s_delay_alu instid0(VALU_DEP_2) | instskip(NEXT) | instid1(VALU_DEP_2)
	v_add_f64_e32 v[4:5], v[6:7], v[4:5]
	v_add_f64_e32 v[6:7], v[8:9], v[142:143]
	s_delay_alu instid0(VALU_DEP_2) | instskip(NEXT) | instid1(VALU_DEP_2)
	v_add_f64_e64 v[4:5], v[178:179], -v[4:5]
	v_add_f64_e64 v[6:7], v[180:181], -v[6:7]
	scratch_store_b128 off, v[4:7], off offset:96
	s_wait_xcnt 0x0
	v_cmpx_lt_u32_e32 5, v1
	s_cbranch_execz .LBB61_387
; %bb.386:
	scratch_load_b128 v[6:9], off, s75
	v_dual_mov_b32 v3, v2 :: v_dual_mov_b32 v4, v2
	v_mov_b32_e32 v5, v2
	scratch_store_b128 off, v[2:5], off offset:80
	s_wait_loadcnt 0x0
	ds_store_b128 v16, v[6:9]
.LBB61_387:
	s_wait_xcnt 0x0
	s_or_b32 exec_lo, exec_lo, s2
	s_wait_storecnt_dscnt 0x0
	s_barrier_signal -1
	s_barrier_wait -1
	s_clause 0x9
	scratch_load_b128 v[4:7], off, off offset:96
	scratch_load_b128 v[8:11], off, off offset:112
	;; [unrolled: 1-line block ×10, first 2 shown]
	ds_load_b128 v[170:173], v2 offset:1088
	ds_load_b128 v[178:181], v2 offset:1104
	s_clause 0x2
	scratch_load_b128 v[174:177], off, off offset:256
	scratch_load_b128 v[182:185], off, off offset:80
	scratch_load_b128 v[186:189], off, off offset:272
	s_mov_b32 s2, exec_lo
	s_wait_loadcnt_dscnt 0xc01
	v_mul_f64_e32 v[190:191], v[172:173], v[6:7]
	v_mul_f64_e32 v[194:195], v[170:171], v[6:7]
	s_wait_loadcnt_dscnt 0xb00
	v_mul_f64_e32 v[196:197], v[178:179], v[10:11]
	v_mul_f64_e32 v[10:11], v[180:181], v[10:11]
	s_delay_alu instid0(VALU_DEP_4) | instskip(NEXT) | instid1(VALU_DEP_4)
	v_fma_f64 v[198:199], v[170:171], v[4:5], -v[190:191]
	v_fmac_f64_e32 v[194:195], v[172:173], v[4:5]
	ds_load_b128 v[4:7], v2 offset:1120
	ds_load_b128 v[170:173], v2 offset:1136
	scratch_load_b128 v[190:193], off, off offset:288
	v_fmac_f64_e32 v[196:197], v[180:181], v[8:9]
	v_fma_f64 v[178:179], v[178:179], v[8:9], -v[10:11]
	scratch_load_b128 v[8:11], off, off offset:304
	s_wait_loadcnt_dscnt 0xc01
	v_mul_f64_e32 v[200:201], v[4:5], v[14:15]
	v_mul_f64_e32 v[14:15], v[6:7], v[14:15]
	v_add_f64_e32 v[180:181], 0, v[198:199]
	v_add_f64_e32 v[194:195], 0, v[194:195]
	s_wait_loadcnt_dscnt 0xb00
	v_mul_f64_e32 v[198:199], v[170:171], v[144:145]
	v_mul_f64_e32 v[144:145], v[172:173], v[144:145]
	v_fmac_f64_e32 v[200:201], v[6:7], v[12:13]
	v_fma_f64 v[202:203], v[4:5], v[12:13], -v[14:15]
	ds_load_b128 v[4:7], v2 offset:1152
	ds_load_b128 v[12:15], v2 offset:1168
	v_add_f64_e32 v[204:205], v[180:181], v[178:179]
	v_add_f64_e32 v[194:195], v[194:195], v[196:197]
	scratch_load_b128 v[178:181], off, off offset:320
	v_fmac_f64_e32 v[198:199], v[172:173], v[142:143]
	v_fma_f64 v[170:171], v[170:171], v[142:143], -v[144:145]
	scratch_load_b128 v[142:145], off, off offset:336
	s_wait_loadcnt_dscnt 0xc01
	v_mul_f64_e32 v[196:197], v[4:5], v[148:149]
	v_mul_f64_e32 v[148:149], v[6:7], v[148:149]
	v_add_f64_e32 v[172:173], v[204:205], v[202:203]
	v_add_f64_e32 v[194:195], v[194:195], v[200:201]
	s_wait_loadcnt_dscnt 0xb00
	v_mul_f64_e32 v[200:201], v[12:13], v[152:153]
	v_mul_f64_e32 v[152:153], v[14:15], v[152:153]
	v_fmac_f64_e32 v[196:197], v[6:7], v[146:147]
	v_fma_f64 v[202:203], v[4:5], v[146:147], -v[148:149]
	ds_load_b128 v[4:7], v2 offset:1184
	ds_load_b128 v[146:149], v2 offset:1200
	v_add_f64_e32 v[204:205], v[172:173], v[170:171]
	v_add_f64_e32 v[194:195], v[194:195], v[198:199]
	scratch_load_b128 v[170:173], off, off offset:352
	s_wait_loadcnt_dscnt 0xb01
	v_mul_f64_e32 v[198:199], v[4:5], v[156:157]
	v_mul_f64_e32 v[156:157], v[6:7], v[156:157]
	v_fmac_f64_e32 v[200:201], v[14:15], v[150:151]
	v_fma_f64 v[150:151], v[12:13], v[150:151], -v[152:153]
	scratch_load_b128 v[12:15], off, off offset:368
	v_add_f64_e32 v[152:153], v[204:205], v[202:203]
	v_add_f64_e32 v[194:195], v[194:195], v[196:197]
	s_wait_loadcnt_dscnt 0xb00
	v_mul_f64_e32 v[196:197], v[146:147], v[160:161]
	v_mul_f64_e32 v[160:161], v[148:149], v[160:161]
	v_fmac_f64_e32 v[198:199], v[6:7], v[154:155]
	v_fma_f64 v[202:203], v[4:5], v[154:155], -v[156:157]
	v_add_f64_e32 v[204:205], v[152:153], v[150:151]
	v_add_f64_e32 v[194:195], v[194:195], v[200:201]
	ds_load_b128 v[4:7], v2 offset:1216
	ds_load_b128 v[150:153], v2 offset:1232
	scratch_load_b128 v[154:157], off, off offset:384
	v_fmac_f64_e32 v[196:197], v[148:149], v[158:159]
	v_fma_f64 v[158:159], v[146:147], v[158:159], -v[160:161]
	scratch_load_b128 v[146:149], off, off offset:400
	s_wait_loadcnt_dscnt 0xc01
	v_mul_f64_e32 v[200:201], v[4:5], v[164:165]
	v_mul_f64_e32 v[164:165], v[6:7], v[164:165]
	v_add_f64_e32 v[160:161], v[204:205], v[202:203]
	v_add_f64_e32 v[194:195], v[194:195], v[198:199]
	s_wait_loadcnt_dscnt 0xb00
	v_mul_f64_e32 v[198:199], v[150:151], v[168:169]
	v_mul_f64_e32 v[168:169], v[152:153], v[168:169]
	v_fmac_f64_e32 v[200:201], v[6:7], v[162:163]
	v_fma_f64 v[202:203], v[4:5], v[162:163], -v[164:165]
	v_add_f64_e32 v[204:205], v[160:161], v[158:159]
	v_add_f64_e32 v[194:195], v[194:195], v[196:197]
	ds_load_b128 v[4:7], v2 offset:1248
	ds_load_b128 v[158:161], v2 offset:1264
	scratch_load_b128 v[162:165], off, off offset:416
	v_fmac_f64_e32 v[198:199], v[152:153], v[166:167]
	v_fma_f64 v[166:167], v[150:151], v[166:167], -v[168:169]
	scratch_load_b128 v[150:153], off, off offset:432
	s_wait_loadcnt_dscnt 0xc01
	v_mul_f64_e32 v[196:197], v[4:5], v[176:177]
	v_mul_f64_e32 v[176:177], v[6:7], v[176:177]
	;; [unrolled: 18-line block ×5, first 2 shown]
	v_add_f64_e32 v[188:189], v[204:205], v[202:203]
	v_add_f64_e32 v[194:195], v[194:195], v[200:201]
	s_wait_loadcnt_dscnt 0xa00
	v_mul_f64_e32 v[200:201], v[166:167], v[14:15]
	v_mul_f64_e32 v[14:15], v[168:169], v[14:15]
	v_fmac_f64_e32 v[196:197], v[6:7], v[170:171]
	v_fma_f64 v[202:203], v[4:5], v[170:171], -v[172:173]
	ds_load_b128 v[4:7], v2 offset:1376
	ds_load_b128 v[170:173], v2 offset:1392
	v_add_f64_e32 v[204:205], v[188:189], v[186:187]
	v_add_f64_e32 v[194:195], v[194:195], v[198:199]
	scratch_load_b128 v[186:189], off, off offset:544
	v_fmac_f64_e32 v[200:201], v[168:169], v[12:13]
	v_fma_f64 v[166:167], v[166:167], v[12:13], -v[14:15]
	scratch_load_b128 v[12:15], off, off offset:560
	s_wait_loadcnt_dscnt 0xb01
	v_mul_f64_e32 v[198:199], v[4:5], v[156:157]
	v_mul_f64_e32 v[156:157], v[6:7], v[156:157]
	v_add_f64_e32 v[168:169], v[204:205], v[202:203]
	v_add_f64_e32 v[194:195], v[194:195], v[196:197]
	s_wait_loadcnt_dscnt 0xa00
	v_mul_f64_e32 v[196:197], v[170:171], v[148:149]
	v_mul_f64_e32 v[148:149], v[172:173], v[148:149]
	v_fmac_f64_e32 v[198:199], v[6:7], v[154:155]
	v_fma_f64 v[202:203], v[4:5], v[154:155], -v[156:157]
	ds_load_b128 v[4:7], v2 offset:1408
	ds_load_b128 v[154:157], v2 offset:1424
	v_add_f64_e32 v[204:205], v[168:169], v[166:167]
	v_add_f64_e32 v[194:195], v[194:195], v[200:201]
	scratch_load_b128 v[166:169], off, off offset:576
	s_wait_loadcnt_dscnt 0xa01
	v_mul_f64_e32 v[200:201], v[4:5], v[164:165]
	v_mul_f64_e32 v[164:165], v[6:7], v[164:165]
	v_fmac_f64_e32 v[196:197], v[172:173], v[146:147]
	v_fma_f64 v[170:171], v[170:171], v[146:147], -v[148:149]
	scratch_load_b128 v[146:149], off, off offset:592
	v_add_f64_e32 v[172:173], v[204:205], v[202:203]
	v_add_f64_e32 v[194:195], v[194:195], v[198:199]
	s_wait_loadcnt_dscnt 0xa00
	v_mul_f64_e32 v[198:199], v[154:155], v[152:153]
	v_mul_f64_e32 v[152:153], v[156:157], v[152:153]
	v_fmac_f64_e32 v[200:201], v[6:7], v[162:163]
	v_fma_f64 v[202:203], v[4:5], v[162:163], -v[164:165]
	ds_load_b128 v[4:7], v2 offset:1440
	ds_load_b128 v[162:165], v2 offset:1456
	v_add_f64_e32 v[204:205], v[172:173], v[170:171]
	v_add_f64_e32 v[194:195], v[194:195], v[196:197]
	scratch_load_b128 v[170:173], off, off offset:608
	s_wait_loadcnt_dscnt 0xa01
	v_mul_f64_e32 v[196:197], v[4:5], v[176:177]
	v_mul_f64_e32 v[176:177], v[6:7], v[176:177]
	v_fmac_f64_e32 v[198:199], v[156:157], v[150:151]
	v_fma_f64 v[154:155], v[154:155], v[150:151], -v[152:153]
	scratch_load_b128 v[150:153], off, off offset:624
	v_add_f64_e32 v[156:157], v[204:205], v[202:203]
	v_add_f64_e32 v[194:195], v[194:195], v[200:201]
	s_wait_loadcnt_dscnt 0xa00
	v_mul_f64_e32 v[200:201], v[162:163], v[160:161]
	v_mul_f64_e32 v[160:161], v[164:165], v[160:161]
	v_fmac_f64_e32 v[196:197], v[6:7], v[174:175]
	v_fma_f64 v[202:203], v[4:5], v[174:175], -v[176:177]
	v_add_f64_e32 v[204:205], v[156:157], v[154:155]
	v_add_f64_e32 v[194:195], v[194:195], v[198:199]
	ds_load_b128 v[4:7], v2 offset:1472
	ds_load_b128 v[154:157], v2 offset:1488
	scratch_load_b128 v[174:177], off, off offset:640
	v_fmac_f64_e32 v[200:201], v[164:165], v[158:159]
	v_fma_f64 v[162:163], v[162:163], v[158:159], -v[160:161]
	scratch_load_b128 v[158:161], off, off offset:656
	s_wait_loadcnt_dscnt 0xb01
	v_mul_f64_e32 v[198:199], v[4:5], v[192:193]
	v_mul_f64_e32 v[192:193], v[6:7], v[192:193]
	v_add_f64_e32 v[164:165], v[204:205], v[202:203]
	v_add_f64_e32 v[194:195], v[194:195], v[196:197]
	s_wait_loadcnt_dscnt 0xa00
	v_mul_f64_e32 v[196:197], v[154:155], v[10:11]
	v_mul_f64_e32 v[10:11], v[156:157], v[10:11]
	v_fmac_f64_e32 v[198:199], v[6:7], v[190:191]
	v_fma_f64 v[202:203], v[4:5], v[190:191], -v[192:193]
	v_add_f64_e32 v[204:205], v[164:165], v[162:163]
	v_add_f64_e32 v[194:195], v[194:195], v[200:201]
	ds_load_b128 v[4:7], v2 offset:1504
	ds_load_b128 v[162:165], v2 offset:1520
	scratch_load_b128 v[190:193], off, off offset:672
	v_fmac_f64_e32 v[196:197], v[156:157], v[8:9]
	v_fma_f64 v[154:155], v[154:155], v[8:9], -v[10:11]
	scratch_load_b128 v[8:11], off, off offset:688
	s_wait_loadcnt_dscnt 0xb01
	v_mul_f64_e32 v[200:201], v[4:5], v[180:181]
	v_mul_f64_e32 v[180:181], v[6:7], v[180:181]
	;; [unrolled: 18-line block ×11, first 2 shown]
	v_add_f64_e32 v[164:165], v[204:205], v[202:203]
	v_add_f64_e32 v[194:195], v[194:195], v[198:199]
	s_wait_loadcnt_dscnt 0xa00
	v_mul_f64_e32 v[198:199], v[154:155], v[152:153]
	v_mul_f64_e32 v[152:153], v[156:157], v[152:153]
	v_fmac_f64_e32 v[200:201], v[6:7], v[170:171]
	v_fma_f64 v[170:171], v[4:5], v[170:171], -v[172:173]
	v_add_f64_e32 v[172:173], v[164:165], v[162:163]
	v_add_f64_e32 v[194:195], v[194:195], v[196:197]
	ds_load_b128 v[4:7], v2 offset:1824
	ds_load_b128 v[162:165], v2 offset:1840
	v_fmac_f64_e32 v[198:199], v[156:157], v[150:151]
	v_fma_f64 v[150:151], v[154:155], v[150:151], -v[152:153]
	s_wait_loadcnt_dscnt 0x901
	v_mul_f64_e32 v[196:197], v[4:5], v[176:177]
	v_mul_f64_e32 v[176:177], v[6:7], v[176:177]
	s_wait_loadcnt_dscnt 0x800
	v_mul_f64_e32 v[156:157], v[162:163], v[160:161]
	v_mul_f64_e32 v[160:161], v[164:165], v[160:161]
	v_add_f64_e32 v[152:153], v[172:173], v[170:171]
	v_add_f64_e32 v[154:155], v[194:195], v[200:201]
	v_fmac_f64_e32 v[196:197], v[6:7], v[174:175]
	v_fma_f64 v[170:171], v[4:5], v[174:175], -v[176:177]
	v_fmac_f64_e32 v[156:157], v[164:165], v[158:159]
	v_fma_f64 v[158:159], v[162:163], v[158:159], -v[160:161]
	v_add_f64_e32 v[172:173], v[152:153], v[150:151]
	v_add_f64_e32 v[154:155], v[154:155], v[198:199]
	ds_load_b128 v[4:7], v2 offset:1856
	ds_load_b128 v[150:153], v2 offset:1872
	s_wait_loadcnt_dscnt 0x701
	v_mul_f64_e32 v[174:175], v[4:5], v[192:193]
	v_mul_f64_e32 v[176:177], v[6:7], v[192:193]
	s_wait_loadcnt_dscnt 0x600
	v_mul_f64_e32 v[162:163], v[150:151], v[10:11]
	v_mul_f64_e32 v[10:11], v[152:153], v[10:11]
	v_add_f64_e32 v[160:161], v[172:173], v[170:171]
	v_add_f64_e32 v[154:155], v[154:155], v[196:197]
	v_fmac_f64_e32 v[174:175], v[6:7], v[190:191]
	v_fma_f64 v[164:165], v[4:5], v[190:191], -v[176:177]
	v_fmac_f64_e32 v[162:163], v[152:153], v[8:9]
	v_fma_f64 v[8:9], v[150:151], v[8:9], -v[10:11]
	v_add_f64_e32 v[158:159], v[160:161], v[158:159]
	v_add_f64_e32 v[160:161], v[154:155], v[156:157]
	ds_load_b128 v[4:7], v2 offset:1888
	ds_load_b128 v[154:157], v2 offset:1904
	;; [unrolled: 16-line block ×4, first 2 shown]
	s_wait_loadcnt_dscnt 0x101
	v_mul_f64_e32 v[2:3], v[4:5], v[168:169]
	v_mul_f64_e32 v[152:153], v[6:7], v[168:169]
	s_wait_loadcnt_dscnt 0x0
	v_mul_f64_e32 v[14:15], v[142:143], v[148:149]
	v_mul_f64_e32 v[148:149], v[144:145], v[148:149]
	v_add_f64_e32 v[10:11], v[158:159], v[156:157]
	v_add_f64_e32 v[12:13], v[150:151], v[162:163]
	v_fmac_f64_e32 v[2:3], v[6:7], v[166:167]
	v_fma_f64 v[4:5], v[4:5], v[166:167], -v[152:153]
	v_fmac_f64_e32 v[14:15], v[144:145], v[146:147]
	v_add_f64_e32 v[6:7], v[10:11], v[8:9]
	v_add_f64_e32 v[8:9], v[12:13], v[154:155]
	v_fma_f64 v[10:11], v[142:143], v[146:147], -v[148:149]
	s_delay_alu instid0(VALU_DEP_3) | instskip(NEXT) | instid1(VALU_DEP_3)
	v_add_f64_e32 v[4:5], v[6:7], v[4:5]
	v_add_f64_e32 v[2:3], v[8:9], v[2:3]
	s_delay_alu instid0(VALU_DEP_2) | instskip(NEXT) | instid1(VALU_DEP_2)
	v_add_f64_e32 v[4:5], v[4:5], v[10:11]
	v_add_f64_e32 v[6:7], v[2:3], v[14:15]
	s_delay_alu instid0(VALU_DEP_2) | instskip(NEXT) | instid1(VALU_DEP_2)
	v_add_f64_e64 v[2:3], v[182:183], -v[4:5]
	v_add_f64_e64 v[4:5], v[184:185], -v[6:7]
	scratch_store_b128 off, v[2:5], off offset:80
	s_wait_xcnt 0x0
	v_cmpx_lt_u32_e32 4, v1
	s_cbranch_execz .LBB61_389
; %bb.388:
	scratch_load_b128 v[2:5], off, s51
	v_mov_b32_e32 v6, 0
	s_delay_alu instid0(VALU_DEP_1)
	v_dual_mov_b32 v7, v6 :: v_dual_mov_b32 v8, v6
	v_mov_b32_e32 v9, v6
	scratch_store_b128 off, v[6:9], off offset:64
	s_wait_loadcnt 0x0
	ds_store_b128 v16, v[2:5]
.LBB61_389:
	s_wait_xcnt 0x0
	s_or_b32 exec_lo, exec_lo, s2
	s_wait_storecnt_dscnt 0x0
	s_barrier_signal -1
	s_barrier_wait -1
	s_clause 0x9
	scratch_load_b128 v[4:7], off, off offset:80
	scratch_load_b128 v[8:11], off, off offset:96
	;; [unrolled: 1-line block ×10, first 2 shown]
	v_mov_b32_e32 v2, 0
	s_mov_b32 s2, exec_lo
	ds_load_b128 v[170:173], v2 offset:1072
	s_clause 0x2
	scratch_load_b128 v[174:177], off, off offset:240
	scratch_load_b128 v[178:181], off, off offset:64
	;; [unrolled: 1-line block ×3, first 2 shown]
	s_wait_loadcnt_dscnt 0xc00
	v_mul_f64_e32 v[190:191], v[172:173], v[6:7]
	v_mul_f64_e32 v[194:195], v[170:171], v[6:7]
	ds_load_b128 v[182:185], v2 offset:1088
	v_fma_f64 v[198:199], v[170:171], v[4:5], -v[190:191]
	v_fmac_f64_e32 v[194:195], v[172:173], v[4:5]
	ds_load_b128 v[4:7], v2 offset:1104
	s_wait_loadcnt_dscnt 0xb01
	v_mul_f64_e32 v[196:197], v[182:183], v[10:11]
	v_mul_f64_e32 v[10:11], v[184:185], v[10:11]
	scratch_load_b128 v[170:173], off, off offset:272
	ds_load_b128 v[190:193], v2 offset:1120
	s_wait_loadcnt_dscnt 0xb01
	v_mul_f64_e32 v[200:201], v[4:5], v[14:15]
	v_mul_f64_e32 v[14:15], v[6:7], v[14:15]
	v_add_f64_e32 v[194:195], 0, v[194:195]
	v_fmac_f64_e32 v[196:197], v[184:185], v[8:9]
	v_fma_f64 v[182:183], v[182:183], v[8:9], -v[10:11]
	v_add_f64_e32 v[184:185], 0, v[198:199]
	scratch_load_b128 v[8:11], off, off offset:288
	v_fmac_f64_e32 v[200:201], v[6:7], v[12:13]
	v_fma_f64 v[202:203], v[4:5], v[12:13], -v[14:15]
	ds_load_b128 v[4:7], v2 offset:1136
	s_wait_loadcnt_dscnt 0xb01
	v_mul_f64_e32 v[198:199], v[190:191], v[144:145]
	v_mul_f64_e32 v[144:145], v[192:193], v[144:145]
	scratch_load_b128 v[12:15], off, off offset:304
	v_add_f64_e32 v[194:195], v[194:195], v[196:197]
	v_add_f64_e32 v[204:205], v[184:185], v[182:183]
	ds_load_b128 v[182:185], v2 offset:1152
	s_wait_loadcnt_dscnt 0xb01
	v_mul_f64_e32 v[196:197], v[4:5], v[148:149]
	v_mul_f64_e32 v[148:149], v[6:7], v[148:149]
	v_fmac_f64_e32 v[198:199], v[192:193], v[142:143]
	v_fma_f64 v[190:191], v[190:191], v[142:143], -v[144:145]
	scratch_load_b128 v[142:145], off, off offset:320
	v_add_f64_e32 v[194:195], v[194:195], v[200:201]
	v_add_f64_e32 v[192:193], v[204:205], v[202:203]
	v_fmac_f64_e32 v[196:197], v[6:7], v[146:147]
	v_fma_f64 v[202:203], v[4:5], v[146:147], -v[148:149]
	ds_load_b128 v[4:7], v2 offset:1168
	s_wait_loadcnt_dscnt 0xb01
	v_mul_f64_e32 v[200:201], v[182:183], v[152:153]
	v_mul_f64_e32 v[152:153], v[184:185], v[152:153]
	scratch_load_b128 v[146:149], off, off offset:336
	v_add_f64_e32 v[194:195], v[194:195], v[198:199]
	s_wait_loadcnt_dscnt 0xb00
	v_mul_f64_e32 v[198:199], v[4:5], v[156:157]
	v_add_f64_e32 v[204:205], v[192:193], v[190:191]
	v_mul_f64_e32 v[156:157], v[6:7], v[156:157]
	ds_load_b128 v[190:193], v2 offset:1184
	v_fmac_f64_e32 v[200:201], v[184:185], v[150:151]
	v_fma_f64 v[182:183], v[182:183], v[150:151], -v[152:153]
	scratch_load_b128 v[150:153], off, off offset:352
	v_add_f64_e32 v[194:195], v[194:195], v[196:197]
	v_fmac_f64_e32 v[198:199], v[6:7], v[154:155]
	v_add_f64_e32 v[184:185], v[204:205], v[202:203]
	v_fma_f64 v[202:203], v[4:5], v[154:155], -v[156:157]
	ds_load_b128 v[4:7], v2 offset:1200
	s_wait_loadcnt_dscnt 0xb01
	v_mul_f64_e32 v[196:197], v[190:191], v[160:161]
	v_mul_f64_e32 v[160:161], v[192:193], v[160:161]
	scratch_load_b128 v[154:157], off, off offset:368
	v_add_f64_e32 v[194:195], v[194:195], v[200:201]
	s_wait_loadcnt_dscnt 0xb00
	v_mul_f64_e32 v[200:201], v[4:5], v[164:165]
	v_add_f64_e32 v[204:205], v[184:185], v[182:183]
	v_mul_f64_e32 v[164:165], v[6:7], v[164:165]
	ds_load_b128 v[182:185], v2 offset:1216
	v_fmac_f64_e32 v[196:197], v[192:193], v[158:159]
	v_fma_f64 v[190:191], v[190:191], v[158:159], -v[160:161]
	scratch_load_b128 v[158:161], off, off offset:384
	v_add_f64_e32 v[194:195], v[194:195], v[198:199]
	v_fmac_f64_e32 v[200:201], v[6:7], v[162:163]
	v_add_f64_e32 v[192:193], v[204:205], v[202:203]
	;; [unrolled: 18-line block ×3, first 2 shown]
	v_fma_f64 v[202:203], v[4:5], v[174:175], -v[176:177]
	ds_load_b128 v[4:7], v2 offset:1264
	s_wait_loadcnt_dscnt 0xa01
	v_mul_f64_e32 v[200:201], v[190:191], v[188:189]
	v_mul_f64_e32 v[188:189], v[192:193], v[188:189]
	scratch_load_b128 v[174:177], off, off offset:432
	v_add_f64_e32 v[194:195], v[194:195], v[198:199]
	v_add_f64_e32 v[204:205], v[184:185], v[182:183]
	s_wait_loadcnt_dscnt 0xa00
	v_mul_f64_e32 v[198:199], v[4:5], v[172:173]
	v_mul_f64_e32 v[172:173], v[6:7], v[172:173]
	v_fmac_f64_e32 v[200:201], v[192:193], v[186:187]
	v_fma_f64 v[190:191], v[190:191], v[186:187], -v[188:189]
	ds_load_b128 v[182:185], v2 offset:1280
	scratch_load_b128 v[186:189], off, off offset:448
	v_add_f64_e32 v[194:195], v[194:195], v[196:197]
	v_add_f64_e32 v[192:193], v[204:205], v[202:203]
	v_fmac_f64_e32 v[198:199], v[6:7], v[170:171]
	v_fma_f64 v[202:203], v[4:5], v[170:171], -v[172:173]
	ds_load_b128 v[4:7], v2 offset:1296
	s_wait_loadcnt_dscnt 0xa01
	v_mul_f64_e32 v[196:197], v[182:183], v[10:11]
	v_mul_f64_e32 v[10:11], v[184:185], v[10:11]
	scratch_load_b128 v[170:173], off, off offset:464
	v_add_f64_e32 v[194:195], v[194:195], v[200:201]
	s_wait_loadcnt_dscnt 0xa00
	v_mul_f64_e32 v[200:201], v[4:5], v[14:15]
	v_add_f64_e32 v[204:205], v[192:193], v[190:191]
	v_mul_f64_e32 v[14:15], v[6:7], v[14:15]
	ds_load_b128 v[190:193], v2 offset:1312
	v_fmac_f64_e32 v[196:197], v[184:185], v[8:9]
	v_fma_f64 v[182:183], v[182:183], v[8:9], -v[10:11]
	scratch_load_b128 v[8:11], off, off offset:480
	v_add_f64_e32 v[194:195], v[194:195], v[198:199]
	v_fmac_f64_e32 v[200:201], v[6:7], v[12:13]
	v_add_f64_e32 v[184:185], v[204:205], v[202:203]
	v_fma_f64 v[202:203], v[4:5], v[12:13], -v[14:15]
	ds_load_b128 v[4:7], v2 offset:1328
	s_wait_loadcnt_dscnt 0xa01
	v_mul_f64_e32 v[198:199], v[190:191], v[144:145]
	v_mul_f64_e32 v[144:145], v[192:193], v[144:145]
	scratch_load_b128 v[12:15], off, off offset:496
	v_add_f64_e32 v[194:195], v[194:195], v[196:197]
	s_wait_loadcnt_dscnt 0xa00
	v_mul_f64_e32 v[196:197], v[4:5], v[148:149]
	v_add_f64_e32 v[204:205], v[184:185], v[182:183]
	v_mul_f64_e32 v[148:149], v[6:7], v[148:149]
	ds_load_b128 v[182:185], v2 offset:1344
	v_fmac_f64_e32 v[198:199], v[192:193], v[142:143]
	v_fma_f64 v[190:191], v[190:191], v[142:143], -v[144:145]
	scratch_load_b128 v[142:145], off, off offset:512
	v_add_f64_e32 v[194:195], v[194:195], v[200:201]
	v_fmac_f64_e32 v[196:197], v[6:7], v[146:147]
	v_add_f64_e32 v[192:193], v[204:205], v[202:203]
	;; [unrolled: 18-line block ×16, first 2 shown]
	v_fma_f64 v[202:203], v[4:5], v[162:163], -v[164:165]
	ds_load_b128 v[4:7], v2 offset:1808
	s_wait_loadcnt_dscnt 0xa01
	v_mul_f64_e32 v[198:199], v[182:183], v[168:169]
	v_mul_f64_e32 v[168:169], v[184:185], v[168:169]
	scratch_load_b128 v[162:165], off, off offset:976
	v_add_f64_e32 v[194:195], v[194:195], v[196:197]
	s_wait_loadcnt_dscnt 0xa00
	v_mul_f64_e32 v[196:197], v[4:5], v[176:177]
	v_add_f64_e32 v[204:205], v[192:193], v[190:191]
	v_mul_f64_e32 v[176:177], v[6:7], v[176:177]
	ds_load_b128 v[190:193], v2 offset:1824
	v_fmac_f64_e32 v[198:199], v[184:185], v[166:167]
	v_fma_f64 v[166:167], v[182:183], v[166:167], -v[168:169]
	s_wait_loadcnt_dscnt 0x900
	v_mul_f64_e32 v[184:185], v[190:191], v[188:189]
	v_mul_f64_e32 v[188:189], v[192:193], v[188:189]
	v_add_f64_e32 v[182:183], v[194:195], v[200:201]
	v_fmac_f64_e32 v[196:197], v[6:7], v[174:175]
	v_add_f64_e32 v[168:169], v[204:205], v[202:203]
	v_fma_f64 v[174:175], v[4:5], v[174:175], -v[176:177]
	v_fmac_f64_e32 v[184:185], v[192:193], v[186:187]
	v_fma_f64 v[186:187], v[190:191], v[186:187], -v[188:189]
	v_add_f64_e32 v[182:183], v[182:183], v[198:199]
	v_add_f64_e32 v[176:177], v[168:169], v[166:167]
	ds_load_b128 v[4:7], v2 offset:1840
	ds_load_b128 v[166:169], v2 offset:1856
	s_wait_loadcnt_dscnt 0x801
	v_mul_f64_e32 v[194:195], v[4:5], v[172:173]
	v_mul_f64_e32 v[172:173], v[6:7], v[172:173]
	v_add_f64_e32 v[174:175], v[176:177], v[174:175]
	v_add_f64_e32 v[176:177], v[182:183], v[196:197]
	s_wait_loadcnt_dscnt 0x700
	v_mul_f64_e32 v[182:183], v[166:167], v[10:11]
	v_mul_f64_e32 v[10:11], v[168:169], v[10:11]
	v_fmac_f64_e32 v[194:195], v[6:7], v[170:171]
	v_fma_f64 v[188:189], v[4:5], v[170:171], -v[172:173]
	ds_load_b128 v[4:7], v2 offset:1872
	ds_load_b128 v[170:173], v2 offset:1888
	v_add_f64_e32 v[174:175], v[174:175], v[186:187]
	v_add_f64_e32 v[176:177], v[176:177], v[184:185]
	v_fmac_f64_e32 v[182:183], v[168:169], v[8:9]
	v_fma_f64 v[8:9], v[166:167], v[8:9], -v[10:11]
	s_wait_loadcnt_dscnt 0x601
	v_mul_f64_e32 v[184:185], v[4:5], v[14:15]
	v_mul_f64_e32 v[14:15], v[6:7], v[14:15]
	s_wait_loadcnt_dscnt 0x500
	v_mul_f64_e32 v[168:169], v[170:171], v[144:145]
	v_mul_f64_e32 v[144:145], v[172:173], v[144:145]
	v_add_f64_e32 v[10:11], v[174:175], v[188:189]
	v_add_f64_e32 v[166:167], v[176:177], v[194:195]
	v_fmac_f64_e32 v[184:185], v[6:7], v[12:13]
	v_fma_f64 v[12:13], v[4:5], v[12:13], -v[14:15]
	v_fmac_f64_e32 v[168:169], v[172:173], v[142:143]
	v_fma_f64 v[142:143], v[170:171], v[142:143], -v[144:145]
	v_add_f64_e32 v[14:15], v[10:11], v[8:9]
	v_add_f64_e32 v[166:167], v[166:167], v[182:183]
	ds_load_b128 v[4:7], v2 offset:1904
	ds_load_b128 v[8:11], v2 offset:1920
	s_wait_loadcnt_dscnt 0x401
	v_mul_f64_e32 v[174:175], v[4:5], v[148:149]
	v_mul_f64_e32 v[148:149], v[6:7], v[148:149]
	s_wait_loadcnt_dscnt 0x300
	v_mul_f64_e32 v[144:145], v[8:9], v[152:153]
	v_mul_f64_e32 v[152:153], v[10:11], v[152:153]
	v_add_f64_e32 v[12:13], v[14:15], v[12:13]
	v_add_f64_e32 v[14:15], v[166:167], v[184:185]
	v_fmac_f64_e32 v[174:175], v[6:7], v[146:147]
	v_fma_f64 v[146:147], v[4:5], v[146:147], -v[148:149]
	v_fmac_f64_e32 v[144:145], v[10:11], v[150:151]
	v_fma_f64 v[8:9], v[8:9], v[150:151], -v[152:153]
	v_add_f64_e32 v[142:143], v[12:13], v[142:143]
	v_add_f64_e32 v[148:149], v[14:15], v[168:169]
	ds_load_b128 v[4:7], v2 offset:1936
	ds_load_b128 v[12:15], v2 offset:1952
	s_wait_loadcnt_dscnt 0x201
	v_mul_f64_e32 v[166:167], v[4:5], v[156:157]
	v_mul_f64_e32 v[156:157], v[6:7], v[156:157]
	v_add_f64_e32 v[10:11], v[142:143], v[146:147]
	v_add_f64_e32 v[142:143], v[148:149], v[174:175]
	s_wait_loadcnt_dscnt 0x100
	v_mul_f64_e32 v[146:147], v[12:13], v[160:161]
	v_mul_f64_e32 v[148:149], v[14:15], v[160:161]
	v_fmac_f64_e32 v[166:167], v[6:7], v[154:155]
	v_fma_f64 v[150:151], v[4:5], v[154:155], -v[156:157]
	ds_load_b128 v[4:7], v2 offset:1968
	v_add_f64_e32 v[8:9], v[10:11], v[8:9]
	v_add_f64_e32 v[10:11], v[142:143], v[144:145]
	v_fmac_f64_e32 v[146:147], v[14:15], v[158:159]
	v_fma_f64 v[12:13], v[12:13], v[158:159], -v[148:149]
	s_wait_loadcnt_dscnt 0x0
	v_mul_f64_e32 v[142:143], v[4:5], v[164:165]
	v_mul_f64_e32 v[144:145], v[6:7], v[164:165]
	v_add_f64_e32 v[8:9], v[8:9], v[150:151]
	v_add_f64_e32 v[10:11], v[10:11], v[166:167]
	s_delay_alu instid0(VALU_DEP_4) | instskip(NEXT) | instid1(VALU_DEP_4)
	v_fmac_f64_e32 v[142:143], v[6:7], v[162:163]
	v_fma_f64 v[4:5], v[4:5], v[162:163], -v[144:145]
	s_delay_alu instid0(VALU_DEP_4) | instskip(NEXT) | instid1(VALU_DEP_4)
	v_add_f64_e32 v[6:7], v[8:9], v[12:13]
	v_add_f64_e32 v[8:9], v[10:11], v[146:147]
	s_delay_alu instid0(VALU_DEP_2) | instskip(NEXT) | instid1(VALU_DEP_2)
	v_add_f64_e32 v[4:5], v[6:7], v[4:5]
	v_add_f64_e32 v[6:7], v[8:9], v[142:143]
	s_delay_alu instid0(VALU_DEP_2) | instskip(NEXT) | instid1(VALU_DEP_2)
	v_add_f64_e64 v[4:5], v[178:179], -v[4:5]
	v_add_f64_e64 v[6:7], v[180:181], -v[6:7]
	scratch_store_b128 off, v[4:7], off offset:64
	s_wait_xcnt 0x0
	v_cmpx_lt_u32_e32 3, v1
	s_cbranch_execz .LBB61_391
; %bb.390:
	scratch_load_b128 v[6:9], off, s52
	v_dual_mov_b32 v3, v2 :: v_dual_mov_b32 v4, v2
	v_mov_b32_e32 v5, v2
	scratch_store_b128 off, v[2:5], off offset:48
	s_wait_loadcnt 0x0
	ds_store_b128 v16, v[6:9]
.LBB61_391:
	s_wait_xcnt 0x0
	s_or_b32 exec_lo, exec_lo, s2
	s_wait_storecnt_dscnt 0x0
	s_barrier_signal -1
	s_barrier_wait -1
	s_clause 0x9
	scratch_load_b128 v[4:7], off, off offset:64
	scratch_load_b128 v[8:11], off, off offset:80
	;; [unrolled: 1-line block ×10, first 2 shown]
	ds_load_b128 v[170:173], v2 offset:1056
	ds_load_b128 v[178:181], v2 offset:1072
	s_clause 0x2
	scratch_load_b128 v[174:177], off, off offset:224
	scratch_load_b128 v[182:185], off, off offset:48
	scratch_load_b128 v[186:189], off, off offset:240
	s_mov_b32 s2, exec_lo
	s_wait_loadcnt_dscnt 0xc01
	v_mul_f64_e32 v[190:191], v[172:173], v[6:7]
	v_mul_f64_e32 v[194:195], v[170:171], v[6:7]
	s_wait_loadcnt_dscnt 0xb00
	v_mul_f64_e32 v[196:197], v[178:179], v[10:11]
	v_mul_f64_e32 v[10:11], v[180:181], v[10:11]
	s_delay_alu instid0(VALU_DEP_4) | instskip(NEXT) | instid1(VALU_DEP_4)
	v_fma_f64 v[198:199], v[170:171], v[4:5], -v[190:191]
	v_fmac_f64_e32 v[194:195], v[172:173], v[4:5]
	ds_load_b128 v[4:7], v2 offset:1088
	ds_load_b128 v[170:173], v2 offset:1104
	scratch_load_b128 v[190:193], off, off offset:256
	v_fmac_f64_e32 v[196:197], v[180:181], v[8:9]
	v_fma_f64 v[178:179], v[178:179], v[8:9], -v[10:11]
	scratch_load_b128 v[8:11], off, off offset:272
	s_wait_loadcnt_dscnt 0xc01
	v_mul_f64_e32 v[200:201], v[4:5], v[14:15]
	v_mul_f64_e32 v[14:15], v[6:7], v[14:15]
	v_add_f64_e32 v[180:181], 0, v[198:199]
	v_add_f64_e32 v[194:195], 0, v[194:195]
	s_wait_loadcnt_dscnt 0xb00
	v_mul_f64_e32 v[198:199], v[170:171], v[144:145]
	v_mul_f64_e32 v[144:145], v[172:173], v[144:145]
	v_fmac_f64_e32 v[200:201], v[6:7], v[12:13]
	v_fma_f64 v[202:203], v[4:5], v[12:13], -v[14:15]
	ds_load_b128 v[4:7], v2 offset:1120
	ds_load_b128 v[12:15], v2 offset:1136
	v_add_f64_e32 v[204:205], v[180:181], v[178:179]
	v_add_f64_e32 v[194:195], v[194:195], v[196:197]
	scratch_load_b128 v[178:181], off, off offset:288
	v_fmac_f64_e32 v[198:199], v[172:173], v[142:143]
	v_fma_f64 v[170:171], v[170:171], v[142:143], -v[144:145]
	scratch_load_b128 v[142:145], off, off offset:304
	s_wait_loadcnt_dscnt 0xc01
	v_mul_f64_e32 v[196:197], v[4:5], v[148:149]
	v_mul_f64_e32 v[148:149], v[6:7], v[148:149]
	v_add_f64_e32 v[172:173], v[204:205], v[202:203]
	v_add_f64_e32 v[194:195], v[194:195], v[200:201]
	s_wait_loadcnt_dscnt 0xb00
	v_mul_f64_e32 v[200:201], v[12:13], v[152:153]
	v_mul_f64_e32 v[152:153], v[14:15], v[152:153]
	v_fmac_f64_e32 v[196:197], v[6:7], v[146:147]
	v_fma_f64 v[202:203], v[4:5], v[146:147], -v[148:149]
	ds_load_b128 v[4:7], v2 offset:1152
	ds_load_b128 v[146:149], v2 offset:1168
	v_add_f64_e32 v[204:205], v[172:173], v[170:171]
	v_add_f64_e32 v[194:195], v[194:195], v[198:199]
	scratch_load_b128 v[170:173], off, off offset:320
	s_wait_loadcnt_dscnt 0xb01
	v_mul_f64_e32 v[198:199], v[4:5], v[156:157]
	v_mul_f64_e32 v[156:157], v[6:7], v[156:157]
	v_fmac_f64_e32 v[200:201], v[14:15], v[150:151]
	v_fma_f64 v[150:151], v[12:13], v[150:151], -v[152:153]
	scratch_load_b128 v[12:15], off, off offset:336
	v_add_f64_e32 v[152:153], v[204:205], v[202:203]
	v_add_f64_e32 v[194:195], v[194:195], v[196:197]
	s_wait_loadcnt_dscnt 0xb00
	v_mul_f64_e32 v[196:197], v[146:147], v[160:161]
	v_mul_f64_e32 v[160:161], v[148:149], v[160:161]
	v_fmac_f64_e32 v[198:199], v[6:7], v[154:155]
	v_fma_f64 v[202:203], v[4:5], v[154:155], -v[156:157]
	v_add_f64_e32 v[204:205], v[152:153], v[150:151]
	v_add_f64_e32 v[194:195], v[194:195], v[200:201]
	ds_load_b128 v[4:7], v2 offset:1184
	ds_load_b128 v[150:153], v2 offset:1200
	scratch_load_b128 v[154:157], off, off offset:352
	v_fmac_f64_e32 v[196:197], v[148:149], v[158:159]
	v_fma_f64 v[158:159], v[146:147], v[158:159], -v[160:161]
	scratch_load_b128 v[146:149], off, off offset:368
	s_wait_loadcnt_dscnt 0xc01
	v_mul_f64_e32 v[200:201], v[4:5], v[164:165]
	v_mul_f64_e32 v[164:165], v[6:7], v[164:165]
	v_add_f64_e32 v[160:161], v[204:205], v[202:203]
	v_add_f64_e32 v[194:195], v[194:195], v[198:199]
	s_wait_loadcnt_dscnt 0xb00
	v_mul_f64_e32 v[198:199], v[150:151], v[168:169]
	v_mul_f64_e32 v[168:169], v[152:153], v[168:169]
	v_fmac_f64_e32 v[200:201], v[6:7], v[162:163]
	v_fma_f64 v[202:203], v[4:5], v[162:163], -v[164:165]
	v_add_f64_e32 v[204:205], v[160:161], v[158:159]
	v_add_f64_e32 v[194:195], v[194:195], v[196:197]
	ds_load_b128 v[4:7], v2 offset:1216
	ds_load_b128 v[158:161], v2 offset:1232
	scratch_load_b128 v[162:165], off, off offset:384
	v_fmac_f64_e32 v[198:199], v[152:153], v[166:167]
	v_fma_f64 v[166:167], v[150:151], v[166:167], -v[168:169]
	scratch_load_b128 v[150:153], off, off offset:400
	s_wait_loadcnt_dscnt 0xc01
	v_mul_f64_e32 v[196:197], v[4:5], v[176:177]
	v_mul_f64_e32 v[176:177], v[6:7], v[176:177]
	;; [unrolled: 18-line block ×5, first 2 shown]
	v_add_f64_e32 v[188:189], v[204:205], v[202:203]
	v_add_f64_e32 v[194:195], v[194:195], v[200:201]
	s_wait_loadcnt_dscnt 0xa00
	v_mul_f64_e32 v[200:201], v[166:167], v[14:15]
	v_mul_f64_e32 v[14:15], v[168:169], v[14:15]
	v_fmac_f64_e32 v[196:197], v[6:7], v[170:171]
	v_fma_f64 v[202:203], v[4:5], v[170:171], -v[172:173]
	ds_load_b128 v[4:7], v2 offset:1344
	ds_load_b128 v[170:173], v2 offset:1360
	v_add_f64_e32 v[204:205], v[188:189], v[186:187]
	v_add_f64_e32 v[194:195], v[194:195], v[198:199]
	scratch_load_b128 v[186:189], off, off offset:512
	v_fmac_f64_e32 v[200:201], v[168:169], v[12:13]
	v_fma_f64 v[166:167], v[166:167], v[12:13], -v[14:15]
	scratch_load_b128 v[12:15], off, off offset:528
	s_wait_loadcnt_dscnt 0xb01
	v_mul_f64_e32 v[198:199], v[4:5], v[156:157]
	v_mul_f64_e32 v[156:157], v[6:7], v[156:157]
	v_add_f64_e32 v[168:169], v[204:205], v[202:203]
	v_add_f64_e32 v[194:195], v[194:195], v[196:197]
	s_wait_loadcnt_dscnt 0xa00
	v_mul_f64_e32 v[196:197], v[170:171], v[148:149]
	v_mul_f64_e32 v[148:149], v[172:173], v[148:149]
	v_fmac_f64_e32 v[198:199], v[6:7], v[154:155]
	v_fma_f64 v[202:203], v[4:5], v[154:155], -v[156:157]
	ds_load_b128 v[4:7], v2 offset:1376
	ds_load_b128 v[154:157], v2 offset:1392
	v_add_f64_e32 v[204:205], v[168:169], v[166:167]
	v_add_f64_e32 v[194:195], v[194:195], v[200:201]
	scratch_load_b128 v[166:169], off, off offset:544
	s_wait_loadcnt_dscnt 0xa01
	v_mul_f64_e32 v[200:201], v[4:5], v[164:165]
	v_mul_f64_e32 v[164:165], v[6:7], v[164:165]
	v_fmac_f64_e32 v[196:197], v[172:173], v[146:147]
	v_fma_f64 v[170:171], v[170:171], v[146:147], -v[148:149]
	scratch_load_b128 v[146:149], off, off offset:560
	v_add_f64_e32 v[172:173], v[204:205], v[202:203]
	v_add_f64_e32 v[194:195], v[194:195], v[198:199]
	s_wait_loadcnt_dscnt 0xa00
	v_mul_f64_e32 v[198:199], v[154:155], v[152:153]
	v_mul_f64_e32 v[152:153], v[156:157], v[152:153]
	v_fmac_f64_e32 v[200:201], v[6:7], v[162:163]
	v_fma_f64 v[202:203], v[4:5], v[162:163], -v[164:165]
	ds_load_b128 v[4:7], v2 offset:1408
	ds_load_b128 v[162:165], v2 offset:1424
	v_add_f64_e32 v[204:205], v[172:173], v[170:171]
	v_add_f64_e32 v[194:195], v[194:195], v[196:197]
	scratch_load_b128 v[170:173], off, off offset:576
	s_wait_loadcnt_dscnt 0xa01
	v_mul_f64_e32 v[196:197], v[4:5], v[176:177]
	v_mul_f64_e32 v[176:177], v[6:7], v[176:177]
	v_fmac_f64_e32 v[198:199], v[156:157], v[150:151]
	v_fma_f64 v[154:155], v[154:155], v[150:151], -v[152:153]
	scratch_load_b128 v[150:153], off, off offset:592
	v_add_f64_e32 v[156:157], v[204:205], v[202:203]
	v_add_f64_e32 v[194:195], v[194:195], v[200:201]
	s_wait_loadcnt_dscnt 0xa00
	v_mul_f64_e32 v[200:201], v[162:163], v[160:161]
	v_mul_f64_e32 v[160:161], v[164:165], v[160:161]
	v_fmac_f64_e32 v[196:197], v[6:7], v[174:175]
	v_fma_f64 v[202:203], v[4:5], v[174:175], -v[176:177]
	v_add_f64_e32 v[204:205], v[156:157], v[154:155]
	v_add_f64_e32 v[194:195], v[194:195], v[198:199]
	ds_load_b128 v[4:7], v2 offset:1440
	ds_load_b128 v[154:157], v2 offset:1456
	scratch_load_b128 v[174:177], off, off offset:608
	v_fmac_f64_e32 v[200:201], v[164:165], v[158:159]
	v_fma_f64 v[162:163], v[162:163], v[158:159], -v[160:161]
	scratch_load_b128 v[158:161], off, off offset:624
	s_wait_loadcnt_dscnt 0xb01
	v_mul_f64_e32 v[198:199], v[4:5], v[192:193]
	v_mul_f64_e32 v[192:193], v[6:7], v[192:193]
	v_add_f64_e32 v[164:165], v[204:205], v[202:203]
	v_add_f64_e32 v[194:195], v[194:195], v[196:197]
	s_wait_loadcnt_dscnt 0xa00
	v_mul_f64_e32 v[196:197], v[154:155], v[10:11]
	v_mul_f64_e32 v[10:11], v[156:157], v[10:11]
	v_fmac_f64_e32 v[198:199], v[6:7], v[190:191]
	v_fma_f64 v[202:203], v[4:5], v[190:191], -v[192:193]
	v_add_f64_e32 v[204:205], v[164:165], v[162:163]
	v_add_f64_e32 v[194:195], v[194:195], v[200:201]
	ds_load_b128 v[4:7], v2 offset:1472
	ds_load_b128 v[162:165], v2 offset:1488
	scratch_load_b128 v[190:193], off, off offset:640
	v_fmac_f64_e32 v[196:197], v[156:157], v[8:9]
	v_fma_f64 v[154:155], v[154:155], v[8:9], -v[10:11]
	scratch_load_b128 v[8:11], off, off offset:656
	s_wait_loadcnt_dscnt 0xb01
	v_mul_f64_e32 v[200:201], v[4:5], v[180:181]
	v_mul_f64_e32 v[180:181], v[6:7], v[180:181]
	;; [unrolled: 18-line block ×12, first 2 shown]
	v_add_f64_e32 v[156:157], v[204:205], v[202:203]
	v_add_f64_e32 v[194:195], v[194:195], v[200:201]
	s_wait_loadcnt_dscnt 0xa00
	v_mul_f64_e32 v[200:201], v[162:163], v[160:161]
	v_mul_f64_e32 v[160:161], v[164:165], v[160:161]
	v_fmac_f64_e32 v[196:197], v[6:7], v[174:175]
	v_fma_f64 v[174:175], v[4:5], v[174:175], -v[176:177]
	v_add_f64_e32 v[176:177], v[156:157], v[154:155]
	v_add_f64_e32 v[194:195], v[194:195], v[198:199]
	ds_load_b128 v[4:7], v2 offset:1824
	ds_load_b128 v[154:157], v2 offset:1840
	v_fmac_f64_e32 v[200:201], v[164:165], v[158:159]
	v_fma_f64 v[158:159], v[162:163], v[158:159], -v[160:161]
	s_wait_loadcnt_dscnt 0x901
	v_mul_f64_e32 v[198:199], v[4:5], v[192:193]
	v_mul_f64_e32 v[192:193], v[6:7], v[192:193]
	s_wait_loadcnt_dscnt 0x800
	v_mul_f64_e32 v[164:165], v[154:155], v[10:11]
	v_mul_f64_e32 v[10:11], v[156:157], v[10:11]
	v_add_f64_e32 v[160:161], v[176:177], v[174:175]
	v_add_f64_e32 v[162:163], v[194:195], v[196:197]
	v_fmac_f64_e32 v[198:199], v[6:7], v[190:191]
	v_fma_f64 v[174:175], v[4:5], v[190:191], -v[192:193]
	v_fmac_f64_e32 v[164:165], v[156:157], v[8:9]
	v_fma_f64 v[8:9], v[154:155], v[8:9], -v[10:11]
	v_add_f64_e32 v[176:177], v[160:161], v[158:159]
	v_add_f64_e32 v[162:163], v[162:163], v[200:201]
	ds_load_b128 v[4:7], v2 offset:1856
	ds_load_b128 v[158:161], v2 offset:1872
	s_wait_loadcnt_dscnt 0x701
	v_mul_f64_e32 v[190:191], v[4:5], v[180:181]
	v_mul_f64_e32 v[180:181], v[6:7], v[180:181]
	s_wait_loadcnt_dscnt 0x600
	v_mul_f64_e32 v[156:157], v[158:159], v[144:145]
	v_mul_f64_e32 v[144:145], v[160:161], v[144:145]
	v_add_f64_e32 v[10:11], v[176:177], v[174:175]
	v_add_f64_e32 v[154:155], v[162:163], v[198:199]
	v_fmac_f64_e32 v[190:191], v[6:7], v[178:179]
	v_fma_f64 v[162:163], v[4:5], v[178:179], -v[180:181]
	v_fmac_f64_e32 v[156:157], v[160:161], v[142:143]
	v_fma_f64 v[142:143], v[158:159], v[142:143], -v[144:145]
	v_add_f64_e32 v[174:175], v[10:11], v[8:9]
	v_add_f64_e32 v[154:155], v[154:155], v[164:165]
	ds_load_b128 v[4:7], v2 offset:1888
	ds_load_b128 v[8:11], v2 offset:1904
	;; [unrolled: 16-line block ×4, first 2 shown]
	s_wait_loadcnt_dscnt 0x101
	v_mul_f64_e32 v[2:3], v[4:5], v[172:173]
	v_mul_f64_e32 v[158:159], v[6:7], v[172:173]
	s_wait_loadcnt_dscnt 0x0
	v_mul_f64_e32 v[146:147], v[8:9], v[152:153]
	v_mul_f64_e32 v[148:149], v[10:11], v[152:153]
	v_add_f64_e32 v[144:145], v[160:161], v[154:155]
	v_add_f64_e32 v[12:13], v[12:13], v[156:157]
	v_fmac_f64_e32 v[2:3], v[6:7], v[170:171]
	v_fma_f64 v[4:5], v[4:5], v[170:171], -v[158:159]
	v_fmac_f64_e32 v[146:147], v[10:11], v[150:151]
	v_fma_f64 v[8:9], v[8:9], v[150:151], -v[148:149]
	v_add_f64_e32 v[6:7], v[144:145], v[142:143]
	v_add_f64_e32 v[12:13], v[12:13], v[14:15]
	s_delay_alu instid0(VALU_DEP_2) | instskip(NEXT) | instid1(VALU_DEP_2)
	v_add_f64_e32 v[4:5], v[6:7], v[4:5]
	v_add_f64_e32 v[2:3], v[12:13], v[2:3]
	s_delay_alu instid0(VALU_DEP_2) | instskip(NEXT) | instid1(VALU_DEP_2)
	;; [unrolled: 3-line block ×3, first 2 shown]
	v_add_f64_e64 v[2:3], v[182:183], -v[4:5]
	v_add_f64_e64 v[4:5], v[184:185], -v[6:7]
	scratch_store_b128 off, v[2:5], off offset:48
	s_wait_xcnt 0x0
	v_cmpx_lt_u32_e32 2, v1
	s_cbranch_execz .LBB61_393
; %bb.392:
	scratch_load_b128 v[2:5], off, s53
	v_mov_b32_e32 v6, 0
	s_delay_alu instid0(VALU_DEP_1)
	v_dual_mov_b32 v7, v6 :: v_dual_mov_b32 v8, v6
	v_mov_b32_e32 v9, v6
	scratch_store_b128 off, v[6:9], off offset:32
	s_wait_loadcnt 0x0
	ds_store_b128 v16, v[2:5]
.LBB61_393:
	s_wait_xcnt 0x0
	s_or_b32 exec_lo, exec_lo, s2
	s_wait_storecnt_dscnt 0x0
	s_barrier_signal -1
	s_barrier_wait -1
	s_clause 0x9
	scratch_load_b128 v[4:7], off, off offset:48
	scratch_load_b128 v[8:11], off, off offset:64
	;; [unrolled: 1-line block ×10, first 2 shown]
	v_mov_b32_e32 v2, 0
	s_mov_b32 s2, exec_lo
	v_dual_ashrrev_i32 v25, 31, v24 :: v_dual_ashrrev_i32 v23, 31, v22
	v_ashrrev_i32_e32 v29, 31, v28
	ds_load_b128 v[170:173], v2 offset:1040
	s_clause 0x2
	scratch_load_b128 v[174:177], off, off offset:208
	scratch_load_b128 v[178:181], off, off offset:32
	;; [unrolled: 1-line block ×3, first 2 shown]
	v_ashrrev_i32_e32 v33, 31, v32
	v_ashrrev_i32_e32 v37, 31, v36
	v_dual_ashrrev_i32 v41, 31, v40 :: v_dual_ashrrev_i32 v27, 31, v26
	v_ashrrev_i32_e32 v45, 31, v44
	v_dual_ashrrev_i32 v49, 31, v48 :: v_dual_ashrrev_i32 v31, 31, v30
	v_ashrrev_i32_e32 v35, 31, v34
	v_ashrrev_i32_e32 v39, 31, v38
	v_dual_ashrrev_i32 v43, 31, v42 :: v_dual_ashrrev_i32 v53, 31, v52
	v_ashrrev_i32_e32 v47, 31, v46
	v_dual_ashrrev_i32 v51, 31, v50 :: v_dual_ashrrev_i32 v57, 31, v56
	v_dual_ashrrev_i32 v55, 31, v54 :: v_dual_ashrrev_i32 v61, 31, v60
	v_ashrrev_i32_e32 v59, 31, v58
	v_dual_ashrrev_i32 v63, 31, v62 :: v_dual_ashrrev_i32 v65, 31, v64
	v_ashrrev_i32_e32 v69, 31, v68
	v_dual_ashrrev_i32 v73, 31, v72 :: v_dual_ashrrev_i32 v67, 31, v66
	v_dual_ashrrev_i32 v71, 31, v70 :: v_dual_ashrrev_i32 v77, 31, v76
	v_dual_ashrrev_i32 v75, 31, v74 :: v_dual_ashrrev_i32 v81, 31, v80
	v_ashrrev_i32_e32 v79, 31, v78
	v_dual_ashrrev_i32 v83, 31, v82 :: v_dual_ashrrev_i32 v85, 31, v84
	v_dual_ashrrev_i32 v87, 31, v86 :: v_dual_ashrrev_i32 v89, 31, v88
	v_dual_ashrrev_i32 v91, 31, v90 :: v_dual_ashrrev_i32 v93, 31, v92
	v_dual_ashrrev_i32 v95, 31, v94 :: v_dual_ashrrev_i32 v97, 31, v96
	v_dual_ashrrev_i32 v101, 31, v100 :: v_dual_ashrrev_i32 v99, 31, v98
	v_dual_ashrrev_i32 v103, 31, v102 :: v_dual_ashrrev_i32 v105, 31, v104
	v_dual_ashrrev_i32 v107, 31, v106 :: v_dual_ashrrev_i32 v109, 31, v108
	v_dual_ashrrev_i32 v111, 31, v110 :: v_dual_ashrrev_i32 v113, 31, v112
	v_dual_ashrrev_i32 v115, 31, v114 :: v_dual_ashrrev_i32 v117, 31, v116
	v_dual_ashrrev_i32 v119, 31, v118 :: v_dual_ashrrev_i32 v121, 31, v120
	v_ashrrev_i32_e32 v123, 31, v122
	v_dual_ashrrev_i32 v127, 31, v126 :: v_dual_ashrrev_i32 v125, 31, v124
	v_dual_ashrrev_i32 v129, 31, v128 :: v_dual_ashrrev_i32 v131, 31, v130
	;; [unrolled: 1-line block ×4, first 2 shown]
	s_wait_loadcnt_dscnt 0xc00
	v_dual_mul_f64 v[190:191], v[172:173], v[6:7] :: v_dual_ashrrev_i32 v141, 31, v140
	v_mul_f64_e32 v[194:195], v[170:171], v[6:7]
	ds_load_b128 v[182:185], v2 offset:1056
	v_fma_f64 v[198:199], v[170:171], v[4:5], -v[190:191]
	v_fmac_f64_e32 v[194:195], v[172:173], v[4:5]
	ds_load_b128 v[4:7], v2 offset:1072
	s_wait_loadcnt_dscnt 0xb01
	v_mul_f64_e32 v[196:197], v[182:183], v[10:11]
	v_mul_f64_e32 v[10:11], v[184:185], v[10:11]
	scratch_load_b128 v[170:173], off, off offset:240
	ds_load_b128 v[190:193], v2 offset:1088
	s_wait_loadcnt_dscnt 0xb01
	v_mul_f64_e32 v[200:201], v[4:5], v[14:15]
	v_mul_f64_e32 v[14:15], v[6:7], v[14:15]
	v_add_f64_e32 v[194:195], 0, v[194:195]
	v_fmac_f64_e32 v[196:197], v[184:185], v[8:9]
	v_fma_f64 v[182:183], v[182:183], v[8:9], -v[10:11]
	v_add_f64_e32 v[184:185], 0, v[198:199]
	scratch_load_b128 v[8:11], off, off offset:256
	v_fmac_f64_e32 v[200:201], v[6:7], v[12:13]
	v_fma_f64 v[202:203], v[4:5], v[12:13], -v[14:15]
	ds_load_b128 v[4:7], v2 offset:1104
	s_wait_loadcnt_dscnt 0xb01
	v_mul_f64_e32 v[198:199], v[190:191], v[144:145]
	v_mul_f64_e32 v[144:145], v[192:193], v[144:145]
	scratch_load_b128 v[12:15], off, off offset:272
	v_add_f64_e32 v[194:195], v[194:195], v[196:197]
	v_add_f64_e32 v[204:205], v[184:185], v[182:183]
	ds_load_b128 v[182:185], v2 offset:1120
	s_wait_loadcnt_dscnt 0xb01
	v_mul_f64_e32 v[196:197], v[4:5], v[148:149]
	v_mul_f64_e32 v[148:149], v[6:7], v[148:149]
	v_fmac_f64_e32 v[198:199], v[192:193], v[142:143]
	v_fma_f64 v[190:191], v[190:191], v[142:143], -v[144:145]
	scratch_load_b128 v[142:145], off, off offset:288
	v_add_f64_e32 v[194:195], v[194:195], v[200:201]
	v_add_f64_e32 v[192:193], v[204:205], v[202:203]
	v_fmac_f64_e32 v[196:197], v[6:7], v[146:147]
	v_fma_f64 v[202:203], v[4:5], v[146:147], -v[148:149]
	ds_load_b128 v[4:7], v2 offset:1136
	s_wait_loadcnt_dscnt 0xb01
	v_mul_f64_e32 v[200:201], v[182:183], v[152:153]
	v_mul_f64_e32 v[152:153], v[184:185], v[152:153]
	scratch_load_b128 v[146:149], off, off offset:304
	v_add_f64_e32 v[194:195], v[194:195], v[198:199]
	s_wait_loadcnt_dscnt 0xb00
	v_mul_f64_e32 v[198:199], v[4:5], v[156:157]
	v_add_f64_e32 v[204:205], v[192:193], v[190:191]
	v_mul_f64_e32 v[156:157], v[6:7], v[156:157]
	ds_load_b128 v[190:193], v2 offset:1152
	v_fmac_f64_e32 v[200:201], v[184:185], v[150:151]
	v_fma_f64 v[182:183], v[182:183], v[150:151], -v[152:153]
	scratch_load_b128 v[150:153], off, off offset:320
	v_add_f64_e32 v[194:195], v[194:195], v[196:197]
	v_fmac_f64_e32 v[198:199], v[6:7], v[154:155]
	v_add_f64_e32 v[184:185], v[204:205], v[202:203]
	v_fma_f64 v[202:203], v[4:5], v[154:155], -v[156:157]
	ds_load_b128 v[4:7], v2 offset:1168
	s_wait_loadcnt_dscnt 0xb01
	v_mul_f64_e32 v[196:197], v[190:191], v[160:161]
	v_mul_f64_e32 v[160:161], v[192:193], v[160:161]
	scratch_load_b128 v[154:157], off, off offset:336
	v_add_f64_e32 v[194:195], v[194:195], v[200:201]
	s_wait_loadcnt_dscnt 0xb00
	v_mul_f64_e32 v[200:201], v[4:5], v[164:165]
	v_add_f64_e32 v[204:205], v[184:185], v[182:183]
	v_mul_f64_e32 v[164:165], v[6:7], v[164:165]
	ds_load_b128 v[182:185], v2 offset:1184
	v_fmac_f64_e32 v[196:197], v[192:193], v[158:159]
	v_fma_f64 v[190:191], v[190:191], v[158:159], -v[160:161]
	scratch_load_b128 v[158:161], off, off offset:352
	v_add_f64_e32 v[194:195], v[194:195], v[198:199]
	v_fmac_f64_e32 v[200:201], v[6:7], v[162:163]
	v_add_f64_e32 v[192:193], v[204:205], v[202:203]
	;; [unrolled: 18-line block ×3, first 2 shown]
	v_fma_f64 v[202:203], v[4:5], v[174:175], -v[176:177]
	ds_load_b128 v[4:7], v2 offset:1232
	s_wait_loadcnt_dscnt 0xa01
	v_mul_f64_e32 v[200:201], v[190:191], v[188:189]
	v_mul_f64_e32 v[188:189], v[192:193], v[188:189]
	scratch_load_b128 v[174:177], off, off offset:400
	v_add_f64_e32 v[194:195], v[194:195], v[198:199]
	v_add_f64_e32 v[204:205], v[184:185], v[182:183]
	s_wait_loadcnt_dscnt 0xa00
	v_mul_f64_e32 v[198:199], v[4:5], v[172:173]
	v_mul_f64_e32 v[172:173], v[6:7], v[172:173]
	v_fmac_f64_e32 v[200:201], v[192:193], v[186:187]
	v_fma_f64 v[190:191], v[190:191], v[186:187], -v[188:189]
	ds_load_b128 v[182:185], v2 offset:1248
	scratch_load_b128 v[186:189], off, off offset:416
	v_add_f64_e32 v[194:195], v[194:195], v[196:197]
	v_add_f64_e32 v[192:193], v[204:205], v[202:203]
	v_fmac_f64_e32 v[198:199], v[6:7], v[170:171]
	v_fma_f64 v[202:203], v[4:5], v[170:171], -v[172:173]
	ds_load_b128 v[4:7], v2 offset:1264
	s_wait_loadcnt_dscnt 0xa01
	v_mul_f64_e32 v[196:197], v[182:183], v[10:11]
	v_mul_f64_e32 v[10:11], v[184:185], v[10:11]
	scratch_load_b128 v[170:173], off, off offset:432
	v_add_f64_e32 v[194:195], v[194:195], v[200:201]
	s_wait_loadcnt_dscnt 0xa00
	v_mul_f64_e32 v[200:201], v[4:5], v[14:15]
	v_add_f64_e32 v[204:205], v[192:193], v[190:191]
	v_mul_f64_e32 v[14:15], v[6:7], v[14:15]
	ds_load_b128 v[190:193], v2 offset:1280
	v_fmac_f64_e32 v[196:197], v[184:185], v[8:9]
	v_fma_f64 v[182:183], v[182:183], v[8:9], -v[10:11]
	scratch_load_b128 v[8:11], off, off offset:448
	v_add_f64_e32 v[194:195], v[194:195], v[198:199]
	v_fmac_f64_e32 v[200:201], v[6:7], v[12:13]
	v_add_f64_e32 v[184:185], v[204:205], v[202:203]
	v_fma_f64 v[202:203], v[4:5], v[12:13], -v[14:15]
	ds_load_b128 v[4:7], v2 offset:1296
	s_wait_loadcnt_dscnt 0xa01
	v_mul_f64_e32 v[198:199], v[190:191], v[144:145]
	v_mul_f64_e32 v[144:145], v[192:193], v[144:145]
	scratch_load_b128 v[12:15], off, off offset:464
	v_add_f64_e32 v[194:195], v[194:195], v[196:197]
	s_wait_loadcnt_dscnt 0xa00
	v_mul_f64_e32 v[196:197], v[4:5], v[148:149]
	v_add_f64_e32 v[204:205], v[184:185], v[182:183]
	v_mul_f64_e32 v[148:149], v[6:7], v[148:149]
	ds_load_b128 v[182:185], v2 offset:1312
	v_fmac_f64_e32 v[198:199], v[192:193], v[142:143]
	v_fma_f64 v[190:191], v[190:191], v[142:143], -v[144:145]
	scratch_load_b128 v[142:145], off, off offset:480
	v_add_f64_e32 v[194:195], v[194:195], v[200:201]
	v_fmac_f64_e32 v[196:197], v[6:7], v[146:147]
	v_add_f64_e32 v[192:193], v[204:205], v[202:203]
	;; [unrolled: 18-line block ×17, first 2 shown]
	v_fma_f64 v[202:203], v[4:5], v[174:175], -v[176:177]
	ds_load_b128 v[4:7], v2 offset:1808
	s_wait_loadcnt_dscnt 0xa01
	v_mul_f64_e32 v[200:201], v[190:191], v[188:189]
	v_mul_f64_e32 v[188:189], v[192:193], v[188:189]
	scratch_load_b128 v[174:177], off, off offset:976
	v_add_f64_e32 v[194:195], v[194:195], v[198:199]
	s_wait_loadcnt_dscnt 0xa00
	v_mul_f64_e32 v[198:199], v[4:5], v[172:173]
	v_add_f64_e32 v[204:205], v[184:185], v[182:183]
	v_mul_f64_e32 v[172:173], v[6:7], v[172:173]
	ds_load_b128 v[182:185], v2 offset:1824
	v_fmac_f64_e32 v[200:201], v[192:193], v[186:187]
	v_fma_f64 v[186:187], v[190:191], v[186:187], -v[188:189]
	s_wait_loadcnt_dscnt 0x900
	v_mul_f64_e32 v[192:193], v[182:183], v[10:11]
	v_mul_f64_e32 v[10:11], v[184:185], v[10:11]
	v_add_f64_e32 v[190:191], v[194:195], v[196:197]
	v_fmac_f64_e32 v[198:199], v[6:7], v[170:171]
	v_add_f64_e32 v[188:189], v[204:205], v[202:203]
	v_fma_f64 v[194:195], v[4:5], v[170:171], -v[172:173]
	ds_load_b128 v[4:7], v2 offset:1840
	ds_load_b128 v[170:173], v2 offset:1856
	v_fmac_f64_e32 v[192:193], v[184:185], v[8:9]
	v_fma_f64 v[8:9], v[182:183], v[8:9], -v[10:11]
	v_add_f64_e32 v[186:187], v[188:189], v[186:187]
	v_add_f64_e32 v[188:189], v[190:191], v[200:201]
	s_wait_loadcnt_dscnt 0x801
	v_mul_f64_e32 v[190:191], v[4:5], v[14:15]
	v_mul_f64_e32 v[14:15], v[6:7], v[14:15]
	s_wait_loadcnt_dscnt 0x700
	v_mul_f64_e32 v[184:185], v[170:171], v[144:145]
	v_mul_f64_e32 v[144:145], v[172:173], v[144:145]
	v_add_f64_e32 v[10:11], v[186:187], v[194:195]
	v_add_f64_e32 v[182:183], v[188:189], v[198:199]
	v_fmac_f64_e32 v[190:191], v[6:7], v[12:13]
	v_fma_f64 v[12:13], v[4:5], v[12:13], -v[14:15]
	v_fmac_f64_e32 v[184:185], v[172:173], v[142:143]
	v_fma_f64 v[142:143], v[170:171], v[142:143], -v[144:145]
	v_add_f64_e32 v[14:15], v[10:11], v[8:9]
	v_add_f64_e32 v[182:183], v[182:183], v[192:193]
	ds_load_b128 v[4:7], v2 offset:1872
	ds_load_b128 v[8:11], v2 offset:1888
	s_wait_loadcnt_dscnt 0x601
	v_mul_f64_e32 v[186:187], v[4:5], v[148:149]
	v_mul_f64_e32 v[148:149], v[6:7], v[148:149]
	s_wait_loadcnt_dscnt 0x500
	v_mul_f64_e32 v[144:145], v[8:9], v[152:153]
	v_mul_f64_e32 v[152:153], v[10:11], v[152:153]
	v_add_f64_e32 v[12:13], v[14:15], v[12:13]
	v_add_f64_e32 v[14:15], v[182:183], v[190:191]
	v_fmac_f64_e32 v[186:187], v[6:7], v[146:147]
	v_fma_f64 v[146:147], v[4:5], v[146:147], -v[148:149]
	v_fmac_f64_e32 v[144:145], v[10:11], v[150:151]
	v_fma_f64 v[8:9], v[8:9], v[150:151], -v[152:153]
	v_add_f64_e32 v[142:143], v[12:13], v[142:143]
	v_add_f64_e32 v[148:149], v[14:15], v[184:185]
	ds_load_b128 v[4:7], v2 offset:1904
	ds_load_b128 v[12:15], v2 offset:1920
	s_wait_loadcnt_dscnt 0x401
	v_mul_f64_e32 v[170:171], v[4:5], v[156:157]
	v_mul_f64_e32 v[156:157], v[6:7], v[156:157]
	v_add_f64_e32 v[10:11], v[142:143], v[146:147]
	v_add_f64_e32 v[142:143], v[148:149], v[186:187]
	s_wait_loadcnt_dscnt 0x300
	v_mul_f64_e32 v[146:147], v[12:13], v[160:161]
	v_mul_f64_e32 v[148:149], v[14:15], v[160:161]
	v_fmac_f64_e32 v[170:171], v[6:7], v[154:155]
	v_fma_f64 v[150:151], v[4:5], v[154:155], -v[156:157]
	v_add_f64_e32 v[152:153], v[10:11], v[8:9]
	v_add_f64_e32 v[142:143], v[142:143], v[144:145]
	ds_load_b128 v[4:7], v2 offset:1936
	ds_load_b128 v[8:11], v2 offset:1952
	v_fmac_f64_e32 v[146:147], v[14:15], v[158:159]
	v_fma_f64 v[12:13], v[12:13], v[158:159], -v[148:149]
	s_wait_loadcnt_dscnt 0x201
	v_mul_f64_e32 v[144:145], v[4:5], v[164:165]
	v_mul_f64_e32 v[154:155], v[6:7], v[164:165]
	s_wait_loadcnt_dscnt 0x100
	v_mul_f64_e32 v[148:149], v[8:9], v[168:169]
	v_add_f64_e32 v[14:15], v[152:153], v[150:151]
	v_add_f64_e32 v[142:143], v[142:143], v[170:171]
	v_mul_f64_e32 v[150:151], v[10:11], v[168:169]
	v_fmac_f64_e32 v[144:145], v[6:7], v[162:163]
	v_fma_f64 v[152:153], v[4:5], v[162:163], -v[154:155]
	ds_load_b128 v[4:7], v2 offset:1968
	v_fmac_f64_e32 v[148:149], v[10:11], v[166:167]
	v_add_f64_e32 v[12:13], v[14:15], v[12:13]
	v_add_f64_e32 v[14:15], v[142:143], v[146:147]
	v_fma_f64 v[8:9], v[8:9], v[166:167], -v[150:151]
	s_wait_loadcnt_dscnt 0x0
	v_mul_f64_e32 v[142:143], v[4:5], v[176:177]
	v_mul_f64_e32 v[146:147], v[6:7], v[176:177]
	v_add_f64_e32 v[10:11], v[12:13], v[152:153]
	v_add_f64_e32 v[12:13], v[14:15], v[144:145]
	s_delay_alu instid0(VALU_DEP_4) | instskip(NEXT) | instid1(VALU_DEP_4)
	v_fmac_f64_e32 v[142:143], v[6:7], v[174:175]
	v_fma_f64 v[4:5], v[4:5], v[174:175], -v[146:147]
	s_delay_alu instid0(VALU_DEP_4) | instskip(NEXT) | instid1(VALU_DEP_4)
	v_add_f64_e32 v[6:7], v[10:11], v[8:9]
	v_add_f64_e32 v[8:9], v[12:13], v[148:149]
	s_delay_alu instid0(VALU_DEP_2) | instskip(NEXT) | instid1(VALU_DEP_2)
	v_add_f64_e32 v[4:5], v[6:7], v[4:5]
	v_add_f64_e32 v[6:7], v[8:9], v[142:143]
	s_delay_alu instid0(VALU_DEP_2) | instskip(NEXT) | instid1(VALU_DEP_2)
	v_add_f64_e64 v[4:5], v[178:179], -v[4:5]
	v_add_f64_e64 v[6:7], v[180:181], -v[6:7]
	scratch_store_b128 off, v[4:7], off offset:32
	s_wait_xcnt 0x0
	v_cmpx_lt_u32_e32 1, v1
	s_cbranch_execz .LBB61_395
; %bb.394:
	scratch_load_b128 v[6:9], off, s54
	v_dual_mov_b32 v3, v2 :: v_dual_mov_b32 v4, v2
	v_mov_b32_e32 v5, v2
	scratch_store_b128 off, v[2:5], off offset:16
	s_wait_loadcnt 0x0
	ds_store_b128 v16, v[6:9]
.LBB61_395:
	s_wait_xcnt 0x0
	s_or_b32 exec_lo, exec_lo, s2
	s_wait_storecnt_dscnt 0x0
	s_barrier_signal -1
	s_barrier_wait -1
	s_clause 0x9
	scratch_load_b128 v[4:7], off, off offset:32
	scratch_load_b128 v[8:11], off, off offset:48
	;; [unrolled: 1-line block ×10, first 2 shown]
	ds_load_b128 v[170:173], v2 offset:1024
	ds_load_b128 v[178:181], v2 offset:1040
	s_clause 0x2
	scratch_load_b128 v[174:177], off, off offset:192
	scratch_load_b128 v[182:185], off, off offset:16
	;; [unrolled: 1-line block ×3, first 2 shown]
	s_mov_b32 s2, exec_lo
	s_wait_loadcnt_dscnt 0xc01
	v_mul_f64_e32 v[190:191], v[172:173], v[6:7]
	v_mul_f64_e32 v[194:195], v[170:171], v[6:7]
	s_wait_loadcnt_dscnt 0xb00
	v_mul_f64_e32 v[196:197], v[178:179], v[10:11]
	v_mul_f64_e32 v[10:11], v[180:181], v[10:11]
	s_delay_alu instid0(VALU_DEP_4) | instskip(NEXT) | instid1(VALU_DEP_4)
	v_fma_f64 v[198:199], v[170:171], v[4:5], -v[190:191]
	v_fmac_f64_e32 v[194:195], v[172:173], v[4:5]
	ds_load_b128 v[4:7], v2 offset:1056
	ds_load_b128 v[170:173], v2 offset:1072
	scratch_load_b128 v[190:193], off, off offset:224
	v_fmac_f64_e32 v[196:197], v[180:181], v[8:9]
	v_fma_f64 v[178:179], v[178:179], v[8:9], -v[10:11]
	scratch_load_b128 v[8:11], off, off offset:240
	s_wait_loadcnt_dscnt 0xc01
	v_mul_f64_e32 v[200:201], v[4:5], v[14:15]
	v_mul_f64_e32 v[14:15], v[6:7], v[14:15]
	v_add_f64_e32 v[180:181], 0, v[198:199]
	v_add_f64_e32 v[194:195], 0, v[194:195]
	s_wait_loadcnt_dscnt 0xb00
	v_mul_f64_e32 v[198:199], v[170:171], v[144:145]
	v_mul_f64_e32 v[144:145], v[172:173], v[144:145]
	v_fmac_f64_e32 v[200:201], v[6:7], v[12:13]
	v_fma_f64 v[202:203], v[4:5], v[12:13], -v[14:15]
	ds_load_b128 v[4:7], v2 offset:1088
	ds_load_b128 v[12:15], v2 offset:1104
	v_add_f64_e32 v[204:205], v[180:181], v[178:179]
	v_add_f64_e32 v[194:195], v[194:195], v[196:197]
	scratch_load_b128 v[178:181], off, off offset:256
	v_fmac_f64_e32 v[198:199], v[172:173], v[142:143]
	v_fma_f64 v[170:171], v[170:171], v[142:143], -v[144:145]
	scratch_load_b128 v[142:145], off, off offset:272
	s_wait_loadcnt_dscnt 0xc01
	v_mul_f64_e32 v[196:197], v[4:5], v[148:149]
	v_mul_f64_e32 v[148:149], v[6:7], v[148:149]
	v_add_f64_e32 v[172:173], v[204:205], v[202:203]
	v_add_f64_e32 v[194:195], v[194:195], v[200:201]
	s_wait_loadcnt_dscnt 0xb00
	v_mul_f64_e32 v[200:201], v[12:13], v[152:153]
	v_mul_f64_e32 v[152:153], v[14:15], v[152:153]
	v_fmac_f64_e32 v[196:197], v[6:7], v[146:147]
	v_fma_f64 v[202:203], v[4:5], v[146:147], -v[148:149]
	ds_load_b128 v[4:7], v2 offset:1120
	ds_load_b128 v[146:149], v2 offset:1136
	v_add_f64_e32 v[204:205], v[172:173], v[170:171]
	v_add_f64_e32 v[194:195], v[194:195], v[198:199]
	scratch_load_b128 v[170:173], off, off offset:288
	s_wait_loadcnt_dscnt 0xb01
	v_mul_f64_e32 v[198:199], v[4:5], v[156:157]
	v_mul_f64_e32 v[156:157], v[6:7], v[156:157]
	v_fmac_f64_e32 v[200:201], v[14:15], v[150:151]
	v_fma_f64 v[150:151], v[12:13], v[150:151], -v[152:153]
	scratch_load_b128 v[12:15], off, off offset:304
	v_add_f64_e32 v[152:153], v[204:205], v[202:203]
	v_add_f64_e32 v[194:195], v[194:195], v[196:197]
	s_wait_loadcnt_dscnt 0xb00
	v_mul_f64_e32 v[196:197], v[146:147], v[160:161]
	v_mul_f64_e32 v[160:161], v[148:149], v[160:161]
	v_fmac_f64_e32 v[198:199], v[6:7], v[154:155]
	v_fma_f64 v[202:203], v[4:5], v[154:155], -v[156:157]
	v_add_f64_e32 v[204:205], v[152:153], v[150:151]
	v_add_f64_e32 v[194:195], v[194:195], v[200:201]
	ds_load_b128 v[4:7], v2 offset:1152
	ds_load_b128 v[150:153], v2 offset:1168
	scratch_load_b128 v[154:157], off, off offset:320
	v_fmac_f64_e32 v[196:197], v[148:149], v[158:159]
	v_fma_f64 v[158:159], v[146:147], v[158:159], -v[160:161]
	scratch_load_b128 v[146:149], off, off offset:336
	s_wait_loadcnt_dscnt 0xc01
	v_mul_f64_e32 v[200:201], v[4:5], v[164:165]
	v_mul_f64_e32 v[164:165], v[6:7], v[164:165]
	v_add_f64_e32 v[160:161], v[204:205], v[202:203]
	v_add_f64_e32 v[194:195], v[194:195], v[198:199]
	s_wait_loadcnt_dscnt 0xb00
	v_mul_f64_e32 v[198:199], v[150:151], v[168:169]
	v_mul_f64_e32 v[168:169], v[152:153], v[168:169]
	v_fmac_f64_e32 v[200:201], v[6:7], v[162:163]
	v_fma_f64 v[202:203], v[4:5], v[162:163], -v[164:165]
	v_add_f64_e32 v[204:205], v[160:161], v[158:159]
	v_add_f64_e32 v[194:195], v[194:195], v[196:197]
	ds_load_b128 v[4:7], v2 offset:1184
	ds_load_b128 v[158:161], v2 offset:1200
	scratch_load_b128 v[162:165], off, off offset:352
	v_fmac_f64_e32 v[198:199], v[152:153], v[166:167]
	v_fma_f64 v[166:167], v[150:151], v[166:167], -v[168:169]
	scratch_load_b128 v[150:153], off, off offset:368
	s_wait_loadcnt_dscnt 0xc01
	v_mul_f64_e32 v[196:197], v[4:5], v[176:177]
	v_mul_f64_e32 v[176:177], v[6:7], v[176:177]
	;; [unrolled: 18-line block ×5, first 2 shown]
	v_add_f64_e32 v[188:189], v[204:205], v[202:203]
	v_add_f64_e32 v[194:195], v[194:195], v[200:201]
	s_wait_loadcnt_dscnt 0xa00
	v_mul_f64_e32 v[200:201], v[166:167], v[14:15]
	v_mul_f64_e32 v[14:15], v[168:169], v[14:15]
	v_fmac_f64_e32 v[196:197], v[6:7], v[170:171]
	v_fma_f64 v[202:203], v[4:5], v[170:171], -v[172:173]
	ds_load_b128 v[4:7], v2 offset:1312
	ds_load_b128 v[170:173], v2 offset:1328
	v_add_f64_e32 v[204:205], v[188:189], v[186:187]
	v_add_f64_e32 v[194:195], v[194:195], v[198:199]
	scratch_load_b128 v[186:189], off, off offset:480
	v_fmac_f64_e32 v[200:201], v[168:169], v[12:13]
	v_fma_f64 v[166:167], v[166:167], v[12:13], -v[14:15]
	scratch_load_b128 v[12:15], off, off offset:496
	s_wait_loadcnt_dscnt 0xb01
	v_mul_f64_e32 v[198:199], v[4:5], v[156:157]
	v_mul_f64_e32 v[156:157], v[6:7], v[156:157]
	v_add_f64_e32 v[168:169], v[204:205], v[202:203]
	v_add_f64_e32 v[194:195], v[194:195], v[196:197]
	s_wait_loadcnt_dscnt 0xa00
	v_mul_f64_e32 v[196:197], v[170:171], v[148:149]
	v_mul_f64_e32 v[148:149], v[172:173], v[148:149]
	v_fmac_f64_e32 v[198:199], v[6:7], v[154:155]
	v_fma_f64 v[202:203], v[4:5], v[154:155], -v[156:157]
	ds_load_b128 v[4:7], v2 offset:1344
	ds_load_b128 v[154:157], v2 offset:1360
	v_add_f64_e32 v[204:205], v[168:169], v[166:167]
	v_add_f64_e32 v[194:195], v[194:195], v[200:201]
	scratch_load_b128 v[166:169], off, off offset:512
	s_wait_loadcnt_dscnt 0xa01
	v_mul_f64_e32 v[200:201], v[4:5], v[164:165]
	v_mul_f64_e32 v[164:165], v[6:7], v[164:165]
	v_fmac_f64_e32 v[196:197], v[172:173], v[146:147]
	v_fma_f64 v[170:171], v[170:171], v[146:147], -v[148:149]
	scratch_load_b128 v[146:149], off, off offset:528
	v_add_f64_e32 v[172:173], v[204:205], v[202:203]
	v_add_f64_e32 v[194:195], v[194:195], v[198:199]
	s_wait_loadcnt_dscnt 0xa00
	v_mul_f64_e32 v[198:199], v[154:155], v[152:153]
	v_mul_f64_e32 v[152:153], v[156:157], v[152:153]
	v_fmac_f64_e32 v[200:201], v[6:7], v[162:163]
	v_fma_f64 v[202:203], v[4:5], v[162:163], -v[164:165]
	ds_load_b128 v[4:7], v2 offset:1376
	ds_load_b128 v[162:165], v2 offset:1392
	v_add_f64_e32 v[204:205], v[172:173], v[170:171]
	v_add_f64_e32 v[194:195], v[194:195], v[196:197]
	scratch_load_b128 v[170:173], off, off offset:544
	s_wait_loadcnt_dscnt 0xa01
	v_mul_f64_e32 v[196:197], v[4:5], v[176:177]
	v_mul_f64_e32 v[176:177], v[6:7], v[176:177]
	v_fmac_f64_e32 v[198:199], v[156:157], v[150:151]
	v_fma_f64 v[154:155], v[154:155], v[150:151], -v[152:153]
	scratch_load_b128 v[150:153], off, off offset:560
	v_add_f64_e32 v[156:157], v[204:205], v[202:203]
	v_add_f64_e32 v[194:195], v[194:195], v[200:201]
	s_wait_loadcnt_dscnt 0xa00
	v_mul_f64_e32 v[200:201], v[162:163], v[160:161]
	v_mul_f64_e32 v[160:161], v[164:165], v[160:161]
	v_fmac_f64_e32 v[196:197], v[6:7], v[174:175]
	v_fma_f64 v[202:203], v[4:5], v[174:175], -v[176:177]
	v_add_f64_e32 v[204:205], v[156:157], v[154:155]
	v_add_f64_e32 v[194:195], v[194:195], v[198:199]
	ds_load_b128 v[4:7], v2 offset:1408
	ds_load_b128 v[154:157], v2 offset:1424
	scratch_load_b128 v[174:177], off, off offset:576
	v_fmac_f64_e32 v[200:201], v[164:165], v[158:159]
	v_fma_f64 v[162:163], v[162:163], v[158:159], -v[160:161]
	scratch_load_b128 v[158:161], off, off offset:592
	s_wait_loadcnt_dscnt 0xb01
	v_mul_f64_e32 v[198:199], v[4:5], v[192:193]
	v_mul_f64_e32 v[192:193], v[6:7], v[192:193]
	v_add_f64_e32 v[164:165], v[204:205], v[202:203]
	v_add_f64_e32 v[194:195], v[194:195], v[196:197]
	s_wait_loadcnt_dscnt 0xa00
	v_mul_f64_e32 v[196:197], v[154:155], v[10:11]
	v_mul_f64_e32 v[10:11], v[156:157], v[10:11]
	v_fmac_f64_e32 v[198:199], v[6:7], v[190:191]
	v_fma_f64 v[202:203], v[4:5], v[190:191], -v[192:193]
	v_add_f64_e32 v[204:205], v[164:165], v[162:163]
	v_add_f64_e32 v[194:195], v[194:195], v[200:201]
	ds_load_b128 v[4:7], v2 offset:1440
	ds_load_b128 v[162:165], v2 offset:1456
	scratch_load_b128 v[190:193], off, off offset:608
	v_fmac_f64_e32 v[196:197], v[156:157], v[8:9]
	v_fma_f64 v[154:155], v[154:155], v[8:9], -v[10:11]
	scratch_load_b128 v[8:11], off, off offset:624
	s_wait_loadcnt_dscnt 0xb01
	v_mul_f64_e32 v[200:201], v[4:5], v[180:181]
	v_mul_f64_e32 v[180:181], v[6:7], v[180:181]
	v_add_f64_e32 v[156:157], v[204:205], v[202:203]
	v_add_f64_e32 v[194:195], v[194:195], v[198:199]
	s_wait_loadcnt_dscnt 0xa00
	v_mul_f64_e32 v[198:199], v[162:163], v[144:145]
	v_mul_f64_e32 v[144:145], v[164:165], v[144:145]
	v_fmac_f64_e32 v[200:201], v[6:7], v[178:179]
	v_fma_f64 v[202:203], v[4:5], v[178:179], -v[180:181]
	v_add_f64_e32 v[204:205], v[156:157], v[154:155]
	v_add_f64_e32 v[194:195], v[194:195], v[196:197]
	ds_load_b128 v[4:7], v2 offset:1472
	ds_load_b128 v[154:157], v2 offset:1488
	scratch_load_b128 v[178:181], off, off offset:640
	v_fmac_f64_e32 v[198:199], v[164:165], v[142:143]
	v_fma_f64 v[162:163], v[162:163], v[142:143], -v[144:145]
	scratch_load_b128 v[142:145], off, off offset:656
	s_wait_loadcnt_dscnt 0xb01
	v_mul_f64_e32 v[196:197], v[4:5], v[188:189]
	v_mul_f64_e32 v[188:189], v[6:7], v[188:189]
	v_add_f64_e32 v[164:165], v[204:205], v[202:203]
	v_add_f64_e32 v[194:195], v[194:195], v[200:201]
	s_wait_loadcnt_dscnt 0xa00
	v_mul_f64_e32 v[200:201], v[154:155], v[14:15]
	v_mul_f64_e32 v[14:15], v[156:157], v[14:15]
	v_fmac_f64_e32 v[196:197], v[6:7], v[186:187]
	v_fma_f64 v[202:203], v[4:5], v[186:187], -v[188:189]
	v_add_f64_e32 v[204:205], v[164:165], v[162:163]
	v_add_f64_e32 v[194:195], v[194:195], v[198:199]
	ds_load_b128 v[4:7], v2 offset:1504
	ds_load_b128 v[162:165], v2 offset:1520
	scratch_load_b128 v[186:189], off, off offset:672
	v_fmac_f64_e32 v[200:201], v[156:157], v[12:13]
	v_fma_f64 v[154:155], v[154:155], v[12:13], -v[14:15]
	scratch_load_b128 v[12:15], off, off offset:688
	s_wait_loadcnt_dscnt 0xb01
	v_mul_f64_e32 v[198:199], v[4:5], v[168:169]
	v_mul_f64_e32 v[168:169], v[6:7], v[168:169]
	v_add_f64_e32 v[156:157], v[204:205], v[202:203]
	v_add_f64_e32 v[194:195], v[194:195], v[196:197]
	s_wait_loadcnt_dscnt 0xa00
	v_mul_f64_e32 v[196:197], v[162:163], v[148:149]
	v_mul_f64_e32 v[148:149], v[164:165], v[148:149]
	v_fmac_f64_e32 v[198:199], v[6:7], v[166:167]
	v_fma_f64 v[202:203], v[4:5], v[166:167], -v[168:169]
	v_add_f64_e32 v[204:205], v[156:157], v[154:155]
	v_add_f64_e32 v[194:195], v[194:195], v[200:201]
	ds_load_b128 v[4:7], v2 offset:1536
	ds_load_b128 v[154:157], v2 offset:1552
	scratch_load_b128 v[166:169], off, off offset:704
	v_fmac_f64_e32 v[196:197], v[164:165], v[146:147]
	v_fma_f64 v[162:163], v[162:163], v[146:147], -v[148:149]
	scratch_load_b128 v[146:149], off, off offset:720
	s_wait_loadcnt_dscnt 0xb01
	v_mul_f64_e32 v[200:201], v[4:5], v[172:173]
	v_mul_f64_e32 v[172:173], v[6:7], v[172:173]
	v_add_f64_e32 v[164:165], v[204:205], v[202:203]
	v_add_f64_e32 v[194:195], v[194:195], v[198:199]
	s_wait_loadcnt_dscnt 0xa00
	v_mul_f64_e32 v[198:199], v[154:155], v[152:153]
	v_mul_f64_e32 v[152:153], v[156:157], v[152:153]
	v_fmac_f64_e32 v[200:201], v[6:7], v[170:171]
	v_fma_f64 v[202:203], v[4:5], v[170:171], -v[172:173]
	v_add_f64_e32 v[204:205], v[164:165], v[162:163]
	v_add_f64_e32 v[194:195], v[194:195], v[196:197]
	ds_load_b128 v[4:7], v2 offset:1568
	ds_load_b128 v[162:165], v2 offset:1584
	scratch_load_b128 v[170:173], off, off offset:736
	v_fmac_f64_e32 v[198:199], v[156:157], v[150:151]
	v_fma_f64 v[154:155], v[154:155], v[150:151], -v[152:153]
	scratch_load_b128 v[150:153], off, off offset:752
	s_wait_loadcnt_dscnt 0xb01
	v_mul_f64_e32 v[196:197], v[4:5], v[176:177]
	v_mul_f64_e32 v[176:177], v[6:7], v[176:177]
	v_add_f64_e32 v[156:157], v[204:205], v[202:203]
	v_add_f64_e32 v[194:195], v[194:195], v[200:201]
	s_wait_loadcnt_dscnt 0xa00
	v_mul_f64_e32 v[200:201], v[162:163], v[160:161]
	v_mul_f64_e32 v[160:161], v[164:165], v[160:161]
	v_fmac_f64_e32 v[196:197], v[6:7], v[174:175]
	v_fma_f64 v[202:203], v[4:5], v[174:175], -v[176:177]
	v_add_f64_e32 v[204:205], v[156:157], v[154:155]
	v_add_f64_e32 v[194:195], v[194:195], v[198:199]
	ds_load_b128 v[4:7], v2 offset:1600
	ds_load_b128 v[154:157], v2 offset:1616
	scratch_load_b128 v[174:177], off, off offset:768
	v_fmac_f64_e32 v[200:201], v[164:165], v[158:159]
	v_fma_f64 v[162:163], v[162:163], v[158:159], -v[160:161]
	scratch_load_b128 v[158:161], off, off offset:784
	s_wait_loadcnt_dscnt 0xb01
	v_mul_f64_e32 v[198:199], v[4:5], v[192:193]
	v_mul_f64_e32 v[192:193], v[6:7], v[192:193]
	v_add_f64_e32 v[164:165], v[204:205], v[202:203]
	v_add_f64_e32 v[194:195], v[194:195], v[196:197]
	s_wait_loadcnt_dscnt 0xa00
	v_mul_f64_e32 v[196:197], v[154:155], v[10:11]
	v_mul_f64_e32 v[10:11], v[156:157], v[10:11]
	v_fmac_f64_e32 v[198:199], v[6:7], v[190:191]
	v_fma_f64 v[202:203], v[4:5], v[190:191], -v[192:193]
	v_add_f64_e32 v[204:205], v[164:165], v[162:163]
	v_add_f64_e32 v[194:195], v[194:195], v[200:201]
	ds_load_b128 v[4:7], v2 offset:1632
	ds_load_b128 v[162:165], v2 offset:1648
	scratch_load_b128 v[190:193], off, off offset:800
	v_fmac_f64_e32 v[196:197], v[156:157], v[8:9]
	v_fma_f64 v[154:155], v[154:155], v[8:9], -v[10:11]
	scratch_load_b128 v[8:11], off, off offset:816
	s_wait_loadcnt_dscnt 0xb01
	v_mul_f64_e32 v[200:201], v[4:5], v[180:181]
	v_mul_f64_e32 v[180:181], v[6:7], v[180:181]
	v_add_f64_e32 v[156:157], v[204:205], v[202:203]
	v_add_f64_e32 v[194:195], v[194:195], v[198:199]
	s_wait_loadcnt_dscnt 0xa00
	v_mul_f64_e32 v[198:199], v[162:163], v[144:145]
	v_mul_f64_e32 v[144:145], v[164:165], v[144:145]
	v_fmac_f64_e32 v[200:201], v[6:7], v[178:179]
	v_fma_f64 v[202:203], v[4:5], v[178:179], -v[180:181]
	v_add_f64_e32 v[204:205], v[156:157], v[154:155]
	v_add_f64_e32 v[194:195], v[194:195], v[196:197]
	ds_load_b128 v[4:7], v2 offset:1664
	ds_load_b128 v[154:157], v2 offset:1680
	scratch_load_b128 v[178:181], off, off offset:832
	v_fmac_f64_e32 v[198:199], v[164:165], v[142:143]
	v_fma_f64 v[162:163], v[162:163], v[142:143], -v[144:145]
	scratch_load_b128 v[142:145], off, off offset:848
	s_wait_loadcnt_dscnt 0xb01
	v_mul_f64_e32 v[196:197], v[4:5], v[188:189]
	v_mul_f64_e32 v[188:189], v[6:7], v[188:189]
	v_add_f64_e32 v[164:165], v[204:205], v[202:203]
	v_add_f64_e32 v[194:195], v[194:195], v[200:201]
	s_wait_loadcnt_dscnt 0xa00
	v_mul_f64_e32 v[200:201], v[154:155], v[14:15]
	v_mul_f64_e32 v[14:15], v[156:157], v[14:15]
	v_fmac_f64_e32 v[196:197], v[6:7], v[186:187]
	v_fma_f64 v[202:203], v[4:5], v[186:187], -v[188:189]
	v_add_f64_e32 v[204:205], v[164:165], v[162:163]
	v_add_f64_e32 v[194:195], v[194:195], v[198:199]
	ds_load_b128 v[4:7], v2 offset:1696
	ds_load_b128 v[162:165], v2 offset:1712
	scratch_load_b128 v[186:189], off, off offset:864
	v_fmac_f64_e32 v[200:201], v[156:157], v[12:13]
	v_fma_f64 v[154:155], v[154:155], v[12:13], -v[14:15]
	scratch_load_b128 v[12:15], off, off offset:880
	s_wait_loadcnt_dscnt 0xb01
	v_mul_f64_e32 v[198:199], v[4:5], v[168:169]
	v_mul_f64_e32 v[168:169], v[6:7], v[168:169]
	v_add_f64_e32 v[156:157], v[204:205], v[202:203]
	v_add_f64_e32 v[194:195], v[194:195], v[196:197]
	s_wait_loadcnt_dscnt 0xa00
	v_mul_f64_e32 v[196:197], v[162:163], v[148:149]
	v_mul_f64_e32 v[148:149], v[164:165], v[148:149]
	v_fmac_f64_e32 v[198:199], v[6:7], v[166:167]
	v_fma_f64 v[202:203], v[4:5], v[166:167], -v[168:169]
	v_add_f64_e32 v[204:205], v[156:157], v[154:155]
	v_add_f64_e32 v[194:195], v[194:195], v[200:201]
	ds_load_b128 v[4:7], v2 offset:1728
	ds_load_b128 v[154:157], v2 offset:1744
	scratch_load_b128 v[166:169], off, off offset:896
	v_fmac_f64_e32 v[196:197], v[164:165], v[146:147]
	v_fma_f64 v[162:163], v[162:163], v[146:147], -v[148:149]
	scratch_load_b128 v[146:149], off, off offset:912
	s_wait_loadcnt_dscnt 0xb01
	v_mul_f64_e32 v[200:201], v[4:5], v[172:173]
	v_mul_f64_e32 v[172:173], v[6:7], v[172:173]
	v_add_f64_e32 v[164:165], v[204:205], v[202:203]
	v_add_f64_e32 v[194:195], v[194:195], v[198:199]
	s_wait_loadcnt_dscnt 0xa00
	v_mul_f64_e32 v[198:199], v[154:155], v[152:153]
	v_mul_f64_e32 v[152:153], v[156:157], v[152:153]
	v_fmac_f64_e32 v[200:201], v[6:7], v[170:171]
	v_fma_f64 v[202:203], v[4:5], v[170:171], -v[172:173]
	v_add_f64_e32 v[204:205], v[164:165], v[162:163]
	v_add_f64_e32 v[194:195], v[194:195], v[196:197]
	ds_load_b128 v[4:7], v2 offset:1760
	ds_load_b128 v[162:165], v2 offset:1776
	scratch_load_b128 v[170:173], off, off offset:928
	v_fmac_f64_e32 v[198:199], v[156:157], v[150:151]
	v_fma_f64 v[154:155], v[154:155], v[150:151], -v[152:153]
	scratch_load_b128 v[150:153], off, off offset:944
	s_wait_loadcnt_dscnt 0xb01
	v_mul_f64_e32 v[196:197], v[4:5], v[176:177]
	v_mul_f64_e32 v[176:177], v[6:7], v[176:177]
	v_add_f64_e32 v[156:157], v[204:205], v[202:203]
	v_add_f64_e32 v[194:195], v[194:195], v[200:201]
	s_wait_loadcnt_dscnt 0xa00
	v_mul_f64_e32 v[200:201], v[162:163], v[160:161]
	v_mul_f64_e32 v[160:161], v[164:165], v[160:161]
	v_fmac_f64_e32 v[196:197], v[6:7], v[174:175]
	v_fma_f64 v[202:203], v[4:5], v[174:175], -v[176:177]
	v_add_f64_e32 v[204:205], v[156:157], v[154:155]
	v_add_f64_e32 v[194:195], v[194:195], v[198:199]
	ds_load_b128 v[4:7], v2 offset:1792
	ds_load_b128 v[154:157], v2 offset:1808
	scratch_load_b128 v[174:177], off, off offset:960
	v_fmac_f64_e32 v[200:201], v[164:165], v[158:159]
	v_fma_f64 v[162:163], v[162:163], v[158:159], -v[160:161]
	scratch_load_b128 v[158:161], off, off offset:976
	s_wait_loadcnt_dscnt 0xb01
	v_mul_f64_e32 v[198:199], v[4:5], v[192:193]
	v_mul_f64_e32 v[192:193], v[6:7], v[192:193]
	v_add_f64_e32 v[164:165], v[204:205], v[202:203]
	v_add_f64_e32 v[194:195], v[194:195], v[196:197]
	s_wait_loadcnt_dscnt 0xa00
	v_mul_f64_e32 v[196:197], v[154:155], v[10:11]
	v_mul_f64_e32 v[10:11], v[156:157], v[10:11]
	v_fmac_f64_e32 v[198:199], v[6:7], v[190:191]
	v_fma_f64 v[190:191], v[4:5], v[190:191], -v[192:193]
	v_add_f64_e32 v[192:193], v[164:165], v[162:163]
	v_add_f64_e32 v[194:195], v[194:195], v[200:201]
	ds_load_b128 v[4:7], v2 offset:1824
	ds_load_b128 v[162:165], v2 offset:1840
	v_fmac_f64_e32 v[196:197], v[156:157], v[8:9]
	v_fma_f64 v[8:9], v[154:155], v[8:9], -v[10:11]
	s_wait_loadcnt_dscnt 0x901
	v_mul_f64_e32 v[200:201], v[4:5], v[180:181]
	v_mul_f64_e32 v[180:181], v[6:7], v[180:181]
	s_wait_loadcnt_dscnt 0x800
	v_mul_f64_e32 v[156:157], v[162:163], v[144:145]
	v_mul_f64_e32 v[144:145], v[164:165], v[144:145]
	v_add_f64_e32 v[10:11], v[192:193], v[190:191]
	v_add_f64_e32 v[154:155], v[194:195], v[198:199]
	v_fmac_f64_e32 v[200:201], v[6:7], v[178:179]
	v_fma_f64 v[178:179], v[4:5], v[178:179], -v[180:181]
	v_fmac_f64_e32 v[156:157], v[164:165], v[142:143]
	v_fma_f64 v[142:143], v[162:163], v[142:143], -v[144:145]
	v_add_f64_e32 v[180:181], v[10:11], v[8:9]
	v_add_f64_e32 v[154:155], v[154:155], v[196:197]
	ds_load_b128 v[4:7], v2 offset:1856
	ds_load_b128 v[8:11], v2 offset:1872
	s_wait_loadcnt_dscnt 0x701
	v_mul_f64_e32 v[190:191], v[4:5], v[188:189]
	v_mul_f64_e32 v[188:189], v[6:7], v[188:189]
	s_wait_loadcnt_dscnt 0x600
	v_mul_f64_e32 v[162:163], v[8:9], v[14:15]
	v_mul_f64_e32 v[14:15], v[10:11], v[14:15]
	v_add_f64_e32 v[144:145], v[180:181], v[178:179]
	v_add_f64_e32 v[154:155], v[154:155], v[200:201]
	v_fmac_f64_e32 v[190:191], v[6:7], v[186:187]
	v_fma_f64 v[164:165], v[4:5], v[186:187], -v[188:189]
	v_fmac_f64_e32 v[162:163], v[10:11], v[12:13]
	v_fma_f64 v[8:9], v[8:9], v[12:13], -v[14:15]
	v_add_f64_e32 v[178:179], v[144:145], v[142:143]
	v_add_f64_e32 v[154:155], v[154:155], v[156:157]
	ds_load_b128 v[4:7], v2 offset:1888
	ds_load_b128 v[142:145], v2 offset:1904
	;; [unrolled: 16-line block ×4, first 2 shown]
	s_wait_loadcnt_dscnt 0x101
	v_mul_f64_e32 v[2:3], v[4:5], v[176:177]
	v_mul_f64_e32 v[154:155], v[6:7], v[176:177]
	s_wait_loadcnt_dscnt 0x0
	v_mul_f64_e32 v[148:149], v[14:15], v[160:161]
	v_add_f64_e32 v[10:11], v[142:143], v[152:153]
	v_add_f64_e32 v[142:143], v[144:145], v[162:163]
	v_mul_f64_e32 v[144:145], v[12:13], v[160:161]
	v_fmac_f64_e32 v[2:3], v[6:7], v[174:175]
	v_fma_f64 v[4:5], v[4:5], v[174:175], -v[154:155]
	v_add_f64_e32 v[6:7], v[10:11], v[8:9]
	v_add_f64_e32 v[8:9], v[142:143], v[146:147]
	v_fmac_f64_e32 v[144:145], v[14:15], v[158:159]
	v_fma_f64 v[10:11], v[12:13], v[158:159], -v[148:149]
	s_delay_alu instid0(VALU_DEP_4) | instskip(NEXT) | instid1(VALU_DEP_4)
	v_add_f64_e32 v[4:5], v[6:7], v[4:5]
	v_add_f64_e32 v[2:3], v[8:9], v[2:3]
	s_delay_alu instid0(VALU_DEP_2) | instskip(NEXT) | instid1(VALU_DEP_2)
	v_add_f64_e32 v[4:5], v[4:5], v[10:11]
	v_add_f64_e32 v[6:7], v[2:3], v[144:145]
	s_delay_alu instid0(VALU_DEP_2) | instskip(NEXT) | instid1(VALU_DEP_2)
	v_add_f64_e64 v[2:3], v[182:183], -v[4:5]
	v_add_f64_e64 v[4:5], v[184:185], -v[6:7]
	scratch_store_b128 off, v[2:5], off offset:16
	s_wait_xcnt 0x0
	v_cmpx_ne_u32_e32 0, v1
	s_cbranch_execz .LBB61_397
; %bb.396:
	scratch_load_b128 v[2:5], off, off
	v_mov_b32_e32 v6, 0
	s_delay_alu instid0(VALU_DEP_1)
	v_dual_mov_b32 v7, v6 :: v_dual_mov_b32 v8, v6
	v_mov_b32_e32 v9, v6
	scratch_store_b128 off, v[6:9], off
	s_wait_loadcnt 0x0
	ds_store_b128 v16, v[2:5]
.LBB61_397:
	s_wait_xcnt 0x0
	s_or_b32 exec_lo, exec_lo, s2
	s_wait_storecnt_dscnt 0x0
	s_barrier_signal -1
	s_barrier_wait -1
	s_clause 0x9
	scratch_load_b128 v[2:5], off, off offset:16
	scratch_load_b128 v[6:9], off, off offset:32
	;; [unrolled: 1-line block ×10, first 2 shown]
	v_mov_b32_e32 v176, 0
	s_and_b32 vcc_lo, exec_lo, s76
	ds_load_b128 v[166:169], v176 offset:1008
	s_clause 0x2
	scratch_load_b128 v[170:173], off, off offset:176
	scratch_load_b128 v[178:181], off, off
	scratch_load_b128 v[186:189], off, off offset:192
	s_wait_loadcnt_dscnt 0xc00
	v_mul_f64_e32 v[174:175], v[168:169], v[4:5]
	v_mul_f64_e32 v[194:195], v[166:167], v[4:5]
	ds_load_b128 v[182:185], v176 offset:1024
	ds_load_b128 v[190:193], v176 offset:1056
	v_fma_f64 v[174:175], v[166:167], v[2:3], -v[174:175]
	v_fmac_f64_e32 v[194:195], v[168:169], v[2:3]
	ds_load_b128 v[2:5], v176 offset:1040
	s_wait_loadcnt_dscnt 0xb02
	v_mul_f64_e32 v[196:197], v[182:183], v[8:9]
	v_mul_f64_e32 v[8:9], v[184:185], v[8:9]
	scratch_load_b128 v[166:169], off, off offset:208
	s_wait_loadcnt_dscnt 0xb00
	v_mul_f64_e32 v[198:199], v[2:3], v[12:13]
	v_mul_f64_e32 v[12:13], v[4:5], v[12:13]
	v_add_f64_e32 v[174:175], 0, v[174:175]
	v_fmac_f64_e32 v[196:197], v[184:185], v[6:7]
	v_fma_f64 v[182:183], v[182:183], v[6:7], -v[8:9]
	v_add_f64_e32 v[184:185], 0, v[194:195]
	scratch_load_b128 v[6:9], off, off offset:224
	v_fmac_f64_e32 v[198:199], v[4:5], v[10:11]
	v_fma_f64 v[200:201], v[2:3], v[10:11], -v[12:13]
	ds_load_b128 v[2:5], v176 offset:1072
	s_wait_loadcnt 0xb
	v_mul_f64_e32 v[194:195], v[190:191], v[16:17]
	v_mul_f64_e32 v[16:17], v[192:193], v[16:17]
	scratch_load_b128 v[10:13], off, off offset:240
	v_add_f64_e32 v[174:175], v[174:175], v[182:183]
	v_add_f64_e32 v[196:197], v[184:185], v[196:197]
	ds_load_b128 v[182:185], v176 offset:1088
	s_wait_loadcnt_dscnt 0xb01
	v_mul_f64_e32 v[202:203], v[2:3], v[144:145]
	v_mul_f64_e32 v[144:145], v[4:5], v[144:145]
	v_fmac_f64_e32 v[194:195], v[192:193], v[14:15]
	v_fma_f64 v[190:191], v[190:191], v[14:15], -v[16:17]
	scratch_load_b128 v[14:17], off, off offset:256
	v_add_f64_e32 v[174:175], v[174:175], v[200:201]
	v_add_f64_e32 v[192:193], v[196:197], v[198:199]
	v_fmac_f64_e32 v[202:203], v[4:5], v[142:143]
	v_fma_f64 v[198:199], v[2:3], v[142:143], -v[144:145]
	ds_load_b128 v[2:5], v176 offset:1104
	s_wait_loadcnt_dscnt 0xb01
	v_mul_f64_e32 v[196:197], v[182:183], v[148:149]
	v_mul_f64_e32 v[148:149], v[184:185], v[148:149]
	scratch_load_b128 v[142:145], off, off offset:272
	s_wait_loadcnt_dscnt 0xb00
	v_mul_f64_e32 v[200:201], v[2:3], v[152:153]
	v_mul_f64_e32 v[152:153], v[4:5], v[152:153]
	v_add_f64_e32 v[174:175], v[174:175], v[190:191]
	v_add_f64_e32 v[194:195], v[192:193], v[194:195]
	ds_load_b128 v[190:193], v176 offset:1120
	v_fmac_f64_e32 v[196:197], v[184:185], v[146:147]
	v_fma_f64 v[182:183], v[182:183], v[146:147], -v[148:149]
	scratch_load_b128 v[146:149], off, off offset:288
	v_fmac_f64_e32 v[200:201], v[4:5], v[150:151]
	v_add_f64_e32 v[174:175], v[174:175], v[198:199]
	v_add_f64_e32 v[184:185], v[194:195], v[202:203]
	v_fma_f64 v[198:199], v[2:3], v[150:151], -v[152:153]
	ds_load_b128 v[2:5], v176 offset:1136
	s_wait_loadcnt_dscnt 0xb01
	v_mul_f64_e32 v[194:195], v[190:191], v[156:157]
	v_mul_f64_e32 v[156:157], v[192:193], v[156:157]
	scratch_load_b128 v[150:153], off, off offset:304
	s_wait_loadcnt_dscnt 0xb00
	v_mul_f64_e32 v[202:203], v[2:3], v[160:161]
	v_mul_f64_e32 v[160:161], v[4:5], v[160:161]
	v_add_f64_e32 v[174:175], v[174:175], v[182:183]
	v_add_f64_e32 v[196:197], v[184:185], v[196:197]
	ds_load_b128 v[182:185], v176 offset:1152
	v_fmac_f64_e32 v[194:195], v[192:193], v[154:155]
	v_fma_f64 v[190:191], v[190:191], v[154:155], -v[156:157]
	scratch_load_b128 v[154:157], off, off offset:320
	v_fmac_f64_e32 v[202:203], v[4:5], v[158:159]
	v_add_f64_e32 v[174:175], v[174:175], v[198:199]
	v_add_f64_e32 v[192:193], v[196:197], v[200:201]
	;; [unrolled: 18-line block ×3, first 2 shown]
	v_fma_f64 v[198:199], v[2:3], v[170:171], -v[172:173]
	ds_load_b128 v[2:5], v176 offset:1200
	s_wait_loadcnt_dscnt 0xa01
	v_mul_f64_e32 v[194:195], v[190:191], v[188:189]
	v_mul_f64_e32 v[188:189], v[192:193], v[188:189]
	scratch_load_b128 v[170:173], off, off offset:368
	v_add_f64_e32 v[174:175], v[174:175], v[182:183]
	v_add_f64_e32 v[196:197], v[184:185], v[196:197]
	s_wait_loadcnt_dscnt 0xa00
	v_mul_f64_e32 v[202:203], v[2:3], v[168:169]
	v_mul_f64_e32 v[168:169], v[4:5], v[168:169]
	v_fmac_f64_e32 v[194:195], v[192:193], v[186:187]
	v_fma_f64 v[190:191], v[190:191], v[186:187], -v[188:189]
	ds_load_b128 v[182:185], v176 offset:1216
	scratch_load_b128 v[186:189], off, off offset:384
	v_add_f64_e32 v[174:175], v[174:175], v[198:199]
	v_add_f64_e32 v[192:193], v[196:197], v[200:201]
	v_fmac_f64_e32 v[202:203], v[4:5], v[166:167]
	v_fma_f64 v[198:199], v[2:3], v[166:167], -v[168:169]
	ds_load_b128 v[2:5], v176 offset:1232
	s_wait_loadcnt_dscnt 0xa01
	v_mul_f64_e32 v[196:197], v[182:183], v[8:9]
	v_mul_f64_e32 v[8:9], v[184:185], v[8:9]
	scratch_load_b128 v[166:169], off, off offset:400
	s_wait_loadcnt_dscnt 0xa00
	v_mul_f64_e32 v[200:201], v[2:3], v[12:13]
	v_mul_f64_e32 v[12:13], v[4:5], v[12:13]
	v_add_f64_e32 v[174:175], v[174:175], v[190:191]
	v_add_f64_e32 v[194:195], v[192:193], v[194:195]
	ds_load_b128 v[190:193], v176 offset:1248
	v_fmac_f64_e32 v[196:197], v[184:185], v[6:7]
	v_fma_f64 v[182:183], v[182:183], v[6:7], -v[8:9]
	scratch_load_b128 v[6:9], off, off offset:416
	v_fmac_f64_e32 v[200:201], v[4:5], v[10:11]
	v_add_f64_e32 v[174:175], v[174:175], v[198:199]
	v_add_f64_e32 v[184:185], v[194:195], v[202:203]
	v_fma_f64 v[198:199], v[2:3], v[10:11], -v[12:13]
	ds_load_b128 v[2:5], v176 offset:1264
	s_wait_loadcnt_dscnt 0xa01
	v_mul_f64_e32 v[194:195], v[190:191], v[16:17]
	v_mul_f64_e32 v[16:17], v[192:193], v[16:17]
	scratch_load_b128 v[10:13], off, off offset:432
	s_wait_loadcnt_dscnt 0xa00
	v_mul_f64_e32 v[202:203], v[2:3], v[144:145]
	v_mul_f64_e32 v[144:145], v[4:5], v[144:145]
	v_add_f64_e32 v[174:175], v[174:175], v[182:183]
	v_add_f64_e32 v[196:197], v[184:185], v[196:197]
	ds_load_b128 v[182:185], v176 offset:1280
	v_fmac_f64_e32 v[194:195], v[192:193], v[14:15]
	v_fma_f64 v[190:191], v[190:191], v[14:15], -v[16:17]
	scratch_load_b128 v[14:17], off, off offset:448
	v_fmac_f64_e32 v[202:203], v[4:5], v[142:143]
	v_add_f64_e32 v[174:175], v[174:175], v[198:199]
	v_add_f64_e32 v[192:193], v[196:197], v[200:201]
	;; [unrolled: 18-line block ×18, first 2 shown]
	v_fma_f64 v[198:199], v[2:3], v[166:167], -v[168:169]
	ds_load_b128 v[2:5], v176 offset:1808
	s_wait_loadcnt_dscnt 0xa01
	v_mul_f64_e32 v[196:197], v[182:183], v[8:9]
	v_mul_f64_e32 v[8:9], v[184:185], v[8:9]
	scratch_load_b128 v[166:169], off, off offset:976
	s_wait_loadcnt_dscnt 0xa00
	v_mul_f64_e32 v[200:201], v[2:3], v[12:13]
	v_mul_f64_e32 v[12:13], v[4:5], v[12:13]
	v_add_f64_e32 v[174:175], v[174:175], v[190:191]
	v_add_f64_e32 v[194:195], v[192:193], v[194:195]
	ds_load_b128 v[190:193], v176 offset:1824
	v_fmac_f64_e32 v[196:197], v[184:185], v[6:7]
	v_fma_f64 v[6:7], v[182:183], v[6:7], -v[8:9]
	s_wait_loadcnt_dscnt 0x900
	v_mul_f64_e32 v[182:183], v[190:191], v[16:17]
	v_mul_f64_e32 v[16:17], v[192:193], v[16:17]
	v_fmac_f64_e32 v[200:201], v[4:5], v[10:11]
	v_fma_f64 v[10:11], v[2:3], v[10:11], -v[12:13]
	v_add_f64_e32 v[8:9], v[174:175], v[198:199]
	v_add_f64_e32 v[174:175], v[194:195], v[202:203]
	v_fmac_f64_e32 v[182:183], v[192:193], v[14:15]
	v_fma_f64 v[14:15], v[190:191], v[14:15], -v[16:17]
	s_delay_alu instid0(VALU_DEP_4) | instskip(NEXT) | instid1(VALU_DEP_4)
	v_add_f64_e32 v[12:13], v[8:9], v[6:7]
	v_add_f64_e32 v[174:175], v[174:175], v[196:197]
	ds_load_b128 v[2:5], v176 offset:1840
	ds_load_b128 v[6:9], v176 offset:1856
	s_wait_loadcnt_dscnt 0x801
	v_mul_f64_e32 v[184:185], v[2:3], v[144:145]
	v_mul_f64_e32 v[144:145], v[4:5], v[144:145]
	s_wait_loadcnt_dscnt 0x700
	v_mul_f64_e32 v[16:17], v[6:7], v[148:149]
	v_mul_f64_e32 v[148:149], v[8:9], v[148:149]
	v_add_f64_e32 v[10:11], v[12:13], v[10:11]
	v_add_f64_e32 v[12:13], v[174:175], v[200:201]
	v_fmac_f64_e32 v[184:185], v[4:5], v[142:143]
	v_fma_f64 v[142:143], v[2:3], v[142:143], -v[144:145]
	v_fmac_f64_e32 v[16:17], v[8:9], v[146:147]
	v_fma_f64 v[6:7], v[6:7], v[146:147], -v[148:149]
	v_add_f64_e32 v[14:15], v[10:11], v[14:15]
	v_add_f64_e32 v[144:145], v[12:13], v[182:183]
	ds_load_b128 v[2:5], v176 offset:1872
	ds_load_b128 v[10:13], v176 offset:1888
	s_wait_loadcnt_dscnt 0x601
	v_mul_f64_e32 v[174:175], v[2:3], v[152:153]
	v_mul_f64_e32 v[152:153], v[4:5], v[152:153]
	v_add_f64_e32 v[8:9], v[14:15], v[142:143]
	v_add_f64_e32 v[14:15], v[144:145], v[184:185]
	s_wait_loadcnt_dscnt 0x500
	v_mul_f64_e32 v[142:143], v[10:11], v[156:157]
	v_mul_f64_e32 v[144:145], v[12:13], v[156:157]
	v_lshl_add_u64 v[156:157], v[40:41], 4, s[8:9]
	v_lshl_add_u64 v[40:41], v[90:91], 4, s[8:9]
	;; [unrolled: 1-line block ×3, first 2 shown]
	v_fmac_f64_e32 v[174:175], v[4:5], v[150:151]
	v_fma_f64 v[146:147], v[2:3], v[150:151], -v[152:153]
	v_add_f64_e32 v[148:149], v[8:9], v[6:7]
	v_add_f64_e32 v[14:15], v[14:15], v[16:17]
	ds_load_b128 v[2:5], v176 offset:1904
	ds_load_b128 v[6:9], v176 offset:1920
	v_fmac_f64_e32 v[142:143], v[12:13], v[154:155]
	v_fma_f64 v[10:11], v[10:11], v[154:155], -v[144:145]
	v_lshl_add_u64 v[154:155], v[44:45], 4, s[8:9]
	v_lshl_add_u64 v[44:45], v[94:95], 4, s[8:9]
	s_wait_loadcnt_dscnt 0x401
	v_mul_f64_e32 v[16:17], v[2:3], v[160:161]
	v_mul_f64_e32 v[150:151], v[4:5], v[160:161]
	s_wait_loadcnt_dscnt 0x300
	v_mul_f64_e32 v[144:145], v[6:7], v[164:165]
	v_lshl_add_u64 v[160:161], v[34:35], 4, s[8:9]
	v_lshl_add_u64 v[34:35], v[84:85], 4, s[8:9]
	;; [unrolled: 1-line block ×3, first 2 shown]
	v_add_f64_e32 v[12:13], v[148:149], v[146:147]
	v_add_f64_e32 v[14:15], v[14:15], v[174:175]
	v_mul_f64_e32 v[146:147], v[8:9], v[164:165]
	v_lshl_add_u64 v[174:175], v[22:23], 4, s[8:9]
	v_lshl_add_u64 v[164:165], v[32:33], 4, s[8:9]
	;; [unrolled: 1-line block ×6, first 2 shown]
	v_fmac_f64_e32 v[16:17], v[4:5], v[158:159]
	v_fma_f64 v[148:149], v[2:3], v[158:159], -v[150:151]
	v_fmac_f64_e32 v[144:145], v[8:9], v[162:163]
	v_lshl_add_u64 v[158:159], v[38:39], 4, s[8:9]
	v_lshl_add_u64 v[38:39], v[88:89], 4, s[8:9]
	;; [unrolled: 1-line block ×3, first 2 shown]
	v_add_f64_e32 v[150:151], v[12:13], v[10:11]
	v_add_f64_e32 v[14:15], v[14:15], v[142:143]
	ds_load_b128 v[2:5], v176 offset:1936
	ds_load_b128 v[10:13], v176 offset:1952
	v_fma_f64 v[6:7], v[6:7], v[162:163], -v[146:147]
	v_lshl_add_u64 v[162:163], v[36:37], 4, s[8:9]
	v_lshl_add_u64 v[36:37], v[86:87], 4, s[8:9]
	;; [unrolled: 1-line block ×3, first 2 shown]
	s_wait_loadcnt_dscnt 0x201
	v_mul_f64_e32 v[142:143], v[2:3], v[172:173]
	v_mul_f64_e32 v[152:153], v[4:5], v[172:173]
	s_wait_loadcnt_dscnt 0x100
	v_mul_f64_e32 v[146:147], v[12:13], v[188:189]
	v_lshl_add_u64 v[172:173], v[24:25], 4, s[8:9]
	v_lshl_add_u64 v[24:25], v[76:77], 4, s[8:9]
	;; [unrolled: 1-line block ×3, first 2 shown]
	v_add_f64_e32 v[8:9], v[150:151], v[148:149]
	v_add_f64_e32 v[14:15], v[14:15], v[16:17]
	v_mul_f64_e32 v[16:17], v[10:11], v[188:189]
	v_lshl_add_u64 v[150:151], v[46:47], 4, s[8:9]
	v_lshl_add_u64 v[46:47], v[96:97], 4, s[8:9]
	v_fmac_f64_e32 v[142:143], v[4:5], v[170:171]
	v_fma_f64 v[148:149], v[2:3], v[170:171], -v[152:153]
	ds_load_b128 v[2:5], v176 offset:1968
	v_fma_f64 v[10:11], v[10:11], v[186:187], -v[146:147]
	v_lshl_add_u64 v[170:171], v[28:29], 4, s[8:9]
	v_lshl_add_u64 v[152:153], v[42:43], 4, s[8:9]
	v_lshl_add_u64 v[146:147], v[52:53], 4, s[8:9]
	v_lshl_add_u64 v[28:29], v[82:83], 4, s[8:9]
	v_lshl_add_u64 v[42:43], v[92:93], 4, s[8:9]
	v_lshl_add_u64 v[52:53], v[102:103], 4, s[8:9]
	v_lshl_add_u64 v[82:83], v[132:133], 4, s[8:9]
	v_add_f64_e32 v[6:7], v[8:9], v[6:7]
	v_add_f64_e32 v[8:9], v[14:15], v[144:145]
	v_fmac_f64_e32 v[16:17], v[12:13], v[186:187]
	v_lshl_add_u64 v[12:13], v[68:69], 4, s[8:9]
	v_lshl_add_u64 v[68:69], v[118:119], 4, s[8:9]
	s_wait_loadcnt_dscnt 0x0
	v_mul_f64_e32 v[14:15], v[2:3], v[168:169]
	v_mul_f64_e32 v[144:145], v[4:5], v[168:169]
	v_lshl_add_u64 v[168:169], v[26:27], 4, s[8:9]
	v_lshl_add_u64 v[26:27], v[78:79], 4, s[8:9]
	;; [unrolled: 1-line block ×3, first 2 shown]
	v_add_f64_e32 v[6:7], v[6:7], v[148:149]
	v_add_f64_e32 v[8:9], v[8:9], v[142:143]
	v_lshl_add_u64 v[148:149], v[48:49], 4, s[8:9]
	v_lshl_add_u64 v[142:143], v[54:55], 4, s[8:9]
	v_lshl_add_u64 v[48:49], v[98:99], 4, s[8:9]
	v_lshl_add_u64 v[54:55], v[104:105], 4, s[8:9]
	v_fmac_f64_e32 v[14:15], v[4:5], v[166:167]
	v_fma_f64 v[2:3], v[2:3], v[166:167], -v[144:145]
	v_lshl_add_u64 v[166:167], v[30:31], 4, s[8:9]
	v_lshl_add_u64 v[144:145], v[50:51], 4, s[8:9]
	;; [unrolled: 1-line block ×5, first 2 shown]
	v_add_f64_e32 v[4:5], v[6:7], v[10:11]
	v_add_f64_e32 v[6:7], v[8:9], v[16:17]
	v_lshl_add_u64 v[8:9], v[64:65], 4, s[8:9]
	v_lshl_add_u64 v[10:11], v[66:67], 4, s[8:9]
	v_lshl_add_u64 v[16:17], v[72:73], 4, s[8:9]
	v_lshl_add_u64 v[64:65], v[114:115], 4, s[8:9]
	v_lshl_add_u64 v[66:67], v[116:117], 4, s[8:9]
	v_lshl_add_u64 v[72:73], v[122:123], 4, s[8:9]
	v_add_f64_e32 v[182:183], v[4:5], v[2:3]
	v_add_f64_e32 v[184:185], v[6:7], v[14:15]
	v_lshl_add_u64 v[2:3], v[58:59], 4, s[8:9]
	v_lshl_add_u64 v[4:5], v[60:61], 4, s[8:9]
	v_lshl_add_u64 v[6:7], v[62:63], 4, s[8:9]
	v_lshl_add_u64 v[14:15], v[70:71], 4, s[8:9]
	v_lshl_add_u64 v[58:59], v[108:109], 4, s[8:9]
	v_lshl_add_u64 v[60:61], v[110:111], 4, s[8:9]
	v_lshl_add_u64 v[62:63], v[112:113], 4, s[8:9]
	v_lshl_add_u64 v[70:71], v[120:121], 4, s[8:9]
	v_add_f64_e64 v[178:179], v[178:179], -v[182:183]
	v_add_f64_e64 v[180:181], v[180:181], -v[184:185]
	scratch_store_b128 off, v[178:181], off
	s_cbranch_vccz .LBB61_520
; %bb.398:
	global_load_b32 v92, v176, s[16:17] offset:240
	s_load_b64 s[2:3], s[0:1], 0x4
	v_bfe_u32 v93, v0, 10, 10
	v_bfe_u32 v0, v0, 20, 10
	s_wait_kmcnt 0x0
	s_lshr_b32 s0, s2, 16
	s_delay_alu instid0(VALU_DEP_2) | instskip(SKIP_1) | instid1(SALU_CYCLE_1)
	v_mul_u32_u24_e32 v93, s3, v93
	s_mul_i32 s0, s0, s3
	v_mul_u32_u24_e32 v1, s0, v1
	s_delay_alu instid0(VALU_DEP_1) | instskip(NEXT) | instid1(VALU_DEP_1)
	v_add3_u32 v0, v1, v93, v0
	v_lshl_add_u32 v0, v0, 4, 0x7c8
	s_wait_loadcnt 0x0
	v_cmp_ne_u32_e32 vcc_lo, 61, v92
	s_cbranch_vccz .LBB61_400
; %bb.399:
	v_lshlrev_b32_e32 v1, 4, v92
	s_clause 0x1
	scratch_load_b128 v[92:95], off, s28
	scratch_load_b128 v[96:99], v1, off offset:-16
	s_wait_loadcnt 0x1
	ds_store_2addr_b64 v0, v[92:93], v[94:95] offset1:1
	s_wait_loadcnt 0x0
	s_clause 0x1
	scratch_store_b128 off, v[96:99], s28
	scratch_store_b128 v1, v[92:95], off offset:-16
.LBB61_400:
	s_wait_xcnt 0x0
	v_mov_b32_e32 v1, 0
	global_load_b32 v92, v1, s[16:17] offset:236
	s_wait_loadcnt 0x0
	v_cmp_eq_u32_e32 vcc_lo, 60, v92
	s_cbranch_vccnz .LBB61_402
; %bb.401:
	v_lshlrev_b32_e32 v92, 4, v92
	s_delay_alu instid0(VALU_DEP_1)
	v_mov_b32_e32 v100, v92
	s_clause 0x1
	scratch_load_b128 v[92:95], off, s26
	scratch_load_b128 v[96:99], v100, off offset:-16
	s_wait_loadcnt 0x1
	ds_store_2addr_b64 v0, v[92:93], v[94:95] offset1:1
	s_wait_loadcnt 0x0
	s_clause 0x1
	scratch_store_b128 off, v[96:99], s26
	scratch_store_b128 v100, v[92:95], off offset:-16
.LBB61_402:
	global_load_b32 v1, v1, s[16:17] offset:232
	s_wait_loadcnt 0x0
	v_cmp_eq_u32_e32 vcc_lo, 59, v1
	s_cbranch_vccnz .LBB61_404
; %bb.403:
	s_wait_xcnt 0x0
	v_lshlrev_b32_e32 v1, 4, v1
	s_clause 0x1
	scratch_load_b128 v[92:95], off, s34
	scratch_load_b128 v[96:99], v1, off offset:-16
	s_wait_loadcnt 0x1
	ds_store_2addr_b64 v0, v[92:93], v[94:95] offset1:1
	s_wait_loadcnt 0x0
	s_clause 0x1
	scratch_store_b128 off, v[96:99], s34
	scratch_store_b128 v1, v[92:95], off offset:-16
.LBB61_404:
	s_wait_xcnt 0x0
	v_mov_b32_e32 v1, 0
	global_load_b32 v92, v1, s[16:17] offset:228
	s_wait_loadcnt 0x0
	v_cmp_eq_u32_e32 vcc_lo, 58, v92
	s_cbranch_vccnz .LBB61_406
; %bb.405:
	v_lshlrev_b32_e32 v92, 4, v92
	s_delay_alu instid0(VALU_DEP_1)
	v_mov_b32_e32 v100, v92
	s_clause 0x1
	scratch_load_b128 v[92:95], off, s30
	scratch_load_b128 v[96:99], v100, off offset:-16
	s_wait_loadcnt 0x1
	ds_store_2addr_b64 v0, v[92:93], v[94:95] offset1:1
	s_wait_loadcnt 0x0
	s_clause 0x1
	scratch_store_b128 off, v[96:99], s30
	scratch_store_b128 v100, v[92:95], off offset:-16
.LBB61_406:
	global_load_b32 v1, v1, s[16:17] offset:224
	s_wait_loadcnt 0x0
	v_cmp_eq_u32_e32 vcc_lo, 57, v1
	s_cbranch_vccnz .LBB61_408
; %bb.407:
	s_wait_xcnt 0x0
	v_lshlrev_b32_e32 v1, 4, v1
	s_clause 0x1
	scratch_load_b128 v[92:95], off, s37
	scratch_load_b128 v[96:99], v1, off offset:-16
	s_wait_loadcnt 0x1
	ds_store_2addr_b64 v0, v[92:93], v[94:95] offset1:1
	s_wait_loadcnt 0x0
	s_clause 0x1
	scratch_store_b128 off, v[96:99], s37
	scratch_store_b128 v1, v[92:95], off offset:-16
.LBB61_408:
	;; [unrolled: 37-line block ×29, first 2 shown]
	s_wait_xcnt 0x0
	v_mov_b32_e32 v1, 0
	global_load_b32 v92, v1, s[16:17] offset:4
	s_wait_loadcnt 0x0
	v_cmp_eq_u32_e32 vcc_lo, 2, v92
	s_cbranch_vccnz .LBB61_518
; %bb.517:
	v_lshlrev_b32_e32 v92, 4, v92
	s_delay_alu instid0(VALU_DEP_1)
	v_mov_b32_e32 v100, v92
	s_clause 0x1
	scratch_load_b128 v[92:95], off, s54
	scratch_load_b128 v[96:99], v100, off offset:-16
	s_wait_loadcnt 0x1
	ds_store_2addr_b64 v0, v[92:93], v[94:95] offset1:1
	s_wait_loadcnt 0x0
	s_clause 0x1
	scratch_store_b128 off, v[96:99], s54
	scratch_store_b128 v100, v[92:95], off offset:-16
.LBB61_518:
	global_load_b32 v1, v1, s[16:17]
	s_wait_loadcnt 0x0
	v_cmp_eq_u32_e32 vcc_lo, 1, v1
	s_cbranch_vccnz .LBB61_520
; %bb.519:
	s_wait_xcnt 0x0
	v_lshlrev_b32_e32 v1, 4, v1
	scratch_load_b128 v[92:95], off, off
	scratch_load_b128 v[96:99], v1, off offset:-16
	s_wait_loadcnt 0x1
	ds_store_2addr_b64 v0, v[92:93], v[94:95] offset1:1
	s_wait_loadcnt 0x0
	scratch_store_b128 off, v[96:99], off
	scratch_store_b128 v1, v[92:95], off offset:-16
.LBB61_520:
	scratch_load_b128 v[92:95], off, off
	s_clause 0x1e
	scratch_load_b128 v[96:99], off, s54
	scratch_load_b128 v[100:103], off, s53
	;; [unrolled: 1-line block ×25, first 2 shown]
	; meta instruction
	; meta instruction
	;; [unrolled: 1-line block ×15, first 2 shown]
	scratch_load_b128 v[232:235], off, s47
	scratch_load_b128 v[236:239], off, s44
	;; [unrolled: 1-line block ×6, first 2 shown]
	s_wait_loadcnt 0x1f
	global_store_b128 v[18:19], v[92:95], off
	s_wait_loadcnt 0x1e
	global_store_b128 v[20:21], v[96:99], off
	s_clause 0x1
	scratch_load_b128 v[18:21], off, s43
	scratch_load_b128 v[92:95], off, s45
	s_wait_loadcnt 0x1f
	global_store_b128 v[174:175], v[100:103], off
	s_clause 0x1
	scratch_load_b128 v[96:99], off, s41
	scratch_load_b128 v[100:103], off, s42
	;; [unrolled: 5-line block ×3, first 2 shown]
	s_wait_loadcnt 0x21
	global_store_b128 v[168:169], v[108:111], off
	s_wait_loadcnt 0x20
	global_store_b128 v[170:171], v[112:115], off
	s_clause 0x1
	scratch_load_b128 v[108:111], off, s36
	scratch_load_b128 v[112:115], off, s38
	s_wait_loadcnt 0x21
	global_store_b128 v[166:167], v[116:119], off
	s_clause 0x1
	scratch_load_b128 v[116:119], off, s31
	scratch_load_b128 v[166:169], off, s33
	s_wait_loadcnt 0x22
	global_store_b128 v[164:165], v[120:123], off
	s_clause 0x2
	scratch_load_b128 v[120:123], off, s27
	s_set_vgpr_msb 64                       ;  msbs: dst=1 src0=0 src1=0 src2=0
	scratch_load_b128 v[0:3] /*v[256:259]*/, off, s29
	s_wait_loadcnt 0x23
	global_store_b128 v[160:161], v[124:127], off
	s_wait_loadcnt 0x22
	global_store_b128 v[162:163], v[128:131], off
	s_set_vgpr_msb 0                        ;  msbs: dst=0 src0=0 src1=0 src2=0
	s_clause 0x1
	scratch_load_b128 v[124:127], off, s24
	scratch_load_b128 v[128:131], off, s25
	s_wait_loadcnt 0x23
	global_store_b128 v[158:159], v[132:135], off
	s_clause 0x1
	scratch_load_b128 v[132:135], off, s22
	scratch_load_b128 v[158:161], off, s23
	s_wait_loadcnt 0x24
	global_store_b128 v[156:157], v[136:139], off
	s_clause 0x1
	scratch_load_b128 v[136:139], off, s20
	scratch_load_b128 v[162:165], off, s21
	s_wait_loadcnt 0x25
	global_store_b128 v[152:153], v[176:179], off
	s_wait_loadcnt 0x24
	global_store_b128 v[154:155], v[180:183], off
	s_clause 0x1
	scratch_load_b128 v[152:155], off, s14
	scratch_load_b128 v[176:179], off, s15
	s_wait_loadcnt 0x25
	global_store_b128 v[150:151], v[184:187], off
	s_clause 0x1
	scratch_load_b128 v[180:183], off, s12
	scratch_load_b128 v[184:187], off, s13
	s_wait_loadcnt 0x26
	global_store_b128 v[148:149], v[188:191], off
	s_clause 0x1
	scratch_load_b128 v[148:151], off, s10
	scratch_load_b128 v[188:191], off, s11
	s_wait_loadcnt 0x27
	global_store_b128 v[144:145], v[192:195], off
	s_wait_loadcnt 0x26
	global_store_b128 v[146:147], v[196:199], off
	;; [unrolled: 17-line block ×3, first 2 shown]
	s_wait_loadcnt 0x27
	global_store_b128 v[6:7], v[216:219], off
	s_wait_loadcnt 0x26
	global_store_b128 v[8:9], v[220:223], off
	;; [unrolled: 2-line block ×20, first 2 shown]
	s_wait_loadcnt 0x12
	s_set_vgpr_msb 4                        ;  msbs: dst=0 src0=0 src1=1 src2=0
	global_store_b128 v[52:53], v[0:3] /*v[256:259]*/, off
	s_wait_loadcnt 0x11
	s_set_vgpr_msb 0                        ;  msbs: dst=0 src0=0 src1=0 src2=0
	global_store_b128 v[54:55], v[124:127], off
	s_wait_loadcnt 0x10
	global_store_b128 v[56:57], v[128:131], off
	s_wait_loadcnt 0xf
	;; [unrolled: 2-line block ×17, first 2 shown]
	s_clause 0x1
	global_store_b128 v[88:89], v[204:207], off
	global_store_b128 v[90:91], v[252:255], off
	s_sendmsg sendmsg(MSG_DEALLOC_VGPRS)
	s_endpgm
	.section	.rodata,"a",@progbits
	.p2align	6, 0x0
	.amdhsa_kernel _ZN9rocsolver6v33100L18getri_kernel_smallILi62E19rocblas_complex_numIdEPS3_EEvT1_iilPiilS6_bb
		.amdhsa_group_segment_fixed_size 3016
		.amdhsa_private_segment_fixed_size 1008
		.amdhsa_kernarg_size 60
		.amdhsa_user_sgpr_count 4
		.amdhsa_user_sgpr_dispatch_ptr 1
		.amdhsa_user_sgpr_queue_ptr 0
		.amdhsa_user_sgpr_kernarg_segment_ptr 1
		.amdhsa_user_sgpr_dispatch_id 0
		.amdhsa_user_sgpr_kernarg_preload_length 0
		.amdhsa_user_sgpr_kernarg_preload_offset 0
		.amdhsa_user_sgpr_private_segment_size 0
		.amdhsa_wavefront_size32 1
		.amdhsa_uses_dynamic_stack 0
		.amdhsa_enable_private_segment 1
		.amdhsa_system_sgpr_workgroup_id_x 1
		.amdhsa_system_sgpr_workgroup_id_y 0
		.amdhsa_system_sgpr_workgroup_id_z 0
		.amdhsa_system_sgpr_workgroup_info 0
		.amdhsa_system_vgpr_workitem_id 2
		.amdhsa_next_free_vgpr 272
		.amdhsa_next_free_sgpr 105
		.amdhsa_named_barrier_count 0
		.amdhsa_reserve_vcc 1
		.amdhsa_float_round_mode_32 0
		.amdhsa_float_round_mode_16_64 0
		.amdhsa_float_denorm_mode_32 3
		.amdhsa_float_denorm_mode_16_64 3
		.amdhsa_fp16_overflow 0
		.amdhsa_memory_ordered 1
		.amdhsa_forward_progress 1
		.amdhsa_inst_pref_size 255
		.amdhsa_round_robin_scheduling 0
		.amdhsa_exception_fp_ieee_invalid_op 0
		.amdhsa_exception_fp_denorm_src 0
		.amdhsa_exception_fp_ieee_div_zero 0
		.amdhsa_exception_fp_ieee_overflow 0
		.amdhsa_exception_fp_ieee_underflow 0
		.amdhsa_exception_fp_ieee_inexact 0
		.amdhsa_exception_int_div_zero 0
	.end_amdhsa_kernel
	.section	.text._ZN9rocsolver6v33100L18getri_kernel_smallILi62E19rocblas_complex_numIdEPS3_EEvT1_iilPiilS6_bb,"axG",@progbits,_ZN9rocsolver6v33100L18getri_kernel_smallILi62E19rocblas_complex_numIdEPS3_EEvT1_iilPiilS6_bb,comdat
.Lfunc_end61:
	.size	_ZN9rocsolver6v33100L18getri_kernel_smallILi62E19rocblas_complex_numIdEPS3_EEvT1_iilPiilS6_bb, .Lfunc_end61-_ZN9rocsolver6v33100L18getri_kernel_smallILi62E19rocblas_complex_numIdEPS3_EEvT1_iilPiilS6_bb
                                        ; -- End function
	.set _ZN9rocsolver6v33100L18getri_kernel_smallILi62E19rocblas_complex_numIdEPS3_EEvT1_iilPiilS6_bb.num_vgpr, 272
	.set _ZN9rocsolver6v33100L18getri_kernel_smallILi62E19rocblas_complex_numIdEPS3_EEvT1_iilPiilS6_bb.num_agpr, 0
	.set _ZN9rocsolver6v33100L18getri_kernel_smallILi62E19rocblas_complex_numIdEPS3_EEvT1_iilPiilS6_bb.numbered_sgpr, 105
	.set _ZN9rocsolver6v33100L18getri_kernel_smallILi62E19rocblas_complex_numIdEPS3_EEvT1_iilPiilS6_bb.num_named_barrier, 0
	.set _ZN9rocsolver6v33100L18getri_kernel_smallILi62E19rocblas_complex_numIdEPS3_EEvT1_iilPiilS6_bb.private_seg_size, 1008
	.set _ZN9rocsolver6v33100L18getri_kernel_smallILi62E19rocblas_complex_numIdEPS3_EEvT1_iilPiilS6_bb.uses_vcc, 1
	.set _ZN9rocsolver6v33100L18getri_kernel_smallILi62E19rocblas_complex_numIdEPS3_EEvT1_iilPiilS6_bb.uses_flat_scratch, 1
	.set _ZN9rocsolver6v33100L18getri_kernel_smallILi62E19rocblas_complex_numIdEPS3_EEvT1_iilPiilS6_bb.has_dyn_sized_stack, 0
	.set _ZN9rocsolver6v33100L18getri_kernel_smallILi62E19rocblas_complex_numIdEPS3_EEvT1_iilPiilS6_bb.has_recursion, 0
	.set _ZN9rocsolver6v33100L18getri_kernel_smallILi62E19rocblas_complex_numIdEPS3_EEvT1_iilPiilS6_bb.has_indirect_call, 0
	.section	.AMDGPU.csdata,"",@progbits
; Kernel info:
; codeLenInByte = 137388
; TotalNumSgprs: 107
; NumVgprs: 272
; ScratchSize: 1008
; MemoryBound: 0
; FloatMode: 240
; IeeeMode: 1
; LDSByteSize: 3016 bytes/workgroup (compile time only)
; SGPRBlocks: 0
; VGPRBlocks: 16
; NumSGPRsForWavesPerEU: 107
; NumVGPRsForWavesPerEU: 272
; NamedBarCnt: 0
; Occupancy: 3
; WaveLimiterHint : 1
; COMPUTE_PGM_RSRC2:SCRATCH_EN: 1
; COMPUTE_PGM_RSRC2:USER_SGPR: 4
; COMPUTE_PGM_RSRC2:TRAP_HANDLER: 0
; COMPUTE_PGM_RSRC2:TGID_X_EN: 1
; COMPUTE_PGM_RSRC2:TGID_Y_EN: 0
; COMPUTE_PGM_RSRC2:TGID_Z_EN: 0
; COMPUTE_PGM_RSRC2:TIDIG_COMP_CNT: 2
	.section	.text._ZN9rocsolver6v33100L18getri_kernel_smallILi63E19rocblas_complex_numIdEPS3_EEvT1_iilPiilS6_bb,"axG",@progbits,_ZN9rocsolver6v33100L18getri_kernel_smallILi63E19rocblas_complex_numIdEPS3_EEvT1_iilPiilS6_bb,comdat
	.globl	_ZN9rocsolver6v33100L18getri_kernel_smallILi63E19rocblas_complex_numIdEPS3_EEvT1_iilPiilS6_bb ; -- Begin function _ZN9rocsolver6v33100L18getri_kernel_smallILi63E19rocblas_complex_numIdEPS3_EEvT1_iilPiilS6_bb
	.p2align	8
	.type	_ZN9rocsolver6v33100L18getri_kernel_smallILi63E19rocblas_complex_numIdEPS3_EEvT1_iilPiilS6_bb,@function
_ZN9rocsolver6v33100L18getri_kernel_smallILi63E19rocblas_complex_numIdEPS3_EEvT1_iilPiilS6_bb: ; @_ZN9rocsolver6v33100L18getri_kernel_smallILi63E19rocblas_complex_numIdEPS3_EEvT1_iilPiilS6_bb
; %bb.0:
	v_and_b32_e32 v1, 0x3ff, v0
	s_mov_b32 s4, exec_lo
	s_delay_alu instid0(VALU_DEP_1)
	v_cmpx_gt_u32_e32 63, v1
	s_cbranch_execz .LBB62_278
; %bb.1:
	s_clause 0x2
	s_load_b32 s8, s[2:3], 0x38
	s_load_b128 s[12:15], s[2:3], 0x10
	s_load_b128 s[4:7], s[2:3], 0x28
	s_getreg_b32 s11, hwreg(HW_REG_IB_STS2, 6, 4)
                                        ; implicit-def: $sgpr16_sgpr17
	s_wait_kmcnt 0x0
	s_bitcmp1_b32 s8, 8
	s_cselect_b32 s77, -1, 0
	s_bfe_u32 s9, ttmp6, 0x4000c
	s_and_b32 s10, ttmp6, 15
	s_add_co_i32 s9, s9, 1
	s_delay_alu instid0(SALU_CYCLE_1) | instskip(NEXT) | instid1(SALU_CYCLE_1)
	s_mul_i32 s9, ttmp9, s9
	s_add_co_i32 s10, s10, s9
	s_cmp_eq_u32 s11, 0
	s_cselect_b32 s18, ttmp9, s10
	s_bfe_u32 s8, s8, 0x10008
	s_ashr_i32 s19, s18, 31
	s_cmp_eq_u32 s8, 0
	s_cbranch_scc1 .LBB62_3
; %bb.2:
	s_load_b32 s8, s[2:3], 0x20
	s_mul_u64 s[4:5], s[4:5], s[18:19]
	s_delay_alu instid0(SALU_CYCLE_1) | instskip(NEXT) | instid1(SALU_CYCLE_1)
	s_lshl_b64 s[4:5], s[4:5], 2
	s_add_nc_u64 s[4:5], s[14:15], s[4:5]
	s_wait_kmcnt 0x0
	s_ashr_i32 s9, s8, 31
	s_delay_alu instid0(SALU_CYCLE_1) | instskip(NEXT) | instid1(SALU_CYCLE_1)
	s_lshl_b64 s[8:9], s[8:9], 2
	s_add_nc_u64 s[16:17], s[4:5], s[8:9]
.LBB62_3:
	s_clause 0x1
	s_load_b128 s[8:11], s[2:3], 0x0
	s_load_b32 s4, s[2:3], 0x38
	s_wait_xcnt 0x0
	s_mul_u64 s[2:3], s[12:13], s[18:19]
	s_movk_i32 s42, 0x230
	s_lshl_b64 s[2:3], s[2:3], 4
	s_movk_i32 s78, 0x240
	s_movk_i32 s79, 0x250
	;; [unrolled: 1-line block ×15, first 2 shown]
	s_wait_kmcnt 0x0
	v_add3_u32 v32, s11, s11, v1
	s_ashr_i32 s13, s10, 31
	s_mov_b32 s12, s10
	s_add_nc_u64 s[2:3], s[8:9], s[2:3]
	s_lshl_b64 s[8:9], s[12:13], 4
	v_add_nc_u32_e32 v34, s11, v32
	s_add_nc_u64 s[8:9], s[2:3], s[8:9]
	s_ashr_i32 s3, s11, 31
	s_mov_b32 s2, s11
	s_clause 0x1
	global_load_b128 v[2:5], v1, s[8:9] scale_offset
	global_load_b128 v[6:9], v32, s[8:9] scale_offset
	v_add_nc_u32_e32 v36, s11, v34
	s_movk_i32 s93, 0x330
	s_movk_i32 s94, 0x340
	;; [unrolled: 1-line block ×4, first 2 shown]
	v_add_nc_u32_e32 v38, s11, v36
	s_movk_i32 s97, 0x370
	s_movk_i32 s98, 0x380
	;; [unrolled: 1-line block ×4, first 2 shown]
	v_add_nc_u32_e32 v40, s11, v38
	global_load_b128 v[10:13], v34, s[8:9] scale_offset
	s_movk_i32 s101, 0x3b0
	s_movk_i32 s104, 0x3c0
	s_movk_i32 vcc_lo, 0x3d0
	v_add_nc_u32_e32 v42, s11, v40
	global_load_b128 v[16:19], v36, s[8:9] scale_offset
	s_movk_i32 vcc_hi, 0x3e0
	s_mov_b32 s54, 16
	s_mov_b32 s53, 32
	v_add_nc_u32_e32 v44, s11, v42
	s_mov_b32 s52, 48
	s_mov_b32 s51, 64
	s_movk_i32 s76, 0x50
	s_movk_i32 s75, 0x60
	v_add_nc_u32_e32 v46, s11, v44
	s_movk_i32 s74, 0x70
	s_movk_i32 s73, 0x80
	s_movk_i32 s72, 0x90
	s_movk_i32 s71, 0xa0
	v_add_nc_u32_e32 v48, s11, v46
	s_movk_i32 s70, 0xb0
	s_movk_i32 s57, 0xc0
	;; [unrolled: 5-line block ×6, first 2 shown]
	s_movk_i32 s49, 0x1d0
	s_movk_i32 s50, 0x1e0
	v_dual_add_nc_u32 v58, s11, v56 :: v_dual_lshlrev_b32 v14, 4, v1
	s_movk_i32 s45, 0x1f0
	s_movk_i32 s46, 0x200
	;; [unrolled: 1-line block ×3, first 2 shown]
	s_delay_alu instid0(VALU_DEP_1) | instskip(SKIP_3) | instid1(VALU_DEP_1)
	v_dual_mov_b32 v15, 0 :: v_dual_add_nc_u32 v60, s11, v58
	s_movk_i32 s44, 0x220
	s_mov_b32 s41, s42
	s_mov_b32 s42, s78
	v_add_nc_u32_e32 v62, s11, v60
	v_add_nc_u64_e32 v[28:29], s[8:9], v[14:15]
	s_mov_b32 s39, s79
	s_mov_b32 s40, s80
	;; [unrolled: 1-line block ×3, first 2 shown]
	v_add_nc_u32_e32 v64, s11, v62
	s_mov_b32 s38, s82
	s_mov_b32 s35, s83
	v_lshl_add_u64 v[30:31], s[2:3], 4, v[28:29]
	s_mov_b32 s36, s84
	v_add_nc_u32_e32 v66, s11, v64
	s_mov_b32 s33, s85
	s_clause 0x3
	global_load_b128 v[20:23], v[30:31], off
	global_load_b128 v[24:27], v38, s[8:9] scale_offset
	global_load_b128 v[134:137], v40, s[8:9] scale_offset
	;; [unrolled: 1-line block ×3, first 2 shown]
	v_add_nc_u32_e32 v68, s11, v66
	s_clause 0x8
	global_load_b128 v[142:145], v44, s[8:9] scale_offset
	global_load_b128 v[146:149], v46, s[8:9] scale_offset
	;; [unrolled: 1-line block ×9, first 2 shown]
	v_add_nc_u32_e32 v70, s11, v68
	s_mov_b32 s34, s86
	s_mov_b32 s30, s87
	;; [unrolled: 1-line block ×4, first 2 shown]
	v_add_nc_u32_e32 v72, s11, v70
	s_clause 0x4
	global_load_b128 v[178:181], v62, s[8:9] scale_offset
	global_load_b128 v[182:185], v64, s[8:9] scale_offset
	;; [unrolled: 1-line block ×5, first 2 shown]
	s_mov_b32 s28, s90
	s_mov_b32 s23, s91
	v_add_nc_u32_e32 v74, s11, v72
	s_mov_b32 s25, s92
	s_mov_b32 s21, s93
	s_mov_b32 s22, s94
	s_mov_b32 s15, s95
	v_add_nc_u32_e32 v76, s11, v74
	s_mov_b32 s20, s96
	s_mov_b32 s13, s97
	;; [unrolled: 5-line block ×3, first 2 shown]
	s_mov_b32 s24, vcc_lo
	s_mov_b32 s26, vcc_hi
	v_add_nc_u32_e32 v80, s11, v78
	s_clause 0x1
	global_load_b128 v[198:201], v72, s[8:9] scale_offset
	global_load_b128 v[202:205], v74, s[8:9] scale_offset
	s_bitcmp0_b32 s4, 0
	s_mov_b32 s3, -1
	v_add_nc_u32_e32 v82, s11, v80
	s_delay_alu instid0(VALU_DEP_1)
	v_add_nc_u32_e32 v84, s11, v82
	s_clause 0x4
	global_load_b128 v[206:209], v76, s[8:9] scale_offset
	global_load_b128 v[210:213], v78, s[8:9] scale_offset
	;; [unrolled: 1-line block ×5, first 2 shown]
	v_add_nc_u32_e32 v86, s11, v84
	s_delay_alu instid0(VALU_DEP_1) | instskip(NEXT) | instid1(VALU_DEP_1)
	v_add_nc_u32_e32 v88, s11, v86
	v_add_nc_u32_e32 v90, s11, v88
	s_delay_alu instid0(VALU_DEP_1) | instskip(NEXT) | instid1(VALU_DEP_1)
	v_add_nc_u32_e32 v92, s11, v90
	v_add_nc_u32_e32 v94, s11, v92
	s_delay_alu instid0(VALU_DEP_1)
	v_add_nc_u32_e32 v96, s11, v94
	s_clause 0x3
	global_load_b128 v[226:229], v86, s[8:9] scale_offset
	global_load_b128 v[230:233], v88, s[8:9] scale_offset
	;; [unrolled: 1-line block ×4, first 2 shown]
	v_add_nc_u32_e32 v98, s11, v96
	s_delay_alu instid0(VALU_DEP_1) | instskip(NEXT) | instid1(VALU_DEP_1)
	v_add_nc_u32_e32 v100, s11, v98
	v_add_nc_u32_e32 v102, s11, v100
	s_delay_alu instid0(VALU_DEP_1)
	v_add_nc_u32_e32 v104, s11, v102
	s_clause 0x2
	global_load_b128 v[242:245], v94, s[8:9] scale_offset
	global_load_b128 v[246:249], v96, s[8:9] scale_offset
	;; [unrolled: 1-line block ×3, first 2 shown]
	s_wait_loadcnt 0x23
	scratch_store_b128 off, v[2:5], off
	s_wait_loadcnt 0x22
	scratch_store_b128 off, v[6:9], off offset:32
	v_add_nc_u32_e32 v106, s11, v104
	s_delay_alu instid0(VALU_DEP_1)
	v_add_nc_u32_e32 v108, s11, v106
	s_clause 0x1
	global_load_b128 v[2:5], v100, s[8:9] scale_offset
	global_load_b128 v[6:9], v102, s[8:9] scale_offset
	s_wait_loadcnt 0x23
	scratch_store_b128 off, v[10:13], off offset:48
	s_wait_loadcnt 0x22
	scratch_store_b128 off, v[16:19], off offset:64
	v_add_nc_u32_e32 v110, s11, v108
	s_clause 0x1
	global_load_b128 v[10:13], v104, s[8:9] scale_offset
	global_load_b128 v[16:19], v106, s[8:9] scale_offset
	v_add_nc_u32_e32 v112, s11, v110
	s_delay_alu instid0(VALU_DEP_1) | instskip(NEXT) | instid1(VALU_DEP_1)
	v_add_nc_u32_e32 v114, s11, v112
	v_add_nc_u32_e32 v116, s11, v114
	s_delay_alu instid0(VALU_DEP_1) | instskip(NEXT) | instid1(VALU_DEP_1)
	v_add_nc_u32_e32 v118, s11, v116
	;; [unrolled: 3-line block ×5, first 2 shown]
	v_add_nc_u32_e32 v132, s11, v130
	s_wait_loadcnt 0x23
	scratch_store_b128 off, v[20:23], off offset:16
	s_wait_loadcnt 0x22
	scratch_store_b128 off, v[24:27], off offset:80
	;; [unrolled: 2-line block ×3, first 2 shown]
	s_wait_xcnt 0x0
	v_add_nc_u32_e32 v134, s11, v132
	s_clause 0x1
	global_load_b128 v[20:23], v108, s[8:9] scale_offset
	global_load_b128 v[24:27], v110, s[8:9] scale_offset
	s_wait_loadcnt 0x22
	scratch_store_b128 off, v[138:141], off offset:112
	s_wait_loadcnt 0x21
	scratch_store_b128 off, v[142:145], off offset:128
	s_clause 0x2
	global_load_b128 v[254:257], v112, s[8:9] scale_offset
	s_set_vgpr_msb 64                       ;  msbs: dst=1 src0=0 src1=0 src2=0
	global_load_b128 v[2:5] /*v[258:261]*/, v114, s[8:9] scale_offset
	s_wait_loadcnt 0x22
	scratch_store_b128 off, v[146:149], off offset:144
	s_set_vgpr_msb 0                        ;  msbs: dst=0 src0=0 src1=0 src2=0
	v_add_nc_u32_e32 v136, s11, v134
	s_wait_loadcnt 0x21
	scratch_store_b128 off, v[150:153], off offset:160
	s_wait_loadcnt 0x20
	scratch_store_b128 off, v[154:157], off offset:176
	s_clause 0x2
	global_load_b128 v[154:157], v116, s[8:9] scale_offset
	s_set_vgpr_msb 64                       ;  msbs: dst=1 src0=0 src1=0 src2=0
	global_load_b128 v[6:9] /*v[262:265]*/, v118, s[8:9] scale_offset
	s_wait_loadcnt 0x21
	scratch_store_b128 off, v[158:161], off offset:192
	s_wait_loadcnt 0x20
	scratch_store_b128 off, v[162:165], off offset:208
	s_set_vgpr_msb 0                        ;  msbs: dst=0 src0=0 src1=0 src2=0
	s_clause 0x1
	global_load_b128 v[158:161], v120, s[8:9] scale_offset
	global_load_b128 v[162:165], v122, s[8:9] scale_offset
	v_add_nc_u32_e32 v138, s11, v136
	s_wait_loadcnt 0x21
	scratch_store_b128 off, v[166:169], off offset:224
	s_wait_loadcnt 0x20
	scratch_store_b128 off, v[170:173], off offset:240
	s_wait_loadcnt 0x1f
	scratch_store_b128 off, v[174:177], off offset:256
	s_clause 0x1
	global_load_b128 v[166:169], v124, s[8:9] scale_offset
	global_load_b128 v[170:173], v126, s[8:9] scale_offset
	s_wait_loadcnt 0x20
	scratch_store_b128 off, v[178:181], off offset:272
	s_wait_loadcnt 0x1f
	scratch_store_b128 off, v[182:185], off offset:288
	v_add_nc_u32_e32 v140, s11, v138
	s_clause 0x1
	global_load_b128 v[174:177], v128, s[8:9] scale_offset
	global_load_b128 v[178:181], v130, s[8:9] scale_offset
	s_wait_loadcnt 0x20
	scratch_store_b128 off, v[186:189], off offset:304
	s_wait_loadcnt 0x1f
	scratch_store_b128 off, v[190:193], off offset:320
	;; [unrolled: 2-line block ×3, first 2 shown]
	s_clause 0x1
	global_load_b128 v[182:185], v132, s[8:9] scale_offset
	global_load_b128 v[186:189], v134, s[8:9] scale_offset
	v_add_nc_u32_e32 v142, s11, v140
	s_wait_loadcnt 0x1f
	scratch_store_b128 off, v[198:201], off offset:352
	s_wait_loadcnt 0x1e
	scratch_store_b128 off, v[202:205], off offset:368
	v_add_nc_u32_e32 v144, s11, v142
	s_clause 0x1
	global_load_b128 v[190:193], v136, s[8:9] scale_offset
	global_load_b128 v[194:197], v138, s[8:9] scale_offset
	v_add_nc_u32_e32 v146, s11, v144
	s_wait_loadcnt 0x1f
	scratch_store_b128 off, v[206:209], off offset:384
	s_wait_loadcnt 0x1e
	scratch_store_b128 off, v[210:213], off offset:400
	;; [unrolled: 2-line block ×3, first 2 shown]
	v_add_nc_u32_e32 v148, s11, v146
	s_clause 0x1
	global_load_b128 v[198:201], v140, s[8:9] scale_offset
	global_load_b128 v[202:205], v142, s[8:9] scale_offset
	s_wait_loadcnt 0x1e
	scratch_store_b128 off, v[218:221], off offset:432
	s_wait_loadcnt 0x1d
	scratch_store_b128 off, v[222:225], off offset:448
	v_add_nc_u32_e32 v150, s11, v148
	s_delay_alu instid0(VALU_DEP_1)
	v_add_nc_u32_e32 v152, s11, v150
	s_clause 0x1
	global_load_b128 v[206:209], v144, s[8:9] scale_offset
	global_load_b128 v[210:213], v146, s[8:9] scale_offset
	s_mov_b32 s11, s99
	s_wait_loadcnt 0x1e
	scratch_store_b128 off, v[226:229], off offset:464
	s_wait_loadcnt 0x1d
	scratch_store_b128 off, v[230:233], off offset:480
	s_clause 0x2
	global_load_b128 v[214:217], v148, s[8:9] scale_offset
	global_load_b128 v[218:221], v150, s[8:9] scale_offset
	;; [unrolled: 1-line block ×3, first 2 shown]
	s_wait_loadcnt 0x1f
	scratch_store_b128 off, v[234:237], off offset:496
	s_wait_loadcnt 0x1e
	scratch_store_b128 off, v[238:241], off offset:512
	;; [unrolled: 2-line block ×12, first 2 shown]
	s_wait_loadcnt 0x13
	s_set_vgpr_msb 4                        ;  msbs: dst=0 src0=0 src1=1 src2=0
	scratch_store_b128 off, v[2:5] /*v[258:261]*/, off offset:688
	s_wait_loadcnt 0x12
	s_set_vgpr_msb 0                        ;  msbs: dst=0 src0=0 src1=0 src2=0
	scratch_store_b128 off, v[154:157], off offset:704
	s_wait_loadcnt 0x11
	s_set_vgpr_msb 4                        ;  msbs: dst=0 src0=0 src1=1 src2=0
	scratch_store_b128 off, v[6:9] /*v[262:265]*/, off offset:720
	s_wait_loadcnt 0x10
	s_set_vgpr_msb 0                        ;  msbs: dst=0 src0=0 src1=0 src2=0
	scratch_store_b128 off, v[158:161], off offset:736
	s_wait_loadcnt 0xf
	scratch_store_b128 off, v[162:165], off offset:752
	s_wait_loadcnt 0xe
	;; [unrolled: 2-line block ×16, first 2 shown]
	scratch_store_b128 off, v[222:225], off offset:992
	s_cbranch_scc1 .LBB62_276
; %bb.4:
	v_cmp_eq_u32_e64 s2, 0, v1
	s_wait_xcnt 0x0
	s_and_saveexec_b32 s3, s2
; %bb.5:
	v_mov_b32_e32 v2, 0
	ds_store_b32 v2, v2 offset:2016
; %bb.6:
	s_or_b32 exec_lo, exec_lo, s3
	s_wait_storecnt_dscnt 0x0
	s_barrier_signal -1
	s_barrier_wait -1
	scratch_load_b128 v[2:5], v1, off scale_offset
	s_wait_loadcnt 0x0
	v_cmp_eq_f64_e32 vcc_lo, 0, v[2:3]
	v_cmp_eq_f64_e64 s3, 0, v[4:5]
	s_and_b32 s3, vcc_lo, s3
	s_delay_alu instid0(SALU_CYCLE_1)
	s_and_saveexec_b32 s4, s3
	s_cbranch_execz .LBB62_10
; %bb.7:
	v_mov_b32_e32 v2, 0
	s_mov_b32 s5, 0
	ds_load_b32 v3, v2 offset:2016
	s_wait_dscnt 0x0
	v_readfirstlane_b32 s3, v3
	v_add_nc_u32_e32 v3, 1, v1
	s_cmp_eq_u32 s3, 0
	s_delay_alu instid0(VALU_DEP_1) | instskip(SKIP_1) | instid1(SALU_CYCLE_1)
	v_cmp_gt_i32_e32 vcc_lo, s3, v3
	s_cselect_b32 s78, -1, 0
	s_or_b32 s78, s78, vcc_lo
	s_delay_alu instid0(SALU_CYCLE_1)
	s_and_b32 exec_lo, exec_lo, s78
	s_cbranch_execz .LBB62_10
; %bb.8:
	v_mov_b32_e32 v4, s3
.LBB62_9:                               ; =>This Inner Loop Header: Depth=1
	ds_cmpstore_rtn_b32 v4, v2, v3, v4 offset:2016
	s_wait_dscnt 0x0
	v_cmp_ne_u32_e32 vcc_lo, 0, v4
	v_cmp_le_i32_e64 s3, v4, v3
	s_and_b32 s3, vcc_lo, s3
	s_delay_alu instid0(SALU_CYCLE_1) | instskip(NEXT) | instid1(SALU_CYCLE_1)
	s_and_b32 s3, exec_lo, s3
	s_or_b32 s5, s3, s5
	s_delay_alu instid0(SALU_CYCLE_1)
	s_and_not1_b32 exec_lo, exec_lo, s5
	s_cbranch_execnz .LBB62_9
.LBB62_10:
	s_or_b32 exec_lo, exec_lo, s4
	v_mov_b32_e32 v2, 0
	s_barrier_signal -1
	s_barrier_wait -1
	ds_load_b32 v3, v2 offset:2016
	s_and_saveexec_b32 s3, s2
	s_cbranch_execz .LBB62_12
; %bb.11:
	s_lshl_b64 s[4:5], s[18:19], 2
	s_delay_alu instid0(SALU_CYCLE_1)
	s_add_nc_u64 s[4:5], s[6:7], s[4:5]
	s_wait_dscnt 0x0
	global_store_b32 v2, v3, s[4:5]
.LBB62_12:
	s_wait_xcnt 0x0
	s_or_b32 exec_lo, exec_lo, s3
	s_wait_dscnt 0x0
	v_cmp_ne_u32_e32 vcc_lo, 0, v3
	s_mov_b32 s3, 0
	s_cbranch_vccnz .LBB62_276
; %bb.13:
	v_lshl_add_u32 v15, v1, 4, 0
                                        ; implicit-def: $vgpr6_vgpr7
                                        ; implicit-def: $vgpr10_vgpr11
	scratch_load_b128 v[2:5], v15, off
	s_wait_loadcnt 0x0
	v_cmp_ngt_f64_e64 s3, |v[2:3]|, |v[4:5]|
	s_wait_xcnt 0x0
	s_and_saveexec_b32 s4, s3
	s_delay_alu instid0(SALU_CYCLE_1)
	s_xor_b32 s3, exec_lo, s4
	s_cbranch_execz .LBB62_15
; %bb.14:
	v_div_scale_f64 v[6:7], null, v[4:5], v[4:5], v[2:3]
	v_div_scale_f64 v[12:13], vcc_lo, v[2:3], v[4:5], v[2:3]
	s_delay_alu instid0(VALU_DEP_2) | instskip(SKIP_1) | instid1(TRANS32_DEP_1)
	v_rcp_f64_e32 v[8:9], v[6:7]
	v_nop
	v_fma_f64 v[10:11], -v[6:7], v[8:9], 1.0
	s_delay_alu instid0(VALU_DEP_1) | instskip(NEXT) | instid1(VALU_DEP_1)
	v_fmac_f64_e32 v[8:9], v[8:9], v[10:11]
	v_fma_f64 v[10:11], -v[6:7], v[8:9], 1.0
	s_delay_alu instid0(VALU_DEP_1) | instskip(NEXT) | instid1(VALU_DEP_1)
	v_fmac_f64_e32 v[8:9], v[8:9], v[10:11]
	v_mul_f64_e32 v[10:11], v[12:13], v[8:9]
	s_delay_alu instid0(VALU_DEP_1) | instskip(NEXT) | instid1(VALU_DEP_1)
	v_fma_f64 v[6:7], -v[6:7], v[10:11], v[12:13]
	v_div_fmas_f64 v[6:7], v[6:7], v[8:9], v[10:11]
	s_delay_alu instid0(VALU_DEP_1) | instskip(NEXT) | instid1(VALU_DEP_1)
	v_div_fixup_f64 v[6:7], v[6:7], v[4:5], v[2:3]
	v_fmac_f64_e32 v[4:5], v[2:3], v[6:7]
	s_delay_alu instid0(VALU_DEP_1) | instskip(SKIP_1) | instid1(VALU_DEP_2)
	v_div_scale_f64 v[2:3], null, v[4:5], v[4:5], 1.0
	v_div_scale_f64 v[12:13], vcc_lo, 1.0, v[4:5], 1.0
	v_rcp_f64_e32 v[8:9], v[2:3]
	v_nop
	s_delay_alu instid0(TRANS32_DEP_1) | instskip(NEXT) | instid1(VALU_DEP_1)
	v_fma_f64 v[10:11], -v[2:3], v[8:9], 1.0
	v_fmac_f64_e32 v[8:9], v[8:9], v[10:11]
	s_delay_alu instid0(VALU_DEP_1) | instskip(NEXT) | instid1(VALU_DEP_1)
	v_fma_f64 v[10:11], -v[2:3], v[8:9], 1.0
	v_fmac_f64_e32 v[8:9], v[8:9], v[10:11]
	s_delay_alu instid0(VALU_DEP_1) | instskip(NEXT) | instid1(VALU_DEP_1)
	v_mul_f64_e32 v[10:11], v[12:13], v[8:9]
	v_fma_f64 v[2:3], -v[2:3], v[10:11], v[12:13]
	s_delay_alu instid0(VALU_DEP_1) | instskip(NEXT) | instid1(VALU_DEP_1)
	v_div_fmas_f64 v[2:3], v[2:3], v[8:9], v[10:11]
	v_div_fixup_f64 v[8:9], v[2:3], v[4:5], 1.0
                                        ; implicit-def: $vgpr2_vgpr3
	s_delay_alu instid0(VALU_DEP_1) | instskip(SKIP_1) | instid1(VALU_DEP_2)
	v_mul_f64_e32 v[6:7], v[6:7], v[8:9]
	v_xor_b32_e32 v9, 0x80000000, v9
	v_xor_b32_e32 v11, 0x80000000, v7
	s_delay_alu instid0(VALU_DEP_3)
	v_mov_b32_e32 v10, v6
.LBB62_15:
	s_and_not1_saveexec_b32 s3, s3
	s_cbranch_execz .LBB62_17
; %bb.16:
	v_div_scale_f64 v[6:7], null, v[2:3], v[2:3], v[4:5]
	v_div_scale_f64 v[12:13], vcc_lo, v[4:5], v[2:3], v[4:5]
	s_delay_alu instid0(VALU_DEP_2) | instskip(SKIP_1) | instid1(TRANS32_DEP_1)
	v_rcp_f64_e32 v[8:9], v[6:7]
	v_nop
	v_fma_f64 v[10:11], -v[6:7], v[8:9], 1.0
	s_delay_alu instid0(VALU_DEP_1) | instskip(NEXT) | instid1(VALU_DEP_1)
	v_fmac_f64_e32 v[8:9], v[8:9], v[10:11]
	v_fma_f64 v[10:11], -v[6:7], v[8:9], 1.0
	s_delay_alu instid0(VALU_DEP_1) | instskip(NEXT) | instid1(VALU_DEP_1)
	v_fmac_f64_e32 v[8:9], v[8:9], v[10:11]
	v_mul_f64_e32 v[10:11], v[12:13], v[8:9]
	s_delay_alu instid0(VALU_DEP_1) | instskip(NEXT) | instid1(VALU_DEP_1)
	v_fma_f64 v[6:7], -v[6:7], v[10:11], v[12:13]
	v_div_fmas_f64 v[6:7], v[6:7], v[8:9], v[10:11]
	s_delay_alu instid0(VALU_DEP_1) | instskip(NEXT) | instid1(VALU_DEP_1)
	v_div_fixup_f64 v[8:9], v[6:7], v[2:3], v[4:5]
	v_fmac_f64_e32 v[2:3], v[4:5], v[8:9]
	s_delay_alu instid0(VALU_DEP_1) | instskip(NEXT) | instid1(VALU_DEP_1)
	v_div_scale_f64 v[4:5], null, v[2:3], v[2:3], 1.0
	v_rcp_f64_e32 v[6:7], v[4:5]
	v_nop
	s_delay_alu instid0(TRANS32_DEP_1) | instskip(NEXT) | instid1(VALU_DEP_1)
	v_fma_f64 v[10:11], -v[4:5], v[6:7], 1.0
	v_fmac_f64_e32 v[6:7], v[6:7], v[10:11]
	s_delay_alu instid0(VALU_DEP_1) | instskip(NEXT) | instid1(VALU_DEP_1)
	v_fma_f64 v[10:11], -v[4:5], v[6:7], 1.0
	v_fmac_f64_e32 v[6:7], v[6:7], v[10:11]
	v_div_scale_f64 v[10:11], vcc_lo, 1.0, v[2:3], 1.0
	s_delay_alu instid0(VALU_DEP_1) | instskip(NEXT) | instid1(VALU_DEP_1)
	v_mul_f64_e32 v[12:13], v[10:11], v[6:7]
	v_fma_f64 v[4:5], -v[4:5], v[12:13], v[10:11]
	s_delay_alu instid0(VALU_DEP_1) | instskip(NEXT) | instid1(VALU_DEP_1)
	v_div_fmas_f64 v[4:5], v[4:5], v[6:7], v[12:13]
	v_div_fixup_f64 v[6:7], v[4:5], v[2:3], 1.0
	s_delay_alu instid0(VALU_DEP_1)
	v_mul_f64_e64 v[8:9], v[8:9], -v[6:7]
	v_xor_b32_e32 v11, 0x80000000, v7
	v_mov_b32_e32 v10, v6
.LBB62_17:
	s_or_b32 exec_lo, exec_lo, s3
	s_clause 0x1
	scratch_store_b128 v15, v[6:9], off
	scratch_load_b128 v[2:5], off, s54
	v_xor_b32_e32 v13, 0x80000000, v9
	v_mov_b32_e32 v12, v8
	s_wait_xcnt 0x1
	v_add_nc_u32_e32 v6, 0x3f0, v14
	ds_store_b128 v14, v[10:13]
	s_wait_loadcnt 0x0
	ds_store_b128 v14, v[2:5] offset:1008
	s_wait_storecnt_dscnt 0x0
	s_barrier_signal -1
	s_barrier_wait -1
	s_wait_xcnt 0x0
	s_and_saveexec_b32 s3, s2
	s_cbranch_execz .LBB62_19
; %bb.18:
	scratch_load_b128 v[2:5], v15, off
	ds_load_b128 v[8:11], v6
	v_mov_b32_e32 v7, 0
	ds_load_b128 v[16:19], v7 offset:16
	s_wait_loadcnt_dscnt 0x1
	v_mul_f64_e32 v[12:13], v[8:9], v[4:5]
	v_mul_f64_e32 v[4:5], v[10:11], v[4:5]
	s_delay_alu instid0(VALU_DEP_2) | instskip(NEXT) | instid1(VALU_DEP_2)
	v_fmac_f64_e32 v[12:13], v[10:11], v[2:3]
	v_fma_f64 v[2:3], v[8:9], v[2:3], -v[4:5]
	s_delay_alu instid0(VALU_DEP_2) | instskip(NEXT) | instid1(VALU_DEP_2)
	v_add_f64_e32 v[8:9], 0, v[12:13]
	v_add_f64_e32 v[2:3], 0, v[2:3]
	s_wait_dscnt 0x0
	s_delay_alu instid0(VALU_DEP_2) | instskip(NEXT) | instid1(VALU_DEP_2)
	v_mul_f64_e32 v[10:11], v[8:9], v[18:19]
	v_mul_f64_e32 v[4:5], v[2:3], v[18:19]
	s_delay_alu instid0(VALU_DEP_2) | instskip(NEXT) | instid1(VALU_DEP_2)
	v_fma_f64 v[2:3], v[2:3], v[16:17], -v[10:11]
	v_fmac_f64_e32 v[4:5], v[8:9], v[16:17]
	scratch_store_b128 off, v[2:5], off offset:16
.LBB62_19:
	s_wait_xcnt 0x0
	s_or_b32 exec_lo, exec_lo, s3
	s_wait_storecnt 0x0
	s_barrier_signal -1
	s_barrier_wait -1
	scratch_load_b128 v[2:5], off, s53
	v_cmp_gt_u32_e32 vcc_lo, 2, v1
	s_wait_loadcnt 0x0
	ds_store_b128 v6, v[2:5]
	s_wait_dscnt 0x0
	s_barrier_signal -1
	s_barrier_wait -1
	s_and_saveexec_b32 s3, vcc_lo
	s_cbranch_execz .LBB62_23
; %bb.20:
	scratch_load_b128 v[2:5], v15, off
	ds_load_b128 v[8:11], v6
	s_wait_loadcnt_dscnt 0x0
	v_mul_f64_e32 v[12:13], v[10:11], v[4:5]
	v_mul_f64_e32 v[16:17], v[8:9], v[4:5]
	s_delay_alu instid0(VALU_DEP_2) | instskip(NEXT) | instid1(VALU_DEP_2)
	v_fma_f64 v[4:5], v[8:9], v[2:3], -v[12:13]
	v_fmac_f64_e32 v[16:17], v[10:11], v[2:3]
	s_delay_alu instid0(VALU_DEP_2) | instskip(NEXT) | instid1(VALU_DEP_2)
	v_add_f64_e32 v[4:5], 0, v[4:5]
	v_add_f64_e32 v[2:3], 0, v[16:17]
	s_and_saveexec_b32 s4, s2
	s_cbranch_execz .LBB62_22
; %bb.21:
	scratch_load_b128 v[8:11], off, off offset:16
	v_mov_b32_e32 v7, 0
	ds_load_b128 v[16:19], v7 offset:1024
	s_wait_loadcnt_dscnt 0x0
	v_mul_f64_e32 v[12:13], v[16:17], v[10:11]
	v_mul_f64_e32 v[10:11], v[18:19], v[10:11]
	s_delay_alu instid0(VALU_DEP_2) | instskip(NEXT) | instid1(VALU_DEP_2)
	v_fmac_f64_e32 v[12:13], v[18:19], v[8:9]
	v_fma_f64 v[8:9], v[16:17], v[8:9], -v[10:11]
	s_delay_alu instid0(VALU_DEP_2) | instskip(NEXT) | instid1(VALU_DEP_2)
	v_add_f64_e32 v[2:3], v[2:3], v[12:13]
	v_add_f64_e32 v[4:5], v[4:5], v[8:9]
.LBB62_22:
	s_or_b32 exec_lo, exec_lo, s4
	v_mov_b32_e32 v7, 0
	ds_load_b128 v[8:11], v7 offset:32
	s_wait_dscnt 0x0
	v_mul_f64_e32 v[16:17], v[2:3], v[10:11]
	v_mul_f64_e32 v[12:13], v[4:5], v[10:11]
	s_delay_alu instid0(VALU_DEP_2) | instskip(NEXT) | instid1(VALU_DEP_2)
	v_fma_f64 v[10:11], v[4:5], v[8:9], -v[16:17]
	v_fmac_f64_e32 v[12:13], v[2:3], v[8:9]
	scratch_store_b128 off, v[10:13], off offset:32
.LBB62_23:
	s_wait_xcnt 0x0
	s_or_b32 exec_lo, exec_lo, s3
	s_wait_storecnt 0x0
	s_barrier_signal -1
	s_barrier_wait -1
	scratch_load_b128 v[2:5], off, s52
	v_add_nc_u32_e32 v7, -1, v1
	s_mov_b32 s4, exec_lo
	s_wait_loadcnt 0x0
	ds_store_b128 v6, v[2:5]
	s_wait_dscnt 0x0
	s_barrier_signal -1
	s_barrier_wait -1
	v_cmpx_gt_u32_e32 3, v1
	s_cbranch_execz .LBB62_27
; %bb.24:
	v_dual_mov_b32 v10, v14 :: v_dual_add_nc_u32 v8, -1, v1
	v_mov_b64_e32 v[2:3], 0
	v_mov_b64_e32 v[4:5], 0
	v_add_nc_u32_e32 v9, 0x3f0, v14
	s_delay_alu instid0(VALU_DEP_4)
	v_or_b32_e32 v10, 8, v10
	s_mov_b32 s5, 0
.LBB62_25:                              ; =>This Inner Loop Header: Depth=1
	scratch_load_b128 v[16:19], v10, off offset:-8
	ds_load_b128 v[20:23], v9
	v_dual_add_nc_u32 v8, 1, v8 :: v_dual_add_nc_u32 v9, 16, v9
	s_wait_xcnt 0x0
	v_add_nc_u32_e32 v10, 16, v10
	s_delay_alu instid0(VALU_DEP_2) | instskip(SKIP_4) | instid1(VALU_DEP_2)
	v_cmp_lt_u32_e64 s3, 1, v8
	s_or_b32 s5, s3, s5
	s_wait_loadcnt_dscnt 0x0
	v_mul_f64_e32 v[12:13], v[22:23], v[18:19]
	v_mul_f64_e32 v[18:19], v[20:21], v[18:19]
	v_fma_f64 v[12:13], v[20:21], v[16:17], -v[12:13]
	s_delay_alu instid0(VALU_DEP_2) | instskip(NEXT) | instid1(VALU_DEP_2)
	v_fmac_f64_e32 v[18:19], v[22:23], v[16:17]
	v_add_f64_e32 v[4:5], v[4:5], v[12:13]
	s_delay_alu instid0(VALU_DEP_2)
	v_add_f64_e32 v[2:3], v[2:3], v[18:19]
	s_and_not1_b32 exec_lo, exec_lo, s5
	s_cbranch_execnz .LBB62_25
; %bb.26:
	s_or_b32 exec_lo, exec_lo, s5
	v_mov_b32_e32 v8, 0
	ds_load_b128 v[8:11], v8 offset:48
	s_wait_dscnt 0x0
	v_mul_f64_e32 v[16:17], v[2:3], v[10:11]
	v_mul_f64_e32 v[12:13], v[4:5], v[10:11]
	s_delay_alu instid0(VALU_DEP_2) | instskip(NEXT) | instid1(VALU_DEP_2)
	v_fma_f64 v[10:11], v[4:5], v[8:9], -v[16:17]
	v_fmac_f64_e32 v[12:13], v[2:3], v[8:9]
	scratch_store_b128 off, v[10:13], off offset:48
.LBB62_27:
	s_wait_xcnt 0x0
	s_or_b32 exec_lo, exec_lo, s4
	s_wait_storecnt 0x0
	s_barrier_signal -1
	s_barrier_wait -1
	scratch_load_b128 v[2:5], off, s51
	v_cmp_gt_u32_e64 s3, 4, v1
	s_wait_loadcnt 0x0
	ds_store_b128 v6, v[2:5]
	s_wait_dscnt 0x0
	s_barrier_signal -1
	s_barrier_wait -1
	s_and_saveexec_b32 s5, s3
	s_cbranch_execz .LBB62_31
; %bb.28:
	v_dual_mov_b32 v10, v14 :: v_dual_add_nc_u32 v8, -1, v1
	v_mov_b64_e32 v[2:3], 0
	v_mov_b64_e32 v[4:5], 0
	v_add_nc_u32_e32 v9, 0x3f0, v14
	s_delay_alu instid0(VALU_DEP_4)
	v_or_b32_e32 v10, 8, v10
	s_mov_b32 s78, 0
.LBB62_29:                              ; =>This Inner Loop Header: Depth=1
	scratch_load_b128 v[16:19], v10, off offset:-8
	ds_load_b128 v[20:23], v9
	v_dual_add_nc_u32 v8, 1, v8 :: v_dual_add_nc_u32 v9, 16, v9
	s_wait_xcnt 0x0
	v_add_nc_u32_e32 v10, 16, v10
	s_delay_alu instid0(VALU_DEP_2) | instskip(SKIP_4) | instid1(VALU_DEP_2)
	v_cmp_lt_u32_e64 s4, 2, v8
	s_or_b32 s78, s4, s78
	s_wait_loadcnt_dscnt 0x0
	v_mul_f64_e32 v[12:13], v[22:23], v[18:19]
	v_mul_f64_e32 v[18:19], v[20:21], v[18:19]
	v_fma_f64 v[12:13], v[20:21], v[16:17], -v[12:13]
	s_delay_alu instid0(VALU_DEP_2) | instskip(NEXT) | instid1(VALU_DEP_2)
	v_fmac_f64_e32 v[18:19], v[22:23], v[16:17]
	v_add_f64_e32 v[4:5], v[4:5], v[12:13]
	s_delay_alu instid0(VALU_DEP_2)
	v_add_f64_e32 v[2:3], v[2:3], v[18:19]
	s_and_not1_b32 exec_lo, exec_lo, s78
	s_cbranch_execnz .LBB62_29
; %bb.30:
	s_or_b32 exec_lo, exec_lo, s78
	v_mov_b32_e32 v8, 0
	ds_load_b128 v[8:11], v8 offset:64
	s_wait_dscnt 0x0
	v_mul_f64_e32 v[16:17], v[2:3], v[10:11]
	v_mul_f64_e32 v[12:13], v[4:5], v[10:11]
	s_delay_alu instid0(VALU_DEP_2) | instskip(NEXT) | instid1(VALU_DEP_2)
	v_fma_f64 v[10:11], v[4:5], v[8:9], -v[16:17]
	v_fmac_f64_e32 v[12:13], v[2:3], v[8:9]
	scratch_store_b128 off, v[10:13], off offset:64
.LBB62_31:
	s_wait_xcnt 0x0
	s_or_b32 exec_lo, exec_lo, s5
	s_wait_storecnt 0x0
	s_barrier_signal -1
	s_barrier_wait -1
	scratch_load_b128 v[2:5], off, s76
	s_mov_b32 s5, exec_lo
	s_wait_loadcnt 0x0
	ds_store_b128 v6, v[2:5]
	s_wait_dscnt 0x0
	s_barrier_signal -1
	s_barrier_wait -1
	v_cmpx_gt_u32_e32 5, v1
	s_cbranch_execz .LBB62_35
; %bb.32:
	v_dual_mov_b32 v10, v14 :: v_dual_add_nc_u32 v8, -1, v1
	v_mov_b64_e32 v[2:3], 0
	v_mov_b64_e32 v[4:5], 0
	v_add_nc_u32_e32 v9, 0x3f0, v14
	s_delay_alu instid0(VALU_DEP_4)
	v_or_b32_e32 v10, 8, v10
	s_mov_b32 s78, 0
.LBB62_33:                              ; =>This Inner Loop Header: Depth=1
	scratch_load_b128 v[16:19], v10, off offset:-8
	ds_load_b128 v[20:23], v9
	v_dual_add_nc_u32 v8, 1, v8 :: v_dual_add_nc_u32 v9, 16, v9
	s_wait_xcnt 0x0
	v_add_nc_u32_e32 v10, 16, v10
	s_delay_alu instid0(VALU_DEP_2) | instskip(SKIP_4) | instid1(VALU_DEP_2)
	v_cmp_lt_u32_e64 s4, 3, v8
	s_or_b32 s78, s4, s78
	s_wait_loadcnt_dscnt 0x0
	v_mul_f64_e32 v[12:13], v[22:23], v[18:19]
	v_mul_f64_e32 v[18:19], v[20:21], v[18:19]
	v_fma_f64 v[12:13], v[20:21], v[16:17], -v[12:13]
	s_delay_alu instid0(VALU_DEP_2) | instskip(NEXT) | instid1(VALU_DEP_2)
	v_fmac_f64_e32 v[18:19], v[22:23], v[16:17]
	v_add_f64_e32 v[4:5], v[4:5], v[12:13]
	s_delay_alu instid0(VALU_DEP_2)
	v_add_f64_e32 v[2:3], v[2:3], v[18:19]
	s_and_not1_b32 exec_lo, exec_lo, s78
	s_cbranch_execnz .LBB62_33
; %bb.34:
	s_or_b32 exec_lo, exec_lo, s78
	v_mov_b32_e32 v8, 0
	ds_load_b128 v[8:11], v8 offset:80
	s_wait_dscnt 0x0
	v_mul_f64_e32 v[16:17], v[2:3], v[10:11]
	v_mul_f64_e32 v[12:13], v[4:5], v[10:11]
	s_delay_alu instid0(VALU_DEP_2) | instskip(NEXT) | instid1(VALU_DEP_2)
	v_fma_f64 v[10:11], v[4:5], v[8:9], -v[16:17]
	v_fmac_f64_e32 v[12:13], v[2:3], v[8:9]
	scratch_store_b128 off, v[10:13], off offset:80
.LBB62_35:
	s_wait_xcnt 0x0
	s_or_b32 exec_lo, exec_lo, s5
	s_wait_storecnt 0x0
	s_barrier_signal -1
	s_barrier_wait -1
	scratch_load_b128 v[2:5], off, s75
	v_cmp_gt_u32_e64 s4, 6, v1
	s_wait_loadcnt 0x0
	ds_store_b128 v6, v[2:5]
	s_wait_dscnt 0x0
	s_barrier_signal -1
	s_barrier_wait -1
	s_and_saveexec_b32 s78, s4
	s_cbranch_execz .LBB62_39
; %bb.36:
	v_dual_mov_b32 v10, v14 :: v_dual_add_nc_u32 v8, -1, v1
	v_mov_b64_e32 v[2:3], 0
	v_mov_b64_e32 v[4:5], 0
	v_add_nc_u32_e32 v9, 0x3f0, v14
	s_delay_alu instid0(VALU_DEP_4)
	v_or_b32_e32 v10, 8, v10
	s_mov_b32 s79, 0
.LBB62_37:                              ; =>This Inner Loop Header: Depth=1
	scratch_load_b128 v[16:19], v10, off offset:-8
	ds_load_b128 v[20:23], v9
	v_dual_add_nc_u32 v8, 1, v8 :: v_dual_add_nc_u32 v9, 16, v9
	s_wait_xcnt 0x0
	v_add_nc_u32_e32 v10, 16, v10
	s_delay_alu instid0(VALU_DEP_2) | instskip(SKIP_4) | instid1(VALU_DEP_2)
	v_cmp_lt_u32_e64 s5, 4, v8
	s_or_b32 s79, s5, s79
	s_wait_loadcnt_dscnt 0x0
	v_mul_f64_e32 v[12:13], v[22:23], v[18:19]
	v_mul_f64_e32 v[18:19], v[20:21], v[18:19]
	v_fma_f64 v[12:13], v[20:21], v[16:17], -v[12:13]
	s_delay_alu instid0(VALU_DEP_2) | instskip(NEXT) | instid1(VALU_DEP_2)
	v_fmac_f64_e32 v[18:19], v[22:23], v[16:17]
	v_add_f64_e32 v[4:5], v[4:5], v[12:13]
	s_delay_alu instid0(VALU_DEP_2)
	v_add_f64_e32 v[2:3], v[2:3], v[18:19]
	s_and_not1_b32 exec_lo, exec_lo, s79
	s_cbranch_execnz .LBB62_37
; %bb.38:
	s_or_b32 exec_lo, exec_lo, s79
	v_mov_b32_e32 v8, 0
	ds_load_b128 v[8:11], v8 offset:96
	s_wait_dscnt 0x0
	v_mul_f64_e32 v[16:17], v[2:3], v[10:11]
	v_mul_f64_e32 v[12:13], v[4:5], v[10:11]
	s_delay_alu instid0(VALU_DEP_2) | instskip(NEXT) | instid1(VALU_DEP_2)
	v_fma_f64 v[10:11], v[4:5], v[8:9], -v[16:17]
	v_fmac_f64_e32 v[12:13], v[2:3], v[8:9]
	scratch_store_b128 off, v[10:13], off offset:96
.LBB62_39:
	s_wait_xcnt 0x0
	s_or_b32 exec_lo, exec_lo, s78
	s_wait_storecnt 0x0
	s_barrier_signal -1
	s_barrier_wait -1
	scratch_load_b128 v[2:5], off, s74
	s_mov_b32 s78, exec_lo
	s_wait_loadcnt 0x0
	ds_store_b128 v6, v[2:5]
	s_wait_dscnt 0x0
	s_barrier_signal -1
	s_barrier_wait -1
	v_cmpx_gt_u32_e32 7, v1
	s_cbranch_execz .LBB62_43
; %bb.40:
	v_dual_mov_b32 v10, v14 :: v_dual_add_nc_u32 v8, -1, v1
	v_mov_b64_e32 v[2:3], 0
	v_mov_b64_e32 v[4:5], 0
	v_add_nc_u32_e32 v9, 0x3f0, v14
	s_delay_alu instid0(VALU_DEP_4)
	v_or_b32_e32 v10, 8, v10
	s_mov_b32 s79, 0
.LBB62_41:                              ; =>This Inner Loop Header: Depth=1
	scratch_load_b128 v[16:19], v10, off offset:-8
	ds_load_b128 v[20:23], v9
	v_dual_add_nc_u32 v8, 1, v8 :: v_dual_add_nc_u32 v9, 16, v9
	s_wait_xcnt 0x0
	v_add_nc_u32_e32 v10, 16, v10
	s_delay_alu instid0(VALU_DEP_2) | instskip(SKIP_4) | instid1(VALU_DEP_2)
	v_cmp_lt_u32_e64 s5, 5, v8
	s_or_b32 s79, s5, s79
	s_wait_loadcnt_dscnt 0x0
	v_mul_f64_e32 v[12:13], v[22:23], v[18:19]
	v_mul_f64_e32 v[18:19], v[20:21], v[18:19]
	v_fma_f64 v[12:13], v[20:21], v[16:17], -v[12:13]
	s_delay_alu instid0(VALU_DEP_2) | instskip(NEXT) | instid1(VALU_DEP_2)
	v_fmac_f64_e32 v[18:19], v[22:23], v[16:17]
	v_add_f64_e32 v[4:5], v[4:5], v[12:13]
	s_delay_alu instid0(VALU_DEP_2)
	v_add_f64_e32 v[2:3], v[2:3], v[18:19]
	s_and_not1_b32 exec_lo, exec_lo, s79
	s_cbranch_execnz .LBB62_41
; %bb.42:
	s_or_b32 exec_lo, exec_lo, s79
	v_mov_b32_e32 v8, 0
	ds_load_b128 v[8:11], v8 offset:112
	s_wait_dscnt 0x0
	v_mul_f64_e32 v[16:17], v[2:3], v[10:11]
	v_mul_f64_e32 v[12:13], v[4:5], v[10:11]
	s_delay_alu instid0(VALU_DEP_2) | instskip(NEXT) | instid1(VALU_DEP_2)
	v_fma_f64 v[10:11], v[4:5], v[8:9], -v[16:17]
	v_fmac_f64_e32 v[12:13], v[2:3], v[8:9]
	scratch_store_b128 off, v[10:13], off offset:112
.LBB62_43:
	s_wait_xcnt 0x0
	s_or_b32 exec_lo, exec_lo, s78
	s_wait_storecnt 0x0
	s_barrier_signal -1
	s_barrier_wait -1
	scratch_load_b128 v[2:5], off, s73
	s_mov_b32 s78, exec_lo
	s_wait_loadcnt 0x0
	ds_store_b128 v6, v[2:5]
	s_wait_dscnt 0x0
	s_barrier_signal -1
	s_barrier_wait -1
	v_cmpx_gt_u32_e32 8, v1
	s_cbranch_execz .LBB62_59
; %bb.44:
	scratch_load_b128 v[2:5], v15, off
	ds_load_b128 v[8:11], v6
	s_mov_b32 s79, exec_lo
	s_wait_loadcnt_dscnt 0x0
	v_mul_f64_e32 v[12:13], v[10:11], v[4:5]
	v_mul_f64_e32 v[16:17], v[8:9], v[4:5]
	s_delay_alu instid0(VALU_DEP_2) | instskip(NEXT) | instid1(VALU_DEP_2)
	v_fma_f64 v[4:5], v[8:9], v[2:3], -v[12:13]
	v_fmac_f64_e32 v[16:17], v[10:11], v[2:3]
	s_delay_alu instid0(VALU_DEP_2) | instskip(NEXT) | instid1(VALU_DEP_2)
	v_add_f64_e32 v[4:5], 0, v[4:5]
	v_add_f64_e32 v[2:3], 0, v[16:17]
	v_cmpx_ne_u32_e32 7, v1
	s_cbranch_execz .LBB62_58
; %bb.45:
	scratch_load_b128 v[8:11], v15, off offset:16
	ds_load_b128 v[16:19], v6 offset:16
	s_wait_loadcnt_dscnt 0x0
	v_mul_f64_e32 v[12:13], v[18:19], v[10:11]
	v_mul_f64_e32 v[10:11], v[16:17], v[10:11]
	s_delay_alu instid0(VALU_DEP_2) | instskip(NEXT) | instid1(VALU_DEP_2)
	v_fma_f64 v[12:13], v[16:17], v[8:9], -v[12:13]
	v_fmac_f64_e32 v[10:11], v[18:19], v[8:9]
	s_delay_alu instid0(VALU_DEP_2) | instskip(NEXT) | instid1(VALU_DEP_2)
	v_add_f64_e32 v[4:5], v[4:5], v[12:13]
	v_add_f64_e32 v[2:3], v[2:3], v[10:11]
	s_and_saveexec_b32 s5, s4
	s_cbranch_execz .LBB62_57
; %bb.46:
	scratch_load_b128 v[8:11], v15, off offset:32
	ds_load_b128 v[16:19], v6 offset:32
	s_mov_b32 s80, exec_lo
	s_wait_loadcnt_dscnt 0x0
	v_mul_f64_e32 v[12:13], v[18:19], v[10:11]
	v_mul_f64_e32 v[10:11], v[16:17], v[10:11]
	s_delay_alu instid0(VALU_DEP_2) | instskip(NEXT) | instid1(VALU_DEP_2)
	v_fma_f64 v[12:13], v[16:17], v[8:9], -v[12:13]
	v_fmac_f64_e32 v[10:11], v[18:19], v[8:9]
	s_delay_alu instid0(VALU_DEP_2) | instskip(NEXT) | instid1(VALU_DEP_2)
	v_add_f64_e32 v[4:5], v[4:5], v[12:13]
	v_add_f64_e32 v[2:3], v[2:3], v[10:11]
	v_cmpx_ne_u32_e32 5, v1
	s_cbranch_execz .LBB62_56
; %bb.47:
	scratch_load_b128 v[8:11], v15, off offset:48
	ds_load_b128 v[16:19], v6 offset:48
	s_wait_loadcnt_dscnt 0x0
	v_mul_f64_e32 v[12:13], v[18:19], v[10:11]
	v_mul_f64_e32 v[10:11], v[16:17], v[10:11]
	s_delay_alu instid0(VALU_DEP_2) | instskip(NEXT) | instid1(VALU_DEP_2)
	v_fma_f64 v[12:13], v[16:17], v[8:9], -v[12:13]
	v_fmac_f64_e32 v[10:11], v[18:19], v[8:9]
	s_delay_alu instid0(VALU_DEP_2) | instskip(NEXT) | instid1(VALU_DEP_2)
	v_add_f64_e32 v[4:5], v[4:5], v[12:13]
	v_add_f64_e32 v[2:3], v[2:3], v[10:11]
	s_and_saveexec_b32 s4, s3
	s_cbranch_execz .LBB62_55
; %bb.48:
	scratch_load_b128 v[8:11], v15, off offset:64
	ds_load_b128 v[16:19], v6 offset:64
	s_mov_b32 s81, exec_lo
	s_wait_loadcnt_dscnt 0x0
	v_mul_f64_e32 v[12:13], v[18:19], v[10:11]
	v_mul_f64_e32 v[10:11], v[16:17], v[10:11]
	s_delay_alu instid0(VALU_DEP_2) | instskip(NEXT) | instid1(VALU_DEP_2)
	v_fma_f64 v[12:13], v[16:17], v[8:9], -v[12:13]
	v_fmac_f64_e32 v[10:11], v[18:19], v[8:9]
	s_delay_alu instid0(VALU_DEP_2) | instskip(NEXT) | instid1(VALU_DEP_2)
	v_add_f64_e32 v[4:5], v[4:5], v[12:13]
	v_add_f64_e32 v[2:3], v[2:3], v[10:11]
	v_cmpx_ne_u32_e32 3, v1
	s_cbranch_execz .LBB62_54
; %bb.49:
	scratch_load_b128 v[8:11], v15, off offset:80
	ds_load_b128 v[16:19], v6 offset:80
	s_wait_loadcnt_dscnt 0x0
	v_mul_f64_e32 v[12:13], v[18:19], v[10:11]
	v_mul_f64_e32 v[10:11], v[16:17], v[10:11]
	s_delay_alu instid0(VALU_DEP_2) | instskip(NEXT) | instid1(VALU_DEP_2)
	v_fma_f64 v[12:13], v[16:17], v[8:9], -v[12:13]
	v_fmac_f64_e32 v[10:11], v[18:19], v[8:9]
	s_delay_alu instid0(VALU_DEP_2) | instskip(NEXT) | instid1(VALU_DEP_2)
	v_add_f64_e32 v[4:5], v[4:5], v[12:13]
	v_add_f64_e32 v[2:3], v[2:3], v[10:11]
	s_and_saveexec_b32 s3, vcc_lo
	s_cbranch_execz .LBB62_53
; %bb.50:
	scratch_load_b128 v[8:11], v15, off offset:96
	ds_load_b128 v[16:19], v6 offset:96
	s_wait_loadcnt_dscnt 0x0
	v_mul_f64_e32 v[12:13], v[18:19], v[10:11]
	v_mul_f64_e32 v[10:11], v[16:17], v[10:11]
	s_delay_alu instid0(VALU_DEP_2) | instskip(NEXT) | instid1(VALU_DEP_2)
	v_fma_f64 v[12:13], v[16:17], v[8:9], -v[12:13]
	v_fmac_f64_e32 v[10:11], v[18:19], v[8:9]
	s_delay_alu instid0(VALU_DEP_2) | instskip(NEXT) | instid1(VALU_DEP_2)
	v_add_f64_e32 v[4:5], v[4:5], v[12:13]
	v_add_f64_e32 v[2:3], v[2:3], v[10:11]
	s_and_saveexec_b32 s82, s2
	s_cbranch_execz .LBB62_52
; %bb.51:
	scratch_load_b128 v[8:11], v15, off offset:112
	ds_load_b128 v[16:19], v6 offset:112
	s_wait_loadcnt_dscnt 0x0
	v_mul_f64_e32 v[12:13], v[18:19], v[10:11]
	v_mul_f64_e32 v[10:11], v[16:17], v[10:11]
	s_delay_alu instid0(VALU_DEP_2) | instskip(NEXT) | instid1(VALU_DEP_2)
	v_fma_f64 v[12:13], v[16:17], v[8:9], -v[12:13]
	v_fmac_f64_e32 v[10:11], v[18:19], v[8:9]
	s_delay_alu instid0(VALU_DEP_2) | instskip(NEXT) | instid1(VALU_DEP_2)
	v_add_f64_e32 v[4:5], v[4:5], v[12:13]
	v_add_f64_e32 v[2:3], v[2:3], v[10:11]
.LBB62_52:
	s_or_b32 exec_lo, exec_lo, s82
.LBB62_53:
	s_delay_alu instid0(SALU_CYCLE_1)
	s_or_b32 exec_lo, exec_lo, s3
.LBB62_54:
	s_delay_alu instid0(SALU_CYCLE_1)
	s_or_b32 exec_lo, exec_lo, s81
.LBB62_55:
	s_delay_alu instid0(SALU_CYCLE_1)
	s_or_b32 exec_lo, exec_lo, s4
.LBB62_56:
	s_delay_alu instid0(SALU_CYCLE_1)
	s_or_b32 exec_lo, exec_lo, s80
.LBB62_57:
	s_delay_alu instid0(SALU_CYCLE_1)
	s_or_b32 exec_lo, exec_lo, s5
.LBB62_58:
	s_delay_alu instid0(SALU_CYCLE_1)
	s_or_b32 exec_lo, exec_lo, s79
	v_mov_b32_e32 v8, 0
	ds_load_b128 v[8:11], v8 offset:128
	s_wait_dscnt 0x0
	v_mul_f64_e32 v[16:17], v[2:3], v[10:11]
	v_mul_f64_e32 v[12:13], v[4:5], v[10:11]
	s_delay_alu instid0(VALU_DEP_2) | instskip(NEXT) | instid1(VALU_DEP_2)
	v_fma_f64 v[10:11], v[4:5], v[8:9], -v[16:17]
	v_fmac_f64_e32 v[12:13], v[2:3], v[8:9]
	scratch_store_b128 off, v[10:13], off offset:128
.LBB62_59:
	s_wait_xcnt 0x0
	s_or_b32 exec_lo, exec_lo, s78
	s_wait_storecnt 0x0
	s_barrier_signal -1
	s_barrier_wait -1
	scratch_load_b128 v[2:5], off, s72
	s_mov_b32 s2, exec_lo
	s_wait_loadcnt 0x0
	ds_store_b128 v6, v[2:5]
	s_wait_dscnt 0x0
	s_barrier_signal -1
	s_barrier_wait -1
	v_cmpx_gt_u32_e32 9, v1
	s_cbranch_execz .LBB62_63
; %bb.60:
	v_dual_mov_b32 v10, v14 :: v_dual_add_nc_u32 v8, -1, v1
	v_mov_b64_e32 v[2:3], 0
	v_mov_b64_e32 v[4:5], 0
	v_add_nc_u32_e32 v9, 0x3f0, v14
	s_delay_alu instid0(VALU_DEP_4)
	v_or_b32_e32 v10, 8, v10
	s_mov_b32 s3, 0
.LBB62_61:                              ; =>This Inner Loop Header: Depth=1
	scratch_load_b128 v[16:19], v10, off offset:-8
	ds_load_b128 v[20:23], v9
	v_dual_add_nc_u32 v8, 1, v8 :: v_dual_add_nc_u32 v9, 16, v9
	s_wait_xcnt 0x0
	v_add_nc_u32_e32 v10, 16, v10
	s_delay_alu instid0(VALU_DEP_2) | instskip(SKIP_4) | instid1(VALU_DEP_2)
	v_cmp_lt_u32_e32 vcc_lo, 7, v8
	s_or_b32 s3, vcc_lo, s3
	s_wait_loadcnt_dscnt 0x0
	v_mul_f64_e32 v[12:13], v[22:23], v[18:19]
	v_mul_f64_e32 v[18:19], v[20:21], v[18:19]
	v_fma_f64 v[12:13], v[20:21], v[16:17], -v[12:13]
	s_delay_alu instid0(VALU_DEP_2) | instskip(NEXT) | instid1(VALU_DEP_2)
	v_fmac_f64_e32 v[18:19], v[22:23], v[16:17]
	v_add_f64_e32 v[4:5], v[4:5], v[12:13]
	s_delay_alu instid0(VALU_DEP_2)
	v_add_f64_e32 v[2:3], v[2:3], v[18:19]
	s_and_not1_b32 exec_lo, exec_lo, s3
	s_cbranch_execnz .LBB62_61
; %bb.62:
	s_or_b32 exec_lo, exec_lo, s3
	v_mov_b32_e32 v8, 0
	ds_load_b128 v[8:11], v8 offset:144
	s_wait_dscnt 0x0
	v_mul_f64_e32 v[16:17], v[2:3], v[10:11]
	v_mul_f64_e32 v[12:13], v[4:5], v[10:11]
	s_delay_alu instid0(VALU_DEP_2) | instskip(NEXT) | instid1(VALU_DEP_2)
	v_fma_f64 v[10:11], v[4:5], v[8:9], -v[16:17]
	v_fmac_f64_e32 v[12:13], v[2:3], v[8:9]
	scratch_store_b128 off, v[10:13], off offset:144
.LBB62_63:
	s_wait_xcnt 0x0
	s_or_b32 exec_lo, exec_lo, s2
	s_wait_storecnt 0x0
	s_barrier_signal -1
	s_barrier_wait -1
	scratch_load_b128 v[2:5], off, s71
	s_mov_b32 s2, exec_lo
	s_wait_loadcnt 0x0
	ds_store_b128 v6, v[2:5]
	s_wait_dscnt 0x0
	s_barrier_signal -1
	s_barrier_wait -1
	v_cmpx_gt_u32_e32 10, v1
	s_cbranch_execz .LBB62_67
; %bb.64:
	v_dual_mov_b32 v10, v14 :: v_dual_add_nc_u32 v8, -1, v1
	v_mov_b64_e32 v[2:3], 0
	v_mov_b64_e32 v[4:5], 0
	v_add_nc_u32_e32 v9, 0x3f0, v14
	s_delay_alu instid0(VALU_DEP_4)
	v_or_b32_e32 v10, 8, v10
	s_mov_b32 s3, 0
.LBB62_65:                              ; =>This Inner Loop Header: Depth=1
	scratch_load_b128 v[16:19], v10, off offset:-8
	ds_load_b128 v[20:23], v9
	v_dual_add_nc_u32 v8, 1, v8 :: v_dual_add_nc_u32 v9, 16, v9
	s_wait_xcnt 0x0
	v_add_nc_u32_e32 v10, 16, v10
	s_delay_alu instid0(VALU_DEP_2) | instskip(SKIP_4) | instid1(VALU_DEP_2)
	v_cmp_lt_u32_e32 vcc_lo, 8, v8
	s_or_b32 s3, vcc_lo, s3
	s_wait_loadcnt_dscnt 0x0
	v_mul_f64_e32 v[12:13], v[22:23], v[18:19]
	v_mul_f64_e32 v[18:19], v[20:21], v[18:19]
	v_fma_f64 v[12:13], v[20:21], v[16:17], -v[12:13]
	s_delay_alu instid0(VALU_DEP_2) | instskip(NEXT) | instid1(VALU_DEP_2)
	v_fmac_f64_e32 v[18:19], v[22:23], v[16:17]
	v_add_f64_e32 v[4:5], v[4:5], v[12:13]
	s_delay_alu instid0(VALU_DEP_2)
	v_add_f64_e32 v[2:3], v[2:3], v[18:19]
	s_and_not1_b32 exec_lo, exec_lo, s3
	s_cbranch_execnz .LBB62_65
; %bb.66:
	s_or_b32 exec_lo, exec_lo, s3
	v_mov_b32_e32 v8, 0
	ds_load_b128 v[8:11], v8 offset:160
	s_wait_dscnt 0x0
	v_mul_f64_e32 v[16:17], v[2:3], v[10:11]
	v_mul_f64_e32 v[12:13], v[4:5], v[10:11]
	s_delay_alu instid0(VALU_DEP_2) | instskip(NEXT) | instid1(VALU_DEP_2)
	v_fma_f64 v[10:11], v[4:5], v[8:9], -v[16:17]
	v_fmac_f64_e32 v[12:13], v[2:3], v[8:9]
	scratch_store_b128 off, v[10:13], off offset:160
.LBB62_67:
	s_wait_xcnt 0x0
	s_or_b32 exec_lo, exec_lo, s2
	s_wait_storecnt 0x0
	s_barrier_signal -1
	s_barrier_wait -1
	scratch_load_b128 v[2:5], off, s70
	s_mov_b32 s2, exec_lo
	s_wait_loadcnt 0x0
	ds_store_b128 v6, v[2:5]
	s_wait_dscnt 0x0
	s_barrier_signal -1
	s_barrier_wait -1
	v_cmpx_gt_u32_e32 11, v1
	s_cbranch_execz .LBB62_71
; %bb.68:
	v_dual_mov_b32 v10, v14 :: v_dual_add_nc_u32 v8, -1, v1
	v_mov_b64_e32 v[2:3], 0
	v_mov_b64_e32 v[4:5], 0
	v_add_nc_u32_e32 v9, 0x3f0, v14
	s_delay_alu instid0(VALU_DEP_4)
	v_or_b32_e32 v10, 8, v10
	s_mov_b32 s3, 0
.LBB62_69:                              ; =>This Inner Loop Header: Depth=1
	scratch_load_b128 v[16:19], v10, off offset:-8
	ds_load_b128 v[20:23], v9
	v_dual_add_nc_u32 v8, 1, v8 :: v_dual_add_nc_u32 v9, 16, v9
	s_wait_xcnt 0x0
	v_add_nc_u32_e32 v10, 16, v10
	s_delay_alu instid0(VALU_DEP_2) | instskip(SKIP_4) | instid1(VALU_DEP_2)
	v_cmp_lt_u32_e32 vcc_lo, 9, v8
	s_or_b32 s3, vcc_lo, s3
	s_wait_loadcnt_dscnt 0x0
	v_mul_f64_e32 v[12:13], v[22:23], v[18:19]
	v_mul_f64_e32 v[18:19], v[20:21], v[18:19]
	v_fma_f64 v[12:13], v[20:21], v[16:17], -v[12:13]
	s_delay_alu instid0(VALU_DEP_2) | instskip(NEXT) | instid1(VALU_DEP_2)
	v_fmac_f64_e32 v[18:19], v[22:23], v[16:17]
	v_add_f64_e32 v[4:5], v[4:5], v[12:13]
	s_delay_alu instid0(VALU_DEP_2)
	v_add_f64_e32 v[2:3], v[2:3], v[18:19]
	s_and_not1_b32 exec_lo, exec_lo, s3
	s_cbranch_execnz .LBB62_69
; %bb.70:
	s_or_b32 exec_lo, exec_lo, s3
	v_mov_b32_e32 v8, 0
	ds_load_b128 v[8:11], v8 offset:176
	s_wait_dscnt 0x0
	v_mul_f64_e32 v[16:17], v[2:3], v[10:11]
	v_mul_f64_e32 v[12:13], v[4:5], v[10:11]
	s_delay_alu instid0(VALU_DEP_2) | instskip(NEXT) | instid1(VALU_DEP_2)
	v_fma_f64 v[10:11], v[4:5], v[8:9], -v[16:17]
	v_fmac_f64_e32 v[12:13], v[2:3], v[8:9]
	scratch_store_b128 off, v[10:13], off offset:176
.LBB62_71:
	s_wait_xcnt 0x0
	s_or_b32 exec_lo, exec_lo, s2
	s_wait_storecnt 0x0
	s_barrier_signal -1
	s_barrier_wait -1
	scratch_load_b128 v[2:5], off, s57
	s_mov_b32 s2, exec_lo
	s_wait_loadcnt 0x0
	ds_store_b128 v6, v[2:5]
	s_wait_dscnt 0x0
	s_barrier_signal -1
	s_barrier_wait -1
	v_cmpx_gt_u32_e32 12, v1
	s_cbranch_execz .LBB62_75
; %bb.72:
	v_dual_mov_b32 v10, v14 :: v_dual_add_nc_u32 v8, -1, v1
	v_mov_b64_e32 v[2:3], 0
	v_mov_b64_e32 v[4:5], 0
	v_add_nc_u32_e32 v9, 0x3f0, v14
	s_delay_alu instid0(VALU_DEP_4)
	v_or_b32_e32 v10, 8, v10
	s_mov_b32 s3, 0
.LBB62_73:                              ; =>This Inner Loop Header: Depth=1
	scratch_load_b128 v[16:19], v10, off offset:-8
	ds_load_b128 v[20:23], v9
	v_dual_add_nc_u32 v8, 1, v8 :: v_dual_add_nc_u32 v9, 16, v9
	s_wait_xcnt 0x0
	v_add_nc_u32_e32 v10, 16, v10
	s_delay_alu instid0(VALU_DEP_2) | instskip(SKIP_4) | instid1(VALU_DEP_2)
	v_cmp_lt_u32_e32 vcc_lo, 10, v8
	s_or_b32 s3, vcc_lo, s3
	s_wait_loadcnt_dscnt 0x0
	v_mul_f64_e32 v[12:13], v[22:23], v[18:19]
	v_mul_f64_e32 v[18:19], v[20:21], v[18:19]
	v_fma_f64 v[12:13], v[20:21], v[16:17], -v[12:13]
	s_delay_alu instid0(VALU_DEP_2) | instskip(NEXT) | instid1(VALU_DEP_2)
	v_fmac_f64_e32 v[18:19], v[22:23], v[16:17]
	v_add_f64_e32 v[4:5], v[4:5], v[12:13]
	s_delay_alu instid0(VALU_DEP_2)
	v_add_f64_e32 v[2:3], v[2:3], v[18:19]
	s_and_not1_b32 exec_lo, exec_lo, s3
	s_cbranch_execnz .LBB62_73
; %bb.74:
	s_or_b32 exec_lo, exec_lo, s3
	v_mov_b32_e32 v8, 0
	ds_load_b128 v[8:11], v8 offset:192
	s_wait_dscnt 0x0
	v_mul_f64_e32 v[16:17], v[2:3], v[10:11]
	v_mul_f64_e32 v[12:13], v[4:5], v[10:11]
	s_delay_alu instid0(VALU_DEP_2) | instskip(NEXT) | instid1(VALU_DEP_2)
	v_fma_f64 v[10:11], v[4:5], v[8:9], -v[16:17]
	v_fmac_f64_e32 v[12:13], v[2:3], v[8:9]
	scratch_store_b128 off, v[10:13], off offset:192
.LBB62_75:
	s_wait_xcnt 0x0
	s_or_b32 exec_lo, exec_lo, s2
	s_wait_storecnt 0x0
	s_barrier_signal -1
	s_barrier_wait -1
	scratch_load_b128 v[2:5], off, s60
	s_mov_b32 s2, exec_lo
	s_wait_loadcnt 0x0
	ds_store_b128 v6, v[2:5]
	s_wait_dscnt 0x0
	s_barrier_signal -1
	s_barrier_wait -1
	v_cmpx_gt_u32_e32 13, v1
	s_cbranch_execz .LBB62_79
; %bb.76:
	v_dual_mov_b32 v10, v14 :: v_dual_add_nc_u32 v8, -1, v1
	v_mov_b64_e32 v[2:3], 0
	v_mov_b64_e32 v[4:5], 0
	v_add_nc_u32_e32 v9, 0x3f0, v14
	s_delay_alu instid0(VALU_DEP_4)
	v_or_b32_e32 v10, 8, v10
	s_mov_b32 s3, 0
.LBB62_77:                              ; =>This Inner Loop Header: Depth=1
	scratch_load_b128 v[16:19], v10, off offset:-8
	ds_load_b128 v[20:23], v9
	v_dual_add_nc_u32 v8, 1, v8 :: v_dual_add_nc_u32 v9, 16, v9
	s_wait_xcnt 0x0
	v_add_nc_u32_e32 v10, 16, v10
	s_delay_alu instid0(VALU_DEP_2) | instskip(SKIP_4) | instid1(VALU_DEP_2)
	v_cmp_lt_u32_e32 vcc_lo, 11, v8
	s_or_b32 s3, vcc_lo, s3
	s_wait_loadcnt_dscnt 0x0
	v_mul_f64_e32 v[12:13], v[22:23], v[18:19]
	v_mul_f64_e32 v[18:19], v[20:21], v[18:19]
	v_fma_f64 v[12:13], v[20:21], v[16:17], -v[12:13]
	s_delay_alu instid0(VALU_DEP_2) | instskip(NEXT) | instid1(VALU_DEP_2)
	v_fmac_f64_e32 v[18:19], v[22:23], v[16:17]
	v_add_f64_e32 v[4:5], v[4:5], v[12:13]
	s_delay_alu instid0(VALU_DEP_2)
	v_add_f64_e32 v[2:3], v[2:3], v[18:19]
	s_and_not1_b32 exec_lo, exec_lo, s3
	s_cbranch_execnz .LBB62_77
; %bb.78:
	s_or_b32 exec_lo, exec_lo, s3
	v_mov_b32_e32 v8, 0
	ds_load_b128 v[8:11], v8 offset:208
	s_wait_dscnt 0x0
	v_mul_f64_e32 v[16:17], v[2:3], v[10:11]
	v_mul_f64_e32 v[12:13], v[4:5], v[10:11]
	s_delay_alu instid0(VALU_DEP_2) | instskip(NEXT) | instid1(VALU_DEP_2)
	v_fma_f64 v[10:11], v[4:5], v[8:9], -v[16:17]
	v_fmac_f64_e32 v[12:13], v[2:3], v[8:9]
	scratch_store_b128 off, v[10:13], off offset:208
.LBB62_79:
	s_wait_xcnt 0x0
	s_or_b32 exec_lo, exec_lo, s2
	s_wait_storecnt 0x0
	s_barrier_signal -1
	s_barrier_wait -1
	scratch_load_b128 v[2:5], off, s64
	s_mov_b32 s2, exec_lo
	s_wait_loadcnt 0x0
	ds_store_b128 v6, v[2:5]
	s_wait_dscnt 0x0
	s_barrier_signal -1
	s_barrier_wait -1
	v_cmpx_gt_u32_e32 14, v1
	s_cbranch_execz .LBB62_83
; %bb.80:
	v_dual_mov_b32 v10, v14 :: v_dual_add_nc_u32 v8, -1, v1
	v_mov_b64_e32 v[2:3], 0
	v_mov_b64_e32 v[4:5], 0
	v_add_nc_u32_e32 v9, 0x3f0, v14
	s_delay_alu instid0(VALU_DEP_4)
	v_or_b32_e32 v10, 8, v10
	s_mov_b32 s3, 0
.LBB62_81:                              ; =>This Inner Loop Header: Depth=1
	scratch_load_b128 v[16:19], v10, off offset:-8
	ds_load_b128 v[20:23], v9
	v_dual_add_nc_u32 v8, 1, v8 :: v_dual_add_nc_u32 v9, 16, v9
	s_wait_xcnt 0x0
	v_add_nc_u32_e32 v10, 16, v10
	s_delay_alu instid0(VALU_DEP_2) | instskip(SKIP_4) | instid1(VALU_DEP_2)
	v_cmp_lt_u32_e32 vcc_lo, 12, v8
	s_or_b32 s3, vcc_lo, s3
	s_wait_loadcnt_dscnt 0x0
	v_mul_f64_e32 v[12:13], v[22:23], v[18:19]
	v_mul_f64_e32 v[18:19], v[20:21], v[18:19]
	v_fma_f64 v[12:13], v[20:21], v[16:17], -v[12:13]
	s_delay_alu instid0(VALU_DEP_2) | instskip(NEXT) | instid1(VALU_DEP_2)
	v_fmac_f64_e32 v[18:19], v[22:23], v[16:17]
	v_add_f64_e32 v[4:5], v[4:5], v[12:13]
	s_delay_alu instid0(VALU_DEP_2)
	v_add_f64_e32 v[2:3], v[2:3], v[18:19]
	s_and_not1_b32 exec_lo, exec_lo, s3
	s_cbranch_execnz .LBB62_81
; %bb.82:
	s_or_b32 exec_lo, exec_lo, s3
	v_mov_b32_e32 v8, 0
	ds_load_b128 v[8:11], v8 offset:224
	s_wait_dscnt 0x0
	v_mul_f64_e32 v[16:17], v[2:3], v[10:11]
	v_mul_f64_e32 v[12:13], v[4:5], v[10:11]
	s_delay_alu instid0(VALU_DEP_2) | instskip(NEXT) | instid1(VALU_DEP_2)
	v_fma_f64 v[10:11], v[4:5], v[8:9], -v[16:17]
	v_fmac_f64_e32 v[12:13], v[2:3], v[8:9]
	scratch_store_b128 off, v[10:13], off offset:224
.LBB62_83:
	s_wait_xcnt 0x0
	s_or_b32 exec_lo, exec_lo, s2
	s_wait_storecnt 0x0
	s_barrier_signal -1
	s_barrier_wait -1
	scratch_load_b128 v[2:5], off, s55
	s_mov_b32 s2, exec_lo
	s_wait_loadcnt 0x0
	ds_store_b128 v6, v[2:5]
	s_wait_dscnt 0x0
	s_barrier_signal -1
	s_barrier_wait -1
	v_cmpx_gt_u32_e32 15, v1
	s_cbranch_execz .LBB62_87
; %bb.84:
	v_dual_mov_b32 v10, v14 :: v_dual_add_nc_u32 v8, -1, v1
	v_mov_b64_e32 v[2:3], 0
	v_mov_b64_e32 v[4:5], 0
	v_add_nc_u32_e32 v9, 0x3f0, v14
	s_delay_alu instid0(VALU_DEP_4)
	v_or_b32_e32 v10, 8, v10
	s_mov_b32 s3, 0
.LBB62_85:                              ; =>This Inner Loop Header: Depth=1
	scratch_load_b128 v[16:19], v10, off offset:-8
	ds_load_b128 v[20:23], v9
	v_dual_add_nc_u32 v8, 1, v8 :: v_dual_add_nc_u32 v9, 16, v9
	s_wait_xcnt 0x0
	v_add_nc_u32_e32 v10, 16, v10
	s_delay_alu instid0(VALU_DEP_2) | instskip(SKIP_4) | instid1(VALU_DEP_2)
	v_cmp_lt_u32_e32 vcc_lo, 13, v8
	s_or_b32 s3, vcc_lo, s3
	s_wait_loadcnt_dscnt 0x0
	v_mul_f64_e32 v[12:13], v[22:23], v[18:19]
	v_mul_f64_e32 v[18:19], v[20:21], v[18:19]
	v_fma_f64 v[12:13], v[20:21], v[16:17], -v[12:13]
	s_delay_alu instid0(VALU_DEP_2) | instskip(NEXT) | instid1(VALU_DEP_2)
	v_fmac_f64_e32 v[18:19], v[22:23], v[16:17]
	v_add_f64_e32 v[4:5], v[4:5], v[12:13]
	s_delay_alu instid0(VALU_DEP_2)
	v_add_f64_e32 v[2:3], v[2:3], v[18:19]
	s_and_not1_b32 exec_lo, exec_lo, s3
	s_cbranch_execnz .LBB62_85
; %bb.86:
	s_or_b32 exec_lo, exec_lo, s3
	v_mov_b32_e32 v8, 0
	ds_load_b128 v[8:11], v8 offset:240
	s_wait_dscnt 0x0
	v_mul_f64_e32 v[16:17], v[2:3], v[10:11]
	v_mul_f64_e32 v[12:13], v[4:5], v[10:11]
	s_delay_alu instid0(VALU_DEP_2) | instskip(NEXT) | instid1(VALU_DEP_2)
	v_fma_f64 v[10:11], v[4:5], v[8:9], -v[16:17]
	v_fmac_f64_e32 v[12:13], v[2:3], v[8:9]
	scratch_store_b128 off, v[10:13], off offset:240
.LBB62_87:
	s_wait_xcnt 0x0
	s_or_b32 exec_lo, exec_lo, s2
	s_wait_storecnt 0x0
	s_barrier_signal -1
	s_barrier_wait -1
	scratch_load_b128 v[2:5], off, s56
	s_mov_b32 s2, exec_lo
	s_wait_loadcnt 0x0
	ds_store_b128 v6, v[2:5]
	s_wait_dscnt 0x0
	s_barrier_signal -1
	s_barrier_wait -1
	v_cmpx_gt_u32_e32 16, v1
	s_cbranch_execz .LBB62_91
; %bb.88:
	v_dual_mov_b32 v10, v14 :: v_dual_add_nc_u32 v8, -1, v1
	v_mov_b64_e32 v[2:3], 0
	v_mov_b64_e32 v[4:5], 0
	v_add_nc_u32_e32 v9, 0x3f0, v14
	s_delay_alu instid0(VALU_DEP_4)
	v_or_b32_e32 v10, 8, v10
	s_mov_b32 s3, 0
.LBB62_89:                              ; =>This Inner Loop Header: Depth=1
	scratch_load_b128 v[16:19], v10, off offset:-8
	ds_load_b128 v[20:23], v9
	v_dual_add_nc_u32 v8, 1, v8 :: v_dual_add_nc_u32 v9, 16, v9
	s_wait_xcnt 0x0
	v_add_nc_u32_e32 v10, 16, v10
	s_delay_alu instid0(VALU_DEP_2) | instskip(SKIP_4) | instid1(VALU_DEP_2)
	v_cmp_lt_u32_e32 vcc_lo, 14, v8
	s_or_b32 s3, vcc_lo, s3
	s_wait_loadcnt_dscnt 0x0
	v_mul_f64_e32 v[12:13], v[22:23], v[18:19]
	v_mul_f64_e32 v[18:19], v[20:21], v[18:19]
	v_fma_f64 v[12:13], v[20:21], v[16:17], -v[12:13]
	s_delay_alu instid0(VALU_DEP_2) | instskip(NEXT) | instid1(VALU_DEP_2)
	v_fmac_f64_e32 v[18:19], v[22:23], v[16:17]
	v_add_f64_e32 v[4:5], v[4:5], v[12:13]
	s_delay_alu instid0(VALU_DEP_2)
	v_add_f64_e32 v[2:3], v[2:3], v[18:19]
	s_and_not1_b32 exec_lo, exec_lo, s3
	s_cbranch_execnz .LBB62_89
; %bb.90:
	s_or_b32 exec_lo, exec_lo, s3
	v_mov_b32_e32 v8, 0
	ds_load_b128 v[8:11], v8 offset:256
	s_wait_dscnt 0x0
	v_mul_f64_e32 v[16:17], v[2:3], v[10:11]
	v_mul_f64_e32 v[12:13], v[4:5], v[10:11]
	s_delay_alu instid0(VALU_DEP_2) | instskip(NEXT) | instid1(VALU_DEP_2)
	v_fma_f64 v[10:11], v[4:5], v[8:9], -v[16:17]
	v_fmac_f64_e32 v[12:13], v[2:3], v[8:9]
	scratch_store_b128 off, v[10:13], off offset:256
.LBB62_91:
	s_wait_xcnt 0x0
	s_or_b32 exec_lo, exec_lo, s2
	s_wait_storecnt 0x0
	s_barrier_signal -1
	s_barrier_wait -1
	scratch_load_b128 v[2:5], off, s59
	s_mov_b32 s2, exec_lo
	s_wait_loadcnt 0x0
	ds_store_b128 v6, v[2:5]
	s_wait_dscnt 0x0
	s_barrier_signal -1
	s_barrier_wait -1
	v_cmpx_gt_u32_e32 17, v1
	s_cbranch_execz .LBB62_95
; %bb.92:
	v_dual_mov_b32 v10, v14 :: v_dual_add_nc_u32 v8, -1, v1
	v_mov_b64_e32 v[2:3], 0
	v_mov_b64_e32 v[4:5], 0
	v_add_nc_u32_e32 v9, 0x3f0, v14
	s_delay_alu instid0(VALU_DEP_4)
	v_or_b32_e32 v10, 8, v10
	s_mov_b32 s3, 0
.LBB62_93:                              ; =>This Inner Loop Header: Depth=1
	scratch_load_b128 v[16:19], v10, off offset:-8
	ds_load_b128 v[20:23], v9
	v_dual_add_nc_u32 v8, 1, v8 :: v_dual_add_nc_u32 v9, 16, v9
	s_wait_xcnt 0x0
	v_add_nc_u32_e32 v10, 16, v10
	s_delay_alu instid0(VALU_DEP_2) | instskip(SKIP_4) | instid1(VALU_DEP_2)
	v_cmp_lt_u32_e32 vcc_lo, 15, v8
	s_or_b32 s3, vcc_lo, s3
	s_wait_loadcnt_dscnt 0x0
	v_mul_f64_e32 v[12:13], v[22:23], v[18:19]
	v_mul_f64_e32 v[18:19], v[20:21], v[18:19]
	v_fma_f64 v[12:13], v[20:21], v[16:17], -v[12:13]
	s_delay_alu instid0(VALU_DEP_2) | instskip(NEXT) | instid1(VALU_DEP_2)
	v_fmac_f64_e32 v[18:19], v[22:23], v[16:17]
	v_add_f64_e32 v[4:5], v[4:5], v[12:13]
	s_delay_alu instid0(VALU_DEP_2)
	v_add_f64_e32 v[2:3], v[2:3], v[18:19]
	s_and_not1_b32 exec_lo, exec_lo, s3
	s_cbranch_execnz .LBB62_93
; %bb.94:
	s_or_b32 exec_lo, exec_lo, s3
	v_mov_b32_e32 v8, 0
	ds_load_b128 v[8:11], v8 offset:272
	s_wait_dscnt 0x0
	v_mul_f64_e32 v[16:17], v[2:3], v[10:11]
	v_mul_f64_e32 v[12:13], v[4:5], v[10:11]
	s_delay_alu instid0(VALU_DEP_2) | instskip(NEXT) | instid1(VALU_DEP_2)
	v_fma_f64 v[10:11], v[4:5], v[8:9], -v[16:17]
	v_fmac_f64_e32 v[12:13], v[2:3], v[8:9]
	scratch_store_b128 off, v[10:13], off offset:272
.LBB62_95:
	s_wait_xcnt 0x0
	s_or_b32 exec_lo, exec_lo, s2
	s_wait_storecnt 0x0
	s_barrier_signal -1
	s_barrier_wait -1
	scratch_load_b128 v[2:5], off, s62
	s_mov_b32 s2, exec_lo
	s_wait_loadcnt 0x0
	ds_store_b128 v6, v[2:5]
	s_wait_dscnt 0x0
	s_barrier_signal -1
	s_barrier_wait -1
	v_cmpx_gt_u32_e32 18, v1
	s_cbranch_execz .LBB62_99
; %bb.96:
	v_dual_mov_b32 v10, v14 :: v_dual_add_nc_u32 v8, -1, v1
	v_mov_b64_e32 v[2:3], 0
	v_mov_b64_e32 v[4:5], 0
	v_add_nc_u32_e32 v9, 0x3f0, v14
	s_delay_alu instid0(VALU_DEP_4)
	v_or_b32_e32 v10, 8, v10
	s_mov_b32 s3, 0
.LBB62_97:                              ; =>This Inner Loop Header: Depth=1
	scratch_load_b128 v[16:19], v10, off offset:-8
	ds_load_b128 v[20:23], v9
	v_dual_add_nc_u32 v8, 1, v8 :: v_dual_add_nc_u32 v9, 16, v9
	s_wait_xcnt 0x0
	v_add_nc_u32_e32 v10, 16, v10
	s_delay_alu instid0(VALU_DEP_2) | instskip(SKIP_4) | instid1(VALU_DEP_2)
	v_cmp_lt_u32_e32 vcc_lo, 16, v8
	s_or_b32 s3, vcc_lo, s3
	s_wait_loadcnt_dscnt 0x0
	v_mul_f64_e32 v[12:13], v[22:23], v[18:19]
	v_mul_f64_e32 v[18:19], v[20:21], v[18:19]
	v_fma_f64 v[12:13], v[20:21], v[16:17], -v[12:13]
	s_delay_alu instid0(VALU_DEP_2) | instskip(NEXT) | instid1(VALU_DEP_2)
	v_fmac_f64_e32 v[18:19], v[22:23], v[16:17]
	v_add_f64_e32 v[4:5], v[4:5], v[12:13]
	s_delay_alu instid0(VALU_DEP_2)
	v_add_f64_e32 v[2:3], v[2:3], v[18:19]
	s_and_not1_b32 exec_lo, exec_lo, s3
	s_cbranch_execnz .LBB62_97
; %bb.98:
	s_or_b32 exec_lo, exec_lo, s3
	v_mov_b32_e32 v8, 0
	ds_load_b128 v[8:11], v8 offset:288
	s_wait_dscnt 0x0
	v_mul_f64_e32 v[16:17], v[2:3], v[10:11]
	v_mul_f64_e32 v[12:13], v[4:5], v[10:11]
	s_delay_alu instid0(VALU_DEP_2) | instskip(NEXT) | instid1(VALU_DEP_2)
	v_fma_f64 v[10:11], v[4:5], v[8:9], -v[16:17]
	v_fmac_f64_e32 v[12:13], v[2:3], v[8:9]
	scratch_store_b128 off, v[10:13], off offset:288
.LBB62_99:
	s_wait_xcnt 0x0
	s_or_b32 exec_lo, exec_lo, s2
	s_wait_storecnt 0x0
	s_barrier_signal -1
	s_barrier_wait -1
	scratch_load_b128 v[2:5], off, s65
	s_mov_b32 s2, exec_lo
	s_wait_loadcnt 0x0
	ds_store_b128 v6, v[2:5]
	s_wait_dscnt 0x0
	s_barrier_signal -1
	s_barrier_wait -1
	v_cmpx_gt_u32_e32 19, v1
	s_cbranch_execz .LBB62_103
; %bb.100:
	v_dual_mov_b32 v10, v14 :: v_dual_add_nc_u32 v8, -1, v1
	v_mov_b64_e32 v[2:3], 0
	v_mov_b64_e32 v[4:5], 0
	v_add_nc_u32_e32 v9, 0x3f0, v14
	s_delay_alu instid0(VALU_DEP_4)
	v_or_b32_e32 v10, 8, v10
	s_mov_b32 s3, 0
.LBB62_101:                             ; =>This Inner Loop Header: Depth=1
	scratch_load_b128 v[16:19], v10, off offset:-8
	ds_load_b128 v[20:23], v9
	v_dual_add_nc_u32 v8, 1, v8 :: v_dual_add_nc_u32 v9, 16, v9
	s_wait_xcnt 0x0
	v_add_nc_u32_e32 v10, 16, v10
	s_delay_alu instid0(VALU_DEP_2) | instskip(SKIP_4) | instid1(VALU_DEP_2)
	v_cmp_lt_u32_e32 vcc_lo, 17, v8
	s_or_b32 s3, vcc_lo, s3
	s_wait_loadcnt_dscnt 0x0
	v_mul_f64_e32 v[12:13], v[22:23], v[18:19]
	v_mul_f64_e32 v[18:19], v[20:21], v[18:19]
	v_fma_f64 v[12:13], v[20:21], v[16:17], -v[12:13]
	s_delay_alu instid0(VALU_DEP_2) | instskip(NEXT) | instid1(VALU_DEP_2)
	v_fmac_f64_e32 v[18:19], v[22:23], v[16:17]
	v_add_f64_e32 v[4:5], v[4:5], v[12:13]
	s_delay_alu instid0(VALU_DEP_2)
	v_add_f64_e32 v[2:3], v[2:3], v[18:19]
	s_and_not1_b32 exec_lo, exec_lo, s3
	s_cbranch_execnz .LBB62_101
; %bb.102:
	s_or_b32 exec_lo, exec_lo, s3
	v_mov_b32_e32 v8, 0
	ds_load_b128 v[8:11], v8 offset:304
	s_wait_dscnt 0x0
	v_mul_f64_e32 v[16:17], v[2:3], v[10:11]
	v_mul_f64_e32 v[12:13], v[4:5], v[10:11]
	s_delay_alu instid0(VALU_DEP_2) | instskip(NEXT) | instid1(VALU_DEP_2)
	v_fma_f64 v[10:11], v[4:5], v[8:9], -v[16:17]
	v_fmac_f64_e32 v[12:13], v[2:3], v[8:9]
	scratch_store_b128 off, v[10:13], off offset:304
.LBB62_103:
	s_wait_xcnt 0x0
	s_or_b32 exec_lo, exec_lo, s2
	s_wait_storecnt 0x0
	s_barrier_signal -1
	s_barrier_wait -1
	scratch_load_b128 v[2:5], off, s67
	s_mov_b32 s2, exec_lo
	s_wait_loadcnt 0x0
	ds_store_b128 v6, v[2:5]
	s_wait_dscnt 0x0
	s_barrier_signal -1
	s_barrier_wait -1
	v_cmpx_gt_u32_e32 20, v1
	s_cbranch_execz .LBB62_107
; %bb.104:
	v_dual_mov_b32 v10, v14 :: v_dual_add_nc_u32 v8, -1, v1
	v_mov_b64_e32 v[2:3], 0
	v_mov_b64_e32 v[4:5], 0
	v_add_nc_u32_e32 v9, 0x3f0, v14
	s_delay_alu instid0(VALU_DEP_4)
	v_or_b32_e32 v10, 8, v10
	s_mov_b32 s3, 0
.LBB62_105:                             ; =>This Inner Loop Header: Depth=1
	scratch_load_b128 v[16:19], v10, off offset:-8
	ds_load_b128 v[20:23], v9
	v_dual_add_nc_u32 v8, 1, v8 :: v_dual_add_nc_u32 v9, 16, v9
	s_wait_xcnt 0x0
	v_add_nc_u32_e32 v10, 16, v10
	s_delay_alu instid0(VALU_DEP_2) | instskip(SKIP_4) | instid1(VALU_DEP_2)
	v_cmp_lt_u32_e32 vcc_lo, 18, v8
	s_or_b32 s3, vcc_lo, s3
	s_wait_loadcnt_dscnt 0x0
	v_mul_f64_e32 v[12:13], v[22:23], v[18:19]
	v_mul_f64_e32 v[18:19], v[20:21], v[18:19]
	v_fma_f64 v[12:13], v[20:21], v[16:17], -v[12:13]
	s_delay_alu instid0(VALU_DEP_2) | instskip(NEXT) | instid1(VALU_DEP_2)
	v_fmac_f64_e32 v[18:19], v[22:23], v[16:17]
	v_add_f64_e32 v[4:5], v[4:5], v[12:13]
	s_delay_alu instid0(VALU_DEP_2)
	v_add_f64_e32 v[2:3], v[2:3], v[18:19]
	s_and_not1_b32 exec_lo, exec_lo, s3
	s_cbranch_execnz .LBB62_105
; %bb.106:
	s_or_b32 exec_lo, exec_lo, s3
	v_mov_b32_e32 v8, 0
	ds_load_b128 v[8:11], v8 offset:320
	s_wait_dscnt 0x0
	v_mul_f64_e32 v[16:17], v[2:3], v[10:11]
	v_mul_f64_e32 v[12:13], v[4:5], v[10:11]
	s_delay_alu instid0(VALU_DEP_2) | instskip(NEXT) | instid1(VALU_DEP_2)
	v_fma_f64 v[10:11], v[4:5], v[8:9], -v[16:17]
	v_fmac_f64_e32 v[12:13], v[2:3], v[8:9]
	scratch_store_b128 off, v[10:13], off offset:320
.LBB62_107:
	;; [unrolled: 54-line block ×43, first 2 shown]
	s_wait_xcnt 0x0
	s_or_b32 exec_lo, exec_lo, s2
	s_wait_storecnt 0x0
	s_barrier_signal -1
	s_barrier_wait -1
	scratch_load_b128 v[2:5], off, s26
	s_mov_b32 s2, exec_lo
	s_wait_loadcnt 0x0
	ds_store_b128 v6, v[2:5]
	s_wait_dscnt 0x0
	s_barrier_signal -1
	s_barrier_wait -1
	v_cmpx_ne_u32_e32 62, v1
	s_cbranch_execz .LBB62_275
; %bb.272:
	v_mov_b32_e32 v8, v14
	v_mov_b64_e32 v[2:3], 0
	v_mov_b64_e32 v[4:5], 0
	s_mov_b32 s3, 0
	s_delay_alu instid0(VALU_DEP_3)
	v_or_b32_e32 v8, 8, v8
.LBB62_273:                             ; =>This Inner Loop Header: Depth=1
	scratch_load_b128 v[10:13], v8, off offset:-8
	ds_load_b128 v[14:17], v6
	v_dual_add_nc_u32 v7, 1, v7 :: v_dual_add_nc_u32 v6, 16, v6
	s_wait_xcnt 0x0
	v_add_nc_u32_e32 v8, 16, v8
	s_delay_alu instid0(VALU_DEP_2) | instskip(SKIP_4) | instid1(VALU_DEP_2)
	v_cmp_lt_u32_e32 vcc_lo, 60, v7
	s_or_b32 s3, vcc_lo, s3
	s_wait_loadcnt_dscnt 0x0
	v_mul_f64_e32 v[18:19], v[16:17], v[12:13]
	v_mul_f64_e32 v[12:13], v[14:15], v[12:13]
	v_fma_f64 v[14:15], v[14:15], v[10:11], -v[18:19]
	s_delay_alu instid0(VALU_DEP_2) | instskip(NEXT) | instid1(VALU_DEP_2)
	v_fmac_f64_e32 v[12:13], v[16:17], v[10:11]
	v_add_f64_e32 v[4:5], v[4:5], v[14:15]
	s_delay_alu instid0(VALU_DEP_2)
	v_add_f64_e32 v[2:3], v[2:3], v[12:13]
	s_and_not1_b32 exec_lo, exec_lo, s3
	s_cbranch_execnz .LBB62_273
; %bb.274:
	s_or_b32 exec_lo, exec_lo, s3
	v_mov_b32_e32 v6, 0
	ds_load_b128 v[6:9], v6 offset:992
	s_wait_dscnt 0x0
	v_mul_f64_e32 v[12:13], v[2:3], v[8:9]
	v_mul_f64_e32 v[10:11], v[4:5], v[8:9]
	s_delay_alu instid0(VALU_DEP_2) | instskip(NEXT) | instid1(VALU_DEP_2)
	v_fma_f64 v[8:9], v[4:5], v[6:7], -v[12:13]
	v_fmac_f64_e32 v[10:11], v[2:3], v[6:7]
	scratch_store_b128 off, v[8:11], off offset:992
.LBB62_275:
	s_wait_xcnt 0x0
	s_or_b32 exec_lo, exec_lo, s2
	s_mov_b32 s3, -1
	s_wait_storecnt 0x0
	s_barrier_signal -1
	s_barrier_wait -1
.LBB62_276:
	s_and_b32 vcc_lo, exec_lo, s3
	s_cbranch_vccz .LBB62_278
; %bb.277:
	s_wait_xcnt 0x1a
	v_mov_b32_e32 v2, 0
	s_lshl_b64 s[2:3], s[18:19], 2
	s_delay_alu instid0(SALU_CYCLE_1)
	s_add_nc_u64 s[2:3], s[6:7], s[2:3]
	global_load_b32 v2, v2, s[2:3]
	s_wait_loadcnt 0x0
	v_cmp_ne_u32_e32 vcc_lo, 0, v2
	s_cbranch_vccz .LBB62_279
.LBB62_278:
	s_sendmsg sendmsg(MSG_DEALLOC_VGPRS)
	s_endpgm
.LBB62_279:
	s_wait_xcnt 0x17
	v_lshl_add_u32 v20, v1, 4, 0x3f0
	s_wait_xcnt 0x0
	s_mov_b32 s2, exec_lo
	v_cmpx_eq_u32_e32 62, v1
	s_cbranch_execz .LBB62_281
; %bb.280:
	scratch_load_b128 v[2:5], off, s24
	v_mov_b32_e32 v6, 0
	s_delay_alu instid0(VALU_DEP_1)
	v_dual_mov_b32 v7, v6 :: v_dual_mov_b32 v8, v6
	v_mov_b32_e32 v9, v6
	scratch_store_b128 off, v[6:9], off offset:976
	s_wait_loadcnt 0x0
	ds_store_b128 v20, v[2:5]
.LBB62_281:
	s_wait_xcnt 0x0
	s_or_b32 exec_lo, exec_lo, s2
	s_wait_storecnt_dscnt 0x0
	s_barrier_signal -1
	s_barrier_wait -1
	s_clause 0x1
	scratch_load_b128 v[4:7], off, off offset:992
	scratch_load_b128 v[8:11], off, off offset:976
	v_mov_b32_e32 v2, 0
	s_mov_b32 s2, exec_lo
	ds_load_b128 v[12:15], v2 offset:2000
	s_wait_loadcnt_dscnt 0x100
	v_mul_f64_e32 v[16:17], v[14:15], v[6:7]
	v_mul_f64_e32 v[6:7], v[12:13], v[6:7]
	s_delay_alu instid0(VALU_DEP_2) | instskip(NEXT) | instid1(VALU_DEP_2)
	v_fma_f64 v[12:13], v[12:13], v[4:5], -v[16:17]
	v_fmac_f64_e32 v[6:7], v[14:15], v[4:5]
	s_delay_alu instid0(VALU_DEP_2) | instskip(NEXT) | instid1(VALU_DEP_2)
	v_add_f64_e32 v[4:5], 0, v[12:13]
	v_add_f64_e32 v[6:7], 0, v[6:7]
	s_wait_loadcnt 0x0
	s_delay_alu instid0(VALU_DEP_2) | instskip(NEXT) | instid1(VALU_DEP_2)
	v_add_f64_e64 v[4:5], v[8:9], -v[4:5]
	v_add_f64_e64 v[6:7], v[10:11], -v[6:7]
	scratch_store_b128 off, v[4:7], off offset:976
	s_wait_xcnt 0x0
	v_cmpx_lt_u32_e32 60, v1
	s_cbranch_execz .LBB62_283
; %bb.282:
	scratch_load_b128 v[6:9], off, s29
	v_dual_mov_b32 v3, v2 :: v_dual_mov_b32 v4, v2
	v_mov_b32_e32 v5, v2
	scratch_store_b128 off, v[2:5], off offset:960
	s_wait_loadcnt 0x0
	ds_store_b128 v20, v[6:9]
.LBB62_283:
	s_wait_xcnt 0x0
	s_or_b32 exec_lo, exec_lo, s2
	s_wait_storecnt_dscnt 0x0
	s_barrier_signal -1
	s_barrier_wait -1
	s_clause 0x2
	scratch_load_b128 v[4:7], off, off offset:976
	scratch_load_b128 v[8:11], off, off offset:992
	;; [unrolled: 1-line block ×3, first 2 shown]
	ds_load_b128 v[16:19], v2 offset:1984
	ds_load_b128 v[22:25], v2 offset:2000
	s_mov_b32 s2, exec_lo
	s_wait_loadcnt_dscnt 0x201
	v_mul_f64_e32 v[2:3], v[18:19], v[6:7]
	v_mul_f64_e32 v[6:7], v[16:17], v[6:7]
	s_wait_loadcnt_dscnt 0x100
	v_mul_f64_e32 v[26:27], v[22:23], v[10:11]
	v_mul_f64_e32 v[10:11], v[24:25], v[10:11]
	s_delay_alu instid0(VALU_DEP_4) | instskip(NEXT) | instid1(VALU_DEP_4)
	v_fma_f64 v[2:3], v[16:17], v[4:5], -v[2:3]
	v_fmac_f64_e32 v[6:7], v[18:19], v[4:5]
	s_delay_alu instid0(VALU_DEP_4) | instskip(NEXT) | instid1(VALU_DEP_4)
	v_fmac_f64_e32 v[26:27], v[24:25], v[8:9]
	v_fma_f64 v[4:5], v[22:23], v[8:9], -v[10:11]
	s_delay_alu instid0(VALU_DEP_4) | instskip(NEXT) | instid1(VALU_DEP_4)
	v_add_f64_e32 v[2:3], 0, v[2:3]
	v_add_f64_e32 v[6:7], 0, v[6:7]
	s_delay_alu instid0(VALU_DEP_2) | instskip(NEXT) | instid1(VALU_DEP_2)
	v_add_f64_e32 v[2:3], v[2:3], v[4:5]
	v_add_f64_e32 v[4:5], v[6:7], v[26:27]
	s_wait_loadcnt 0x0
	s_delay_alu instid0(VALU_DEP_2) | instskip(NEXT) | instid1(VALU_DEP_2)
	v_add_f64_e64 v[2:3], v[12:13], -v[2:3]
	v_add_f64_e64 v[4:5], v[14:15], -v[4:5]
	scratch_store_b128 off, v[2:5], off offset:960
	s_wait_xcnt 0x0
	v_cmpx_lt_u32_e32 59, v1
	s_cbranch_execz .LBB62_285
; %bb.284:
	scratch_load_b128 v[2:5], off, s10
	v_mov_b32_e32 v6, 0
	s_delay_alu instid0(VALU_DEP_1)
	v_dual_mov_b32 v7, v6 :: v_dual_mov_b32 v8, v6
	v_mov_b32_e32 v9, v6
	scratch_store_b128 off, v[6:9], off offset:944
	s_wait_loadcnt 0x0
	ds_store_b128 v20, v[2:5]
.LBB62_285:
	s_wait_xcnt 0x0
	s_or_b32 exec_lo, exec_lo, s2
	s_wait_storecnt_dscnt 0x0
	s_barrier_signal -1
	s_barrier_wait -1
	s_clause 0x3
	scratch_load_b128 v[4:7], off, off offset:960
	scratch_load_b128 v[8:11], off, off offset:976
	;; [unrolled: 1-line block ×4, first 2 shown]
	v_mov_b32_e32 v2, 0
	ds_load_b128 v[22:25], v2 offset:1968
	ds_load_b128 v[154:157], v2 offset:1984
	s_mov_b32 s2, exec_lo
	s_wait_loadcnt_dscnt 0x301
	v_mul_f64_e32 v[26:27], v[24:25], v[6:7]
	v_mul_f64_e32 v[158:159], v[22:23], v[6:7]
	s_wait_loadcnt_dscnt 0x200
	v_mul_f64_e32 v[160:161], v[154:155], v[10:11]
	v_mul_f64_e32 v[10:11], v[156:157], v[10:11]
	s_delay_alu instid0(VALU_DEP_4) | instskip(NEXT) | instid1(VALU_DEP_4)
	v_fma_f64 v[22:23], v[22:23], v[4:5], -v[26:27]
	v_fmac_f64_e32 v[158:159], v[24:25], v[4:5]
	ds_load_b128 v[4:7], v2 offset:2000
	v_fmac_f64_e32 v[160:161], v[156:157], v[8:9]
	v_fma_f64 v[8:9], v[154:155], v[8:9], -v[10:11]
	s_wait_loadcnt_dscnt 0x100
	v_mul_f64_e32 v[24:25], v[4:5], v[14:15]
	v_mul_f64_e32 v[14:15], v[6:7], v[14:15]
	v_add_f64_e32 v[10:11], 0, v[22:23]
	v_add_f64_e32 v[22:23], 0, v[158:159]
	s_delay_alu instid0(VALU_DEP_4) | instskip(NEXT) | instid1(VALU_DEP_4)
	v_fmac_f64_e32 v[24:25], v[6:7], v[12:13]
	v_fma_f64 v[4:5], v[4:5], v[12:13], -v[14:15]
	s_delay_alu instid0(VALU_DEP_4) | instskip(NEXT) | instid1(VALU_DEP_4)
	v_add_f64_e32 v[6:7], v[10:11], v[8:9]
	v_add_f64_e32 v[8:9], v[22:23], v[160:161]
	s_delay_alu instid0(VALU_DEP_2) | instskip(NEXT) | instid1(VALU_DEP_2)
	v_add_f64_e32 v[4:5], v[6:7], v[4:5]
	v_add_f64_e32 v[6:7], v[8:9], v[24:25]
	s_wait_loadcnt 0x0
	s_delay_alu instid0(VALU_DEP_2) | instskip(NEXT) | instid1(VALU_DEP_2)
	v_add_f64_e64 v[4:5], v[16:17], -v[4:5]
	v_add_f64_e64 v[6:7], v[18:19], -v[6:7]
	scratch_store_b128 off, v[4:7], off offset:944
	s_wait_xcnt 0x0
	v_cmpx_lt_u32_e32 58, v1
	s_cbranch_execz .LBB62_287
; %bb.286:
	scratch_load_b128 v[6:9], off, s12
	v_dual_mov_b32 v3, v2 :: v_dual_mov_b32 v4, v2
	v_mov_b32_e32 v5, v2
	scratch_store_b128 off, v[2:5], off offset:928
	s_wait_loadcnt 0x0
	ds_store_b128 v20, v[6:9]
.LBB62_287:
	s_wait_xcnt 0x0
	s_or_b32 exec_lo, exec_lo, s2
	s_wait_storecnt_dscnt 0x0
	s_barrier_signal -1
	s_barrier_wait -1
	s_clause 0x4
	scratch_load_b128 v[4:7], off, off offset:944
	scratch_load_b128 v[8:11], off, off offset:960
	;; [unrolled: 1-line block ×5, first 2 shown]
	ds_load_b128 v[154:157], v2 offset:1952
	ds_load_b128 v[158:161], v2 offset:1968
	s_mov_b32 s2, exec_lo
	s_wait_loadcnt_dscnt 0x401
	v_mul_f64_e32 v[26:27], v[156:157], v[6:7]
	v_mul_f64_e32 v[162:163], v[154:155], v[6:7]
	s_wait_loadcnt_dscnt 0x300
	v_mul_f64_e32 v[164:165], v[158:159], v[10:11]
	v_mul_f64_e32 v[10:11], v[160:161], v[10:11]
	s_delay_alu instid0(VALU_DEP_4) | instskip(NEXT) | instid1(VALU_DEP_4)
	v_fma_f64 v[26:27], v[154:155], v[4:5], -v[26:27]
	v_fmac_f64_e32 v[162:163], v[156:157], v[4:5]
	ds_load_b128 v[4:7], v2 offset:1984
	ds_load_b128 v[154:157], v2 offset:2000
	v_fmac_f64_e32 v[164:165], v[160:161], v[8:9]
	v_fma_f64 v[8:9], v[158:159], v[8:9], -v[10:11]
	s_wait_loadcnt_dscnt 0x201
	v_mul_f64_e32 v[2:3], v[4:5], v[14:15]
	v_mul_f64_e32 v[14:15], v[6:7], v[14:15]
	s_wait_loadcnt_dscnt 0x100
	v_mul_f64_e32 v[158:159], v[154:155], v[18:19]
	v_mul_f64_e32 v[18:19], v[156:157], v[18:19]
	v_add_f64_e32 v[10:11], 0, v[26:27]
	v_add_f64_e32 v[26:27], 0, v[162:163]
	v_fmac_f64_e32 v[2:3], v[6:7], v[12:13]
	v_fma_f64 v[4:5], v[4:5], v[12:13], -v[14:15]
	v_fmac_f64_e32 v[158:159], v[156:157], v[16:17]
	v_add_f64_e32 v[6:7], v[10:11], v[8:9]
	v_add_f64_e32 v[8:9], v[26:27], v[164:165]
	v_fma_f64 v[10:11], v[154:155], v[16:17], -v[18:19]
	s_delay_alu instid0(VALU_DEP_3) | instskip(NEXT) | instid1(VALU_DEP_3)
	v_add_f64_e32 v[4:5], v[6:7], v[4:5]
	v_add_f64_e32 v[2:3], v[8:9], v[2:3]
	s_delay_alu instid0(VALU_DEP_2) | instskip(NEXT) | instid1(VALU_DEP_2)
	v_add_f64_e32 v[4:5], v[4:5], v[10:11]
	v_add_f64_e32 v[6:7], v[2:3], v[158:159]
	s_wait_loadcnt 0x0
	s_delay_alu instid0(VALU_DEP_2) | instskip(NEXT) | instid1(VALU_DEP_2)
	v_add_f64_e64 v[2:3], v[22:23], -v[4:5]
	v_add_f64_e64 v[4:5], v[24:25], -v[6:7]
	scratch_store_b128 off, v[2:5], off offset:928
	s_wait_xcnt 0x0
	v_cmpx_lt_u32_e32 57, v1
	s_cbranch_execz .LBB62_289
; %bb.288:
	scratch_load_b128 v[2:5], off, s11
	v_mov_b32_e32 v6, 0
	s_delay_alu instid0(VALU_DEP_1)
	v_dual_mov_b32 v7, v6 :: v_dual_mov_b32 v8, v6
	v_mov_b32_e32 v9, v6
	scratch_store_b128 off, v[6:9], off offset:912
	s_wait_loadcnt 0x0
	ds_store_b128 v20, v[2:5]
.LBB62_289:
	s_wait_xcnt 0x0
	s_or_b32 exec_lo, exec_lo, s2
	s_wait_storecnt_dscnt 0x0
	s_barrier_signal -1
	s_barrier_wait -1
	s_clause 0x5
	scratch_load_b128 v[4:7], off, off offset:928
	scratch_load_b128 v[8:11], off, off offset:944
	;; [unrolled: 1-line block ×6, first 2 shown]
	v_mov_b32_e32 v2, 0
	ds_load_b128 v[158:161], v2 offset:1936
	ds_load_b128 v[162:165], v2 offset:1952
	s_mov_b32 s2, exec_lo
	s_wait_loadcnt_dscnt 0x501
	v_mul_f64_e32 v[26:27], v[160:161], v[6:7]
	v_mul_f64_e32 v[166:167], v[158:159], v[6:7]
	s_wait_loadcnt_dscnt 0x400
	v_mul_f64_e32 v[168:169], v[162:163], v[10:11]
	v_mul_f64_e32 v[10:11], v[164:165], v[10:11]
	s_delay_alu instid0(VALU_DEP_4) | instskip(NEXT) | instid1(VALU_DEP_4)
	v_fma_f64 v[26:27], v[158:159], v[4:5], -v[26:27]
	v_fmac_f64_e32 v[166:167], v[160:161], v[4:5]
	ds_load_b128 v[4:7], v2 offset:1968
	ds_load_b128 v[158:161], v2 offset:1984
	v_fmac_f64_e32 v[168:169], v[164:165], v[8:9]
	v_fma_f64 v[8:9], v[162:163], v[8:9], -v[10:11]
	s_wait_loadcnt_dscnt 0x301
	v_mul_f64_e32 v[170:171], v[4:5], v[14:15]
	v_mul_f64_e32 v[14:15], v[6:7], v[14:15]
	s_wait_loadcnt_dscnt 0x200
	v_mul_f64_e32 v[162:163], v[158:159], v[18:19]
	v_mul_f64_e32 v[18:19], v[160:161], v[18:19]
	v_add_f64_e32 v[10:11], 0, v[26:27]
	v_add_f64_e32 v[26:27], 0, v[166:167]
	v_fmac_f64_e32 v[170:171], v[6:7], v[12:13]
	v_fma_f64 v[12:13], v[4:5], v[12:13], -v[14:15]
	ds_load_b128 v[4:7], v2 offset:2000
	v_fmac_f64_e32 v[162:163], v[160:161], v[16:17]
	v_fma_f64 v[16:17], v[158:159], v[16:17], -v[18:19]
	v_add_f64_e32 v[8:9], v[10:11], v[8:9]
	v_add_f64_e32 v[10:11], v[26:27], v[168:169]
	s_wait_loadcnt_dscnt 0x100
	v_mul_f64_e32 v[14:15], v[4:5], v[24:25]
	v_mul_f64_e32 v[24:25], v[6:7], v[24:25]
	s_delay_alu instid0(VALU_DEP_4) | instskip(NEXT) | instid1(VALU_DEP_4)
	v_add_f64_e32 v[8:9], v[8:9], v[12:13]
	v_add_f64_e32 v[10:11], v[10:11], v[170:171]
	s_delay_alu instid0(VALU_DEP_4) | instskip(NEXT) | instid1(VALU_DEP_4)
	v_fmac_f64_e32 v[14:15], v[6:7], v[22:23]
	v_fma_f64 v[4:5], v[4:5], v[22:23], -v[24:25]
	s_delay_alu instid0(VALU_DEP_4) | instskip(NEXT) | instid1(VALU_DEP_4)
	v_add_f64_e32 v[6:7], v[8:9], v[16:17]
	v_add_f64_e32 v[8:9], v[10:11], v[162:163]
	s_delay_alu instid0(VALU_DEP_2) | instskip(NEXT) | instid1(VALU_DEP_2)
	v_add_f64_e32 v[4:5], v[6:7], v[4:5]
	v_add_f64_e32 v[6:7], v[8:9], v[14:15]
	s_wait_loadcnt 0x0
	s_delay_alu instid0(VALU_DEP_2) | instskip(NEXT) | instid1(VALU_DEP_2)
	v_add_f64_e64 v[4:5], v[154:155], -v[4:5]
	v_add_f64_e64 v[6:7], v[156:157], -v[6:7]
	scratch_store_b128 off, v[4:7], off offset:912
	s_wait_xcnt 0x0
	v_cmpx_lt_u32_e32 56, v1
	s_cbranch_execz .LBB62_291
; %bb.290:
	scratch_load_b128 v[6:9], off, s14
	v_dual_mov_b32 v3, v2 :: v_dual_mov_b32 v4, v2
	v_mov_b32_e32 v5, v2
	scratch_store_b128 off, v[2:5], off offset:896
	s_wait_loadcnt 0x0
	ds_store_b128 v20, v[6:9]
.LBB62_291:
	s_wait_xcnt 0x0
	s_or_b32 exec_lo, exec_lo, s2
	s_wait_storecnt_dscnt 0x0
	s_barrier_signal -1
	s_barrier_wait -1
	s_clause 0x6
	scratch_load_b128 v[4:7], off, off offset:912
	scratch_load_b128 v[8:11], off, off offset:928
	;; [unrolled: 1-line block ×7, first 2 shown]
	ds_load_b128 v[162:165], v2 offset:1920
	ds_load_b128 v[166:169], v2 offset:1936
	s_mov_b32 s2, exec_lo
	s_wait_loadcnt_dscnt 0x601
	v_mul_f64_e32 v[26:27], v[164:165], v[6:7]
	v_mul_f64_e32 v[170:171], v[162:163], v[6:7]
	s_wait_loadcnt_dscnt 0x500
	v_mul_f64_e32 v[172:173], v[166:167], v[10:11]
	v_mul_f64_e32 v[10:11], v[168:169], v[10:11]
	s_delay_alu instid0(VALU_DEP_4) | instskip(NEXT) | instid1(VALU_DEP_4)
	v_fma_f64 v[26:27], v[162:163], v[4:5], -v[26:27]
	v_fmac_f64_e32 v[170:171], v[164:165], v[4:5]
	ds_load_b128 v[4:7], v2 offset:1952
	ds_load_b128 v[162:165], v2 offset:1968
	v_fmac_f64_e32 v[172:173], v[168:169], v[8:9]
	v_fma_f64 v[8:9], v[166:167], v[8:9], -v[10:11]
	s_wait_loadcnt_dscnt 0x401
	v_mul_f64_e32 v[174:175], v[4:5], v[14:15]
	v_mul_f64_e32 v[14:15], v[6:7], v[14:15]
	s_wait_loadcnt_dscnt 0x300
	v_mul_f64_e32 v[166:167], v[162:163], v[18:19]
	v_mul_f64_e32 v[18:19], v[164:165], v[18:19]
	v_add_f64_e32 v[10:11], 0, v[26:27]
	v_add_f64_e32 v[26:27], 0, v[170:171]
	v_fmac_f64_e32 v[174:175], v[6:7], v[12:13]
	v_fma_f64 v[12:13], v[4:5], v[12:13], -v[14:15]
	v_fmac_f64_e32 v[166:167], v[164:165], v[16:17]
	v_fma_f64 v[16:17], v[162:163], v[16:17], -v[18:19]
	v_add_f64_e32 v[14:15], v[10:11], v[8:9]
	v_add_f64_e32 v[26:27], v[26:27], v[172:173]
	ds_load_b128 v[4:7], v2 offset:1984
	ds_load_b128 v[8:11], v2 offset:2000
	s_wait_loadcnt_dscnt 0x201
	v_mul_f64_e32 v[2:3], v[4:5], v[24:25]
	v_mul_f64_e32 v[24:25], v[6:7], v[24:25]
	s_wait_loadcnt_dscnt 0x100
	v_mul_f64_e32 v[18:19], v[8:9], v[156:157]
	v_add_f64_e32 v[12:13], v[14:15], v[12:13]
	v_add_f64_e32 v[14:15], v[26:27], v[174:175]
	v_mul_f64_e32 v[26:27], v[10:11], v[156:157]
	v_fmac_f64_e32 v[2:3], v[6:7], v[22:23]
	v_fma_f64 v[4:5], v[4:5], v[22:23], -v[24:25]
	v_fmac_f64_e32 v[18:19], v[10:11], v[154:155]
	v_add_f64_e32 v[6:7], v[12:13], v[16:17]
	v_add_f64_e32 v[12:13], v[14:15], v[166:167]
	v_fma_f64 v[8:9], v[8:9], v[154:155], -v[26:27]
	s_delay_alu instid0(VALU_DEP_3) | instskip(NEXT) | instid1(VALU_DEP_3)
	v_add_f64_e32 v[4:5], v[6:7], v[4:5]
	v_add_f64_e32 v[2:3], v[12:13], v[2:3]
	s_delay_alu instid0(VALU_DEP_2) | instskip(NEXT) | instid1(VALU_DEP_2)
	v_add_f64_e32 v[4:5], v[4:5], v[8:9]
	v_add_f64_e32 v[6:7], v[2:3], v[18:19]
	s_wait_loadcnt 0x0
	s_delay_alu instid0(VALU_DEP_2) | instskip(NEXT) | instid1(VALU_DEP_2)
	v_add_f64_e64 v[2:3], v[158:159], -v[4:5]
	v_add_f64_e64 v[4:5], v[160:161], -v[6:7]
	scratch_store_b128 off, v[2:5], off offset:896
	s_wait_xcnt 0x0
	v_cmpx_lt_u32_e32 55, v1
	s_cbranch_execz .LBB62_293
; %bb.292:
	scratch_load_b128 v[2:5], off, s13
	v_mov_b32_e32 v6, 0
	s_delay_alu instid0(VALU_DEP_1)
	v_dual_mov_b32 v7, v6 :: v_dual_mov_b32 v8, v6
	v_mov_b32_e32 v9, v6
	scratch_store_b128 off, v[6:9], off offset:880
	s_wait_loadcnt 0x0
	ds_store_b128 v20, v[2:5]
.LBB62_293:
	s_wait_xcnt 0x0
	s_or_b32 exec_lo, exec_lo, s2
	s_wait_storecnt_dscnt 0x0
	s_barrier_signal -1
	s_barrier_wait -1
	s_clause 0x7
	scratch_load_b128 v[4:7], off, off offset:896
	scratch_load_b128 v[8:11], off, off offset:912
	;; [unrolled: 1-line block ×8, first 2 shown]
	v_mov_b32_e32 v2, 0
	ds_load_b128 v[166:169], v2 offset:1904
	ds_load_b128 v[170:173], v2 offset:1920
	s_mov_b32 s2, exec_lo
	s_wait_loadcnt_dscnt 0x701
	v_mul_f64_e32 v[26:27], v[168:169], v[6:7]
	v_mul_f64_e32 v[174:175], v[166:167], v[6:7]
	s_wait_loadcnt_dscnt 0x600
	v_mul_f64_e32 v[176:177], v[170:171], v[10:11]
	v_mul_f64_e32 v[10:11], v[172:173], v[10:11]
	s_delay_alu instid0(VALU_DEP_4) | instskip(NEXT) | instid1(VALU_DEP_4)
	v_fma_f64 v[26:27], v[166:167], v[4:5], -v[26:27]
	v_fmac_f64_e32 v[174:175], v[168:169], v[4:5]
	ds_load_b128 v[4:7], v2 offset:1936
	ds_load_b128 v[166:169], v2 offset:1952
	v_fmac_f64_e32 v[176:177], v[172:173], v[8:9]
	v_fma_f64 v[8:9], v[170:171], v[8:9], -v[10:11]
	s_wait_loadcnt_dscnt 0x501
	v_mul_f64_e32 v[178:179], v[4:5], v[14:15]
	v_mul_f64_e32 v[14:15], v[6:7], v[14:15]
	s_wait_loadcnt_dscnt 0x400
	v_mul_f64_e32 v[170:171], v[166:167], v[18:19]
	v_mul_f64_e32 v[18:19], v[168:169], v[18:19]
	v_add_f64_e32 v[10:11], 0, v[26:27]
	v_add_f64_e32 v[26:27], 0, v[174:175]
	v_fmac_f64_e32 v[178:179], v[6:7], v[12:13]
	v_fma_f64 v[12:13], v[4:5], v[12:13], -v[14:15]
	v_fmac_f64_e32 v[170:171], v[168:169], v[16:17]
	v_fma_f64 v[16:17], v[166:167], v[16:17], -v[18:19]
	v_add_f64_e32 v[14:15], v[10:11], v[8:9]
	v_add_f64_e32 v[26:27], v[26:27], v[176:177]
	ds_load_b128 v[4:7], v2 offset:1968
	ds_load_b128 v[8:11], v2 offset:1984
	s_wait_loadcnt_dscnt 0x301
	v_mul_f64_e32 v[172:173], v[4:5], v[24:25]
	v_mul_f64_e32 v[24:25], v[6:7], v[24:25]
	s_wait_loadcnt_dscnt 0x200
	v_mul_f64_e32 v[18:19], v[8:9], v[156:157]
	v_add_f64_e32 v[12:13], v[14:15], v[12:13]
	v_add_f64_e32 v[14:15], v[26:27], v[178:179]
	v_mul_f64_e32 v[26:27], v[10:11], v[156:157]
	v_fmac_f64_e32 v[172:173], v[6:7], v[22:23]
	v_fma_f64 v[22:23], v[4:5], v[22:23], -v[24:25]
	ds_load_b128 v[4:7], v2 offset:2000
	v_fmac_f64_e32 v[18:19], v[10:11], v[154:155]
	v_add_f64_e32 v[12:13], v[12:13], v[16:17]
	v_add_f64_e32 v[14:15], v[14:15], v[170:171]
	v_fma_f64 v[8:9], v[8:9], v[154:155], -v[26:27]
	s_wait_loadcnt_dscnt 0x100
	v_mul_f64_e32 v[16:17], v[4:5], v[160:161]
	v_mul_f64_e32 v[24:25], v[6:7], v[160:161]
	v_add_f64_e32 v[10:11], v[12:13], v[22:23]
	v_add_f64_e32 v[12:13], v[14:15], v[172:173]
	s_delay_alu instid0(VALU_DEP_4) | instskip(NEXT) | instid1(VALU_DEP_4)
	v_fmac_f64_e32 v[16:17], v[6:7], v[158:159]
	v_fma_f64 v[4:5], v[4:5], v[158:159], -v[24:25]
	s_delay_alu instid0(VALU_DEP_4) | instskip(NEXT) | instid1(VALU_DEP_4)
	v_add_f64_e32 v[6:7], v[10:11], v[8:9]
	v_add_f64_e32 v[8:9], v[12:13], v[18:19]
	s_delay_alu instid0(VALU_DEP_2) | instskip(NEXT) | instid1(VALU_DEP_2)
	v_add_f64_e32 v[4:5], v[6:7], v[4:5]
	v_add_f64_e32 v[6:7], v[8:9], v[16:17]
	s_wait_loadcnt 0x0
	s_delay_alu instid0(VALU_DEP_2) | instskip(NEXT) | instid1(VALU_DEP_2)
	v_add_f64_e64 v[4:5], v[162:163], -v[4:5]
	v_add_f64_e64 v[6:7], v[164:165], -v[6:7]
	scratch_store_b128 off, v[4:7], off offset:880
	s_wait_xcnt 0x0
	v_cmpx_lt_u32_e32 54, v1
	s_cbranch_execz .LBB62_295
; %bb.294:
	scratch_load_b128 v[6:9], off, s20
	v_dual_mov_b32 v3, v2 :: v_dual_mov_b32 v4, v2
	v_mov_b32_e32 v5, v2
	scratch_store_b128 off, v[2:5], off offset:864
	s_wait_loadcnt 0x0
	ds_store_b128 v20, v[6:9]
.LBB62_295:
	s_wait_xcnt 0x0
	s_or_b32 exec_lo, exec_lo, s2
	s_wait_storecnt_dscnt 0x0
	s_barrier_signal -1
	s_barrier_wait -1
	s_clause 0x7
	scratch_load_b128 v[4:7], off, off offset:880
	scratch_load_b128 v[8:11], off, off offset:896
	;; [unrolled: 1-line block ×8, first 2 shown]
	ds_load_b128 v[166:169], v2 offset:1888
	ds_load_b128 v[170:173], v2 offset:1904
	scratch_load_b128 v[174:177], off, off offset:864
	s_mov_b32 s2, exec_lo
	s_wait_loadcnt_dscnt 0x801
	v_mul_f64_e32 v[26:27], v[168:169], v[6:7]
	v_mul_f64_e32 v[178:179], v[166:167], v[6:7]
	s_wait_loadcnt_dscnt 0x700
	v_mul_f64_e32 v[180:181], v[170:171], v[10:11]
	v_mul_f64_e32 v[10:11], v[172:173], v[10:11]
	s_delay_alu instid0(VALU_DEP_4) | instskip(NEXT) | instid1(VALU_DEP_4)
	v_fma_f64 v[26:27], v[166:167], v[4:5], -v[26:27]
	v_fmac_f64_e32 v[178:179], v[168:169], v[4:5]
	ds_load_b128 v[4:7], v2 offset:1920
	ds_load_b128 v[166:169], v2 offset:1936
	v_fmac_f64_e32 v[180:181], v[172:173], v[8:9]
	v_fma_f64 v[8:9], v[170:171], v[8:9], -v[10:11]
	s_wait_loadcnt_dscnt 0x601
	v_mul_f64_e32 v[182:183], v[4:5], v[14:15]
	v_mul_f64_e32 v[14:15], v[6:7], v[14:15]
	s_wait_loadcnt_dscnt 0x500
	v_mul_f64_e32 v[170:171], v[166:167], v[18:19]
	v_mul_f64_e32 v[18:19], v[168:169], v[18:19]
	v_add_f64_e32 v[10:11], 0, v[26:27]
	v_add_f64_e32 v[26:27], 0, v[178:179]
	v_fmac_f64_e32 v[182:183], v[6:7], v[12:13]
	v_fma_f64 v[12:13], v[4:5], v[12:13], -v[14:15]
	v_fmac_f64_e32 v[170:171], v[168:169], v[16:17]
	v_fma_f64 v[16:17], v[166:167], v[16:17], -v[18:19]
	v_add_f64_e32 v[14:15], v[10:11], v[8:9]
	v_add_f64_e32 v[26:27], v[26:27], v[180:181]
	ds_load_b128 v[4:7], v2 offset:1952
	ds_load_b128 v[8:11], v2 offset:1968
	s_wait_loadcnt_dscnt 0x401
	v_mul_f64_e32 v[172:173], v[4:5], v[24:25]
	v_mul_f64_e32 v[24:25], v[6:7], v[24:25]
	s_wait_loadcnt_dscnt 0x300
	v_mul_f64_e32 v[18:19], v[8:9], v[156:157]
	v_add_f64_e32 v[12:13], v[14:15], v[12:13]
	v_add_f64_e32 v[14:15], v[26:27], v[182:183]
	v_mul_f64_e32 v[26:27], v[10:11], v[156:157]
	v_fmac_f64_e32 v[172:173], v[6:7], v[22:23]
	v_fma_f64 v[22:23], v[4:5], v[22:23], -v[24:25]
	v_fmac_f64_e32 v[18:19], v[10:11], v[154:155]
	v_add_f64_e32 v[16:17], v[12:13], v[16:17]
	v_add_f64_e32 v[24:25], v[14:15], v[170:171]
	ds_load_b128 v[4:7], v2 offset:1984
	ds_load_b128 v[12:15], v2 offset:2000
	v_fma_f64 v[8:9], v[8:9], v[154:155], -v[26:27]
	s_wait_loadcnt_dscnt 0x201
	v_mul_f64_e32 v[2:3], v[4:5], v[160:161]
	v_mul_f64_e32 v[156:157], v[6:7], v[160:161]
	v_add_f64_e32 v[10:11], v[16:17], v[22:23]
	v_add_f64_e32 v[16:17], v[24:25], v[172:173]
	s_wait_loadcnt_dscnt 0x100
	v_mul_f64_e32 v[22:23], v[12:13], v[164:165]
	v_mul_f64_e32 v[24:25], v[14:15], v[164:165]
	v_fmac_f64_e32 v[2:3], v[6:7], v[158:159]
	v_fma_f64 v[4:5], v[4:5], v[158:159], -v[156:157]
	v_add_f64_e32 v[6:7], v[10:11], v[8:9]
	v_add_f64_e32 v[8:9], v[16:17], v[18:19]
	v_fmac_f64_e32 v[22:23], v[14:15], v[162:163]
	v_fma_f64 v[10:11], v[12:13], v[162:163], -v[24:25]
	s_delay_alu instid0(VALU_DEP_4) | instskip(NEXT) | instid1(VALU_DEP_4)
	v_add_f64_e32 v[4:5], v[6:7], v[4:5]
	v_add_f64_e32 v[2:3], v[8:9], v[2:3]
	s_delay_alu instid0(VALU_DEP_2) | instskip(NEXT) | instid1(VALU_DEP_2)
	v_add_f64_e32 v[4:5], v[4:5], v[10:11]
	v_add_f64_e32 v[6:7], v[2:3], v[22:23]
	s_wait_loadcnt 0x0
	s_delay_alu instid0(VALU_DEP_2) | instskip(NEXT) | instid1(VALU_DEP_2)
	v_add_f64_e64 v[2:3], v[174:175], -v[4:5]
	v_add_f64_e64 v[4:5], v[176:177], -v[6:7]
	scratch_store_b128 off, v[2:5], off offset:864
	s_wait_xcnt 0x0
	v_cmpx_lt_u32_e32 53, v1
	s_cbranch_execz .LBB62_297
; %bb.296:
	scratch_load_b128 v[2:5], off, s15
	v_mov_b32_e32 v6, 0
	s_delay_alu instid0(VALU_DEP_1)
	v_dual_mov_b32 v7, v6 :: v_dual_mov_b32 v8, v6
	v_mov_b32_e32 v9, v6
	scratch_store_b128 off, v[6:9], off offset:848
	s_wait_loadcnt 0x0
	ds_store_b128 v20, v[2:5]
.LBB62_297:
	s_wait_xcnt 0x0
	s_or_b32 exec_lo, exec_lo, s2
	s_wait_storecnt_dscnt 0x0
	s_barrier_signal -1
	s_barrier_wait -1
	s_clause 0x8
	scratch_load_b128 v[4:7], off, off offset:864
	scratch_load_b128 v[8:11], off, off offset:880
	;; [unrolled: 1-line block ×9, first 2 shown]
	v_mov_b32_e32 v2, 0
	scratch_load_b128 v[174:177], off, off offset:848
	s_mov_b32 s2, exec_lo
	ds_load_b128 v[170:173], v2 offset:1872
	ds_load_b128 v[178:181], v2 offset:1888
	s_wait_loadcnt_dscnt 0x901
	v_mul_f64_e32 v[26:27], v[172:173], v[6:7]
	v_mul_f64_e32 v[182:183], v[170:171], v[6:7]
	s_wait_loadcnt_dscnt 0x800
	v_mul_f64_e32 v[184:185], v[178:179], v[10:11]
	v_mul_f64_e32 v[10:11], v[180:181], v[10:11]
	s_delay_alu instid0(VALU_DEP_4) | instskip(NEXT) | instid1(VALU_DEP_4)
	v_fma_f64 v[26:27], v[170:171], v[4:5], -v[26:27]
	v_fmac_f64_e32 v[182:183], v[172:173], v[4:5]
	ds_load_b128 v[4:7], v2 offset:1904
	ds_load_b128 v[170:173], v2 offset:1920
	v_fmac_f64_e32 v[184:185], v[180:181], v[8:9]
	v_fma_f64 v[8:9], v[178:179], v[8:9], -v[10:11]
	s_wait_loadcnt_dscnt 0x701
	v_mul_f64_e32 v[186:187], v[4:5], v[14:15]
	v_mul_f64_e32 v[14:15], v[6:7], v[14:15]
	s_wait_loadcnt_dscnt 0x600
	v_mul_f64_e32 v[178:179], v[170:171], v[18:19]
	v_mul_f64_e32 v[18:19], v[172:173], v[18:19]
	v_add_f64_e32 v[10:11], 0, v[26:27]
	v_add_f64_e32 v[26:27], 0, v[182:183]
	v_fmac_f64_e32 v[186:187], v[6:7], v[12:13]
	v_fma_f64 v[12:13], v[4:5], v[12:13], -v[14:15]
	v_fmac_f64_e32 v[178:179], v[172:173], v[16:17]
	v_fma_f64 v[16:17], v[170:171], v[16:17], -v[18:19]
	v_add_f64_e32 v[14:15], v[10:11], v[8:9]
	v_add_f64_e32 v[26:27], v[26:27], v[184:185]
	ds_load_b128 v[4:7], v2 offset:1936
	ds_load_b128 v[8:11], v2 offset:1952
	s_wait_loadcnt_dscnt 0x501
	v_mul_f64_e32 v[180:181], v[4:5], v[24:25]
	v_mul_f64_e32 v[24:25], v[6:7], v[24:25]
	s_wait_loadcnt_dscnt 0x400
	v_mul_f64_e32 v[18:19], v[8:9], v[156:157]
	v_add_f64_e32 v[12:13], v[14:15], v[12:13]
	v_add_f64_e32 v[14:15], v[26:27], v[186:187]
	v_mul_f64_e32 v[26:27], v[10:11], v[156:157]
	v_fmac_f64_e32 v[180:181], v[6:7], v[22:23]
	v_fma_f64 v[22:23], v[4:5], v[22:23], -v[24:25]
	v_fmac_f64_e32 v[18:19], v[10:11], v[154:155]
	v_add_f64_e32 v[16:17], v[12:13], v[16:17]
	v_add_f64_e32 v[24:25], v[14:15], v[178:179]
	ds_load_b128 v[4:7], v2 offset:1968
	ds_load_b128 v[12:15], v2 offset:1984
	v_fma_f64 v[8:9], v[8:9], v[154:155], -v[26:27]
	s_wait_loadcnt_dscnt 0x301
	v_mul_f64_e32 v[156:157], v[4:5], v[160:161]
	v_mul_f64_e32 v[160:161], v[6:7], v[160:161]
	v_add_f64_e32 v[10:11], v[16:17], v[22:23]
	v_add_f64_e32 v[16:17], v[24:25], v[180:181]
	s_wait_loadcnt_dscnt 0x200
	v_mul_f64_e32 v[22:23], v[12:13], v[164:165]
	v_mul_f64_e32 v[24:25], v[14:15], v[164:165]
	v_fmac_f64_e32 v[156:157], v[6:7], v[158:159]
	v_fma_f64 v[26:27], v[4:5], v[158:159], -v[160:161]
	ds_load_b128 v[4:7], v2 offset:2000
	v_add_f64_e32 v[8:9], v[10:11], v[8:9]
	v_add_f64_e32 v[10:11], v[16:17], v[18:19]
	v_fmac_f64_e32 v[22:23], v[14:15], v[162:163]
	v_fma_f64 v[12:13], v[12:13], v[162:163], -v[24:25]
	s_wait_loadcnt_dscnt 0x100
	v_mul_f64_e32 v[16:17], v[4:5], v[168:169]
	v_mul_f64_e32 v[18:19], v[6:7], v[168:169]
	v_add_f64_e32 v[8:9], v[8:9], v[26:27]
	v_add_f64_e32 v[10:11], v[10:11], v[156:157]
	s_delay_alu instid0(VALU_DEP_4) | instskip(NEXT) | instid1(VALU_DEP_4)
	v_fmac_f64_e32 v[16:17], v[6:7], v[166:167]
	v_fma_f64 v[4:5], v[4:5], v[166:167], -v[18:19]
	s_delay_alu instid0(VALU_DEP_4) | instskip(NEXT) | instid1(VALU_DEP_4)
	v_add_f64_e32 v[6:7], v[8:9], v[12:13]
	v_add_f64_e32 v[8:9], v[10:11], v[22:23]
	s_delay_alu instid0(VALU_DEP_2) | instskip(NEXT) | instid1(VALU_DEP_2)
	v_add_f64_e32 v[4:5], v[6:7], v[4:5]
	v_add_f64_e32 v[6:7], v[8:9], v[16:17]
	s_wait_loadcnt 0x0
	s_delay_alu instid0(VALU_DEP_2) | instskip(NEXT) | instid1(VALU_DEP_2)
	v_add_f64_e64 v[4:5], v[174:175], -v[4:5]
	v_add_f64_e64 v[6:7], v[176:177], -v[6:7]
	scratch_store_b128 off, v[4:7], off offset:848
	s_wait_xcnt 0x0
	v_cmpx_lt_u32_e32 52, v1
	s_cbranch_execz .LBB62_299
; %bb.298:
	scratch_load_b128 v[6:9], off, s22
	v_dual_mov_b32 v3, v2 :: v_dual_mov_b32 v4, v2
	v_mov_b32_e32 v5, v2
	scratch_store_b128 off, v[2:5], off offset:832
	s_wait_loadcnt 0x0
	ds_store_b128 v20, v[6:9]
.LBB62_299:
	s_wait_xcnt 0x0
	s_or_b32 exec_lo, exec_lo, s2
	s_wait_storecnt_dscnt 0x0
	s_barrier_signal -1
	s_barrier_wait -1
	s_clause 0x9
	scratch_load_b128 v[4:7], off, off offset:848
	scratch_load_b128 v[8:11], off, off offset:864
	;; [unrolled: 1-line block ×10, first 2 shown]
	ds_load_b128 v[174:177], v2 offset:1856
	ds_load_b128 v[178:181], v2 offset:1872
	scratch_load_b128 v[182:185], off, off offset:832
	s_mov_b32 s2, exec_lo
	s_wait_loadcnt_dscnt 0xa01
	v_mul_f64_e32 v[26:27], v[176:177], v[6:7]
	v_mul_f64_e32 v[186:187], v[174:175], v[6:7]
	s_wait_loadcnt_dscnt 0x900
	v_mul_f64_e32 v[188:189], v[178:179], v[10:11]
	v_mul_f64_e32 v[10:11], v[180:181], v[10:11]
	s_delay_alu instid0(VALU_DEP_4) | instskip(NEXT) | instid1(VALU_DEP_4)
	v_fma_f64 v[26:27], v[174:175], v[4:5], -v[26:27]
	v_fmac_f64_e32 v[186:187], v[176:177], v[4:5]
	ds_load_b128 v[4:7], v2 offset:1888
	ds_load_b128 v[174:177], v2 offset:1904
	v_fmac_f64_e32 v[188:189], v[180:181], v[8:9]
	v_fma_f64 v[8:9], v[178:179], v[8:9], -v[10:11]
	s_wait_loadcnt_dscnt 0x801
	v_mul_f64_e32 v[190:191], v[4:5], v[14:15]
	v_mul_f64_e32 v[14:15], v[6:7], v[14:15]
	s_wait_loadcnt_dscnt 0x700
	v_mul_f64_e32 v[178:179], v[174:175], v[18:19]
	v_mul_f64_e32 v[18:19], v[176:177], v[18:19]
	v_add_f64_e32 v[10:11], 0, v[26:27]
	v_add_f64_e32 v[26:27], 0, v[186:187]
	v_fmac_f64_e32 v[190:191], v[6:7], v[12:13]
	v_fma_f64 v[12:13], v[4:5], v[12:13], -v[14:15]
	v_fmac_f64_e32 v[178:179], v[176:177], v[16:17]
	v_fma_f64 v[16:17], v[174:175], v[16:17], -v[18:19]
	v_add_f64_e32 v[14:15], v[10:11], v[8:9]
	v_add_f64_e32 v[26:27], v[26:27], v[188:189]
	ds_load_b128 v[4:7], v2 offset:1920
	ds_load_b128 v[8:11], v2 offset:1936
	s_wait_loadcnt_dscnt 0x601
	v_mul_f64_e32 v[180:181], v[4:5], v[24:25]
	v_mul_f64_e32 v[24:25], v[6:7], v[24:25]
	s_wait_loadcnt_dscnt 0x500
	v_mul_f64_e32 v[18:19], v[8:9], v[156:157]
	v_add_f64_e32 v[12:13], v[14:15], v[12:13]
	v_add_f64_e32 v[14:15], v[26:27], v[190:191]
	v_mul_f64_e32 v[26:27], v[10:11], v[156:157]
	v_fmac_f64_e32 v[180:181], v[6:7], v[22:23]
	v_fma_f64 v[22:23], v[4:5], v[22:23], -v[24:25]
	v_fmac_f64_e32 v[18:19], v[10:11], v[154:155]
	v_add_f64_e32 v[16:17], v[12:13], v[16:17]
	v_add_f64_e32 v[24:25], v[14:15], v[178:179]
	ds_load_b128 v[4:7], v2 offset:1952
	ds_load_b128 v[12:15], v2 offset:1968
	v_fma_f64 v[8:9], v[8:9], v[154:155], -v[26:27]
	s_wait_loadcnt_dscnt 0x401
	v_mul_f64_e32 v[156:157], v[4:5], v[160:161]
	v_mul_f64_e32 v[160:161], v[6:7], v[160:161]
	v_add_f64_e32 v[10:11], v[16:17], v[22:23]
	v_add_f64_e32 v[16:17], v[24:25], v[180:181]
	s_wait_loadcnt_dscnt 0x300
	v_mul_f64_e32 v[22:23], v[12:13], v[164:165]
	v_mul_f64_e32 v[24:25], v[14:15], v[164:165]
	v_fmac_f64_e32 v[156:157], v[6:7], v[158:159]
	v_fma_f64 v[26:27], v[4:5], v[158:159], -v[160:161]
	v_add_f64_e32 v[154:155], v[10:11], v[8:9]
	v_add_f64_e32 v[16:17], v[16:17], v[18:19]
	ds_load_b128 v[4:7], v2 offset:1984
	ds_load_b128 v[8:11], v2 offset:2000
	v_fmac_f64_e32 v[22:23], v[14:15], v[162:163]
	v_fma_f64 v[12:13], v[12:13], v[162:163], -v[24:25]
	s_wait_loadcnt_dscnt 0x201
	v_mul_f64_e32 v[2:3], v[4:5], v[168:169]
	v_mul_f64_e32 v[18:19], v[6:7], v[168:169]
	s_wait_loadcnt_dscnt 0x100
	v_mul_f64_e32 v[24:25], v[8:9], v[172:173]
	v_add_f64_e32 v[14:15], v[154:155], v[26:27]
	v_add_f64_e32 v[16:17], v[16:17], v[156:157]
	v_mul_f64_e32 v[26:27], v[10:11], v[172:173]
	v_fmac_f64_e32 v[2:3], v[6:7], v[166:167]
	v_fma_f64 v[4:5], v[4:5], v[166:167], -v[18:19]
	v_fmac_f64_e32 v[24:25], v[10:11], v[170:171]
	v_add_f64_e32 v[6:7], v[14:15], v[12:13]
	v_add_f64_e32 v[12:13], v[16:17], v[22:23]
	v_fma_f64 v[8:9], v[8:9], v[170:171], -v[26:27]
	s_delay_alu instid0(VALU_DEP_3) | instskip(NEXT) | instid1(VALU_DEP_3)
	v_add_f64_e32 v[4:5], v[6:7], v[4:5]
	v_add_f64_e32 v[2:3], v[12:13], v[2:3]
	s_delay_alu instid0(VALU_DEP_2) | instskip(NEXT) | instid1(VALU_DEP_2)
	v_add_f64_e32 v[4:5], v[4:5], v[8:9]
	v_add_f64_e32 v[6:7], v[2:3], v[24:25]
	s_wait_loadcnt 0x0
	s_delay_alu instid0(VALU_DEP_2) | instskip(NEXT) | instid1(VALU_DEP_2)
	v_add_f64_e64 v[2:3], v[182:183], -v[4:5]
	v_add_f64_e64 v[4:5], v[184:185], -v[6:7]
	scratch_store_b128 off, v[2:5], off offset:832
	s_wait_xcnt 0x0
	v_cmpx_lt_u32_e32 51, v1
	s_cbranch_execz .LBB62_301
; %bb.300:
	scratch_load_b128 v[2:5], off, s21
	v_mov_b32_e32 v6, 0
	s_delay_alu instid0(VALU_DEP_1)
	v_dual_mov_b32 v7, v6 :: v_dual_mov_b32 v8, v6
	v_mov_b32_e32 v9, v6
	scratch_store_b128 off, v[6:9], off offset:816
	s_wait_loadcnt 0x0
	ds_store_b128 v20, v[2:5]
.LBB62_301:
	s_wait_xcnt 0x0
	s_or_b32 exec_lo, exec_lo, s2
	s_wait_storecnt_dscnt 0x0
	s_barrier_signal -1
	s_barrier_wait -1
	s_clause 0x9
	scratch_load_b128 v[4:7], off, off offset:832
	scratch_load_b128 v[8:11], off, off offset:848
	;; [unrolled: 1-line block ×10, first 2 shown]
	v_mov_b32_e32 v2, 0
	s_mov_b32 s2, exec_lo
	ds_load_b128 v[174:177], v2 offset:1840
	s_clause 0x1
	scratch_load_b128 v[178:181], off, off offset:992
	scratch_load_b128 v[182:185], off, off offset:816
	s_wait_loadcnt_dscnt 0xb00
	v_mul_f64_e32 v[26:27], v[176:177], v[6:7]
	v_mul_f64_e32 v[190:191], v[174:175], v[6:7]
	ds_load_b128 v[186:189], v2 offset:1856
	s_wait_loadcnt_dscnt 0xa00
	v_mul_f64_e32 v[192:193], v[186:187], v[10:11]
	v_mul_f64_e32 v[10:11], v[188:189], v[10:11]
	v_fma_f64 v[26:27], v[174:175], v[4:5], -v[26:27]
	v_fmac_f64_e32 v[190:191], v[176:177], v[4:5]
	ds_load_b128 v[4:7], v2 offset:1872
	ds_load_b128 v[174:177], v2 offset:1888
	s_wait_loadcnt_dscnt 0x901
	v_mul_f64_e32 v[194:195], v[4:5], v[14:15]
	v_mul_f64_e32 v[14:15], v[6:7], v[14:15]
	v_fmac_f64_e32 v[192:193], v[188:189], v[8:9]
	v_fma_f64 v[8:9], v[186:187], v[8:9], -v[10:11]
	s_wait_loadcnt_dscnt 0x800
	v_mul_f64_e32 v[186:187], v[174:175], v[18:19]
	v_mul_f64_e32 v[18:19], v[176:177], v[18:19]
	v_add_f64_e32 v[10:11], 0, v[26:27]
	v_add_f64_e32 v[26:27], 0, v[190:191]
	v_fmac_f64_e32 v[194:195], v[6:7], v[12:13]
	v_fma_f64 v[12:13], v[4:5], v[12:13], -v[14:15]
	v_fmac_f64_e32 v[186:187], v[176:177], v[16:17]
	v_fma_f64 v[16:17], v[174:175], v[16:17], -v[18:19]
	v_add_f64_e32 v[14:15], v[10:11], v[8:9]
	v_add_f64_e32 v[26:27], v[26:27], v[192:193]
	ds_load_b128 v[4:7], v2 offset:1904
	ds_load_b128 v[8:11], v2 offset:1920
	s_wait_loadcnt_dscnt 0x701
	v_mul_f64_e32 v[188:189], v[4:5], v[24:25]
	v_mul_f64_e32 v[24:25], v[6:7], v[24:25]
	s_wait_loadcnt_dscnt 0x600
	v_mul_f64_e32 v[18:19], v[8:9], v[156:157]
	v_add_f64_e32 v[12:13], v[14:15], v[12:13]
	v_add_f64_e32 v[14:15], v[26:27], v[194:195]
	v_mul_f64_e32 v[26:27], v[10:11], v[156:157]
	v_fmac_f64_e32 v[188:189], v[6:7], v[22:23]
	v_fma_f64 v[22:23], v[4:5], v[22:23], -v[24:25]
	v_fmac_f64_e32 v[18:19], v[10:11], v[154:155]
	v_add_f64_e32 v[16:17], v[12:13], v[16:17]
	v_add_f64_e32 v[24:25], v[14:15], v[186:187]
	ds_load_b128 v[4:7], v2 offset:1936
	ds_load_b128 v[12:15], v2 offset:1952
	v_fma_f64 v[8:9], v[8:9], v[154:155], -v[26:27]
	s_wait_loadcnt_dscnt 0x501
	v_mul_f64_e32 v[156:157], v[4:5], v[160:161]
	v_mul_f64_e32 v[160:161], v[6:7], v[160:161]
	v_add_f64_e32 v[10:11], v[16:17], v[22:23]
	v_add_f64_e32 v[16:17], v[24:25], v[188:189]
	s_wait_loadcnt_dscnt 0x400
	v_mul_f64_e32 v[22:23], v[12:13], v[164:165]
	v_mul_f64_e32 v[24:25], v[14:15], v[164:165]
	v_fmac_f64_e32 v[156:157], v[6:7], v[158:159]
	v_fma_f64 v[26:27], v[4:5], v[158:159], -v[160:161]
	v_add_f64_e32 v[154:155], v[10:11], v[8:9]
	v_add_f64_e32 v[16:17], v[16:17], v[18:19]
	ds_load_b128 v[4:7], v2 offset:1968
	ds_load_b128 v[8:11], v2 offset:1984
	v_fmac_f64_e32 v[22:23], v[14:15], v[162:163]
	v_fma_f64 v[12:13], v[12:13], v[162:163], -v[24:25]
	s_wait_loadcnt_dscnt 0x301
	v_mul_f64_e32 v[18:19], v[4:5], v[168:169]
	v_mul_f64_e32 v[158:159], v[6:7], v[168:169]
	s_wait_loadcnt_dscnt 0x200
	v_mul_f64_e32 v[24:25], v[8:9], v[172:173]
	v_add_f64_e32 v[14:15], v[154:155], v[26:27]
	v_add_f64_e32 v[16:17], v[16:17], v[156:157]
	v_mul_f64_e32 v[26:27], v[10:11], v[172:173]
	v_fmac_f64_e32 v[18:19], v[6:7], v[166:167]
	v_fma_f64 v[154:155], v[4:5], v[166:167], -v[158:159]
	ds_load_b128 v[4:7], v2 offset:2000
	v_fmac_f64_e32 v[24:25], v[10:11], v[170:171]
	v_add_f64_e32 v[12:13], v[14:15], v[12:13]
	v_add_f64_e32 v[14:15], v[16:17], v[22:23]
	v_fma_f64 v[8:9], v[8:9], v[170:171], -v[26:27]
	s_wait_loadcnt_dscnt 0x100
	v_mul_f64_e32 v[16:17], v[4:5], v[180:181]
	v_mul_f64_e32 v[22:23], v[6:7], v[180:181]
	v_add_f64_e32 v[10:11], v[12:13], v[154:155]
	v_add_f64_e32 v[12:13], v[14:15], v[18:19]
	s_delay_alu instid0(VALU_DEP_4) | instskip(NEXT) | instid1(VALU_DEP_4)
	v_fmac_f64_e32 v[16:17], v[6:7], v[178:179]
	v_fma_f64 v[4:5], v[4:5], v[178:179], -v[22:23]
	s_delay_alu instid0(VALU_DEP_4) | instskip(NEXT) | instid1(VALU_DEP_4)
	v_add_f64_e32 v[6:7], v[10:11], v[8:9]
	v_add_f64_e32 v[8:9], v[12:13], v[24:25]
	s_delay_alu instid0(VALU_DEP_2) | instskip(NEXT) | instid1(VALU_DEP_2)
	v_add_f64_e32 v[4:5], v[6:7], v[4:5]
	v_add_f64_e32 v[6:7], v[8:9], v[16:17]
	s_wait_loadcnt 0x0
	s_delay_alu instid0(VALU_DEP_2) | instskip(NEXT) | instid1(VALU_DEP_2)
	v_add_f64_e64 v[4:5], v[182:183], -v[4:5]
	v_add_f64_e64 v[6:7], v[184:185], -v[6:7]
	scratch_store_b128 off, v[4:7], off offset:816
	s_wait_xcnt 0x0
	v_cmpx_lt_u32_e32 50, v1
	s_cbranch_execz .LBB62_303
; %bb.302:
	scratch_load_b128 v[6:9], off, s25
	v_dual_mov_b32 v3, v2 :: v_dual_mov_b32 v4, v2
	v_mov_b32_e32 v5, v2
	scratch_store_b128 off, v[2:5], off offset:800
	s_wait_loadcnt 0x0
	ds_store_b128 v20, v[6:9]
.LBB62_303:
	s_wait_xcnt 0x0
	s_or_b32 exec_lo, exec_lo, s2
	s_wait_storecnt_dscnt 0x0
	s_barrier_signal -1
	s_barrier_wait -1
	s_clause 0x9
	scratch_load_b128 v[4:7], off, off offset:816
	scratch_load_b128 v[8:11], off, off offset:832
	;; [unrolled: 1-line block ×10, first 2 shown]
	ds_load_b128 v[174:177], v2 offset:1824
	ds_load_b128 v[182:185], v2 offset:1840
	s_clause 0x2
	scratch_load_b128 v[178:181], off, off offset:976
	scratch_load_b128 v[186:189], off, off offset:800
	;; [unrolled: 1-line block ×3, first 2 shown]
	s_mov_b32 s2, exec_lo
	s_wait_loadcnt_dscnt 0xc01
	v_mul_f64_e32 v[26:27], v[176:177], v[6:7]
	v_mul_f64_e32 v[194:195], v[174:175], v[6:7]
	s_wait_loadcnt_dscnt 0xb00
	v_mul_f64_e32 v[196:197], v[182:183], v[10:11]
	v_mul_f64_e32 v[10:11], v[184:185], v[10:11]
	s_delay_alu instid0(VALU_DEP_4) | instskip(NEXT) | instid1(VALU_DEP_4)
	v_fma_f64 v[26:27], v[174:175], v[4:5], -v[26:27]
	v_fmac_f64_e32 v[194:195], v[176:177], v[4:5]
	ds_load_b128 v[4:7], v2 offset:1856
	ds_load_b128 v[174:177], v2 offset:1872
	v_fmac_f64_e32 v[196:197], v[184:185], v[8:9]
	v_fma_f64 v[8:9], v[182:183], v[8:9], -v[10:11]
	s_wait_loadcnt_dscnt 0xa01
	v_mul_f64_e32 v[198:199], v[4:5], v[14:15]
	v_mul_f64_e32 v[14:15], v[6:7], v[14:15]
	s_wait_loadcnt_dscnt 0x900
	v_mul_f64_e32 v[182:183], v[174:175], v[18:19]
	v_mul_f64_e32 v[18:19], v[176:177], v[18:19]
	v_add_f64_e32 v[10:11], 0, v[26:27]
	v_add_f64_e32 v[26:27], 0, v[194:195]
	v_fmac_f64_e32 v[198:199], v[6:7], v[12:13]
	v_fma_f64 v[12:13], v[4:5], v[12:13], -v[14:15]
	v_fmac_f64_e32 v[182:183], v[176:177], v[16:17]
	v_fma_f64 v[16:17], v[174:175], v[16:17], -v[18:19]
	v_add_f64_e32 v[14:15], v[10:11], v[8:9]
	v_add_f64_e32 v[26:27], v[26:27], v[196:197]
	ds_load_b128 v[4:7], v2 offset:1888
	ds_load_b128 v[8:11], v2 offset:1904
	s_wait_loadcnt_dscnt 0x801
	v_mul_f64_e32 v[184:185], v[4:5], v[24:25]
	v_mul_f64_e32 v[24:25], v[6:7], v[24:25]
	s_wait_loadcnt_dscnt 0x700
	v_mul_f64_e32 v[18:19], v[8:9], v[156:157]
	v_add_f64_e32 v[12:13], v[14:15], v[12:13]
	v_add_f64_e32 v[14:15], v[26:27], v[198:199]
	v_mul_f64_e32 v[26:27], v[10:11], v[156:157]
	v_fmac_f64_e32 v[184:185], v[6:7], v[22:23]
	v_fma_f64 v[22:23], v[4:5], v[22:23], -v[24:25]
	v_fmac_f64_e32 v[18:19], v[10:11], v[154:155]
	v_add_f64_e32 v[16:17], v[12:13], v[16:17]
	v_add_f64_e32 v[24:25], v[14:15], v[182:183]
	ds_load_b128 v[4:7], v2 offset:1920
	ds_load_b128 v[12:15], v2 offset:1936
	v_fma_f64 v[8:9], v[8:9], v[154:155], -v[26:27]
	s_wait_loadcnt_dscnt 0x601
	v_mul_f64_e32 v[156:157], v[4:5], v[160:161]
	v_mul_f64_e32 v[160:161], v[6:7], v[160:161]
	v_add_f64_e32 v[10:11], v[16:17], v[22:23]
	v_add_f64_e32 v[16:17], v[24:25], v[184:185]
	s_wait_loadcnt_dscnt 0x500
	v_mul_f64_e32 v[22:23], v[12:13], v[164:165]
	v_mul_f64_e32 v[24:25], v[14:15], v[164:165]
	v_fmac_f64_e32 v[156:157], v[6:7], v[158:159]
	v_fma_f64 v[26:27], v[4:5], v[158:159], -v[160:161]
	v_add_f64_e32 v[154:155], v[10:11], v[8:9]
	v_add_f64_e32 v[16:17], v[16:17], v[18:19]
	ds_load_b128 v[4:7], v2 offset:1952
	ds_load_b128 v[8:11], v2 offset:1968
	v_fmac_f64_e32 v[22:23], v[14:15], v[162:163]
	v_fma_f64 v[12:13], v[12:13], v[162:163], -v[24:25]
	s_wait_loadcnt_dscnt 0x401
	v_mul_f64_e32 v[18:19], v[4:5], v[168:169]
	v_mul_f64_e32 v[158:159], v[6:7], v[168:169]
	s_wait_loadcnt_dscnt 0x300
	v_mul_f64_e32 v[24:25], v[8:9], v[172:173]
	v_add_f64_e32 v[14:15], v[154:155], v[26:27]
	v_add_f64_e32 v[16:17], v[16:17], v[156:157]
	v_mul_f64_e32 v[26:27], v[10:11], v[172:173]
	v_fmac_f64_e32 v[18:19], v[6:7], v[166:167]
	v_fma_f64 v[154:155], v[4:5], v[166:167], -v[158:159]
	v_fmac_f64_e32 v[24:25], v[10:11], v[170:171]
	v_add_f64_e32 v[156:157], v[14:15], v[12:13]
	v_add_f64_e32 v[16:17], v[16:17], v[22:23]
	ds_load_b128 v[4:7], v2 offset:1984
	ds_load_b128 v[12:15], v2 offset:2000
	v_fma_f64 v[8:9], v[8:9], v[170:171], -v[26:27]
	s_wait_loadcnt_dscnt 0x201
	v_mul_f64_e32 v[2:3], v[4:5], v[180:181]
	v_mul_f64_e32 v[22:23], v[6:7], v[180:181]
	s_wait_loadcnt_dscnt 0x0
	v_mul_f64_e32 v[26:27], v[14:15], v[192:193]
	v_add_f64_e32 v[10:11], v[156:157], v[154:155]
	v_add_f64_e32 v[16:17], v[16:17], v[18:19]
	v_mul_f64_e32 v[18:19], v[12:13], v[192:193]
	v_fmac_f64_e32 v[2:3], v[6:7], v[178:179]
	v_fma_f64 v[4:5], v[4:5], v[178:179], -v[22:23]
	v_add_f64_e32 v[6:7], v[10:11], v[8:9]
	v_add_f64_e32 v[8:9], v[16:17], v[24:25]
	v_fmac_f64_e32 v[18:19], v[14:15], v[190:191]
	v_fma_f64 v[10:11], v[12:13], v[190:191], -v[26:27]
	s_delay_alu instid0(VALU_DEP_4) | instskip(NEXT) | instid1(VALU_DEP_4)
	v_add_f64_e32 v[4:5], v[6:7], v[4:5]
	v_add_f64_e32 v[2:3], v[8:9], v[2:3]
	s_delay_alu instid0(VALU_DEP_2) | instskip(NEXT) | instid1(VALU_DEP_2)
	v_add_f64_e32 v[4:5], v[4:5], v[10:11]
	v_add_f64_e32 v[6:7], v[2:3], v[18:19]
	s_delay_alu instid0(VALU_DEP_2) | instskip(NEXT) | instid1(VALU_DEP_2)
	v_add_f64_e64 v[2:3], v[186:187], -v[4:5]
	v_add_f64_e64 v[4:5], v[188:189], -v[6:7]
	scratch_store_b128 off, v[2:5], off offset:800
	s_wait_xcnt 0x0
	v_cmpx_lt_u32_e32 49, v1
	s_cbranch_execz .LBB62_305
; %bb.304:
	scratch_load_b128 v[2:5], off, s23
	v_mov_b32_e32 v6, 0
	s_delay_alu instid0(VALU_DEP_1)
	v_dual_mov_b32 v7, v6 :: v_dual_mov_b32 v8, v6
	v_mov_b32_e32 v9, v6
	scratch_store_b128 off, v[6:9], off offset:784
	s_wait_loadcnt 0x0
	ds_store_b128 v20, v[2:5]
.LBB62_305:
	s_wait_xcnt 0x0
	s_or_b32 exec_lo, exec_lo, s2
	s_wait_storecnt_dscnt 0x0
	s_barrier_signal -1
	s_barrier_wait -1
	s_clause 0x9
	scratch_load_b128 v[4:7], off, off offset:800
	scratch_load_b128 v[8:11], off, off offset:816
	;; [unrolled: 1-line block ×10, first 2 shown]
	v_mov_b32_e32 v2, 0
	s_mov_b32 s2, exec_lo
	ds_load_b128 v[174:177], v2 offset:1808
	s_clause 0x2
	scratch_load_b128 v[178:181], off, off offset:960
	scratch_load_b128 v[182:185], off, off offset:784
	;; [unrolled: 1-line block ×3, first 2 shown]
	s_wait_loadcnt_dscnt 0xc00
	v_mul_f64_e32 v[26:27], v[176:177], v[6:7]
	v_mul_f64_e32 v[198:199], v[174:175], v[6:7]
	ds_load_b128 v[186:189], v2 offset:1824
	ds_load_b128 v[194:197], v2 offset:1856
	v_fma_f64 v[26:27], v[174:175], v[4:5], -v[26:27]
	v_fmac_f64_e32 v[198:199], v[176:177], v[4:5]
	ds_load_b128 v[4:7], v2 offset:1840
	s_wait_loadcnt_dscnt 0xb02
	v_mul_f64_e32 v[200:201], v[186:187], v[10:11]
	v_mul_f64_e32 v[10:11], v[188:189], v[10:11]
	scratch_load_b128 v[174:177], off, off offset:992
	s_wait_loadcnt_dscnt 0xb00
	v_mul_f64_e32 v[202:203], v[4:5], v[14:15]
	v_mul_f64_e32 v[14:15], v[6:7], v[14:15]
	v_fmac_f64_e32 v[200:201], v[188:189], v[8:9]
	v_fma_f64 v[8:9], v[186:187], v[8:9], -v[10:11]
	v_add_f64_e32 v[10:11], 0, v[26:27]
	v_add_f64_e32 v[26:27], 0, v[198:199]
	s_wait_loadcnt 0xa
	v_mul_f64_e32 v[186:187], v[194:195], v[18:19]
	v_mul_f64_e32 v[18:19], v[196:197], v[18:19]
	v_fmac_f64_e32 v[202:203], v[6:7], v[12:13]
	v_fma_f64 v[12:13], v[4:5], v[12:13], -v[14:15]
	v_add_f64_e32 v[14:15], v[10:11], v[8:9]
	v_add_f64_e32 v[26:27], v[26:27], v[200:201]
	ds_load_b128 v[4:7], v2 offset:1872
	ds_load_b128 v[8:11], v2 offset:1888
	v_fmac_f64_e32 v[186:187], v[196:197], v[16:17]
	v_fma_f64 v[16:17], v[194:195], v[16:17], -v[18:19]
	s_wait_loadcnt_dscnt 0x901
	v_mul_f64_e32 v[188:189], v[4:5], v[24:25]
	v_mul_f64_e32 v[24:25], v[6:7], v[24:25]
	s_wait_loadcnt_dscnt 0x800
	v_mul_f64_e32 v[18:19], v[8:9], v[156:157]
	v_add_f64_e32 v[12:13], v[14:15], v[12:13]
	v_add_f64_e32 v[14:15], v[26:27], v[202:203]
	v_mul_f64_e32 v[26:27], v[10:11], v[156:157]
	v_fmac_f64_e32 v[188:189], v[6:7], v[22:23]
	v_fma_f64 v[22:23], v[4:5], v[22:23], -v[24:25]
	v_fmac_f64_e32 v[18:19], v[10:11], v[154:155]
	v_add_f64_e32 v[16:17], v[12:13], v[16:17]
	v_add_f64_e32 v[24:25], v[14:15], v[186:187]
	ds_load_b128 v[4:7], v2 offset:1904
	ds_load_b128 v[12:15], v2 offset:1920
	v_fma_f64 v[8:9], v[8:9], v[154:155], -v[26:27]
	s_wait_loadcnt_dscnt 0x701
	v_mul_f64_e32 v[156:157], v[4:5], v[160:161]
	v_mul_f64_e32 v[160:161], v[6:7], v[160:161]
	v_add_f64_e32 v[10:11], v[16:17], v[22:23]
	v_add_f64_e32 v[16:17], v[24:25], v[188:189]
	s_wait_loadcnt_dscnt 0x600
	v_mul_f64_e32 v[22:23], v[12:13], v[164:165]
	v_mul_f64_e32 v[24:25], v[14:15], v[164:165]
	v_fmac_f64_e32 v[156:157], v[6:7], v[158:159]
	v_fma_f64 v[26:27], v[4:5], v[158:159], -v[160:161]
	v_add_f64_e32 v[154:155], v[10:11], v[8:9]
	v_add_f64_e32 v[16:17], v[16:17], v[18:19]
	ds_load_b128 v[4:7], v2 offset:1936
	ds_load_b128 v[8:11], v2 offset:1952
	v_fmac_f64_e32 v[22:23], v[14:15], v[162:163]
	v_fma_f64 v[12:13], v[12:13], v[162:163], -v[24:25]
	s_wait_loadcnt_dscnt 0x501
	v_mul_f64_e32 v[18:19], v[4:5], v[168:169]
	v_mul_f64_e32 v[158:159], v[6:7], v[168:169]
	s_wait_loadcnt_dscnt 0x400
	v_mul_f64_e32 v[24:25], v[8:9], v[172:173]
	v_add_f64_e32 v[14:15], v[154:155], v[26:27]
	v_add_f64_e32 v[16:17], v[16:17], v[156:157]
	v_mul_f64_e32 v[26:27], v[10:11], v[172:173]
	v_fmac_f64_e32 v[18:19], v[6:7], v[166:167]
	v_fma_f64 v[154:155], v[4:5], v[166:167], -v[158:159]
	v_fmac_f64_e32 v[24:25], v[10:11], v[170:171]
	v_add_f64_e32 v[156:157], v[14:15], v[12:13]
	v_add_f64_e32 v[16:17], v[16:17], v[22:23]
	ds_load_b128 v[4:7], v2 offset:1968
	ds_load_b128 v[12:15], v2 offset:1984
	v_fma_f64 v[8:9], v[8:9], v[170:171], -v[26:27]
	s_wait_loadcnt_dscnt 0x301
	v_mul_f64_e32 v[22:23], v[4:5], v[180:181]
	v_mul_f64_e32 v[158:159], v[6:7], v[180:181]
	s_wait_loadcnt_dscnt 0x100
	v_mul_f64_e32 v[26:27], v[14:15], v[192:193]
	v_add_f64_e32 v[10:11], v[156:157], v[154:155]
	v_add_f64_e32 v[16:17], v[16:17], v[18:19]
	v_mul_f64_e32 v[18:19], v[12:13], v[192:193]
	v_fmac_f64_e32 v[22:23], v[6:7], v[178:179]
	v_fma_f64 v[154:155], v[4:5], v[178:179], -v[158:159]
	ds_load_b128 v[4:7], v2 offset:2000
	v_fma_f64 v[12:13], v[12:13], v[190:191], -v[26:27]
	v_add_f64_e32 v[8:9], v[10:11], v[8:9]
	v_add_f64_e32 v[10:11], v[16:17], v[24:25]
	v_fmac_f64_e32 v[18:19], v[14:15], v[190:191]
	s_wait_loadcnt_dscnt 0x0
	v_mul_f64_e32 v[16:17], v[4:5], v[176:177]
	v_mul_f64_e32 v[24:25], v[6:7], v[176:177]
	v_add_f64_e32 v[8:9], v[8:9], v[154:155]
	v_add_f64_e32 v[10:11], v[10:11], v[22:23]
	s_delay_alu instid0(VALU_DEP_4) | instskip(NEXT) | instid1(VALU_DEP_4)
	v_fmac_f64_e32 v[16:17], v[6:7], v[174:175]
	v_fma_f64 v[4:5], v[4:5], v[174:175], -v[24:25]
	s_delay_alu instid0(VALU_DEP_4) | instskip(NEXT) | instid1(VALU_DEP_4)
	v_add_f64_e32 v[6:7], v[8:9], v[12:13]
	v_add_f64_e32 v[8:9], v[10:11], v[18:19]
	s_delay_alu instid0(VALU_DEP_2) | instskip(NEXT) | instid1(VALU_DEP_2)
	v_add_f64_e32 v[4:5], v[6:7], v[4:5]
	v_add_f64_e32 v[6:7], v[8:9], v[16:17]
	s_delay_alu instid0(VALU_DEP_2) | instskip(NEXT) | instid1(VALU_DEP_2)
	v_add_f64_e64 v[4:5], v[182:183], -v[4:5]
	v_add_f64_e64 v[6:7], v[184:185], -v[6:7]
	scratch_store_b128 off, v[4:7], off offset:784
	s_wait_xcnt 0x0
	v_cmpx_lt_u32_e32 48, v1
	s_cbranch_execz .LBB62_307
; %bb.306:
	scratch_load_b128 v[6:9], off, s28
	v_dual_mov_b32 v3, v2 :: v_dual_mov_b32 v4, v2
	v_mov_b32_e32 v5, v2
	scratch_store_b128 off, v[2:5], off offset:768
	s_wait_loadcnt 0x0
	ds_store_b128 v20, v[6:9]
.LBB62_307:
	s_wait_xcnt 0x0
	s_or_b32 exec_lo, exec_lo, s2
	s_wait_storecnt_dscnt 0x0
	s_barrier_signal -1
	s_barrier_wait -1
	s_clause 0x9
	scratch_load_b128 v[4:7], off, off offset:784
	scratch_load_b128 v[8:11], off, off offset:800
	;; [unrolled: 1-line block ×10, first 2 shown]
	ds_load_b128 v[174:177], v2 offset:1792
	ds_load_b128 v[182:185], v2 offset:1808
	s_clause 0x2
	scratch_load_b128 v[178:181], off, off offset:944
	scratch_load_b128 v[186:189], off, off offset:768
	;; [unrolled: 1-line block ×3, first 2 shown]
	s_mov_b32 s2, exec_lo
	s_wait_loadcnt_dscnt 0xc01
	v_mul_f64_e32 v[26:27], v[176:177], v[6:7]
	v_mul_f64_e32 v[198:199], v[174:175], v[6:7]
	s_wait_loadcnt_dscnt 0xb00
	v_mul_f64_e32 v[200:201], v[182:183], v[10:11]
	v_mul_f64_e32 v[10:11], v[184:185], v[10:11]
	s_delay_alu instid0(VALU_DEP_4) | instskip(NEXT) | instid1(VALU_DEP_4)
	v_fma_f64 v[26:27], v[174:175], v[4:5], -v[26:27]
	v_fmac_f64_e32 v[198:199], v[176:177], v[4:5]
	ds_load_b128 v[4:7], v2 offset:1824
	ds_load_b128 v[174:177], v2 offset:1840
	scratch_load_b128 v[194:197], off, off offset:976
	v_fmac_f64_e32 v[200:201], v[184:185], v[8:9]
	v_fma_f64 v[182:183], v[182:183], v[8:9], -v[10:11]
	scratch_load_b128 v[8:11], off, off offset:992
	s_wait_loadcnt_dscnt 0xc01
	v_mul_f64_e32 v[202:203], v[4:5], v[14:15]
	v_mul_f64_e32 v[14:15], v[6:7], v[14:15]
	v_add_f64_e32 v[26:27], 0, v[26:27]
	v_add_f64_e32 v[184:185], 0, v[198:199]
	s_wait_loadcnt_dscnt 0xb00
	v_mul_f64_e32 v[198:199], v[174:175], v[18:19]
	v_mul_f64_e32 v[18:19], v[176:177], v[18:19]
	v_fmac_f64_e32 v[202:203], v[6:7], v[12:13]
	v_fma_f64 v[204:205], v[4:5], v[12:13], -v[14:15]
	ds_load_b128 v[4:7], v2 offset:1856
	ds_load_b128 v[12:15], v2 offset:1872
	v_add_f64_e32 v[26:27], v[26:27], v[182:183]
	v_add_f64_e32 v[182:183], v[184:185], v[200:201]
	v_fmac_f64_e32 v[198:199], v[176:177], v[16:17]
	v_fma_f64 v[16:17], v[174:175], v[16:17], -v[18:19]
	s_wait_loadcnt_dscnt 0xa01
	v_mul_f64_e32 v[184:185], v[4:5], v[24:25]
	v_mul_f64_e32 v[24:25], v[6:7], v[24:25]
	s_wait_loadcnt_dscnt 0x900
	v_mul_f64_e32 v[174:175], v[12:13], v[156:157]
	v_mul_f64_e32 v[156:157], v[14:15], v[156:157]
	v_add_f64_e32 v[18:19], v[26:27], v[204:205]
	v_add_f64_e32 v[26:27], v[182:183], v[202:203]
	v_fmac_f64_e32 v[184:185], v[6:7], v[22:23]
	v_fma_f64 v[22:23], v[4:5], v[22:23], -v[24:25]
	v_fmac_f64_e32 v[174:175], v[14:15], v[154:155]
	v_fma_f64 v[12:13], v[12:13], v[154:155], -v[156:157]
	v_add_f64_e32 v[24:25], v[18:19], v[16:17]
	v_add_f64_e32 v[26:27], v[26:27], v[198:199]
	ds_load_b128 v[4:7], v2 offset:1888
	ds_load_b128 v[16:19], v2 offset:1904
	s_wait_loadcnt_dscnt 0x801
	v_mul_f64_e32 v[176:177], v[4:5], v[160:161]
	v_mul_f64_e32 v[160:161], v[6:7], v[160:161]
	v_add_f64_e32 v[14:15], v[24:25], v[22:23]
	v_add_f64_e32 v[22:23], v[26:27], v[184:185]
	s_wait_loadcnt_dscnt 0x700
	v_mul_f64_e32 v[24:25], v[16:17], v[164:165]
	v_mul_f64_e32 v[26:27], v[18:19], v[164:165]
	v_fmac_f64_e32 v[176:177], v[6:7], v[158:159]
	v_fma_f64 v[154:155], v[4:5], v[158:159], -v[160:161]
	v_add_f64_e32 v[156:157], v[14:15], v[12:13]
	v_add_f64_e32 v[22:23], v[22:23], v[174:175]
	ds_load_b128 v[4:7], v2 offset:1920
	ds_load_b128 v[12:15], v2 offset:1936
	v_fmac_f64_e32 v[24:25], v[18:19], v[162:163]
	v_fma_f64 v[16:17], v[16:17], v[162:163], -v[26:27]
	s_wait_loadcnt_dscnt 0x601
	v_mul_f64_e32 v[158:159], v[4:5], v[168:169]
	v_mul_f64_e32 v[160:161], v[6:7], v[168:169]
	s_wait_loadcnt_dscnt 0x500
	v_mul_f64_e32 v[26:27], v[12:13], v[172:173]
	v_add_f64_e32 v[18:19], v[156:157], v[154:155]
	v_add_f64_e32 v[22:23], v[22:23], v[176:177]
	v_mul_f64_e32 v[154:155], v[14:15], v[172:173]
	v_fmac_f64_e32 v[158:159], v[6:7], v[166:167]
	v_fma_f64 v[156:157], v[4:5], v[166:167], -v[160:161]
	v_fmac_f64_e32 v[26:27], v[14:15], v[170:171]
	v_add_f64_e32 v[160:161], v[18:19], v[16:17]
	v_add_f64_e32 v[22:23], v[22:23], v[24:25]
	ds_load_b128 v[4:7], v2 offset:1952
	ds_load_b128 v[16:19], v2 offset:1968
	v_fma_f64 v[12:13], v[12:13], v[170:171], -v[154:155]
	s_wait_loadcnt_dscnt 0x401
	v_mul_f64_e32 v[24:25], v[4:5], v[180:181]
	v_mul_f64_e32 v[162:163], v[6:7], v[180:181]
	s_wait_loadcnt_dscnt 0x200
	v_mul_f64_e32 v[154:155], v[16:17], v[192:193]
	v_add_f64_e32 v[14:15], v[160:161], v[156:157]
	v_add_f64_e32 v[22:23], v[22:23], v[158:159]
	v_mul_f64_e32 v[156:157], v[18:19], v[192:193]
	v_fmac_f64_e32 v[24:25], v[6:7], v[178:179]
	v_fma_f64 v[158:159], v[4:5], v[178:179], -v[162:163]
	v_fmac_f64_e32 v[154:155], v[18:19], v[190:191]
	v_add_f64_e32 v[160:161], v[14:15], v[12:13]
	v_add_f64_e32 v[22:23], v[22:23], v[26:27]
	ds_load_b128 v[4:7], v2 offset:1984
	ds_load_b128 v[12:15], v2 offset:2000
	v_fma_f64 v[16:17], v[16:17], v[190:191], -v[156:157]
	s_wait_loadcnt_dscnt 0x101
	v_mul_f64_e32 v[2:3], v[4:5], v[196:197]
	v_mul_f64_e32 v[26:27], v[6:7], v[196:197]
	v_add_f64_e32 v[18:19], v[160:161], v[158:159]
	v_add_f64_e32 v[22:23], v[22:23], v[24:25]
	s_wait_loadcnt_dscnt 0x0
	v_mul_f64_e32 v[24:25], v[12:13], v[10:11]
	v_mul_f64_e32 v[10:11], v[14:15], v[10:11]
	v_fmac_f64_e32 v[2:3], v[6:7], v[194:195]
	v_fma_f64 v[4:5], v[4:5], v[194:195], -v[26:27]
	v_add_f64_e32 v[6:7], v[18:19], v[16:17]
	v_add_f64_e32 v[16:17], v[22:23], v[154:155]
	v_fmac_f64_e32 v[24:25], v[14:15], v[8:9]
	v_fma_f64 v[8:9], v[12:13], v[8:9], -v[10:11]
	s_delay_alu instid0(VALU_DEP_4) | instskip(NEXT) | instid1(VALU_DEP_4)
	v_add_f64_e32 v[4:5], v[6:7], v[4:5]
	v_add_f64_e32 v[2:3], v[16:17], v[2:3]
	s_delay_alu instid0(VALU_DEP_2) | instskip(NEXT) | instid1(VALU_DEP_2)
	v_add_f64_e32 v[4:5], v[4:5], v[8:9]
	v_add_f64_e32 v[6:7], v[2:3], v[24:25]
	s_delay_alu instid0(VALU_DEP_2) | instskip(NEXT) | instid1(VALU_DEP_2)
	v_add_f64_e64 v[2:3], v[186:187], -v[4:5]
	v_add_f64_e64 v[4:5], v[188:189], -v[6:7]
	scratch_store_b128 off, v[2:5], off offset:768
	s_wait_xcnt 0x0
	v_cmpx_lt_u32_e32 47, v1
	s_cbranch_execz .LBB62_309
; %bb.308:
	scratch_load_b128 v[2:5], off, s27
	v_mov_b32_e32 v6, 0
	s_delay_alu instid0(VALU_DEP_1)
	v_dual_mov_b32 v7, v6 :: v_dual_mov_b32 v8, v6
	v_mov_b32_e32 v9, v6
	scratch_store_b128 off, v[6:9], off offset:752
	s_wait_loadcnt 0x0
	ds_store_b128 v20, v[2:5]
.LBB62_309:
	s_wait_xcnt 0x0
	s_or_b32 exec_lo, exec_lo, s2
	s_wait_storecnt_dscnt 0x0
	s_barrier_signal -1
	s_barrier_wait -1
	s_clause 0x9
	scratch_load_b128 v[4:7], off, off offset:768
	scratch_load_b128 v[8:11], off, off offset:784
	;; [unrolled: 1-line block ×10, first 2 shown]
	v_mov_b32_e32 v2, 0
	s_mov_b32 s2, exec_lo
	ds_load_b128 v[174:177], v2 offset:1776
	s_clause 0x2
	scratch_load_b128 v[178:181], off, off offset:928
	scratch_load_b128 v[182:185], off, off offset:752
	scratch_load_b128 v[190:193], off, off offset:944
	s_wait_loadcnt_dscnt 0xc00
	v_mul_f64_e32 v[26:27], v[176:177], v[6:7]
	v_mul_f64_e32 v[198:199], v[174:175], v[6:7]
	ds_load_b128 v[186:189], v2 offset:1792
	ds_load_b128 v[194:197], v2 offset:1824
	v_fma_f64 v[26:27], v[174:175], v[4:5], -v[26:27]
	v_fmac_f64_e32 v[198:199], v[176:177], v[4:5]
	ds_load_b128 v[4:7], v2 offset:1808
	s_wait_loadcnt_dscnt 0xb02
	v_mul_f64_e32 v[200:201], v[186:187], v[10:11]
	v_mul_f64_e32 v[10:11], v[188:189], v[10:11]
	scratch_load_b128 v[174:177], off, off offset:960
	s_wait_loadcnt_dscnt 0xb00
	v_mul_f64_e32 v[202:203], v[4:5], v[14:15]
	v_mul_f64_e32 v[14:15], v[6:7], v[14:15]
	v_add_f64_e32 v[26:27], 0, v[26:27]
	v_fmac_f64_e32 v[200:201], v[188:189], v[8:9]
	v_fma_f64 v[186:187], v[186:187], v[8:9], -v[10:11]
	v_add_f64_e32 v[188:189], 0, v[198:199]
	scratch_load_b128 v[8:11], off, off offset:976
	v_fmac_f64_e32 v[202:203], v[6:7], v[12:13]
	v_fma_f64 v[204:205], v[4:5], v[12:13], -v[14:15]
	ds_load_b128 v[4:7], v2 offset:1840
	s_wait_loadcnt 0xb
	v_mul_f64_e32 v[198:199], v[194:195], v[18:19]
	v_mul_f64_e32 v[18:19], v[196:197], v[18:19]
	scratch_load_b128 v[12:15], off, off offset:992
	v_add_f64_e32 v[26:27], v[26:27], v[186:187]
	v_add_f64_e32 v[200:201], v[188:189], v[200:201]
	ds_load_b128 v[186:189], v2 offset:1856
	s_wait_loadcnt_dscnt 0xb01
	v_mul_f64_e32 v[206:207], v[4:5], v[24:25]
	v_mul_f64_e32 v[24:25], v[6:7], v[24:25]
	v_fmac_f64_e32 v[198:199], v[196:197], v[16:17]
	v_fma_f64 v[16:17], v[194:195], v[16:17], -v[18:19]
	s_wait_loadcnt_dscnt 0xa00
	v_mul_f64_e32 v[194:195], v[186:187], v[156:157]
	v_mul_f64_e32 v[156:157], v[188:189], v[156:157]
	v_add_f64_e32 v[18:19], v[26:27], v[204:205]
	v_add_f64_e32 v[26:27], v[200:201], v[202:203]
	v_fmac_f64_e32 v[206:207], v[6:7], v[22:23]
	v_fma_f64 v[22:23], v[4:5], v[22:23], -v[24:25]
	v_fmac_f64_e32 v[194:195], v[188:189], v[154:155]
	v_fma_f64 v[154:155], v[186:187], v[154:155], -v[156:157]
	v_add_f64_e32 v[24:25], v[18:19], v[16:17]
	v_add_f64_e32 v[26:27], v[26:27], v[198:199]
	ds_load_b128 v[4:7], v2 offset:1872
	ds_load_b128 v[16:19], v2 offset:1888
	s_wait_loadcnt_dscnt 0x901
	v_mul_f64_e32 v[196:197], v[4:5], v[160:161]
	v_mul_f64_e32 v[160:161], v[6:7], v[160:161]
	s_wait_loadcnt_dscnt 0x800
	v_mul_f64_e32 v[156:157], v[18:19], v[164:165]
	v_add_f64_e32 v[22:23], v[24:25], v[22:23]
	v_add_f64_e32 v[24:25], v[26:27], v[206:207]
	v_mul_f64_e32 v[26:27], v[16:17], v[164:165]
	v_fmac_f64_e32 v[196:197], v[6:7], v[158:159]
	v_fma_f64 v[158:159], v[4:5], v[158:159], -v[160:161]
	v_fma_f64 v[16:17], v[16:17], v[162:163], -v[156:157]
	v_add_f64_e32 v[154:155], v[22:23], v[154:155]
	v_add_f64_e32 v[160:161], v[24:25], v[194:195]
	ds_load_b128 v[4:7], v2 offset:1904
	ds_load_b128 v[22:25], v2 offset:1920
	v_fmac_f64_e32 v[26:27], v[18:19], v[162:163]
	s_wait_loadcnt_dscnt 0x701
	v_mul_f64_e32 v[164:165], v[4:5], v[168:169]
	v_mul_f64_e32 v[168:169], v[6:7], v[168:169]
	s_wait_loadcnt_dscnt 0x600
	v_mul_f64_e32 v[156:157], v[22:23], v[172:173]
	v_add_f64_e32 v[18:19], v[154:155], v[158:159]
	v_add_f64_e32 v[154:155], v[160:161], v[196:197]
	v_mul_f64_e32 v[158:159], v[24:25], v[172:173]
	v_fmac_f64_e32 v[164:165], v[6:7], v[166:167]
	v_fma_f64 v[160:161], v[4:5], v[166:167], -v[168:169]
	v_fmac_f64_e32 v[156:157], v[24:25], v[170:171]
	v_add_f64_e32 v[162:163], v[18:19], v[16:17]
	v_add_f64_e32 v[26:27], v[154:155], v[26:27]
	ds_load_b128 v[4:7], v2 offset:1936
	ds_load_b128 v[16:19], v2 offset:1952
	v_fma_f64 v[22:23], v[22:23], v[170:171], -v[158:159]
	s_wait_loadcnt_dscnt 0x501
	v_mul_f64_e32 v[154:155], v[4:5], v[180:181]
	v_mul_f64_e32 v[166:167], v[6:7], v[180:181]
	s_wait_loadcnt_dscnt 0x300
	v_mul_f64_e32 v[158:159], v[16:17], v[192:193]
	v_add_f64_e32 v[24:25], v[162:163], v[160:161]
	v_add_f64_e32 v[26:27], v[26:27], v[164:165]
	v_mul_f64_e32 v[160:161], v[18:19], v[192:193]
	v_fmac_f64_e32 v[154:155], v[6:7], v[178:179]
	v_fma_f64 v[162:163], v[4:5], v[178:179], -v[166:167]
	v_fmac_f64_e32 v[158:159], v[18:19], v[190:191]
	v_add_f64_e32 v[164:165], v[24:25], v[22:23]
	v_add_f64_e32 v[26:27], v[26:27], v[156:157]
	ds_load_b128 v[4:7], v2 offset:1968
	ds_load_b128 v[22:25], v2 offset:1984
	v_fma_f64 v[16:17], v[16:17], v[190:191], -v[160:161]
	s_wait_loadcnt_dscnt 0x201
	v_mul_f64_e32 v[156:157], v[4:5], v[176:177]
	v_mul_f64_e32 v[166:167], v[6:7], v[176:177]
	v_add_f64_e32 v[18:19], v[164:165], v[162:163]
	v_add_f64_e32 v[26:27], v[26:27], v[154:155]
	s_wait_loadcnt_dscnt 0x100
	v_mul_f64_e32 v[154:155], v[22:23], v[10:11]
	v_mul_f64_e32 v[10:11], v[24:25], v[10:11]
	v_fmac_f64_e32 v[156:157], v[6:7], v[174:175]
	v_fma_f64 v[160:161], v[4:5], v[174:175], -v[166:167]
	ds_load_b128 v[4:7], v2 offset:2000
	v_add_f64_e32 v[16:17], v[18:19], v[16:17]
	v_add_f64_e32 v[18:19], v[26:27], v[158:159]
	v_fmac_f64_e32 v[154:155], v[24:25], v[8:9]
	v_fma_f64 v[8:9], v[22:23], v[8:9], -v[10:11]
	s_wait_loadcnt_dscnt 0x0
	v_mul_f64_e32 v[26:27], v[4:5], v[14:15]
	v_mul_f64_e32 v[14:15], v[6:7], v[14:15]
	v_add_f64_e32 v[10:11], v[16:17], v[160:161]
	v_add_f64_e32 v[16:17], v[18:19], v[156:157]
	s_delay_alu instid0(VALU_DEP_4) | instskip(NEXT) | instid1(VALU_DEP_4)
	v_fmac_f64_e32 v[26:27], v[6:7], v[12:13]
	v_fma_f64 v[4:5], v[4:5], v[12:13], -v[14:15]
	s_delay_alu instid0(VALU_DEP_4) | instskip(NEXT) | instid1(VALU_DEP_4)
	v_add_f64_e32 v[6:7], v[10:11], v[8:9]
	v_add_f64_e32 v[8:9], v[16:17], v[154:155]
	s_delay_alu instid0(VALU_DEP_2) | instskip(NEXT) | instid1(VALU_DEP_2)
	v_add_f64_e32 v[4:5], v[6:7], v[4:5]
	v_add_f64_e32 v[6:7], v[8:9], v[26:27]
	s_delay_alu instid0(VALU_DEP_2) | instskip(NEXT) | instid1(VALU_DEP_2)
	v_add_f64_e64 v[4:5], v[182:183], -v[4:5]
	v_add_f64_e64 v[6:7], v[184:185], -v[6:7]
	scratch_store_b128 off, v[4:7], off offset:752
	s_wait_xcnt 0x0
	v_cmpx_lt_u32_e32 46, v1
	s_cbranch_execz .LBB62_311
; %bb.310:
	scratch_load_b128 v[6:9], off, s31
	v_dual_mov_b32 v3, v2 :: v_dual_mov_b32 v4, v2
	v_mov_b32_e32 v5, v2
	scratch_store_b128 off, v[2:5], off offset:736
	s_wait_loadcnt 0x0
	ds_store_b128 v20, v[6:9]
.LBB62_311:
	s_wait_xcnt 0x0
	s_or_b32 exec_lo, exec_lo, s2
	s_wait_storecnt_dscnt 0x0
	s_barrier_signal -1
	s_barrier_wait -1
	s_clause 0x9
	scratch_load_b128 v[4:7], off, off offset:752
	scratch_load_b128 v[8:11], off, off offset:768
	;; [unrolled: 1-line block ×10, first 2 shown]
	ds_load_b128 v[174:177], v2 offset:1760
	ds_load_b128 v[182:185], v2 offset:1776
	s_clause 0x2
	scratch_load_b128 v[178:181], off, off offset:912
	scratch_load_b128 v[186:189], off, off offset:736
	;; [unrolled: 1-line block ×3, first 2 shown]
	s_mov_b32 s2, exec_lo
	s_wait_loadcnt_dscnt 0xc01
	v_mul_f64_e32 v[26:27], v[176:177], v[6:7]
	v_mul_f64_e32 v[198:199], v[174:175], v[6:7]
	s_wait_loadcnt_dscnt 0xb00
	v_mul_f64_e32 v[200:201], v[182:183], v[10:11]
	v_mul_f64_e32 v[10:11], v[184:185], v[10:11]
	s_delay_alu instid0(VALU_DEP_4) | instskip(NEXT) | instid1(VALU_DEP_4)
	v_fma_f64 v[26:27], v[174:175], v[4:5], -v[26:27]
	v_fmac_f64_e32 v[198:199], v[176:177], v[4:5]
	ds_load_b128 v[4:7], v2 offset:1792
	ds_load_b128 v[174:177], v2 offset:1808
	scratch_load_b128 v[194:197], off, off offset:944
	v_fmac_f64_e32 v[200:201], v[184:185], v[8:9]
	v_fma_f64 v[182:183], v[182:183], v[8:9], -v[10:11]
	scratch_load_b128 v[8:11], off, off offset:960
	s_wait_loadcnt_dscnt 0xc01
	v_mul_f64_e32 v[202:203], v[4:5], v[14:15]
	v_mul_f64_e32 v[14:15], v[6:7], v[14:15]
	v_add_f64_e32 v[26:27], 0, v[26:27]
	v_add_f64_e32 v[184:185], 0, v[198:199]
	s_wait_loadcnt_dscnt 0xb00
	v_mul_f64_e32 v[198:199], v[174:175], v[18:19]
	v_mul_f64_e32 v[18:19], v[176:177], v[18:19]
	v_fmac_f64_e32 v[202:203], v[6:7], v[12:13]
	v_fma_f64 v[204:205], v[4:5], v[12:13], -v[14:15]
	ds_load_b128 v[4:7], v2 offset:1824
	ds_load_b128 v[12:15], v2 offset:1840
	v_add_f64_e32 v[26:27], v[26:27], v[182:183]
	v_add_f64_e32 v[200:201], v[184:185], v[200:201]
	scratch_load_b128 v[182:185], off, off offset:976
	v_fmac_f64_e32 v[198:199], v[176:177], v[16:17]
	v_fma_f64 v[174:175], v[174:175], v[16:17], -v[18:19]
	scratch_load_b128 v[16:19], off, off offset:992
	s_wait_loadcnt_dscnt 0xc01
	v_mul_f64_e32 v[206:207], v[4:5], v[24:25]
	v_mul_f64_e32 v[24:25], v[6:7], v[24:25]
	v_add_f64_e32 v[26:27], v[26:27], v[204:205]
	v_add_f64_e32 v[176:177], v[200:201], v[202:203]
	s_wait_loadcnt_dscnt 0xb00
	v_mul_f64_e32 v[200:201], v[12:13], v[156:157]
	v_mul_f64_e32 v[156:157], v[14:15], v[156:157]
	v_fmac_f64_e32 v[206:207], v[6:7], v[22:23]
	v_fma_f64 v[202:203], v[4:5], v[22:23], -v[24:25]
	ds_load_b128 v[4:7], v2 offset:1856
	ds_load_b128 v[22:25], v2 offset:1872
	v_add_f64_e32 v[26:27], v[26:27], v[174:175]
	v_add_f64_e32 v[174:175], v[176:177], v[198:199]
	s_wait_loadcnt_dscnt 0xa01
	v_mul_f64_e32 v[176:177], v[4:5], v[160:161]
	v_mul_f64_e32 v[160:161], v[6:7], v[160:161]
	v_fmac_f64_e32 v[200:201], v[14:15], v[154:155]
	v_fma_f64 v[12:13], v[12:13], v[154:155], -v[156:157]
	s_wait_loadcnt_dscnt 0x900
	v_mul_f64_e32 v[154:155], v[22:23], v[164:165]
	v_mul_f64_e32 v[156:157], v[24:25], v[164:165]
	v_add_f64_e32 v[14:15], v[26:27], v[202:203]
	v_add_f64_e32 v[26:27], v[174:175], v[206:207]
	v_fmac_f64_e32 v[176:177], v[6:7], v[158:159]
	v_fma_f64 v[158:159], v[4:5], v[158:159], -v[160:161]
	v_fmac_f64_e32 v[154:155], v[24:25], v[162:163]
	v_fma_f64 v[22:23], v[22:23], v[162:163], -v[156:157]
	v_add_f64_e32 v[160:161], v[14:15], v[12:13]
	v_add_f64_e32 v[26:27], v[26:27], v[200:201]
	ds_load_b128 v[4:7], v2 offset:1888
	ds_load_b128 v[12:15], v2 offset:1904
	s_wait_loadcnt_dscnt 0x801
	v_mul_f64_e32 v[164:165], v[4:5], v[168:169]
	v_mul_f64_e32 v[168:169], v[6:7], v[168:169]
	s_wait_loadcnt_dscnt 0x700
	v_mul_f64_e32 v[156:157], v[12:13], v[172:173]
	v_add_f64_e32 v[24:25], v[160:161], v[158:159]
	v_add_f64_e32 v[26:27], v[26:27], v[176:177]
	v_mul_f64_e32 v[158:159], v[14:15], v[172:173]
	v_fmac_f64_e32 v[164:165], v[6:7], v[166:167]
	v_fma_f64 v[160:161], v[4:5], v[166:167], -v[168:169]
	v_fmac_f64_e32 v[156:157], v[14:15], v[170:171]
	v_add_f64_e32 v[162:163], v[24:25], v[22:23]
	v_add_f64_e32 v[26:27], v[26:27], v[154:155]
	ds_load_b128 v[4:7], v2 offset:1920
	ds_load_b128 v[22:25], v2 offset:1936
	v_fma_f64 v[12:13], v[12:13], v[170:171], -v[158:159]
	s_wait_loadcnt_dscnt 0x601
	v_mul_f64_e32 v[154:155], v[4:5], v[180:181]
	v_mul_f64_e32 v[166:167], v[6:7], v[180:181]
	s_wait_loadcnt_dscnt 0x400
	v_mul_f64_e32 v[158:159], v[22:23], v[192:193]
	v_add_f64_e32 v[14:15], v[162:163], v[160:161]
	v_add_f64_e32 v[26:27], v[26:27], v[164:165]
	v_mul_f64_e32 v[160:161], v[24:25], v[192:193]
	v_fmac_f64_e32 v[154:155], v[6:7], v[178:179]
	v_fma_f64 v[162:163], v[4:5], v[178:179], -v[166:167]
	v_fmac_f64_e32 v[158:159], v[24:25], v[190:191]
	v_add_f64_e32 v[164:165], v[14:15], v[12:13]
	v_add_f64_e32 v[26:27], v[26:27], v[156:157]
	ds_load_b128 v[4:7], v2 offset:1952
	ds_load_b128 v[12:15], v2 offset:1968
	v_fma_f64 v[22:23], v[22:23], v[190:191], -v[160:161]
	s_wait_loadcnt_dscnt 0x301
	v_mul_f64_e32 v[156:157], v[4:5], v[196:197]
	v_mul_f64_e32 v[166:167], v[6:7], v[196:197]
	v_add_f64_e32 v[24:25], v[164:165], v[162:163]
	v_add_f64_e32 v[26:27], v[26:27], v[154:155]
	s_wait_loadcnt_dscnt 0x200
	v_mul_f64_e32 v[154:155], v[12:13], v[10:11]
	v_mul_f64_e32 v[10:11], v[14:15], v[10:11]
	v_fmac_f64_e32 v[156:157], v[6:7], v[194:195]
	v_fma_f64 v[160:161], v[4:5], v[194:195], -v[166:167]
	v_add_f64_e32 v[162:163], v[24:25], v[22:23]
	v_add_f64_e32 v[26:27], v[26:27], v[158:159]
	ds_load_b128 v[4:7], v2 offset:1984
	ds_load_b128 v[22:25], v2 offset:2000
	v_fmac_f64_e32 v[154:155], v[14:15], v[8:9]
	v_fma_f64 v[8:9], v[12:13], v[8:9], -v[10:11]
	s_wait_loadcnt_dscnt 0x101
	v_mul_f64_e32 v[2:3], v[4:5], v[184:185]
	v_mul_f64_e32 v[158:159], v[6:7], v[184:185]
	s_wait_loadcnt_dscnt 0x0
	v_mul_f64_e32 v[14:15], v[22:23], v[18:19]
	v_mul_f64_e32 v[18:19], v[24:25], v[18:19]
	v_add_f64_e32 v[10:11], v[162:163], v[160:161]
	v_add_f64_e32 v[12:13], v[26:27], v[156:157]
	v_fmac_f64_e32 v[2:3], v[6:7], v[182:183]
	v_fma_f64 v[4:5], v[4:5], v[182:183], -v[158:159]
	v_fmac_f64_e32 v[14:15], v[24:25], v[16:17]
	v_add_f64_e32 v[6:7], v[10:11], v[8:9]
	v_add_f64_e32 v[8:9], v[12:13], v[154:155]
	v_fma_f64 v[10:11], v[22:23], v[16:17], -v[18:19]
	s_delay_alu instid0(VALU_DEP_3) | instskip(NEXT) | instid1(VALU_DEP_3)
	v_add_f64_e32 v[4:5], v[6:7], v[4:5]
	v_add_f64_e32 v[2:3], v[8:9], v[2:3]
	s_delay_alu instid0(VALU_DEP_2) | instskip(NEXT) | instid1(VALU_DEP_2)
	v_add_f64_e32 v[4:5], v[4:5], v[10:11]
	v_add_f64_e32 v[6:7], v[2:3], v[14:15]
	s_delay_alu instid0(VALU_DEP_2) | instskip(NEXT) | instid1(VALU_DEP_2)
	v_add_f64_e64 v[2:3], v[186:187], -v[4:5]
	v_add_f64_e64 v[4:5], v[188:189], -v[6:7]
	scratch_store_b128 off, v[2:5], off offset:736
	s_wait_xcnt 0x0
	v_cmpx_lt_u32_e32 45, v1
	s_cbranch_execz .LBB62_313
; %bb.312:
	scratch_load_b128 v[2:5], off, s30
	v_mov_b32_e32 v6, 0
	s_delay_alu instid0(VALU_DEP_1)
	v_dual_mov_b32 v7, v6 :: v_dual_mov_b32 v8, v6
	v_mov_b32_e32 v9, v6
	scratch_store_b128 off, v[6:9], off offset:720
	s_wait_loadcnt 0x0
	ds_store_b128 v20, v[2:5]
.LBB62_313:
	s_wait_xcnt 0x0
	s_or_b32 exec_lo, exec_lo, s2
	s_wait_storecnt_dscnt 0x0
	s_barrier_signal -1
	s_barrier_wait -1
	s_clause 0x9
	scratch_load_b128 v[4:7], off, off offset:736
	scratch_load_b128 v[8:11], off, off offset:752
	;; [unrolled: 1-line block ×10, first 2 shown]
	v_mov_b32_e32 v2, 0
	s_mov_b32 s2, exec_lo
	ds_load_b128 v[174:177], v2 offset:1744
	s_clause 0x2
	scratch_load_b128 v[178:181], off, off offset:896
	scratch_load_b128 v[182:185], off, off offset:720
	;; [unrolled: 1-line block ×3, first 2 shown]
	s_wait_loadcnt_dscnt 0xc00
	v_mul_f64_e32 v[26:27], v[176:177], v[6:7]
	v_mul_f64_e32 v[198:199], v[174:175], v[6:7]
	ds_load_b128 v[186:189], v2 offset:1760
	ds_load_b128 v[194:197], v2 offset:1792
	v_fma_f64 v[26:27], v[174:175], v[4:5], -v[26:27]
	v_fmac_f64_e32 v[198:199], v[176:177], v[4:5]
	ds_load_b128 v[4:7], v2 offset:1776
	s_wait_loadcnt_dscnt 0xb02
	v_mul_f64_e32 v[200:201], v[186:187], v[10:11]
	v_mul_f64_e32 v[10:11], v[188:189], v[10:11]
	scratch_load_b128 v[174:177], off, off offset:928
	s_wait_loadcnt_dscnt 0xb00
	v_mul_f64_e32 v[202:203], v[4:5], v[14:15]
	v_mul_f64_e32 v[14:15], v[6:7], v[14:15]
	v_add_f64_e32 v[26:27], 0, v[26:27]
	v_fmac_f64_e32 v[200:201], v[188:189], v[8:9]
	v_fma_f64 v[186:187], v[186:187], v[8:9], -v[10:11]
	v_add_f64_e32 v[188:189], 0, v[198:199]
	scratch_load_b128 v[8:11], off, off offset:944
	v_fmac_f64_e32 v[202:203], v[6:7], v[12:13]
	v_fma_f64 v[204:205], v[4:5], v[12:13], -v[14:15]
	ds_load_b128 v[4:7], v2 offset:1808
	s_wait_loadcnt 0xb
	v_mul_f64_e32 v[198:199], v[194:195], v[18:19]
	v_mul_f64_e32 v[18:19], v[196:197], v[18:19]
	scratch_load_b128 v[12:15], off, off offset:960
	v_add_f64_e32 v[26:27], v[26:27], v[186:187]
	v_add_f64_e32 v[200:201], v[188:189], v[200:201]
	ds_load_b128 v[186:189], v2 offset:1824
	s_wait_loadcnt_dscnt 0xb01
	v_mul_f64_e32 v[206:207], v[4:5], v[24:25]
	v_mul_f64_e32 v[24:25], v[6:7], v[24:25]
	v_fmac_f64_e32 v[198:199], v[196:197], v[16:17]
	v_fma_f64 v[194:195], v[194:195], v[16:17], -v[18:19]
	scratch_load_b128 v[16:19], off, off offset:976
	v_add_f64_e32 v[26:27], v[26:27], v[204:205]
	v_add_f64_e32 v[196:197], v[200:201], v[202:203]
	v_fmac_f64_e32 v[206:207], v[6:7], v[22:23]
	v_fma_f64 v[202:203], v[4:5], v[22:23], -v[24:25]
	ds_load_b128 v[4:7], v2 offset:1840
	s_wait_loadcnt_dscnt 0xb01
	v_mul_f64_e32 v[200:201], v[186:187], v[156:157]
	v_mul_f64_e32 v[156:157], v[188:189], v[156:157]
	scratch_load_b128 v[22:25], off, off offset:992
	s_wait_loadcnt_dscnt 0xb00
	v_mul_f64_e32 v[204:205], v[4:5], v[160:161]
	v_mul_f64_e32 v[160:161], v[6:7], v[160:161]
	v_add_f64_e32 v[26:27], v[26:27], v[194:195]
	v_add_f64_e32 v[198:199], v[196:197], v[198:199]
	ds_load_b128 v[194:197], v2 offset:1856
	v_fmac_f64_e32 v[200:201], v[188:189], v[154:155]
	v_fma_f64 v[154:155], v[186:187], v[154:155], -v[156:157]
	s_wait_loadcnt_dscnt 0xa00
	v_mul_f64_e32 v[186:187], v[194:195], v[164:165]
	v_mul_f64_e32 v[164:165], v[196:197], v[164:165]
	v_fmac_f64_e32 v[204:205], v[6:7], v[158:159]
	v_fma_f64 v[158:159], v[4:5], v[158:159], -v[160:161]
	v_add_f64_e32 v[26:27], v[26:27], v[202:203]
	v_add_f64_e32 v[156:157], v[198:199], v[206:207]
	v_fmac_f64_e32 v[186:187], v[196:197], v[162:163]
	v_fma_f64 v[162:163], v[194:195], v[162:163], -v[164:165]
	s_delay_alu instid0(VALU_DEP_4) | instskip(NEXT) | instid1(VALU_DEP_4)
	v_add_f64_e32 v[26:27], v[26:27], v[154:155]
	v_add_f64_e32 v[160:161], v[156:157], v[200:201]
	ds_load_b128 v[4:7], v2 offset:1872
	ds_load_b128 v[154:157], v2 offset:1888
	s_wait_loadcnt_dscnt 0x901
	v_mul_f64_e32 v[188:189], v[4:5], v[168:169]
	v_mul_f64_e32 v[168:169], v[6:7], v[168:169]
	s_wait_loadcnt_dscnt 0x800
	v_mul_f64_e32 v[164:165], v[154:155], v[172:173]
	v_mul_f64_e32 v[172:173], v[156:157], v[172:173]
	v_add_f64_e32 v[26:27], v[26:27], v[158:159]
	v_add_f64_e32 v[158:159], v[160:161], v[204:205]
	v_fmac_f64_e32 v[188:189], v[6:7], v[166:167]
	v_fma_f64 v[166:167], v[4:5], v[166:167], -v[168:169]
	v_fmac_f64_e32 v[164:165], v[156:157], v[170:171]
	v_fma_f64 v[154:155], v[154:155], v[170:171], -v[172:173]
	v_add_f64_e32 v[26:27], v[26:27], v[162:163]
	v_add_f64_e32 v[162:163], v[158:159], v[186:187]
	ds_load_b128 v[4:7], v2 offset:1904
	ds_load_b128 v[158:161], v2 offset:1920
	s_wait_loadcnt_dscnt 0x701
	v_mul_f64_e32 v[168:169], v[4:5], v[180:181]
	v_mul_f64_e32 v[180:181], v[6:7], v[180:181]
	v_add_f64_e32 v[26:27], v[26:27], v[166:167]
	v_add_f64_e32 v[156:157], v[162:163], v[188:189]
	s_wait_loadcnt_dscnt 0x500
	v_mul_f64_e32 v[162:163], v[158:159], v[192:193]
	v_mul_f64_e32 v[166:167], v[160:161], v[192:193]
	v_fmac_f64_e32 v[168:169], v[6:7], v[178:179]
	v_fma_f64 v[170:171], v[4:5], v[178:179], -v[180:181]
	v_add_f64_e32 v[26:27], v[26:27], v[154:155]
	v_add_f64_e32 v[164:165], v[156:157], v[164:165]
	ds_load_b128 v[4:7], v2 offset:1936
	ds_load_b128 v[154:157], v2 offset:1952
	v_fmac_f64_e32 v[162:163], v[160:161], v[190:191]
	v_fma_f64 v[158:159], v[158:159], v[190:191], -v[166:167]
	s_wait_loadcnt_dscnt 0x401
	v_mul_f64_e32 v[172:173], v[4:5], v[176:177]
	v_mul_f64_e32 v[176:177], v[6:7], v[176:177]
	v_add_f64_e32 v[26:27], v[26:27], v[170:171]
	v_add_f64_e32 v[160:161], v[164:165], v[168:169]
	s_wait_loadcnt_dscnt 0x300
	v_mul_f64_e32 v[164:165], v[154:155], v[10:11]
	v_mul_f64_e32 v[10:11], v[156:157], v[10:11]
	v_fmac_f64_e32 v[172:173], v[6:7], v[174:175]
	v_fma_f64 v[166:167], v[4:5], v[174:175], -v[176:177]
	v_add_f64_e32 v[26:27], v[26:27], v[158:159]
	v_add_f64_e32 v[162:163], v[160:161], v[162:163]
	ds_load_b128 v[4:7], v2 offset:1968
	ds_load_b128 v[158:161], v2 offset:1984
	v_fmac_f64_e32 v[164:165], v[156:157], v[8:9]
	v_fma_f64 v[8:9], v[154:155], v[8:9], -v[10:11]
	s_wait_loadcnt_dscnt 0x201
	v_mul_f64_e32 v[168:169], v[4:5], v[14:15]
	v_mul_f64_e32 v[14:15], v[6:7], v[14:15]
	s_wait_loadcnt_dscnt 0x100
	v_mul_f64_e32 v[154:155], v[158:159], v[18:19]
	v_mul_f64_e32 v[18:19], v[160:161], v[18:19]
	v_add_f64_e32 v[10:11], v[26:27], v[166:167]
	v_add_f64_e32 v[26:27], v[162:163], v[172:173]
	v_fmac_f64_e32 v[168:169], v[6:7], v[12:13]
	v_fma_f64 v[12:13], v[4:5], v[12:13], -v[14:15]
	ds_load_b128 v[4:7], v2 offset:2000
	v_fmac_f64_e32 v[154:155], v[160:161], v[16:17]
	v_fma_f64 v[16:17], v[158:159], v[16:17], -v[18:19]
	v_add_f64_e32 v[8:9], v[10:11], v[8:9]
	v_add_f64_e32 v[10:11], v[26:27], v[164:165]
	s_wait_loadcnt_dscnt 0x0
	v_mul_f64_e32 v[14:15], v[4:5], v[24:25]
	v_mul_f64_e32 v[24:25], v[6:7], v[24:25]
	s_delay_alu instid0(VALU_DEP_4) | instskip(NEXT) | instid1(VALU_DEP_4)
	v_add_f64_e32 v[8:9], v[8:9], v[12:13]
	v_add_f64_e32 v[10:11], v[10:11], v[168:169]
	s_delay_alu instid0(VALU_DEP_4) | instskip(NEXT) | instid1(VALU_DEP_4)
	v_fmac_f64_e32 v[14:15], v[6:7], v[22:23]
	v_fma_f64 v[4:5], v[4:5], v[22:23], -v[24:25]
	s_delay_alu instid0(VALU_DEP_4) | instskip(NEXT) | instid1(VALU_DEP_4)
	v_add_f64_e32 v[6:7], v[8:9], v[16:17]
	v_add_f64_e32 v[8:9], v[10:11], v[154:155]
	s_delay_alu instid0(VALU_DEP_2) | instskip(NEXT) | instid1(VALU_DEP_2)
	v_add_f64_e32 v[4:5], v[6:7], v[4:5]
	v_add_f64_e32 v[6:7], v[8:9], v[14:15]
	s_delay_alu instid0(VALU_DEP_2) | instskip(NEXT) | instid1(VALU_DEP_2)
	v_add_f64_e64 v[4:5], v[182:183], -v[4:5]
	v_add_f64_e64 v[6:7], v[184:185], -v[6:7]
	scratch_store_b128 off, v[4:7], off offset:720
	s_wait_xcnt 0x0
	v_cmpx_lt_u32_e32 44, v1
	s_cbranch_execz .LBB62_315
; %bb.314:
	scratch_load_b128 v[6:9], off, s34
	v_dual_mov_b32 v3, v2 :: v_dual_mov_b32 v4, v2
	v_mov_b32_e32 v5, v2
	scratch_store_b128 off, v[2:5], off offset:704
	s_wait_loadcnt 0x0
	ds_store_b128 v20, v[6:9]
.LBB62_315:
	s_wait_xcnt 0x0
	s_or_b32 exec_lo, exec_lo, s2
	s_wait_storecnt_dscnt 0x0
	s_barrier_signal -1
	s_barrier_wait -1
	s_clause 0x9
	scratch_load_b128 v[4:7], off, off offset:720
	scratch_load_b128 v[8:11], off, off offset:736
	;; [unrolled: 1-line block ×10, first 2 shown]
	ds_load_b128 v[174:177], v2 offset:1728
	ds_load_b128 v[182:185], v2 offset:1744
	s_clause 0x2
	scratch_load_b128 v[178:181], off, off offset:880
	scratch_load_b128 v[186:189], off, off offset:704
	;; [unrolled: 1-line block ×3, first 2 shown]
	s_mov_b32 s2, exec_lo
	s_wait_loadcnt_dscnt 0xc01
	v_mul_f64_e32 v[26:27], v[176:177], v[6:7]
	v_mul_f64_e32 v[198:199], v[174:175], v[6:7]
	s_wait_loadcnt_dscnt 0xb00
	v_mul_f64_e32 v[200:201], v[182:183], v[10:11]
	v_mul_f64_e32 v[10:11], v[184:185], v[10:11]
	s_delay_alu instid0(VALU_DEP_4) | instskip(NEXT) | instid1(VALU_DEP_4)
	v_fma_f64 v[26:27], v[174:175], v[4:5], -v[26:27]
	v_fmac_f64_e32 v[198:199], v[176:177], v[4:5]
	ds_load_b128 v[4:7], v2 offset:1760
	ds_load_b128 v[174:177], v2 offset:1776
	scratch_load_b128 v[194:197], off, off offset:912
	v_fmac_f64_e32 v[200:201], v[184:185], v[8:9]
	v_fma_f64 v[182:183], v[182:183], v[8:9], -v[10:11]
	scratch_load_b128 v[8:11], off, off offset:928
	s_wait_loadcnt_dscnt 0xc01
	v_mul_f64_e32 v[202:203], v[4:5], v[14:15]
	v_mul_f64_e32 v[14:15], v[6:7], v[14:15]
	v_add_f64_e32 v[26:27], 0, v[26:27]
	v_add_f64_e32 v[184:185], 0, v[198:199]
	s_wait_loadcnt_dscnt 0xb00
	v_mul_f64_e32 v[198:199], v[174:175], v[18:19]
	v_mul_f64_e32 v[18:19], v[176:177], v[18:19]
	v_fmac_f64_e32 v[202:203], v[6:7], v[12:13]
	v_fma_f64 v[204:205], v[4:5], v[12:13], -v[14:15]
	ds_load_b128 v[4:7], v2 offset:1792
	ds_load_b128 v[12:15], v2 offset:1808
	v_add_f64_e32 v[26:27], v[26:27], v[182:183]
	v_add_f64_e32 v[200:201], v[184:185], v[200:201]
	scratch_load_b128 v[182:185], off, off offset:944
	v_fmac_f64_e32 v[198:199], v[176:177], v[16:17]
	v_fma_f64 v[174:175], v[174:175], v[16:17], -v[18:19]
	scratch_load_b128 v[16:19], off, off offset:960
	s_wait_loadcnt_dscnt 0xc01
	v_mul_f64_e32 v[206:207], v[4:5], v[24:25]
	v_mul_f64_e32 v[24:25], v[6:7], v[24:25]
	v_add_f64_e32 v[26:27], v[26:27], v[204:205]
	v_add_f64_e32 v[176:177], v[200:201], v[202:203]
	s_wait_loadcnt_dscnt 0xb00
	v_mul_f64_e32 v[200:201], v[12:13], v[156:157]
	v_mul_f64_e32 v[156:157], v[14:15], v[156:157]
	v_fmac_f64_e32 v[206:207], v[6:7], v[22:23]
	v_fma_f64 v[202:203], v[4:5], v[22:23], -v[24:25]
	ds_load_b128 v[4:7], v2 offset:1824
	ds_load_b128 v[22:25], v2 offset:1840
	s_wait_loadcnt_dscnt 0xa01
	v_mul_f64_e32 v[204:205], v[4:5], v[160:161]
	v_add_f64_e32 v[26:27], v[26:27], v[174:175]
	v_add_f64_e32 v[198:199], v[176:177], v[198:199]
	scratch_load_b128 v[174:177], off, off offset:976
	v_mul_f64_e32 v[160:161], v[6:7], v[160:161]
	v_fmac_f64_e32 v[200:201], v[14:15], v[154:155]
	v_fma_f64 v[154:155], v[12:13], v[154:155], -v[156:157]
	scratch_load_b128 v[12:15], off, off offset:992
	v_fmac_f64_e32 v[204:205], v[6:7], v[158:159]
	v_add_f64_e32 v[26:27], v[26:27], v[202:203]
	v_add_f64_e32 v[156:157], v[198:199], v[206:207]
	s_wait_loadcnt_dscnt 0xb00
	v_mul_f64_e32 v[198:199], v[22:23], v[164:165]
	v_mul_f64_e32 v[164:165], v[24:25], v[164:165]
	v_fma_f64 v[158:159], v[4:5], v[158:159], -v[160:161]
	v_add_f64_e32 v[26:27], v[26:27], v[154:155]
	v_add_f64_e32 v[160:161], v[156:157], v[200:201]
	ds_load_b128 v[4:7], v2 offset:1856
	ds_load_b128 v[154:157], v2 offset:1872
	v_fmac_f64_e32 v[198:199], v[24:25], v[162:163]
	v_fma_f64 v[22:23], v[22:23], v[162:163], -v[164:165]
	s_wait_loadcnt_dscnt 0xa01
	v_mul_f64_e32 v[200:201], v[4:5], v[168:169]
	v_mul_f64_e32 v[168:169], v[6:7], v[168:169]
	v_add_f64_e32 v[24:25], v[26:27], v[158:159]
	v_add_f64_e32 v[26:27], v[160:161], v[204:205]
	s_wait_loadcnt_dscnt 0x900
	v_mul_f64_e32 v[158:159], v[154:155], v[172:173]
	v_mul_f64_e32 v[160:161], v[156:157], v[172:173]
	v_fmac_f64_e32 v[200:201], v[6:7], v[166:167]
	v_fma_f64 v[162:163], v[4:5], v[166:167], -v[168:169]
	v_add_f64_e32 v[164:165], v[24:25], v[22:23]
	v_add_f64_e32 v[26:27], v[26:27], v[198:199]
	ds_load_b128 v[4:7], v2 offset:1888
	ds_load_b128 v[22:25], v2 offset:1904
	v_fmac_f64_e32 v[158:159], v[156:157], v[170:171]
	v_fma_f64 v[154:155], v[154:155], v[170:171], -v[160:161]
	s_wait_loadcnt_dscnt 0x801
	v_mul_f64_e32 v[166:167], v[4:5], v[180:181]
	v_mul_f64_e32 v[168:169], v[6:7], v[180:181]
	s_wait_loadcnt_dscnt 0x600
	v_mul_f64_e32 v[160:161], v[22:23], v[192:193]
	v_add_f64_e32 v[156:157], v[164:165], v[162:163]
	v_add_f64_e32 v[26:27], v[26:27], v[200:201]
	v_mul_f64_e32 v[162:163], v[24:25], v[192:193]
	v_fmac_f64_e32 v[166:167], v[6:7], v[178:179]
	v_fma_f64 v[164:165], v[4:5], v[178:179], -v[168:169]
	v_fmac_f64_e32 v[160:161], v[24:25], v[190:191]
	v_add_f64_e32 v[168:169], v[156:157], v[154:155]
	v_add_f64_e32 v[26:27], v[26:27], v[158:159]
	ds_load_b128 v[4:7], v2 offset:1920
	ds_load_b128 v[154:157], v2 offset:1936
	v_fma_f64 v[22:23], v[22:23], v[190:191], -v[162:163]
	s_wait_loadcnt_dscnt 0x501
	v_mul_f64_e32 v[158:159], v[4:5], v[196:197]
	v_mul_f64_e32 v[170:171], v[6:7], v[196:197]
	s_wait_loadcnt_dscnt 0x400
	v_mul_f64_e32 v[162:163], v[154:155], v[10:11]
	v_mul_f64_e32 v[10:11], v[156:157], v[10:11]
	v_add_f64_e32 v[24:25], v[168:169], v[164:165]
	v_add_f64_e32 v[26:27], v[26:27], v[166:167]
	v_fmac_f64_e32 v[158:159], v[6:7], v[194:195]
	v_fma_f64 v[164:165], v[4:5], v[194:195], -v[170:171]
	v_fmac_f64_e32 v[162:163], v[156:157], v[8:9]
	v_fma_f64 v[8:9], v[154:155], v[8:9], -v[10:11]
	v_add_f64_e32 v[166:167], v[24:25], v[22:23]
	v_add_f64_e32 v[26:27], v[26:27], v[160:161]
	ds_load_b128 v[4:7], v2 offset:1952
	ds_load_b128 v[22:25], v2 offset:1968
	s_wait_loadcnt_dscnt 0x301
	v_mul_f64_e32 v[160:161], v[4:5], v[184:185]
	v_mul_f64_e32 v[168:169], v[6:7], v[184:185]
	s_wait_loadcnt_dscnt 0x200
	v_mul_f64_e32 v[154:155], v[22:23], v[18:19]
	v_mul_f64_e32 v[18:19], v[24:25], v[18:19]
	v_add_f64_e32 v[10:11], v[166:167], v[164:165]
	v_add_f64_e32 v[26:27], v[26:27], v[158:159]
	v_fmac_f64_e32 v[160:161], v[6:7], v[182:183]
	v_fma_f64 v[156:157], v[4:5], v[182:183], -v[168:169]
	v_fmac_f64_e32 v[154:155], v[24:25], v[16:17]
	v_fma_f64 v[16:17], v[22:23], v[16:17], -v[18:19]
	v_add_f64_e32 v[158:159], v[10:11], v[8:9]
	v_add_f64_e32 v[26:27], v[26:27], v[162:163]
	ds_load_b128 v[4:7], v2 offset:1984
	ds_load_b128 v[8:11], v2 offset:2000
	s_wait_loadcnt_dscnt 0x101
	v_mul_f64_e32 v[2:3], v[4:5], v[176:177]
	v_mul_f64_e32 v[162:163], v[6:7], v[176:177]
	s_wait_loadcnt_dscnt 0x0
	v_mul_f64_e32 v[24:25], v[8:9], v[14:15]
	v_mul_f64_e32 v[14:15], v[10:11], v[14:15]
	v_add_f64_e32 v[18:19], v[158:159], v[156:157]
	v_add_f64_e32 v[22:23], v[26:27], v[160:161]
	v_fmac_f64_e32 v[2:3], v[6:7], v[174:175]
	v_fma_f64 v[4:5], v[4:5], v[174:175], -v[162:163]
	v_fmac_f64_e32 v[24:25], v[10:11], v[12:13]
	v_fma_f64 v[8:9], v[8:9], v[12:13], -v[14:15]
	v_add_f64_e32 v[6:7], v[18:19], v[16:17]
	v_add_f64_e32 v[16:17], v[22:23], v[154:155]
	s_delay_alu instid0(VALU_DEP_2) | instskip(NEXT) | instid1(VALU_DEP_2)
	v_add_f64_e32 v[4:5], v[6:7], v[4:5]
	v_add_f64_e32 v[2:3], v[16:17], v[2:3]
	s_delay_alu instid0(VALU_DEP_2) | instskip(NEXT) | instid1(VALU_DEP_2)
	;; [unrolled: 3-line block ×3, first 2 shown]
	v_add_f64_e64 v[2:3], v[186:187], -v[4:5]
	v_add_f64_e64 v[4:5], v[188:189], -v[6:7]
	scratch_store_b128 off, v[2:5], off offset:704
	s_wait_xcnt 0x0
	v_cmpx_lt_u32_e32 43, v1
	s_cbranch_execz .LBB62_317
; %bb.316:
	scratch_load_b128 v[2:5], off, s33
	v_mov_b32_e32 v6, 0
	s_delay_alu instid0(VALU_DEP_1)
	v_dual_mov_b32 v7, v6 :: v_dual_mov_b32 v8, v6
	v_mov_b32_e32 v9, v6
	scratch_store_b128 off, v[6:9], off offset:688
	s_wait_loadcnt 0x0
	ds_store_b128 v20, v[2:5]
.LBB62_317:
	s_wait_xcnt 0x0
	s_or_b32 exec_lo, exec_lo, s2
	s_wait_storecnt_dscnt 0x0
	s_barrier_signal -1
	s_barrier_wait -1
	s_clause 0x9
	scratch_load_b128 v[4:7], off, off offset:704
	scratch_load_b128 v[8:11], off, off offset:720
	;; [unrolled: 1-line block ×10, first 2 shown]
	v_mov_b32_e32 v2, 0
	s_mov_b32 s2, exec_lo
	ds_load_b128 v[174:177], v2 offset:1712
	s_clause 0x2
	scratch_load_b128 v[178:181], off, off offset:864
	scratch_load_b128 v[182:185], off, off offset:688
	;; [unrolled: 1-line block ×3, first 2 shown]
	s_wait_loadcnt_dscnt 0xc00
	v_mul_f64_e32 v[26:27], v[176:177], v[6:7]
	v_mul_f64_e32 v[198:199], v[174:175], v[6:7]
	ds_load_b128 v[186:189], v2 offset:1728
	ds_load_b128 v[194:197], v2 offset:1760
	v_fma_f64 v[26:27], v[174:175], v[4:5], -v[26:27]
	v_fmac_f64_e32 v[198:199], v[176:177], v[4:5]
	ds_load_b128 v[4:7], v2 offset:1744
	s_wait_loadcnt_dscnt 0xb02
	v_mul_f64_e32 v[200:201], v[186:187], v[10:11]
	v_mul_f64_e32 v[10:11], v[188:189], v[10:11]
	scratch_load_b128 v[174:177], off, off offset:896
	s_wait_loadcnt_dscnt 0xb00
	v_mul_f64_e32 v[202:203], v[4:5], v[14:15]
	v_mul_f64_e32 v[14:15], v[6:7], v[14:15]
	v_add_f64_e32 v[26:27], 0, v[26:27]
	v_fmac_f64_e32 v[200:201], v[188:189], v[8:9]
	v_fma_f64 v[186:187], v[186:187], v[8:9], -v[10:11]
	v_add_f64_e32 v[188:189], 0, v[198:199]
	scratch_load_b128 v[8:11], off, off offset:912
	v_fmac_f64_e32 v[202:203], v[6:7], v[12:13]
	v_fma_f64 v[204:205], v[4:5], v[12:13], -v[14:15]
	ds_load_b128 v[4:7], v2 offset:1776
	s_wait_loadcnt 0xb
	v_mul_f64_e32 v[198:199], v[194:195], v[18:19]
	v_mul_f64_e32 v[18:19], v[196:197], v[18:19]
	scratch_load_b128 v[12:15], off, off offset:928
	v_add_f64_e32 v[26:27], v[26:27], v[186:187]
	v_add_f64_e32 v[200:201], v[188:189], v[200:201]
	ds_load_b128 v[186:189], v2 offset:1792
	s_wait_loadcnt_dscnt 0xb01
	v_mul_f64_e32 v[206:207], v[4:5], v[24:25]
	v_mul_f64_e32 v[24:25], v[6:7], v[24:25]
	v_fmac_f64_e32 v[198:199], v[196:197], v[16:17]
	v_fma_f64 v[194:195], v[194:195], v[16:17], -v[18:19]
	scratch_load_b128 v[16:19], off, off offset:944
	v_add_f64_e32 v[26:27], v[26:27], v[204:205]
	v_add_f64_e32 v[196:197], v[200:201], v[202:203]
	v_fmac_f64_e32 v[206:207], v[6:7], v[22:23]
	v_fma_f64 v[202:203], v[4:5], v[22:23], -v[24:25]
	ds_load_b128 v[4:7], v2 offset:1808
	s_wait_loadcnt_dscnt 0xb01
	v_mul_f64_e32 v[200:201], v[186:187], v[156:157]
	v_mul_f64_e32 v[156:157], v[188:189], v[156:157]
	scratch_load_b128 v[22:25], off, off offset:960
	s_wait_loadcnt_dscnt 0xb00
	v_mul_f64_e32 v[204:205], v[4:5], v[160:161]
	v_mul_f64_e32 v[160:161], v[6:7], v[160:161]
	v_add_f64_e32 v[26:27], v[26:27], v[194:195]
	v_add_f64_e32 v[198:199], v[196:197], v[198:199]
	ds_load_b128 v[194:197], v2 offset:1824
	v_fmac_f64_e32 v[200:201], v[188:189], v[154:155]
	v_fma_f64 v[186:187], v[186:187], v[154:155], -v[156:157]
	scratch_load_b128 v[154:157], off, off offset:976
	v_fmac_f64_e32 v[204:205], v[6:7], v[158:159]
	v_add_f64_e32 v[26:27], v[26:27], v[202:203]
	v_add_f64_e32 v[188:189], v[198:199], v[206:207]
	v_fma_f64 v[202:203], v[4:5], v[158:159], -v[160:161]
	ds_load_b128 v[4:7], v2 offset:1840
	s_wait_loadcnt_dscnt 0xb01
	v_mul_f64_e32 v[198:199], v[194:195], v[164:165]
	v_mul_f64_e32 v[164:165], v[196:197], v[164:165]
	scratch_load_b128 v[158:161], off, off offset:992
	s_wait_loadcnt_dscnt 0xb00
	v_mul_f64_e32 v[206:207], v[4:5], v[168:169]
	v_mul_f64_e32 v[168:169], v[6:7], v[168:169]
	v_add_f64_e32 v[26:27], v[26:27], v[186:187]
	v_add_f64_e32 v[200:201], v[188:189], v[200:201]
	ds_load_b128 v[186:189], v2 offset:1856
	v_fmac_f64_e32 v[198:199], v[196:197], v[162:163]
	v_fma_f64 v[162:163], v[194:195], v[162:163], -v[164:165]
	s_wait_loadcnt_dscnt 0xa00
	v_mul_f64_e32 v[194:195], v[186:187], v[172:173]
	v_mul_f64_e32 v[172:173], v[188:189], v[172:173]
	v_fmac_f64_e32 v[206:207], v[6:7], v[166:167]
	v_fma_f64 v[166:167], v[4:5], v[166:167], -v[168:169]
	v_add_f64_e32 v[26:27], v[26:27], v[202:203]
	v_add_f64_e32 v[164:165], v[200:201], v[204:205]
	v_fmac_f64_e32 v[194:195], v[188:189], v[170:171]
	v_fma_f64 v[170:171], v[186:187], v[170:171], -v[172:173]
	s_delay_alu instid0(VALU_DEP_4) | instskip(NEXT) | instid1(VALU_DEP_4)
	v_add_f64_e32 v[26:27], v[26:27], v[162:163]
	v_add_f64_e32 v[168:169], v[164:165], v[198:199]
	ds_load_b128 v[4:7], v2 offset:1872
	ds_load_b128 v[162:165], v2 offset:1888
	s_wait_loadcnt_dscnt 0x901
	v_mul_f64_e32 v[196:197], v[4:5], v[180:181]
	v_mul_f64_e32 v[180:181], v[6:7], v[180:181]
	s_wait_loadcnt_dscnt 0x700
	v_mul_f64_e32 v[172:173], v[162:163], v[192:193]
	v_mul_f64_e32 v[186:187], v[164:165], v[192:193]
	v_add_f64_e32 v[26:27], v[26:27], v[166:167]
	v_add_f64_e32 v[166:167], v[168:169], v[206:207]
	v_fmac_f64_e32 v[196:197], v[6:7], v[178:179]
	v_fma_f64 v[178:179], v[4:5], v[178:179], -v[180:181]
	v_fmac_f64_e32 v[172:173], v[164:165], v[190:191]
	v_fma_f64 v[162:163], v[162:163], v[190:191], -v[186:187]
	v_add_f64_e32 v[26:27], v[26:27], v[170:171]
	v_add_f64_e32 v[170:171], v[166:167], v[194:195]
	ds_load_b128 v[4:7], v2 offset:1904
	ds_load_b128 v[166:169], v2 offset:1920
	s_wait_loadcnt_dscnt 0x601
	v_mul_f64_e32 v[180:181], v[4:5], v[176:177]
	v_mul_f64_e32 v[176:177], v[6:7], v[176:177]
	v_add_f64_e32 v[26:27], v[26:27], v[178:179]
	v_add_f64_e32 v[164:165], v[170:171], v[196:197]
	s_wait_loadcnt_dscnt 0x500
	v_mul_f64_e32 v[170:171], v[166:167], v[10:11]
	v_mul_f64_e32 v[10:11], v[168:169], v[10:11]
	v_fmac_f64_e32 v[180:181], v[6:7], v[174:175]
	v_fma_f64 v[174:175], v[4:5], v[174:175], -v[176:177]
	v_add_f64_e32 v[26:27], v[26:27], v[162:163]
	v_add_f64_e32 v[172:173], v[164:165], v[172:173]
	ds_load_b128 v[4:7], v2 offset:1936
	ds_load_b128 v[162:165], v2 offset:1952
	v_fmac_f64_e32 v[170:171], v[168:169], v[8:9]
	v_fma_f64 v[8:9], v[166:167], v[8:9], -v[10:11]
	s_wait_loadcnt_dscnt 0x401
	v_mul_f64_e32 v[176:177], v[4:5], v[14:15]
	v_mul_f64_e32 v[14:15], v[6:7], v[14:15]
	s_wait_loadcnt_dscnt 0x300
	v_mul_f64_e32 v[166:167], v[162:163], v[18:19]
	v_mul_f64_e32 v[18:19], v[164:165], v[18:19]
	v_add_f64_e32 v[10:11], v[26:27], v[174:175]
	v_add_f64_e32 v[26:27], v[172:173], v[180:181]
	v_fmac_f64_e32 v[176:177], v[6:7], v[12:13]
	v_fma_f64 v[12:13], v[4:5], v[12:13], -v[14:15]
	v_fmac_f64_e32 v[166:167], v[164:165], v[16:17]
	v_fma_f64 v[16:17], v[162:163], v[16:17], -v[18:19]
	v_add_f64_e32 v[14:15], v[10:11], v[8:9]
	v_add_f64_e32 v[26:27], v[26:27], v[170:171]
	ds_load_b128 v[4:7], v2 offset:1968
	ds_load_b128 v[8:11], v2 offset:1984
	s_wait_loadcnt_dscnt 0x201
	v_mul_f64_e32 v[168:169], v[4:5], v[24:25]
	v_mul_f64_e32 v[24:25], v[6:7], v[24:25]
	s_wait_loadcnt_dscnt 0x100
	v_mul_f64_e32 v[18:19], v[8:9], v[156:157]
	v_add_f64_e32 v[12:13], v[14:15], v[12:13]
	v_add_f64_e32 v[14:15], v[26:27], v[176:177]
	v_mul_f64_e32 v[26:27], v[10:11], v[156:157]
	v_fmac_f64_e32 v[168:169], v[6:7], v[22:23]
	v_fma_f64 v[22:23], v[4:5], v[22:23], -v[24:25]
	ds_load_b128 v[4:7], v2 offset:2000
	v_fmac_f64_e32 v[18:19], v[10:11], v[154:155]
	v_add_f64_e32 v[12:13], v[12:13], v[16:17]
	v_add_f64_e32 v[14:15], v[14:15], v[166:167]
	v_fma_f64 v[8:9], v[8:9], v[154:155], -v[26:27]
	s_wait_loadcnt_dscnt 0x0
	v_mul_f64_e32 v[16:17], v[4:5], v[160:161]
	v_mul_f64_e32 v[24:25], v[6:7], v[160:161]
	v_add_f64_e32 v[10:11], v[12:13], v[22:23]
	v_add_f64_e32 v[12:13], v[14:15], v[168:169]
	s_delay_alu instid0(VALU_DEP_4) | instskip(NEXT) | instid1(VALU_DEP_4)
	v_fmac_f64_e32 v[16:17], v[6:7], v[158:159]
	v_fma_f64 v[4:5], v[4:5], v[158:159], -v[24:25]
	s_delay_alu instid0(VALU_DEP_4) | instskip(NEXT) | instid1(VALU_DEP_4)
	v_add_f64_e32 v[6:7], v[10:11], v[8:9]
	v_add_f64_e32 v[8:9], v[12:13], v[18:19]
	s_delay_alu instid0(VALU_DEP_2) | instskip(NEXT) | instid1(VALU_DEP_2)
	v_add_f64_e32 v[4:5], v[6:7], v[4:5]
	v_add_f64_e32 v[6:7], v[8:9], v[16:17]
	s_delay_alu instid0(VALU_DEP_2) | instskip(NEXT) | instid1(VALU_DEP_2)
	v_add_f64_e64 v[4:5], v[182:183], -v[4:5]
	v_add_f64_e64 v[6:7], v[184:185], -v[6:7]
	scratch_store_b128 off, v[4:7], off offset:688
	s_wait_xcnt 0x0
	v_cmpx_lt_u32_e32 42, v1
	s_cbranch_execz .LBB62_319
; %bb.318:
	scratch_load_b128 v[6:9], off, s36
	v_dual_mov_b32 v3, v2 :: v_dual_mov_b32 v4, v2
	v_mov_b32_e32 v5, v2
	scratch_store_b128 off, v[2:5], off offset:672
	s_wait_loadcnt 0x0
	ds_store_b128 v20, v[6:9]
.LBB62_319:
	s_wait_xcnt 0x0
	s_or_b32 exec_lo, exec_lo, s2
	s_wait_storecnt_dscnt 0x0
	s_barrier_signal -1
	s_barrier_wait -1
	s_clause 0x9
	scratch_load_b128 v[4:7], off, off offset:688
	scratch_load_b128 v[8:11], off, off offset:704
	;; [unrolled: 1-line block ×10, first 2 shown]
	ds_load_b128 v[174:177], v2 offset:1696
	ds_load_b128 v[182:185], v2 offset:1712
	s_clause 0x2
	scratch_load_b128 v[178:181], off, off offset:848
	scratch_load_b128 v[186:189], off, off offset:672
	scratch_load_b128 v[190:193], off, off offset:864
	s_mov_b32 s2, exec_lo
	s_wait_loadcnt_dscnt 0xc01
	v_mul_f64_e32 v[26:27], v[176:177], v[6:7]
	v_mul_f64_e32 v[198:199], v[174:175], v[6:7]
	s_wait_loadcnt_dscnt 0xb00
	v_mul_f64_e32 v[200:201], v[182:183], v[10:11]
	v_mul_f64_e32 v[10:11], v[184:185], v[10:11]
	s_delay_alu instid0(VALU_DEP_4) | instskip(NEXT) | instid1(VALU_DEP_4)
	v_fma_f64 v[26:27], v[174:175], v[4:5], -v[26:27]
	v_fmac_f64_e32 v[198:199], v[176:177], v[4:5]
	ds_load_b128 v[4:7], v2 offset:1728
	ds_load_b128 v[174:177], v2 offset:1744
	scratch_load_b128 v[194:197], off, off offset:880
	v_fmac_f64_e32 v[200:201], v[184:185], v[8:9]
	v_fma_f64 v[182:183], v[182:183], v[8:9], -v[10:11]
	scratch_load_b128 v[8:11], off, off offset:896
	s_wait_loadcnt_dscnt 0xc01
	v_mul_f64_e32 v[202:203], v[4:5], v[14:15]
	v_mul_f64_e32 v[14:15], v[6:7], v[14:15]
	v_add_f64_e32 v[26:27], 0, v[26:27]
	v_add_f64_e32 v[184:185], 0, v[198:199]
	s_wait_loadcnt_dscnt 0xb00
	v_mul_f64_e32 v[198:199], v[174:175], v[18:19]
	v_mul_f64_e32 v[18:19], v[176:177], v[18:19]
	v_fmac_f64_e32 v[202:203], v[6:7], v[12:13]
	v_fma_f64 v[204:205], v[4:5], v[12:13], -v[14:15]
	ds_load_b128 v[4:7], v2 offset:1760
	ds_load_b128 v[12:15], v2 offset:1776
	v_add_f64_e32 v[26:27], v[26:27], v[182:183]
	v_add_f64_e32 v[200:201], v[184:185], v[200:201]
	scratch_load_b128 v[182:185], off, off offset:912
	v_fmac_f64_e32 v[198:199], v[176:177], v[16:17]
	v_fma_f64 v[174:175], v[174:175], v[16:17], -v[18:19]
	scratch_load_b128 v[16:19], off, off offset:928
	s_wait_loadcnt_dscnt 0xc01
	v_mul_f64_e32 v[206:207], v[4:5], v[24:25]
	v_mul_f64_e32 v[24:25], v[6:7], v[24:25]
	v_add_f64_e32 v[26:27], v[26:27], v[204:205]
	v_add_f64_e32 v[176:177], v[200:201], v[202:203]
	s_wait_loadcnt_dscnt 0xb00
	v_mul_f64_e32 v[200:201], v[12:13], v[156:157]
	v_mul_f64_e32 v[156:157], v[14:15], v[156:157]
	v_fmac_f64_e32 v[206:207], v[6:7], v[22:23]
	v_fma_f64 v[202:203], v[4:5], v[22:23], -v[24:25]
	ds_load_b128 v[4:7], v2 offset:1792
	ds_load_b128 v[22:25], v2 offset:1808
	s_wait_loadcnt_dscnt 0xa01
	v_mul_f64_e32 v[204:205], v[4:5], v[160:161]
	v_add_f64_e32 v[26:27], v[26:27], v[174:175]
	v_add_f64_e32 v[198:199], v[176:177], v[198:199]
	scratch_load_b128 v[174:177], off, off offset:944
	v_mul_f64_e32 v[160:161], v[6:7], v[160:161]
	v_fmac_f64_e32 v[200:201], v[14:15], v[154:155]
	v_fma_f64 v[154:155], v[12:13], v[154:155], -v[156:157]
	scratch_load_b128 v[12:15], off, off offset:960
	v_fmac_f64_e32 v[204:205], v[6:7], v[158:159]
	v_add_f64_e32 v[26:27], v[26:27], v[202:203]
	v_add_f64_e32 v[156:157], v[198:199], v[206:207]
	s_wait_loadcnt_dscnt 0xb00
	v_mul_f64_e32 v[198:199], v[22:23], v[164:165]
	v_mul_f64_e32 v[164:165], v[24:25], v[164:165]
	v_fma_f64 v[202:203], v[4:5], v[158:159], -v[160:161]
	v_add_f64_e32 v[26:27], v[26:27], v[154:155]
	v_add_f64_e32 v[200:201], v[156:157], v[200:201]
	ds_load_b128 v[4:7], v2 offset:1824
	ds_load_b128 v[154:157], v2 offset:1840
	scratch_load_b128 v[158:161], off, off offset:976
	v_fmac_f64_e32 v[198:199], v[24:25], v[162:163]
	v_fma_f64 v[162:163], v[22:23], v[162:163], -v[164:165]
	scratch_load_b128 v[22:25], off, off offset:992
	s_wait_loadcnt_dscnt 0xc01
	v_mul_f64_e32 v[206:207], v[4:5], v[168:169]
	v_mul_f64_e32 v[168:169], v[6:7], v[168:169]
	v_add_f64_e32 v[26:27], v[26:27], v[202:203]
	v_add_f64_e32 v[164:165], v[200:201], v[204:205]
	s_wait_loadcnt_dscnt 0xb00
	v_mul_f64_e32 v[200:201], v[154:155], v[172:173]
	v_mul_f64_e32 v[172:173], v[156:157], v[172:173]
	v_fmac_f64_e32 v[206:207], v[6:7], v[166:167]
	v_fma_f64 v[166:167], v[4:5], v[166:167], -v[168:169]
	v_add_f64_e32 v[26:27], v[26:27], v[162:163]
	v_add_f64_e32 v[168:169], v[164:165], v[198:199]
	ds_load_b128 v[4:7], v2 offset:1856
	ds_load_b128 v[162:165], v2 offset:1872
	v_fmac_f64_e32 v[200:201], v[156:157], v[170:171]
	v_fma_f64 v[154:155], v[154:155], v[170:171], -v[172:173]
	s_wait_loadcnt_dscnt 0xa01
	v_mul_f64_e32 v[198:199], v[4:5], v[180:181]
	v_mul_f64_e32 v[180:181], v[6:7], v[180:181]
	v_add_f64_e32 v[26:27], v[26:27], v[166:167]
	v_add_f64_e32 v[156:157], v[168:169], v[206:207]
	s_wait_loadcnt_dscnt 0x800
	v_mul_f64_e32 v[166:167], v[162:163], v[192:193]
	v_mul_f64_e32 v[168:169], v[164:165], v[192:193]
	v_fmac_f64_e32 v[198:199], v[6:7], v[178:179]
	v_fma_f64 v[170:171], v[4:5], v[178:179], -v[180:181]
	v_add_f64_e32 v[26:27], v[26:27], v[154:155]
	v_add_f64_e32 v[172:173], v[156:157], v[200:201]
	ds_load_b128 v[4:7], v2 offset:1888
	ds_load_b128 v[154:157], v2 offset:1904
	v_fmac_f64_e32 v[166:167], v[164:165], v[190:191]
	v_fma_f64 v[162:163], v[162:163], v[190:191], -v[168:169]
	s_wait_loadcnt_dscnt 0x701
	v_mul_f64_e32 v[178:179], v[4:5], v[196:197]
	v_mul_f64_e32 v[180:181], v[6:7], v[196:197]
	s_wait_loadcnt_dscnt 0x600
	v_mul_f64_e32 v[168:169], v[154:155], v[10:11]
	v_mul_f64_e32 v[10:11], v[156:157], v[10:11]
	v_add_f64_e32 v[26:27], v[26:27], v[170:171]
	v_add_f64_e32 v[164:165], v[172:173], v[198:199]
	v_fmac_f64_e32 v[178:179], v[6:7], v[194:195]
	v_fma_f64 v[170:171], v[4:5], v[194:195], -v[180:181]
	v_fmac_f64_e32 v[168:169], v[156:157], v[8:9]
	v_fma_f64 v[8:9], v[154:155], v[8:9], -v[10:11]
	v_add_f64_e32 v[26:27], v[26:27], v[162:163]
	v_add_f64_e32 v[166:167], v[164:165], v[166:167]
	ds_load_b128 v[4:7], v2 offset:1920
	ds_load_b128 v[162:165], v2 offset:1936
	s_wait_loadcnt_dscnt 0x501
	v_mul_f64_e32 v[172:173], v[4:5], v[184:185]
	v_mul_f64_e32 v[180:181], v[6:7], v[184:185]
	s_wait_loadcnt_dscnt 0x400
	v_mul_f64_e32 v[154:155], v[162:163], v[18:19]
	v_mul_f64_e32 v[18:19], v[164:165], v[18:19]
	v_add_f64_e32 v[10:11], v[26:27], v[170:171]
	v_add_f64_e32 v[26:27], v[166:167], v[178:179]
	v_fmac_f64_e32 v[172:173], v[6:7], v[182:183]
	v_fma_f64 v[156:157], v[4:5], v[182:183], -v[180:181]
	v_fmac_f64_e32 v[154:155], v[164:165], v[16:17]
	v_fma_f64 v[16:17], v[162:163], v[16:17], -v[18:19]
	v_add_f64_e32 v[166:167], v[10:11], v[8:9]
	v_add_f64_e32 v[26:27], v[26:27], v[168:169]
	ds_load_b128 v[4:7], v2 offset:1952
	ds_load_b128 v[8:11], v2 offset:1968
	s_wait_loadcnt_dscnt 0x301
	v_mul_f64_e32 v[168:169], v[4:5], v[176:177]
	v_mul_f64_e32 v[170:171], v[6:7], v[176:177]
	s_wait_loadcnt_dscnt 0x200
	v_mul_f64_e32 v[162:163], v[10:11], v[14:15]
	v_add_f64_e32 v[18:19], v[166:167], v[156:157]
	v_add_f64_e32 v[26:27], v[26:27], v[172:173]
	v_mul_f64_e32 v[156:157], v[8:9], v[14:15]
	v_fmac_f64_e32 v[168:169], v[6:7], v[174:175]
	v_fma_f64 v[164:165], v[4:5], v[174:175], -v[170:171]
	v_fma_f64 v[8:9], v[8:9], v[12:13], -v[162:163]
	v_add_f64_e32 v[18:19], v[18:19], v[16:17]
	v_add_f64_e32 v[26:27], v[26:27], v[154:155]
	ds_load_b128 v[4:7], v2 offset:1984
	ds_load_b128 v[14:17], v2 offset:2000
	v_fmac_f64_e32 v[156:157], v[10:11], v[12:13]
	s_wait_loadcnt_dscnt 0x101
	v_mul_f64_e32 v[2:3], v[4:5], v[160:161]
	v_mul_f64_e32 v[154:155], v[6:7], v[160:161]
	v_add_f64_e32 v[10:11], v[18:19], v[164:165]
	v_add_f64_e32 v[12:13], v[26:27], v[168:169]
	s_wait_loadcnt_dscnt 0x0
	v_mul_f64_e32 v[18:19], v[14:15], v[24:25]
	v_mul_f64_e32 v[24:25], v[16:17], v[24:25]
	v_fmac_f64_e32 v[2:3], v[6:7], v[158:159]
	v_fma_f64 v[4:5], v[4:5], v[158:159], -v[154:155]
	v_add_f64_e32 v[6:7], v[10:11], v[8:9]
	v_add_f64_e32 v[8:9], v[12:13], v[156:157]
	v_fmac_f64_e32 v[18:19], v[16:17], v[22:23]
	v_fma_f64 v[10:11], v[14:15], v[22:23], -v[24:25]
	s_delay_alu instid0(VALU_DEP_4) | instskip(NEXT) | instid1(VALU_DEP_4)
	v_add_f64_e32 v[4:5], v[6:7], v[4:5]
	v_add_f64_e32 v[2:3], v[8:9], v[2:3]
	s_delay_alu instid0(VALU_DEP_2) | instskip(NEXT) | instid1(VALU_DEP_2)
	v_add_f64_e32 v[4:5], v[4:5], v[10:11]
	v_add_f64_e32 v[6:7], v[2:3], v[18:19]
	s_delay_alu instid0(VALU_DEP_2) | instskip(NEXT) | instid1(VALU_DEP_2)
	v_add_f64_e64 v[2:3], v[186:187], -v[4:5]
	v_add_f64_e64 v[4:5], v[188:189], -v[6:7]
	scratch_store_b128 off, v[2:5], off offset:672
	s_wait_xcnt 0x0
	v_cmpx_lt_u32_e32 41, v1
	s_cbranch_execz .LBB62_321
; %bb.320:
	scratch_load_b128 v[2:5], off, s35
	v_mov_b32_e32 v6, 0
	s_delay_alu instid0(VALU_DEP_1)
	v_dual_mov_b32 v7, v6 :: v_dual_mov_b32 v8, v6
	v_mov_b32_e32 v9, v6
	scratch_store_b128 off, v[6:9], off offset:656
	s_wait_loadcnt 0x0
	ds_store_b128 v20, v[2:5]
.LBB62_321:
	s_wait_xcnt 0x0
	s_or_b32 exec_lo, exec_lo, s2
	s_wait_storecnt_dscnt 0x0
	s_barrier_signal -1
	s_barrier_wait -1
	s_clause 0x9
	scratch_load_b128 v[4:7], off, off offset:672
	scratch_load_b128 v[8:11], off, off offset:688
	;; [unrolled: 1-line block ×10, first 2 shown]
	v_mov_b32_e32 v2, 0
	s_mov_b32 s2, exec_lo
	ds_load_b128 v[174:177], v2 offset:1680
	s_clause 0x2
	scratch_load_b128 v[178:181], off, off offset:832
	scratch_load_b128 v[182:185], off, off offset:656
	;; [unrolled: 1-line block ×3, first 2 shown]
	s_wait_loadcnt_dscnt 0xc00
	v_mul_f64_e32 v[26:27], v[176:177], v[6:7]
	v_mul_f64_e32 v[198:199], v[174:175], v[6:7]
	ds_load_b128 v[186:189], v2 offset:1696
	ds_load_b128 v[194:197], v2 offset:1728
	v_fma_f64 v[26:27], v[174:175], v[4:5], -v[26:27]
	v_fmac_f64_e32 v[198:199], v[176:177], v[4:5]
	ds_load_b128 v[4:7], v2 offset:1712
	s_wait_loadcnt_dscnt 0xb02
	v_mul_f64_e32 v[200:201], v[186:187], v[10:11]
	v_mul_f64_e32 v[10:11], v[188:189], v[10:11]
	scratch_load_b128 v[174:177], off, off offset:864
	s_wait_loadcnt_dscnt 0xb00
	v_mul_f64_e32 v[202:203], v[4:5], v[14:15]
	v_mul_f64_e32 v[14:15], v[6:7], v[14:15]
	v_add_f64_e32 v[26:27], 0, v[26:27]
	v_fmac_f64_e32 v[200:201], v[188:189], v[8:9]
	v_fma_f64 v[186:187], v[186:187], v[8:9], -v[10:11]
	v_add_f64_e32 v[188:189], 0, v[198:199]
	scratch_load_b128 v[8:11], off, off offset:880
	v_fmac_f64_e32 v[202:203], v[6:7], v[12:13]
	v_fma_f64 v[204:205], v[4:5], v[12:13], -v[14:15]
	ds_load_b128 v[4:7], v2 offset:1744
	s_wait_loadcnt 0xb
	v_mul_f64_e32 v[198:199], v[194:195], v[18:19]
	v_mul_f64_e32 v[18:19], v[196:197], v[18:19]
	scratch_load_b128 v[12:15], off, off offset:896
	v_add_f64_e32 v[26:27], v[26:27], v[186:187]
	v_add_f64_e32 v[200:201], v[188:189], v[200:201]
	ds_load_b128 v[186:189], v2 offset:1760
	s_wait_loadcnt_dscnt 0xb01
	v_mul_f64_e32 v[206:207], v[4:5], v[24:25]
	v_mul_f64_e32 v[24:25], v[6:7], v[24:25]
	v_fmac_f64_e32 v[198:199], v[196:197], v[16:17]
	v_fma_f64 v[194:195], v[194:195], v[16:17], -v[18:19]
	scratch_load_b128 v[16:19], off, off offset:912
	v_add_f64_e32 v[26:27], v[26:27], v[204:205]
	v_add_f64_e32 v[196:197], v[200:201], v[202:203]
	v_fmac_f64_e32 v[206:207], v[6:7], v[22:23]
	v_fma_f64 v[202:203], v[4:5], v[22:23], -v[24:25]
	ds_load_b128 v[4:7], v2 offset:1776
	s_wait_loadcnt_dscnt 0xb01
	v_mul_f64_e32 v[200:201], v[186:187], v[156:157]
	v_mul_f64_e32 v[156:157], v[188:189], v[156:157]
	scratch_load_b128 v[22:25], off, off offset:928
	s_wait_loadcnt_dscnt 0xb00
	v_mul_f64_e32 v[204:205], v[4:5], v[160:161]
	v_mul_f64_e32 v[160:161], v[6:7], v[160:161]
	v_add_f64_e32 v[26:27], v[26:27], v[194:195]
	v_add_f64_e32 v[198:199], v[196:197], v[198:199]
	ds_load_b128 v[194:197], v2 offset:1792
	v_fmac_f64_e32 v[200:201], v[188:189], v[154:155]
	v_fma_f64 v[186:187], v[186:187], v[154:155], -v[156:157]
	scratch_load_b128 v[154:157], off, off offset:944
	v_fmac_f64_e32 v[204:205], v[6:7], v[158:159]
	v_add_f64_e32 v[26:27], v[26:27], v[202:203]
	v_add_f64_e32 v[188:189], v[198:199], v[206:207]
	v_fma_f64 v[202:203], v[4:5], v[158:159], -v[160:161]
	ds_load_b128 v[4:7], v2 offset:1808
	s_wait_loadcnt_dscnt 0xb01
	v_mul_f64_e32 v[198:199], v[194:195], v[164:165]
	v_mul_f64_e32 v[164:165], v[196:197], v[164:165]
	scratch_load_b128 v[158:161], off, off offset:960
	s_wait_loadcnt_dscnt 0xb00
	v_mul_f64_e32 v[206:207], v[4:5], v[168:169]
	v_mul_f64_e32 v[168:169], v[6:7], v[168:169]
	v_add_f64_e32 v[26:27], v[26:27], v[186:187]
	v_add_f64_e32 v[200:201], v[188:189], v[200:201]
	ds_load_b128 v[186:189], v2 offset:1824
	v_fmac_f64_e32 v[198:199], v[196:197], v[162:163]
	v_fma_f64 v[194:195], v[194:195], v[162:163], -v[164:165]
	scratch_load_b128 v[162:165], off, off offset:976
	v_fmac_f64_e32 v[206:207], v[6:7], v[166:167]
	v_add_f64_e32 v[26:27], v[26:27], v[202:203]
	v_add_f64_e32 v[196:197], v[200:201], v[204:205]
	v_fma_f64 v[202:203], v[4:5], v[166:167], -v[168:169]
	ds_load_b128 v[4:7], v2 offset:1840
	s_wait_loadcnt_dscnt 0xb01
	v_mul_f64_e32 v[200:201], v[186:187], v[172:173]
	v_mul_f64_e32 v[172:173], v[188:189], v[172:173]
	scratch_load_b128 v[166:169], off, off offset:992
	s_wait_loadcnt_dscnt 0xb00
	v_mul_f64_e32 v[204:205], v[4:5], v[180:181]
	v_mul_f64_e32 v[180:181], v[6:7], v[180:181]
	v_add_f64_e32 v[26:27], v[26:27], v[194:195]
	v_add_f64_e32 v[198:199], v[196:197], v[198:199]
	ds_load_b128 v[194:197], v2 offset:1856
	v_fmac_f64_e32 v[200:201], v[188:189], v[170:171]
	v_fma_f64 v[170:171], v[186:187], v[170:171], -v[172:173]
	s_wait_loadcnt_dscnt 0x900
	v_mul_f64_e32 v[186:187], v[194:195], v[192:193]
	v_mul_f64_e32 v[188:189], v[196:197], v[192:193]
	v_fmac_f64_e32 v[204:205], v[6:7], v[178:179]
	v_fma_f64 v[178:179], v[4:5], v[178:179], -v[180:181]
	v_add_f64_e32 v[26:27], v[26:27], v[202:203]
	v_add_f64_e32 v[172:173], v[198:199], v[206:207]
	v_fmac_f64_e32 v[186:187], v[196:197], v[190:191]
	v_fma_f64 v[188:189], v[194:195], v[190:191], -v[188:189]
	s_delay_alu instid0(VALU_DEP_4) | instskip(NEXT) | instid1(VALU_DEP_4)
	v_add_f64_e32 v[26:27], v[26:27], v[170:171]
	v_add_f64_e32 v[180:181], v[172:173], v[200:201]
	ds_load_b128 v[4:7], v2 offset:1872
	ds_load_b128 v[170:173], v2 offset:1888
	s_wait_loadcnt_dscnt 0x801
	v_mul_f64_e32 v[192:193], v[4:5], v[176:177]
	v_mul_f64_e32 v[176:177], v[6:7], v[176:177]
	v_add_f64_e32 v[26:27], v[26:27], v[178:179]
	v_add_f64_e32 v[178:179], v[180:181], v[204:205]
	s_wait_loadcnt_dscnt 0x700
	v_mul_f64_e32 v[180:181], v[170:171], v[10:11]
	v_mul_f64_e32 v[10:11], v[172:173], v[10:11]
	v_fmac_f64_e32 v[192:193], v[6:7], v[174:175]
	v_fma_f64 v[190:191], v[4:5], v[174:175], -v[176:177]
	ds_load_b128 v[4:7], v2 offset:1904
	ds_load_b128 v[174:177], v2 offset:1920
	v_add_f64_e32 v[26:27], v[26:27], v[188:189]
	v_add_f64_e32 v[178:179], v[178:179], v[186:187]
	v_fmac_f64_e32 v[180:181], v[172:173], v[8:9]
	v_fma_f64 v[8:9], v[170:171], v[8:9], -v[10:11]
	s_wait_loadcnt_dscnt 0x601
	v_mul_f64_e32 v[186:187], v[4:5], v[14:15]
	v_mul_f64_e32 v[14:15], v[6:7], v[14:15]
	s_wait_loadcnt_dscnt 0x500
	v_mul_f64_e32 v[170:171], v[174:175], v[18:19]
	v_mul_f64_e32 v[18:19], v[176:177], v[18:19]
	v_add_f64_e32 v[10:11], v[26:27], v[190:191]
	v_add_f64_e32 v[26:27], v[178:179], v[192:193]
	v_fmac_f64_e32 v[186:187], v[6:7], v[12:13]
	v_fma_f64 v[12:13], v[4:5], v[12:13], -v[14:15]
	v_fmac_f64_e32 v[170:171], v[176:177], v[16:17]
	v_fma_f64 v[16:17], v[174:175], v[16:17], -v[18:19]
	v_add_f64_e32 v[14:15], v[10:11], v[8:9]
	v_add_f64_e32 v[26:27], v[26:27], v[180:181]
	ds_load_b128 v[4:7], v2 offset:1936
	ds_load_b128 v[8:11], v2 offset:1952
	s_wait_loadcnt_dscnt 0x401
	v_mul_f64_e32 v[172:173], v[4:5], v[24:25]
	v_mul_f64_e32 v[24:25], v[6:7], v[24:25]
	s_wait_loadcnt_dscnt 0x300
	v_mul_f64_e32 v[18:19], v[8:9], v[156:157]
	v_add_f64_e32 v[12:13], v[14:15], v[12:13]
	v_add_f64_e32 v[14:15], v[26:27], v[186:187]
	v_mul_f64_e32 v[26:27], v[10:11], v[156:157]
	v_fmac_f64_e32 v[172:173], v[6:7], v[22:23]
	v_fma_f64 v[22:23], v[4:5], v[22:23], -v[24:25]
	v_fmac_f64_e32 v[18:19], v[10:11], v[154:155]
	v_add_f64_e32 v[16:17], v[12:13], v[16:17]
	v_add_f64_e32 v[24:25], v[14:15], v[170:171]
	ds_load_b128 v[4:7], v2 offset:1968
	ds_load_b128 v[12:15], v2 offset:1984
	v_fma_f64 v[8:9], v[8:9], v[154:155], -v[26:27]
	s_wait_loadcnt_dscnt 0x201
	v_mul_f64_e32 v[156:157], v[4:5], v[160:161]
	v_mul_f64_e32 v[160:161], v[6:7], v[160:161]
	v_add_f64_e32 v[10:11], v[16:17], v[22:23]
	v_add_f64_e32 v[16:17], v[24:25], v[172:173]
	s_wait_loadcnt_dscnt 0x100
	v_mul_f64_e32 v[22:23], v[12:13], v[164:165]
	v_mul_f64_e32 v[24:25], v[14:15], v[164:165]
	v_fmac_f64_e32 v[156:157], v[6:7], v[158:159]
	v_fma_f64 v[26:27], v[4:5], v[158:159], -v[160:161]
	ds_load_b128 v[4:7], v2 offset:2000
	v_add_f64_e32 v[8:9], v[10:11], v[8:9]
	v_add_f64_e32 v[10:11], v[16:17], v[18:19]
	v_fmac_f64_e32 v[22:23], v[14:15], v[162:163]
	v_fma_f64 v[12:13], v[12:13], v[162:163], -v[24:25]
	s_wait_loadcnt_dscnt 0x0
	v_mul_f64_e32 v[16:17], v[4:5], v[168:169]
	v_mul_f64_e32 v[18:19], v[6:7], v[168:169]
	v_add_f64_e32 v[8:9], v[8:9], v[26:27]
	v_add_f64_e32 v[10:11], v[10:11], v[156:157]
	s_delay_alu instid0(VALU_DEP_4) | instskip(NEXT) | instid1(VALU_DEP_4)
	v_fmac_f64_e32 v[16:17], v[6:7], v[166:167]
	v_fma_f64 v[4:5], v[4:5], v[166:167], -v[18:19]
	s_delay_alu instid0(VALU_DEP_4) | instskip(NEXT) | instid1(VALU_DEP_4)
	v_add_f64_e32 v[6:7], v[8:9], v[12:13]
	v_add_f64_e32 v[8:9], v[10:11], v[22:23]
	s_delay_alu instid0(VALU_DEP_2) | instskip(NEXT) | instid1(VALU_DEP_2)
	v_add_f64_e32 v[4:5], v[6:7], v[4:5]
	v_add_f64_e32 v[6:7], v[8:9], v[16:17]
	s_delay_alu instid0(VALU_DEP_2) | instskip(NEXT) | instid1(VALU_DEP_2)
	v_add_f64_e64 v[4:5], v[182:183], -v[4:5]
	v_add_f64_e64 v[6:7], v[184:185], -v[6:7]
	scratch_store_b128 off, v[4:7], off offset:656
	s_wait_xcnt 0x0
	v_cmpx_lt_u32_e32 40, v1
	s_cbranch_execz .LBB62_323
; %bb.322:
	scratch_load_b128 v[6:9], off, s38
	v_dual_mov_b32 v3, v2 :: v_dual_mov_b32 v4, v2
	v_mov_b32_e32 v5, v2
	scratch_store_b128 off, v[2:5], off offset:640
	s_wait_loadcnt 0x0
	ds_store_b128 v20, v[6:9]
.LBB62_323:
	s_wait_xcnt 0x0
	s_or_b32 exec_lo, exec_lo, s2
	s_wait_storecnt_dscnt 0x0
	s_barrier_signal -1
	s_barrier_wait -1
	s_clause 0x9
	scratch_load_b128 v[4:7], off, off offset:656
	scratch_load_b128 v[8:11], off, off offset:672
	;; [unrolled: 1-line block ×10, first 2 shown]
	ds_load_b128 v[174:177], v2 offset:1664
	ds_load_b128 v[182:185], v2 offset:1680
	s_clause 0x2
	scratch_load_b128 v[178:181], off, off offset:816
	scratch_load_b128 v[186:189], off, off offset:640
	;; [unrolled: 1-line block ×3, first 2 shown]
	s_mov_b32 s2, exec_lo
	s_wait_loadcnt_dscnt 0xc01
	v_mul_f64_e32 v[26:27], v[176:177], v[6:7]
	v_mul_f64_e32 v[198:199], v[174:175], v[6:7]
	s_wait_loadcnt_dscnt 0xb00
	v_mul_f64_e32 v[200:201], v[182:183], v[10:11]
	v_mul_f64_e32 v[10:11], v[184:185], v[10:11]
	s_delay_alu instid0(VALU_DEP_4) | instskip(NEXT) | instid1(VALU_DEP_4)
	v_fma_f64 v[26:27], v[174:175], v[4:5], -v[26:27]
	v_fmac_f64_e32 v[198:199], v[176:177], v[4:5]
	ds_load_b128 v[4:7], v2 offset:1696
	ds_load_b128 v[174:177], v2 offset:1712
	scratch_load_b128 v[194:197], off, off offset:848
	v_fmac_f64_e32 v[200:201], v[184:185], v[8:9]
	v_fma_f64 v[182:183], v[182:183], v[8:9], -v[10:11]
	scratch_load_b128 v[8:11], off, off offset:864
	s_wait_loadcnt_dscnt 0xc01
	v_mul_f64_e32 v[202:203], v[4:5], v[14:15]
	v_mul_f64_e32 v[14:15], v[6:7], v[14:15]
	v_add_f64_e32 v[26:27], 0, v[26:27]
	v_add_f64_e32 v[184:185], 0, v[198:199]
	s_wait_loadcnt_dscnt 0xb00
	v_mul_f64_e32 v[198:199], v[174:175], v[18:19]
	v_mul_f64_e32 v[18:19], v[176:177], v[18:19]
	v_fmac_f64_e32 v[202:203], v[6:7], v[12:13]
	v_fma_f64 v[204:205], v[4:5], v[12:13], -v[14:15]
	ds_load_b128 v[4:7], v2 offset:1728
	ds_load_b128 v[12:15], v2 offset:1744
	v_add_f64_e32 v[26:27], v[26:27], v[182:183]
	v_add_f64_e32 v[200:201], v[184:185], v[200:201]
	scratch_load_b128 v[182:185], off, off offset:880
	v_fmac_f64_e32 v[198:199], v[176:177], v[16:17]
	v_fma_f64 v[174:175], v[174:175], v[16:17], -v[18:19]
	scratch_load_b128 v[16:19], off, off offset:896
	s_wait_loadcnt_dscnt 0xc01
	v_mul_f64_e32 v[206:207], v[4:5], v[24:25]
	v_mul_f64_e32 v[24:25], v[6:7], v[24:25]
	v_add_f64_e32 v[26:27], v[26:27], v[204:205]
	v_add_f64_e32 v[176:177], v[200:201], v[202:203]
	s_wait_loadcnt_dscnt 0xb00
	v_mul_f64_e32 v[200:201], v[12:13], v[156:157]
	v_mul_f64_e32 v[156:157], v[14:15], v[156:157]
	v_fmac_f64_e32 v[206:207], v[6:7], v[22:23]
	v_fma_f64 v[202:203], v[4:5], v[22:23], -v[24:25]
	ds_load_b128 v[4:7], v2 offset:1760
	ds_load_b128 v[22:25], v2 offset:1776
	s_wait_loadcnt_dscnt 0xa01
	v_mul_f64_e32 v[204:205], v[4:5], v[160:161]
	v_add_f64_e32 v[26:27], v[26:27], v[174:175]
	v_add_f64_e32 v[198:199], v[176:177], v[198:199]
	scratch_load_b128 v[174:177], off, off offset:912
	v_mul_f64_e32 v[160:161], v[6:7], v[160:161]
	v_fmac_f64_e32 v[200:201], v[14:15], v[154:155]
	v_fma_f64 v[154:155], v[12:13], v[154:155], -v[156:157]
	scratch_load_b128 v[12:15], off, off offset:928
	v_fmac_f64_e32 v[204:205], v[6:7], v[158:159]
	v_add_f64_e32 v[26:27], v[26:27], v[202:203]
	v_add_f64_e32 v[156:157], v[198:199], v[206:207]
	s_wait_loadcnt_dscnt 0xb00
	v_mul_f64_e32 v[198:199], v[22:23], v[164:165]
	v_mul_f64_e32 v[164:165], v[24:25], v[164:165]
	v_fma_f64 v[202:203], v[4:5], v[158:159], -v[160:161]
	v_add_f64_e32 v[26:27], v[26:27], v[154:155]
	v_add_f64_e32 v[200:201], v[156:157], v[200:201]
	ds_load_b128 v[4:7], v2 offset:1792
	ds_load_b128 v[154:157], v2 offset:1808
	scratch_load_b128 v[158:161], off, off offset:944
	v_fmac_f64_e32 v[198:199], v[24:25], v[162:163]
	v_fma_f64 v[162:163], v[22:23], v[162:163], -v[164:165]
	scratch_load_b128 v[22:25], off, off offset:960
	s_wait_loadcnt_dscnt 0xc01
	v_mul_f64_e32 v[206:207], v[4:5], v[168:169]
	v_mul_f64_e32 v[168:169], v[6:7], v[168:169]
	v_add_f64_e32 v[26:27], v[26:27], v[202:203]
	v_add_f64_e32 v[164:165], v[200:201], v[204:205]
	s_wait_loadcnt_dscnt 0xb00
	v_mul_f64_e32 v[200:201], v[154:155], v[172:173]
	v_mul_f64_e32 v[172:173], v[156:157], v[172:173]
	v_fmac_f64_e32 v[206:207], v[6:7], v[166:167]
	v_fma_f64 v[202:203], v[4:5], v[166:167], -v[168:169]
	v_add_f64_e32 v[26:27], v[26:27], v[162:163]
	v_add_f64_e32 v[198:199], v[164:165], v[198:199]
	ds_load_b128 v[4:7], v2 offset:1824
	ds_load_b128 v[162:165], v2 offset:1840
	scratch_load_b128 v[166:169], off, off offset:976
	v_fmac_f64_e32 v[200:201], v[156:157], v[170:171]
	v_fma_f64 v[170:171], v[154:155], v[170:171], -v[172:173]
	scratch_load_b128 v[154:157], off, off offset:992
	s_wait_loadcnt_dscnt 0xc01
	v_mul_f64_e32 v[204:205], v[4:5], v[180:181]
	v_mul_f64_e32 v[180:181], v[6:7], v[180:181]
	v_add_f64_e32 v[26:27], v[26:27], v[202:203]
	v_add_f64_e32 v[172:173], v[198:199], v[206:207]
	s_wait_loadcnt_dscnt 0xa00
	v_mul_f64_e32 v[198:199], v[162:163], v[192:193]
	v_mul_f64_e32 v[192:193], v[164:165], v[192:193]
	v_fmac_f64_e32 v[204:205], v[6:7], v[178:179]
	v_fma_f64 v[178:179], v[4:5], v[178:179], -v[180:181]
	v_add_f64_e32 v[26:27], v[26:27], v[170:171]
	v_add_f64_e32 v[180:181], v[172:173], v[200:201]
	ds_load_b128 v[4:7], v2 offset:1856
	ds_load_b128 v[170:173], v2 offset:1872
	v_fmac_f64_e32 v[198:199], v[164:165], v[190:191]
	v_fma_f64 v[162:163], v[162:163], v[190:191], -v[192:193]
	s_wait_loadcnt_dscnt 0x901
	v_mul_f64_e32 v[200:201], v[4:5], v[196:197]
	v_mul_f64_e32 v[196:197], v[6:7], v[196:197]
	v_add_f64_e32 v[26:27], v[26:27], v[178:179]
	v_add_f64_e32 v[164:165], v[180:181], v[204:205]
	s_wait_loadcnt_dscnt 0x800
	v_mul_f64_e32 v[178:179], v[170:171], v[10:11]
	v_mul_f64_e32 v[10:11], v[172:173], v[10:11]
	v_fmac_f64_e32 v[200:201], v[6:7], v[194:195]
	v_fma_f64 v[180:181], v[4:5], v[194:195], -v[196:197]
	v_add_f64_e32 v[26:27], v[26:27], v[162:163]
	v_add_f64_e32 v[190:191], v[164:165], v[198:199]
	ds_load_b128 v[4:7], v2 offset:1888
	ds_load_b128 v[162:165], v2 offset:1904
	v_fmac_f64_e32 v[178:179], v[172:173], v[8:9]
	v_fma_f64 v[8:9], v[170:171], v[8:9], -v[10:11]
	s_wait_loadcnt_dscnt 0x701
	v_mul_f64_e32 v[192:193], v[4:5], v[184:185]
	v_mul_f64_e32 v[184:185], v[6:7], v[184:185]
	s_wait_loadcnt_dscnt 0x600
	v_mul_f64_e32 v[170:171], v[162:163], v[18:19]
	v_mul_f64_e32 v[18:19], v[164:165], v[18:19]
	v_add_f64_e32 v[10:11], v[26:27], v[180:181]
	v_add_f64_e32 v[26:27], v[190:191], v[200:201]
	v_fmac_f64_e32 v[192:193], v[6:7], v[182:183]
	v_fma_f64 v[172:173], v[4:5], v[182:183], -v[184:185]
	v_fmac_f64_e32 v[170:171], v[164:165], v[16:17]
	v_fma_f64 v[16:17], v[162:163], v[16:17], -v[18:19]
	v_add_f64_e32 v[180:181], v[10:11], v[8:9]
	v_add_f64_e32 v[26:27], v[26:27], v[178:179]
	ds_load_b128 v[4:7], v2 offset:1920
	ds_load_b128 v[8:11], v2 offset:1936
	s_wait_loadcnt_dscnt 0x501
	v_mul_f64_e32 v[178:179], v[4:5], v[176:177]
	v_mul_f64_e32 v[176:177], v[6:7], v[176:177]
	s_wait_loadcnt_dscnt 0x400
	v_mul_f64_e32 v[162:163], v[8:9], v[14:15]
	v_mul_f64_e32 v[164:165], v[10:11], v[14:15]
	v_add_f64_e32 v[18:19], v[180:181], v[172:173]
	v_add_f64_e32 v[26:27], v[26:27], v[192:193]
	v_fmac_f64_e32 v[178:179], v[6:7], v[174:175]
	v_fma_f64 v[172:173], v[4:5], v[174:175], -v[176:177]
	v_fmac_f64_e32 v[162:163], v[10:11], v[12:13]
	v_fma_f64 v[8:9], v[8:9], v[12:13], -v[164:165]
	v_add_f64_e32 v[18:19], v[18:19], v[16:17]
	v_add_f64_e32 v[26:27], v[26:27], v[170:171]
	ds_load_b128 v[4:7], v2 offset:1952
	ds_load_b128 v[14:17], v2 offset:1968
	s_wait_loadcnt_dscnt 0x301
	v_mul_f64_e32 v[170:171], v[4:5], v[160:161]
	v_mul_f64_e32 v[160:161], v[6:7], v[160:161]
	v_add_f64_e32 v[10:11], v[18:19], v[172:173]
	v_add_f64_e32 v[12:13], v[26:27], v[178:179]
	s_wait_loadcnt_dscnt 0x200
	v_mul_f64_e32 v[18:19], v[14:15], v[24:25]
	v_mul_f64_e32 v[24:25], v[16:17], v[24:25]
	v_fmac_f64_e32 v[170:171], v[6:7], v[158:159]
	v_fma_f64 v[26:27], v[4:5], v[158:159], -v[160:161]
	v_add_f64_e32 v[158:159], v[10:11], v[8:9]
	v_add_f64_e32 v[12:13], v[12:13], v[162:163]
	ds_load_b128 v[4:7], v2 offset:1984
	ds_load_b128 v[8:11], v2 offset:2000
	v_fmac_f64_e32 v[18:19], v[16:17], v[22:23]
	v_fma_f64 v[14:15], v[14:15], v[22:23], -v[24:25]
	s_wait_loadcnt_dscnt 0x101
	v_mul_f64_e32 v[2:3], v[4:5], v[168:169]
	v_mul_f64_e32 v[160:161], v[6:7], v[168:169]
	s_wait_loadcnt_dscnt 0x0
	v_mul_f64_e32 v[22:23], v[8:9], v[156:157]
	v_mul_f64_e32 v[24:25], v[10:11], v[156:157]
	v_add_f64_e32 v[16:17], v[158:159], v[26:27]
	v_add_f64_e32 v[12:13], v[12:13], v[170:171]
	v_fmac_f64_e32 v[2:3], v[6:7], v[166:167]
	v_fma_f64 v[4:5], v[4:5], v[166:167], -v[160:161]
	v_fmac_f64_e32 v[22:23], v[10:11], v[154:155]
	v_fma_f64 v[8:9], v[8:9], v[154:155], -v[24:25]
	v_add_f64_e32 v[6:7], v[16:17], v[14:15]
	v_add_f64_e32 v[12:13], v[12:13], v[18:19]
	s_delay_alu instid0(VALU_DEP_2) | instskip(NEXT) | instid1(VALU_DEP_2)
	v_add_f64_e32 v[4:5], v[6:7], v[4:5]
	v_add_f64_e32 v[2:3], v[12:13], v[2:3]
	s_delay_alu instid0(VALU_DEP_2) | instskip(NEXT) | instid1(VALU_DEP_2)
	;; [unrolled: 3-line block ×3, first 2 shown]
	v_add_f64_e64 v[2:3], v[186:187], -v[4:5]
	v_add_f64_e64 v[4:5], v[188:189], -v[6:7]
	scratch_store_b128 off, v[2:5], off offset:640
	s_wait_xcnt 0x0
	v_cmpx_lt_u32_e32 39, v1
	s_cbranch_execz .LBB62_325
; %bb.324:
	scratch_load_b128 v[2:5], off, s37
	v_mov_b32_e32 v6, 0
	s_delay_alu instid0(VALU_DEP_1)
	v_dual_mov_b32 v7, v6 :: v_dual_mov_b32 v8, v6
	v_mov_b32_e32 v9, v6
	scratch_store_b128 off, v[6:9], off offset:624
	s_wait_loadcnt 0x0
	ds_store_b128 v20, v[2:5]
.LBB62_325:
	s_wait_xcnt 0x0
	s_or_b32 exec_lo, exec_lo, s2
	s_wait_storecnt_dscnt 0x0
	s_barrier_signal -1
	s_barrier_wait -1
	s_clause 0x9
	scratch_load_b128 v[4:7], off, off offset:640
	scratch_load_b128 v[8:11], off, off offset:656
	;; [unrolled: 1-line block ×10, first 2 shown]
	v_mov_b32_e32 v2, 0
	s_mov_b32 s2, exec_lo
	ds_load_b128 v[174:177], v2 offset:1648
	s_clause 0x2
	scratch_load_b128 v[178:181], off, off offset:800
	scratch_load_b128 v[182:185], off, off offset:624
	;; [unrolled: 1-line block ×3, first 2 shown]
	s_wait_loadcnt_dscnt 0xc00
	v_mul_f64_e32 v[26:27], v[176:177], v[6:7]
	v_mul_f64_e32 v[198:199], v[174:175], v[6:7]
	ds_load_b128 v[186:189], v2 offset:1664
	ds_load_b128 v[194:197], v2 offset:1696
	v_fma_f64 v[26:27], v[174:175], v[4:5], -v[26:27]
	v_fmac_f64_e32 v[198:199], v[176:177], v[4:5]
	ds_load_b128 v[4:7], v2 offset:1680
	s_wait_loadcnt_dscnt 0xb02
	v_mul_f64_e32 v[200:201], v[186:187], v[10:11]
	v_mul_f64_e32 v[10:11], v[188:189], v[10:11]
	scratch_load_b128 v[174:177], off, off offset:832
	s_wait_loadcnt_dscnt 0xb00
	v_mul_f64_e32 v[202:203], v[4:5], v[14:15]
	v_mul_f64_e32 v[14:15], v[6:7], v[14:15]
	v_add_f64_e32 v[26:27], 0, v[26:27]
	v_fmac_f64_e32 v[200:201], v[188:189], v[8:9]
	v_fma_f64 v[186:187], v[186:187], v[8:9], -v[10:11]
	v_add_f64_e32 v[188:189], 0, v[198:199]
	scratch_load_b128 v[8:11], off, off offset:848
	v_fmac_f64_e32 v[202:203], v[6:7], v[12:13]
	v_fma_f64 v[204:205], v[4:5], v[12:13], -v[14:15]
	ds_load_b128 v[4:7], v2 offset:1712
	s_wait_loadcnt 0xb
	v_mul_f64_e32 v[198:199], v[194:195], v[18:19]
	v_mul_f64_e32 v[18:19], v[196:197], v[18:19]
	scratch_load_b128 v[12:15], off, off offset:864
	v_add_f64_e32 v[26:27], v[26:27], v[186:187]
	v_add_f64_e32 v[200:201], v[188:189], v[200:201]
	ds_load_b128 v[186:189], v2 offset:1728
	s_wait_loadcnt_dscnt 0xb01
	v_mul_f64_e32 v[206:207], v[4:5], v[24:25]
	v_mul_f64_e32 v[24:25], v[6:7], v[24:25]
	v_fmac_f64_e32 v[198:199], v[196:197], v[16:17]
	v_fma_f64 v[194:195], v[194:195], v[16:17], -v[18:19]
	scratch_load_b128 v[16:19], off, off offset:880
	v_add_f64_e32 v[26:27], v[26:27], v[204:205]
	v_add_f64_e32 v[196:197], v[200:201], v[202:203]
	v_fmac_f64_e32 v[206:207], v[6:7], v[22:23]
	v_fma_f64 v[202:203], v[4:5], v[22:23], -v[24:25]
	ds_load_b128 v[4:7], v2 offset:1744
	s_wait_loadcnt_dscnt 0xb01
	v_mul_f64_e32 v[200:201], v[186:187], v[156:157]
	v_mul_f64_e32 v[156:157], v[188:189], v[156:157]
	scratch_load_b128 v[22:25], off, off offset:896
	s_wait_loadcnt_dscnt 0xb00
	v_mul_f64_e32 v[204:205], v[4:5], v[160:161]
	v_mul_f64_e32 v[160:161], v[6:7], v[160:161]
	v_add_f64_e32 v[26:27], v[26:27], v[194:195]
	v_add_f64_e32 v[198:199], v[196:197], v[198:199]
	ds_load_b128 v[194:197], v2 offset:1760
	v_fmac_f64_e32 v[200:201], v[188:189], v[154:155]
	v_fma_f64 v[186:187], v[186:187], v[154:155], -v[156:157]
	scratch_load_b128 v[154:157], off, off offset:912
	v_fmac_f64_e32 v[204:205], v[6:7], v[158:159]
	v_add_f64_e32 v[26:27], v[26:27], v[202:203]
	v_add_f64_e32 v[188:189], v[198:199], v[206:207]
	v_fma_f64 v[202:203], v[4:5], v[158:159], -v[160:161]
	ds_load_b128 v[4:7], v2 offset:1776
	s_wait_loadcnt_dscnt 0xb01
	v_mul_f64_e32 v[198:199], v[194:195], v[164:165]
	v_mul_f64_e32 v[164:165], v[196:197], v[164:165]
	scratch_load_b128 v[158:161], off, off offset:928
	s_wait_loadcnt_dscnt 0xb00
	v_mul_f64_e32 v[206:207], v[4:5], v[168:169]
	v_mul_f64_e32 v[168:169], v[6:7], v[168:169]
	v_add_f64_e32 v[26:27], v[26:27], v[186:187]
	v_add_f64_e32 v[200:201], v[188:189], v[200:201]
	ds_load_b128 v[186:189], v2 offset:1792
	v_fmac_f64_e32 v[198:199], v[196:197], v[162:163]
	v_fma_f64 v[194:195], v[194:195], v[162:163], -v[164:165]
	scratch_load_b128 v[162:165], off, off offset:944
	v_fmac_f64_e32 v[206:207], v[6:7], v[166:167]
	v_add_f64_e32 v[26:27], v[26:27], v[202:203]
	v_add_f64_e32 v[196:197], v[200:201], v[204:205]
	;; [unrolled: 18-line block ×3, first 2 shown]
	v_fma_f64 v[202:203], v[4:5], v[178:179], -v[180:181]
	ds_load_b128 v[4:7], v2 offset:1840
	s_wait_loadcnt_dscnt 0xa01
	v_mul_f64_e32 v[198:199], v[194:195], v[192:193]
	v_mul_f64_e32 v[192:193], v[196:197], v[192:193]
	scratch_load_b128 v[178:181], off, off offset:992
	v_add_f64_e32 v[26:27], v[26:27], v[186:187]
	v_add_f64_e32 v[200:201], v[188:189], v[200:201]
	s_wait_loadcnt_dscnt 0xa00
	v_mul_f64_e32 v[206:207], v[4:5], v[176:177]
	v_mul_f64_e32 v[176:177], v[6:7], v[176:177]
	v_fmac_f64_e32 v[198:199], v[196:197], v[190:191]
	v_fma_f64 v[190:191], v[194:195], v[190:191], -v[192:193]
	ds_load_b128 v[186:189], v2 offset:1856
	v_add_f64_e32 v[26:27], v[26:27], v[202:203]
	v_add_f64_e32 v[192:193], v[200:201], v[204:205]
	s_wait_loadcnt_dscnt 0x900
	v_mul_f64_e32 v[194:195], v[186:187], v[10:11]
	v_mul_f64_e32 v[10:11], v[188:189], v[10:11]
	v_fmac_f64_e32 v[206:207], v[6:7], v[174:175]
	v_fma_f64 v[196:197], v[4:5], v[174:175], -v[176:177]
	ds_load_b128 v[4:7], v2 offset:1872
	ds_load_b128 v[174:177], v2 offset:1888
	v_add_f64_e32 v[26:27], v[26:27], v[190:191]
	v_add_f64_e32 v[190:191], v[192:193], v[198:199]
	s_wait_loadcnt_dscnt 0x801
	v_mul_f64_e32 v[192:193], v[4:5], v[14:15]
	v_mul_f64_e32 v[14:15], v[6:7], v[14:15]
	v_fmac_f64_e32 v[194:195], v[188:189], v[8:9]
	v_fma_f64 v[8:9], v[186:187], v[8:9], -v[10:11]
	s_wait_loadcnt_dscnt 0x700
	v_mul_f64_e32 v[186:187], v[174:175], v[18:19]
	v_mul_f64_e32 v[18:19], v[176:177], v[18:19]
	v_add_f64_e32 v[10:11], v[26:27], v[196:197]
	v_add_f64_e32 v[26:27], v[190:191], v[206:207]
	v_fmac_f64_e32 v[192:193], v[6:7], v[12:13]
	v_fma_f64 v[12:13], v[4:5], v[12:13], -v[14:15]
	v_fmac_f64_e32 v[186:187], v[176:177], v[16:17]
	v_fma_f64 v[16:17], v[174:175], v[16:17], -v[18:19]
	v_add_f64_e32 v[14:15], v[10:11], v[8:9]
	v_add_f64_e32 v[26:27], v[26:27], v[194:195]
	ds_load_b128 v[4:7], v2 offset:1904
	ds_load_b128 v[8:11], v2 offset:1920
	s_wait_loadcnt_dscnt 0x601
	v_mul_f64_e32 v[188:189], v[4:5], v[24:25]
	v_mul_f64_e32 v[24:25], v[6:7], v[24:25]
	s_wait_loadcnt_dscnt 0x500
	v_mul_f64_e32 v[18:19], v[8:9], v[156:157]
	v_add_f64_e32 v[12:13], v[14:15], v[12:13]
	v_add_f64_e32 v[14:15], v[26:27], v[192:193]
	v_mul_f64_e32 v[26:27], v[10:11], v[156:157]
	v_fmac_f64_e32 v[188:189], v[6:7], v[22:23]
	v_fma_f64 v[22:23], v[4:5], v[22:23], -v[24:25]
	v_fmac_f64_e32 v[18:19], v[10:11], v[154:155]
	v_add_f64_e32 v[16:17], v[12:13], v[16:17]
	v_add_f64_e32 v[24:25], v[14:15], v[186:187]
	ds_load_b128 v[4:7], v2 offset:1936
	ds_load_b128 v[12:15], v2 offset:1952
	v_fma_f64 v[8:9], v[8:9], v[154:155], -v[26:27]
	s_wait_loadcnt_dscnt 0x401
	v_mul_f64_e32 v[156:157], v[4:5], v[160:161]
	v_mul_f64_e32 v[160:161], v[6:7], v[160:161]
	v_add_f64_e32 v[10:11], v[16:17], v[22:23]
	v_add_f64_e32 v[16:17], v[24:25], v[188:189]
	s_wait_loadcnt_dscnt 0x300
	v_mul_f64_e32 v[22:23], v[12:13], v[164:165]
	v_mul_f64_e32 v[24:25], v[14:15], v[164:165]
	v_fmac_f64_e32 v[156:157], v[6:7], v[158:159]
	v_fma_f64 v[26:27], v[4:5], v[158:159], -v[160:161]
	v_add_f64_e32 v[154:155], v[10:11], v[8:9]
	v_add_f64_e32 v[16:17], v[16:17], v[18:19]
	ds_load_b128 v[4:7], v2 offset:1968
	ds_load_b128 v[8:11], v2 offset:1984
	v_fmac_f64_e32 v[22:23], v[14:15], v[162:163]
	v_fma_f64 v[12:13], v[12:13], v[162:163], -v[24:25]
	s_wait_loadcnt_dscnt 0x201
	v_mul_f64_e32 v[18:19], v[4:5], v[168:169]
	v_mul_f64_e32 v[158:159], v[6:7], v[168:169]
	s_wait_loadcnt_dscnt 0x100
	v_mul_f64_e32 v[24:25], v[8:9], v[172:173]
	v_add_f64_e32 v[14:15], v[154:155], v[26:27]
	v_add_f64_e32 v[16:17], v[16:17], v[156:157]
	v_mul_f64_e32 v[26:27], v[10:11], v[172:173]
	v_fmac_f64_e32 v[18:19], v[6:7], v[166:167]
	v_fma_f64 v[154:155], v[4:5], v[166:167], -v[158:159]
	ds_load_b128 v[4:7], v2 offset:2000
	v_fmac_f64_e32 v[24:25], v[10:11], v[170:171]
	v_add_f64_e32 v[12:13], v[14:15], v[12:13]
	v_add_f64_e32 v[14:15], v[16:17], v[22:23]
	v_fma_f64 v[8:9], v[8:9], v[170:171], -v[26:27]
	s_wait_loadcnt_dscnt 0x0
	v_mul_f64_e32 v[16:17], v[4:5], v[180:181]
	v_mul_f64_e32 v[22:23], v[6:7], v[180:181]
	v_add_f64_e32 v[10:11], v[12:13], v[154:155]
	v_add_f64_e32 v[12:13], v[14:15], v[18:19]
	s_delay_alu instid0(VALU_DEP_4) | instskip(NEXT) | instid1(VALU_DEP_4)
	v_fmac_f64_e32 v[16:17], v[6:7], v[178:179]
	v_fma_f64 v[4:5], v[4:5], v[178:179], -v[22:23]
	s_delay_alu instid0(VALU_DEP_4) | instskip(NEXT) | instid1(VALU_DEP_4)
	v_add_f64_e32 v[6:7], v[10:11], v[8:9]
	v_add_f64_e32 v[8:9], v[12:13], v[24:25]
	s_delay_alu instid0(VALU_DEP_2) | instskip(NEXT) | instid1(VALU_DEP_2)
	v_add_f64_e32 v[4:5], v[6:7], v[4:5]
	v_add_f64_e32 v[6:7], v[8:9], v[16:17]
	s_delay_alu instid0(VALU_DEP_2) | instskip(NEXT) | instid1(VALU_DEP_2)
	v_add_f64_e64 v[4:5], v[182:183], -v[4:5]
	v_add_f64_e64 v[6:7], v[184:185], -v[6:7]
	scratch_store_b128 off, v[4:7], off offset:624
	s_wait_xcnt 0x0
	v_cmpx_lt_u32_e32 38, v1
	s_cbranch_execz .LBB62_327
; %bb.326:
	scratch_load_b128 v[6:9], off, s40
	v_dual_mov_b32 v3, v2 :: v_dual_mov_b32 v4, v2
	v_mov_b32_e32 v5, v2
	scratch_store_b128 off, v[2:5], off offset:608
	s_wait_loadcnt 0x0
	ds_store_b128 v20, v[6:9]
.LBB62_327:
	s_wait_xcnt 0x0
	s_or_b32 exec_lo, exec_lo, s2
	s_wait_storecnt_dscnt 0x0
	s_barrier_signal -1
	s_barrier_wait -1
	s_clause 0x9
	scratch_load_b128 v[4:7], off, off offset:624
	scratch_load_b128 v[8:11], off, off offset:640
	;; [unrolled: 1-line block ×10, first 2 shown]
	ds_load_b128 v[174:177], v2 offset:1632
	ds_load_b128 v[182:185], v2 offset:1648
	s_clause 0x2
	scratch_load_b128 v[178:181], off, off offset:784
	scratch_load_b128 v[186:189], off, off offset:608
	;; [unrolled: 1-line block ×3, first 2 shown]
	s_mov_b32 s2, exec_lo
	s_wait_loadcnt_dscnt 0xc01
	v_mul_f64_e32 v[26:27], v[176:177], v[6:7]
	v_mul_f64_e32 v[198:199], v[174:175], v[6:7]
	s_wait_loadcnt_dscnt 0xb00
	v_mul_f64_e32 v[200:201], v[182:183], v[10:11]
	v_mul_f64_e32 v[10:11], v[184:185], v[10:11]
	s_delay_alu instid0(VALU_DEP_4) | instskip(NEXT) | instid1(VALU_DEP_4)
	v_fma_f64 v[26:27], v[174:175], v[4:5], -v[26:27]
	v_fmac_f64_e32 v[198:199], v[176:177], v[4:5]
	ds_load_b128 v[4:7], v2 offset:1664
	ds_load_b128 v[174:177], v2 offset:1680
	scratch_load_b128 v[194:197], off, off offset:816
	v_fmac_f64_e32 v[200:201], v[184:185], v[8:9]
	v_fma_f64 v[182:183], v[182:183], v[8:9], -v[10:11]
	scratch_load_b128 v[8:11], off, off offset:832
	s_wait_loadcnt_dscnt 0xc01
	v_mul_f64_e32 v[202:203], v[4:5], v[14:15]
	v_mul_f64_e32 v[14:15], v[6:7], v[14:15]
	v_add_f64_e32 v[26:27], 0, v[26:27]
	v_add_f64_e32 v[184:185], 0, v[198:199]
	s_wait_loadcnt_dscnt 0xb00
	v_mul_f64_e32 v[198:199], v[174:175], v[18:19]
	v_mul_f64_e32 v[18:19], v[176:177], v[18:19]
	v_fmac_f64_e32 v[202:203], v[6:7], v[12:13]
	v_fma_f64 v[204:205], v[4:5], v[12:13], -v[14:15]
	ds_load_b128 v[4:7], v2 offset:1696
	ds_load_b128 v[12:15], v2 offset:1712
	v_add_f64_e32 v[26:27], v[26:27], v[182:183]
	v_add_f64_e32 v[200:201], v[184:185], v[200:201]
	scratch_load_b128 v[182:185], off, off offset:848
	v_fmac_f64_e32 v[198:199], v[176:177], v[16:17]
	v_fma_f64 v[174:175], v[174:175], v[16:17], -v[18:19]
	scratch_load_b128 v[16:19], off, off offset:864
	s_wait_loadcnt_dscnt 0xc01
	v_mul_f64_e32 v[206:207], v[4:5], v[24:25]
	v_mul_f64_e32 v[24:25], v[6:7], v[24:25]
	v_add_f64_e32 v[26:27], v[26:27], v[204:205]
	v_add_f64_e32 v[176:177], v[200:201], v[202:203]
	s_wait_loadcnt_dscnt 0xb00
	v_mul_f64_e32 v[200:201], v[12:13], v[156:157]
	v_mul_f64_e32 v[156:157], v[14:15], v[156:157]
	v_fmac_f64_e32 v[206:207], v[6:7], v[22:23]
	v_fma_f64 v[202:203], v[4:5], v[22:23], -v[24:25]
	ds_load_b128 v[4:7], v2 offset:1728
	ds_load_b128 v[22:25], v2 offset:1744
	s_wait_loadcnt_dscnt 0xa01
	v_mul_f64_e32 v[204:205], v[4:5], v[160:161]
	v_add_f64_e32 v[26:27], v[26:27], v[174:175]
	v_add_f64_e32 v[198:199], v[176:177], v[198:199]
	scratch_load_b128 v[174:177], off, off offset:880
	v_mul_f64_e32 v[160:161], v[6:7], v[160:161]
	v_fmac_f64_e32 v[200:201], v[14:15], v[154:155]
	v_fma_f64 v[154:155], v[12:13], v[154:155], -v[156:157]
	scratch_load_b128 v[12:15], off, off offset:896
	v_fmac_f64_e32 v[204:205], v[6:7], v[158:159]
	v_add_f64_e32 v[26:27], v[26:27], v[202:203]
	v_add_f64_e32 v[156:157], v[198:199], v[206:207]
	s_wait_loadcnt_dscnt 0xb00
	v_mul_f64_e32 v[198:199], v[22:23], v[164:165]
	v_mul_f64_e32 v[164:165], v[24:25], v[164:165]
	v_fma_f64 v[202:203], v[4:5], v[158:159], -v[160:161]
	v_add_f64_e32 v[26:27], v[26:27], v[154:155]
	v_add_f64_e32 v[200:201], v[156:157], v[200:201]
	ds_load_b128 v[4:7], v2 offset:1760
	ds_load_b128 v[154:157], v2 offset:1776
	scratch_load_b128 v[158:161], off, off offset:912
	v_fmac_f64_e32 v[198:199], v[24:25], v[162:163]
	v_fma_f64 v[162:163], v[22:23], v[162:163], -v[164:165]
	scratch_load_b128 v[22:25], off, off offset:928
	s_wait_loadcnt_dscnt 0xc01
	v_mul_f64_e32 v[206:207], v[4:5], v[168:169]
	v_mul_f64_e32 v[168:169], v[6:7], v[168:169]
	v_add_f64_e32 v[26:27], v[26:27], v[202:203]
	v_add_f64_e32 v[164:165], v[200:201], v[204:205]
	s_wait_loadcnt_dscnt 0xb00
	v_mul_f64_e32 v[200:201], v[154:155], v[172:173]
	v_mul_f64_e32 v[172:173], v[156:157], v[172:173]
	v_fmac_f64_e32 v[206:207], v[6:7], v[166:167]
	v_fma_f64 v[202:203], v[4:5], v[166:167], -v[168:169]
	v_add_f64_e32 v[26:27], v[26:27], v[162:163]
	v_add_f64_e32 v[198:199], v[164:165], v[198:199]
	ds_load_b128 v[4:7], v2 offset:1792
	ds_load_b128 v[162:165], v2 offset:1808
	scratch_load_b128 v[166:169], off, off offset:944
	v_fmac_f64_e32 v[200:201], v[156:157], v[170:171]
	v_fma_f64 v[170:171], v[154:155], v[170:171], -v[172:173]
	scratch_load_b128 v[154:157], off, off offset:960
	s_wait_loadcnt_dscnt 0xc01
	v_mul_f64_e32 v[204:205], v[4:5], v[180:181]
	v_mul_f64_e32 v[180:181], v[6:7], v[180:181]
	v_add_f64_e32 v[26:27], v[26:27], v[202:203]
	v_add_f64_e32 v[172:173], v[198:199], v[206:207]
	s_wait_loadcnt_dscnt 0xa00
	v_mul_f64_e32 v[198:199], v[162:163], v[192:193]
	v_mul_f64_e32 v[192:193], v[164:165], v[192:193]
	v_fmac_f64_e32 v[204:205], v[6:7], v[178:179]
	;; [unrolled: 18-line block ×3, first 2 shown]
	v_fma_f64 v[194:195], v[4:5], v[194:195], -v[196:197]
	v_add_f64_e32 v[26:27], v[26:27], v[190:191]
	v_add_f64_e32 v[196:197], v[192:193], v[198:199]
	ds_load_b128 v[4:7], v2 offset:1856
	ds_load_b128 v[190:193], v2 offset:1872
	v_fmac_f64_e32 v[200:201], v[172:173], v[8:9]
	v_fma_f64 v[8:9], v[170:171], v[8:9], -v[10:11]
	s_wait_loadcnt_dscnt 0x901
	v_mul_f64_e32 v[198:199], v[4:5], v[184:185]
	v_mul_f64_e32 v[184:185], v[6:7], v[184:185]
	s_wait_loadcnt_dscnt 0x800
	v_mul_f64_e32 v[170:171], v[190:191], v[18:19]
	v_mul_f64_e32 v[18:19], v[192:193], v[18:19]
	v_add_f64_e32 v[10:11], v[26:27], v[194:195]
	v_add_f64_e32 v[26:27], v[196:197], v[206:207]
	v_fmac_f64_e32 v[198:199], v[6:7], v[182:183]
	v_fma_f64 v[172:173], v[4:5], v[182:183], -v[184:185]
	v_fmac_f64_e32 v[170:171], v[192:193], v[16:17]
	v_fma_f64 v[16:17], v[190:191], v[16:17], -v[18:19]
	v_add_f64_e32 v[182:183], v[10:11], v[8:9]
	v_add_f64_e32 v[26:27], v[26:27], v[200:201]
	ds_load_b128 v[4:7], v2 offset:1888
	ds_load_b128 v[8:11], v2 offset:1904
	s_wait_loadcnt_dscnt 0x701
	v_mul_f64_e32 v[184:185], v[4:5], v[176:177]
	v_mul_f64_e32 v[176:177], v[6:7], v[176:177]
	v_add_f64_e32 v[18:19], v[182:183], v[172:173]
	v_add_f64_e32 v[26:27], v[26:27], v[198:199]
	s_wait_loadcnt_dscnt 0x600
	v_mul_f64_e32 v[172:173], v[8:9], v[14:15]
	v_mul_f64_e32 v[182:183], v[10:11], v[14:15]
	v_fmac_f64_e32 v[184:185], v[6:7], v[174:175]
	v_fma_f64 v[174:175], v[4:5], v[174:175], -v[176:177]
	v_add_f64_e32 v[18:19], v[18:19], v[16:17]
	v_add_f64_e32 v[26:27], v[26:27], v[170:171]
	ds_load_b128 v[4:7], v2 offset:1920
	ds_load_b128 v[14:17], v2 offset:1936
	v_fmac_f64_e32 v[172:173], v[10:11], v[12:13]
	v_fma_f64 v[8:9], v[8:9], v[12:13], -v[182:183]
	s_wait_loadcnt_dscnt 0x501
	v_mul_f64_e32 v[170:171], v[4:5], v[160:161]
	v_mul_f64_e32 v[160:161], v[6:7], v[160:161]
	v_add_f64_e32 v[10:11], v[18:19], v[174:175]
	v_add_f64_e32 v[12:13], v[26:27], v[184:185]
	s_wait_loadcnt_dscnt 0x400
	v_mul_f64_e32 v[18:19], v[14:15], v[24:25]
	v_mul_f64_e32 v[24:25], v[16:17], v[24:25]
	v_fmac_f64_e32 v[170:171], v[6:7], v[158:159]
	v_fma_f64 v[26:27], v[4:5], v[158:159], -v[160:161]
	v_add_f64_e32 v[158:159], v[10:11], v[8:9]
	v_add_f64_e32 v[12:13], v[12:13], v[172:173]
	ds_load_b128 v[4:7], v2 offset:1952
	ds_load_b128 v[8:11], v2 offset:1968
	v_fmac_f64_e32 v[18:19], v[16:17], v[22:23]
	v_fma_f64 v[14:15], v[14:15], v[22:23], -v[24:25]
	s_wait_loadcnt_dscnt 0x301
	v_mul_f64_e32 v[160:161], v[4:5], v[168:169]
	v_mul_f64_e32 v[168:169], v[6:7], v[168:169]
	s_wait_loadcnt_dscnt 0x200
	v_mul_f64_e32 v[22:23], v[8:9], v[156:157]
	v_mul_f64_e32 v[24:25], v[10:11], v[156:157]
	v_add_f64_e32 v[16:17], v[158:159], v[26:27]
	v_add_f64_e32 v[12:13], v[12:13], v[170:171]
	v_fmac_f64_e32 v[160:161], v[6:7], v[166:167]
	v_fma_f64 v[26:27], v[4:5], v[166:167], -v[168:169]
	v_fmac_f64_e32 v[22:23], v[10:11], v[154:155]
	v_fma_f64 v[8:9], v[8:9], v[154:155], -v[24:25]
	v_add_f64_e32 v[16:17], v[16:17], v[14:15]
	v_add_f64_e32 v[18:19], v[12:13], v[18:19]
	ds_load_b128 v[4:7], v2 offset:1984
	ds_load_b128 v[12:15], v2 offset:2000
	s_wait_loadcnt_dscnt 0x101
	v_mul_f64_e32 v[2:3], v[4:5], v[180:181]
	v_mul_f64_e32 v[156:157], v[6:7], v[180:181]
	s_wait_loadcnt_dscnt 0x0
	v_mul_f64_e32 v[24:25], v[14:15], v[164:165]
	v_add_f64_e32 v[10:11], v[16:17], v[26:27]
	v_add_f64_e32 v[16:17], v[18:19], v[160:161]
	v_mul_f64_e32 v[18:19], v[12:13], v[164:165]
	v_fmac_f64_e32 v[2:3], v[6:7], v[178:179]
	v_fma_f64 v[4:5], v[4:5], v[178:179], -v[156:157]
	v_add_f64_e32 v[6:7], v[10:11], v[8:9]
	v_add_f64_e32 v[8:9], v[16:17], v[22:23]
	v_fmac_f64_e32 v[18:19], v[14:15], v[162:163]
	v_fma_f64 v[10:11], v[12:13], v[162:163], -v[24:25]
	s_delay_alu instid0(VALU_DEP_4) | instskip(NEXT) | instid1(VALU_DEP_4)
	v_add_f64_e32 v[4:5], v[6:7], v[4:5]
	v_add_f64_e32 v[2:3], v[8:9], v[2:3]
	s_delay_alu instid0(VALU_DEP_2) | instskip(NEXT) | instid1(VALU_DEP_2)
	v_add_f64_e32 v[4:5], v[4:5], v[10:11]
	v_add_f64_e32 v[6:7], v[2:3], v[18:19]
	s_delay_alu instid0(VALU_DEP_2) | instskip(NEXT) | instid1(VALU_DEP_2)
	v_add_f64_e64 v[2:3], v[186:187], -v[4:5]
	v_add_f64_e64 v[4:5], v[188:189], -v[6:7]
	scratch_store_b128 off, v[2:5], off offset:608
	s_wait_xcnt 0x0
	v_cmpx_lt_u32_e32 37, v1
	s_cbranch_execz .LBB62_329
; %bb.328:
	scratch_load_b128 v[2:5], off, s39
	v_mov_b32_e32 v6, 0
	s_delay_alu instid0(VALU_DEP_1)
	v_dual_mov_b32 v7, v6 :: v_dual_mov_b32 v8, v6
	v_mov_b32_e32 v9, v6
	scratch_store_b128 off, v[6:9], off offset:592
	s_wait_loadcnt 0x0
	ds_store_b128 v20, v[2:5]
.LBB62_329:
	s_wait_xcnt 0x0
	s_or_b32 exec_lo, exec_lo, s2
	s_wait_storecnt_dscnt 0x0
	s_barrier_signal -1
	s_barrier_wait -1
	s_clause 0x9
	scratch_load_b128 v[4:7], off, off offset:608
	scratch_load_b128 v[8:11], off, off offset:624
	;; [unrolled: 1-line block ×10, first 2 shown]
	v_mov_b32_e32 v2, 0
	s_mov_b32 s2, exec_lo
	ds_load_b128 v[174:177], v2 offset:1616
	s_clause 0x2
	scratch_load_b128 v[178:181], off, off offset:768
	scratch_load_b128 v[182:185], off, off offset:592
	;; [unrolled: 1-line block ×3, first 2 shown]
	s_wait_loadcnt_dscnt 0xc00
	v_mul_f64_e32 v[26:27], v[176:177], v[6:7]
	v_mul_f64_e32 v[198:199], v[174:175], v[6:7]
	ds_load_b128 v[186:189], v2 offset:1632
	ds_load_b128 v[194:197], v2 offset:1664
	v_fma_f64 v[26:27], v[174:175], v[4:5], -v[26:27]
	v_fmac_f64_e32 v[198:199], v[176:177], v[4:5]
	ds_load_b128 v[4:7], v2 offset:1648
	s_wait_loadcnt_dscnt 0xb02
	v_mul_f64_e32 v[200:201], v[186:187], v[10:11]
	v_mul_f64_e32 v[10:11], v[188:189], v[10:11]
	scratch_load_b128 v[174:177], off, off offset:800
	s_wait_loadcnt_dscnt 0xb00
	v_mul_f64_e32 v[202:203], v[4:5], v[14:15]
	v_mul_f64_e32 v[14:15], v[6:7], v[14:15]
	v_add_f64_e32 v[26:27], 0, v[26:27]
	v_fmac_f64_e32 v[200:201], v[188:189], v[8:9]
	v_fma_f64 v[186:187], v[186:187], v[8:9], -v[10:11]
	v_add_f64_e32 v[188:189], 0, v[198:199]
	scratch_load_b128 v[8:11], off, off offset:816
	v_fmac_f64_e32 v[202:203], v[6:7], v[12:13]
	v_fma_f64 v[204:205], v[4:5], v[12:13], -v[14:15]
	ds_load_b128 v[4:7], v2 offset:1680
	s_wait_loadcnt 0xb
	v_mul_f64_e32 v[198:199], v[194:195], v[18:19]
	v_mul_f64_e32 v[18:19], v[196:197], v[18:19]
	scratch_load_b128 v[12:15], off, off offset:832
	v_add_f64_e32 v[26:27], v[26:27], v[186:187]
	v_add_f64_e32 v[200:201], v[188:189], v[200:201]
	ds_load_b128 v[186:189], v2 offset:1696
	s_wait_loadcnt_dscnt 0xb01
	v_mul_f64_e32 v[206:207], v[4:5], v[24:25]
	v_mul_f64_e32 v[24:25], v[6:7], v[24:25]
	v_fmac_f64_e32 v[198:199], v[196:197], v[16:17]
	v_fma_f64 v[194:195], v[194:195], v[16:17], -v[18:19]
	scratch_load_b128 v[16:19], off, off offset:848
	v_add_f64_e32 v[26:27], v[26:27], v[204:205]
	v_add_f64_e32 v[196:197], v[200:201], v[202:203]
	v_fmac_f64_e32 v[206:207], v[6:7], v[22:23]
	v_fma_f64 v[202:203], v[4:5], v[22:23], -v[24:25]
	ds_load_b128 v[4:7], v2 offset:1712
	s_wait_loadcnt_dscnt 0xb01
	v_mul_f64_e32 v[200:201], v[186:187], v[156:157]
	v_mul_f64_e32 v[156:157], v[188:189], v[156:157]
	scratch_load_b128 v[22:25], off, off offset:864
	s_wait_loadcnt_dscnt 0xb00
	v_mul_f64_e32 v[204:205], v[4:5], v[160:161]
	v_mul_f64_e32 v[160:161], v[6:7], v[160:161]
	v_add_f64_e32 v[26:27], v[26:27], v[194:195]
	v_add_f64_e32 v[198:199], v[196:197], v[198:199]
	ds_load_b128 v[194:197], v2 offset:1728
	v_fmac_f64_e32 v[200:201], v[188:189], v[154:155]
	v_fma_f64 v[186:187], v[186:187], v[154:155], -v[156:157]
	scratch_load_b128 v[154:157], off, off offset:880
	v_fmac_f64_e32 v[204:205], v[6:7], v[158:159]
	v_add_f64_e32 v[26:27], v[26:27], v[202:203]
	v_add_f64_e32 v[188:189], v[198:199], v[206:207]
	v_fma_f64 v[202:203], v[4:5], v[158:159], -v[160:161]
	ds_load_b128 v[4:7], v2 offset:1744
	s_wait_loadcnt_dscnt 0xb01
	v_mul_f64_e32 v[198:199], v[194:195], v[164:165]
	v_mul_f64_e32 v[164:165], v[196:197], v[164:165]
	scratch_load_b128 v[158:161], off, off offset:896
	s_wait_loadcnt_dscnt 0xb00
	v_mul_f64_e32 v[206:207], v[4:5], v[168:169]
	v_mul_f64_e32 v[168:169], v[6:7], v[168:169]
	v_add_f64_e32 v[26:27], v[26:27], v[186:187]
	v_add_f64_e32 v[200:201], v[188:189], v[200:201]
	ds_load_b128 v[186:189], v2 offset:1760
	v_fmac_f64_e32 v[198:199], v[196:197], v[162:163]
	v_fma_f64 v[194:195], v[194:195], v[162:163], -v[164:165]
	scratch_load_b128 v[162:165], off, off offset:912
	v_fmac_f64_e32 v[206:207], v[6:7], v[166:167]
	v_add_f64_e32 v[26:27], v[26:27], v[202:203]
	v_add_f64_e32 v[196:197], v[200:201], v[204:205]
	;; [unrolled: 18-line block ×3, first 2 shown]
	v_fma_f64 v[202:203], v[4:5], v[178:179], -v[180:181]
	ds_load_b128 v[4:7], v2 offset:1808
	s_wait_loadcnt_dscnt 0xa01
	v_mul_f64_e32 v[198:199], v[194:195], v[192:193]
	v_mul_f64_e32 v[192:193], v[196:197], v[192:193]
	scratch_load_b128 v[178:181], off, off offset:960
	v_add_f64_e32 v[26:27], v[26:27], v[186:187]
	v_add_f64_e32 v[200:201], v[188:189], v[200:201]
	s_wait_loadcnt_dscnt 0xa00
	v_mul_f64_e32 v[206:207], v[4:5], v[176:177]
	v_mul_f64_e32 v[176:177], v[6:7], v[176:177]
	v_fmac_f64_e32 v[198:199], v[196:197], v[190:191]
	v_fma_f64 v[194:195], v[194:195], v[190:191], -v[192:193]
	ds_load_b128 v[186:189], v2 offset:1824
	scratch_load_b128 v[190:193], off, off offset:976
	v_add_f64_e32 v[26:27], v[26:27], v[202:203]
	v_add_f64_e32 v[196:197], v[200:201], v[204:205]
	v_fmac_f64_e32 v[206:207], v[6:7], v[174:175]
	v_fma_f64 v[202:203], v[4:5], v[174:175], -v[176:177]
	ds_load_b128 v[4:7], v2 offset:1840
	s_wait_loadcnt_dscnt 0xa01
	v_mul_f64_e32 v[200:201], v[186:187], v[10:11]
	v_mul_f64_e32 v[10:11], v[188:189], v[10:11]
	scratch_load_b128 v[174:177], off, off offset:992
	s_wait_loadcnt_dscnt 0xa00
	v_mul_f64_e32 v[204:205], v[4:5], v[14:15]
	v_mul_f64_e32 v[14:15], v[6:7], v[14:15]
	v_add_f64_e32 v[26:27], v[26:27], v[194:195]
	v_add_f64_e32 v[198:199], v[196:197], v[198:199]
	ds_load_b128 v[194:197], v2 offset:1856
	v_fmac_f64_e32 v[200:201], v[188:189], v[8:9]
	v_fma_f64 v[8:9], v[186:187], v[8:9], -v[10:11]
	s_wait_loadcnt_dscnt 0x900
	v_mul_f64_e32 v[186:187], v[194:195], v[18:19]
	v_mul_f64_e32 v[18:19], v[196:197], v[18:19]
	v_fmac_f64_e32 v[204:205], v[6:7], v[12:13]
	v_fma_f64 v[12:13], v[4:5], v[12:13], -v[14:15]
	v_add_f64_e32 v[10:11], v[26:27], v[202:203]
	v_add_f64_e32 v[26:27], v[198:199], v[206:207]
	v_fmac_f64_e32 v[186:187], v[196:197], v[16:17]
	v_fma_f64 v[16:17], v[194:195], v[16:17], -v[18:19]
	s_delay_alu instid0(VALU_DEP_4) | instskip(NEXT) | instid1(VALU_DEP_4)
	v_add_f64_e32 v[14:15], v[10:11], v[8:9]
	v_add_f64_e32 v[26:27], v[26:27], v[200:201]
	ds_load_b128 v[4:7], v2 offset:1872
	ds_load_b128 v[8:11], v2 offset:1888
	s_wait_loadcnt_dscnt 0x801
	v_mul_f64_e32 v[188:189], v[4:5], v[24:25]
	v_mul_f64_e32 v[24:25], v[6:7], v[24:25]
	s_wait_loadcnt_dscnt 0x700
	v_mul_f64_e32 v[18:19], v[8:9], v[156:157]
	v_add_f64_e32 v[12:13], v[14:15], v[12:13]
	v_add_f64_e32 v[14:15], v[26:27], v[204:205]
	v_mul_f64_e32 v[26:27], v[10:11], v[156:157]
	v_fmac_f64_e32 v[188:189], v[6:7], v[22:23]
	v_fma_f64 v[22:23], v[4:5], v[22:23], -v[24:25]
	v_fmac_f64_e32 v[18:19], v[10:11], v[154:155]
	v_add_f64_e32 v[16:17], v[12:13], v[16:17]
	v_add_f64_e32 v[24:25], v[14:15], v[186:187]
	ds_load_b128 v[4:7], v2 offset:1904
	ds_load_b128 v[12:15], v2 offset:1920
	v_fma_f64 v[8:9], v[8:9], v[154:155], -v[26:27]
	s_wait_loadcnt_dscnt 0x601
	v_mul_f64_e32 v[156:157], v[4:5], v[160:161]
	v_mul_f64_e32 v[160:161], v[6:7], v[160:161]
	v_add_f64_e32 v[10:11], v[16:17], v[22:23]
	v_add_f64_e32 v[16:17], v[24:25], v[188:189]
	s_wait_loadcnt_dscnt 0x500
	v_mul_f64_e32 v[22:23], v[12:13], v[164:165]
	v_mul_f64_e32 v[24:25], v[14:15], v[164:165]
	v_fmac_f64_e32 v[156:157], v[6:7], v[158:159]
	v_fma_f64 v[26:27], v[4:5], v[158:159], -v[160:161]
	v_add_f64_e32 v[154:155], v[10:11], v[8:9]
	v_add_f64_e32 v[16:17], v[16:17], v[18:19]
	ds_load_b128 v[4:7], v2 offset:1936
	ds_load_b128 v[8:11], v2 offset:1952
	v_fmac_f64_e32 v[22:23], v[14:15], v[162:163]
	v_fma_f64 v[12:13], v[12:13], v[162:163], -v[24:25]
	s_wait_loadcnt_dscnt 0x401
	v_mul_f64_e32 v[18:19], v[4:5], v[168:169]
	v_mul_f64_e32 v[158:159], v[6:7], v[168:169]
	s_wait_loadcnt_dscnt 0x300
	v_mul_f64_e32 v[24:25], v[8:9], v[172:173]
	v_add_f64_e32 v[14:15], v[154:155], v[26:27]
	v_add_f64_e32 v[16:17], v[16:17], v[156:157]
	v_mul_f64_e32 v[26:27], v[10:11], v[172:173]
	v_fmac_f64_e32 v[18:19], v[6:7], v[166:167]
	v_fma_f64 v[154:155], v[4:5], v[166:167], -v[158:159]
	v_fmac_f64_e32 v[24:25], v[10:11], v[170:171]
	v_add_f64_e32 v[156:157], v[14:15], v[12:13]
	v_add_f64_e32 v[16:17], v[16:17], v[22:23]
	ds_load_b128 v[4:7], v2 offset:1968
	ds_load_b128 v[12:15], v2 offset:1984
	v_fma_f64 v[8:9], v[8:9], v[170:171], -v[26:27]
	s_wait_loadcnt_dscnt 0x201
	v_mul_f64_e32 v[22:23], v[4:5], v[180:181]
	v_mul_f64_e32 v[158:159], v[6:7], v[180:181]
	s_wait_loadcnt_dscnt 0x100
	v_mul_f64_e32 v[26:27], v[14:15], v[192:193]
	v_add_f64_e32 v[10:11], v[156:157], v[154:155]
	v_add_f64_e32 v[16:17], v[16:17], v[18:19]
	v_mul_f64_e32 v[18:19], v[12:13], v[192:193]
	v_fmac_f64_e32 v[22:23], v[6:7], v[178:179]
	v_fma_f64 v[154:155], v[4:5], v[178:179], -v[158:159]
	ds_load_b128 v[4:7], v2 offset:2000
	v_fma_f64 v[12:13], v[12:13], v[190:191], -v[26:27]
	v_add_f64_e32 v[8:9], v[10:11], v[8:9]
	v_add_f64_e32 v[10:11], v[16:17], v[24:25]
	v_fmac_f64_e32 v[18:19], v[14:15], v[190:191]
	s_wait_loadcnt_dscnt 0x0
	v_mul_f64_e32 v[16:17], v[4:5], v[176:177]
	v_mul_f64_e32 v[24:25], v[6:7], v[176:177]
	v_add_f64_e32 v[8:9], v[8:9], v[154:155]
	v_add_f64_e32 v[10:11], v[10:11], v[22:23]
	s_delay_alu instid0(VALU_DEP_4) | instskip(NEXT) | instid1(VALU_DEP_4)
	v_fmac_f64_e32 v[16:17], v[6:7], v[174:175]
	v_fma_f64 v[4:5], v[4:5], v[174:175], -v[24:25]
	s_delay_alu instid0(VALU_DEP_4) | instskip(NEXT) | instid1(VALU_DEP_4)
	v_add_f64_e32 v[6:7], v[8:9], v[12:13]
	v_add_f64_e32 v[8:9], v[10:11], v[18:19]
	s_delay_alu instid0(VALU_DEP_2) | instskip(NEXT) | instid1(VALU_DEP_2)
	v_add_f64_e32 v[4:5], v[6:7], v[4:5]
	v_add_f64_e32 v[6:7], v[8:9], v[16:17]
	s_delay_alu instid0(VALU_DEP_2) | instskip(NEXT) | instid1(VALU_DEP_2)
	v_add_f64_e64 v[4:5], v[182:183], -v[4:5]
	v_add_f64_e64 v[6:7], v[184:185], -v[6:7]
	scratch_store_b128 off, v[4:7], off offset:592
	s_wait_xcnt 0x0
	v_cmpx_lt_u32_e32 36, v1
	s_cbranch_execz .LBB62_331
; %bb.330:
	scratch_load_b128 v[6:9], off, s42
	v_dual_mov_b32 v3, v2 :: v_dual_mov_b32 v4, v2
	v_mov_b32_e32 v5, v2
	scratch_store_b128 off, v[2:5], off offset:576
	s_wait_loadcnt 0x0
	ds_store_b128 v20, v[6:9]
.LBB62_331:
	s_wait_xcnt 0x0
	s_or_b32 exec_lo, exec_lo, s2
	s_wait_storecnt_dscnt 0x0
	s_barrier_signal -1
	s_barrier_wait -1
	s_clause 0x9
	scratch_load_b128 v[4:7], off, off offset:592
	scratch_load_b128 v[8:11], off, off offset:608
	;; [unrolled: 1-line block ×10, first 2 shown]
	ds_load_b128 v[174:177], v2 offset:1600
	ds_load_b128 v[182:185], v2 offset:1616
	s_clause 0x2
	scratch_load_b128 v[178:181], off, off offset:752
	scratch_load_b128 v[186:189], off, off offset:576
	;; [unrolled: 1-line block ×3, first 2 shown]
	s_mov_b32 s2, exec_lo
	s_wait_loadcnt_dscnt 0xc01
	v_mul_f64_e32 v[26:27], v[176:177], v[6:7]
	v_mul_f64_e32 v[198:199], v[174:175], v[6:7]
	s_wait_loadcnt_dscnt 0xb00
	v_mul_f64_e32 v[200:201], v[182:183], v[10:11]
	v_mul_f64_e32 v[10:11], v[184:185], v[10:11]
	s_delay_alu instid0(VALU_DEP_4) | instskip(NEXT) | instid1(VALU_DEP_4)
	v_fma_f64 v[26:27], v[174:175], v[4:5], -v[26:27]
	v_fmac_f64_e32 v[198:199], v[176:177], v[4:5]
	ds_load_b128 v[4:7], v2 offset:1632
	ds_load_b128 v[174:177], v2 offset:1648
	scratch_load_b128 v[194:197], off, off offset:784
	v_fmac_f64_e32 v[200:201], v[184:185], v[8:9]
	v_fma_f64 v[182:183], v[182:183], v[8:9], -v[10:11]
	scratch_load_b128 v[8:11], off, off offset:800
	s_wait_loadcnt_dscnt 0xc01
	v_mul_f64_e32 v[202:203], v[4:5], v[14:15]
	v_mul_f64_e32 v[14:15], v[6:7], v[14:15]
	v_add_f64_e32 v[26:27], 0, v[26:27]
	v_add_f64_e32 v[184:185], 0, v[198:199]
	s_wait_loadcnt_dscnt 0xb00
	v_mul_f64_e32 v[198:199], v[174:175], v[18:19]
	v_mul_f64_e32 v[18:19], v[176:177], v[18:19]
	v_fmac_f64_e32 v[202:203], v[6:7], v[12:13]
	v_fma_f64 v[204:205], v[4:5], v[12:13], -v[14:15]
	ds_load_b128 v[4:7], v2 offset:1664
	ds_load_b128 v[12:15], v2 offset:1680
	v_add_f64_e32 v[26:27], v[26:27], v[182:183]
	v_add_f64_e32 v[200:201], v[184:185], v[200:201]
	scratch_load_b128 v[182:185], off, off offset:816
	v_fmac_f64_e32 v[198:199], v[176:177], v[16:17]
	v_fma_f64 v[174:175], v[174:175], v[16:17], -v[18:19]
	scratch_load_b128 v[16:19], off, off offset:832
	s_wait_loadcnt_dscnt 0xc01
	v_mul_f64_e32 v[206:207], v[4:5], v[24:25]
	v_mul_f64_e32 v[24:25], v[6:7], v[24:25]
	v_add_f64_e32 v[26:27], v[26:27], v[204:205]
	v_add_f64_e32 v[176:177], v[200:201], v[202:203]
	s_wait_loadcnt_dscnt 0xb00
	v_mul_f64_e32 v[200:201], v[12:13], v[156:157]
	v_mul_f64_e32 v[156:157], v[14:15], v[156:157]
	v_fmac_f64_e32 v[206:207], v[6:7], v[22:23]
	v_fma_f64 v[202:203], v[4:5], v[22:23], -v[24:25]
	ds_load_b128 v[4:7], v2 offset:1696
	ds_load_b128 v[22:25], v2 offset:1712
	s_wait_loadcnt_dscnt 0xa01
	v_mul_f64_e32 v[204:205], v[4:5], v[160:161]
	v_add_f64_e32 v[26:27], v[26:27], v[174:175]
	v_add_f64_e32 v[198:199], v[176:177], v[198:199]
	scratch_load_b128 v[174:177], off, off offset:848
	v_mul_f64_e32 v[160:161], v[6:7], v[160:161]
	v_fmac_f64_e32 v[200:201], v[14:15], v[154:155]
	v_fma_f64 v[154:155], v[12:13], v[154:155], -v[156:157]
	scratch_load_b128 v[12:15], off, off offset:864
	v_fmac_f64_e32 v[204:205], v[6:7], v[158:159]
	v_add_f64_e32 v[26:27], v[26:27], v[202:203]
	v_add_f64_e32 v[156:157], v[198:199], v[206:207]
	s_wait_loadcnt_dscnt 0xb00
	v_mul_f64_e32 v[198:199], v[22:23], v[164:165]
	v_mul_f64_e32 v[164:165], v[24:25], v[164:165]
	v_fma_f64 v[202:203], v[4:5], v[158:159], -v[160:161]
	v_add_f64_e32 v[26:27], v[26:27], v[154:155]
	v_add_f64_e32 v[200:201], v[156:157], v[200:201]
	ds_load_b128 v[4:7], v2 offset:1728
	ds_load_b128 v[154:157], v2 offset:1744
	scratch_load_b128 v[158:161], off, off offset:880
	v_fmac_f64_e32 v[198:199], v[24:25], v[162:163]
	v_fma_f64 v[162:163], v[22:23], v[162:163], -v[164:165]
	scratch_load_b128 v[22:25], off, off offset:896
	s_wait_loadcnt_dscnt 0xc01
	v_mul_f64_e32 v[206:207], v[4:5], v[168:169]
	v_mul_f64_e32 v[168:169], v[6:7], v[168:169]
	v_add_f64_e32 v[26:27], v[26:27], v[202:203]
	v_add_f64_e32 v[164:165], v[200:201], v[204:205]
	s_wait_loadcnt_dscnt 0xb00
	v_mul_f64_e32 v[200:201], v[154:155], v[172:173]
	v_mul_f64_e32 v[172:173], v[156:157], v[172:173]
	v_fmac_f64_e32 v[206:207], v[6:7], v[166:167]
	v_fma_f64 v[202:203], v[4:5], v[166:167], -v[168:169]
	v_add_f64_e32 v[26:27], v[26:27], v[162:163]
	v_add_f64_e32 v[198:199], v[164:165], v[198:199]
	ds_load_b128 v[4:7], v2 offset:1760
	ds_load_b128 v[162:165], v2 offset:1776
	scratch_load_b128 v[166:169], off, off offset:912
	v_fmac_f64_e32 v[200:201], v[156:157], v[170:171]
	v_fma_f64 v[170:171], v[154:155], v[170:171], -v[172:173]
	scratch_load_b128 v[154:157], off, off offset:928
	s_wait_loadcnt_dscnt 0xc01
	v_mul_f64_e32 v[204:205], v[4:5], v[180:181]
	v_mul_f64_e32 v[180:181], v[6:7], v[180:181]
	v_add_f64_e32 v[26:27], v[26:27], v[202:203]
	v_add_f64_e32 v[172:173], v[198:199], v[206:207]
	s_wait_loadcnt_dscnt 0xa00
	v_mul_f64_e32 v[198:199], v[162:163], v[192:193]
	v_mul_f64_e32 v[192:193], v[164:165], v[192:193]
	v_fmac_f64_e32 v[204:205], v[6:7], v[178:179]
	;; [unrolled: 18-line block ×4, first 2 shown]
	v_fma_f64 v[182:183], v[4:5], v[182:183], -v[184:185]
	v_add_f64_e32 v[26:27], v[26:27], v[170:171]
	v_add_f64_e32 v[184:185], v[172:173], v[200:201]
	ds_load_b128 v[4:7], v2 offset:1856
	ds_load_b128 v[170:173], v2 offset:1872
	v_fmac_f64_e32 v[198:199], v[192:193], v[16:17]
	v_fma_f64 v[16:17], v[190:191], v[16:17], -v[18:19]
	s_wait_loadcnt_dscnt 0x901
	v_mul_f64_e32 v[200:201], v[4:5], v[176:177]
	v_mul_f64_e32 v[176:177], v[6:7], v[176:177]
	v_add_f64_e32 v[18:19], v[26:27], v[182:183]
	v_add_f64_e32 v[26:27], v[184:185], v[204:205]
	s_wait_loadcnt_dscnt 0x800
	v_mul_f64_e32 v[182:183], v[170:171], v[14:15]
	v_mul_f64_e32 v[184:185], v[172:173], v[14:15]
	v_fmac_f64_e32 v[200:201], v[6:7], v[174:175]
	v_fma_f64 v[174:175], v[4:5], v[174:175], -v[176:177]
	v_add_f64_e32 v[18:19], v[18:19], v[16:17]
	v_add_f64_e32 v[26:27], v[26:27], v[198:199]
	ds_load_b128 v[4:7], v2 offset:1888
	ds_load_b128 v[14:17], v2 offset:1904
	v_fmac_f64_e32 v[182:183], v[172:173], v[12:13]
	v_fma_f64 v[12:13], v[170:171], v[12:13], -v[184:185]
	s_wait_loadcnt_dscnt 0x701
	v_mul_f64_e32 v[176:177], v[4:5], v[160:161]
	v_mul_f64_e32 v[160:161], v[6:7], v[160:161]
	s_wait_loadcnt_dscnt 0x600
	v_mul_f64_e32 v[170:171], v[14:15], v[24:25]
	v_mul_f64_e32 v[172:173], v[16:17], v[24:25]
	v_add_f64_e32 v[18:19], v[18:19], v[174:175]
	v_add_f64_e32 v[26:27], v[26:27], v[200:201]
	v_fmac_f64_e32 v[176:177], v[6:7], v[158:159]
	v_fma_f64 v[158:159], v[4:5], v[158:159], -v[160:161]
	v_fmac_f64_e32 v[170:171], v[16:17], v[22:23]
	v_fma_f64 v[14:15], v[14:15], v[22:23], -v[172:173]
	v_add_f64_e32 v[12:13], v[18:19], v[12:13]
	v_add_f64_e32 v[18:19], v[26:27], v[182:183]
	ds_load_b128 v[4:7], v2 offset:1920
	ds_load_b128 v[24:27], v2 offset:1936
	s_wait_loadcnt_dscnt 0x501
	v_mul_f64_e32 v[160:161], v[4:5], v[168:169]
	v_mul_f64_e32 v[168:169], v[6:7], v[168:169]
	s_wait_loadcnt_dscnt 0x400
	v_mul_f64_e32 v[22:23], v[26:27], v[156:157]
	v_add_f64_e32 v[12:13], v[12:13], v[158:159]
	v_add_f64_e32 v[16:17], v[18:19], v[176:177]
	v_mul_f64_e32 v[18:19], v[24:25], v[156:157]
	v_fmac_f64_e32 v[160:161], v[6:7], v[166:167]
	v_fma_f64 v[156:157], v[4:5], v[166:167], -v[168:169]
	v_fma_f64 v[22:23], v[24:25], v[154:155], -v[22:23]
	v_add_f64_e32 v[158:159], v[12:13], v[14:15]
	v_add_f64_e32 v[16:17], v[16:17], v[170:171]
	ds_load_b128 v[4:7], v2 offset:1952
	ds_load_b128 v[12:15], v2 offset:1968
	v_fmac_f64_e32 v[18:19], v[26:27], v[154:155]
	s_wait_loadcnt_dscnt 0x301
	v_mul_f64_e32 v[166:167], v[4:5], v[180:181]
	v_mul_f64_e32 v[168:169], v[6:7], v[180:181]
	s_wait_loadcnt_dscnt 0x200
	v_mul_f64_e32 v[26:27], v[12:13], v[164:165]
	v_mul_f64_e32 v[154:155], v[14:15], v[164:165]
	v_add_f64_e32 v[24:25], v[158:159], v[156:157]
	v_add_f64_e32 v[16:17], v[16:17], v[160:161]
	v_fmac_f64_e32 v[166:167], v[6:7], v[178:179]
	v_fma_f64 v[156:157], v[4:5], v[178:179], -v[168:169]
	v_fmac_f64_e32 v[26:27], v[14:15], v[162:163]
	v_fma_f64 v[12:13], v[12:13], v[162:163], -v[154:155]
	v_add_f64_e32 v[22:23], v[24:25], v[22:23]
	v_add_f64_e32 v[24:25], v[16:17], v[18:19]
	ds_load_b128 v[4:7], v2 offset:1984
	ds_load_b128 v[16:19], v2 offset:2000
	s_wait_loadcnt_dscnt 0x101
	v_mul_f64_e32 v[2:3], v[4:5], v[196:197]
	v_mul_f64_e32 v[158:159], v[6:7], v[196:197]
	v_add_f64_e32 v[14:15], v[22:23], v[156:157]
	v_add_f64_e32 v[22:23], v[24:25], v[166:167]
	s_wait_loadcnt_dscnt 0x0
	v_mul_f64_e32 v[24:25], v[16:17], v[10:11]
	v_mul_f64_e32 v[10:11], v[18:19], v[10:11]
	v_fmac_f64_e32 v[2:3], v[6:7], v[194:195]
	v_fma_f64 v[4:5], v[4:5], v[194:195], -v[158:159]
	v_add_f64_e32 v[6:7], v[14:15], v[12:13]
	v_add_f64_e32 v[12:13], v[22:23], v[26:27]
	v_fmac_f64_e32 v[24:25], v[18:19], v[8:9]
	v_fma_f64 v[8:9], v[16:17], v[8:9], -v[10:11]
	s_delay_alu instid0(VALU_DEP_4) | instskip(NEXT) | instid1(VALU_DEP_4)
	v_add_f64_e32 v[4:5], v[6:7], v[4:5]
	v_add_f64_e32 v[2:3], v[12:13], v[2:3]
	s_delay_alu instid0(VALU_DEP_2) | instskip(NEXT) | instid1(VALU_DEP_2)
	v_add_f64_e32 v[4:5], v[4:5], v[8:9]
	v_add_f64_e32 v[6:7], v[2:3], v[24:25]
	s_delay_alu instid0(VALU_DEP_2) | instskip(NEXT) | instid1(VALU_DEP_2)
	v_add_f64_e64 v[2:3], v[186:187], -v[4:5]
	v_add_f64_e64 v[4:5], v[188:189], -v[6:7]
	scratch_store_b128 off, v[2:5], off offset:576
	s_wait_xcnt 0x0
	v_cmpx_lt_u32_e32 35, v1
	s_cbranch_execz .LBB62_333
; %bb.332:
	scratch_load_b128 v[2:5], off, s41
	v_mov_b32_e32 v6, 0
	s_delay_alu instid0(VALU_DEP_1)
	v_dual_mov_b32 v7, v6 :: v_dual_mov_b32 v8, v6
	v_mov_b32_e32 v9, v6
	scratch_store_b128 off, v[6:9], off offset:560
	s_wait_loadcnt 0x0
	ds_store_b128 v20, v[2:5]
.LBB62_333:
	s_wait_xcnt 0x0
	s_or_b32 exec_lo, exec_lo, s2
	s_wait_storecnt_dscnt 0x0
	s_barrier_signal -1
	s_barrier_wait -1
	s_clause 0x9
	scratch_load_b128 v[4:7], off, off offset:576
	scratch_load_b128 v[8:11], off, off offset:592
	;; [unrolled: 1-line block ×10, first 2 shown]
	v_mov_b32_e32 v2, 0
	s_mov_b32 s2, exec_lo
	ds_load_b128 v[174:177], v2 offset:1584
	s_clause 0x2
	scratch_load_b128 v[178:181], off, off offset:736
	scratch_load_b128 v[182:185], off, off offset:560
	;; [unrolled: 1-line block ×3, first 2 shown]
	s_wait_loadcnt_dscnt 0xc00
	v_mul_f64_e32 v[26:27], v[176:177], v[6:7]
	v_mul_f64_e32 v[198:199], v[174:175], v[6:7]
	ds_load_b128 v[186:189], v2 offset:1600
	ds_load_b128 v[194:197], v2 offset:1632
	v_fma_f64 v[26:27], v[174:175], v[4:5], -v[26:27]
	v_fmac_f64_e32 v[198:199], v[176:177], v[4:5]
	ds_load_b128 v[4:7], v2 offset:1616
	s_wait_loadcnt_dscnt 0xb02
	v_mul_f64_e32 v[200:201], v[186:187], v[10:11]
	v_mul_f64_e32 v[10:11], v[188:189], v[10:11]
	scratch_load_b128 v[174:177], off, off offset:768
	s_wait_loadcnt_dscnt 0xb00
	v_mul_f64_e32 v[202:203], v[4:5], v[14:15]
	v_mul_f64_e32 v[14:15], v[6:7], v[14:15]
	v_add_f64_e32 v[26:27], 0, v[26:27]
	v_fmac_f64_e32 v[200:201], v[188:189], v[8:9]
	v_fma_f64 v[186:187], v[186:187], v[8:9], -v[10:11]
	v_add_f64_e32 v[188:189], 0, v[198:199]
	scratch_load_b128 v[8:11], off, off offset:784
	v_fmac_f64_e32 v[202:203], v[6:7], v[12:13]
	v_fma_f64 v[204:205], v[4:5], v[12:13], -v[14:15]
	ds_load_b128 v[4:7], v2 offset:1648
	s_wait_loadcnt 0xb
	v_mul_f64_e32 v[198:199], v[194:195], v[18:19]
	v_mul_f64_e32 v[18:19], v[196:197], v[18:19]
	scratch_load_b128 v[12:15], off, off offset:800
	v_add_f64_e32 v[26:27], v[26:27], v[186:187]
	v_add_f64_e32 v[200:201], v[188:189], v[200:201]
	ds_load_b128 v[186:189], v2 offset:1664
	s_wait_loadcnt_dscnt 0xb01
	v_mul_f64_e32 v[206:207], v[4:5], v[24:25]
	v_mul_f64_e32 v[24:25], v[6:7], v[24:25]
	v_fmac_f64_e32 v[198:199], v[196:197], v[16:17]
	v_fma_f64 v[194:195], v[194:195], v[16:17], -v[18:19]
	scratch_load_b128 v[16:19], off, off offset:816
	v_add_f64_e32 v[26:27], v[26:27], v[204:205]
	v_add_f64_e32 v[196:197], v[200:201], v[202:203]
	v_fmac_f64_e32 v[206:207], v[6:7], v[22:23]
	v_fma_f64 v[202:203], v[4:5], v[22:23], -v[24:25]
	ds_load_b128 v[4:7], v2 offset:1680
	s_wait_loadcnt_dscnt 0xb01
	v_mul_f64_e32 v[200:201], v[186:187], v[156:157]
	v_mul_f64_e32 v[156:157], v[188:189], v[156:157]
	scratch_load_b128 v[22:25], off, off offset:832
	s_wait_loadcnt_dscnt 0xb00
	v_mul_f64_e32 v[204:205], v[4:5], v[160:161]
	v_mul_f64_e32 v[160:161], v[6:7], v[160:161]
	v_add_f64_e32 v[26:27], v[26:27], v[194:195]
	v_add_f64_e32 v[198:199], v[196:197], v[198:199]
	ds_load_b128 v[194:197], v2 offset:1696
	v_fmac_f64_e32 v[200:201], v[188:189], v[154:155]
	v_fma_f64 v[186:187], v[186:187], v[154:155], -v[156:157]
	scratch_load_b128 v[154:157], off, off offset:848
	v_fmac_f64_e32 v[204:205], v[6:7], v[158:159]
	v_add_f64_e32 v[26:27], v[26:27], v[202:203]
	v_add_f64_e32 v[188:189], v[198:199], v[206:207]
	v_fma_f64 v[202:203], v[4:5], v[158:159], -v[160:161]
	ds_load_b128 v[4:7], v2 offset:1712
	s_wait_loadcnt_dscnt 0xb01
	v_mul_f64_e32 v[198:199], v[194:195], v[164:165]
	v_mul_f64_e32 v[164:165], v[196:197], v[164:165]
	scratch_load_b128 v[158:161], off, off offset:864
	s_wait_loadcnt_dscnt 0xb00
	v_mul_f64_e32 v[206:207], v[4:5], v[168:169]
	v_mul_f64_e32 v[168:169], v[6:7], v[168:169]
	v_add_f64_e32 v[26:27], v[26:27], v[186:187]
	v_add_f64_e32 v[200:201], v[188:189], v[200:201]
	ds_load_b128 v[186:189], v2 offset:1728
	v_fmac_f64_e32 v[198:199], v[196:197], v[162:163]
	v_fma_f64 v[194:195], v[194:195], v[162:163], -v[164:165]
	scratch_load_b128 v[162:165], off, off offset:880
	v_fmac_f64_e32 v[206:207], v[6:7], v[166:167]
	v_add_f64_e32 v[26:27], v[26:27], v[202:203]
	v_add_f64_e32 v[196:197], v[200:201], v[204:205]
	;; [unrolled: 18-line block ×3, first 2 shown]
	v_fma_f64 v[202:203], v[4:5], v[178:179], -v[180:181]
	ds_load_b128 v[4:7], v2 offset:1776
	s_wait_loadcnt_dscnt 0xa01
	v_mul_f64_e32 v[198:199], v[194:195], v[192:193]
	v_mul_f64_e32 v[192:193], v[196:197], v[192:193]
	scratch_load_b128 v[178:181], off, off offset:928
	v_add_f64_e32 v[26:27], v[26:27], v[186:187]
	v_add_f64_e32 v[200:201], v[188:189], v[200:201]
	s_wait_loadcnt_dscnt 0xa00
	v_mul_f64_e32 v[206:207], v[4:5], v[176:177]
	v_mul_f64_e32 v[176:177], v[6:7], v[176:177]
	v_fmac_f64_e32 v[198:199], v[196:197], v[190:191]
	v_fma_f64 v[194:195], v[194:195], v[190:191], -v[192:193]
	ds_load_b128 v[186:189], v2 offset:1792
	scratch_load_b128 v[190:193], off, off offset:944
	v_add_f64_e32 v[26:27], v[26:27], v[202:203]
	v_add_f64_e32 v[196:197], v[200:201], v[204:205]
	v_fmac_f64_e32 v[206:207], v[6:7], v[174:175]
	v_fma_f64 v[202:203], v[4:5], v[174:175], -v[176:177]
	ds_load_b128 v[4:7], v2 offset:1808
	s_wait_loadcnt_dscnt 0xa01
	v_mul_f64_e32 v[200:201], v[186:187], v[10:11]
	v_mul_f64_e32 v[10:11], v[188:189], v[10:11]
	scratch_load_b128 v[174:177], off, off offset:960
	s_wait_loadcnt_dscnt 0xa00
	v_mul_f64_e32 v[204:205], v[4:5], v[14:15]
	v_mul_f64_e32 v[14:15], v[6:7], v[14:15]
	v_add_f64_e32 v[26:27], v[26:27], v[194:195]
	v_add_f64_e32 v[198:199], v[196:197], v[198:199]
	ds_load_b128 v[194:197], v2 offset:1824
	v_fmac_f64_e32 v[200:201], v[188:189], v[8:9]
	v_fma_f64 v[186:187], v[186:187], v[8:9], -v[10:11]
	scratch_load_b128 v[8:11], off, off offset:976
	v_fmac_f64_e32 v[204:205], v[6:7], v[12:13]
	v_add_f64_e32 v[26:27], v[26:27], v[202:203]
	v_add_f64_e32 v[188:189], v[198:199], v[206:207]
	v_fma_f64 v[202:203], v[4:5], v[12:13], -v[14:15]
	ds_load_b128 v[4:7], v2 offset:1840
	s_wait_loadcnt_dscnt 0xa01
	v_mul_f64_e32 v[198:199], v[194:195], v[18:19]
	v_mul_f64_e32 v[18:19], v[196:197], v[18:19]
	scratch_load_b128 v[12:15], off, off offset:992
	s_wait_loadcnt_dscnt 0xa00
	v_mul_f64_e32 v[206:207], v[4:5], v[24:25]
	v_mul_f64_e32 v[24:25], v[6:7], v[24:25]
	v_add_f64_e32 v[26:27], v[26:27], v[186:187]
	v_add_f64_e32 v[200:201], v[188:189], v[200:201]
	ds_load_b128 v[186:189], v2 offset:1856
	v_fmac_f64_e32 v[198:199], v[196:197], v[16:17]
	v_fma_f64 v[16:17], v[194:195], v[16:17], -v[18:19]
	s_wait_loadcnt_dscnt 0x900
	v_mul_f64_e32 v[194:195], v[186:187], v[156:157]
	v_mul_f64_e32 v[156:157], v[188:189], v[156:157]
	v_fmac_f64_e32 v[206:207], v[6:7], v[22:23]
	v_fma_f64 v[22:23], v[4:5], v[22:23], -v[24:25]
	v_add_f64_e32 v[18:19], v[26:27], v[202:203]
	v_add_f64_e32 v[26:27], v[200:201], v[204:205]
	v_fmac_f64_e32 v[194:195], v[188:189], v[154:155]
	v_fma_f64 v[154:155], v[186:187], v[154:155], -v[156:157]
	s_delay_alu instid0(VALU_DEP_4) | instskip(NEXT) | instid1(VALU_DEP_4)
	v_add_f64_e32 v[24:25], v[18:19], v[16:17]
	v_add_f64_e32 v[26:27], v[26:27], v[198:199]
	ds_load_b128 v[4:7], v2 offset:1872
	ds_load_b128 v[16:19], v2 offset:1888
	s_wait_loadcnt_dscnt 0x801
	v_mul_f64_e32 v[196:197], v[4:5], v[160:161]
	v_mul_f64_e32 v[160:161], v[6:7], v[160:161]
	s_wait_loadcnt_dscnt 0x700
	v_mul_f64_e32 v[156:157], v[18:19], v[164:165]
	v_add_f64_e32 v[22:23], v[24:25], v[22:23]
	v_add_f64_e32 v[24:25], v[26:27], v[206:207]
	v_mul_f64_e32 v[26:27], v[16:17], v[164:165]
	v_fmac_f64_e32 v[196:197], v[6:7], v[158:159]
	v_fma_f64 v[158:159], v[4:5], v[158:159], -v[160:161]
	v_fma_f64 v[16:17], v[16:17], v[162:163], -v[156:157]
	v_add_f64_e32 v[154:155], v[22:23], v[154:155]
	v_add_f64_e32 v[160:161], v[24:25], v[194:195]
	ds_load_b128 v[4:7], v2 offset:1904
	ds_load_b128 v[22:25], v2 offset:1920
	v_fmac_f64_e32 v[26:27], v[18:19], v[162:163]
	s_wait_loadcnt_dscnt 0x601
	v_mul_f64_e32 v[164:165], v[4:5], v[168:169]
	v_mul_f64_e32 v[168:169], v[6:7], v[168:169]
	s_wait_loadcnt_dscnt 0x500
	v_mul_f64_e32 v[156:157], v[22:23], v[172:173]
	v_add_f64_e32 v[18:19], v[154:155], v[158:159]
	v_add_f64_e32 v[154:155], v[160:161], v[196:197]
	v_mul_f64_e32 v[158:159], v[24:25], v[172:173]
	v_fmac_f64_e32 v[164:165], v[6:7], v[166:167]
	v_fma_f64 v[160:161], v[4:5], v[166:167], -v[168:169]
	v_fmac_f64_e32 v[156:157], v[24:25], v[170:171]
	v_add_f64_e32 v[162:163], v[18:19], v[16:17]
	v_add_f64_e32 v[26:27], v[154:155], v[26:27]
	ds_load_b128 v[4:7], v2 offset:1936
	ds_load_b128 v[16:19], v2 offset:1952
	v_fma_f64 v[22:23], v[22:23], v[170:171], -v[158:159]
	s_wait_loadcnt_dscnt 0x401
	v_mul_f64_e32 v[154:155], v[4:5], v[180:181]
	v_mul_f64_e32 v[166:167], v[6:7], v[180:181]
	s_wait_loadcnt_dscnt 0x300
	v_mul_f64_e32 v[158:159], v[16:17], v[192:193]
	v_add_f64_e32 v[24:25], v[162:163], v[160:161]
	v_add_f64_e32 v[26:27], v[26:27], v[164:165]
	v_mul_f64_e32 v[160:161], v[18:19], v[192:193]
	v_fmac_f64_e32 v[154:155], v[6:7], v[178:179]
	v_fma_f64 v[162:163], v[4:5], v[178:179], -v[166:167]
	v_fmac_f64_e32 v[158:159], v[18:19], v[190:191]
	v_add_f64_e32 v[164:165], v[24:25], v[22:23]
	v_add_f64_e32 v[26:27], v[26:27], v[156:157]
	ds_load_b128 v[4:7], v2 offset:1968
	ds_load_b128 v[22:25], v2 offset:1984
	v_fma_f64 v[16:17], v[16:17], v[190:191], -v[160:161]
	s_wait_loadcnt_dscnt 0x201
	v_mul_f64_e32 v[156:157], v[4:5], v[176:177]
	v_mul_f64_e32 v[166:167], v[6:7], v[176:177]
	v_add_f64_e32 v[18:19], v[164:165], v[162:163]
	v_add_f64_e32 v[26:27], v[26:27], v[154:155]
	s_wait_loadcnt_dscnt 0x100
	v_mul_f64_e32 v[154:155], v[22:23], v[10:11]
	v_mul_f64_e32 v[10:11], v[24:25], v[10:11]
	v_fmac_f64_e32 v[156:157], v[6:7], v[174:175]
	v_fma_f64 v[160:161], v[4:5], v[174:175], -v[166:167]
	ds_load_b128 v[4:7], v2 offset:2000
	v_add_f64_e32 v[16:17], v[18:19], v[16:17]
	v_add_f64_e32 v[18:19], v[26:27], v[158:159]
	v_fmac_f64_e32 v[154:155], v[24:25], v[8:9]
	v_fma_f64 v[8:9], v[22:23], v[8:9], -v[10:11]
	s_wait_loadcnt_dscnt 0x0
	v_mul_f64_e32 v[26:27], v[4:5], v[14:15]
	v_mul_f64_e32 v[14:15], v[6:7], v[14:15]
	v_add_f64_e32 v[10:11], v[16:17], v[160:161]
	v_add_f64_e32 v[16:17], v[18:19], v[156:157]
	s_delay_alu instid0(VALU_DEP_4) | instskip(NEXT) | instid1(VALU_DEP_4)
	v_fmac_f64_e32 v[26:27], v[6:7], v[12:13]
	v_fma_f64 v[4:5], v[4:5], v[12:13], -v[14:15]
	s_delay_alu instid0(VALU_DEP_4) | instskip(NEXT) | instid1(VALU_DEP_4)
	v_add_f64_e32 v[6:7], v[10:11], v[8:9]
	v_add_f64_e32 v[8:9], v[16:17], v[154:155]
	s_delay_alu instid0(VALU_DEP_2) | instskip(NEXT) | instid1(VALU_DEP_2)
	v_add_f64_e32 v[4:5], v[6:7], v[4:5]
	v_add_f64_e32 v[6:7], v[8:9], v[26:27]
	s_delay_alu instid0(VALU_DEP_2) | instskip(NEXT) | instid1(VALU_DEP_2)
	v_add_f64_e64 v[4:5], v[182:183], -v[4:5]
	v_add_f64_e64 v[6:7], v[184:185], -v[6:7]
	scratch_store_b128 off, v[4:7], off offset:560
	s_wait_xcnt 0x0
	v_cmpx_lt_u32_e32 34, v1
	s_cbranch_execz .LBB62_335
; %bb.334:
	scratch_load_b128 v[6:9], off, s44
	v_dual_mov_b32 v3, v2 :: v_dual_mov_b32 v4, v2
	v_mov_b32_e32 v5, v2
	scratch_store_b128 off, v[2:5], off offset:544
	s_wait_loadcnt 0x0
	ds_store_b128 v20, v[6:9]
.LBB62_335:
	s_wait_xcnt 0x0
	s_or_b32 exec_lo, exec_lo, s2
	s_wait_storecnt_dscnt 0x0
	s_barrier_signal -1
	s_barrier_wait -1
	s_clause 0x9
	scratch_load_b128 v[4:7], off, off offset:560
	scratch_load_b128 v[8:11], off, off offset:576
	;; [unrolled: 1-line block ×10, first 2 shown]
	ds_load_b128 v[174:177], v2 offset:1568
	ds_load_b128 v[182:185], v2 offset:1584
	s_clause 0x2
	scratch_load_b128 v[178:181], off, off offset:720
	scratch_load_b128 v[186:189], off, off offset:544
	;; [unrolled: 1-line block ×3, first 2 shown]
	s_mov_b32 s2, exec_lo
	s_wait_loadcnt_dscnt 0xc01
	v_mul_f64_e32 v[26:27], v[176:177], v[6:7]
	v_mul_f64_e32 v[198:199], v[174:175], v[6:7]
	s_wait_loadcnt_dscnt 0xb00
	v_mul_f64_e32 v[200:201], v[182:183], v[10:11]
	v_mul_f64_e32 v[10:11], v[184:185], v[10:11]
	s_delay_alu instid0(VALU_DEP_4) | instskip(NEXT) | instid1(VALU_DEP_4)
	v_fma_f64 v[26:27], v[174:175], v[4:5], -v[26:27]
	v_fmac_f64_e32 v[198:199], v[176:177], v[4:5]
	ds_load_b128 v[4:7], v2 offset:1600
	ds_load_b128 v[174:177], v2 offset:1616
	scratch_load_b128 v[194:197], off, off offset:752
	v_fmac_f64_e32 v[200:201], v[184:185], v[8:9]
	v_fma_f64 v[182:183], v[182:183], v[8:9], -v[10:11]
	scratch_load_b128 v[8:11], off, off offset:768
	s_wait_loadcnt_dscnt 0xc01
	v_mul_f64_e32 v[202:203], v[4:5], v[14:15]
	v_mul_f64_e32 v[14:15], v[6:7], v[14:15]
	v_add_f64_e32 v[26:27], 0, v[26:27]
	v_add_f64_e32 v[184:185], 0, v[198:199]
	s_wait_loadcnt_dscnt 0xb00
	v_mul_f64_e32 v[198:199], v[174:175], v[18:19]
	v_mul_f64_e32 v[18:19], v[176:177], v[18:19]
	v_fmac_f64_e32 v[202:203], v[6:7], v[12:13]
	v_fma_f64 v[204:205], v[4:5], v[12:13], -v[14:15]
	ds_load_b128 v[4:7], v2 offset:1632
	ds_load_b128 v[12:15], v2 offset:1648
	v_add_f64_e32 v[26:27], v[26:27], v[182:183]
	v_add_f64_e32 v[200:201], v[184:185], v[200:201]
	scratch_load_b128 v[182:185], off, off offset:784
	v_fmac_f64_e32 v[198:199], v[176:177], v[16:17]
	v_fma_f64 v[174:175], v[174:175], v[16:17], -v[18:19]
	scratch_load_b128 v[16:19], off, off offset:800
	s_wait_loadcnt_dscnt 0xc01
	v_mul_f64_e32 v[206:207], v[4:5], v[24:25]
	v_mul_f64_e32 v[24:25], v[6:7], v[24:25]
	v_add_f64_e32 v[26:27], v[26:27], v[204:205]
	v_add_f64_e32 v[176:177], v[200:201], v[202:203]
	s_wait_loadcnt_dscnt 0xb00
	v_mul_f64_e32 v[200:201], v[12:13], v[156:157]
	v_mul_f64_e32 v[156:157], v[14:15], v[156:157]
	v_fmac_f64_e32 v[206:207], v[6:7], v[22:23]
	v_fma_f64 v[202:203], v[4:5], v[22:23], -v[24:25]
	ds_load_b128 v[4:7], v2 offset:1664
	ds_load_b128 v[22:25], v2 offset:1680
	s_wait_loadcnt_dscnt 0xa01
	v_mul_f64_e32 v[204:205], v[4:5], v[160:161]
	v_add_f64_e32 v[26:27], v[26:27], v[174:175]
	v_add_f64_e32 v[198:199], v[176:177], v[198:199]
	scratch_load_b128 v[174:177], off, off offset:816
	v_mul_f64_e32 v[160:161], v[6:7], v[160:161]
	v_fmac_f64_e32 v[200:201], v[14:15], v[154:155]
	v_fma_f64 v[154:155], v[12:13], v[154:155], -v[156:157]
	scratch_load_b128 v[12:15], off, off offset:832
	v_fmac_f64_e32 v[204:205], v[6:7], v[158:159]
	v_add_f64_e32 v[26:27], v[26:27], v[202:203]
	v_add_f64_e32 v[156:157], v[198:199], v[206:207]
	s_wait_loadcnt_dscnt 0xb00
	v_mul_f64_e32 v[198:199], v[22:23], v[164:165]
	v_mul_f64_e32 v[164:165], v[24:25], v[164:165]
	v_fma_f64 v[202:203], v[4:5], v[158:159], -v[160:161]
	v_add_f64_e32 v[26:27], v[26:27], v[154:155]
	v_add_f64_e32 v[200:201], v[156:157], v[200:201]
	ds_load_b128 v[4:7], v2 offset:1696
	ds_load_b128 v[154:157], v2 offset:1712
	scratch_load_b128 v[158:161], off, off offset:848
	v_fmac_f64_e32 v[198:199], v[24:25], v[162:163]
	v_fma_f64 v[162:163], v[22:23], v[162:163], -v[164:165]
	scratch_load_b128 v[22:25], off, off offset:864
	s_wait_loadcnt_dscnt 0xc01
	v_mul_f64_e32 v[206:207], v[4:5], v[168:169]
	v_mul_f64_e32 v[168:169], v[6:7], v[168:169]
	v_add_f64_e32 v[26:27], v[26:27], v[202:203]
	v_add_f64_e32 v[164:165], v[200:201], v[204:205]
	s_wait_loadcnt_dscnt 0xb00
	v_mul_f64_e32 v[200:201], v[154:155], v[172:173]
	v_mul_f64_e32 v[172:173], v[156:157], v[172:173]
	v_fmac_f64_e32 v[206:207], v[6:7], v[166:167]
	v_fma_f64 v[202:203], v[4:5], v[166:167], -v[168:169]
	v_add_f64_e32 v[26:27], v[26:27], v[162:163]
	v_add_f64_e32 v[198:199], v[164:165], v[198:199]
	ds_load_b128 v[4:7], v2 offset:1728
	ds_load_b128 v[162:165], v2 offset:1744
	scratch_load_b128 v[166:169], off, off offset:880
	v_fmac_f64_e32 v[200:201], v[156:157], v[170:171]
	v_fma_f64 v[170:171], v[154:155], v[170:171], -v[172:173]
	scratch_load_b128 v[154:157], off, off offset:896
	s_wait_loadcnt_dscnt 0xc01
	v_mul_f64_e32 v[204:205], v[4:5], v[180:181]
	v_mul_f64_e32 v[180:181], v[6:7], v[180:181]
	v_add_f64_e32 v[26:27], v[26:27], v[202:203]
	v_add_f64_e32 v[172:173], v[198:199], v[206:207]
	s_wait_loadcnt_dscnt 0xa00
	v_mul_f64_e32 v[198:199], v[162:163], v[192:193]
	v_mul_f64_e32 v[192:193], v[164:165], v[192:193]
	v_fmac_f64_e32 v[204:205], v[6:7], v[178:179]
	;; [unrolled: 18-line block ×5, first 2 shown]
	v_fma_f64 v[202:203], v[4:5], v[174:175], -v[176:177]
	ds_load_b128 v[4:7], v2 offset:1856
	ds_load_b128 v[174:177], v2 offset:1872
	v_add_f64_e32 v[26:27], v[26:27], v[190:191]
	v_add_f64_e32 v[190:191], v[192:193], v[198:199]
	v_fmac_f64_e32 v[200:201], v[172:173], v[12:13]
	v_fma_f64 v[12:13], v[170:171], v[12:13], -v[14:15]
	s_wait_loadcnt_dscnt 0x901
	v_mul_f64_e32 v[192:193], v[4:5], v[160:161]
	v_mul_f64_e32 v[160:161], v[6:7], v[160:161]
	s_wait_loadcnt_dscnt 0x800
	v_mul_f64_e32 v[170:171], v[174:175], v[24:25]
	v_mul_f64_e32 v[24:25], v[176:177], v[24:25]
	v_add_f64_e32 v[14:15], v[26:27], v[202:203]
	v_add_f64_e32 v[26:27], v[190:191], v[206:207]
	v_fmac_f64_e32 v[192:193], v[6:7], v[158:159]
	v_fma_f64 v[158:159], v[4:5], v[158:159], -v[160:161]
	v_fmac_f64_e32 v[170:171], v[176:177], v[22:23]
	v_fma_f64 v[22:23], v[174:175], v[22:23], -v[24:25]
	v_add_f64_e32 v[160:161], v[14:15], v[12:13]
	v_add_f64_e32 v[26:27], v[26:27], v[200:201]
	ds_load_b128 v[4:7], v2 offset:1888
	ds_load_b128 v[12:15], v2 offset:1904
	s_wait_loadcnt_dscnt 0x701
	v_mul_f64_e32 v[172:173], v[4:5], v[168:169]
	v_mul_f64_e32 v[168:169], v[6:7], v[168:169]
	v_add_f64_e32 v[24:25], v[160:161], v[158:159]
	v_add_f64_e32 v[26:27], v[26:27], v[192:193]
	s_wait_loadcnt_dscnt 0x600
	v_mul_f64_e32 v[158:159], v[12:13], v[156:157]
	v_mul_f64_e32 v[156:157], v[14:15], v[156:157]
	v_fmac_f64_e32 v[172:173], v[6:7], v[166:167]
	v_fma_f64 v[160:161], v[4:5], v[166:167], -v[168:169]
	v_add_f64_e32 v[166:167], v[24:25], v[22:23]
	v_add_f64_e32 v[26:27], v[26:27], v[170:171]
	ds_load_b128 v[4:7], v2 offset:1920
	ds_load_b128 v[22:25], v2 offset:1936
	v_fmac_f64_e32 v[158:159], v[14:15], v[154:155]
	v_fma_f64 v[12:13], v[12:13], v[154:155], -v[156:157]
	s_wait_loadcnt_dscnt 0x501
	v_mul_f64_e32 v[168:169], v[4:5], v[180:181]
	v_mul_f64_e32 v[170:171], v[6:7], v[180:181]
	s_wait_loadcnt_dscnt 0x400
	v_mul_f64_e32 v[154:155], v[22:23], v[164:165]
	v_mul_f64_e32 v[156:157], v[24:25], v[164:165]
	v_add_f64_e32 v[14:15], v[166:167], v[160:161]
	v_add_f64_e32 v[26:27], v[26:27], v[172:173]
	v_fmac_f64_e32 v[168:169], v[6:7], v[178:179]
	v_fma_f64 v[160:161], v[4:5], v[178:179], -v[170:171]
	v_fmac_f64_e32 v[154:155], v[24:25], v[162:163]
	v_fma_f64 v[22:23], v[22:23], v[162:163], -v[156:157]
	v_add_f64_e32 v[164:165], v[14:15], v[12:13]
	v_add_f64_e32 v[26:27], v[26:27], v[158:159]
	ds_load_b128 v[4:7], v2 offset:1952
	ds_load_b128 v[12:15], v2 offset:1968
	s_wait_loadcnt_dscnt 0x301
	v_mul_f64_e32 v[158:159], v[4:5], v[196:197]
	v_mul_f64_e32 v[166:167], v[6:7], v[196:197]
	s_wait_loadcnt_dscnt 0x200
	v_mul_f64_e32 v[156:157], v[12:13], v[10:11]
	v_mul_f64_e32 v[10:11], v[14:15], v[10:11]
	v_add_f64_e32 v[24:25], v[164:165], v[160:161]
	v_add_f64_e32 v[26:27], v[26:27], v[168:169]
	v_fmac_f64_e32 v[158:159], v[6:7], v[194:195]
	v_fma_f64 v[160:161], v[4:5], v[194:195], -v[166:167]
	v_fmac_f64_e32 v[156:157], v[14:15], v[8:9]
	v_fma_f64 v[8:9], v[12:13], v[8:9], -v[10:11]
	v_add_f64_e32 v[162:163], v[24:25], v[22:23]
	v_add_f64_e32 v[26:27], v[26:27], v[154:155]
	ds_load_b128 v[4:7], v2 offset:1984
	ds_load_b128 v[22:25], v2 offset:2000
	s_wait_loadcnt_dscnt 0x101
	v_mul_f64_e32 v[2:3], v[4:5], v[184:185]
	v_mul_f64_e32 v[154:155], v[6:7], v[184:185]
	s_wait_loadcnt_dscnt 0x0
	v_mul_f64_e32 v[14:15], v[22:23], v[18:19]
	v_mul_f64_e32 v[18:19], v[24:25], v[18:19]
	v_add_f64_e32 v[10:11], v[162:163], v[160:161]
	v_add_f64_e32 v[12:13], v[26:27], v[158:159]
	v_fmac_f64_e32 v[2:3], v[6:7], v[182:183]
	v_fma_f64 v[4:5], v[4:5], v[182:183], -v[154:155]
	v_fmac_f64_e32 v[14:15], v[24:25], v[16:17]
	v_add_f64_e32 v[6:7], v[10:11], v[8:9]
	v_add_f64_e32 v[8:9], v[12:13], v[156:157]
	v_fma_f64 v[10:11], v[22:23], v[16:17], -v[18:19]
	s_delay_alu instid0(VALU_DEP_3) | instskip(NEXT) | instid1(VALU_DEP_3)
	v_add_f64_e32 v[4:5], v[6:7], v[4:5]
	v_add_f64_e32 v[2:3], v[8:9], v[2:3]
	s_delay_alu instid0(VALU_DEP_2) | instskip(NEXT) | instid1(VALU_DEP_2)
	v_add_f64_e32 v[4:5], v[4:5], v[10:11]
	v_add_f64_e32 v[6:7], v[2:3], v[14:15]
	s_delay_alu instid0(VALU_DEP_2) | instskip(NEXT) | instid1(VALU_DEP_2)
	v_add_f64_e64 v[2:3], v[186:187], -v[4:5]
	v_add_f64_e64 v[4:5], v[188:189], -v[6:7]
	scratch_store_b128 off, v[2:5], off offset:544
	s_wait_xcnt 0x0
	v_cmpx_lt_u32_e32 33, v1
	s_cbranch_execz .LBB62_337
; %bb.336:
	scratch_load_b128 v[2:5], off, s43
	v_mov_b32_e32 v6, 0
	s_delay_alu instid0(VALU_DEP_1)
	v_dual_mov_b32 v7, v6 :: v_dual_mov_b32 v8, v6
	v_mov_b32_e32 v9, v6
	scratch_store_b128 off, v[6:9], off offset:528
	s_wait_loadcnt 0x0
	ds_store_b128 v20, v[2:5]
.LBB62_337:
	s_wait_xcnt 0x0
	s_or_b32 exec_lo, exec_lo, s2
	s_wait_storecnt_dscnt 0x0
	s_barrier_signal -1
	s_barrier_wait -1
	s_clause 0x9
	scratch_load_b128 v[4:7], off, off offset:544
	scratch_load_b128 v[8:11], off, off offset:560
	;; [unrolled: 1-line block ×10, first 2 shown]
	v_mov_b32_e32 v2, 0
	s_mov_b32 s2, exec_lo
	ds_load_b128 v[174:177], v2 offset:1552
	s_clause 0x2
	scratch_load_b128 v[178:181], off, off offset:704
	scratch_load_b128 v[182:185], off, off offset:528
	;; [unrolled: 1-line block ×3, first 2 shown]
	s_wait_loadcnt_dscnt 0xc00
	v_mul_f64_e32 v[26:27], v[176:177], v[6:7]
	v_mul_f64_e32 v[198:199], v[174:175], v[6:7]
	ds_load_b128 v[186:189], v2 offset:1568
	ds_load_b128 v[194:197], v2 offset:1600
	v_fma_f64 v[26:27], v[174:175], v[4:5], -v[26:27]
	v_fmac_f64_e32 v[198:199], v[176:177], v[4:5]
	ds_load_b128 v[4:7], v2 offset:1584
	s_wait_loadcnt_dscnt 0xb02
	v_mul_f64_e32 v[200:201], v[186:187], v[10:11]
	v_mul_f64_e32 v[10:11], v[188:189], v[10:11]
	scratch_load_b128 v[174:177], off, off offset:736
	s_wait_loadcnt_dscnt 0xb00
	v_mul_f64_e32 v[202:203], v[4:5], v[14:15]
	v_mul_f64_e32 v[14:15], v[6:7], v[14:15]
	v_add_f64_e32 v[26:27], 0, v[26:27]
	v_fmac_f64_e32 v[200:201], v[188:189], v[8:9]
	v_fma_f64 v[186:187], v[186:187], v[8:9], -v[10:11]
	v_add_f64_e32 v[188:189], 0, v[198:199]
	scratch_load_b128 v[8:11], off, off offset:752
	v_fmac_f64_e32 v[202:203], v[6:7], v[12:13]
	v_fma_f64 v[204:205], v[4:5], v[12:13], -v[14:15]
	ds_load_b128 v[4:7], v2 offset:1616
	s_wait_loadcnt 0xb
	v_mul_f64_e32 v[198:199], v[194:195], v[18:19]
	v_mul_f64_e32 v[18:19], v[196:197], v[18:19]
	scratch_load_b128 v[12:15], off, off offset:768
	v_add_f64_e32 v[26:27], v[26:27], v[186:187]
	v_add_f64_e32 v[200:201], v[188:189], v[200:201]
	ds_load_b128 v[186:189], v2 offset:1632
	s_wait_loadcnt_dscnt 0xb01
	v_mul_f64_e32 v[206:207], v[4:5], v[24:25]
	v_mul_f64_e32 v[24:25], v[6:7], v[24:25]
	v_fmac_f64_e32 v[198:199], v[196:197], v[16:17]
	v_fma_f64 v[194:195], v[194:195], v[16:17], -v[18:19]
	scratch_load_b128 v[16:19], off, off offset:784
	v_add_f64_e32 v[26:27], v[26:27], v[204:205]
	v_add_f64_e32 v[196:197], v[200:201], v[202:203]
	v_fmac_f64_e32 v[206:207], v[6:7], v[22:23]
	v_fma_f64 v[202:203], v[4:5], v[22:23], -v[24:25]
	ds_load_b128 v[4:7], v2 offset:1648
	s_wait_loadcnt_dscnt 0xb01
	v_mul_f64_e32 v[200:201], v[186:187], v[156:157]
	v_mul_f64_e32 v[156:157], v[188:189], v[156:157]
	scratch_load_b128 v[22:25], off, off offset:800
	s_wait_loadcnt_dscnt 0xb00
	v_mul_f64_e32 v[204:205], v[4:5], v[160:161]
	v_mul_f64_e32 v[160:161], v[6:7], v[160:161]
	v_add_f64_e32 v[26:27], v[26:27], v[194:195]
	v_add_f64_e32 v[198:199], v[196:197], v[198:199]
	ds_load_b128 v[194:197], v2 offset:1664
	v_fmac_f64_e32 v[200:201], v[188:189], v[154:155]
	v_fma_f64 v[186:187], v[186:187], v[154:155], -v[156:157]
	scratch_load_b128 v[154:157], off, off offset:816
	v_fmac_f64_e32 v[204:205], v[6:7], v[158:159]
	v_add_f64_e32 v[26:27], v[26:27], v[202:203]
	v_add_f64_e32 v[188:189], v[198:199], v[206:207]
	v_fma_f64 v[202:203], v[4:5], v[158:159], -v[160:161]
	ds_load_b128 v[4:7], v2 offset:1680
	s_wait_loadcnt_dscnt 0xb01
	v_mul_f64_e32 v[198:199], v[194:195], v[164:165]
	v_mul_f64_e32 v[164:165], v[196:197], v[164:165]
	scratch_load_b128 v[158:161], off, off offset:832
	s_wait_loadcnt_dscnt 0xb00
	v_mul_f64_e32 v[206:207], v[4:5], v[168:169]
	v_mul_f64_e32 v[168:169], v[6:7], v[168:169]
	v_add_f64_e32 v[26:27], v[26:27], v[186:187]
	v_add_f64_e32 v[200:201], v[188:189], v[200:201]
	ds_load_b128 v[186:189], v2 offset:1696
	v_fmac_f64_e32 v[198:199], v[196:197], v[162:163]
	v_fma_f64 v[194:195], v[194:195], v[162:163], -v[164:165]
	scratch_load_b128 v[162:165], off, off offset:848
	v_fmac_f64_e32 v[206:207], v[6:7], v[166:167]
	v_add_f64_e32 v[26:27], v[26:27], v[202:203]
	v_add_f64_e32 v[196:197], v[200:201], v[204:205]
	;; [unrolled: 18-line block ×3, first 2 shown]
	v_fma_f64 v[202:203], v[4:5], v[178:179], -v[180:181]
	ds_load_b128 v[4:7], v2 offset:1744
	s_wait_loadcnt_dscnt 0xa01
	v_mul_f64_e32 v[198:199], v[194:195], v[192:193]
	v_mul_f64_e32 v[192:193], v[196:197], v[192:193]
	scratch_load_b128 v[178:181], off, off offset:896
	v_add_f64_e32 v[26:27], v[26:27], v[186:187]
	v_add_f64_e32 v[200:201], v[188:189], v[200:201]
	s_wait_loadcnt_dscnt 0xa00
	v_mul_f64_e32 v[206:207], v[4:5], v[176:177]
	v_mul_f64_e32 v[176:177], v[6:7], v[176:177]
	v_fmac_f64_e32 v[198:199], v[196:197], v[190:191]
	v_fma_f64 v[194:195], v[194:195], v[190:191], -v[192:193]
	ds_load_b128 v[186:189], v2 offset:1760
	scratch_load_b128 v[190:193], off, off offset:912
	v_add_f64_e32 v[26:27], v[26:27], v[202:203]
	v_add_f64_e32 v[196:197], v[200:201], v[204:205]
	v_fmac_f64_e32 v[206:207], v[6:7], v[174:175]
	v_fma_f64 v[202:203], v[4:5], v[174:175], -v[176:177]
	ds_load_b128 v[4:7], v2 offset:1776
	s_wait_loadcnt_dscnt 0xa01
	v_mul_f64_e32 v[200:201], v[186:187], v[10:11]
	v_mul_f64_e32 v[10:11], v[188:189], v[10:11]
	scratch_load_b128 v[174:177], off, off offset:928
	s_wait_loadcnt_dscnt 0xa00
	v_mul_f64_e32 v[204:205], v[4:5], v[14:15]
	v_mul_f64_e32 v[14:15], v[6:7], v[14:15]
	v_add_f64_e32 v[26:27], v[26:27], v[194:195]
	v_add_f64_e32 v[198:199], v[196:197], v[198:199]
	ds_load_b128 v[194:197], v2 offset:1792
	v_fmac_f64_e32 v[200:201], v[188:189], v[8:9]
	v_fma_f64 v[186:187], v[186:187], v[8:9], -v[10:11]
	scratch_load_b128 v[8:11], off, off offset:944
	v_fmac_f64_e32 v[204:205], v[6:7], v[12:13]
	v_add_f64_e32 v[26:27], v[26:27], v[202:203]
	v_add_f64_e32 v[188:189], v[198:199], v[206:207]
	v_fma_f64 v[202:203], v[4:5], v[12:13], -v[14:15]
	ds_load_b128 v[4:7], v2 offset:1808
	s_wait_loadcnt_dscnt 0xa01
	v_mul_f64_e32 v[198:199], v[194:195], v[18:19]
	v_mul_f64_e32 v[18:19], v[196:197], v[18:19]
	scratch_load_b128 v[12:15], off, off offset:960
	s_wait_loadcnt_dscnt 0xa00
	v_mul_f64_e32 v[206:207], v[4:5], v[24:25]
	v_mul_f64_e32 v[24:25], v[6:7], v[24:25]
	v_add_f64_e32 v[26:27], v[26:27], v[186:187]
	v_add_f64_e32 v[200:201], v[188:189], v[200:201]
	ds_load_b128 v[186:189], v2 offset:1824
	v_fmac_f64_e32 v[198:199], v[196:197], v[16:17]
	v_fma_f64 v[194:195], v[194:195], v[16:17], -v[18:19]
	scratch_load_b128 v[16:19], off, off offset:976
	v_fmac_f64_e32 v[206:207], v[6:7], v[22:23]
	v_add_f64_e32 v[26:27], v[26:27], v[202:203]
	v_add_f64_e32 v[196:197], v[200:201], v[204:205]
	v_fma_f64 v[202:203], v[4:5], v[22:23], -v[24:25]
	ds_load_b128 v[4:7], v2 offset:1840
	s_wait_loadcnt_dscnt 0xa01
	v_mul_f64_e32 v[200:201], v[186:187], v[156:157]
	v_mul_f64_e32 v[156:157], v[188:189], v[156:157]
	scratch_load_b128 v[22:25], off, off offset:992
	s_wait_loadcnt_dscnt 0xa00
	v_mul_f64_e32 v[204:205], v[4:5], v[160:161]
	v_mul_f64_e32 v[160:161], v[6:7], v[160:161]
	v_add_f64_e32 v[26:27], v[26:27], v[194:195]
	v_add_f64_e32 v[198:199], v[196:197], v[198:199]
	ds_load_b128 v[194:197], v2 offset:1856
	v_fmac_f64_e32 v[200:201], v[188:189], v[154:155]
	v_fma_f64 v[154:155], v[186:187], v[154:155], -v[156:157]
	s_wait_loadcnt_dscnt 0x900
	v_mul_f64_e32 v[186:187], v[194:195], v[164:165]
	v_mul_f64_e32 v[164:165], v[196:197], v[164:165]
	v_fmac_f64_e32 v[204:205], v[6:7], v[158:159]
	v_fma_f64 v[158:159], v[4:5], v[158:159], -v[160:161]
	v_add_f64_e32 v[26:27], v[26:27], v[202:203]
	v_add_f64_e32 v[156:157], v[198:199], v[206:207]
	v_fmac_f64_e32 v[186:187], v[196:197], v[162:163]
	v_fma_f64 v[162:163], v[194:195], v[162:163], -v[164:165]
	s_delay_alu instid0(VALU_DEP_4) | instskip(NEXT) | instid1(VALU_DEP_4)
	v_add_f64_e32 v[26:27], v[26:27], v[154:155]
	v_add_f64_e32 v[160:161], v[156:157], v[200:201]
	ds_load_b128 v[4:7], v2 offset:1872
	ds_load_b128 v[154:157], v2 offset:1888
	s_wait_loadcnt_dscnt 0x801
	v_mul_f64_e32 v[188:189], v[4:5], v[168:169]
	v_mul_f64_e32 v[168:169], v[6:7], v[168:169]
	s_wait_loadcnt_dscnt 0x700
	v_mul_f64_e32 v[164:165], v[154:155], v[172:173]
	v_mul_f64_e32 v[172:173], v[156:157], v[172:173]
	v_add_f64_e32 v[26:27], v[26:27], v[158:159]
	v_add_f64_e32 v[158:159], v[160:161], v[204:205]
	v_fmac_f64_e32 v[188:189], v[6:7], v[166:167]
	v_fma_f64 v[166:167], v[4:5], v[166:167], -v[168:169]
	v_fmac_f64_e32 v[164:165], v[156:157], v[170:171]
	v_fma_f64 v[154:155], v[154:155], v[170:171], -v[172:173]
	v_add_f64_e32 v[26:27], v[26:27], v[162:163]
	v_add_f64_e32 v[162:163], v[158:159], v[186:187]
	ds_load_b128 v[4:7], v2 offset:1904
	ds_load_b128 v[158:161], v2 offset:1920
	s_wait_loadcnt_dscnt 0x601
	v_mul_f64_e32 v[168:169], v[4:5], v[180:181]
	v_mul_f64_e32 v[180:181], v[6:7], v[180:181]
	v_add_f64_e32 v[26:27], v[26:27], v[166:167]
	v_add_f64_e32 v[156:157], v[162:163], v[188:189]
	s_wait_loadcnt_dscnt 0x500
	v_mul_f64_e32 v[162:163], v[158:159], v[192:193]
	v_mul_f64_e32 v[166:167], v[160:161], v[192:193]
	v_fmac_f64_e32 v[168:169], v[6:7], v[178:179]
	v_fma_f64 v[170:171], v[4:5], v[178:179], -v[180:181]
	v_add_f64_e32 v[26:27], v[26:27], v[154:155]
	v_add_f64_e32 v[164:165], v[156:157], v[164:165]
	ds_load_b128 v[4:7], v2 offset:1936
	ds_load_b128 v[154:157], v2 offset:1952
	v_fmac_f64_e32 v[162:163], v[160:161], v[190:191]
	v_fma_f64 v[158:159], v[158:159], v[190:191], -v[166:167]
	s_wait_loadcnt_dscnt 0x401
	v_mul_f64_e32 v[172:173], v[4:5], v[176:177]
	v_mul_f64_e32 v[176:177], v[6:7], v[176:177]
	v_add_f64_e32 v[26:27], v[26:27], v[170:171]
	v_add_f64_e32 v[160:161], v[164:165], v[168:169]
	s_wait_loadcnt_dscnt 0x300
	v_mul_f64_e32 v[164:165], v[154:155], v[10:11]
	v_mul_f64_e32 v[10:11], v[156:157], v[10:11]
	v_fmac_f64_e32 v[172:173], v[6:7], v[174:175]
	v_fma_f64 v[166:167], v[4:5], v[174:175], -v[176:177]
	v_add_f64_e32 v[26:27], v[26:27], v[158:159]
	v_add_f64_e32 v[162:163], v[160:161], v[162:163]
	ds_load_b128 v[4:7], v2 offset:1968
	ds_load_b128 v[158:161], v2 offset:1984
	v_fmac_f64_e32 v[164:165], v[156:157], v[8:9]
	v_fma_f64 v[8:9], v[154:155], v[8:9], -v[10:11]
	s_wait_loadcnt_dscnt 0x201
	v_mul_f64_e32 v[168:169], v[4:5], v[14:15]
	v_mul_f64_e32 v[14:15], v[6:7], v[14:15]
	s_wait_loadcnt_dscnt 0x100
	v_mul_f64_e32 v[154:155], v[158:159], v[18:19]
	v_mul_f64_e32 v[18:19], v[160:161], v[18:19]
	v_add_f64_e32 v[10:11], v[26:27], v[166:167]
	v_add_f64_e32 v[26:27], v[162:163], v[172:173]
	v_fmac_f64_e32 v[168:169], v[6:7], v[12:13]
	v_fma_f64 v[12:13], v[4:5], v[12:13], -v[14:15]
	ds_load_b128 v[4:7], v2 offset:2000
	v_fmac_f64_e32 v[154:155], v[160:161], v[16:17]
	v_fma_f64 v[16:17], v[158:159], v[16:17], -v[18:19]
	v_add_f64_e32 v[8:9], v[10:11], v[8:9]
	v_add_f64_e32 v[10:11], v[26:27], v[164:165]
	s_wait_loadcnt_dscnt 0x0
	v_mul_f64_e32 v[14:15], v[4:5], v[24:25]
	v_mul_f64_e32 v[24:25], v[6:7], v[24:25]
	s_delay_alu instid0(VALU_DEP_4) | instskip(NEXT) | instid1(VALU_DEP_4)
	v_add_f64_e32 v[8:9], v[8:9], v[12:13]
	v_add_f64_e32 v[10:11], v[10:11], v[168:169]
	s_delay_alu instid0(VALU_DEP_4) | instskip(NEXT) | instid1(VALU_DEP_4)
	v_fmac_f64_e32 v[14:15], v[6:7], v[22:23]
	v_fma_f64 v[4:5], v[4:5], v[22:23], -v[24:25]
	s_delay_alu instid0(VALU_DEP_4) | instskip(NEXT) | instid1(VALU_DEP_4)
	v_add_f64_e32 v[6:7], v[8:9], v[16:17]
	v_add_f64_e32 v[8:9], v[10:11], v[154:155]
	s_delay_alu instid0(VALU_DEP_2) | instskip(NEXT) | instid1(VALU_DEP_2)
	v_add_f64_e32 v[4:5], v[6:7], v[4:5]
	v_add_f64_e32 v[6:7], v[8:9], v[14:15]
	s_delay_alu instid0(VALU_DEP_2) | instskip(NEXT) | instid1(VALU_DEP_2)
	v_add_f64_e64 v[4:5], v[182:183], -v[4:5]
	v_add_f64_e64 v[6:7], v[184:185], -v[6:7]
	scratch_store_b128 off, v[4:7], off offset:528
	s_wait_xcnt 0x0
	v_cmpx_lt_u32_e32 32, v1
	s_cbranch_execz .LBB62_339
; %bb.338:
	scratch_load_b128 v[6:9], off, s46
	v_dual_mov_b32 v3, v2 :: v_dual_mov_b32 v4, v2
	v_mov_b32_e32 v5, v2
	scratch_store_b128 off, v[2:5], off offset:512
	s_wait_loadcnt 0x0
	ds_store_b128 v20, v[6:9]
.LBB62_339:
	s_wait_xcnt 0x0
	s_or_b32 exec_lo, exec_lo, s2
	s_wait_storecnt_dscnt 0x0
	s_barrier_signal -1
	s_barrier_wait -1
	s_clause 0x9
	scratch_load_b128 v[4:7], off, off offset:528
	scratch_load_b128 v[8:11], off, off offset:544
	;; [unrolled: 1-line block ×10, first 2 shown]
	ds_load_b128 v[174:177], v2 offset:1536
	ds_load_b128 v[182:185], v2 offset:1552
	s_clause 0x2
	scratch_load_b128 v[178:181], off, off offset:688
	scratch_load_b128 v[186:189], off, off offset:512
	;; [unrolled: 1-line block ×3, first 2 shown]
	s_mov_b32 s2, exec_lo
	s_wait_loadcnt_dscnt 0xc01
	v_mul_f64_e32 v[26:27], v[176:177], v[6:7]
	v_mul_f64_e32 v[198:199], v[174:175], v[6:7]
	s_wait_loadcnt_dscnt 0xb00
	v_mul_f64_e32 v[200:201], v[182:183], v[10:11]
	v_mul_f64_e32 v[10:11], v[184:185], v[10:11]
	s_delay_alu instid0(VALU_DEP_4) | instskip(NEXT) | instid1(VALU_DEP_4)
	v_fma_f64 v[26:27], v[174:175], v[4:5], -v[26:27]
	v_fmac_f64_e32 v[198:199], v[176:177], v[4:5]
	ds_load_b128 v[4:7], v2 offset:1568
	ds_load_b128 v[174:177], v2 offset:1584
	scratch_load_b128 v[194:197], off, off offset:720
	v_fmac_f64_e32 v[200:201], v[184:185], v[8:9]
	v_fma_f64 v[182:183], v[182:183], v[8:9], -v[10:11]
	scratch_load_b128 v[8:11], off, off offset:736
	s_wait_loadcnt_dscnt 0xc01
	v_mul_f64_e32 v[202:203], v[4:5], v[14:15]
	v_mul_f64_e32 v[14:15], v[6:7], v[14:15]
	v_add_f64_e32 v[26:27], 0, v[26:27]
	v_add_f64_e32 v[184:185], 0, v[198:199]
	s_wait_loadcnt_dscnt 0xb00
	v_mul_f64_e32 v[198:199], v[174:175], v[18:19]
	v_mul_f64_e32 v[18:19], v[176:177], v[18:19]
	v_fmac_f64_e32 v[202:203], v[6:7], v[12:13]
	v_fma_f64 v[204:205], v[4:5], v[12:13], -v[14:15]
	ds_load_b128 v[4:7], v2 offset:1600
	ds_load_b128 v[12:15], v2 offset:1616
	v_add_f64_e32 v[26:27], v[26:27], v[182:183]
	v_add_f64_e32 v[200:201], v[184:185], v[200:201]
	scratch_load_b128 v[182:185], off, off offset:752
	v_fmac_f64_e32 v[198:199], v[176:177], v[16:17]
	v_fma_f64 v[174:175], v[174:175], v[16:17], -v[18:19]
	scratch_load_b128 v[16:19], off, off offset:768
	s_wait_loadcnt_dscnt 0xc01
	v_mul_f64_e32 v[206:207], v[4:5], v[24:25]
	v_mul_f64_e32 v[24:25], v[6:7], v[24:25]
	v_add_f64_e32 v[26:27], v[26:27], v[204:205]
	v_add_f64_e32 v[176:177], v[200:201], v[202:203]
	s_wait_loadcnt_dscnt 0xb00
	v_mul_f64_e32 v[200:201], v[12:13], v[156:157]
	v_mul_f64_e32 v[156:157], v[14:15], v[156:157]
	v_fmac_f64_e32 v[206:207], v[6:7], v[22:23]
	v_fma_f64 v[202:203], v[4:5], v[22:23], -v[24:25]
	ds_load_b128 v[4:7], v2 offset:1632
	ds_load_b128 v[22:25], v2 offset:1648
	s_wait_loadcnt_dscnt 0xa01
	v_mul_f64_e32 v[204:205], v[4:5], v[160:161]
	v_add_f64_e32 v[26:27], v[26:27], v[174:175]
	v_add_f64_e32 v[198:199], v[176:177], v[198:199]
	scratch_load_b128 v[174:177], off, off offset:784
	v_mul_f64_e32 v[160:161], v[6:7], v[160:161]
	v_fmac_f64_e32 v[200:201], v[14:15], v[154:155]
	v_fma_f64 v[154:155], v[12:13], v[154:155], -v[156:157]
	scratch_load_b128 v[12:15], off, off offset:800
	v_fmac_f64_e32 v[204:205], v[6:7], v[158:159]
	v_add_f64_e32 v[26:27], v[26:27], v[202:203]
	v_add_f64_e32 v[156:157], v[198:199], v[206:207]
	s_wait_loadcnt_dscnt 0xb00
	v_mul_f64_e32 v[198:199], v[22:23], v[164:165]
	v_mul_f64_e32 v[164:165], v[24:25], v[164:165]
	v_fma_f64 v[202:203], v[4:5], v[158:159], -v[160:161]
	v_add_f64_e32 v[26:27], v[26:27], v[154:155]
	v_add_f64_e32 v[200:201], v[156:157], v[200:201]
	ds_load_b128 v[4:7], v2 offset:1664
	ds_load_b128 v[154:157], v2 offset:1680
	scratch_load_b128 v[158:161], off, off offset:816
	v_fmac_f64_e32 v[198:199], v[24:25], v[162:163]
	v_fma_f64 v[162:163], v[22:23], v[162:163], -v[164:165]
	scratch_load_b128 v[22:25], off, off offset:832
	s_wait_loadcnt_dscnt 0xc01
	v_mul_f64_e32 v[206:207], v[4:5], v[168:169]
	v_mul_f64_e32 v[168:169], v[6:7], v[168:169]
	v_add_f64_e32 v[26:27], v[26:27], v[202:203]
	v_add_f64_e32 v[164:165], v[200:201], v[204:205]
	s_wait_loadcnt_dscnt 0xb00
	v_mul_f64_e32 v[200:201], v[154:155], v[172:173]
	v_mul_f64_e32 v[172:173], v[156:157], v[172:173]
	v_fmac_f64_e32 v[206:207], v[6:7], v[166:167]
	v_fma_f64 v[202:203], v[4:5], v[166:167], -v[168:169]
	v_add_f64_e32 v[26:27], v[26:27], v[162:163]
	v_add_f64_e32 v[198:199], v[164:165], v[198:199]
	ds_load_b128 v[4:7], v2 offset:1696
	ds_load_b128 v[162:165], v2 offset:1712
	scratch_load_b128 v[166:169], off, off offset:848
	v_fmac_f64_e32 v[200:201], v[156:157], v[170:171]
	v_fma_f64 v[170:171], v[154:155], v[170:171], -v[172:173]
	scratch_load_b128 v[154:157], off, off offset:864
	s_wait_loadcnt_dscnt 0xc01
	v_mul_f64_e32 v[204:205], v[4:5], v[180:181]
	v_mul_f64_e32 v[180:181], v[6:7], v[180:181]
	v_add_f64_e32 v[26:27], v[26:27], v[202:203]
	v_add_f64_e32 v[172:173], v[198:199], v[206:207]
	s_wait_loadcnt_dscnt 0xa00
	v_mul_f64_e32 v[198:199], v[162:163], v[192:193]
	v_mul_f64_e32 v[192:193], v[164:165], v[192:193]
	v_fmac_f64_e32 v[204:205], v[6:7], v[178:179]
	;; [unrolled: 18-line block ×5, first 2 shown]
	v_fma_f64 v[202:203], v[4:5], v[174:175], -v[176:177]
	ds_load_b128 v[4:7], v2 offset:1824
	ds_load_b128 v[174:177], v2 offset:1840
	v_add_f64_e32 v[26:27], v[26:27], v[190:191]
	v_add_f64_e32 v[198:199], v[192:193], v[198:199]
	scratch_load_b128 v[190:193], off, off offset:976
	v_fmac_f64_e32 v[200:201], v[172:173], v[12:13]
	v_fma_f64 v[170:171], v[170:171], v[12:13], -v[14:15]
	scratch_load_b128 v[12:15], off, off offset:992
	s_wait_loadcnt_dscnt 0xb01
	v_mul_f64_e32 v[204:205], v[4:5], v[160:161]
	v_mul_f64_e32 v[160:161], v[6:7], v[160:161]
	v_add_f64_e32 v[26:27], v[26:27], v[202:203]
	v_add_f64_e32 v[172:173], v[198:199], v[206:207]
	s_wait_loadcnt_dscnt 0xa00
	v_mul_f64_e32 v[198:199], v[174:175], v[24:25]
	v_mul_f64_e32 v[202:203], v[176:177], v[24:25]
	v_fmac_f64_e32 v[204:205], v[6:7], v[158:159]
	v_fma_f64 v[158:159], v[4:5], v[158:159], -v[160:161]
	v_add_f64_e32 v[160:161], v[26:27], v[170:171]
	v_add_f64_e32 v[170:171], v[172:173], v[200:201]
	ds_load_b128 v[4:7], v2 offset:1856
	ds_load_b128 v[24:27], v2 offset:1872
	v_fmac_f64_e32 v[198:199], v[176:177], v[22:23]
	v_fma_f64 v[22:23], v[174:175], v[22:23], -v[202:203]
	s_wait_loadcnt_dscnt 0x901
	v_mul_f64_e32 v[172:173], v[4:5], v[168:169]
	v_mul_f64_e32 v[168:169], v[6:7], v[168:169]
	s_wait_loadcnt_dscnt 0x800
	v_mul_f64_e32 v[174:175], v[26:27], v[156:157]
	v_add_f64_e32 v[158:159], v[160:161], v[158:159]
	v_add_f64_e32 v[160:161], v[170:171], v[204:205]
	v_mul_f64_e32 v[170:171], v[24:25], v[156:157]
	v_fmac_f64_e32 v[172:173], v[6:7], v[166:167]
	v_fma_f64 v[166:167], v[4:5], v[166:167], -v[168:169]
	v_fma_f64 v[24:25], v[24:25], v[154:155], -v[174:175]
	v_add_f64_e32 v[22:23], v[158:159], v[22:23]
	v_add_f64_e32 v[160:161], v[160:161], v[198:199]
	ds_load_b128 v[4:7], v2 offset:1888
	ds_load_b128 v[156:159], v2 offset:1904
	v_fmac_f64_e32 v[170:171], v[26:27], v[154:155]
	s_wait_loadcnt_dscnt 0x701
	v_mul_f64_e32 v[168:169], v[4:5], v[180:181]
	v_mul_f64_e32 v[176:177], v[6:7], v[180:181]
	s_wait_loadcnt_dscnt 0x600
	v_mul_f64_e32 v[154:155], v[156:157], v[164:165]
	v_add_f64_e32 v[22:23], v[22:23], v[166:167]
	v_add_f64_e32 v[26:27], v[160:161], v[172:173]
	v_mul_f64_e32 v[160:161], v[158:159], v[164:165]
	v_fmac_f64_e32 v[168:169], v[6:7], v[178:179]
	v_fma_f64 v[164:165], v[4:5], v[178:179], -v[176:177]
	v_fmac_f64_e32 v[154:155], v[158:159], v[162:163]
	v_add_f64_e32 v[166:167], v[22:23], v[24:25]
	v_add_f64_e32 v[26:27], v[26:27], v[170:171]
	ds_load_b128 v[4:7], v2 offset:1920
	ds_load_b128 v[22:25], v2 offset:1936
	v_fma_f64 v[156:157], v[156:157], v[162:163], -v[160:161]
	s_wait_loadcnt_dscnt 0x501
	v_mul_f64_e32 v[170:171], v[4:5], v[196:197]
	v_mul_f64_e32 v[172:173], v[6:7], v[196:197]
	s_wait_loadcnt_dscnt 0x400
	v_mul_f64_e32 v[160:161], v[22:23], v[10:11]
	v_mul_f64_e32 v[10:11], v[24:25], v[10:11]
	v_add_f64_e32 v[158:159], v[166:167], v[164:165]
	v_add_f64_e32 v[26:27], v[26:27], v[168:169]
	v_fmac_f64_e32 v[170:171], v[6:7], v[194:195]
	v_fma_f64 v[162:163], v[4:5], v[194:195], -v[172:173]
	v_fmac_f64_e32 v[160:161], v[24:25], v[8:9]
	v_fma_f64 v[8:9], v[22:23], v[8:9], -v[10:11]
	v_add_f64_e32 v[158:159], v[158:159], v[156:157]
	v_add_f64_e32 v[26:27], v[26:27], v[154:155]
	ds_load_b128 v[4:7], v2 offset:1952
	ds_load_b128 v[154:157], v2 offset:1968
	s_wait_loadcnt_dscnt 0x301
	v_mul_f64_e32 v[164:165], v[4:5], v[184:185]
	v_mul_f64_e32 v[166:167], v[6:7], v[184:185]
	s_wait_loadcnt_dscnt 0x200
	v_mul_f64_e32 v[24:25], v[154:155], v[18:19]
	v_mul_f64_e32 v[18:19], v[156:157], v[18:19]
	v_add_f64_e32 v[10:11], v[158:159], v[162:163]
	v_add_f64_e32 v[22:23], v[26:27], v[170:171]
	v_fmac_f64_e32 v[164:165], v[6:7], v[182:183]
	v_fma_f64 v[26:27], v[4:5], v[182:183], -v[166:167]
	v_fmac_f64_e32 v[24:25], v[156:157], v[16:17]
	v_fma_f64 v[16:17], v[154:155], v[16:17], -v[18:19]
	v_add_f64_e32 v[158:159], v[10:11], v[8:9]
	v_add_f64_e32 v[22:23], v[22:23], v[160:161]
	ds_load_b128 v[4:7], v2 offset:1984
	ds_load_b128 v[8:11], v2 offset:2000
	s_wait_loadcnt_dscnt 0x101
	v_mul_f64_e32 v[2:3], v[4:5], v[192:193]
	v_mul_f64_e32 v[160:161], v[6:7], v[192:193]
	v_add_f64_e32 v[18:19], v[158:159], v[26:27]
	v_add_f64_e32 v[22:23], v[22:23], v[164:165]
	s_wait_loadcnt_dscnt 0x0
	v_mul_f64_e32 v[26:27], v[8:9], v[14:15]
	v_mul_f64_e32 v[14:15], v[10:11], v[14:15]
	v_fmac_f64_e32 v[2:3], v[6:7], v[190:191]
	v_fma_f64 v[4:5], v[4:5], v[190:191], -v[160:161]
	v_add_f64_e32 v[6:7], v[18:19], v[16:17]
	v_add_f64_e32 v[16:17], v[22:23], v[24:25]
	v_fmac_f64_e32 v[26:27], v[10:11], v[12:13]
	v_fma_f64 v[8:9], v[8:9], v[12:13], -v[14:15]
	s_delay_alu instid0(VALU_DEP_4) | instskip(NEXT) | instid1(VALU_DEP_4)
	v_add_f64_e32 v[4:5], v[6:7], v[4:5]
	v_add_f64_e32 v[2:3], v[16:17], v[2:3]
	s_delay_alu instid0(VALU_DEP_2) | instskip(NEXT) | instid1(VALU_DEP_2)
	v_add_f64_e32 v[4:5], v[4:5], v[8:9]
	v_add_f64_e32 v[6:7], v[2:3], v[26:27]
	s_delay_alu instid0(VALU_DEP_2) | instskip(NEXT) | instid1(VALU_DEP_2)
	v_add_f64_e64 v[2:3], v[186:187], -v[4:5]
	v_add_f64_e64 v[4:5], v[188:189], -v[6:7]
	scratch_store_b128 off, v[2:5], off offset:512
	s_wait_xcnt 0x0
	v_cmpx_lt_u32_e32 31, v1
	s_cbranch_execz .LBB62_341
; %bb.340:
	scratch_load_b128 v[2:5], off, s45
	v_mov_b32_e32 v6, 0
	s_delay_alu instid0(VALU_DEP_1)
	v_dual_mov_b32 v7, v6 :: v_dual_mov_b32 v8, v6
	v_mov_b32_e32 v9, v6
	scratch_store_b128 off, v[6:9], off offset:496
	s_wait_loadcnt 0x0
	ds_store_b128 v20, v[2:5]
.LBB62_341:
	s_wait_xcnt 0x0
	s_or_b32 exec_lo, exec_lo, s2
	s_wait_storecnt_dscnt 0x0
	s_barrier_signal -1
	s_barrier_wait -1
	s_clause 0x9
	scratch_load_b128 v[4:7], off, off offset:512
	scratch_load_b128 v[8:11], off, off offset:528
	;; [unrolled: 1-line block ×10, first 2 shown]
	v_mov_b32_e32 v2, 0
	s_mov_b32 s2, exec_lo
	ds_load_b128 v[174:177], v2 offset:1520
	s_clause 0x2
	scratch_load_b128 v[178:181], off, off offset:672
	scratch_load_b128 v[182:185], off, off offset:496
	;; [unrolled: 1-line block ×3, first 2 shown]
	s_wait_loadcnt_dscnt 0xc00
	v_mul_f64_e32 v[26:27], v[176:177], v[6:7]
	v_mul_f64_e32 v[198:199], v[174:175], v[6:7]
	ds_load_b128 v[186:189], v2 offset:1536
	ds_load_b128 v[194:197], v2 offset:1568
	v_fma_f64 v[26:27], v[174:175], v[4:5], -v[26:27]
	v_fmac_f64_e32 v[198:199], v[176:177], v[4:5]
	ds_load_b128 v[4:7], v2 offset:1552
	s_wait_loadcnt_dscnt 0xb02
	v_mul_f64_e32 v[200:201], v[186:187], v[10:11]
	v_mul_f64_e32 v[10:11], v[188:189], v[10:11]
	scratch_load_b128 v[174:177], off, off offset:704
	s_wait_loadcnt_dscnt 0xb00
	v_mul_f64_e32 v[202:203], v[4:5], v[14:15]
	v_mul_f64_e32 v[14:15], v[6:7], v[14:15]
	v_add_f64_e32 v[26:27], 0, v[26:27]
	v_fmac_f64_e32 v[200:201], v[188:189], v[8:9]
	v_fma_f64 v[186:187], v[186:187], v[8:9], -v[10:11]
	v_add_f64_e32 v[188:189], 0, v[198:199]
	scratch_load_b128 v[8:11], off, off offset:720
	v_fmac_f64_e32 v[202:203], v[6:7], v[12:13]
	v_fma_f64 v[204:205], v[4:5], v[12:13], -v[14:15]
	ds_load_b128 v[4:7], v2 offset:1584
	s_wait_loadcnt 0xb
	v_mul_f64_e32 v[198:199], v[194:195], v[18:19]
	v_mul_f64_e32 v[18:19], v[196:197], v[18:19]
	scratch_load_b128 v[12:15], off, off offset:736
	v_add_f64_e32 v[26:27], v[26:27], v[186:187]
	v_add_f64_e32 v[200:201], v[188:189], v[200:201]
	ds_load_b128 v[186:189], v2 offset:1600
	s_wait_loadcnt_dscnt 0xb01
	v_mul_f64_e32 v[206:207], v[4:5], v[24:25]
	v_mul_f64_e32 v[24:25], v[6:7], v[24:25]
	v_fmac_f64_e32 v[198:199], v[196:197], v[16:17]
	v_fma_f64 v[194:195], v[194:195], v[16:17], -v[18:19]
	scratch_load_b128 v[16:19], off, off offset:752
	v_add_f64_e32 v[26:27], v[26:27], v[204:205]
	v_add_f64_e32 v[196:197], v[200:201], v[202:203]
	v_fmac_f64_e32 v[206:207], v[6:7], v[22:23]
	v_fma_f64 v[202:203], v[4:5], v[22:23], -v[24:25]
	ds_load_b128 v[4:7], v2 offset:1616
	s_wait_loadcnt_dscnt 0xb01
	v_mul_f64_e32 v[200:201], v[186:187], v[156:157]
	v_mul_f64_e32 v[156:157], v[188:189], v[156:157]
	scratch_load_b128 v[22:25], off, off offset:768
	s_wait_loadcnt_dscnt 0xb00
	v_mul_f64_e32 v[204:205], v[4:5], v[160:161]
	v_mul_f64_e32 v[160:161], v[6:7], v[160:161]
	v_add_f64_e32 v[26:27], v[26:27], v[194:195]
	v_add_f64_e32 v[198:199], v[196:197], v[198:199]
	ds_load_b128 v[194:197], v2 offset:1632
	v_fmac_f64_e32 v[200:201], v[188:189], v[154:155]
	v_fma_f64 v[186:187], v[186:187], v[154:155], -v[156:157]
	scratch_load_b128 v[154:157], off, off offset:784
	v_fmac_f64_e32 v[204:205], v[6:7], v[158:159]
	v_add_f64_e32 v[26:27], v[26:27], v[202:203]
	v_add_f64_e32 v[188:189], v[198:199], v[206:207]
	v_fma_f64 v[202:203], v[4:5], v[158:159], -v[160:161]
	ds_load_b128 v[4:7], v2 offset:1648
	s_wait_loadcnt_dscnt 0xb01
	v_mul_f64_e32 v[198:199], v[194:195], v[164:165]
	v_mul_f64_e32 v[164:165], v[196:197], v[164:165]
	scratch_load_b128 v[158:161], off, off offset:800
	s_wait_loadcnt_dscnt 0xb00
	v_mul_f64_e32 v[206:207], v[4:5], v[168:169]
	v_mul_f64_e32 v[168:169], v[6:7], v[168:169]
	v_add_f64_e32 v[26:27], v[26:27], v[186:187]
	v_add_f64_e32 v[200:201], v[188:189], v[200:201]
	ds_load_b128 v[186:189], v2 offset:1664
	v_fmac_f64_e32 v[198:199], v[196:197], v[162:163]
	v_fma_f64 v[194:195], v[194:195], v[162:163], -v[164:165]
	scratch_load_b128 v[162:165], off, off offset:816
	v_fmac_f64_e32 v[206:207], v[6:7], v[166:167]
	v_add_f64_e32 v[26:27], v[26:27], v[202:203]
	v_add_f64_e32 v[196:197], v[200:201], v[204:205]
	;; [unrolled: 18-line block ×3, first 2 shown]
	v_fma_f64 v[202:203], v[4:5], v[178:179], -v[180:181]
	ds_load_b128 v[4:7], v2 offset:1712
	s_wait_loadcnt_dscnt 0xa01
	v_mul_f64_e32 v[198:199], v[194:195], v[192:193]
	v_mul_f64_e32 v[192:193], v[196:197], v[192:193]
	scratch_load_b128 v[178:181], off, off offset:864
	v_add_f64_e32 v[26:27], v[26:27], v[186:187]
	v_add_f64_e32 v[200:201], v[188:189], v[200:201]
	s_wait_loadcnt_dscnt 0xa00
	v_mul_f64_e32 v[206:207], v[4:5], v[176:177]
	v_mul_f64_e32 v[176:177], v[6:7], v[176:177]
	v_fmac_f64_e32 v[198:199], v[196:197], v[190:191]
	v_fma_f64 v[194:195], v[194:195], v[190:191], -v[192:193]
	ds_load_b128 v[186:189], v2 offset:1728
	scratch_load_b128 v[190:193], off, off offset:880
	v_add_f64_e32 v[26:27], v[26:27], v[202:203]
	v_add_f64_e32 v[196:197], v[200:201], v[204:205]
	v_fmac_f64_e32 v[206:207], v[6:7], v[174:175]
	v_fma_f64 v[202:203], v[4:5], v[174:175], -v[176:177]
	ds_load_b128 v[4:7], v2 offset:1744
	s_wait_loadcnt_dscnt 0xa01
	v_mul_f64_e32 v[200:201], v[186:187], v[10:11]
	v_mul_f64_e32 v[10:11], v[188:189], v[10:11]
	scratch_load_b128 v[174:177], off, off offset:896
	s_wait_loadcnt_dscnt 0xa00
	v_mul_f64_e32 v[204:205], v[4:5], v[14:15]
	v_mul_f64_e32 v[14:15], v[6:7], v[14:15]
	v_add_f64_e32 v[26:27], v[26:27], v[194:195]
	v_add_f64_e32 v[198:199], v[196:197], v[198:199]
	ds_load_b128 v[194:197], v2 offset:1760
	v_fmac_f64_e32 v[200:201], v[188:189], v[8:9]
	v_fma_f64 v[186:187], v[186:187], v[8:9], -v[10:11]
	scratch_load_b128 v[8:11], off, off offset:912
	v_fmac_f64_e32 v[204:205], v[6:7], v[12:13]
	v_add_f64_e32 v[26:27], v[26:27], v[202:203]
	v_add_f64_e32 v[188:189], v[198:199], v[206:207]
	v_fma_f64 v[202:203], v[4:5], v[12:13], -v[14:15]
	ds_load_b128 v[4:7], v2 offset:1776
	s_wait_loadcnt_dscnt 0xa01
	v_mul_f64_e32 v[198:199], v[194:195], v[18:19]
	v_mul_f64_e32 v[18:19], v[196:197], v[18:19]
	scratch_load_b128 v[12:15], off, off offset:928
	s_wait_loadcnt_dscnt 0xa00
	v_mul_f64_e32 v[206:207], v[4:5], v[24:25]
	v_mul_f64_e32 v[24:25], v[6:7], v[24:25]
	v_add_f64_e32 v[26:27], v[26:27], v[186:187]
	v_add_f64_e32 v[200:201], v[188:189], v[200:201]
	ds_load_b128 v[186:189], v2 offset:1792
	v_fmac_f64_e32 v[198:199], v[196:197], v[16:17]
	v_fma_f64 v[194:195], v[194:195], v[16:17], -v[18:19]
	scratch_load_b128 v[16:19], off, off offset:944
	v_fmac_f64_e32 v[206:207], v[6:7], v[22:23]
	v_add_f64_e32 v[26:27], v[26:27], v[202:203]
	v_add_f64_e32 v[196:197], v[200:201], v[204:205]
	;; [unrolled: 18-line block ×3, first 2 shown]
	v_fma_f64 v[202:203], v[4:5], v[158:159], -v[160:161]
	ds_load_b128 v[4:7], v2 offset:1840
	s_wait_loadcnt_dscnt 0xa01
	v_mul_f64_e32 v[198:199], v[194:195], v[164:165]
	v_mul_f64_e32 v[164:165], v[196:197], v[164:165]
	scratch_load_b128 v[158:161], off, off offset:992
	s_wait_loadcnt_dscnt 0xa00
	v_mul_f64_e32 v[206:207], v[4:5], v[168:169]
	v_mul_f64_e32 v[168:169], v[6:7], v[168:169]
	v_add_f64_e32 v[26:27], v[26:27], v[186:187]
	v_add_f64_e32 v[200:201], v[188:189], v[200:201]
	ds_load_b128 v[186:189], v2 offset:1856
	v_fmac_f64_e32 v[198:199], v[196:197], v[162:163]
	v_fma_f64 v[162:163], v[194:195], v[162:163], -v[164:165]
	s_wait_loadcnt_dscnt 0x900
	v_mul_f64_e32 v[194:195], v[186:187], v[172:173]
	v_mul_f64_e32 v[172:173], v[188:189], v[172:173]
	v_fmac_f64_e32 v[206:207], v[6:7], v[166:167]
	v_fma_f64 v[166:167], v[4:5], v[166:167], -v[168:169]
	v_add_f64_e32 v[26:27], v[26:27], v[202:203]
	v_add_f64_e32 v[164:165], v[200:201], v[204:205]
	v_fmac_f64_e32 v[194:195], v[188:189], v[170:171]
	v_fma_f64 v[170:171], v[186:187], v[170:171], -v[172:173]
	s_delay_alu instid0(VALU_DEP_4) | instskip(NEXT) | instid1(VALU_DEP_4)
	v_add_f64_e32 v[26:27], v[26:27], v[162:163]
	v_add_f64_e32 v[168:169], v[164:165], v[198:199]
	ds_load_b128 v[4:7], v2 offset:1872
	ds_load_b128 v[162:165], v2 offset:1888
	s_wait_loadcnt_dscnt 0x801
	v_mul_f64_e32 v[196:197], v[4:5], v[180:181]
	v_mul_f64_e32 v[180:181], v[6:7], v[180:181]
	s_wait_loadcnt_dscnt 0x700
	v_mul_f64_e32 v[172:173], v[162:163], v[192:193]
	v_mul_f64_e32 v[186:187], v[164:165], v[192:193]
	v_add_f64_e32 v[26:27], v[26:27], v[166:167]
	v_add_f64_e32 v[166:167], v[168:169], v[206:207]
	v_fmac_f64_e32 v[196:197], v[6:7], v[178:179]
	v_fma_f64 v[178:179], v[4:5], v[178:179], -v[180:181]
	v_fmac_f64_e32 v[172:173], v[164:165], v[190:191]
	v_fma_f64 v[162:163], v[162:163], v[190:191], -v[186:187]
	v_add_f64_e32 v[26:27], v[26:27], v[170:171]
	v_add_f64_e32 v[170:171], v[166:167], v[194:195]
	ds_load_b128 v[4:7], v2 offset:1904
	ds_load_b128 v[166:169], v2 offset:1920
	s_wait_loadcnt_dscnt 0x601
	v_mul_f64_e32 v[180:181], v[4:5], v[176:177]
	v_mul_f64_e32 v[176:177], v[6:7], v[176:177]
	v_add_f64_e32 v[26:27], v[26:27], v[178:179]
	v_add_f64_e32 v[164:165], v[170:171], v[196:197]
	s_wait_loadcnt_dscnt 0x500
	v_mul_f64_e32 v[170:171], v[166:167], v[10:11]
	v_mul_f64_e32 v[10:11], v[168:169], v[10:11]
	v_fmac_f64_e32 v[180:181], v[6:7], v[174:175]
	v_fma_f64 v[174:175], v[4:5], v[174:175], -v[176:177]
	v_add_f64_e32 v[26:27], v[26:27], v[162:163]
	v_add_f64_e32 v[172:173], v[164:165], v[172:173]
	ds_load_b128 v[4:7], v2 offset:1936
	ds_load_b128 v[162:165], v2 offset:1952
	v_fmac_f64_e32 v[170:171], v[168:169], v[8:9]
	v_fma_f64 v[8:9], v[166:167], v[8:9], -v[10:11]
	s_wait_loadcnt_dscnt 0x401
	v_mul_f64_e32 v[176:177], v[4:5], v[14:15]
	v_mul_f64_e32 v[14:15], v[6:7], v[14:15]
	s_wait_loadcnt_dscnt 0x300
	v_mul_f64_e32 v[166:167], v[162:163], v[18:19]
	v_mul_f64_e32 v[18:19], v[164:165], v[18:19]
	v_add_f64_e32 v[10:11], v[26:27], v[174:175]
	v_add_f64_e32 v[26:27], v[172:173], v[180:181]
	v_fmac_f64_e32 v[176:177], v[6:7], v[12:13]
	v_fma_f64 v[12:13], v[4:5], v[12:13], -v[14:15]
	v_fmac_f64_e32 v[166:167], v[164:165], v[16:17]
	v_fma_f64 v[16:17], v[162:163], v[16:17], -v[18:19]
	v_add_f64_e32 v[14:15], v[10:11], v[8:9]
	v_add_f64_e32 v[26:27], v[26:27], v[170:171]
	ds_load_b128 v[4:7], v2 offset:1968
	ds_load_b128 v[8:11], v2 offset:1984
	s_wait_loadcnt_dscnt 0x201
	v_mul_f64_e32 v[168:169], v[4:5], v[24:25]
	v_mul_f64_e32 v[24:25], v[6:7], v[24:25]
	s_wait_loadcnt_dscnt 0x100
	v_mul_f64_e32 v[18:19], v[8:9], v[156:157]
	v_add_f64_e32 v[12:13], v[14:15], v[12:13]
	v_add_f64_e32 v[14:15], v[26:27], v[176:177]
	v_mul_f64_e32 v[26:27], v[10:11], v[156:157]
	v_fmac_f64_e32 v[168:169], v[6:7], v[22:23]
	v_fma_f64 v[22:23], v[4:5], v[22:23], -v[24:25]
	ds_load_b128 v[4:7], v2 offset:2000
	v_fmac_f64_e32 v[18:19], v[10:11], v[154:155]
	v_add_f64_e32 v[12:13], v[12:13], v[16:17]
	v_add_f64_e32 v[14:15], v[14:15], v[166:167]
	v_fma_f64 v[8:9], v[8:9], v[154:155], -v[26:27]
	s_wait_loadcnt_dscnt 0x0
	v_mul_f64_e32 v[16:17], v[4:5], v[160:161]
	v_mul_f64_e32 v[24:25], v[6:7], v[160:161]
	v_add_f64_e32 v[10:11], v[12:13], v[22:23]
	v_add_f64_e32 v[12:13], v[14:15], v[168:169]
	s_delay_alu instid0(VALU_DEP_4) | instskip(NEXT) | instid1(VALU_DEP_4)
	v_fmac_f64_e32 v[16:17], v[6:7], v[158:159]
	v_fma_f64 v[4:5], v[4:5], v[158:159], -v[24:25]
	s_delay_alu instid0(VALU_DEP_4) | instskip(NEXT) | instid1(VALU_DEP_4)
	v_add_f64_e32 v[6:7], v[10:11], v[8:9]
	v_add_f64_e32 v[8:9], v[12:13], v[18:19]
	s_delay_alu instid0(VALU_DEP_2) | instskip(NEXT) | instid1(VALU_DEP_2)
	v_add_f64_e32 v[4:5], v[6:7], v[4:5]
	v_add_f64_e32 v[6:7], v[8:9], v[16:17]
	s_delay_alu instid0(VALU_DEP_2) | instskip(NEXT) | instid1(VALU_DEP_2)
	v_add_f64_e64 v[4:5], v[182:183], -v[4:5]
	v_add_f64_e64 v[6:7], v[184:185], -v[6:7]
	scratch_store_b128 off, v[4:7], off offset:496
	s_wait_xcnt 0x0
	v_cmpx_lt_u32_e32 30, v1
	s_cbranch_execz .LBB62_343
; %bb.342:
	scratch_load_b128 v[6:9], off, s50
	v_dual_mov_b32 v3, v2 :: v_dual_mov_b32 v4, v2
	v_mov_b32_e32 v5, v2
	scratch_store_b128 off, v[2:5], off offset:480
	s_wait_loadcnt 0x0
	ds_store_b128 v20, v[6:9]
.LBB62_343:
	s_wait_xcnt 0x0
	s_or_b32 exec_lo, exec_lo, s2
	s_wait_storecnt_dscnt 0x0
	s_barrier_signal -1
	s_barrier_wait -1
	s_clause 0x9
	scratch_load_b128 v[4:7], off, off offset:496
	scratch_load_b128 v[8:11], off, off offset:512
	;; [unrolled: 1-line block ×10, first 2 shown]
	ds_load_b128 v[174:177], v2 offset:1504
	ds_load_b128 v[182:185], v2 offset:1520
	s_clause 0x2
	scratch_load_b128 v[178:181], off, off offset:656
	scratch_load_b128 v[186:189], off, off offset:480
	;; [unrolled: 1-line block ×3, first 2 shown]
	s_mov_b32 s2, exec_lo
	s_wait_loadcnt_dscnt 0xc01
	v_mul_f64_e32 v[26:27], v[176:177], v[6:7]
	v_mul_f64_e32 v[198:199], v[174:175], v[6:7]
	s_wait_loadcnt_dscnt 0xb00
	v_mul_f64_e32 v[200:201], v[182:183], v[10:11]
	v_mul_f64_e32 v[10:11], v[184:185], v[10:11]
	s_delay_alu instid0(VALU_DEP_4) | instskip(NEXT) | instid1(VALU_DEP_4)
	v_fma_f64 v[26:27], v[174:175], v[4:5], -v[26:27]
	v_fmac_f64_e32 v[198:199], v[176:177], v[4:5]
	ds_load_b128 v[4:7], v2 offset:1536
	ds_load_b128 v[174:177], v2 offset:1552
	scratch_load_b128 v[194:197], off, off offset:688
	v_fmac_f64_e32 v[200:201], v[184:185], v[8:9]
	v_fma_f64 v[182:183], v[182:183], v[8:9], -v[10:11]
	scratch_load_b128 v[8:11], off, off offset:704
	s_wait_loadcnt_dscnt 0xc01
	v_mul_f64_e32 v[202:203], v[4:5], v[14:15]
	v_mul_f64_e32 v[14:15], v[6:7], v[14:15]
	v_add_f64_e32 v[26:27], 0, v[26:27]
	v_add_f64_e32 v[184:185], 0, v[198:199]
	s_wait_loadcnt_dscnt 0xb00
	v_mul_f64_e32 v[198:199], v[174:175], v[18:19]
	v_mul_f64_e32 v[18:19], v[176:177], v[18:19]
	v_fmac_f64_e32 v[202:203], v[6:7], v[12:13]
	v_fma_f64 v[204:205], v[4:5], v[12:13], -v[14:15]
	ds_load_b128 v[4:7], v2 offset:1568
	ds_load_b128 v[12:15], v2 offset:1584
	v_add_f64_e32 v[26:27], v[26:27], v[182:183]
	v_add_f64_e32 v[200:201], v[184:185], v[200:201]
	scratch_load_b128 v[182:185], off, off offset:720
	v_fmac_f64_e32 v[198:199], v[176:177], v[16:17]
	v_fma_f64 v[174:175], v[174:175], v[16:17], -v[18:19]
	scratch_load_b128 v[16:19], off, off offset:736
	s_wait_loadcnt_dscnt 0xc01
	v_mul_f64_e32 v[206:207], v[4:5], v[24:25]
	v_mul_f64_e32 v[24:25], v[6:7], v[24:25]
	v_add_f64_e32 v[26:27], v[26:27], v[204:205]
	v_add_f64_e32 v[176:177], v[200:201], v[202:203]
	s_wait_loadcnt_dscnt 0xb00
	v_mul_f64_e32 v[200:201], v[12:13], v[156:157]
	v_mul_f64_e32 v[156:157], v[14:15], v[156:157]
	v_fmac_f64_e32 v[206:207], v[6:7], v[22:23]
	v_fma_f64 v[202:203], v[4:5], v[22:23], -v[24:25]
	ds_load_b128 v[4:7], v2 offset:1600
	ds_load_b128 v[22:25], v2 offset:1616
	s_wait_loadcnt_dscnt 0xa01
	v_mul_f64_e32 v[204:205], v[4:5], v[160:161]
	v_add_f64_e32 v[26:27], v[26:27], v[174:175]
	v_add_f64_e32 v[198:199], v[176:177], v[198:199]
	scratch_load_b128 v[174:177], off, off offset:752
	v_mul_f64_e32 v[160:161], v[6:7], v[160:161]
	v_fmac_f64_e32 v[200:201], v[14:15], v[154:155]
	v_fma_f64 v[154:155], v[12:13], v[154:155], -v[156:157]
	scratch_load_b128 v[12:15], off, off offset:768
	v_fmac_f64_e32 v[204:205], v[6:7], v[158:159]
	v_add_f64_e32 v[26:27], v[26:27], v[202:203]
	v_add_f64_e32 v[156:157], v[198:199], v[206:207]
	s_wait_loadcnt_dscnt 0xb00
	v_mul_f64_e32 v[198:199], v[22:23], v[164:165]
	v_mul_f64_e32 v[164:165], v[24:25], v[164:165]
	v_fma_f64 v[202:203], v[4:5], v[158:159], -v[160:161]
	v_add_f64_e32 v[26:27], v[26:27], v[154:155]
	v_add_f64_e32 v[200:201], v[156:157], v[200:201]
	ds_load_b128 v[4:7], v2 offset:1632
	ds_load_b128 v[154:157], v2 offset:1648
	scratch_load_b128 v[158:161], off, off offset:784
	v_fmac_f64_e32 v[198:199], v[24:25], v[162:163]
	v_fma_f64 v[162:163], v[22:23], v[162:163], -v[164:165]
	scratch_load_b128 v[22:25], off, off offset:800
	s_wait_loadcnt_dscnt 0xc01
	v_mul_f64_e32 v[206:207], v[4:5], v[168:169]
	v_mul_f64_e32 v[168:169], v[6:7], v[168:169]
	v_add_f64_e32 v[26:27], v[26:27], v[202:203]
	v_add_f64_e32 v[164:165], v[200:201], v[204:205]
	s_wait_loadcnt_dscnt 0xb00
	v_mul_f64_e32 v[200:201], v[154:155], v[172:173]
	v_mul_f64_e32 v[172:173], v[156:157], v[172:173]
	v_fmac_f64_e32 v[206:207], v[6:7], v[166:167]
	v_fma_f64 v[202:203], v[4:5], v[166:167], -v[168:169]
	v_add_f64_e32 v[26:27], v[26:27], v[162:163]
	v_add_f64_e32 v[198:199], v[164:165], v[198:199]
	ds_load_b128 v[4:7], v2 offset:1664
	ds_load_b128 v[162:165], v2 offset:1680
	scratch_load_b128 v[166:169], off, off offset:816
	v_fmac_f64_e32 v[200:201], v[156:157], v[170:171]
	v_fma_f64 v[170:171], v[154:155], v[170:171], -v[172:173]
	scratch_load_b128 v[154:157], off, off offset:832
	s_wait_loadcnt_dscnt 0xc01
	v_mul_f64_e32 v[204:205], v[4:5], v[180:181]
	v_mul_f64_e32 v[180:181], v[6:7], v[180:181]
	v_add_f64_e32 v[26:27], v[26:27], v[202:203]
	v_add_f64_e32 v[172:173], v[198:199], v[206:207]
	s_wait_loadcnt_dscnt 0xa00
	v_mul_f64_e32 v[198:199], v[162:163], v[192:193]
	v_mul_f64_e32 v[192:193], v[164:165], v[192:193]
	v_fmac_f64_e32 v[204:205], v[6:7], v[178:179]
	;; [unrolled: 18-line block ×5, first 2 shown]
	v_fma_f64 v[202:203], v[4:5], v[174:175], -v[176:177]
	ds_load_b128 v[4:7], v2 offset:1792
	ds_load_b128 v[174:177], v2 offset:1808
	v_add_f64_e32 v[26:27], v[26:27], v[190:191]
	v_add_f64_e32 v[198:199], v[192:193], v[198:199]
	scratch_load_b128 v[190:193], off, off offset:944
	v_fmac_f64_e32 v[200:201], v[172:173], v[12:13]
	v_fma_f64 v[170:171], v[170:171], v[12:13], -v[14:15]
	scratch_load_b128 v[12:15], off, off offset:960
	s_wait_loadcnt_dscnt 0xb01
	v_mul_f64_e32 v[204:205], v[4:5], v[160:161]
	v_mul_f64_e32 v[160:161], v[6:7], v[160:161]
	v_add_f64_e32 v[26:27], v[26:27], v[202:203]
	v_add_f64_e32 v[172:173], v[198:199], v[206:207]
	s_wait_loadcnt_dscnt 0xa00
	v_mul_f64_e32 v[198:199], v[174:175], v[24:25]
	v_mul_f64_e32 v[202:203], v[176:177], v[24:25]
	v_fmac_f64_e32 v[204:205], v[6:7], v[158:159]
	v_fma_f64 v[206:207], v[4:5], v[158:159], -v[160:161]
	v_add_f64_e32 v[170:171], v[26:27], v[170:171]
	v_add_f64_e32 v[172:173], v[172:173], v[200:201]
	ds_load_b128 v[4:7], v2 offset:1824
	ds_load_b128 v[24:27], v2 offset:1840
	scratch_load_b128 v[158:161], off, off offset:976
	v_fmac_f64_e32 v[198:199], v[176:177], v[22:23]
	v_fma_f64 v[22:23], v[174:175], v[22:23], -v[202:203]
	s_wait_loadcnt_dscnt 0xa01
	v_mul_f64_e32 v[200:201], v[4:5], v[168:169]
	v_mul_f64_e32 v[208:209], v[6:7], v[168:169]
	s_wait_loadcnt_dscnt 0x900
	v_mul_f64_e32 v[176:177], v[24:25], v[156:157]
	v_mul_f64_e32 v[156:157], v[26:27], v[156:157]
	v_add_f64_e32 v[174:175], v[170:171], v[206:207]
	v_add_f64_e32 v[172:173], v[172:173], v[204:205]
	scratch_load_b128 v[168:171], off, off offset:992
	v_fmac_f64_e32 v[200:201], v[6:7], v[166:167]
	v_fma_f64 v[166:167], v[4:5], v[166:167], -v[208:209]
	v_fmac_f64_e32 v[176:177], v[26:27], v[154:155]
	v_fma_f64 v[24:25], v[24:25], v[154:155], -v[156:157]
	v_add_f64_e32 v[22:23], v[174:175], v[22:23]
	v_add_f64_e32 v[198:199], v[172:173], v[198:199]
	ds_load_b128 v[4:7], v2 offset:1856
	ds_load_b128 v[172:175], v2 offset:1872
	s_wait_loadcnt_dscnt 0x901
	v_mul_f64_e32 v[202:203], v[4:5], v[180:181]
	v_mul_f64_e32 v[180:181], v[6:7], v[180:181]
	s_wait_loadcnt_dscnt 0x800
	v_mul_f64_e32 v[154:155], v[172:173], v[164:165]
	v_mul_f64_e32 v[156:157], v[174:175], v[164:165]
	v_add_f64_e32 v[22:23], v[22:23], v[166:167]
	v_add_f64_e32 v[26:27], v[198:199], v[200:201]
	v_fmac_f64_e32 v[202:203], v[6:7], v[178:179]
	v_fma_f64 v[164:165], v[4:5], v[178:179], -v[180:181]
	v_fmac_f64_e32 v[154:155], v[174:175], v[162:163]
	v_fma_f64 v[156:157], v[172:173], v[162:163], -v[156:157]
	v_add_f64_e32 v[166:167], v[22:23], v[24:25]
	v_add_f64_e32 v[26:27], v[26:27], v[176:177]
	ds_load_b128 v[4:7], v2 offset:1888
	ds_load_b128 v[22:25], v2 offset:1904
	s_wait_loadcnt_dscnt 0x701
	v_mul_f64_e32 v[176:177], v[4:5], v[196:197]
	v_mul_f64_e32 v[178:179], v[6:7], v[196:197]
	v_add_f64_e32 v[162:163], v[166:167], v[164:165]
	v_add_f64_e32 v[26:27], v[26:27], v[202:203]
	s_wait_loadcnt_dscnt 0x600
	v_mul_f64_e32 v[164:165], v[22:23], v[10:11]
	v_mul_f64_e32 v[10:11], v[24:25], v[10:11]
	v_fmac_f64_e32 v[176:177], v[6:7], v[194:195]
	v_fma_f64 v[166:167], v[4:5], v[194:195], -v[178:179]
	v_add_f64_e32 v[162:163], v[162:163], v[156:157]
	v_add_f64_e32 v[26:27], v[26:27], v[154:155]
	ds_load_b128 v[4:7], v2 offset:1920
	ds_load_b128 v[154:157], v2 offset:1936
	v_fmac_f64_e32 v[164:165], v[24:25], v[8:9]
	v_fma_f64 v[8:9], v[22:23], v[8:9], -v[10:11]
	s_wait_loadcnt_dscnt 0x501
	v_mul_f64_e32 v[172:173], v[4:5], v[184:185]
	v_mul_f64_e32 v[174:175], v[6:7], v[184:185]
	s_wait_loadcnt_dscnt 0x400
	v_mul_f64_e32 v[24:25], v[154:155], v[18:19]
	v_mul_f64_e32 v[18:19], v[156:157], v[18:19]
	v_add_f64_e32 v[10:11], v[162:163], v[166:167]
	v_add_f64_e32 v[22:23], v[26:27], v[176:177]
	v_fmac_f64_e32 v[172:173], v[6:7], v[182:183]
	v_fma_f64 v[26:27], v[4:5], v[182:183], -v[174:175]
	v_fmac_f64_e32 v[24:25], v[156:157], v[16:17]
	v_fma_f64 v[16:17], v[154:155], v[16:17], -v[18:19]
	v_add_f64_e32 v[162:163], v[10:11], v[8:9]
	v_add_f64_e32 v[22:23], v[22:23], v[164:165]
	ds_load_b128 v[4:7], v2 offset:1952
	ds_load_b128 v[8:11], v2 offset:1968
	s_wait_loadcnt_dscnt 0x301
	v_mul_f64_e32 v[164:165], v[4:5], v[192:193]
	v_mul_f64_e32 v[166:167], v[6:7], v[192:193]
	s_wait_loadcnt_dscnt 0x200
	v_mul_f64_e32 v[154:155], v[10:11], v[14:15]
	v_add_f64_e32 v[18:19], v[162:163], v[26:27]
	v_add_f64_e32 v[22:23], v[22:23], v[172:173]
	v_mul_f64_e32 v[26:27], v[8:9], v[14:15]
	v_fmac_f64_e32 v[164:165], v[6:7], v[190:191]
	v_fma_f64 v[156:157], v[4:5], v[190:191], -v[166:167]
	v_fma_f64 v[8:9], v[8:9], v[12:13], -v[154:155]
	v_add_f64_e32 v[18:19], v[18:19], v[16:17]
	v_add_f64_e32 v[22:23], v[22:23], v[24:25]
	ds_load_b128 v[4:7], v2 offset:1984
	ds_load_b128 v[14:17], v2 offset:2000
	v_fmac_f64_e32 v[26:27], v[10:11], v[12:13]
	s_wait_loadcnt_dscnt 0x101
	v_mul_f64_e32 v[2:3], v[4:5], v[160:161]
	v_mul_f64_e32 v[24:25], v[6:7], v[160:161]
	v_add_f64_e32 v[10:11], v[18:19], v[156:157]
	v_add_f64_e32 v[12:13], v[22:23], v[164:165]
	s_wait_loadcnt_dscnt 0x0
	v_mul_f64_e32 v[18:19], v[14:15], v[170:171]
	v_mul_f64_e32 v[22:23], v[16:17], v[170:171]
	v_fmac_f64_e32 v[2:3], v[6:7], v[158:159]
	v_fma_f64 v[4:5], v[4:5], v[158:159], -v[24:25]
	v_add_f64_e32 v[6:7], v[10:11], v[8:9]
	v_add_f64_e32 v[8:9], v[12:13], v[26:27]
	v_fmac_f64_e32 v[18:19], v[16:17], v[168:169]
	v_fma_f64 v[10:11], v[14:15], v[168:169], -v[22:23]
	s_delay_alu instid0(VALU_DEP_4) | instskip(NEXT) | instid1(VALU_DEP_4)
	v_add_f64_e32 v[4:5], v[6:7], v[4:5]
	v_add_f64_e32 v[2:3], v[8:9], v[2:3]
	s_delay_alu instid0(VALU_DEP_2) | instskip(NEXT) | instid1(VALU_DEP_2)
	v_add_f64_e32 v[4:5], v[4:5], v[10:11]
	v_add_f64_e32 v[6:7], v[2:3], v[18:19]
	s_delay_alu instid0(VALU_DEP_2) | instskip(NEXT) | instid1(VALU_DEP_2)
	v_add_f64_e64 v[2:3], v[186:187], -v[4:5]
	v_add_f64_e64 v[4:5], v[188:189], -v[6:7]
	scratch_store_b128 off, v[2:5], off offset:480
	s_wait_xcnt 0x0
	v_cmpx_lt_u32_e32 29, v1
	s_cbranch_execz .LBB62_345
; %bb.344:
	scratch_load_b128 v[2:5], off, s49
	v_mov_b32_e32 v6, 0
	s_delay_alu instid0(VALU_DEP_1)
	v_dual_mov_b32 v7, v6 :: v_dual_mov_b32 v8, v6
	v_mov_b32_e32 v9, v6
	scratch_store_b128 off, v[6:9], off offset:464
	s_wait_loadcnt 0x0
	ds_store_b128 v20, v[2:5]
.LBB62_345:
	s_wait_xcnt 0x0
	s_or_b32 exec_lo, exec_lo, s2
	s_wait_storecnt_dscnt 0x0
	s_barrier_signal -1
	s_barrier_wait -1
	s_clause 0x9
	scratch_load_b128 v[4:7], off, off offset:480
	scratch_load_b128 v[8:11], off, off offset:496
	;; [unrolled: 1-line block ×10, first 2 shown]
	v_mov_b32_e32 v2, 0
	s_mov_b32 s2, exec_lo
	ds_load_b128 v[174:177], v2 offset:1488
	s_clause 0x2
	scratch_load_b128 v[178:181], off, off offset:640
	scratch_load_b128 v[182:185], off, off offset:464
	;; [unrolled: 1-line block ×3, first 2 shown]
	s_wait_loadcnt_dscnt 0xc00
	v_mul_f64_e32 v[26:27], v[176:177], v[6:7]
	v_mul_f64_e32 v[198:199], v[174:175], v[6:7]
	ds_load_b128 v[186:189], v2 offset:1504
	ds_load_b128 v[194:197], v2 offset:1536
	v_fma_f64 v[26:27], v[174:175], v[4:5], -v[26:27]
	v_fmac_f64_e32 v[198:199], v[176:177], v[4:5]
	ds_load_b128 v[4:7], v2 offset:1520
	s_wait_loadcnt_dscnt 0xb02
	v_mul_f64_e32 v[200:201], v[186:187], v[10:11]
	v_mul_f64_e32 v[10:11], v[188:189], v[10:11]
	scratch_load_b128 v[174:177], off, off offset:672
	s_wait_loadcnt_dscnt 0xb00
	v_mul_f64_e32 v[202:203], v[4:5], v[14:15]
	v_mul_f64_e32 v[14:15], v[6:7], v[14:15]
	v_add_f64_e32 v[26:27], 0, v[26:27]
	v_fmac_f64_e32 v[200:201], v[188:189], v[8:9]
	v_fma_f64 v[186:187], v[186:187], v[8:9], -v[10:11]
	v_add_f64_e32 v[188:189], 0, v[198:199]
	scratch_load_b128 v[8:11], off, off offset:688
	v_fmac_f64_e32 v[202:203], v[6:7], v[12:13]
	v_fma_f64 v[204:205], v[4:5], v[12:13], -v[14:15]
	ds_load_b128 v[4:7], v2 offset:1552
	s_wait_loadcnt 0xb
	v_mul_f64_e32 v[198:199], v[194:195], v[18:19]
	v_mul_f64_e32 v[18:19], v[196:197], v[18:19]
	scratch_load_b128 v[12:15], off, off offset:704
	v_add_f64_e32 v[26:27], v[26:27], v[186:187]
	v_add_f64_e32 v[200:201], v[188:189], v[200:201]
	ds_load_b128 v[186:189], v2 offset:1568
	s_wait_loadcnt_dscnt 0xb01
	v_mul_f64_e32 v[206:207], v[4:5], v[24:25]
	v_mul_f64_e32 v[24:25], v[6:7], v[24:25]
	v_fmac_f64_e32 v[198:199], v[196:197], v[16:17]
	v_fma_f64 v[194:195], v[194:195], v[16:17], -v[18:19]
	scratch_load_b128 v[16:19], off, off offset:720
	v_add_f64_e32 v[26:27], v[26:27], v[204:205]
	v_add_f64_e32 v[196:197], v[200:201], v[202:203]
	v_fmac_f64_e32 v[206:207], v[6:7], v[22:23]
	v_fma_f64 v[202:203], v[4:5], v[22:23], -v[24:25]
	ds_load_b128 v[4:7], v2 offset:1584
	s_wait_loadcnt_dscnt 0xb01
	v_mul_f64_e32 v[200:201], v[186:187], v[156:157]
	v_mul_f64_e32 v[156:157], v[188:189], v[156:157]
	scratch_load_b128 v[22:25], off, off offset:736
	s_wait_loadcnt_dscnt 0xb00
	v_mul_f64_e32 v[204:205], v[4:5], v[160:161]
	v_mul_f64_e32 v[160:161], v[6:7], v[160:161]
	v_add_f64_e32 v[26:27], v[26:27], v[194:195]
	v_add_f64_e32 v[198:199], v[196:197], v[198:199]
	ds_load_b128 v[194:197], v2 offset:1600
	v_fmac_f64_e32 v[200:201], v[188:189], v[154:155]
	v_fma_f64 v[186:187], v[186:187], v[154:155], -v[156:157]
	scratch_load_b128 v[154:157], off, off offset:752
	v_fmac_f64_e32 v[204:205], v[6:7], v[158:159]
	v_add_f64_e32 v[26:27], v[26:27], v[202:203]
	v_add_f64_e32 v[188:189], v[198:199], v[206:207]
	v_fma_f64 v[202:203], v[4:5], v[158:159], -v[160:161]
	ds_load_b128 v[4:7], v2 offset:1616
	s_wait_loadcnt_dscnt 0xb01
	v_mul_f64_e32 v[198:199], v[194:195], v[164:165]
	v_mul_f64_e32 v[164:165], v[196:197], v[164:165]
	scratch_load_b128 v[158:161], off, off offset:768
	s_wait_loadcnt_dscnt 0xb00
	v_mul_f64_e32 v[206:207], v[4:5], v[168:169]
	v_mul_f64_e32 v[168:169], v[6:7], v[168:169]
	v_add_f64_e32 v[26:27], v[26:27], v[186:187]
	v_add_f64_e32 v[200:201], v[188:189], v[200:201]
	ds_load_b128 v[186:189], v2 offset:1632
	v_fmac_f64_e32 v[198:199], v[196:197], v[162:163]
	v_fma_f64 v[194:195], v[194:195], v[162:163], -v[164:165]
	scratch_load_b128 v[162:165], off, off offset:784
	v_fmac_f64_e32 v[206:207], v[6:7], v[166:167]
	v_add_f64_e32 v[26:27], v[26:27], v[202:203]
	v_add_f64_e32 v[196:197], v[200:201], v[204:205]
	v_fma_f64 v[202:203], v[4:5], v[166:167], -v[168:169]
	ds_load_b128 v[4:7], v2 offset:1648
	s_wait_loadcnt_dscnt 0xb01
	v_mul_f64_e32 v[200:201], v[186:187], v[172:173]
	v_mul_f64_e32 v[172:173], v[188:189], v[172:173]
	scratch_load_b128 v[166:169], off, off offset:800
	s_wait_loadcnt_dscnt 0xb00
	v_mul_f64_e32 v[204:205], v[4:5], v[180:181]
	v_mul_f64_e32 v[180:181], v[6:7], v[180:181]
	v_add_f64_e32 v[26:27], v[26:27], v[194:195]
	v_add_f64_e32 v[198:199], v[196:197], v[198:199]
	ds_load_b128 v[194:197], v2 offset:1664
	v_fmac_f64_e32 v[200:201], v[188:189], v[170:171]
	v_fma_f64 v[186:187], v[186:187], v[170:171], -v[172:173]
	scratch_load_b128 v[170:173], off, off offset:816
	v_fmac_f64_e32 v[204:205], v[6:7], v[178:179]
	v_add_f64_e32 v[26:27], v[26:27], v[202:203]
	v_add_f64_e32 v[188:189], v[198:199], v[206:207]
	v_fma_f64 v[202:203], v[4:5], v[178:179], -v[180:181]
	ds_load_b128 v[4:7], v2 offset:1680
	s_wait_loadcnt_dscnt 0xa01
	v_mul_f64_e32 v[198:199], v[194:195], v[192:193]
	v_mul_f64_e32 v[192:193], v[196:197], v[192:193]
	scratch_load_b128 v[178:181], off, off offset:832
	v_add_f64_e32 v[26:27], v[26:27], v[186:187]
	v_add_f64_e32 v[200:201], v[188:189], v[200:201]
	s_wait_loadcnt_dscnt 0xa00
	v_mul_f64_e32 v[206:207], v[4:5], v[176:177]
	v_mul_f64_e32 v[176:177], v[6:7], v[176:177]
	v_fmac_f64_e32 v[198:199], v[196:197], v[190:191]
	v_fma_f64 v[194:195], v[194:195], v[190:191], -v[192:193]
	ds_load_b128 v[186:189], v2 offset:1696
	scratch_load_b128 v[190:193], off, off offset:848
	v_add_f64_e32 v[26:27], v[26:27], v[202:203]
	v_add_f64_e32 v[196:197], v[200:201], v[204:205]
	v_fmac_f64_e32 v[206:207], v[6:7], v[174:175]
	v_fma_f64 v[202:203], v[4:5], v[174:175], -v[176:177]
	ds_load_b128 v[4:7], v2 offset:1712
	s_wait_loadcnt_dscnt 0xa01
	v_mul_f64_e32 v[200:201], v[186:187], v[10:11]
	v_mul_f64_e32 v[10:11], v[188:189], v[10:11]
	scratch_load_b128 v[174:177], off, off offset:864
	s_wait_loadcnt_dscnt 0xa00
	v_mul_f64_e32 v[204:205], v[4:5], v[14:15]
	v_mul_f64_e32 v[14:15], v[6:7], v[14:15]
	v_add_f64_e32 v[26:27], v[26:27], v[194:195]
	v_add_f64_e32 v[198:199], v[196:197], v[198:199]
	ds_load_b128 v[194:197], v2 offset:1728
	v_fmac_f64_e32 v[200:201], v[188:189], v[8:9]
	v_fma_f64 v[186:187], v[186:187], v[8:9], -v[10:11]
	scratch_load_b128 v[8:11], off, off offset:880
	v_fmac_f64_e32 v[204:205], v[6:7], v[12:13]
	v_add_f64_e32 v[26:27], v[26:27], v[202:203]
	v_add_f64_e32 v[188:189], v[198:199], v[206:207]
	v_fma_f64 v[202:203], v[4:5], v[12:13], -v[14:15]
	ds_load_b128 v[4:7], v2 offset:1744
	s_wait_loadcnt_dscnt 0xa01
	v_mul_f64_e32 v[198:199], v[194:195], v[18:19]
	v_mul_f64_e32 v[18:19], v[196:197], v[18:19]
	scratch_load_b128 v[12:15], off, off offset:896
	s_wait_loadcnt_dscnt 0xa00
	v_mul_f64_e32 v[206:207], v[4:5], v[24:25]
	v_mul_f64_e32 v[24:25], v[6:7], v[24:25]
	v_add_f64_e32 v[26:27], v[26:27], v[186:187]
	v_add_f64_e32 v[200:201], v[188:189], v[200:201]
	ds_load_b128 v[186:189], v2 offset:1760
	v_fmac_f64_e32 v[198:199], v[196:197], v[16:17]
	v_fma_f64 v[194:195], v[194:195], v[16:17], -v[18:19]
	scratch_load_b128 v[16:19], off, off offset:912
	v_fmac_f64_e32 v[206:207], v[6:7], v[22:23]
	v_add_f64_e32 v[26:27], v[26:27], v[202:203]
	v_add_f64_e32 v[196:197], v[200:201], v[204:205]
	;; [unrolled: 18-line block ×4, first 2 shown]
	v_fma_f64 v[202:203], v[4:5], v[166:167], -v[168:169]
	ds_load_b128 v[4:7], v2 offset:1840
	s_wait_loadcnt_dscnt 0xa01
	v_mul_f64_e32 v[200:201], v[186:187], v[172:173]
	v_mul_f64_e32 v[172:173], v[188:189], v[172:173]
	scratch_load_b128 v[166:169], off, off offset:992
	s_wait_loadcnt_dscnt 0xa00
	v_mul_f64_e32 v[204:205], v[4:5], v[180:181]
	v_mul_f64_e32 v[180:181], v[6:7], v[180:181]
	v_add_f64_e32 v[26:27], v[26:27], v[194:195]
	v_add_f64_e32 v[198:199], v[196:197], v[198:199]
	ds_load_b128 v[194:197], v2 offset:1856
	v_fmac_f64_e32 v[200:201], v[188:189], v[170:171]
	v_fma_f64 v[170:171], v[186:187], v[170:171], -v[172:173]
	s_wait_loadcnt_dscnt 0x900
	v_mul_f64_e32 v[186:187], v[194:195], v[192:193]
	v_mul_f64_e32 v[188:189], v[196:197], v[192:193]
	v_fmac_f64_e32 v[204:205], v[6:7], v[178:179]
	v_fma_f64 v[178:179], v[4:5], v[178:179], -v[180:181]
	v_add_f64_e32 v[26:27], v[26:27], v[202:203]
	v_add_f64_e32 v[172:173], v[198:199], v[206:207]
	v_fmac_f64_e32 v[186:187], v[196:197], v[190:191]
	v_fma_f64 v[188:189], v[194:195], v[190:191], -v[188:189]
	s_delay_alu instid0(VALU_DEP_4) | instskip(NEXT) | instid1(VALU_DEP_4)
	v_add_f64_e32 v[26:27], v[26:27], v[170:171]
	v_add_f64_e32 v[180:181], v[172:173], v[200:201]
	ds_load_b128 v[4:7], v2 offset:1872
	ds_load_b128 v[170:173], v2 offset:1888
	s_wait_loadcnt_dscnt 0x801
	v_mul_f64_e32 v[192:193], v[4:5], v[176:177]
	v_mul_f64_e32 v[176:177], v[6:7], v[176:177]
	v_add_f64_e32 v[26:27], v[26:27], v[178:179]
	v_add_f64_e32 v[178:179], v[180:181], v[204:205]
	s_wait_loadcnt_dscnt 0x700
	v_mul_f64_e32 v[180:181], v[170:171], v[10:11]
	v_mul_f64_e32 v[10:11], v[172:173], v[10:11]
	v_fmac_f64_e32 v[192:193], v[6:7], v[174:175]
	v_fma_f64 v[190:191], v[4:5], v[174:175], -v[176:177]
	ds_load_b128 v[4:7], v2 offset:1904
	ds_load_b128 v[174:177], v2 offset:1920
	v_add_f64_e32 v[26:27], v[26:27], v[188:189]
	v_add_f64_e32 v[178:179], v[178:179], v[186:187]
	v_fmac_f64_e32 v[180:181], v[172:173], v[8:9]
	v_fma_f64 v[8:9], v[170:171], v[8:9], -v[10:11]
	s_wait_loadcnt_dscnt 0x601
	v_mul_f64_e32 v[186:187], v[4:5], v[14:15]
	v_mul_f64_e32 v[14:15], v[6:7], v[14:15]
	s_wait_loadcnt_dscnt 0x500
	v_mul_f64_e32 v[170:171], v[174:175], v[18:19]
	v_mul_f64_e32 v[18:19], v[176:177], v[18:19]
	v_add_f64_e32 v[10:11], v[26:27], v[190:191]
	v_add_f64_e32 v[26:27], v[178:179], v[192:193]
	v_fmac_f64_e32 v[186:187], v[6:7], v[12:13]
	v_fma_f64 v[12:13], v[4:5], v[12:13], -v[14:15]
	v_fmac_f64_e32 v[170:171], v[176:177], v[16:17]
	v_fma_f64 v[16:17], v[174:175], v[16:17], -v[18:19]
	v_add_f64_e32 v[14:15], v[10:11], v[8:9]
	v_add_f64_e32 v[26:27], v[26:27], v[180:181]
	ds_load_b128 v[4:7], v2 offset:1936
	ds_load_b128 v[8:11], v2 offset:1952
	s_wait_loadcnt_dscnt 0x401
	v_mul_f64_e32 v[172:173], v[4:5], v[24:25]
	v_mul_f64_e32 v[24:25], v[6:7], v[24:25]
	s_wait_loadcnt_dscnt 0x300
	v_mul_f64_e32 v[18:19], v[8:9], v[156:157]
	v_add_f64_e32 v[12:13], v[14:15], v[12:13]
	v_add_f64_e32 v[14:15], v[26:27], v[186:187]
	v_mul_f64_e32 v[26:27], v[10:11], v[156:157]
	v_fmac_f64_e32 v[172:173], v[6:7], v[22:23]
	v_fma_f64 v[22:23], v[4:5], v[22:23], -v[24:25]
	v_fmac_f64_e32 v[18:19], v[10:11], v[154:155]
	v_add_f64_e32 v[16:17], v[12:13], v[16:17]
	v_add_f64_e32 v[24:25], v[14:15], v[170:171]
	ds_load_b128 v[4:7], v2 offset:1968
	ds_load_b128 v[12:15], v2 offset:1984
	v_fma_f64 v[8:9], v[8:9], v[154:155], -v[26:27]
	s_wait_loadcnt_dscnt 0x201
	v_mul_f64_e32 v[156:157], v[4:5], v[160:161]
	v_mul_f64_e32 v[160:161], v[6:7], v[160:161]
	v_add_f64_e32 v[10:11], v[16:17], v[22:23]
	v_add_f64_e32 v[16:17], v[24:25], v[172:173]
	s_wait_loadcnt_dscnt 0x100
	v_mul_f64_e32 v[22:23], v[12:13], v[164:165]
	v_mul_f64_e32 v[24:25], v[14:15], v[164:165]
	v_fmac_f64_e32 v[156:157], v[6:7], v[158:159]
	v_fma_f64 v[26:27], v[4:5], v[158:159], -v[160:161]
	ds_load_b128 v[4:7], v2 offset:2000
	v_add_f64_e32 v[8:9], v[10:11], v[8:9]
	v_add_f64_e32 v[10:11], v[16:17], v[18:19]
	v_fmac_f64_e32 v[22:23], v[14:15], v[162:163]
	v_fma_f64 v[12:13], v[12:13], v[162:163], -v[24:25]
	s_wait_loadcnt_dscnt 0x0
	v_mul_f64_e32 v[16:17], v[4:5], v[168:169]
	v_mul_f64_e32 v[18:19], v[6:7], v[168:169]
	v_add_f64_e32 v[8:9], v[8:9], v[26:27]
	v_add_f64_e32 v[10:11], v[10:11], v[156:157]
	s_delay_alu instid0(VALU_DEP_4) | instskip(NEXT) | instid1(VALU_DEP_4)
	v_fmac_f64_e32 v[16:17], v[6:7], v[166:167]
	v_fma_f64 v[4:5], v[4:5], v[166:167], -v[18:19]
	s_delay_alu instid0(VALU_DEP_4) | instskip(NEXT) | instid1(VALU_DEP_4)
	v_add_f64_e32 v[6:7], v[8:9], v[12:13]
	v_add_f64_e32 v[8:9], v[10:11], v[22:23]
	s_delay_alu instid0(VALU_DEP_2) | instskip(NEXT) | instid1(VALU_DEP_2)
	v_add_f64_e32 v[4:5], v[6:7], v[4:5]
	v_add_f64_e32 v[6:7], v[8:9], v[16:17]
	s_delay_alu instid0(VALU_DEP_2) | instskip(NEXT) | instid1(VALU_DEP_2)
	v_add_f64_e64 v[4:5], v[182:183], -v[4:5]
	v_add_f64_e64 v[6:7], v[184:185], -v[6:7]
	scratch_store_b128 off, v[4:7], off offset:464
	s_wait_xcnt 0x0
	v_cmpx_lt_u32_e32 28, v1
	s_cbranch_execz .LBB62_347
; %bb.346:
	scratch_load_b128 v[6:9], off, s48
	v_dual_mov_b32 v3, v2 :: v_dual_mov_b32 v4, v2
	v_mov_b32_e32 v5, v2
	scratch_store_b128 off, v[2:5], off offset:448
	s_wait_loadcnt 0x0
	ds_store_b128 v20, v[6:9]
.LBB62_347:
	s_wait_xcnt 0x0
	s_or_b32 exec_lo, exec_lo, s2
	s_wait_storecnt_dscnt 0x0
	s_barrier_signal -1
	s_barrier_wait -1
	s_clause 0x9
	scratch_load_b128 v[4:7], off, off offset:464
	scratch_load_b128 v[8:11], off, off offset:480
	;; [unrolled: 1-line block ×10, first 2 shown]
	ds_load_b128 v[174:177], v2 offset:1472
	ds_load_b128 v[182:185], v2 offset:1488
	s_clause 0x2
	scratch_load_b128 v[178:181], off, off offset:624
	scratch_load_b128 v[186:189], off, off offset:448
	;; [unrolled: 1-line block ×3, first 2 shown]
	s_mov_b32 s2, exec_lo
	s_wait_loadcnt_dscnt 0xc01
	v_mul_f64_e32 v[26:27], v[176:177], v[6:7]
	v_mul_f64_e32 v[198:199], v[174:175], v[6:7]
	s_wait_loadcnt_dscnt 0xb00
	v_mul_f64_e32 v[200:201], v[182:183], v[10:11]
	v_mul_f64_e32 v[10:11], v[184:185], v[10:11]
	s_delay_alu instid0(VALU_DEP_4) | instskip(NEXT) | instid1(VALU_DEP_4)
	v_fma_f64 v[26:27], v[174:175], v[4:5], -v[26:27]
	v_fmac_f64_e32 v[198:199], v[176:177], v[4:5]
	ds_load_b128 v[4:7], v2 offset:1504
	ds_load_b128 v[174:177], v2 offset:1520
	scratch_load_b128 v[194:197], off, off offset:656
	v_fmac_f64_e32 v[200:201], v[184:185], v[8:9]
	v_fma_f64 v[182:183], v[182:183], v[8:9], -v[10:11]
	scratch_load_b128 v[8:11], off, off offset:672
	s_wait_loadcnt_dscnt 0xc01
	v_mul_f64_e32 v[202:203], v[4:5], v[14:15]
	v_mul_f64_e32 v[14:15], v[6:7], v[14:15]
	v_add_f64_e32 v[26:27], 0, v[26:27]
	v_add_f64_e32 v[184:185], 0, v[198:199]
	s_wait_loadcnt_dscnt 0xb00
	v_mul_f64_e32 v[198:199], v[174:175], v[18:19]
	v_mul_f64_e32 v[18:19], v[176:177], v[18:19]
	v_fmac_f64_e32 v[202:203], v[6:7], v[12:13]
	v_fma_f64 v[204:205], v[4:5], v[12:13], -v[14:15]
	ds_load_b128 v[4:7], v2 offset:1536
	ds_load_b128 v[12:15], v2 offset:1552
	v_add_f64_e32 v[26:27], v[26:27], v[182:183]
	v_add_f64_e32 v[200:201], v[184:185], v[200:201]
	scratch_load_b128 v[182:185], off, off offset:688
	v_fmac_f64_e32 v[198:199], v[176:177], v[16:17]
	v_fma_f64 v[174:175], v[174:175], v[16:17], -v[18:19]
	scratch_load_b128 v[16:19], off, off offset:704
	s_wait_loadcnt_dscnt 0xc01
	v_mul_f64_e32 v[206:207], v[4:5], v[24:25]
	v_mul_f64_e32 v[24:25], v[6:7], v[24:25]
	v_add_f64_e32 v[26:27], v[26:27], v[204:205]
	v_add_f64_e32 v[176:177], v[200:201], v[202:203]
	s_wait_loadcnt_dscnt 0xb00
	v_mul_f64_e32 v[200:201], v[12:13], v[156:157]
	v_mul_f64_e32 v[156:157], v[14:15], v[156:157]
	v_fmac_f64_e32 v[206:207], v[6:7], v[22:23]
	v_fma_f64 v[202:203], v[4:5], v[22:23], -v[24:25]
	ds_load_b128 v[4:7], v2 offset:1568
	ds_load_b128 v[22:25], v2 offset:1584
	s_wait_loadcnt_dscnt 0xa01
	v_mul_f64_e32 v[204:205], v[4:5], v[160:161]
	v_add_f64_e32 v[26:27], v[26:27], v[174:175]
	v_add_f64_e32 v[198:199], v[176:177], v[198:199]
	scratch_load_b128 v[174:177], off, off offset:720
	v_mul_f64_e32 v[160:161], v[6:7], v[160:161]
	v_fmac_f64_e32 v[200:201], v[14:15], v[154:155]
	v_fma_f64 v[154:155], v[12:13], v[154:155], -v[156:157]
	scratch_load_b128 v[12:15], off, off offset:736
	v_fmac_f64_e32 v[204:205], v[6:7], v[158:159]
	v_add_f64_e32 v[26:27], v[26:27], v[202:203]
	v_add_f64_e32 v[156:157], v[198:199], v[206:207]
	s_wait_loadcnt_dscnt 0xb00
	v_mul_f64_e32 v[198:199], v[22:23], v[164:165]
	v_mul_f64_e32 v[164:165], v[24:25], v[164:165]
	v_fma_f64 v[202:203], v[4:5], v[158:159], -v[160:161]
	v_add_f64_e32 v[26:27], v[26:27], v[154:155]
	v_add_f64_e32 v[200:201], v[156:157], v[200:201]
	ds_load_b128 v[4:7], v2 offset:1600
	ds_load_b128 v[154:157], v2 offset:1616
	scratch_load_b128 v[158:161], off, off offset:752
	v_fmac_f64_e32 v[198:199], v[24:25], v[162:163]
	v_fma_f64 v[162:163], v[22:23], v[162:163], -v[164:165]
	scratch_load_b128 v[22:25], off, off offset:768
	s_wait_loadcnt_dscnt 0xc01
	v_mul_f64_e32 v[206:207], v[4:5], v[168:169]
	v_mul_f64_e32 v[168:169], v[6:7], v[168:169]
	v_add_f64_e32 v[26:27], v[26:27], v[202:203]
	v_add_f64_e32 v[164:165], v[200:201], v[204:205]
	s_wait_loadcnt_dscnt 0xb00
	v_mul_f64_e32 v[200:201], v[154:155], v[172:173]
	v_mul_f64_e32 v[172:173], v[156:157], v[172:173]
	v_fmac_f64_e32 v[206:207], v[6:7], v[166:167]
	v_fma_f64 v[202:203], v[4:5], v[166:167], -v[168:169]
	v_add_f64_e32 v[26:27], v[26:27], v[162:163]
	v_add_f64_e32 v[198:199], v[164:165], v[198:199]
	ds_load_b128 v[4:7], v2 offset:1632
	ds_load_b128 v[162:165], v2 offset:1648
	scratch_load_b128 v[166:169], off, off offset:784
	v_fmac_f64_e32 v[200:201], v[156:157], v[170:171]
	v_fma_f64 v[170:171], v[154:155], v[170:171], -v[172:173]
	scratch_load_b128 v[154:157], off, off offset:800
	s_wait_loadcnt_dscnt 0xc01
	v_mul_f64_e32 v[204:205], v[4:5], v[180:181]
	v_mul_f64_e32 v[180:181], v[6:7], v[180:181]
	v_add_f64_e32 v[26:27], v[26:27], v[202:203]
	v_add_f64_e32 v[172:173], v[198:199], v[206:207]
	s_wait_loadcnt_dscnt 0xa00
	v_mul_f64_e32 v[198:199], v[162:163], v[192:193]
	v_mul_f64_e32 v[192:193], v[164:165], v[192:193]
	v_fmac_f64_e32 v[204:205], v[6:7], v[178:179]
	;; [unrolled: 18-line block ×5, first 2 shown]
	v_fma_f64 v[202:203], v[4:5], v[174:175], -v[176:177]
	ds_load_b128 v[4:7], v2 offset:1760
	ds_load_b128 v[174:177], v2 offset:1776
	v_add_f64_e32 v[26:27], v[26:27], v[190:191]
	v_add_f64_e32 v[198:199], v[192:193], v[198:199]
	scratch_load_b128 v[190:193], off, off offset:912
	v_fmac_f64_e32 v[200:201], v[172:173], v[12:13]
	v_fma_f64 v[170:171], v[170:171], v[12:13], -v[14:15]
	scratch_load_b128 v[12:15], off, off offset:928
	s_wait_loadcnt_dscnt 0xb01
	v_mul_f64_e32 v[204:205], v[4:5], v[160:161]
	v_mul_f64_e32 v[160:161], v[6:7], v[160:161]
	v_add_f64_e32 v[26:27], v[26:27], v[202:203]
	v_add_f64_e32 v[172:173], v[198:199], v[206:207]
	s_wait_loadcnt_dscnt 0xa00
	v_mul_f64_e32 v[198:199], v[174:175], v[24:25]
	v_mul_f64_e32 v[202:203], v[176:177], v[24:25]
	v_fmac_f64_e32 v[204:205], v[6:7], v[158:159]
	v_fma_f64 v[206:207], v[4:5], v[158:159], -v[160:161]
	v_add_f64_e32 v[170:171], v[26:27], v[170:171]
	v_add_f64_e32 v[172:173], v[172:173], v[200:201]
	ds_load_b128 v[4:7], v2 offset:1792
	ds_load_b128 v[24:27], v2 offset:1808
	scratch_load_b128 v[158:161], off, off offset:944
	v_fmac_f64_e32 v[198:199], v[176:177], v[22:23]
	v_fma_f64 v[22:23], v[174:175], v[22:23], -v[202:203]
	s_wait_loadcnt_dscnt 0xa01
	v_mul_f64_e32 v[208:209], v[4:5], v[168:169]
	v_mul_f64_e32 v[200:201], v[6:7], v[168:169]
	s_wait_loadcnt_dscnt 0x900
	v_mul_f64_e32 v[176:177], v[24:25], v[156:157]
	v_mul_f64_e32 v[156:157], v[26:27], v[156:157]
	v_add_f64_e32 v[174:175], v[170:171], v[206:207]
	v_add_f64_e32 v[172:173], v[172:173], v[204:205]
	scratch_load_b128 v[168:171], off, off offset:960
	v_fmac_f64_e32 v[208:209], v[6:7], v[166:167]
	v_fma_f64 v[166:167], v[4:5], v[166:167], -v[200:201]
	v_fmac_f64_e32 v[176:177], v[26:27], v[154:155]
	v_fma_f64 v[26:27], v[24:25], v[154:155], -v[156:157]
	v_add_f64_e32 v[22:23], v[174:175], v[22:23]
	v_add_f64_e32 v[202:203], v[172:173], v[198:199]
	ds_load_b128 v[4:7], v2 offset:1824
	ds_load_b128 v[172:175], v2 offset:1840
	scratch_load_b128 v[198:201], off, off offset:976
	s_wait_loadcnt_dscnt 0xa01
	v_mul_f64_e32 v[204:205], v[4:5], v[180:181]
	v_mul_f64_e32 v[180:181], v[6:7], v[180:181]
	v_add_f64_e32 v[154:155], v[22:23], v[166:167]
	v_add_f64_e32 v[156:157], v[202:203], v[208:209]
	scratch_load_b128 v[22:25], off, off offset:992
	s_wait_loadcnt_dscnt 0xa00
	v_mul_f64_e32 v[166:167], v[172:173], v[164:165]
	v_mul_f64_e32 v[164:165], v[174:175], v[164:165]
	v_fmac_f64_e32 v[204:205], v[6:7], v[178:179]
	v_fma_f64 v[178:179], v[4:5], v[178:179], -v[180:181]
	v_add_f64_e32 v[26:27], v[154:155], v[26:27]
	v_add_f64_e32 v[176:177], v[156:157], v[176:177]
	ds_load_b128 v[4:7], v2 offset:1856
	ds_load_b128 v[154:157], v2 offset:1872
	v_fmac_f64_e32 v[166:167], v[174:175], v[162:163]
	v_fma_f64 v[162:163], v[172:173], v[162:163], -v[164:165]
	s_wait_loadcnt_dscnt 0x901
	v_mul_f64_e32 v[180:181], v[4:5], v[196:197]
	v_mul_f64_e32 v[196:197], v[6:7], v[196:197]
	s_wait_loadcnt_dscnt 0x800
	v_mul_f64_e32 v[172:173], v[154:155], v[10:11]
	v_mul_f64_e32 v[10:11], v[156:157], v[10:11]
	v_add_f64_e32 v[26:27], v[26:27], v[178:179]
	v_add_f64_e32 v[164:165], v[176:177], v[204:205]
	v_fmac_f64_e32 v[180:181], v[6:7], v[194:195]
	v_fma_f64 v[174:175], v[4:5], v[194:195], -v[196:197]
	v_fmac_f64_e32 v[172:173], v[156:157], v[8:9]
	v_fma_f64 v[8:9], v[154:155], v[8:9], -v[10:11]
	v_add_f64_e32 v[26:27], v[26:27], v[162:163]
	v_add_f64_e32 v[166:167], v[164:165], v[166:167]
	ds_load_b128 v[4:7], v2 offset:1888
	ds_load_b128 v[162:165], v2 offset:1904
	s_wait_loadcnt_dscnt 0x701
	v_mul_f64_e32 v[176:177], v[4:5], v[184:185]
	v_mul_f64_e32 v[178:179], v[6:7], v[184:185]
	s_wait_loadcnt_dscnt 0x600
	v_mul_f64_e32 v[154:155], v[162:163], v[18:19]
	v_mul_f64_e32 v[18:19], v[164:165], v[18:19]
	v_add_f64_e32 v[10:11], v[26:27], v[174:175]
	v_add_f64_e32 v[26:27], v[166:167], v[180:181]
	v_fmac_f64_e32 v[176:177], v[6:7], v[182:183]
	v_fma_f64 v[156:157], v[4:5], v[182:183], -v[178:179]
	v_fmac_f64_e32 v[154:155], v[164:165], v[16:17]
	v_fma_f64 v[16:17], v[162:163], v[16:17], -v[18:19]
	v_add_f64_e32 v[166:167], v[10:11], v[8:9]
	v_add_f64_e32 v[26:27], v[26:27], v[172:173]
	ds_load_b128 v[4:7], v2 offset:1920
	ds_load_b128 v[8:11], v2 offset:1936
	s_wait_loadcnt_dscnt 0x501
	v_mul_f64_e32 v[172:173], v[4:5], v[192:193]
	v_mul_f64_e32 v[174:175], v[6:7], v[192:193]
	s_wait_loadcnt_dscnt 0x400
	v_mul_f64_e32 v[162:163], v[10:11], v[14:15]
	v_add_f64_e32 v[18:19], v[166:167], v[156:157]
	v_add_f64_e32 v[26:27], v[26:27], v[176:177]
	v_mul_f64_e32 v[156:157], v[8:9], v[14:15]
	v_fmac_f64_e32 v[172:173], v[6:7], v[190:191]
	v_fma_f64 v[164:165], v[4:5], v[190:191], -v[174:175]
	v_fma_f64 v[8:9], v[8:9], v[12:13], -v[162:163]
	v_add_f64_e32 v[18:19], v[18:19], v[16:17]
	v_add_f64_e32 v[26:27], v[26:27], v[154:155]
	ds_load_b128 v[4:7], v2 offset:1952
	ds_load_b128 v[14:17], v2 offset:1968
	v_fmac_f64_e32 v[156:157], v[10:11], v[12:13]
	s_wait_loadcnt_dscnt 0x301
	v_mul_f64_e32 v[154:155], v[4:5], v[160:161]
	v_mul_f64_e32 v[160:161], v[6:7], v[160:161]
	v_add_f64_e32 v[10:11], v[18:19], v[164:165]
	v_add_f64_e32 v[12:13], v[26:27], v[172:173]
	s_wait_loadcnt_dscnt 0x200
	v_mul_f64_e32 v[18:19], v[14:15], v[170:171]
	v_mul_f64_e32 v[26:27], v[16:17], v[170:171]
	v_fmac_f64_e32 v[154:155], v[6:7], v[158:159]
	v_fma_f64 v[158:159], v[4:5], v[158:159], -v[160:161]
	v_add_f64_e32 v[160:161], v[10:11], v[8:9]
	v_add_f64_e32 v[12:13], v[12:13], v[156:157]
	ds_load_b128 v[4:7], v2 offset:1984
	ds_load_b128 v[8:11], v2 offset:2000
	v_fmac_f64_e32 v[18:19], v[16:17], v[168:169]
	v_fma_f64 v[14:15], v[14:15], v[168:169], -v[26:27]
	s_wait_loadcnt_dscnt 0x101
	v_mul_f64_e32 v[2:3], v[4:5], v[200:201]
	v_mul_f64_e32 v[156:157], v[6:7], v[200:201]
	v_add_f64_e32 v[16:17], v[160:161], v[158:159]
	v_add_f64_e32 v[12:13], v[12:13], v[154:155]
	s_wait_loadcnt_dscnt 0x0
	v_mul_f64_e32 v[26:27], v[8:9], v[24:25]
	v_mul_f64_e32 v[24:25], v[10:11], v[24:25]
	v_fmac_f64_e32 v[2:3], v[6:7], v[198:199]
	v_fma_f64 v[4:5], v[4:5], v[198:199], -v[156:157]
	v_add_f64_e32 v[6:7], v[16:17], v[14:15]
	v_add_f64_e32 v[12:13], v[12:13], v[18:19]
	v_fmac_f64_e32 v[26:27], v[10:11], v[22:23]
	v_fma_f64 v[8:9], v[8:9], v[22:23], -v[24:25]
	s_delay_alu instid0(VALU_DEP_4) | instskip(NEXT) | instid1(VALU_DEP_4)
	v_add_f64_e32 v[4:5], v[6:7], v[4:5]
	v_add_f64_e32 v[2:3], v[12:13], v[2:3]
	s_delay_alu instid0(VALU_DEP_2) | instskip(NEXT) | instid1(VALU_DEP_2)
	v_add_f64_e32 v[4:5], v[4:5], v[8:9]
	v_add_f64_e32 v[6:7], v[2:3], v[26:27]
	s_delay_alu instid0(VALU_DEP_2) | instskip(NEXT) | instid1(VALU_DEP_2)
	v_add_f64_e64 v[2:3], v[186:187], -v[4:5]
	v_add_f64_e64 v[4:5], v[188:189], -v[6:7]
	scratch_store_b128 off, v[2:5], off offset:448
	s_wait_xcnt 0x0
	v_cmpx_lt_u32_e32 27, v1
	s_cbranch_execz .LBB62_349
; %bb.348:
	scratch_load_b128 v[2:5], off, s47
	v_mov_b32_e32 v6, 0
	s_delay_alu instid0(VALU_DEP_1)
	v_dual_mov_b32 v7, v6 :: v_dual_mov_b32 v8, v6
	v_mov_b32_e32 v9, v6
	scratch_store_b128 off, v[6:9], off offset:432
	s_wait_loadcnt 0x0
	ds_store_b128 v20, v[2:5]
.LBB62_349:
	s_wait_xcnt 0x0
	s_or_b32 exec_lo, exec_lo, s2
	s_wait_storecnt_dscnt 0x0
	s_barrier_signal -1
	s_barrier_wait -1
	s_clause 0x9
	scratch_load_b128 v[4:7], off, off offset:448
	scratch_load_b128 v[8:11], off, off offset:464
	scratch_load_b128 v[12:15], off, off offset:480
	scratch_load_b128 v[16:19], off, off offset:496
	scratch_load_b128 v[22:25], off, off offset:512
	scratch_load_b128 v[154:157], off, off offset:528
	scratch_load_b128 v[158:161], off, off offset:544
	scratch_load_b128 v[162:165], off, off offset:560
	scratch_load_b128 v[166:169], off, off offset:576
	scratch_load_b128 v[170:173], off, off offset:592
	v_mov_b32_e32 v2, 0
	s_mov_b32 s2, exec_lo
	ds_load_b128 v[174:177], v2 offset:1456
	s_clause 0x2
	scratch_load_b128 v[178:181], off, off offset:608
	scratch_load_b128 v[182:185], off, off offset:432
	;; [unrolled: 1-line block ×3, first 2 shown]
	s_wait_loadcnt_dscnt 0xc00
	v_mul_f64_e32 v[26:27], v[176:177], v[6:7]
	v_mul_f64_e32 v[198:199], v[174:175], v[6:7]
	ds_load_b128 v[186:189], v2 offset:1472
	ds_load_b128 v[194:197], v2 offset:1504
	v_fma_f64 v[26:27], v[174:175], v[4:5], -v[26:27]
	v_fmac_f64_e32 v[198:199], v[176:177], v[4:5]
	ds_load_b128 v[4:7], v2 offset:1488
	s_wait_loadcnt_dscnt 0xb02
	v_mul_f64_e32 v[200:201], v[186:187], v[10:11]
	v_mul_f64_e32 v[10:11], v[188:189], v[10:11]
	scratch_load_b128 v[174:177], off, off offset:640
	s_wait_loadcnt_dscnt 0xb00
	v_mul_f64_e32 v[202:203], v[4:5], v[14:15]
	v_mul_f64_e32 v[14:15], v[6:7], v[14:15]
	v_add_f64_e32 v[26:27], 0, v[26:27]
	v_fmac_f64_e32 v[200:201], v[188:189], v[8:9]
	v_fma_f64 v[186:187], v[186:187], v[8:9], -v[10:11]
	v_add_f64_e32 v[188:189], 0, v[198:199]
	scratch_load_b128 v[8:11], off, off offset:656
	v_fmac_f64_e32 v[202:203], v[6:7], v[12:13]
	v_fma_f64 v[204:205], v[4:5], v[12:13], -v[14:15]
	ds_load_b128 v[4:7], v2 offset:1520
	s_wait_loadcnt 0xb
	v_mul_f64_e32 v[198:199], v[194:195], v[18:19]
	v_mul_f64_e32 v[18:19], v[196:197], v[18:19]
	scratch_load_b128 v[12:15], off, off offset:672
	v_add_f64_e32 v[26:27], v[26:27], v[186:187]
	v_add_f64_e32 v[200:201], v[188:189], v[200:201]
	ds_load_b128 v[186:189], v2 offset:1536
	s_wait_loadcnt_dscnt 0xb01
	v_mul_f64_e32 v[206:207], v[4:5], v[24:25]
	v_mul_f64_e32 v[24:25], v[6:7], v[24:25]
	v_fmac_f64_e32 v[198:199], v[196:197], v[16:17]
	v_fma_f64 v[194:195], v[194:195], v[16:17], -v[18:19]
	scratch_load_b128 v[16:19], off, off offset:688
	v_add_f64_e32 v[26:27], v[26:27], v[204:205]
	v_add_f64_e32 v[196:197], v[200:201], v[202:203]
	v_fmac_f64_e32 v[206:207], v[6:7], v[22:23]
	v_fma_f64 v[202:203], v[4:5], v[22:23], -v[24:25]
	ds_load_b128 v[4:7], v2 offset:1552
	s_wait_loadcnt_dscnt 0xb01
	v_mul_f64_e32 v[200:201], v[186:187], v[156:157]
	v_mul_f64_e32 v[156:157], v[188:189], v[156:157]
	scratch_load_b128 v[22:25], off, off offset:704
	s_wait_loadcnt_dscnt 0xb00
	v_mul_f64_e32 v[204:205], v[4:5], v[160:161]
	v_mul_f64_e32 v[160:161], v[6:7], v[160:161]
	v_add_f64_e32 v[26:27], v[26:27], v[194:195]
	v_add_f64_e32 v[198:199], v[196:197], v[198:199]
	ds_load_b128 v[194:197], v2 offset:1568
	v_fmac_f64_e32 v[200:201], v[188:189], v[154:155]
	v_fma_f64 v[186:187], v[186:187], v[154:155], -v[156:157]
	scratch_load_b128 v[154:157], off, off offset:720
	v_fmac_f64_e32 v[204:205], v[6:7], v[158:159]
	v_add_f64_e32 v[26:27], v[26:27], v[202:203]
	v_add_f64_e32 v[188:189], v[198:199], v[206:207]
	v_fma_f64 v[202:203], v[4:5], v[158:159], -v[160:161]
	ds_load_b128 v[4:7], v2 offset:1584
	s_wait_loadcnt_dscnt 0xb01
	v_mul_f64_e32 v[198:199], v[194:195], v[164:165]
	v_mul_f64_e32 v[164:165], v[196:197], v[164:165]
	scratch_load_b128 v[158:161], off, off offset:736
	s_wait_loadcnt_dscnt 0xb00
	v_mul_f64_e32 v[206:207], v[4:5], v[168:169]
	v_mul_f64_e32 v[168:169], v[6:7], v[168:169]
	v_add_f64_e32 v[26:27], v[26:27], v[186:187]
	v_add_f64_e32 v[200:201], v[188:189], v[200:201]
	ds_load_b128 v[186:189], v2 offset:1600
	v_fmac_f64_e32 v[198:199], v[196:197], v[162:163]
	v_fma_f64 v[194:195], v[194:195], v[162:163], -v[164:165]
	scratch_load_b128 v[162:165], off, off offset:752
	v_fmac_f64_e32 v[206:207], v[6:7], v[166:167]
	v_add_f64_e32 v[26:27], v[26:27], v[202:203]
	v_add_f64_e32 v[196:197], v[200:201], v[204:205]
	;; [unrolled: 18-line block ×3, first 2 shown]
	v_fma_f64 v[202:203], v[4:5], v[178:179], -v[180:181]
	ds_load_b128 v[4:7], v2 offset:1648
	s_wait_loadcnt_dscnt 0xa01
	v_mul_f64_e32 v[198:199], v[194:195], v[192:193]
	v_mul_f64_e32 v[192:193], v[196:197], v[192:193]
	scratch_load_b128 v[178:181], off, off offset:800
	v_add_f64_e32 v[26:27], v[26:27], v[186:187]
	v_add_f64_e32 v[200:201], v[188:189], v[200:201]
	s_wait_loadcnt_dscnt 0xa00
	v_mul_f64_e32 v[206:207], v[4:5], v[176:177]
	v_mul_f64_e32 v[176:177], v[6:7], v[176:177]
	v_fmac_f64_e32 v[198:199], v[196:197], v[190:191]
	v_fma_f64 v[194:195], v[194:195], v[190:191], -v[192:193]
	ds_load_b128 v[186:189], v2 offset:1664
	scratch_load_b128 v[190:193], off, off offset:816
	v_add_f64_e32 v[26:27], v[26:27], v[202:203]
	v_add_f64_e32 v[196:197], v[200:201], v[204:205]
	v_fmac_f64_e32 v[206:207], v[6:7], v[174:175]
	v_fma_f64 v[202:203], v[4:5], v[174:175], -v[176:177]
	ds_load_b128 v[4:7], v2 offset:1680
	s_wait_loadcnt_dscnt 0xa01
	v_mul_f64_e32 v[200:201], v[186:187], v[10:11]
	v_mul_f64_e32 v[10:11], v[188:189], v[10:11]
	scratch_load_b128 v[174:177], off, off offset:832
	s_wait_loadcnt_dscnt 0xa00
	v_mul_f64_e32 v[204:205], v[4:5], v[14:15]
	v_mul_f64_e32 v[14:15], v[6:7], v[14:15]
	v_add_f64_e32 v[26:27], v[26:27], v[194:195]
	v_add_f64_e32 v[198:199], v[196:197], v[198:199]
	ds_load_b128 v[194:197], v2 offset:1696
	v_fmac_f64_e32 v[200:201], v[188:189], v[8:9]
	v_fma_f64 v[186:187], v[186:187], v[8:9], -v[10:11]
	scratch_load_b128 v[8:11], off, off offset:848
	v_fmac_f64_e32 v[204:205], v[6:7], v[12:13]
	v_add_f64_e32 v[26:27], v[26:27], v[202:203]
	v_add_f64_e32 v[188:189], v[198:199], v[206:207]
	v_fma_f64 v[202:203], v[4:5], v[12:13], -v[14:15]
	ds_load_b128 v[4:7], v2 offset:1712
	s_wait_loadcnt_dscnt 0xa01
	v_mul_f64_e32 v[198:199], v[194:195], v[18:19]
	v_mul_f64_e32 v[18:19], v[196:197], v[18:19]
	scratch_load_b128 v[12:15], off, off offset:864
	s_wait_loadcnt_dscnt 0xa00
	v_mul_f64_e32 v[206:207], v[4:5], v[24:25]
	v_mul_f64_e32 v[24:25], v[6:7], v[24:25]
	v_add_f64_e32 v[26:27], v[26:27], v[186:187]
	v_add_f64_e32 v[200:201], v[188:189], v[200:201]
	ds_load_b128 v[186:189], v2 offset:1728
	v_fmac_f64_e32 v[198:199], v[196:197], v[16:17]
	v_fma_f64 v[194:195], v[194:195], v[16:17], -v[18:19]
	scratch_load_b128 v[16:19], off, off offset:880
	v_fmac_f64_e32 v[206:207], v[6:7], v[22:23]
	v_add_f64_e32 v[26:27], v[26:27], v[202:203]
	v_add_f64_e32 v[196:197], v[200:201], v[204:205]
	;; [unrolled: 18-line block ×5, first 2 shown]
	v_fma_f64 v[202:203], v[4:5], v[178:179], -v[180:181]
	ds_load_b128 v[4:7], v2 offset:1840
	s_wait_loadcnt_dscnt 0xa01
	v_mul_f64_e32 v[198:199], v[194:195], v[192:193]
	v_mul_f64_e32 v[192:193], v[196:197], v[192:193]
	scratch_load_b128 v[178:181], off, off offset:992
	s_wait_loadcnt_dscnt 0xa00
	v_mul_f64_e32 v[206:207], v[4:5], v[176:177]
	v_mul_f64_e32 v[176:177], v[6:7], v[176:177]
	v_add_f64_e32 v[26:27], v[26:27], v[186:187]
	v_add_f64_e32 v[200:201], v[188:189], v[200:201]
	ds_load_b128 v[186:189], v2 offset:1856
	v_fmac_f64_e32 v[198:199], v[196:197], v[190:191]
	v_fma_f64 v[190:191], v[194:195], v[190:191], -v[192:193]
	s_wait_loadcnt_dscnt 0x900
	v_mul_f64_e32 v[194:195], v[186:187], v[10:11]
	v_mul_f64_e32 v[10:11], v[188:189], v[10:11]
	v_fmac_f64_e32 v[206:207], v[6:7], v[174:175]
	v_fma_f64 v[196:197], v[4:5], v[174:175], -v[176:177]
	ds_load_b128 v[4:7], v2 offset:1872
	ds_load_b128 v[174:177], v2 offset:1888
	v_add_f64_e32 v[26:27], v[26:27], v[202:203]
	v_add_f64_e32 v[192:193], v[200:201], v[204:205]
	v_fmac_f64_e32 v[194:195], v[188:189], v[8:9]
	v_fma_f64 v[8:9], v[186:187], v[8:9], -v[10:11]
	s_delay_alu instid0(VALU_DEP_4) | instskip(NEXT) | instid1(VALU_DEP_4)
	v_add_f64_e32 v[26:27], v[26:27], v[190:191]
	v_add_f64_e32 v[190:191], v[192:193], v[198:199]
	s_wait_loadcnt_dscnt 0x801
	v_mul_f64_e32 v[192:193], v[4:5], v[14:15]
	v_mul_f64_e32 v[14:15], v[6:7], v[14:15]
	s_wait_loadcnt_dscnt 0x700
	v_mul_f64_e32 v[186:187], v[174:175], v[18:19]
	v_mul_f64_e32 v[18:19], v[176:177], v[18:19]
	v_add_f64_e32 v[10:11], v[26:27], v[196:197]
	v_add_f64_e32 v[26:27], v[190:191], v[206:207]
	v_fmac_f64_e32 v[192:193], v[6:7], v[12:13]
	v_fma_f64 v[12:13], v[4:5], v[12:13], -v[14:15]
	v_fmac_f64_e32 v[186:187], v[176:177], v[16:17]
	v_fma_f64 v[16:17], v[174:175], v[16:17], -v[18:19]
	v_add_f64_e32 v[14:15], v[10:11], v[8:9]
	v_add_f64_e32 v[26:27], v[26:27], v[194:195]
	ds_load_b128 v[4:7], v2 offset:1904
	ds_load_b128 v[8:11], v2 offset:1920
	s_wait_loadcnt_dscnt 0x601
	v_mul_f64_e32 v[188:189], v[4:5], v[24:25]
	v_mul_f64_e32 v[24:25], v[6:7], v[24:25]
	s_wait_loadcnt_dscnt 0x500
	v_mul_f64_e32 v[18:19], v[8:9], v[156:157]
	v_add_f64_e32 v[12:13], v[14:15], v[12:13]
	v_add_f64_e32 v[14:15], v[26:27], v[192:193]
	v_mul_f64_e32 v[26:27], v[10:11], v[156:157]
	v_fmac_f64_e32 v[188:189], v[6:7], v[22:23]
	v_fma_f64 v[22:23], v[4:5], v[22:23], -v[24:25]
	v_fmac_f64_e32 v[18:19], v[10:11], v[154:155]
	v_add_f64_e32 v[16:17], v[12:13], v[16:17]
	v_add_f64_e32 v[24:25], v[14:15], v[186:187]
	ds_load_b128 v[4:7], v2 offset:1936
	ds_load_b128 v[12:15], v2 offset:1952
	v_fma_f64 v[8:9], v[8:9], v[154:155], -v[26:27]
	s_wait_loadcnt_dscnt 0x401
	v_mul_f64_e32 v[156:157], v[4:5], v[160:161]
	v_mul_f64_e32 v[160:161], v[6:7], v[160:161]
	v_add_f64_e32 v[10:11], v[16:17], v[22:23]
	v_add_f64_e32 v[16:17], v[24:25], v[188:189]
	s_wait_loadcnt_dscnt 0x300
	v_mul_f64_e32 v[22:23], v[12:13], v[164:165]
	v_mul_f64_e32 v[24:25], v[14:15], v[164:165]
	v_fmac_f64_e32 v[156:157], v[6:7], v[158:159]
	v_fma_f64 v[26:27], v[4:5], v[158:159], -v[160:161]
	v_add_f64_e32 v[154:155], v[10:11], v[8:9]
	v_add_f64_e32 v[16:17], v[16:17], v[18:19]
	ds_load_b128 v[4:7], v2 offset:1968
	ds_load_b128 v[8:11], v2 offset:1984
	v_fmac_f64_e32 v[22:23], v[14:15], v[162:163]
	v_fma_f64 v[12:13], v[12:13], v[162:163], -v[24:25]
	s_wait_loadcnt_dscnt 0x201
	v_mul_f64_e32 v[18:19], v[4:5], v[168:169]
	v_mul_f64_e32 v[158:159], v[6:7], v[168:169]
	s_wait_loadcnt_dscnt 0x100
	v_mul_f64_e32 v[24:25], v[8:9], v[172:173]
	v_add_f64_e32 v[14:15], v[154:155], v[26:27]
	v_add_f64_e32 v[16:17], v[16:17], v[156:157]
	v_mul_f64_e32 v[26:27], v[10:11], v[172:173]
	v_fmac_f64_e32 v[18:19], v[6:7], v[166:167]
	v_fma_f64 v[154:155], v[4:5], v[166:167], -v[158:159]
	ds_load_b128 v[4:7], v2 offset:2000
	v_fmac_f64_e32 v[24:25], v[10:11], v[170:171]
	v_add_f64_e32 v[12:13], v[14:15], v[12:13]
	v_add_f64_e32 v[14:15], v[16:17], v[22:23]
	v_fma_f64 v[8:9], v[8:9], v[170:171], -v[26:27]
	s_wait_loadcnt_dscnt 0x0
	v_mul_f64_e32 v[16:17], v[4:5], v[180:181]
	v_mul_f64_e32 v[22:23], v[6:7], v[180:181]
	v_add_f64_e32 v[10:11], v[12:13], v[154:155]
	v_add_f64_e32 v[12:13], v[14:15], v[18:19]
	s_delay_alu instid0(VALU_DEP_4) | instskip(NEXT) | instid1(VALU_DEP_4)
	v_fmac_f64_e32 v[16:17], v[6:7], v[178:179]
	v_fma_f64 v[4:5], v[4:5], v[178:179], -v[22:23]
	s_delay_alu instid0(VALU_DEP_4) | instskip(NEXT) | instid1(VALU_DEP_4)
	v_add_f64_e32 v[6:7], v[10:11], v[8:9]
	v_add_f64_e32 v[8:9], v[12:13], v[24:25]
	s_delay_alu instid0(VALU_DEP_2) | instskip(NEXT) | instid1(VALU_DEP_2)
	v_add_f64_e32 v[4:5], v[6:7], v[4:5]
	v_add_f64_e32 v[6:7], v[8:9], v[16:17]
	s_delay_alu instid0(VALU_DEP_2) | instskip(NEXT) | instid1(VALU_DEP_2)
	v_add_f64_e64 v[4:5], v[182:183], -v[4:5]
	v_add_f64_e64 v[6:7], v[184:185], -v[6:7]
	scratch_store_b128 off, v[4:7], off offset:432
	s_wait_xcnt 0x0
	v_cmpx_lt_u32_e32 26, v1
	s_cbranch_execz .LBB62_351
; %bb.350:
	scratch_load_b128 v[6:9], off, s69
	v_dual_mov_b32 v3, v2 :: v_dual_mov_b32 v4, v2
	v_mov_b32_e32 v5, v2
	scratch_store_b128 off, v[2:5], off offset:416
	s_wait_loadcnt 0x0
	ds_store_b128 v20, v[6:9]
.LBB62_351:
	s_wait_xcnt 0x0
	s_or_b32 exec_lo, exec_lo, s2
	s_wait_storecnt_dscnt 0x0
	s_barrier_signal -1
	s_barrier_wait -1
	s_clause 0x9
	scratch_load_b128 v[4:7], off, off offset:432
	scratch_load_b128 v[8:11], off, off offset:448
	;; [unrolled: 1-line block ×10, first 2 shown]
	ds_load_b128 v[174:177], v2 offset:1440
	ds_load_b128 v[182:185], v2 offset:1456
	s_clause 0x2
	scratch_load_b128 v[178:181], off, off offset:592
	scratch_load_b128 v[186:189], off, off offset:416
	;; [unrolled: 1-line block ×3, first 2 shown]
	s_mov_b32 s2, exec_lo
	s_wait_loadcnt_dscnt 0xc01
	v_mul_f64_e32 v[26:27], v[176:177], v[6:7]
	v_mul_f64_e32 v[198:199], v[174:175], v[6:7]
	s_wait_loadcnt_dscnt 0xb00
	v_mul_f64_e32 v[200:201], v[182:183], v[10:11]
	v_mul_f64_e32 v[10:11], v[184:185], v[10:11]
	s_delay_alu instid0(VALU_DEP_4) | instskip(NEXT) | instid1(VALU_DEP_4)
	v_fma_f64 v[26:27], v[174:175], v[4:5], -v[26:27]
	v_fmac_f64_e32 v[198:199], v[176:177], v[4:5]
	ds_load_b128 v[4:7], v2 offset:1472
	ds_load_b128 v[174:177], v2 offset:1488
	scratch_load_b128 v[194:197], off, off offset:624
	v_fmac_f64_e32 v[200:201], v[184:185], v[8:9]
	v_fma_f64 v[182:183], v[182:183], v[8:9], -v[10:11]
	scratch_load_b128 v[8:11], off, off offset:640
	s_wait_loadcnt_dscnt 0xc01
	v_mul_f64_e32 v[202:203], v[4:5], v[14:15]
	v_mul_f64_e32 v[14:15], v[6:7], v[14:15]
	v_add_f64_e32 v[26:27], 0, v[26:27]
	v_add_f64_e32 v[184:185], 0, v[198:199]
	s_wait_loadcnt_dscnt 0xb00
	v_mul_f64_e32 v[198:199], v[174:175], v[18:19]
	v_mul_f64_e32 v[18:19], v[176:177], v[18:19]
	v_fmac_f64_e32 v[202:203], v[6:7], v[12:13]
	v_fma_f64 v[204:205], v[4:5], v[12:13], -v[14:15]
	ds_load_b128 v[4:7], v2 offset:1504
	ds_load_b128 v[12:15], v2 offset:1520
	v_add_f64_e32 v[26:27], v[26:27], v[182:183]
	v_add_f64_e32 v[200:201], v[184:185], v[200:201]
	scratch_load_b128 v[182:185], off, off offset:656
	v_fmac_f64_e32 v[198:199], v[176:177], v[16:17]
	v_fma_f64 v[174:175], v[174:175], v[16:17], -v[18:19]
	scratch_load_b128 v[16:19], off, off offset:672
	s_wait_loadcnt_dscnt 0xc01
	v_mul_f64_e32 v[206:207], v[4:5], v[24:25]
	v_mul_f64_e32 v[24:25], v[6:7], v[24:25]
	v_add_f64_e32 v[26:27], v[26:27], v[204:205]
	v_add_f64_e32 v[176:177], v[200:201], v[202:203]
	s_wait_loadcnt_dscnt 0xb00
	v_mul_f64_e32 v[200:201], v[12:13], v[156:157]
	v_mul_f64_e32 v[156:157], v[14:15], v[156:157]
	v_fmac_f64_e32 v[206:207], v[6:7], v[22:23]
	v_fma_f64 v[202:203], v[4:5], v[22:23], -v[24:25]
	ds_load_b128 v[4:7], v2 offset:1536
	ds_load_b128 v[22:25], v2 offset:1552
	s_wait_loadcnt_dscnt 0xa01
	v_mul_f64_e32 v[204:205], v[4:5], v[160:161]
	v_add_f64_e32 v[26:27], v[26:27], v[174:175]
	v_add_f64_e32 v[198:199], v[176:177], v[198:199]
	scratch_load_b128 v[174:177], off, off offset:688
	v_mul_f64_e32 v[160:161], v[6:7], v[160:161]
	v_fmac_f64_e32 v[200:201], v[14:15], v[154:155]
	v_fma_f64 v[154:155], v[12:13], v[154:155], -v[156:157]
	scratch_load_b128 v[12:15], off, off offset:704
	v_fmac_f64_e32 v[204:205], v[6:7], v[158:159]
	v_add_f64_e32 v[26:27], v[26:27], v[202:203]
	v_add_f64_e32 v[156:157], v[198:199], v[206:207]
	s_wait_loadcnt_dscnt 0xb00
	v_mul_f64_e32 v[198:199], v[22:23], v[164:165]
	v_mul_f64_e32 v[164:165], v[24:25], v[164:165]
	v_fma_f64 v[202:203], v[4:5], v[158:159], -v[160:161]
	v_add_f64_e32 v[26:27], v[26:27], v[154:155]
	v_add_f64_e32 v[200:201], v[156:157], v[200:201]
	ds_load_b128 v[4:7], v2 offset:1568
	ds_load_b128 v[154:157], v2 offset:1584
	scratch_load_b128 v[158:161], off, off offset:720
	v_fmac_f64_e32 v[198:199], v[24:25], v[162:163]
	v_fma_f64 v[162:163], v[22:23], v[162:163], -v[164:165]
	scratch_load_b128 v[22:25], off, off offset:736
	s_wait_loadcnt_dscnt 0xc01
	v_mul_f64_e32 v[206:207], v[4:5], v[168:169]
	v_mul_f64_e32 v[168:169], v[6:7], v[168:169]
	v_add_f64_e32 v[26:27], v[26:27], v[202:203]
	v_add_f64_e32 v[164:165], v[200:201], v[204:205]
	s_wait_loadcnt_dscnt 0xb00
	v_mul_f64_e32 v[200:201], v[154:155], v[172:173]
	v_mul_f64_e32 v[172:173], v[156:157], v[172:173]
	v_fmac_f64_e32 v[206:207], v[6:7], v[166:167]
	v_fma_f64 v[202:203], v[4:5], v[166:167], -v[168:169]
	v_add_f64_e32 v[26:27], v[26:27], v[162:163]
	v_add_f64_e32 v[198:199], v[164:165], v[198:199]
	ds_load_b128 v[4:7], v2 offset:1600
	ds_load_b128 v[162:165], v2 offset:1616
	scratch_load_b128 v[166:169], off, off offset:752
	v_fmac_f64_e32 v[200:201], v[156:157], v[170:171]
	v_fma_f64 v[170:171], v[154:155], v[170:171], -v[172:173]
	scratch_load_b128 v[154:157], off, off offset:768
	s_wait_loadcnt_dscnt 0xc01
	v_mul_f64_e32 v[204:205], v[4:5], v[180:181]
	v_mul_f64_e32 v[180:181], v[6:7], v[180:181]
	v_add_f64_e32 v[26:27], v[26:27], v[202:203]
	v_add_f64_e32 v[172:173], v[198:199], v[206:207]
	s_wait_loadcnt_dscnt 0xa00
	v_mul_f64_e32 v[198:199], v[162:163], v[192:193]
	v_mul_f64_e32 v[192:193], v[164:165], v[192:193]
	v_fmac_f64_e32 v[204:205], v[6:7], v[178:179]
	;; [unrolled: 18-line block ×5, first 2 shown]
	v_fma_f64 v[202:203], v[4:5], v[174:175], -v[176:177]
	ds_load_b128 v[4:7], v2 offset:1728
	ds_load_b128 v[174:177], v2 offset:1744
	v_add_f64_e32 v[26:27], v[26:27], v[190:191]
	v_add_f64_e32 v[198:199], v[192:193], v[198:199]
	scratch_load_b128 v[190:193], off, off offset:880
	v_fmac_f64_e32 v[200:201], v[172:173], v[12:13]
	v_fma_f64 v[170:171], v[170:171], v[12:13], -v[14:15]
	scratch_load_b128 v[12:15], off, off offset:896
	s_wait_loadcnt_dscnt 0xb01
	v_mul_f64_e32 v[204:205], v[4:5], v[160:161]
	v_mul_f64_e32 v[160:161], v[6:7], v[160:161]
	v_add_f64_e32 v[26:27], v[26:27], v[202:203]
	v_add_f64_e32 v[172:173], v[198:199], v[206:207]
	s_wait_loadcnt_dscnt 0xa00
	v_mul_f64_e32 v[198:199], v[174:175], v[24:25]
	v_mul_f64_e32 v[202:203], v[176:177], v[24:25]
	v_fmac_f64_e32 v[204:205], v[6:7], v[158:159]
	v_fma_f64 v[206:207], v[4:5], v[158:159], -v[160:161]
	v_add_f64_e32 v[170:171], v[26:27], v[170:171]
	v_add_f64_e32 v[172:173], v[172:173], v[200:201]
	ds_load_b128 v[4:7], v2 offset:1760
	ds_load_b128 v[24:27], v2 offset:1776
	scratch_load_b128 v[158:161], off, off offset:912
	v_fmac_f64_e32 v[198:199], v[176:177], v[22:23]
	v_fma_f64 v[22:23], v[174:175], v[22:23], -v[202:203]
	s_wait_loadcnt_dscnt 0xa01
	v_mul_f64_e32 v[208:209], v[4:5], v[168:169]
	v_mul_f64_e32 v[200:201], v[6:7], v[168:169]
	s_wait_loadcnt_dscnt 0x900
	v_mul_f64_e32 v[176:177], v[24:25], v[156:157]
	v_mul_f64_e32 v[156:157], v[26:27], v[156:157]
	v_add_f64_e32 v[174:175], v[170:171], v[206:207]
	v_add_f64_e32 v[172:173], v[172:173], v[204:205]
	scratch_load_b128 v[168:171], off, off offset:928
	v_fmac_f64_e32 v[208:209], v[6:7], v[166:167]
	v_fma_f64 v[166:167], v[4:5], v[166:167], -v[200:201]
	v_fmac_f64_e32 v[176:177], v[26:27], v[154:155]
	v_fma_f64 v[26:27], v[24:25], v[154:155], -v[156:157]
	v_add_f64_e32 v[22:23], v[174:175], v[22:23]
	v_add_f64_e32 v[202:203], v[172:173], v[198:199]
	ds_load_b128 v[4:7], v2 offset:1792
	ds_load_b128 v[172:175], v2 offset:1808
	scratch_load_b128 v[198:201], off, off offset:944
	s_wait_loadcnt_dscnt 0xa01
	v_mul_f64_e32 v[204:205], v[4:5], v[180:181]
	v_mul_f64_e32 v[180:181], v[6:7], v[180:181]
	s_wait_loadcnt_dscnt 0x900
	v_mul_f64_e32 v[206:207], v[174:175], v[164:165]
	v_add_f64_e32 v[154:155], v[22:23], v[166:167]
	v_add_f64_e32 v[156:157], v[202:203], v[208:209]
	scratch_load_b128 v[22:25], off, off offset:960
	v_mul_f64_e32 v[202:203], v[172:173], v[164:165]
	v_fmac_f64_e32 v[204:205], v[6:7], v[178:179]
	v_fma_f64 v[178:179], v[4:5], v[178:179], -v[180:181]
	v_add_f64_e32 v[26:27], v[154:155], v[26:27]
	v_add_f64_e32 v[176:177], v[156:157], v[176:177]
	ds_load_b128 v[4:7], v2 offset:1824
	ds_load_b128 v[154:157], v2 offset:1840
	scratch_load_b128 v[164:167], off, off offset:976
	v_fmac_f64_e32 v[202:203], v[174:175], v[162:163]
	v_fma_f64 v[162:163], v[172:173], v[162:163], -v[206:207]
	scratch_load_b128 v[172:175], off, off offset:992
	s_wait_loadcnt_dscnt 0xb01
	v_mul_f64_e32 v[180:181], v[4:5], v[196:197]
	v_mul_f64_e32 v[196:197], v[6:7], v[196:197]
	v_add_f64_e32 v[26:27], v[26:27], v[178:179]
	v_add_f64_e32 v[176:177], v[176:177], v[204:205]
	s_wait_loadcnt_dscnt 0xa00
	v_mul_f64_e32 v[204:205], v[154:155], v[10:11]
	v_mul_f64_e32 v[10:11], v[156:157], v[10:11]
	v_fmac_f64_e32 v[180:181], v[6:7], v[194:195]
	v_fma_f64 v[194:195], v[4:5], v[194:195], -v[196:197]
	v_add_f64_e32 v[26:27], v[26:27], v[162:163]
	v_add_f64_e32 v[162:163], v[176:177], v[202:203]
	ds_load_b128 v[4:7], v2 offset:1856
	ds_load_b128 v[176:179], v2 offset:1872
	v_fmac_f64_e32 v[204:205], v[156:157], v[8:9]
	v_fma_f64 v[8:9], v[154:155], v[8:9], -v[10:11]
	s_wait_loadcnt_dscnt 0x901
	v_mul_f64_e32 v[196:197], v[4:5], v[184:185]
	v_mul_f64_e32 v[184:185], v[6:7], v[184:185]
	s_wait_loadcnt_dscnt 0x800
	v_mul_f64_e32 v[154:155], v[176:177], v[18:19]
	v_mul_f64_e32 v[18:19], v[178:179], v[18:19]
	v_add_f64_e32 v[10:11], v[26:27], v[194:195]
	v_add_f64_e32 v[26:27], v[162:163], v[180:181]
	v_fmac_f64_e32 v[196:197], v[6:7], v[182:183]
	v_fma_f64 v[156:157], v[4:5], v[182:183], -v[184:185]
	v_fmac_f64_e32 v[154:155], v[178:179], v[16:17]
	v_fma_f64 v[16:17], v[176:177], v[16:17], -v[18:19]
	v_add_f64_e32 v[162:163], v[10:11], v[8:9]
	v_add_f64_e32 v[26:27], v[26:27], v[204:205]
	ds_load_b128 v[4:7], v2 offset:1888
	ds_load_b128 v[8:11], v2 offset:1904
	s_wait_loadcnt_dscnt 0x701
	v_mul_f64_e32 v[180:181], v[4:5], v[192:193]
	v_mul_f64_e32 v[182:183], v[6:7], v[192:193]
	v_add_f64_e32 v[18:19], v[162:163], v[156:157]
	v_add_f64_e32 v[26:27], v[26:27], v[196:197]
	s_wait_loadcnt_dscnt 0x600
	v_mul_f64_e32 v[156:157], v[8:9], v[14:15]
	v_mul_f64_e32 v[162:163], v[10:11], v[14:15]
	v_fmac_f64_e32 v[180:181], v[6:7], v[190:191]
	v_fma_f64 v[176:177], v[4:5], v[190:191], -v[182:183]
	v_add_f64_e32 v[18:19], v[18:19], v[16:17]
	v_add_f64_e32 v[26:27], v[26:27], v[154:155]
	ds_load_b128 v[4:7], v2 offset:1920
	ds_load_b128 v[14:17], v2 offset:1936
	v_fmac_f64_e32 v[156:157], v[10:11], v[12:13]
	v_fma_f64 v[8:9], v[8:9], v[12:13], -v[162:163]
	s_wait_loadcnt_dscnt 0x501
	v_mul_f64_e32 v[154:155], v[4:5], v[160:161]
	v_mul_f64_e32 v[160:161], v[6:7], v[160:161]
	v_add_f64_e32 v[10:11], v[18:19], v[176:177]
	v_add_f64_e32 v[12:13], v[26:27], v[180:181]
	s_wait_loadcnt_dscnt 0x400
	v_mul_f64_e32 v[18:19], v[14:15], v[170:171]
	v_mul_f64_e32 v[26:27], v[16:17], v[170:171]
	v_fmac_f64_e32 v[154:155], v[6:7], v[158:159]
	v_fma_f64 v[158:159], v[4:5], v[158:159], -v[160:161]
	v_add_f64_e32 v[160:161], v[10:11], v[8:9]
	v_add_f64_e32 v[12:13], v[12:13], v[156:157]
	ds_load_b128 v[4:7], v2 offset:1952
	ds_load_b128 v[8:11], v2 offset:1968
	v_fmac_f64_e32 v[18:19], v[16:17], v[168:169]
	v_fma_f64 v[14:15], v[14:15], v[168:169], -v[26:27]
	;; [unrolled: 16-line block ×3, first 2 shown]
	s_wait_loadcnt_dscnt 0x101
	v_mul_f64_e32 v[2:3], v[4:5], v[166:167]
	v_mul_f64_e32 v[158:159], v[6:7], v[166:167]
	s_wait_loadcnt_dscnt 0x0
	v_mul_f64_e32 v[22:23], v[14:15], v[174:175]
	v_add_f64_e32 v[10:11], v[16:17], v[154:155]
	v_add_f64_e32 v[16:17], v[18:19], v[156:157]
	v_mul_f64_e32 v[18:19], v[12:13], v[174:175]
	v_fmac_f64_e32 v[2:3], v[6:7], v[164:165]
	v_fma_f64 v[4:5], v[4:5], v[164:165], -v[158:159]
	v_add_f64_e32 v[6:7], v[10:11], v[8:9]
	v_add_f64_e32 v[8:9], v[16:17], v[26:27]
	v_fmac_f64_e32 v[18:19], v[14:15], v[172:173]
	v_fma_f64 v[10:11], v[12:13], v[172:173], -v[22:23]
	s_delay_alu instid0(VALU_DEP_4) | instskip(NEXT) | instid1(VALU_DEP_4)
	v_add_f64_e32 v[4:5], v[6:7], v[4:5]
	v_add_f64_e32 v[2:3], v[8:9], v[2:3]
	s_delay_alu instid0(VALU_DEP_2) | instskip(NEXT) | instid1(VALU_DEP_2)
	v_add_f64_e32 v[4:5], v[4:5], v[10:11]
	v_add_f64_e32 v[6:7], v[2:3], v[18:19]
	s_delay_alu instid0(VALU_DEP_2) | instskip(NEXT) | instid1(VALU_DEP_2)
	v_add_f64_e64 v[2:3], v[186:187], -v[4:5]
	v_add_f64_e64 v[4:5], v[188:189], -v[6:7]
	scratch_store_b128 off, v[2:5], off offset:416
	s_wait_xcnt 0x0
	v_cmpx_lt_u32_e32 25, v1
	s_cbranch_execz .LBB62_353
; %bb.352:
	scratch_load_b128 v[2:5], off, s68
	v_mov_b32_e32 v6, 0
	s_delay_alu instid0(VALU_DEP_1)
	v_dual_mov_b32 v7, v6 :: v_dual_mov_b32 v8, v6
	v_mov_b32_e32 v9, v6
	scratch_store_b128 off, v[6:9], off offset:400
	s_wait_loadcnt 0x0
	ds_store_b128 v20, v[2:5]
.LBB62_353:
	s_wait_xcnt 0x0
	s_or_b32 exec_lo, exec_lo, s2
	s_wait_storecnt_dscnt 0x0
	s_barrier_signal -1
	s_barrier_wait -1
	s_clause 0x9
	scratch_load_b128 v[4:7], off, off offset:416
	scratch_load_b128 v[8:11], off, off offset:432
	scratch_load_b128 v[12:15], off, off offset:448
	scratch_load_b128 v[16:19], off, off offset:464
	scratch_load_b128 v[22:25], off, off offset:480
	scratch_load_b128 v[154:157], off, off offset:496
	scratch_load_b128 v[158:161], off, off offset:512
	scratch_load_b128 v[162:165], off, off offset:528
	scratch_load_b128 v[166:169], off, off offset:544
	scratch_load_b128 v[170:173], off, off offset:560
	v_mov_b32_e32 v2, 0
	s_mov_b32 s2, exec_lo
	ds_load_b128 v[174:177], v2 offset:1424
	s_clause 0x2
	scratch_load_b128 v[178:181], off, off offset:576
	scratch_load_b128 v[182:185], off, off offset:400
	;; [unrolled: 1-line block ×3, first 2 shown]
	s_wait_loadcnt_dscnt 0xc00
	v_mul_f64_e32 v[26:27], v[176:177], v[6:7]
	v_mul_f64_e32 v[198:199], v[174:175], v[6:7]
	ds_load_b128 v[186:189], v2 offset:1440
	ds_load_b128 v[194:197], v2 offset:1472
	v_fma_f64 v[26:27], v[174:175], v[4:5], -v[26:27]
	v_fmac_f64_e32 v[198:199], v[176:177], v[4:5]
	ds_load_b128 v[4:7], v2 offset:1456
	s_wait_loadcnt_dscnt 0xb02
	v_mul_f64_e32 v[200:201], v[186:187], v[10:11]
	v_mul_f64_e32 v[10:11], v[188:189], v[10:11]
	scratch_load_b128 v[174:177], off, off offset:608
	s_wait_loadcnt_dscnt 0xb00
	v_mul_f64_e32 v[202:203], v[4:5], v[14:15]
	v_mul_f64_e32 v[14:15], v[6:7], v[14:15]
	v_add_f64_e32 v[26:27], 0, v[26:27]
	v_fmac_f64_e32 v[200:201], v[188:189], v[8:9]
	v_fma_f64 v[186:187], v[186:187], v[8:9], -v[10:11]
	v_add_f64_e32 v[188:189], 0, v[198:199]
	scratch_load_b128 v[8:11], off, off offset:624
	v_fmac_f64_e32 v[202:203], v[6:7], v[12:13]
	v_fma_f64 v[204:205], v[4:5], v[12:13], -v[14:15]
	ds_load_b128 v[4:7], v2 offset:1488
	s_wait_loadcnt 0xb
	v_mul_f64_e32 v[198:199], v[194:195], v[18:19]
	v_mul_f64_e32 v[18:19], v[196:197], v[18:19]
	scratch_load_b128 v[12:15], off, off offset:640
	v_add_f64_e32 v[26:27], v[26:27], v[186:187]
	v_add_f64_e32 v[200:201], v[188:189], v[200:201]
	ds_load_b128 v[186:189], v2 offset:1504
	s_wait_loadcnt_dscnt 0xb01
	v_mul_f64_e32 v[206:207], v[4:5], v[24:25]
	v_mul_f64_e32 v[24:25], v[6:7], v[24:25]
	v_fmac_f64_e32 v[198:199], v[196:197], v[16:17]
	v_fma_f64 v[194:195], v[194:195], v[16:17], -v[18:19]
	scratch_load_b128 v[16:19], off, off offset:656
	v_add_f64_e32 v[26:27], v[26:27], v[204:205]
	v_add_f64_e32 v[196:197], v[200:201], v[202:203]
	v_fmac_f64_e32 v[206:207], v[6:7], v[22:23]
	v_fma_f64 v[202:203], v[4:5], v[22:23], -v[24:25]
	ds_load_b128 v[4:7], v2 offset:1520
	s_wait_loadcnt_dscnt 0xb01
	v_mul_f64_e32 v[200:201], v[186:187], v[156:157]
	v_mul_f64_e32 v[156:157], v[188:189], v[156:157]
	scratch_load_b128 v[22:25], off, off offset:672
	s_wait_loadcnt_dscnt 0xb00
	v_mul_f64_e32 v[204:205], v[4:5], v[160:161]
	v_mul_f64_e32 v[160:161], v[6:7], v[160:161]
	v_add_f64_e32 v[26:27], v[26:27], v[194:195]
	v_add_f64_e32 v[198:199], v[196:197], v[198:199]
	ds_load_b128 v[194:197], v2 offset:1536
	v_fmac_f64_e32 v[200:201], v[188:189], v[154:155]
	v_fma_f64 v[186:187], v[186:187], v[154:155], -v[156:157]
	scratch_load_b128 v[154:157], off, off offset:688
	v_fmac_f64_e32 v[204:205], v[6:7], v[158:159]
	v_add_f64_e32 v[26:27], v[26:27], v[202:203]
	v_add_f64_e32 v[188:189], v[198:199], v[206:207]
	v_fma_f64 v[202:203], v[4:5], v[158:159], -v[160:161]
	ds_load_b128 v[4:7], v2 offset:1552
	s_wait_loadcnt_dscnt 0xb01
	v_mul_f64_e32 v[198:199], v[194:195], v[164:165]
	v_mul_f64_e32 v[164:165], v[196:197], v[164:165]
	scratch_load_b128 v[158:161], off, off offset:704
	s_wait_loadcnt_dscnt 0xb00
	v_mul_f64_e32 v[206:207], v[4:5], v[168:169]
	v_mul_f64_e32 v[168:169], v[6:7], v[168:169]
	v_add_f64_e32 v[26:27], v[26:27], v[186:187]
	v_add_f64_e32 v[200:201], v[188:189], v[200:201]
	ds_load_b128 v[186:189], v2 offset:1568
	v_fmac_f64_e32 v[198:199], v[196:197], v[162:163]
	v_fma_f64 v[194:195], v[194:195], v[162:163], -v[164:165]
	scratch_load_b128 v[162:165], off, off offset:720
	v_fmac_f64_e32 v[206:207], v[6:7], v[166:167]
	v_add_f64_e32 v[26:27], v[26:27], v[202:203]
	v_add_f64_e32 v[196:197], v[200:201], v[204:205]
	;; [unrolled: 18-line block ×3, first 2 shown]
	v_fma_f64 v[202:203], v[4:5], v[178:179], -v[180:181]
	ds_load_b128 v[4:7], v2 offset:1616
	s_wait_loadcnt_dscnt 0xa01
	v_mul_f64_e32 v[198:199], v[194:195], v[192:193]
	v_mul_f64_e32 v[192:193], v[196:197], v[192:193]
	scratch_load_b128 v[178:181], off, off offset:768
	v_add_f64_e32 v[26:27], v[26:27], v[186:187]
	v_add_f64_e32 v[200:201], v[188:189], v[200:201]
	s_wait_loadcnt_dscnt 0xa00
	v_mul_f64_e32 v[206:207], v[4:5], v[176:177]
	v_mul_f64_e32 v[176:177], v[6:7], v[176:177]
	v_fmac_f64_e32 v[198:199], v[196:197], v[190:191]
	v_fma_f64 v[194:195], v[194:195], v[190:191], -v[192:193]
	ds_load_b128 v[186:189], v2 offset:1632
	scratch_load_b128 v[190:193], off, off offset:784
	v_add_f64_e32 v[26:27], v[26:27], v[202:203]
	v_add_f64_e32 v[196:197], v[200:201], v[204:205]
	v_fmac_f64_e32 v[206:207], v[6:7], v[174:175]
	v_fma_f64 v[202:203], v[4:5], v[174:175], -v[176:177]
	ds_load_b128 v[4:7], v2 offset:1648
	s_wait_loadcnt_dscnt 0xa01
	v_mul_f64_e32 v[200:201], v[186:187], v[10:11]
	v_mul_f64_e32 v[10:11], v[188:189], v[10:11]
	scratch_load_b128 v[174:177], off, off offset:800
	s_wait_loadcnt_dscnt 0xa00
	v_mul_f64_e32 v[204:205], v[4:5], v[14:15]
	v_mul_f64_e32 v[14:15], v[6:7], v[14:15]
	v_add_f64_e32 v[26:27], v[26:27], v[194:195]
	v_add_f64_e32 v[198:199], v[196:197], v[198:199]
	ds_load_b128 v[194:197], v2 offset:1664
	v_fmac_f64_e32 v[200:201], v[188:189], v[8:9]
	v_fma_f64 v[186:187], v[186:187], v[8:9], -v[10:11]
	scratch_load_b128 v[8:11], off, off offset:816
	v_fmac_f64_e32 v[204:205], v[6:7], v[12:13]
	v_add_f64_e32 v[26:27], v[26:27], v[202:203]
	v_add_f64_e32 v[188:189], v[198:199], v[206:207]
	v_fma_f64 v[202:203], v[4:5], v[12:13], -v[14:15]
	ds_load_b128 v[4:7], v2 offset:1680
	s_wait_loadcnt_dscnt 0xa01
	v_mul_f64_e32 v[198:199], v[194:195], v[18:19]
	v_mul_f64_e32 v[18:19], v[196:197], v[18:19]
	scratch_load_b128 v[12:15], off, off offset:832
	s_wait_loadcnt_dscnt 0xa00
	v_mul_f64_e32 v[206:207], v[4:5], v[24:25]
	v_mul_f64_e32 v[24:25], v[6:7], v[24:25]
	v_add_f64_e32 v[26:27], v[26:27], v[186:187]
	v_add_f64_e32 v[200:201], v[188:189], v[200:201]
	ds_load_b128 v[186:189], v2 offset:1696
	v_fmac_f64_e32 v[198:199], v[196:197], v[16:17]
	v_fma_f64 v[194:195], v[194:195], v[16:17], -v[18:19]
	scratch_load_b128 v[16:19], off, off offset:848
	v_fmac_f64_e32 v[206:207], v[6:7], v[22:23]
	v_add_f64_e32 v[26:27], v[26:27], v[202:203]
	v_add_f64_e32 v[196:197], v[200:201], v[204:205]
	;; [unrolled: 18-line block ×6, first 2 shown]
	v_fma_f64 v[202:203], v[4:5], v[174:175], -v[176:177]
	ds_load_b128 v[4:7], v2 offset:1840
	s_wait_loadcnt_dscnt 0xa01
	v_mul_f64_e32 v[200:201], v[186:187], v[10:11]
	v_mul_f64_e32 v[10:11], v[188:189], v[10:11]
	scratch_load_b128 v[174:177], off, off offset:992
	s_wait_loadcnt_dscnt 0xa00
	v_mul_f64_e32 v[204:205], v[4:5], v[14:15]
	v_mul_f64_e32 v[14:15], v[6:7], v[14:15]
	v_add_f64_e32 v[26:27], v[26:27], v[194:195]
	v_add_f64_e32 v[198:199], v[196:197], v[198:199]
	ds_load_b128 v[194:197], v2 offset:1856
	v_fmac_f64_e32 v[200:201], v[188:189], v[8:9]
	v_fma_f64 v[8:9], v[186:187], v[8:9], -v[10:11]
	s_wait_loadcnt_dscnt 0x900
	v_mul_f64_e32 v[186:187], v[194:195], v[18:19]
	v_mul_f64_e32 v[18:19], v[196:197], v[18:19]
	v_fmac_f64_e32 v[204:205], v[6:7], v[12:13]
	v_fma_f64 v[12:13], v[4:5], v[12:13], -v[14:15]
	v_add_f64_e32 v[10:11], v[26:27], v[202:203]
	v_add_f64_e32 v[26:27], v[198:199], v[206:207]
	v_fmac_f64_e32 v[186:187], v[196:197], v[16:17]
	v_fma_f64 v[16:17], v[194:195], v[16:17], -v[18:19]
	s_delay_alu instid0(VALU_DEP_4) | instskip(NEXT) | instid1(VALU_DEP_4)
	v_add_f64_e32 v[14:15], v[10:11], v[8:9]
	v_add_f64_e32 v[26:27], v[26:27], v[200:201]
	ds_load_b128 v[4:7], v2 offset:1872
	ds_load_b128 v[8:11], v2 offset:1888
	s_wait_loadcnt_dscnt 0x801
	v_mul_f64_e32 v[188:189], v[4:5], v[24:25]
	v_mul_f64_e32 v[24:25], v[6:7], v[24:25]
	s_wait_loadcnt_dscnt 0x700
	v_mul_f64_e32 v[18:19], v[8:9], v[156:157]
	v_add_f64_e32 v[12:13], v[14:15], v[12:13]
	v_add_f64_e32 v[14:15], v[26:27], v[204:205]
	v_mul_f64_e32 v[26:27], v[10:11], v[156:157]
	v_fmac_f64_e32 v[188:189], v[6:7], v[22:23]
	v_fma_f64 v[22:23], v[4:5], v[22:23], -v[24:25]
	v_fmac_f64_e32 v[18:19], v[10:11], v[154:155]
	v_add_f64_e32 v[16:17], v[12:13], v[16:17]
	v_add_f64_e32 v[24:25], v[14:15], v[186:187]
	ds_load_b128 v[4:7], v2 offset:1904
	ds_load_b128 v[12:15], v2 offset:1920
	v_fma_f64 v[8:9], v[8:9], v[154:155], -v[26:27]
	s_wait_loadcnt_dscnt 0x601
	v_mul_f64_e32 v[156:157], v[4:5], v[160:161]
	v_mul_f64_e32 v[160:161], v[6:7], v[160:161]
	v_add_f64_e32 v[10:11], v[16:17], v[22:23]
	v_add_f64_e32 v[16:17], v[24:25], v[188:189]
	s_wait_loadcnt_dscnt 0x500
	v_mul_f64_e32 v[22:23], v[12:13], v[164:165]
	v_mul_f64_e32 v[24:25], v[14:15], v[164:165]
	v_fmac_f64_e32 v[156:157], v[6:7], v[158:159]
	v_fma_f64 v[26:27], v[4:5], v[158:159], -v[160:161]
	v_add_f64_e32 v[154:155], v[10:11], v[8:9]
	v_add_f64_e32 v[16:17], v[16:17], v[18:19]
	ds_load_b128 v[4:7], v2 offset:1936
	ds_load_b128 v[8:11], v2 offset:1952
	v_fmac_f64_e32 v[22:23], v[14:15], v[162:163]
	v_fma_f64 v[12:13], v[12:13], v[162:163], -v[24:25]
	s_wait_loadcnt_dscnt 0x401
	v_mul_f64_e32 v[18:19], v[4:5], v[168:169]
	v_mul_f64_e32 v[158:159], v[6:7], v[168:169]
	s_wait_loadcnt_dscnt 0x300
	v_mul_f64_e32 v[24:25], v[8:9], v[172:173]
	v_add_f64_e32 v[14:15], v[154:155], v[26:27]
	v_add_f64_e32 v[16:17], v[16:17], v[156:157]
	v_mul_f64_e32 v[26:27], v[10:11], v[172:173]
	v_fmac_f64_e32 v[18:19], v[6:7], v[166:167]
	v_fma_f64 v[154:155], v[4:5], v[166:167], -v[158:159]
	v_fmac_f64_e32 v[24:25], v[10:11], v[170:171]
	v_add_f64_e32 v[156:157], v[14:15], v[12:13]
	v_add_f64_e32 v[16:17], v[16:17], v[22:23]
	ds_load_b128 v[4:7], v2 offset:1968
	ds_load_b128 v[12:15], v2 offset:1984
	v_fma_f64 v[8:9], v[8:9], v[170:171], -v[26:27]
	s_wait_loadcnt_dscnt 0x201
	v_mul_f64_e32 v[22:23], v[4:5], v[180:181]
	v_mul_f64_e32 v[158:159], v[6:7], v[180:181]
	s_wait_loadcnt_dscnt 0x100
	v_mul_f64_e32 v[26:27], v[14:15], v[192:193]
	v_add_f64_e32 v[10:11], v[156:157], v[154:155]
	v_add_f64_e32 v[16:17], v[16:17], v[18:19]
	v_mul_f64_e32 v[18:19], v[12:13], v[192:193]
	v_fmac_f64_e32 v[22:23], v[6:7], v[178:179]
	v_fma_f64 v[154:155], v[4:5], v[178:179], -v[158:159]
	ds_load_b128 v[4:7], v2 offset:2000
	v_fma_f64 v[12:13], v[12:13], v[190:191], -v[26:27]
	v_add_f64_e32 v[8:9], v[10:11], v[8:9]
	v_add_f64_e32 v[10:11], v[16:17], v[24:25]
	v_fmac_f64_e32 v[18:19], v[14:15], v[190:191]
	s_wait_loadcnt_dscnt 0x0
	v_mul_f64_e32 v[16:17], v[4:5], v[176:177]
	v_mul_f64_e32 v[24:25], v[6:7], v[176:177]
	v_add_f64_e32 v[8:9], v[8:9], v[154:155]
	v_add_f64_e32 v[10:11], v[10:11], v[22:23]
	s_delay_alu instid0(VALU_DEP_4) | instskip(NEXT) | instid1(VALU_DEP_4)
	v_fmac_f64_e32 v[16:17], v[6:7], v[174:175]
	v_fma_f64 v[4:5], v[4:5], v[174:175], -v[24:25]
	s_delay_alu instid0(VALU_DEP_4) | instskip(NEXT) | instid1(VALU_DEP_4)
	v_add_f64_e32 v[6:7], v[8:9], v[12:13]
	v_add_f64_e32 v[8:9], v[10:11], v[18:19]
	s_delay_alu instid0(VALU_DEP_2) | instskip(NEXT) | instid1(VALU_DEP_2)
	v_add_f64_e32 v[4:5], v[6:7], v[4:5]
	v_add_f64_e32 v[6:7], v[8:9], v[16:17]
	s_delay_alu instid0(VALU_DEP_2) | instskip(NEXT) | instid1(VALU_DEP_2)
	v_add_f64_e64 v[4:5], v[182:183], -v[4:5]
	v_add_f64_e64 v[6:7], v[184:185], -v[6:7]
	scratch_store_b128 off, v[4:7], off offset:400
	s_wait_xcnt 0x0
	v_cmpx_lt_u32_e32 24, v1
	s_cbranch_execz .LBB62_355
; %bb.354:
	scratch_load_b128 v[6:9], off, s66
	v_dual_mov_b32 v3, v2 :: v_dual_mov_b32 v4, v2
	v_mov_b32_e32 v5, v2
	scratch_store_b128 off, v[2:5], off offset:384
	s_wait_loadcnt 0x0
	ds_store_b128 v20, v[6:9]
.LBB62_355:
	s_wait_xcnt 0x0
	s_or_b32 exec_lo, exec_lo, s2
	s_wait_storecnt_dscnt 0x0
	s_barrier_signal -1
	s_barrier_wait -1
	s_clause 0x9
	scratch_load_b128 v[4:7], off, off offset:400
	scratch_load_b128 v[8:11], off, off offset:416
	;; [unrolled: 1-line block ×10, first 2 shown]
	ds_load_b128 v[174:177], v2 offset:1408
	ds_load_b128 v[182:185], v2 offset:1424
	s_clause 0x2
	scratch_load_b128 v[178:181], off, off offset:560
	scratch_load_b128 v[186:189], off, off offset:384
	;; [unrolled: 1-line block ×3, first 2 shown]
	s_mov_b32 s2, exec_lo
	s_wait_loadcnt_dscnt 0xc01
	v_mul_f64_e32 v[26:27], v[176:177], v[6:7]
	v_mul_f64_e32 v[198:199], v[174:175], v[6:7]
	s_wait_loadcnt_dscnt 0xb00
	v_mul_f64_e32 v[200:201], v[182:183], v[10:11]
	v_mul_f64_e32 v[10:11], v[184:185], v[10:11]
	s_delay_alu instid0(VALU_DEP_4) | instskip(NEXT) | instid1(VALU_DEP_4)
	v_fma_f64 v[26:27], v[174:175], v[4:5], -v[26:27]
	v_fmac_f64_e32 v[198:199], v[176:177], v[4:5]
	ds_load_b128 v[4:7], v2 offset:1440
	ds_load_b128 v[174:177], v2 offset:1456
	scratch_load_b128 v[194:197], off, off offset:592
	v_fmac_f64_e32 v[200:201], v[184:185], v[8:9]
	v_fma_f64 v[182:183], v[182:183], v[8:9], -v[10:11]
	scratch_load_b128 v[8:11], off, off offset:608
	s_wait_loadcnt_dscnt 0xc01
	v_mul_f64_e32 v[202:203], v[4:5], v[14:15]
	v_mul_f64_e32 v[14:15], v[6:7], v[14:15]
	v_add_f64_e32 v[26:27], 0, v[26:27]
	v_add_f64_e32 v[184:185], 0, v[198:199]
	s_wait_loadcnt_dscnt 0xb00
	v_mul_f64_e32 v[198:199], v[174:175], v[18:19]
	v_mul_f64_e32 v[18:19], v[176:177], v[18:19]
	v_fmac_f64_e32 v[202:203], v[6:7], v[12:13]
	v_fma_f64 v[204:205], v[4:5], v[12:13], -v[14:15]
	ds_load_b128 v[4:7], v2 offset:1472
	ds_load_b128 v[12:15], v2 offset:1488
	v_add_f64_e32 v[26:27], v[26:27], v[182:183]
	v_add_f64_e32 v[200:201], v[184:185], v[200:201]
	scratch_load_b128 v[182:185], off, off offset:624
	v_fmac_f64_e32 v[198:199], v[176:177], v[16:17]
	v_fma_f64 v[174:175], v[174:175], v[16:17], -v[18:19]
	scratch_load_b128 v[16:19], off, off offset:640
	s_wait_loadcnt_dscnt 0xc01
	v_mul_f64_e32 v[206:207], v[4:5], v[24:25]
	v_mul_f64_e32 v[24:25], v[6:7], v[24:25]
	v_add_f64_e32 v[26:27], v[26:27], v[204:205]
	v_add_f64_e32 v[176:177], v[200:201], v[202:203]
	s_wait_loadcnt_dscnt 0xb00
	v_mul_f64_e32 v[200:201], v[12:13], v[156:157]
	v_mul_f64_e32 v[156:157], v[14:15], v[156:157]
	v_fmac_f64_e32 v[206:207], v[6:7], v[22:23]
	v_fma_f64 v[202:203], v[4:5], v[22:23], -v[24:25]
	ds_load_b128 v[4:7], v2 offset:1504
	ds_load_b128 v[22:25], v2 offset:1520
	s_wait_loadcnt_dscnt 0xa01
	v_mul_f64_e32 v[204:205], v[4:5], v[160:161]
	v_add_f64_e32 v[26:27], v[26:27], v[174:175]
	v_add_f64_e32 v[198:199], v[176:177], v[198:199]
	scratch_load_b128 v[174:177], off, off offset:656
	v_mul_f64_e32 v[160:161], v[6:7], v[160:161]
	v_fmac_f64_e32 v[200:201], v[14:15], v[154:155]
	v_fma_f64 v[154:155], v[12:13], v[154:155], -v[156:157]
	scratch_load_b128 v[12:15], off, off offset:672
	v_fmac_f64_e32 v[204:205], v[6:7], v[158:159]
	v_add_f64_e32 v[26:27], v[26:27], v[202:203]
	v_add_f64_e32 v[156:157], v[198:199], v[206:207]
	s_wait_loadcnt_dscnt 0xb00
	v_mul_f64_e32 v[198:199], v[22:23], v[164:165]
	v_mul_f64_e32 v[164:165], v[24:25], v[164:165]
	v_fma_f64 v[202:203], v[4:5], v[158:159], -v[160:161]
	v_add_f64_e32 v[26:27], v[26:27], v[154:155]
	v_add_f64_e32 v[200:201], v[156:157], v[200:201]
	ds_load_b128 v[4:7], v2 offset:1536
	ds_load_b128 v[154:157], v2 offset:1552
	scratch_load_b128 v[158:161], off, off offset:688
	v_fmac_f64_e32 v[198:199], v[24:25], v[162:163]
	v_fma_f64 v[162:163], v[22:23], v[162:163], -v[164:165]
	scratch_load_b128 v[22:25], off, off offset:704
	s_wait_loadcnt_dscnt 0xc01
	v_mul_f64_e32 v[206:207], v[4:5], v[168:169]
	v_mul_f64_e32 v[168:169], v[6:7], v[168:169]
	v_add_f64_e32 v[26:27], v[26:27], v[202:203]
	v_add_f64_e32 v[164:165], v[200:201], v[204:205]
	s_wait_loadcnt_dscnt 0xb00
	v_mul_f64_e32 v[200:201], v[154:155], v[172:173]
	v_mul_f64_e32 v[172:173], v[156:157], v[172:173]
	v_fmac_f64_e32 v[206:207], v[6:7], v[166:167]
	v_fma_f64 v[202:203], v[4:5], v[166:167], -v[168:169]
	v_add_f64_e32 v[26:27], v[26:27], v[162:163]
	v_add_f64_e32 v[198:199], v[164:165], v[198:199]
	ds_load_b128 v[4:7], v2 offset:1568
	ds_load_b128 v[162:165], v2 offset:1584
	scratch_load_b128 v[166:169], off, off offset:720
	v_fmac_f64_e32 v[200:201], v[156:157], v[170:171]
	v_fma_f64 v[170:171], v[154:155], v[170:171], -v[172:173]
	scratch_load_b128 v[154:157], off, off offset:736
	s_wait_loadcnt_dscnt 0xc01
	v_mul_f64_e32 v[204:205], v[4:5], v[180:181]
	v_mul_f64_e32 v[180:181], v[6:7], v[180:181]
	v_add_f64_e32 v[26:27], v[26:27], v[202:203]
	v_add_f64_e32 v[172:173], v[198:199], v[206:207]
	s_wait_loadcnt_dscnt 0xa00
	v_mul_f64_e32 v[198:199], v[162:163], v[192:193]
	v_mul_f64_e32 v[192:193], v[164:165], v[192:193]
	v_fmac_f64_e32 v[204:205], v[6:7], v[178:179]
	;; [unrolled: 18-line block ×5, first 2 shown]
	v_fma_f64 v[202:203], v[4:5], v[174:175], -v[176:177]
	ds_load_b128 v[4:7], v2 offset:1696
	ds_load_b128 v[174:177], v2 offset:1712
	v_add_f64_e32 v[26:27], v[26:27], v[190:191]
	v_add_f64_e32 v[198:199], v[192:193], v[198:199]
	scratch_load_b128 v[190:193], off, off offset:848
	v_fmac_f64_e32 v[200:201], v[172:173], v[12:13]
	v_fma_f64 v[170:171], v[170:171], v[12:13], -v[14:15]
	scratch_load_b128 v[12:15], off, off offset:864
	s_wait_loadcnt_dscnt 0xb01
	v_mul_f64_e32 v[204:205], v[4:5], v[160:161]
	v_mul_f64_e32 v[160:161], v[6:7], v[160:161]
	v_add_f64_e32 v[26:27], v[26:27], v[202:203]
	v_add_f64_e32 v[172:173], v[198:199], v[206:207]
	s_wait_loadcnt_dscnt 0xa00
	v_mul_f64_e32 v[198:199], v[174:175], v[24:25]
	v_mul_f64_e32 v[202:203], v[176:177], v[24:25]
	v_fmac_f64_e32 v[204:205], v[6:7], v[158:159]
	v_fma_f64 v[206:207], v[4:5], v[158:159], -v[160:161]
	v_add_f64_e32 v[170:171], v[26:27], v[170:171]
	v_add_f64_e32 v[172:173], v[172:173], v[200:201]
	ds_load_b128 v[4:7], v2 offset:1728
	ds_load_b128 v[24:27], v2 offset:1744
	scratch_load_b128 v[158:161], off, off offset:880
	v_fmac_f64_e32 v[198:199], v[176:177], v[22:23]
	v_fma_f64 v[22:23], v[174:175], v[22:23], -v[202:203]
	s_wait_loadcnt_dscnt 0xa01
	v_mul_f64_e32 v[208:209], v[4:5], v[168:169]
	v_mul_f64_e32 v[200:201], v[6:7], v[168:169]
	s_wait_loadcnt_dscnt 0x900
	v_mul_f64_e32 v[176:177], v[24:25], v[156:157]
	v_mul_f64_e32 v[156:157], v[26:27], v[156:157]
	v_add_f64_e32 v[174:175], v[170:171], v[206:207]
	v_add_f64_e32 v[172:173], v[172:173], v[204:205]
	scratch_load_b128 v[168:171], off, off offset:896
	v_fmac_f64_e32 v[208:209], v[6:7], v[166:167]
	v_fma_f64 v[166:167], v[4:5], v[166:167], -v[200:201]
	v_fmac_f64_e32 v[176:177], v[26:27], v[154:155]
	v_fma_f64 v[26:27], v[24:25], v[154:155], -v[156:157]
	v_add_f64_e32 v[22:23], v[174:175], v[22:23]
	v_add_f64_e32 v[202:203], v[172:173], v[198:199]
	ds_load_b128 v[4:7], v2 offset:1760
	ds_load_b128 v[172:175], v2 offset:1776
	scratch_load_b128 v[198:201], off, off offset:912
	s_wait_loadcnt_dscnt 0xa01
	v_mul_f64_e32 v[204:205], v[4:5], v[180:181]
	v_mul_f64_e32 v[180:181], v[6:7], v[180:181]
	s_wait_loadcnt_dscnt 0x900
	v_mul_f64_e32 v[206:207], v[174:175], v[164:165]
	v_add_f64_e32 v[154:155], v[22:23], v[166:167]
	v_add_f64_e32 v[156:157], v[202:203], v[208:209]
	scratch_load_b128 v[22:25], off, off offset:928
	v_mul_f64_e32 v[202:203], v[172:173], v[164:165]
	v_fmac_f64_e32 v[204:205], v[6:7], v[178:179]
	v_fma_f64 v[178:179], v[4:5], v[178:179], -v[180:181]
	v_add_f64_e32 v[26:27], v[154:155], v[26:27]
	v_add_f64_e32 v[176:177], v[156:157], v[176:177]
	ds_load_b128 v[4:7], v2 offset:1792
	ds_load_b128 v[154:157], v2 offset:1808
	scratch_load_b128 v[164:167], off, off offset:944
	v_fmac_f64_e32 v[202:203], v[174:175], v[162:163]
	v_fma_f64 v[162:163], v[172:173], v[162:163], -v[206:207]
	scratch_load_b128 v[172:175], off, off offset:960
	s_wait_loadcnt_dscnt 0xb01
	v_mul_f64_e32 v[180:181], v[4:5], v[196:197]
	v_mul_f64_e32 v[196:197], v[6:7], v[196:197]
	v_add_f64_e32 v[26:27], v[26:27], v[178:179]
	v_add_f64_e32 v[176:177], v[176:177], v[204:205]
	s_wait_loadcnt_dscnt 0xa00
	v_mul_f64_e32 v[204:205], v[154:155], v[10:11]
	v_mul_f64_e32 v[10:11], v[156:157], v[10:11]
	v_fmac_f64_e32 v[180:181], v[6:7], v[194:195]
	v_fma_f64 v[206:207], v[4:5], v[194:195], -v[196:197]
	v_add_f64_e32 v[26:27], v[26:27], v[162:163]
	v_add_f64_e32 v[162:163], v[176:177], v[202:203]
	ds_load_b128 v[4:7], v2 offset:1824
	ds_load_b128 v[176:179], v2 offset:1840
	scratch_load_b128 v[194:197], off, off offset:976
	v_fmac_f64_e32 v[204:205], v[156:157], v[8:9]
	v_fma_f64 v[154:155], v[154:155], v[8:9], -v[10:11]
	scratch_load_b128 v[8:11], off, off offset:992
	s_wait_loadcnt_dscnt 0xb01
	v_mul_f64_e32 v[202:203], v[4:5], v[184:185]
	v_mul_f64_e32 v[184:185], v[6:7], v[184:185]
	v_add_f64_e32 v[26:27], v[26:27], v[206:207]
	v_add_f64_e32 v[156:157], v[162:163], v[180:181]
	s_wait_loadcnt_dscnt 0xa00
	v_mul_f64_e32 v[162:163], v[176:177], v[18:19]
	v_mul_f64_e32 v[18:19], v[178:179], v[18:19]
	v_fmac_f64_e32 v[202:203], v[6:7], v[182:183]
	v_fma_f64 v[180:181], v[4:5], v[182:183], -v[184:185]
	v_add_f64_e32 v[26:27], v[26:27], v[154:155]
	v_add_f64_e32 v[182:183], v[156:157], v[204:205]
	ds_load_b128 v[4:7], v2 offset:1856
	ds_load_b128 v[154:157], v2 offset:1872
	v_fmac_f64_e32 v[162:163], v[178:179], v[16:17]
	v_fma_f64 v[16:17], v[176:177], v[16:17], -v[18:19]
	s_wait_loadcnt_dscnt 0x901
	v_mul_f64_e32 v[184:185], v[4:5], v[192:193]
	v_mul_f64_e32 v[192:193], v[6:7], v[192:193]
	s_wait_loadcnt_dscnt 0x800
	v_mul_f64_e32 v[176:177], v[154:155], v[14:15]
	v_mul_f64_e32 v[178:179], v[156:157], v[14:15]
	v_add_f64_e32 v[18:19], v[26:27], v[180:181]
	v_add_f64_e32 v[26:27], v[182:183], v[202:203]
	v_fmac_f64_e32 v[184:185], v[6:7], v[190:191]
	v_fma_f64 v[180:181], v[4:5], v[190:191], -v[192:193]
	v_fmac_f64_e32 v[176:177], v[156:157], v[12:13]
	v_fma_f64 v[12:13], v[154:155], v[12:13], -v[178:179]
	v_add_f64_e32 v[18:19], v[18:19], v[16:17]
	v_add_f64_e32 v[26:27], v[26:27], v[162:163]
	ds_load_b128 v[4:7], v2 offset:1888
	ds_load_b128 v[14:17], v2 offset:1904
	s_wait_loadcnt_dscnt 0x701
	v_mul_f64_e32 v[162:163], v[4:5], v[160:161]
	v_mul_f64_e32 v[160:161], v[6:7], v[160:161]
	v_add_f64_e32 v[18:19], v[18:19], v[180:181]
	v_add_f64_e32 v[26:27], v[26:27], v[184:185]
	s_wait_loadcnt_dscnt 0x600
	v_mul_f64_e32 v[178:179], v[14:15], v[170:171]
	v_mul_f64_e32 v[170:171], v[16:17], v[170:171]
	v_fmac_f64_e32 v[162:163], v[6:7], v[158:159]
	v_fma_f64 v[158:159], v[4:5], v[158:159], -v[160:161]
	ds_load_b128 v[4:7], v2 offset:1920
	ds_load_b128 v[154:157], v2 offset:1936
	v_add_f64_e32 v[12:13], v[18:19], v[12:13]
	v_add_f64_e32 v[18:19], v[26:27], v[176:177]
	v_fmac_f64_e32 v[178:179], v[16:17], v[168:169]
	v_fma_f64 v[14:15], v[14:15], v[168:169], -v[170:171]
	s_wait_loadcnt_dscnt 0x501
	v_mul_f64_e32 v[26:27], v[4:5], v[200:201]
	v_mul_f64_e32 v[160:161], v[6:7], v[200:201]
	v_add_f64_e32 v[12:13], v[12:13], v[158:159]
	v_add_f64_e32 v[16:17], v[18:19], v[162:163]
	s_wait_loadcnt_dscnt 0x400
	v_mul_f64_e32 v[18:19], v[154:155], v[24:25]
	v_mul_f64_e32 v[24:25], v[156:157], v[24:25]
	v_fmac_f64_e32 v[26:27], v[6:7], v[198:199]
	v_fma_f64 v[158:159], v[4:5], v[198:199], -v[160:161]
	v_add_f64_e32 v[160:161], v[12:13], v[14:15]
	v_add_f64_e32 v[16:17], v[16:17], v[178:179]
	ds_load_b128 v[4:7], v2 offset:1952
	ds_load_b128 v[12:15], v2 offset:1968
	v_fmac_f64_e32 v[18:19], v[156:157], v[22:23]
	v_fma_f64 v[22:23], v[154:155], v[22:23], -v[24:25]
	s_wait_loadcnt_dscnt 0x301
	v_mul_f64_e32 v[162:163], v[4:5], v[166:167]
	v_mul_f64_e32 v[166:167], v[6:7], v[166:167]
	s_wait_loadcnt_dscnt 0x200
	v_mul_f64_e32 v[154:155], v[14:15], v[174:175]
	v_add_f64_e32 v[24:25], v[160:161], v[158:159]
	v_add_f64_e32 v[16:17], v[16:17], v[26:27]
	v_mul_f64_e32 v[26:27], v[12:13], v[174:175]
	v_fmac_f64_e32 v[162:163], v[6:7], v[164:165]
	v_fma_f64 v[156:157], v[4:5], v[164:165], -v[166:167]
	v_fma_f64 v[12:13], v[12:13], v[172:173], -v[154:155]
	v_add_f64_e32 v[22:23], v[24:25], v[22:23]
	v_add_f64_e32 v[24:25], v[16:17], v[18:19]
	ds_load_b128 v[4:7], v2 offset:1984
	ds_load_b128 v[16:19], v2 offset:2000
	v_fmac_f64_e32 v[26:27], v[14:15], v[172:173]
	s_wait_loadcnt_dscnt 0x101
	v_mul_f64_e32 v[2:3], v[4:5], v[196:197]
	v_mul_f64_e32 v[158:159], v[6:7], v[196:197]
	v_add_f64_e32 v[14:15], v[22:23], v[156:157]
	v_add_f64_e32 v[22:23], v[24:25], v[162:163]
	s_wait_loadcnt_dscnt 0x0
	v_mul_f64_e32 v[24:25], v[16:17], v[10:11]
	v_mul_f64_e32 v[10:11], v[18:19], v[10:11]
	v_fmac_f64_e32 v[2:3], v[6:7], v[194:195]
	v_fma_f64 v[4:5], v[4:5], v[194:195], -v[158:159]
	v_add_f64_e32 v[6:7], v[14:15], v[12:13]
	v_add_f64_e32 v[12:13], v[22:23], v[26:27]
	v_fmac_f64_e32 v[24:25], v[18:19], v[8:9]
	v_fma_f64 v[8:9], v[16:17], v[8:9], -v[10:11]
	s_delay_alu instid0(VALU_DEP_4) | instskip(NEXT) | instid1(VALU_DEP_4)
	v_add_f64_e32 v[4:5], v[6:7], v[4:5]
	v_add_f64_e32 v[2:3], v[12:13], v[2:3]
	s_delay_alu instid0(VALU_DEP_2) | instskip(NEXT) | instid1(VALU_DEP_2)
	v_add_f64_e32 v[4:5], v[4:5], v[8:9]
	v_add_f64_e32 v[6:7], v[2:3], v[24:25]
	s_delay_alu instid0(VALU_DEP_2) | instskip(NEXT) | instid1(VALU_DEP_2)
	v_add_f64_e64 v[2:3], v[186:187], -v[4:5]
	v_add_f64_e64 v[4:5], v[188:189], -v[6:7]
	scratch_store_b128 off, v[2:5], off offset:384
	s_wait_xcnt 0x0
	v_cmpx_lt_u32_e32 23, v1
	s_cbranch_execz .LBB62_357
; %bb.356:
	scratch_load_b128 v[2:5], off, s63
	v_mov_b32_e32 v6, 0
	s_delay_alu instid0(VALU_DEP_1)
	v_dual_mov_b32 v7, v6 :: v_dual_mov_b32 v8, v6
	v_mov_b32_e32 v9, v6
	scratch_store_b128 off, v[6:9], off offset:368
	s_wait_loadcnt 0x0
	ds_store_b128 v20, v[2:5]
.LBB62_357:
	s_wait_xcnt 0x0
	s_or_b32 exec_lo, exec_lo, s2
	s_wait_storecnt_dscnt 0x0
	s_barrier_signal -1
	s_barrier_wait -1
	s_clause 0x9
	scratch_load_b128 v[4:7], off, off offset:384
	scratch_load_b128 v[8:11], off, off offset:400
	;; [unrolled: 1-line block ×10, first 2 shown]
	v_mov_b32_e32 v2, 0
	s_mov_b32 s2, exec_lo
	ds_load_b128 v[174:177], v2 offset:1392
	s_clause 0x2
	scratch_load_b128 v[178:181], off, off offset:544
	scratch_load_b128 v[182:185], off, off offset:368
	;; [unrolled: 1-line block ×3, first 2 shown]
	s_wait_loadcnt_dscnt 0xc00
	v_mul_f64_e32 v[26:27], v[176:177], v[6:7]
	v_mul_f64_e32 v[198:199], v[174:175], v[6:7]
	ds_load_b128 v[186:189], v2 offset:1408
	ds_load_b128 v[194:197], v2 offset:1440
	v_fma_f64 v[26:27], v[174:175], v[4:5], -v[26:27]
	v_fmac_f64_e32 v[198:199], v[176:177], v[4:5]
	ds_load_b128 v[4:7], v2 offset:1424
	s_wait_loadcnt_dscnt 0xb02
	v_mul_f64_e32 v[200:201], v[186:187], v[10:11]
	v_mul_f64_e32 v[10:11], v[188:189], v[10:11]
	scratch_load_b128 v[174:177], off, off offset:576
	s_wait_loadcnt_dscnt 0xb00
	v_mul_f64_e32 v[202:203], v[4:5], v[14:15]
	v_mul_f64_e32 v[14:15], v[6:7], v[14:15]
	v_add_f64_e32 v[26:27], 0, v[26:27]
	v_fmac_f64_e32 v[200:201], v[188:189], v[8:9]
	v_fma_f64 v[186:187], v[186:187], v[8:9], -v[10:11]
	v_add_f64_e32 v[188:189], 0, v[198:199]
	scratch_load_b128 v[8:11], off, off offset:592
	v_fmac_f64_e32 v[202:203], v[6:7], v[12:13]
	v_fma_f64 v[204:205], v[4:5], v[12:13], -v[14:15]
	ds_load_b128 v[4:7], v2 offset:1456
	s_wait_loadcnt 0xb
	v_mul_f64_e32 v[198:199], v[194:195], v[18:19]
	v_mul_f64_e32 v[18:19], v[196:197], v[18:19]
	scratch_load_b128 v[12:15], off, off offset:608
	v_add_f64_e32 v[26:27], v[26:27], v[186:187]
	v_add_f64_e32 v[200:201], v[188:189], v[200:201]
	ds_load_b128 v[186:189], v2 offset:1472
	s_wait_loadcnt_dscnt 0xb01
	v_mul_f64_e32 v[206:207], v[4:5], v[24:25]
	v_mul_f64_e32 v[24:25], v[6:7], v[24:25]
	v_fmac_f64_e32 v[198:199], v[196:197], v[16:17]
	v_fma_f64 v[194:195], v[194:195], v[16:17], -v[18:19]
	scratch_load_b128 v[16:19], off, off offset:624
	v_add_f64_e32 v[26:27], v[26:27], v[204:205]
	v_add_f64_e32 v[196:197], v[200:201], v[202:203]
	v_fmac_f64_e32 v[206:207], v[6:7], v[22:23]
	v_fma_f64 v[202:203], v[4:5], v[22:23], -v[24:25]
	ds_load_b128 v[4:7], v2 offset:1488
	s_wait_loadcnt_dscnt 0xb01
	v_mul_f64_e32 v[200:201], v[186:187], v[156:157]
	v_mul_f64_e32 v[156:157], v[188:189], v[156:157]
	scratch_load_b128 v[22:25], off, off offset:640
	s_wait_loadcnt_dscnt 0xb00
	v_mul_f64_e32 v[204:205], v[4:5], v[160:161]
	v_mul_f64_e32 v[160:161], v[6:7], v[160:161]
	v_add_f64_e32 v[26:27], v[26:27], v[194:195]
	v_add_f64_e32 v[198:199], v[196:197], v[198:199]
	ds_load_b128 v[194:197], v2 offset:1504
	v_fmac_f64_e32 v[200:201], v[188:189], v[154:155]
	v_fma_f64 v[186:187], v[186:187], v[154:155], -v[156:157]
	scratch_load_b128 v[154:157], off, off offset:656
	v_fmac_f64_e32 v[204:205], v[6:7], v[158:159]
	v_add_f64_e32 v[26:27], v[26:27], v[202:203]
	v_add_f64_e32 v[188:189], v[198:199], v[206:207]
	v_fma_f64 v[202:203], v[4:5], v[158:159], -v[160:161]
	ds_load_b128 v[4:7], v2 offset:1520
	s_wait_loadcnt_dscnt 0xb01
	v_mul_f64_e32 v[198:199], v[194:195], v[164:165]
	v_mul_f64_e32 v[164:165], v[196:197], v[164:165]
	scratch_load_b128 v[158:161], off, off offset:672
	s_wait_loadcnt_dscnt 0xb00
	v_mul_f64_e32 v[206:207], v[4:5], v[168:169]
	v_mul_f64_e32 v[168:169], v[6:7], v[168:169]
	v_add_f64_e32 v[26:27], v[26:27], v[186:187]
	v_add_f64_e32 v[200:201], v[188:189], v[200:201]
	ds_load_b128 v[186:189], v2 offset:1536
	v_fmac_f64_e32 v[198:199], v[196:197], v[162:163]
	v_fma_f64 v[194:195], v[194:195], v[162:163], -v[164:165]
	scratch_load_b128 v[162:165], off, off offset:688
	v_fmac_f64_e32 v[206:207], v[6:7], v[166:167]
	v_add_f64_e32 v[26:27], v[26:27], v[202:203]
	v_add_f64_e32 v[196:197], v[200:201], v[204:205]
	;; [unrolled: 18-line block ×3, first 2 shown]
	v_fma_f64 v[202:203], v[4:5], v[178:179], -v[180:181]
	ds_load_b128 v[4:7], v2 offset:1584
	s_wait_loadcnt_dscnt 0xa01
	v_mul_f64_e32 v[198:199], v[194:195], v[192:193]
	v_mul_f64_e32 v[192:193], v[196:197], v[192:193]
	scratch_load_b128 v[178:181], off, off offset:736
	v_add_f64_e32 v[26:27], v[26:27], v[186:187]
	v_add_f64_e32 v[200:201], v[188:189], v[200:201]
	s_wait_loadcnt_dscnt 0xa00
	v_mul_f64_e32 v[206:207], v[4:5], v[176:177]
	v_mul_f64_e32 v[176:177], v[6:7], v[176:177]
	v_fmac_f64_e32 v[198:199], v[196:197], v[190:191]
	v_fma_f64 v[194:195], v[194:195], v[190:191], -v[192:193]
	ds_load_b128 v[186:189], v2 offset:1600
	scratch_load_b128 v[190:193], off, off offset:752
	v_add_f64_e32 v[26:27], v[26:27], v[202:203]
	v_add_f64_e32 v[196:197], v[200:201], v[204:205]
	v_fmac_f64_e32 v[206:207], v[6:7], v[174:175]
	v_fma_f64 v[202:203], v[4:5], v[174:175], -v[176:177]
	ds_load_b128 v[4:7], v2 offset:1616
	s_wait_loadcnt_dscnt 0xa01
	v_mul_f64_e32 v[200:201], v[186:187], v[10:11]
	v_mul_f64_e32 v[10:11], v[188:189], v[10:11]
	scratch_load_b128 v[174:177], off, off offset:768
	s_wait_loadcnt_dscnt 0xa00
	v_mul_f64_e32 v[204:205], v[4:5], v[14:15]
	v_mul_f64_e32 v[14:15], v[6:7], v[14:15]
	v_add_f64_e32 v[26:27], v[26:27], v[194:195]
	v_add_f64_e32 v[198:199], v[196:197], v[198:199]
	ds_load_b128 v[194:197], v2 offset:1632
	v_fmac_f64_e32 v[200:201], v[188:189], v[8:9]
	v_fma_f64 v[186:187], v[186:187], v[8:9], -v[10:11]
	scratch_load_b128 v[8:11], off, off offset:784
	v_fmac_f64_e32 v[204:205], v[6:7], v[12:13]
	v_add_f64_e32 v[26:27], v[26:27], v[202:203]
	v_add_f64_e32 v[188:189], v[198:199], v[206:207]
	v_fma_f64 v[202:203], v[4:5], v[12:13], -v[14:15]
	ds_load_b128 v[4:7], v2 offset:1648
	s_wait_loadcnt_dscnt 0xa01
	v_mul_f64_e32 v[198:199], v[194:195], v[18:19]
	v_mul_f64_e32 v[18:19], v[196:197], v[18:19]
	scratch_load_b128 v[12:15], off, off offset:800
	s_wait_loadcnt_dscnt 0xa00
	v_mul_f64_e32 v[206:207], v[4:5], v[24:25]
	v_mul_f64_e32 v[24:25], v[6:7], v[24:25]
	v_add_f64_e32 v[26:27], v[26:27], v[186:187]
	v_add_f64_e32 v[200:201], v[188:189], v[200:201]
	ds_load_b128 v[186:189], v2 offset:1664
	v_fmac_f64_e32 v[198:199], v[196:197], v[16:17]
	v_fma_f64 v[194:195], v[194:195], v[16:17], -v[18:19]
	scratch_load_b128 v[16:19], off, off offset:816
	v_fmac_f64_e32 v[206:207], v[6:7], v[22:23]
	v_add_f64_e32 v[26:27], v[26:27], v[202:203]
	v_add_f64_e32 v[196:197], v[200:201], v[204:205]
	;; [unrolled: 18-line block ×7, first 2 shown]
	v_fma_f64 v[202:203], v[4:5], v[12:13], -v[14:15]
	ds_load_b128 v[4:7], v2 offset:1840
	s_wait_loadcnt_dscnt 0xa01
	v_mul_f64_e32 v[198:199], v[194:195], v[18:19]
	v_mul_f64_e32 v[18:19], v[196:197], v[18:19]
	scratch_load_b128 v[12:15], off, off offset:992
	s_wait_loadcnt_dscnt 0xa00
	v_mul_f64_e32 v[206:207], v[4:5], v[24:25]
	v_mul_f64_e32 v[24:25], v[6:7], v[24:25]
	v_add_f64_e32 v[26:27], v[26:27], v[186:187]
	v_add_f64_e32 v[200:201], v[188:189], v[200:201]
	ds_load_b128 v[186:189], v2 offset:1856
	v_fmac_f64_e32 v[198:199], v[196:197], v[16:17]
	v_fma_f64 v[16:17], v[194:195], v[16:17], -v[18:19]
	s_wait_loadcnt_dscnt 0x900
	v_mul_f64_e32 v[194:195], v[186:187], v[156:157]
	v_mul_f64_e32 v[156:157], v[188:189], v[156:157]
	v_fmac_f64_e32 v[206:207], v[6:7], v[22:23]
	v_fma_f64 v[22:23], v[4:5], v[22:23], -v[24:25]
	v_add_f64_e32 v[18:19], v[26:27], v[202:203]
	v_add_f64_e32 v[26:27], v[200:201], v[204:205]
	v_fmac_f64_e32 v[194:195], v[188:189], v[154:155]
	v_fma_f64 v[154:155], v[186:187], v[154:155], -v[156:157]
	s_delay_alu instid0(VALU_DEP_4) | instskip(NEXT) | instid1(VALU_DEP_4)
	v_add_f64_e32 v[24:25], v[18:19], v[16:17]
	v_add_f64_e32 v[26:27], v[26:27], v[198:199]
	ds_load_b128 v[4:7], v2 offset:1872
	ds_load_b128 v[16:19], v2 offset:1888
	s_wait_loadcnt_dscnt 0x801
	v_mul_f64_e32 v[196:197], v[4:5], v[160:161]
	v_mul_f64_e32 v[160:161], v[6:7], v[160:161]
	s_wait_loadcnt_dscnt 0x700
	v_mul_f64_e32 v[156:157], v[18:19], v[164:165]
	v_add_f64_e32 v[22:23], v[24:25], v[22:23]
	v_add_f64_e32 v[24:25], v[26:27], v[206:207]
	v_mul_f64_e32 v[26:27], v[16:17], v[164:165]
	v_fmac_f64_e32 v[196:197], v[6:7], v[158:159]
	v_fma_f64 v[158:159], v[4:5], v[158:159], -v[160:161]
	v_fma_f64 v[16:17], v[16:17], v[162:163], -v[156:157]
	v_add_f64_e32 v[154:155], v[22:23], v[154:155]
	v_add_f64_e32 v[160:161], v[24:25], v[194:195]
	ds_load_b128 v[4:7], v2 offset:1904
	ds_load_b128 v[22:25], v2 offset:1920
	v_fmac_f64_e32 v[26:27], v[18:19], v[162:163]
	s_wait_loadcnt_dscnt 0x601
	v_mul_f64_e32 v[164:165], v[4:5], v[168:169]
	v_mul_f64_e32 v[168:169], v[6:7], v[168:169]
	s_wait_loadcnt_dscnt 0x500
	v_mul_f64_e32 v[156:157], v[22:23], v[172:173]
	v_add_f64_e32 v[18:19], v[154:155], v[158:159]
	v_add_f64_e32 v[154:155], v[160:161], v[196:197]
	v_mul_f64_e32 v[158:159], v[24:25], v[172:173]
	v_fmac_f64_e32 v[164:165], v[6:7], v[166:167]
	v_fma_f64 v[160:161], v[4:5], v[166:167], -v[168:169]
	v_fmac_f64_e32 v[156:157], v[24:25], v[170:171]
	v_add_f64_e32 v[162:163], v[18:19], v[16:17]
	v_add_f64_e32 v[26:27], v[154:155], v[26:27]
	ds_load_b128 v[4:7], v2 offset:1936
	ds_load_b128 v[16:19], v2 offset:1952
	v_fma_f64 v[22:23], v[22:23], v[170:171], -v[158:159]
	s_wait_loadcnt_dscnt 0x401
	v_mul_f64_e32 v[154:155], v[4:5], v[180:181]
	v_mul_f64_e32 v[166:167], v[6:7], v[180:181]
	s_wait_loadcnt_dscnt 0x300
	v_mul_f64_e32 v[158:159], v[16:17], v[192:193]
	v_add_f64_e32 v[24:25], v[162:163], v[160:161]
	v_add_f64_e32 v[26:27], v[26:27], v[164:165]
	v_mul_f64_e32 v[160:161], v[18:19], v[192:193]
	v_fmac_f64_e32 v[154:155], v[6:7], v[178:179]
	v_fma_f64 v[162:163], v[4:5], v[178:179], -v[166:167]
	v_fmac_f64_e32 v[158:159], v[18:19], v[190:191]
	v_add_f64_e32 v[164:165], v[24:25], v[22:23]
	v_add_f64_e32 v[26:27], v[26:27], v[156:157]
	ds_load_b128 v[4:7], v2 offset:1968
	ds_load_b128 v[22:25], v2 offset:1984
	v_fma_f64 v[16:17], v[16:17], v[190:191], -v[160:161]
	s_wait_loadcnt_dscnt 0x201
	v_mul_f64_e32 v[156:157], v[4:5], v[176:177]
	v_mul_f64_e32 v[166:167], v[6:7], v[176:177]
	v_add_f64_e32 v[18:19], v[164:165], v[162:163]
	v_add_f64_e32 v[26:27], v[26:27], v[154:155]
	s_wait_loadcnt_dscnt 0x100
	v_mul_f64_e32 v[154:155], v[22:23], v[10:11]
	v_mul_f64_e32 v[10:11], v[24:25], v[10:11]
	v_fmac_f64_e32 v[156:157], v[6:7], v[174:175]
	v_fma_f64 v[160:161], v[4:5], v[174:175], -v[166:167]
	ds_load_b128 v[4:7], v2 offset:2000
	v_add_f64_e32 v[16:17], v[18:19], v[16:17]
	v_add_f64_e32 v[18:19], v[26:27], v[158:159]
	v_fmac_f64_e32 v[154:155], v[24:25], v[8:9]
	v_fma_f64 v[8:9], v[22:23], v[8:9], -v[10:11]
	s_wait_loadcnt_dscnt 0x0
	v_mul_f64_e32 v[26:27], v[4:5], v[14:15]
	v_mul_f64_e32 v[14:15], v[6:7], v[14:15]
	v_add_f64_e32 v[10:11], v[16:17], v[160:161]
	v_add_f64_e32 v[16:17], v[18:19], v[156:157]
	s_delay_alu instid0(VALU_DEP_4) | instskip(NEXT) | instid1(VALU_DEP_4)
	v_fmac_f64_e32 v[26:27], v[6:7], v[12:13]
	v_fma_f64 v[4:5], v[4:5], v[12:13], -v[14:15]
	s_delay_alu instid0(VALU_DEP_4) | instskip(NEXT) | instid1(VALU_DEP_4)
	v_add_f64_e32 v[6:7], v[10:11], v[8:9]
	v_add_f64_e32 v[8:9], v[16:17], v[154:155]
	s_delay_alu instid0(VALU_DEP_2) | instskip(NEXT) | instid1(VALU_DEP_2)
	v_add_f64_e32 v[4:5], v[6:7], v[4:5]
	v_add_f64_e32 v[6:7], v[8:9], v[26:27]
	s_delay_alu instid0(VALU_DEP_2) | instskip(NEXT) | instid1(VALU_DEP_2)
	v_add_f64_e64 v[4:5], v[182:183], -v[4:5]
	v_add_f64_e64 v[6:7], v[184:185], -v[6:7]
	scratch_store_b128 off, v[4:7], off offset:368
	s_wait_xcnt 0x0
	v_cmpx_lt_u32_e32 22, v1
	s_cbranch_execz .LBB62_359
; %bb.358:
	scratch_load_b128 v[6:9], off, s61
	v_dual_mov_b32 v3, v2 :: v_dual_mov_b32 v4, v2
	v_mov_b32_e32 v5, v2
	scratch_store_b128 off, v[2:5], off offset:352
	s_wait_loadcnt 0x0
	ds_store_b128 v20, v[6:9]
.LBB62_359:
	s_wait_xcnt 0x0
	s_or_b32 exec_lo, exec_lo, s2
	s_wait_storecnt_dscnt 0x0
	s_barrier_signal -1
	s_barrier_wait -1
	s_clause 0x9
	scratch_load_b128 v[4:7], off, off offset:368
	scratch_load_b128 v[8:11], off, off offset:384
	;; [unrolled: 1-line block ×10, first 2 shown]
	ds_load_b128 v[174:177], v2 offset:1376
	ds_load_b128 v[182:185], v2 offset:1392
	s_clause 0x2
	scratch_load_b128 v[178:181], off, off offset:528
	scratch_load_b128 v[186:189], off, off offset:352
	;; [unrolled: 1-line block ×3, first 2 shown]
	s_mov_b32 s2, exec_lo
	s_wait_loadcnt_dscnt 0xc01
	v_mul_f64_e32 v[26:27], v[176:177], v[6:7]
	v_mul_f64_e32 v[198:199], v[174:175], v[6:7]
	s_wait_loadcnt_dscnt 0xb00
	v_mul_f64_e32 v[200:201], v[182:183], v[10:11]
	v_mul_f64_e32 v[10:11], v[184:185], v[10:11]
	s_delay_alu instid0(VALU_DEP_4) | instskip(NEXT) | instid1(VALU_DEP_4)
	v_fma_f64 v[26:27], v[174:175], v[4:5], -v[26:27]
	v_fmac_f64_e32 v[198:199], v[176:177], v[4:5]
	ds_load_b128 v[4:7], v2 offset:1408
	ds_load_b128 v[174:177], v2 offset:1424
	scratch_load_b128 v[194:197], off, off offset:560
	v_fmac_f64_e32 v[200:201], v[184:185], v[8:9]
	v_fma_f64 v[182:183], v[182:183], v[8:9], -v[10:11]
	scratch_load_b128 v[8:11], off, off offset:576
	s_wait_loadcnt_dscnt 0xc01
	v_mul_f64_e32 v[202:203], v[4:5], v[14:15]
	v_mul_f64_e32 v[14:15], v[6:7], v[14:15]
	v_add_f64_e32 v[26:27], 0, v[26:27]
	v_add_f64_e32 v[184:185], 0, v[198:199]
	s_wait_loadcnt_dscnt 0xb00
	v_mul_f64_e32 v[198:199], v[174:175], v[18:19]
	v_mul_f64_e32 v[18:19], v[176:177], v[18:19]
	v_fmac_f64_e32 v[202:203], v[6:7], v[12:13]
	v_fma_f64 v[204:205], v[4:5], v[12:13], -v[14:15]
	ds_load_b128 v[4:7], v2 offset:1440
	ds_load_b128 v[12:15], v2 offset:1456
	v_add_f64_e32 v[26:27], v[26:27], v[182:183]
	v_add_f64_e32 v[200:201], v[184:185], v[200:201]
	scratch_load_b128 v[182:185], off, off offset:592
	v_fmac_f64_e32 v[198:199], v[176:177], v[16:17]
	v_fma_f64 v[174:175], v[174:175], v[16:17], -v[18:19]
	scratch_load_b128 v[16:19], off, off offset:608
	s_wait_loadcnt_dscnt 0xc01
	v_mul_f64_e32 v[206:207], v[4:5], v[24:25]
	v_mul_f64_e32 v[24:25], v[6:7], v[24:25]
	v_add_f64_e32 v[26:27], v[26:27], v[204:205]
	v_add_f64_e32 v[176:177], v[200:201], v[202:203]
	s_wait_loadcnt_dscnt 0xb00
	v_mul_f64_e32 v[200:201], v[12:13], v[156:157]
	v_mul_f64_e32 v[156:157], v[14:15], v[156:157]
	v_fmac_f64_e32 v[206:207], v[6:7], v[22:23]
	v_fma_f64 v[202:203], v[4:5], v[22:23], -v[24:25]
	ds_load_b128 v[4:7], v2 offset:1472
	ds_load_b128 v[22:25], v2 offset:1488
	s_wait_loadcnt_dscnt 0xa01
	v_mul_f64_e32 v[204:205], v[4:5], v[160:161]
	v_add_f64_e32 v[26:27], v[26:27], v[174:175]
	v_add_f64_e32 v[198:199], v[176:177], v[198:199]
	scratch_load_b128 v[174:177], off, off offset:624
	v_mul_f64_e32 v[160:161], v[6:7], v[160:161]
	v_fmac_f64_e32 v[200:201], v[14:15], v[154:155]
	v_fma_f64 v[154:155], v[12:13], v[154:155], -v[156:157]
	scratch_load_b128 v[12:15], off, off offset:640
	v_fmac_f64_e32 v[204:205], v[6:7], v[158:159]
	v_add_f64_e32 v[26:27], v[26:27], v[202:203]
	v_add_f64_e32 v[156:157], v[198:199], v[206:207]
	s_wait_loadcnt_dscnt 0xb00
	v_mul_f64_e32 v[198:199], v[22:23], v[164:165]
	v_mul_f64_e32 v[164:165], v[24:25], v[164:165]
	v_fma_f64 v[202:203], v[4:5], v[158:159], -v[160:161]
	v_add_f64_e32 v[26:27], v[26:27], v[154:155]
	v_add_f64_e32 v[200:201], v[156:157], v[200:201]
	ds_load_b128 v[4:7], v2 offset:1504
	ds_load_b128 v[154:157], v2 offset:1520
	scratch_load_b128 v[158:161], off, off offset:656
	v_fmac_f64_e32 v[198:199], v[24:25], v[162:163]
	v_fma_f64 v[162:163], v[22:23], v[162:163], -v[164:165]
	scratch_load_b128 v[22:25], off, off offset:672
	s_wait_loadcnt_dscnt 0xc01
	v_mul_f64_e32 v[206:207], v[4:5], v[168:169]
	v_mul_f64_e32 v[168:169], v[6:7], v[168:169]
	v_add_f64_e32 v[26:27], v[26:27], v[202:203]
	v_add_f64_e32 v[164:165], v[200:201], v[204:205]
	s_wait_loadcnt_dscnt 0xb00
	v_mul_f64_e32 v[200:201], v[154:155], v[172:173]
	v_mul_f64_e32 v[172:173], v[156:157], v[172:173]
	v_fmac_f64_e32 v[206:207], v[6:7], v[166:167]
	v_fma_f64 v[202:203], v[4:5], v[166:167], -v[168:169]
	v_add_f64_e32 v[26:27], v[26:27], v[162:163]
	v_add_f64_e32 v[198:199], v[164:165], v[198:199]
	ds_load_b128 v[4:7], v2 offset:1536
	ds_load_b128 v[162:165], v2 offset:1552
	scratch_load_b128 v[166:169], off, off offset:688
	v_fmac_f64_e32 v[200:201], v[156:157], v[170:171]
	v_fma_f64 v[170:171], v[154:155], v[170:171], -v[172:173]
	scratch_load_b128 v[154:157], off, off offset:704
	s_wait_loadcnt_dscnt 0xc01
	v_mul_f64_e32 v[204:205], v[4:5], v[180:181]
	v_mul_f64_e32 v[180:181], v[6:7], v[180:181]
	v_add_f64_e32 v[26:27], v[26:27], v[202:203]
	v_add_f64_e32 v[172:173], v[198:199], v[206:207]
	s_wait_loadcnt_dscnt 0xa00
	v_mul_f64_e32 v[198:199], v[162:163], v[192:193]
	v_mul_f64_e32 v[192:193], v[164:165], v[192:193]
	v_fmac_f64_e32 v[204:205], v[6:7], v[178:179]
	v_fma_f64 v[202:203], v[4:5], v[178:179], -v[180:181]
	v_add_f64_e32 v[26:27], v[26:27], v[170:171]
	v_add_f64_e32 v[200:201], v[172:173], v[200:201]
	ds_load_b128 v[4:7], v2 offset:1568
	ds_load_b128 v[170:173], v2 offset:1584
	scratch_load_b128 v[178:181], off, off offset:720
	v_fmac_f64_e32 v[198:199], v[164:165], v[190:191]
	v_fma_f64 v[190:191], v[162:163], v[190:191], -v[192:193]
	scratch_load_b128 v[162:165], off, off offset:736
	s_wait_loadcnt_dscnt 0xb01
	v_mul_f64_e32 v[206:207], v[4:5], v[196:197]
	v_mul_f64_e32 v[196:197], v[6:7], v[196:197]
	v_add_f64_e32 v[26:27], v[26:27], v[202:203]
	v_add_f64_e32 v[192:193], v[200:201], v[204:205]
	s_wait_loadcnt_dscnt 0xa00
	v_mul_f64_e32 v[200:201], v[170:171], v[10:11]
	v_mul_f64_e32 v[10:11], v[172:173], v[10:11]
	v_fmac_f64_e32 v[206:207], v[6:7], v[194:195]
	v_fma_f64 v[202:203], v[4:5], v[194:195], -v[196:197]
	v_add_f64_e32 v[26:27], v[26:27], v[190:191]
	v_add_f64_e32 v[198:199], v[192:193], v[198:199]
	ds_load_b128 v[4:7], v2 offset:1600
	ds_load_b128 v[190:193], v2 offset:1616
	scratch_load_b128 v[194:197], off, off offset:752
	v_fmac_f64_e32 v[200:201], v[172:173], v[8:9]
	v_fma_f64 v[170:171], v[170:171], v[8:9], -v[10:11]
	scratch_load_b128 v[8:11], off, off offset:768
	s_wait_loadcnt_dscnt 0xb01
	v_mul_f64_e32 v[204:205], v[4:5], v[184:185]
	v_mul_f64_e32 v[184:185], v[6:7], v[184:185]
	v_add_f64_e32 v[26:27], v[26:27], v[202:203]
	v_add_f64_e32 v[172:173], v[198:199], v[206:207]
	s_wait_loadcnt_dscnt 0xa00
	v_mul_f64_e32 v[198:199], v[190:191], v[18:19]
	v_mul_f64_e32 v[18:19], v[192:193], v[18:19]
	v_fmac_f64_e32 v[204:205], v[6:7], v[182:183]
	v_fma_f64 v[202:203], v[4:5], v[182:183], -v[184:185]
	v_add_f64_e32 v[26:27], v[26:27], v[170:171]
	v_add_f64_e32 v[200:201], v[172:173], v[200:201]
	ds_load_b128 v[4:7], v2 offset:1632
	ds_load_b128 v[170:173], v2 offset:1648
	scratch_load_b128 v[182:185], off, off offset:784
	v_fmac_f64_e32 v[198:199], v[192:193], v[16:17]
	v_fma_f64 v[190:191], v[190:191], v[16:17], -v[18:19]
	scratch_load_b128 v[16:19], off, off offset:800
	s_wait_loadcnt_dscnt 0xb01
	v_mul_f64_e32 v[206:207], v[4:5], v[176:177]
	v_mul_f64_e32 v[176:177], v[6:7], v[176:177]
	v_add_f64_e32 v[26:27], v[26:27], v[202:203]
	v_add_f64_e32 v[192:193], v[200:201], v[204:205]
	s_wait_loadcnt_dscnt 0xa00
	v_mul_f64_e32 v[200:201], v[170:171], v[14:15]
	v_mul_f64_e32 v[14:15], v[172:173], v[14:15]
	v_fmac_f64_e32 v[206:207], v[6:7], v[174:175]
	v_fma_f64 v[202:203], v[4:5], v[174:175], -v[176:177]
	ds_load_b128 v[4:7], v2 offset:1664
	ds_load_b128 v[174:177], v2 offset:1680
	v_add_f64_e32 v[26:27], v[26:27], v[190:191]
	v_add_f64_e32 v[198:199], v[192:193], v[198:199]
	scratch_load_b128 v[190:193], off, off offset:816
	v_fmac_f64_e32 v[200:201], v[172:173], v[12:13]
	v_fma_f64 v[170:171], v[170:171], v[12:13], -v[14:15]
	scratch_load_b128 v[12:15], off, off offset:832
	s_wait_loadcnt_dscnt 0xb01
	v_mul_f64_e32 v[204:205], v[4:5], v[160:161]
	v_mul_f64_e32 v[160:161], v[6:7], v[160:161]
	v_add_f64_e32 v[26:27], v[26:27], v[202:203]
	v_add_f64_e32 v[172:173], v[198:199], v[206:207]
	s_wait_loadcnt_dscnt 0xa00
	v_mul_f64_e32 v[198:199], v[174:175], v[24:25]
	v_mul_f64_e32 v[202:203], v[176:177], v[24:25]
	v_fmac_f64_e32 v[204:205], v[6:7], v[158:159]
	v_fma_f64 v[206:207], v[4:5], v[158:159], -v[160:161]
	v_add_f64_e32 v[170:171], v[26:27], v[170:171]
	v_add_f64_e32 v[172:173], v[172:173], v[200:201]
	ds_load_b128 v[4:7], v2 offset:1696
	ds_load_b128 v[24:27], v2 offset:1712
	scratch_load_b128 v[158:161], off, off offset:848
	v_fmac_f64_e32 v[198:199], v[176:177], v[22:23]
	v_fma_f64 v[22:23], v[174:175], v[22:23], -v[202:203]
	s_wait_loadcnt_dscnt 0xa01
	v_mul_f64_e32 v[208:209], v[4:5], v[168:169]
	v_mul_f64_e32 v[200:201], v[6:7], v[168:169]
	s_wait_loadcnt_dscnt 0x900
	v_mul_f64_e32 v[176:177], v[24:25], v[156:157]
	v_mul_f64_e32 v[156:157], v[26:27], v[156:157]
	v_add_f64_e32 v[174:175], v[170:171], v[206:207]
	v_add_f64_e32 v[172:173], v[172:173], v[204:205]
	scratch_load_b128 v[168:171], off, off offset:864
	v_fmac_f64_e32 v[208:209], v[6:7], v[166:167]
	v_fma_f64 v[166:167], v[4:5], v[166:167], -v[200:201]
	v_fmac_f64_e32 v[176:177], v[26:27], v[154:155]
	v_fma_f64 v[26:27], v[24:25], v[154:155], -v[156:157]
	v_add_f64_e32 v[22:23], v[174:175], v[22:23]
	v_add_f64_e32 v[202:203], v[172:173], v[198:199]
	ds_load_b128 v[4:7], v2 offset:1728
	ds_load_b128 v[172:175], v2 offset:1744
	scratch_load_b128 v[198:201], off, off offset:880
	s_wait_loadcnt_dscnt 0xa01
	v_mul_f64_e32 v[204:205], v[4:5], v[180:181]
	v_mul_f64_e32 v[180:181], v[6:7], v[180:181]
	s_wait_loadcnt_dscnt 0x900
	v_mul_f64_e32 v[206:207], v[174:175], v[164:165]
	v_add_f64_e32 v[154:155], v[22:23], v[166:167]
	v_add_f64_e32 v[156:157], v[202:203], v[208:209]
	scratch_load_b128 v[22:25], off, off offset:896
	v_mul_f64_e32 v[202:203], v[172:173], v[164:165]
	v_fmac_f64_e32 v[204:205], v[6:7], v[178:179]
	v_fma_f64 v[178:179], v[4:5], v[178:179], -v[180:181]
	v_add_f64_e32 v[26:27], v[154:155], v[26:27]
	v_add_f64_e32 v[176:177], v[156:157], v[176:177]
	ds_load_b128 v[4:7], v2 offset:1760
	ds_load_b128 v[154:157], v2 offset:1776
	scratch_load_b128 v[164:167], off, off offset:912
	v_fmac_f64_e32 v[202:203], v[174:175], v[162:163]
	v_fma_f64 v[162:163], v[172:173], v[162:163], -v[206:207]
	scratch_load_b128 v[172:175], off, off offset:928
	s_wait_loadcnt_dscnt 0xb01
	v_mul_f64_e32 v[180:181], v[4:5], v[196:197]
	v_mul_f64_e32 v[196:197], v[6:7], v[196:197]
	v_add_f64_e32 v[26:27], v[26:27], v[178:179]
	v_add_f64_e32 v[176:177], v[176:177], v[204:205]
	s_wait_loadcnt_dscnt 0xa00
	v_mul_f64_e32 v[204:205], v[154:155], v[10:11]
	v_mul_f64_e32 v[10:11], v[156:157], v[10:11]
	v_fmac_f64_e32 v[180:181], v[6:7], v[194:195]
	v_fma_f64 v[206:207], v[4:5], v[194:195], -v[196:197]
	v_add_f64_e32 v[26:27], v[26:27], v[162:163]
	v_add_f64_e32 v[162:163], v[176:177], v[202:203]
	ds_load_b128 v[4:7], v2 offset:1792
	ds_load_b128 v[176:179], v2 offset:1808
	scratch_load_b128 v[194:197], off, off offset:944
	v_fmac_f64_e32 v[204:205], v[156:157], v[8:9]
	v_fma_f64 v[154:155], v[154:155], v[8:9], -v[10:11]
	scratch_load_b128 v[8:11], off, off offset:960
	s_wait_loadcnt_dscnt 0xb01
	v_mul_f64_e32 v[202:203], v[4:5], v[184:185]
	v_mul_f64_e32 v[184:185], v[6:7], v[184:185]
	v_add_f64_e32 v[26:27], v[26:27], v[206:207]
	v_add_f64_e32 v[156:157], v[162:163], v[180:181]
	s_wait_loadcnt_dscnt 0xa00
	v_mul_f64_e32 v[162:163], v[176:177], v[18:19]
	;; [unrolled: 18-line block ×3, first 2 shown]
	v_mul_f64_e32 v[14:15], v[156:157], v[14:15]
	v_fmac_f64_e32 v[206:207], v[6:7], v[190:191]
	v_fma_f64 v[190:191], v[4:5], v[190:191], -v[192:193]
	v_add_f64_e32 v[26:27], v[26:27], v[176:177]
	v_add_f64_e32 v[162:163], v[178:179], v[162:163]
	ds_load_b128 v[4:7], v2 offset:1856
	ds_load_b128 v[176:179], v2 offset:1872
	v_fmac_f64_e32 v[184:185], v[156:157], v[12:13]
	v_fma_f64 v[12:13], v[154:155], v[12:13], -v[14:15]
	s_wait_loadcnt_dscnt 0x901
	v_mul_f64_e32 v[192:193], v[4:5], v[160:161]
	v_mul_f64_e32 v[160:161], v[6:7], v[160:161]
	v_add_f64_e32 v[14:15], v[26:27], v[190:191]
	v_add_f64_e32 v[26:27], v[162:163], v[206:207]
	s_wait_loadcnt_dscnt 0x800
	v_mul_f64_e32 v[154:155], v[176:177], v[170:171]
	v_mul_f64_e32 v[156:157], v[178:179], v[170:171]
	v_fmac_f64_e32 v[192:193], v[6:7], v[158:159]
	v_fma_f64 v[158:159], v[4:5], v[158:159], -v[160:161]
	v_add_f64_e32 v[160:161], v[14:15], v[12:13]
	v_add_f64_e32 v[26:27], v[26:27], v[184:185]
	ds_load_b128 v[4:7], v2 offset:1888
	ds_load_b128 v[12:15], v2 offset:1904
	v_fmac_f64_e32 v[154:155], v[178:179], v[168:169]
	v_fma_f64 v[156:157], v[176:177], v[168:169], -v[156:157]
	s_wait_loadcnt_dscnt 0x701
	v_mul_f64_e32 v[162:163], v[4:5], v[200:201]
	v_mul_f64_e32 v[170:171], v[6:7], v[200:201]
	v_add_f64_e32 v[158:159], v[160:161], v[158:159]
	v_add_f64_e32 v[26:27], v[26:27], v[192:193]
	s_wait_loadcnt_dscnt 0x600
	v_mul_f64_e32 v[160:161], v[12:13], v[24:25]
	;; [unrolled: 16-line block ×3, first 2 shown]
	v_mul_f64_e32 v[156:157], v[26:27], v[174:175]
	v_fmac_f64_e32 v[158:159], v[6:7], v[164:165]
	v_fma_f64 v[162:163], v[4:5], v[164:165], -v[166:167]
	v_add_f64_e32 v[164:165], v[14:15], v[12:13]
	v_add_f64_e32 v[22:23], v[22:23], v[160:161]
	ds_load_b128 v[4:7], v2 offset:1952
	ds_load_b128 v[12:15], v2 offset:1968
	v_fmac_f64_e32 v[154:155], v[26:27], v[172:173]
	v_fma_f64 v[24:25], v[24:25], v[172:173], -v[156:157]
	s_wait_loadcnt_dscnt 0x301
	v_mul_f64_e32 v[160:161], v[4:5], v[196:197]
	v_mul_f64_e32 v[166:167], v[6:7], v[196:197]
	s_wait_loadcnt_dscnt 0x200
	v_mul_f64_e32 v[156:157], v[12:13], v[10:11]
	v_mul_f64_e32 v[10:11], v[14:15], v[10:11]
	v_add_f64_e32 v[26:27], v[164:165], v[162:163]
	v_add_f64_e32 v[22:23], v[22:23], v[158:159]
	v_fmac_f64_e32 v[160:161], v[6:7], v[194:195]
	v_fma_f64 v[158:159], v[4:5], v[194:195], -v[166:167]
	v_fmac_f64_e32 v[156:157], v[14:15], v[8:9]
	v_fma_f64 v[8:9], v[12:13], v[8:9], -v[10:11]
	v_add_f64_e32 v[26:27], v[26:27], v[24:25]
	v_add_f64_e32 v[154:155], v[22:23], v[154:155]
	ds_load_b128 v[4:7], v2 offset:1984
	ds_load_b128 v[22:25], v2 offset:2000
	s_wait_loadcnt_dscnt 0x101
	v_mul_f64_e32 v[2:3], v[4:5], v[182:183]
	v_mul_f64_e32 v[162:163], v[6:7], v[182:183]
	s_wait_loadcnt_dscnt 0x0
	v_mul_f64_e32 v[14:15], v[22:23], v[18:19]
	v_mul_f64_e32 v[18:19], v[24:25], v[18:19]
	v_add_f64_e32 v[10:11], v[26:27], v[158:159]
	v_add_f64_e32 v[12:13], v[154:155], v[160:161]
	v_fmac_f64_e32 v[2:3], v[6:7], v[180:181]
	v_fma_f64 v[4:5], v[4:5], v[180:181], -v[162:163]
	v_fmac_f64_e32 v[14:15], v[24:25], v[16:17]
	v_add_f64_e32 v[6:7], v[10:11], v[8:9]
	v_add_f64_e32 v[8:9], v[12:13], v[156:157]
	v_fma_f64 v[10:11], v[22:23], v[16:17], -v[18:19]
	s_delay_alu instid0(VALU_DEP_3) | instskip(NEXT) | instid1(VALU_DEP_3)
	v_add_f64_e32 v[4:5], v[6:7], v[4:5]
	v_add_f64_e32 v[2:3], v[8:9], v[2:3]
	s_delay_alu instid0(VALU_DEP_2) | instskip(NEXT) | instid1(VALU_DEP_2)
	v_add_f64_e32 v[4:5], v[4:5], v[10:11]
	v_add_f64_e32 v[6:7], v[2:3], v[14:15]
	s_delay_alu instid0(VALU_DEP_2) | instskip(NEXT) | instid1(VALU_DEP_2)
	v_add_f64_e64 v[2:3], v[186:187], -v[4:5]
	v_add_f64_e64 v[4:5], v[188:189], -v[6:7]
	scratch_store_b128 off, v[2:5], off offset:352
	s_wait_xcnt 0x0
	v_cmpx_lt_u32_e32 21, v1
	s_cbranch_execz .LBB62_361
; %bb.360:
	scratch_load_b128 v[2:5], off, s58
	v_mov_b32_e32 v6, 0
	s_delay_alu instid0(VALU_DEP_1)
	v_dual_mov_b32 v7, v6 :: v_dual_mov_b32 v8, v6
	v_mov_b32_e32 v9, v6
	scratch_store_b128 off, v[6:9], off offset:336
	s_wait_loadcnt 0x0
	ds_store_b128 v20, v[2:5]
.LBB62_361:
	s_wait_xcnt 0x0
	s_or_b32 exec_lo, exec_lo, s2
	s_wait_storecnt_dscnt 0x0
	s_barrier_signal -1
	s_barrier_wait -1
	s_clause 0x9
	scratch_load_b128 v[4:7], off, off offset:352
	scratch_load_b128 v[8:11], off, off offset:368
	;; [unrolled: 1-line block ×10, first 2 shown]
	v_mov_b32_e32 v2, 0
	s_mov_b32 s2, exec_lo
	ds_load_b128 v[174:177], v2 offset:1360
	s_clause 0x2
	scratch_load_b128 v[178:181], off, off offset:512
	scratch_load_b128 v[182:185], off, off offset:336
	;; [unrolled: 1-line block ×3, first 2 shown]
	s_wait_loadcnt_dscnt 0xc00
	v_mul_f64_e32 v[26:27], v[176:177], v[6:7]
	v_mul_f64_e32 v[198:199], v[174:175], v[6:7]
	ds_load_b128 v[186:189], v2 offset:1376
	ds_load_b128 v[194:197], v2 offset:1408
	v_fma_f64 v[26:27], v[174:175], v[4:5], -v[26:27]
	v_fmac_f64_e32 v[198:199], v[176:177], v[4:5]
	ds_load_b128 v[4:7], v2 offset:1392
	s_wait_loadcnt_dscnt 0xb02
	v_mul_f64_e32 v[200:201], v[186:187], v[10:11]
	v_mul_f64_e32 v[10:11], v[188:189], v[10:11]
	scratch_load_b128 v[174:177], off, off offset:544
	s_wait_loadcnt_dscnt 0xb00
	v_mul_f64_e32 v[202:203], v[4:5], v[14:15]
	v_mul_f64_e32 v[14:15], v[6:7], v[14:15]
	v_add_f64_e32 v[26:27], 0, v[26:27]
	v_fmac_f64_e32 v[200:201], v[188:189], v[8:9]
	v_fma_f64 v[186:187], v[186:187], v[8:9], -v[10:11]
	v_add_f64_e32 v[188:189], 0, v[198:199]
	scratch_load_b128 v[8:11], off, off offset:560
	v_fmac_f64_e32 v[202:203], v[6:7], v[12:13]
	v_fma_f64 v[204:205], v[4:5], v[12:13], -v[14:15]
	ds_load_b128 v[4:7], v2 offset:1424
	s_wait_loadcnt 0xb
	v_mul_f64_e32 v[198:199], v[194:195], v[18:19]
	v_mul_f64_e32 v[18:19], v[196:197], v[18:19]
	scratch_load_b128 v[12:15], off, off offset:576
	v_add_f64_e32 v[26:27], v[26:27], v[186:187]
	v_add_f64_e32 v[200:201], v[188:189], v[200:201]
	ds_load_b128 v[186:189], v2 offset:1440
	s_wait_loadcnt_dscnt 0xb01
	v_mul_f64_e32 v[206:207], v[4:5], v[24:25]
	v_mul_f64_e32 v[24:25], v[6:7], v[24:25]
	v_fmac_f64_e32 v[198:199], v[196:197], v[16:17]
	v_fma_f64 v[194:195], v[194:195], v[16:17], -v[18:19]
	scratch_load_b128 v[16:19], off, off offset:592
	v_add_f64_e32 v[26:27], v[26:27], v[204:205]
	v_add_f64_e32 v[196:197], v[200:201], v[202:203]
	v_fmac_f64_e32 v[206:207], v[6:7], v[22:23]
	v_fma_f64 v[202:203], v[4:5], v[22:23], -v[24:25]
	ds_load_b128 v[4:7], v2 offset:1456
	s_wait_loadcnt_dscnt 0xb01
	v_mul_f64_e32 v[200:201], v[186:187], v[156:157]
	v_mul_f64_e32 v[156:157], v[188:189], v[156:157]
	scratch_load_b128 v[22:25], off, off offset:608
	s_wait_loadcnt_dscnt 0xb00
	v_mul_f64_e32 v[204:205], v[4:5], v[160:161]
	v_mul_f64_e32 v[160:161], v[6:7], v[160:161]
	v_add_f64_e32 v[26:27], v[26:27], v[194:195]
	v_add_f64_e32 v[198:199], v[196:197], v[198:199]
	ds_load_b128 v[194:197], v2 offset:1472
	v_fmac_f64_e32 v[200:201], v[188:189], v[154:155]
	v_fma_f64 v[186:187], v[186:187], v[154:155], -v[156:157]
	scratch_load_b128 v[154:157], off, off offset:624
	v_fmac_f64_e32 v[204:205], v[6:7], v[158:159]
	v_add_f64_e32 v[26:27], v[26:27], v[202:203]
	v_add_f64_e32 v[188:189], v[198:199], v[206:207]
	v_fma_f64 v[202:203], v[4:5], v[158:159], -v[160:161]
	ds_load_b128 v[4:7], v2 offset:1488
	s_wait_loadcnt_dscnt 0xb01
	v_mul_f64_e32 v[198:199], v[194:195], v[164:165]
	v_mul_f64_e32 v[164:165], v[196:197], v[164:165]
	scratch_load_b128 v[158:161], off, off offset:640
	s_wait_loadcnt_dscnt 0xb00
	v_mul_f64_e32 v[206:207], v[4:5], v[168:169]
	v_mul_f64_e32 v[168:169], v[6:7], v[168:169]
	v_add_f64_e32 v[26:27], v[26:27], v[186:187]
	v_add_f64_e32 v[200:201], v[188:189], v[200:201]
	ds_load_b128 v[186:189], v2 offset:1504
	v_fmac_f64_e32 v[198:199], v[196:197], v[162:163]
	v_fma_f64 v[194:195], v[194:195], v[162:163], -v[164:165]
	scratch_load_b128 v[162:165], off, off offset:656
	v_fmac_f64_e32 v[206:207], v[6:7], v[166:167]
	v_add_f64_e32 v[26:27], v[26:27], v[202:203]
	v_add_f64_e32 v[196:197], v[200:201], v[204:205]
	;; [unrolled: 18-line block ×3, first 2 shown]
	v_fma_f64 v[202:203], v[4:5], v[178:179], -v[180:181]
	ds_load_b128 v[4:7], v2 offset:1552
	s_wait_loadcnt_dscnt 0xa01
	v_mul_f64_e32 v[198:199], v[194:195], v[192:193]
	v_mul_f64_e32 v[192:193], v[196:197], v[192:193]
	scratch_load_b128 v[178:181], off, off offset:704
	v_add_f64_e32 v[26:27], v[26:27], v[186:187]
	v_add_f64_e32 v[200:201], v[188:189], v[200:201]
	s_wait_loadcnt_dscnt 0xa00
	v_mul_f64_e32 v[206:207], v[4:5], v[176:177]
	v_mul_f64_e32 v[176:177], v[6:7], v[176:177]
	v_fmac_f64_e32 v[198:199], v[196:197], v[190:191]
	v_fma_f64 v[194:195], v[194:195], v[190:191], -v[192:193]
	ds_load_b128 v[186:189], v2 offset:1568
	scratch_load_b128 v[190:193], off, off offset:720
	v_add_f64_e32 v[26:27], v[26:27], v[202:203]
	v_add_f64_e32 v[196:197], v[200:201], v[204:205]
	v_fmac_f64_e32 v[206:207], v[6:7], v[174:175]
	v_fma_f64 v[202:203], v[4:5], v[174:175], -v[176:177]
	ds_load_b128 v[4:7], v2 offset:1584
	s_wait_loadcnt_dscnt 0xa01
	v_mul_f64_e32 v[200:201], v[186:187], v[10:11]
	v_mul_f64_e32 v[10:11], v[188:189], v[10:11]
	scratch_load_b128 v[174:177], off, off offset:736
	s_wait_loadcnt_dscnt 0xa00
	v_mul_f64_e32 v[204:205], v[4:5], v[14:15]
	v_mul_f64_e32 v[14:15], v[6:7], v[14:15]
	v_add_f64_e32 v[26:27], v[26:27], v[194:195]
	v_add_f64_e32 v[198:199], v[196:197], v[198:199]
	ds_load_b128 v[194:197], v2 offset:1600
	v_fmac_f64_e32 v[200:201], v[188:189], v[8:9]
	v_fma_f64 v[186:187], v[186:187], v[8:9], -v[10:11]
	scratch_load_b128 v[8:11], off, off offset:752
	v_fmac_f64_e32 v[204:205], v[6:7], v[12:13]
	v_add_f64_e32 v[26:27], v[26:27], v[202:203]
	v_add_f64_e32 v[188:189], v[198:199], v[206:207]
	v_fma_f64 v[202:203], v[4:5], v[12:13], -v[14:15]
	ds_load_b128 v[4:7], v2 offset:1616
	s_wait_loadcnt_dscnt 0xa01
	v_mul_f64_e32 v[198:199], v[194:195], v[18:19]
	v_mul_f64_e32 v[18:19], v[196:197], v[18:19]
	scratch_load_b128 v[12:15], off, off offset:768
	s_wait_loadcnt_dscnt 0xa00
	v_mul_f64_e32 v[206:207], v[4:5], v[24:25]
	v_mul_f64_e32 v[24:25], v[6:7], v[24:25]
	v_add_f64_e32 v[26:27], v[26:27], v[186:187]
	v_add_f64_e32 v[200:201], v[188:189], v[200:201]
	ds_load_b128 v[186:189], v2 offset:1632
	v_fmac_f64_e32 v[198:199], v[196:197], v[16:17]
	v_fma_f64 v[194:195], v[194:195], v[16:17], -v[18:19]
	scratch_load_b128 v[16:19], off, off offset:784
	v_fmac_f64_e32 v[206:207], v[6:7], v[22:23]
	v_add_f64_e32 v[26:27], v[26:27], v[202:203]
	v_add_f64_e32 v[196:197], v[200:201], v[204:205]
	;; [unrolled: 18-line block ×8, first 2 shown]
	v_fma_f64 v[202:203], v[4:5], v[22:23], -v[24:25]
	ds_load_b128 v[4:7], v2 offset:1840
	s_wait_loadcnt_dscnt 0xa01
	v_mul_f64_e32 v[200:201], v[186:187], v[156:157]
	v_mul_f64_e32 v[156:157], v[188:189], v[156:157]
	scratch_load_b128 v[22:25], off, off offset:992
	s_wait_loadcnt_dscnt 0xa00
	v_mul_f64_e32 v[204:205], v[4:5], v[160:161]
	v_mul_f64_e32 v[160:161], v[6:7], v[160:161]
	v_add_f64_e32 v[26:27], v[26:27], v[194:195]
	v_add_f64_e32 v[198:199], v[196:197], v[198:199]
	ds_load_b128 v[194:197], v2 offset:1856
	v_fmac_f64_e32 v[200:201], v[188:189], v[154:155]
	v_fma_f64 v[154:155], v[186:187], v[154:155], -v[156:157]
	s_wait_loadcnt_dscnt 0x900
	v_mul_f64_e32 v[186:187], v[194:195], v[164:165]
	v_mul_f64_e32 v[164:165], v[196:197], v[164:165]
	v_fmac_f64_e32 v[204:205], v[6:7], v[158:159]
	v_fma_f64 v[158:159], v[4:5], v[158:159], -v[160:161]
	v_add_f64_e32 v[26:27], v[26:27], v[202:203]
	v_add_f64_e32 v[156:157], v[198:199], v[206:207]
	v_fmac_f64_e32 v[186:187], v[196:197], v[162:163]
	v_fma_f64 v[162:163], v[194:195], v[162:163], -v[164:165]
	s_delay_alu instid0(VALU_DEP_4) | instskip(NEXT) | instid1(VALU_DEP_4)
	v_add_f64_e32 v[26:27], v[26:27], v[154:155]
	v_add_f64_e32 v[160:161], v[156:157], v[200:201]
	ds_load_b128 v[4:7], v2 offset:1872
	ds_load_b128 v[154:157], v2 offset:1888
	s_wait_loadcnt_dscnt 0x801
	v_mul_f64_e32 v[188:189], v[4:5], v[168:169]
	v_mul_f64_e32 v[168:169], v[6:7], v[168:169]
	s_wait_loadcnt_dscnt 0x700
	v_mul_f64_e32 v[164:165], v[154:155], v[172:173]
	v_mul_f64_e32 v[172:173], v[156:157], v[172:173]
	v_add_f64_e32 v[26:27], v[26:27], v[158:159]
	v_add_f64_e32 v[158:159], v[160:161], v[204:205]
	v_fmac_f64_e32 v[188:189], v[6:7], v[166:167]
	v_fma_f64 v[166:167], v[4:5], v[166:167], -v[168:169]
	v_fmac_f64_e32 v[164:165], v[156:157], v[170:171]
	v_fma_f64 v[154:155], v[154:155], v[170:171], -v[172:173]
	v_add_f64_e32 v[26:27], v[26:27], v[162:163]
	v_add_f64_e32 v[162:163], v[158:159], v[186:187]
	ds_load_b128 v[4:7], v2 offset:1904
	ds_load_b128 v[158:161], v2 offset:1920
	s_wait_loadcnt_dscnt 0x601
	v_mul_f64_e32 v[168:169], v[4:5], v[180:181]
	v_mul_f64_e32 v[180:181], v[6:7], v[180:181]
	v_add_f64_e32 v[26:27], v[26:27], v[166:167]
	v_add_f64_e32 v[156:157], v[162:163], v[188:189]
	s_wait_loadcnt_dscnt 0x500
	v_mul_f64_e32 v[162:163], v[158:159], v[192:193]
	v_mul_f64_e32 v[166:167], v[160:161], v[192:193]
	v_fmac_f64_e32 v[168:169], v[6:7], v[178:179]
	v_fma_f64 v[170:171], v[4:5], v[178:179], -v[180:181]
	v_add_f64_e32 v[26:27], v[26:27], v[154:155]
	v_add_f64_e32 v[164:165], v[156:157], v[164:165]
	ds_load_b128 v[4:7], v2 offset:1936
	ds_load_b128 v[154:157], v2 offset:1952
	v_fmac_f64_e32 v[162:163], v[160:161], v[190:191]
	v_fma_f64 v[158:159], v[158:159], v[190:191], -v[166:167]
	s_wait_loadcnt_dscnt 0x401
	v_mul_f64_e32 v[172:173], v[4:5], v[176:177]
	v_mul_f64_e32 v[176:177], v[6:7], v[176:177]
	v_add_f64_e32 v[26:27], v[26:27], v[170:171]
	v_add_f64_e32 v[160:161], v[164:165], v[168:169]
	s_wait_loadcnt_dscnt 0x300
	v_mul_f64_e32 v[164:165], v[154:155], v[10:11]
	v_mul_f64_e32 v[10:11], v[156:157], v[10:11]
	v_fmac_f64_e32 v[172:173], v[6:7], v[174:175]
	v_fma_f64 v[166:167], v[4:5], v[174:175], -v[176:177]
	v_add_f64_e32 v[26:27], v[26:27], v[158:159]
	v_add_f64_e32 v[162:163], v[160:161], v[162:163]
	ds_load_b128 v[4:7], v2 offset:1968
	ds_load_b128 v[158:161], v2 offset:1984
	v_fmac_f64_e32 v[164:165], v[156:157], v[8:9]
	v_fma_f64 v[8:9], v[154:155], v[8:9], -v[10:11]
	s_wait_loadcnt_dscnt 0x201
	v_mul_f64_e32 v[168:169], v[4:5], v[14:15]
	v_mul_f64_e32 v[14:15], v[6:7], v[14:15]
	s_wait_loadcnt_dscnt 0x100
	v_mul_f64_e32 v[154:155], v[158:159], v[18:19]
	v_mul_f64_e32 v[18:19], v[160:161], v[18:19]
	v_add_f64_e32 v[10:11], v[26:27], v[166:167]
	v_add_f64_e32 v[26:27], v[162:163], v[172:173]
	v_fmac_f64_e32 v[168:169], v[6:7], v[12:13]
	v_fma_f64 v[12:13], v[4:5], v[12:13], -v[14:15]
	ds_load_b128 v[4:7], v2 offset:2000
	v_fmac_f64_e32 v[154:155], v[160:161], v[16:17]
	v_fma_f64 v[16:17], v[158:159], v[16:17], -v[18:19]
	v_add_f64_e32 v[8:9], v[10:11], v[8:9]
	v_add_f64_e32 v[10:11], v[26:27], v[164:165]
	s_wait_loadcnt_dscnt 0x0
	v_mul_f64_e32 v[14:15], v[4:5], v[24:25]
	v_mul_f64_e32 v[24:25], v[6:7], v[24:25]
	s_delay_alu instid0(VALU_DEP_4) | instskip(NEXT) | instid1(VALU_DEP_4)
	v_add_f64_e32 v[8:9], v[8:9], v[12:13]
	v_add_f64_e32 v[10:11], v[10:11], v[168:169]
	s_delay_alu instid0(VALU_DEP_4) | instskip(NEXT) | instid1(VALU_DEP_4)
	v_fmac_f64_e32 v[14:15], v[6:7], v[22:23]
	v_fma_f64 v[4:5], v[4:5], v[22:23], -v[24:25]
	s_delay_alu instid0(VALU_DEP_4) | instskip(NEXT) | instid1(VALU_DEP_4)
	v_add_f64_e32 v[6:7], v[8:9], v[16:17]
	v_add_f64_e32 v[8:9], v[10:11], v[154:155]
	s_delay_alu instid0(VALU_DEP_2) | instskip(NEXT) | instid1(VALU_DEP_2)
	v_add_f64_e32 v[4:5], v[6:7], v[4:5]
	v_add_f64_e32 v[6:7], v[8:9], v[14:15]
	s_delay_alu instid0(VALU_DEP_2) | instskip(NEXT) | instid1(VALU_DEP_2)
	v_add_f64_e64 v[4:5], v[182:183], -v[4:5]
	v_add_f64_e64 v[6:7], v[184:185], -v[6:7]
	scratch_store_b128 off, v[4:7], off offset:336
	s_wait_xcnt 0x0
	v_cmpx_lt_u32_e32 20, v1
	s_cbranch_execz .LBB62_363
; %bb.362:
	scratch_load_b128 v[6:9], off, s67
	v_dual_mov_b32 v3, v2 :: v_dual_mov_b32 v4, v2
	v_mov_b32_e32 v5, v2
	scratch_store_b128 off, v[2:5], off offset:320
	s_wait_loadcnt 0x0
	ds_store_b128 v20, v[6:9]
.LBB62_363:
	s_wait_xcnt 0x0
	s_or_b32 exec_lo, exec_lo, s2
	s_wait_storecnt_dscnt 0x0
	s_barrier_signal -1
	s_barrier_wait -1
	s_clause 0x9
	scratch_load_b128 v[4:7], off, off offset:336
	scratch_load_b128 v[8:11], off, off offset:352
	;; [unrolled: 1-line block ×10, first 2 shown]
	ds_load_b128 v[174:177], v2 offset:1344
	ds_load_b128 v[182:185], v2 offset:1360
	s_clause 0x2
	scratch_load_b128 v[178:181], off, off offset:496
	scratch_load_b128 v[186:189], off, off offset:320
	;; [unrolled: 1-line block ×3, first 2 shown]
	s_mov_b32 s2, exec_lo
	s_wait_loadcnt_dscnt 0xc01
	v_mul_f64_e32 v[26:27], v[176:177], v[6:7]
	v_mul_f64_e32 v[198:199], v[174:175], v[6:7]
	s_wait_loadcnt_dscnt 0xb00
	v_mul_f64_e32 v[200:201], v[182:183], v[10:11]
	v_mul_f64_e32 v[10:11], v[184:185], v[10:11]
	s_delay_alu instid0(VALU_DEP_4) | instskip(NEXT) | instid1(VALU_DEP_4)
	v_fma_f64 v[26:27], v[174:175], v[4:5], -v[26:27]
	v_fmac_f64_e32 v[198:199], v[176:177], v[4:5]
	ds_load_b128 v[4:7], v2 offset:1376
	ds_load_b128 v[174:177], v2 offset:1392
	scratch_load_b128 v[194:197], off, off offset:528
	v_fmac_f64_e32 v[200:201], v[184:185], v[8:9]
	v_fma_f64 v[182:183], v[182:183], v[8:9], -v[10:11]
	scratch_load_b128 v[8:11], off, off offset:544
	s_wait_loadcnt_dscnt 0xc01
	v_mul_f64_e32 v[202:203], v[4:5], v[14:15]
	v_mul_f64_e32 v[14:15], v[6:7], v[14:15]
	v_add_f64_e32 v[26:27], 0, v[26:27]
	v_add_f64_e32 v[184:185], 0, v[198:199]
	s_wait_loadcnt_dscnt 0xb00
	v_mul_f64_e32 v[198:199], v[174:175], v[18:19]
	v_mul_f64_e32 v[18:19], v[176:177], v[18:19]
	v_fmac_f64_e32 v[202:203], v[6:7], v[12:13]
	v_fma_f64 v[204:205], v[4:5], v[12:13], -v[14:15]
	ds_load_b128 v[4:7], v2 offset:1408
	ds_load_b128 v[12:15], v2 offset:1424
	v_add_f64_e32 v[26:27], v[26:27], v[182:183]
	v_add_f64_e32 v[200:201], v[184:185], v[200:201]
	scratch_load_b128 v[182:185], off, off offset:560
	v_fmac_f64_e32 v[198:199], v[176:177], v[16:17]
	v_fma_f64 v[174:175], v[174:175], v[16:17], -v[18:19]
	scratch_load_b128 v[16:19], off, off offset:576
	s_wait_loadcnt_dscnt 0xc01
	v_mul_f64_e32 v[206:207], v[4:5], v[24:25]
	v_mul_f64_e32 v[24:25], v[6:7], v[24:25]
	v_add_f64_e32 v[26:27], v[26:27], v[204:205]
	v_add_f64_e32 v[176:177], v[200:201], v[202:203]
	s_wait_loadcnt_dscnt 0xb00
	v_mul_f64_e32 v[200:201], v[12:13], v[156:157]
	v_mul_f64_e32 v[156:157], v[14:15], v[156:157]
	v_fmac_f64_e32 v[206:207], v[6:7], v[22:23]
	v_fma_f64 v[202:203], v[4:5], v[22:23], -v[24:25]
	ds_load_b128 v[4:7], v2 offset:1440
	ds_load_b128 v[22:25], v2 offset:1456
	s_wait_loadcnt_dscnt 0xa01
	v_mul_f64_e32 v[204:205], v[4:5], v[160:161]
	v_add_f64_e32 v[26:27], v[26:27], v[174:175]
	v_add_f64_e32 v[198:199], v[176:177], v[198:199]
	scratch_load_b128 v[174:177], off, off offset:592
	v_mul_f64_e32 v[160:161], v[6:7], v[160:161]
	v_fmac_f64_e32 v[200:201], v[14:15], v[154:155]
	v_fma_f64 v[154:155], v[12:13], v[154:155], -v[156:157]
	scratch_load_b128 v[12:15], off, off offset:608
	v_fmac_f64_e32 v[204:205], v[6:7], v[158:159]
	v_add_f64_e32 v[26:27], v[26:27], v[202:203]
	v_add_f64_e32 v[156:157], v[198:199], v[206:207]
	s_wait_loadcnt_dscnt 0xb00
	v_mul_f64_e32 v[198:199], v[22:23], v[164:165]
	v_mul_f64_e32 v[164:165], v[24:25], v[164:165]
	v_fma_f64 v[202:203], v[4:5], v[158:159], -v[160:161]
	v_add_f64_e32 v[26:27], v[26:27], v[154:155]
	v_add_f64_e32 v[200:201], v[156:157], v[200:201]
	ds_load_b128 v[4:7], v2 offset:1472
	ds_load_b128 v[154:157], v2 offset:1488
	scratch_load_b128 v[158:161], off, off offset:624
	v_fmac_f64_e32 v[198:199], v[24:25], v[162:163]
	v_fma_f64 v[162:163], v[22:23], v[162:163], -v[164:165]
	scratch_load_b128 v[22:25], off, off offset:640
	s_wait_loadcnt_dscnt 0xc01
	v_mul_f64_e32 v[206:207], v[4:5], v[168:169]
	v_mul_f64_e32 v[168:169], v[6:7], v[168:169]
	v_add_f64_e32 v[26:27], v[26:27], v[202:203]
	v_add_f64_e32 v[164:165], v[200:201], v[204:205]
	s_wait_loadcnt_dscnt 0xb00
	v_mul_f64_e32 v[200:201], v[154:155], v[172:173]
	v_mul_f64_e32 v[172:173], v[156:157], v[172:173]
	v_fmac_f64_e32 v[206:207], v[6:7], v[166:167]
	v_fma_f64 v[202:203], v[4:5], v[166:167], -v[168:169]
	v_add_f64_e32 v[26:27], v[26:27], v[162:163]
	v_add_f64_e32 v[198:199], v[164:165], v[198:199]
	ds_load_b128 v[4:7], v2 offset:1504
	ds_load_b128 v[162:165], v2 offset:1520
	scratch_load_b128 v[166:169], off, off offset:656
	v_fmac_f64_e32 v[200:201], v[156:157], v[170:171]
	v_fma_f64 v[170:171], v[154:155], v[170:171], -v[172:173]
	scratch_load_b128 v[154:157], off, off offset:672
	s_wait_loadcnt_dscnt 0xc01
	v_mul_f64_e32 v[204:205], v[4:5], v[180:181]
	v_mul_f64_e32 v[180:181], v[6:7], v[180:181]
	v_add_f64_e32 v[26:27], v[26:27], v[202:203]
	v_add_f64_e32 v[172:173], v[198:199], v[206:207]
	s_wait_loadcnt_dscnt 0xa00
	v_mul_f64_e32 v[198:199], v[162:163], v[192:193]
	v_mul_f64_e32 v[192:193], v[164:165], v[192:193]
	v_fmac_f64_e32 v[204:205], v[6:7], v[178:179]
	;; [unrolled: 18-line block ×5, first 2 shown]
	v_fma_f64 v[202:203], v[4:5], v[174:175], -v[176:177]
	ds_load_b128 v[4:7], v2 offset:1632
	ds_load_b128 v[174:177], v2 offset:1648
	v_add_f64_e32 v[26:27], v[26:27], v[190:191]
	v_add_f64_e32 v[198:199], v[192:193], v[198:199]
	scratch_load_b128 v[190:193], off, off offset:784
	v_fmac_f64_e32 v[200:201], v[172:173], v[12:13]
	v_fma_f64 v[170:171], v[170:171], v[12:13], -v[14:15]
	scratch_load_b128 v[12:15], off, off offset:800
	s_wait_loadcnt_dscnt 0xb01
	v_mul_f64_e32 v[204:205], v[4:5], v[160:161]
	v_mul_f64_e32 v[160:161], v[6:7], v[160:161]
	v_add_f64_e32 v[26:27], v[26:27], v[202:203]
	v_add_f64_e32 v[172:173], v[198:199], v[206:207]
	s_wait_loadcnt_dscnt 0xa00
	v_mul_f64_e32 v[198:199], v[174:175], v[24:25]
	v_mul_f64_e32 v[202:203], v[176:177], v[24:25]
	v_fmac_f64_e32 v[204:205], v[6:7], v[158:159]
	v_fma_f64 v[206:207], v[4:5], v[158:159], -v[160:161]
	v_add_f64_e32 v[170:171], v[26:27], v[170:171]
	v_add_f64_e32 v[172:173], v[172:173], v[200:201]
	ds_load_b128 v[4:7], v2 offset:1664
	ds_load_b128 v[24:27], v2 offset:1680
	scratch_load_b128 v[158:161], off, off offset:816
	v_fmac_f64_e32 v[198:199], v[176:177], v[22:23]
	v_fma_f64 v[22:23], v[174:175], v[22:23], -v[202:203]
	s_wait_loadcnt_dscnt 0xa01
	v_mul_f64_e32 v[208:209], v[4:5], v[168:169]
	v_mul_f64_e32 v[200:201], v[6:7], v[168:169]
	s_wait_loadcnt_dscnt 0x900
	v_mul_f64_e32 v[176:177], v[24:25], v[156:157]
	v_mul_f64_e32 v[156:157], v[26:27], v[156:157]
	v_add_f64_e32 v[174:175], v[170:171], v[206:207]
	v_add_f64_e32 v[172:173], v[172:173], v[204:205]
	scratch_load_b128 v[168:171], off, off offset:832
	v_fmac_f64_e32 v[208:209], v[6:7], v[166:167]
	v_fma_f64 v[166:167], v[4:5], v[166:167], -v[200:201]
	v_fmac_f64_e32 v[176:177], v[26:27], v[154:155]
	v_fma_f64 v[26:27], v[24:25], v[154:155], -v[156:157]
	v_add_f64_e32 v[22:23], v[174:175], v[22:23]
	v_add_f64_e32 v[202:203], v[172:173], v[198:199]
	ds_load_b128 v[4:7], v2 offset:1696
	ds_load_b128 v[172:175], v2 offset:1712
	scratch_load_b128 v[198:201], off, off offset:848
	s_wait_loadcnt_dscnt 0xa01
	v_mul_f64_e32 v[204:205], v[4:5], v[180:181]
	v_mul_f64_e32 v[180:181], v[6:7], v[180:181]
	s_wait_loadcnt_dscnt 0x900
	v_mul_f64_e32 v[206:207], v[174:175], v[164:165]
	v_add_f64_e32 v[154:155], v[22:23], v[166:167]
	v_add_f64_e32 v[156:157], v[202:203], v[208:209]
	scratch_load_b128 v[22:25], off, off offset:864
	v_mul_f64_e32 v[202:203], v[172:173], v[164:165]
	v_fmac_f64_e32 v[204:205], v[6:7], v[178:179]
	v_fma_f64 v[178:179], v[4:5], v[178:179], -v[180:181]
	v_add_f64_e32 v[26:27], v[154:155], v[26:27]
	v_add_f64_e32 v[176:177], v[156:157], v[176:177]
	ds_load_b128 v[4:7], v2 offset:1728
	ds_load_b128 v[154:157], v2 offset:1744
	scratch_load_b128 v[164:167], off, off offset:880
	v_fmac_f64_e32 v[202:203], v[174:175], v[162:163]
	v_fma_f64 v[162:163], v[172:173], v[162:163], -v[206:207]
	scratch_load_b128 v[172:175], off, off offset:896
	s_wait_loadcnt_dscnt 0xb01
	v_mul_f64_e32 v[180:181], v[4:5], v[196:197]
	v_mul_f64_e32 v[196:197], v[6:7], v[196:197]
	v_add_f64_e32 v[26:27], v[26:27], v[178:179]
	v_add_f64_e32 v[176:177], v[176:177], v[204:205]
	s_wait_loadcnt_dscnt 0xa00
	v_mul_f64_e32 v[204:205], v[154:155], v[10:11]
	v_mul_f64_e32 v[10:11], v[156:157], v[10:11]
	v_fmac_f64_e32 v[180:181], v[6:7], v[194:195]
	v_fma_f64 v[206:207], v[4:5], v[194:195], -v[196:197]
	v_add_f64_e32 v[26:27], v[26:27], v[162:163]
	v_add_f64_e32 v[162:163], v[176:177], v[202:203]
	ds_load_b128 v[4:7], v2 offset:1760
	ds_load_b128 v[176:179], v2 offset:1776
	scratch_load_b128 v[194:197], off, off offset:912
	v_fmac_f64_e32 v[204:205], v[156:157], v[8:9]
	v_fma_f64 v[154:155], v[154:155], v[8:9], -v[10:11]
	scratch_load_b128 v[8:11], off, off offset:928
	s_wait_loadcnt_dscnt 0xb01
	v_mul_f64_e32 v[202:203], v[4:5], v[184:185]
	v_mul_f64_e32 v[184:185], v[6:7], v[184:185]
	v_add_f64_e32 v[26:27], v[26:27], v[206:207]
	v_add_f64_e32 v[156:157], v[162:163], v[180:181]
	s_wait_loadcnt_dscnt 0xa00
	v_mul_f64_e32 v[162:163], v[176:177], v[18:19]
	;; [unrolled: 18-line block ×4, first 2 shown]
	v_mul_f64_e32 v[170:171], v[178:179], v[170:171]
	v_fmac_f64_e32 v[204:205], v[6:7], v[158:159]
	v_fma_f64 v[158:159], v[4:5], v[158:159], -v[160:161]
	v_add_f64_e32 v[26:27], v[26:27], v[154:155]
	v_add_f64_e32 v[160:161], v[156:157], v[184:185]
	ds_load_b128 v[4:7], v2 offset:1856
	ds_load_b128 v[154:157], v2 offset:1872
	v_fmac_f64_e32 v[162:163], v[178:179], v[168:169]
	v_fma_f64 v[168:169], v[176:177], v[168:169], -v[170:171]
	s_wait_loadcnt_dscnt 0x901
	v_mul_f64_e32 v[184:185], v[4:5], v[200:201]
	v_mul_f64_e32 v[200:201], v[6:7], v[200:201]
	v_add_f64_e32 v[26:27], v[26:27], v[158:159]
	v_add_f64_e32 v[158:159], v[160:161], v[204:205]
	s_wait_loadcnt_dscnt 0x800
	v_mul_f64_e32 v[160:161], v[154:155], v[24:25]
	v_mul_f64_e32 v[170:171], v[156:157], v[24:25]
	v_fmac_f64_e32 v[184:185], v[6:7], v[198:199]
	v_fma_f64 v[176:177], v[4:5], v[198:199], -v[200:201]
	v_add_f64_e32 v[168:169], v[26:27], v[168:169]
	v_add_f64_e32 v[158:159], v[158:159], v[162:163]
	ds_load_b128 v[4:7], v2 offset:1888
	ds_load_b128 v[24:27], v2 offset:1904
	v_fmac_f64_e32 v[160:161], v[156:157], v[22:23]
	v_fma_f64 v[22:23], v[154:155], v[22:23], -v[170:171]
	s_wait_loadcnt_dscnt 0x701
	v_mul_f64_e32 v[162:163], v[4:5], v[166:167]
	v_mul_f64_e32 v[166:167], v[6:7], v[166:167]
	v_add_f64_e32 v[154:155], v[168:169], v[176:177]
	v_add_f64_e32 v[156:157], v[158:159], v[184:185]
	s_wait_loadcnt_dscnt 0x600
	v_mul_f64_e32 v[158:159], v[24:25], v[174:175]
	;; [unrolled: 16-line block ×3, first 2 shown]
	v_mul_f64_e32 v[10:11], v[156:157], v[10:11]
	v_fmac_f64_e32 v[166:167], v[6:7], v[194:195]
	v_fma_f64 v[162:163], v[4:5], v[194:195], -v[170:171]
	v_add_f64_e32 v[164:165], v[22:23], v[24:25]
	v_add_f64_e32 v[26:27], v[26:27], v[158:159]
	ds_load_b128 v[4:7], v2 offset:1952
	ds_load_b128 v[22:25], v2 offset:1968
	v_fmac_f64_e32 v[160:161], v[156:157], v[8:9]
	v_fma_f64 v[8:9], v[154:155], v[8:9], -v[10:11]
	s_wait_loadcnt_dscnt 0x301
	v_mul_f64_e32 v[158:159], v[4:5], v[182:183]
	v_mul_f64_e32 v[168:169], v[6:7], v[182:183]
	s_wait_loadcnt_dscnt 0x200
	v_mul_f64_e32 v[154:155], v[22:23], v[18:19]
	v_mul_f64_e32 v[18:19], v[24:25], v[18:19]
	v_add_f64_e32 v[10:11], v[164:165], v[162:163]
	v_add_f64_e32 v[26:27], v[26:27], v[166:167]
	v_fmac_f64_e32 v[158:159], v[6:7], v[180:181]
	v_fma_f64 v[156:157], v[4:5], v[180:181], -v[168:169]
	v_fmac_f64_e32 v[154:155], v[24:25], v[16:17]
	v_fma_f64 v[16:17], v[22:23], v[16:17], -v[18:19]
	v_add_f64_e32 v[162:163], v[10:11], v[8:9]
	v_add_f64_e32 v[26:27], v[26:27], v[160:161]
	ds_load_b128 v[4:7], v2 offset:1984
	ds_load_b128 v[8:11], v2 offset:2000
	s_wait_loadcnt_dscnt 0x101
	v_mul_f64_e32 v[2:3], v[4:5], v[192:193]
	v_mul_f64_e32 v[160:161], v[6:7], v[192:193]
	s_wait_loadcnt_dscnt 0x0
	v_mul_f64_e32 v[24:25], v[8:9], v[14:15]
	v_mul_f64_e32 v[14:15], v[10:11], v[14:15]
	v_add_f64_e32 v[18:19], v[162:163], v[156:157]
	v_add_f64_e32 v[22:23], v[26:27], v[158:159]
	v_fmac_f64_e32 v[2:3], v[6:7], v[190:191]
	v_fma_f64 v[4:5], v[4:5], v[190:191], -v[160:161]
	v_fmac_f64_e32 v[24:25], v[10:11], v[12:13]
	v_fma_f64 v[8:9], v[8:9], v[12:13], -v[14:15]
	v_add_f64_e32 v[6:7], v[18:19], v[16:17]
	v_add_f64_e32 v[16:17], v[22:23], v[154:155]
	s_delay_alu instid0(VALU_DEP_2) | instskip(NEXT) | instid1(VALU_DEP_2)
	v_add_f64_e32 v[4:5], v[6:7], v[4:5]
	v_add_f64_e32 v[2:3], v[16:17], v[2:3]
	s_delay_alu instid0(VALU_DEP_2) | instskip(NEXT) | instid1(VALU_DEP_2)
	;; [unrolled: 3-line block ×3, first 2 shown]
	v_add_f64_e64 v[2:3], v[186:187], -v[4:5]
	v_add_f64_e64 v[4:5], v[188:189], -v[6:7]
	scratch_store_b128 off, v[2:5], off offset:320
	s_wait_xcnt 0x0
	v_cmpx_lt_u32_e32 19, v1
	s_cbranch_execz .LBB62_365
; %bb.364:
	scratch_load_b128 v[2:5], off, s65
	v_mov_b32_e32 v6, 0
	s_delay_alu instid0(VALU_DEP_1)
	v_dual_mov_b32 v7, v6 :: v_dual_mov_b32 v8, v6
	v_mov_b32_e32 v9, v6
	scratch_store_b128 off, v[6:9], off offset:304
	s_wait_loadcnt 0x0
	ds_store_b128 v20, v[2:5]
.LBB62_365:
	s_wait_xcnt 0x0
	s_or_b32 exec_lo, exec_lo, s2
	s_wait_storecnt_dscnt 0x0
	s_barrier_signal -1
	s_barrier_wait -1
	s_clause 0x9
	scratch_load_b128 v[4:7], off, off offset:320
	scratch_load_b128 v[8:11], off, off offset:336
	scratch_load_b128 v[12:15], off, off offset:352
	scratch_load_b128 v[16:19], off, off offset:368
	scratch_load_b128 v[22:25], off, off offset:384
	scratch_load_b128 v[154:157], off, off offset:400
	scratch_load_b128 v[158:161], off, off offset:416
	scratch_load_b128 v[162:165], off, off offset:432
	scratch_load_b128 v[166:169], off, off offset:448
	scratch_load_b128 v[170:173], off, off offset:464
	v_mov_b32_e32 v2, 0
	s_mov_b32 s2, exec_lo
	ds_load_b128 v[174:177], v2 offset:1328
	s_clause 0x2
	scratch_load_b128 v[178:181], off, off offset:480
	scratch_load_b128 v[182:185], off, off offset:304
	scratch_load_b128 v[190:193], off, off offset:496
	s_wait_loadcnt_dscnt 0xc00
	v_mul_f64_e32 v[26:27], v[176:177], v[6:7]
	v_mul_f64_e32 v[198:199], v[174:175], v[6:7]
	ds_load_b128 v[186:189], v2 offset:1344
	ds_load_b128 v[194:197], v2 offset:1376
	v_fma_f64 v[26:27], v[174:175], v[4:5], -v[26:27]
	v_fmac_f64_e32 v[198:199], v[176:177], v[4:5]
	ds_load_b128 v[4:7], v2 offset:1360
	s_wait_loadcnt_dscnt 0xb02
	v_mul_f64_e32 v[200:201], v[186:187], v[10:11]
	v_mul_f64_e32 v[10:11], v[188:189], v[10:11]
	scratch_load_b128 v[174:177], off, off offset:512
	s_wait_loadcnt_dscnt 0xb00
	v_mul_f64_e32 v[202:203], v[4:5], v[14:15]
	v_mul_f64_e32 v[14:15], v[6:7], v[14:15]
	v_add_f64_e32 v[26:27], 0, v[26:27]
	v_fmac_f64_e32 v[200:201], v[188:189], v[8:9]
	v_fma_f64 v[186:187], v[186:187], v[8:9], -v[10:11]
	v_add_f64_e32 v[188:189], 0, v[198:199]
	scratch_load_b128 v[8:11], off, off offset:528
	v_fmac_f64_e32 v[202:203], v[6:7], v[12:13]
	v_fma_f64 v[204:205], v[4:5], v[12:13], -v[14:15]
	ds_load_b128 v[4:7], v2 offset:1392
	s_wait_loadcnt 0xb
	v_mul_f64_e32 v[198:199], v[194:195], v[18:19]
	v_mul_f64_e32 v[18:19], v[196:197], v[18:19]
	scratch_load_b128 v[12:15], off, off offset:544
	v_add_f64_e32 v[26:27], v[26:27], v[186:187]
	v_add_f64_e32 v[200:201], v[188:189], v[200:201]
	ds_load_b128 v[186:189], v2 offset:1408
	s_wait_loadcnt_dscnt 0xb01
	v_mul_f64_e32 v[206:207], v[4:5], v[24:25]
	v_mul_f64_e32 v[24:25], v[6:7], v[24:25]
	v_fmac_f64_e32 v[198:199], v[196:197], v[16:17]
	v_fma_f64 v[194:195], v[194:195], v[16:17], -v[18:19]
	scratch_load_b128 v[16:19], off, off offset:560
	v_add_f64_e32 v[26:27], v[26:27], v[204:205]
	v_add_f64_e32 v[196:197], v[200:201], v[202:203]
	v_fmac_f64_e32 v[206:207], v[6:7], v[22:23]
	v_fma_f64 v[202:203], v[4:5], v[22:23], -v[24:25]
	ds_load_b128 v[4:7], v2 offset:1424
	s_wait_loadcnt_dscnt 0xb01
	v_mul_f64_e32 v[200:201], v[186:187], v[156:157]
	v_mul_f64_e32 v[156:157], v[188:189], v[156:157]
	scratch_load_b128 v[22:25], off, off offset:576
	s_wait_loadcnt_dscnt 0xb00
	v_mul_f64_e32 v[204:205], v[4:5], v[160:161]
	v_mul_f64_e32 v[160:161], v[6:7], v[160:161]
	v_add_f64_e32 v[26:27], v[26:27], v[194:195]
	v_add_f64_e32 v[198:199], v[196:197], v[198:199]
	ds_load_b128 v[194:197], v2 offset:1440
	v_fmac_f64_e32 v[200:201], v[188:189], v[154:155]
	v_fma_f64 v[186:187], v[186:187], v[154:155], -v[156:157]
	scratch_load_b128 v[154:157], off, off offset:592
	v_fmac_f64_e32 v[204:205], v[6:7], v[158:159]
	v_add_f64_e32 v[26:27], v[26:27], v[202:203]
	v_add_f64_e32 v[188:189], v[198:199], v[206:207]
	v_fma_f64 v[202:203], v[4:5], v[158:159], -v[160:161]
	ds_load_b128 v[4:7], v2 offset:1456
	s_wait_loadcnt_dscnt 0xb01
	v_mul_f64_e32 v[198:199], v[194:195], v[164:165]
	v_mul_f64_e32 v[164:165], v[196:197], v[164:165]
	scratch_load_b128 v[158:161], off, off offset:608
	s_wait_loadcnt_dscnt 0xb00
	v_mul_f64_e32 v[206:207], v[4:5], v[168:169]
	v_mul_f64_e32 v[168:169], v[6:7], v[168:169]
	v_add_f64_e32 v[26:27], v[26:27], v[186:187]
	v_add_f64_e32 v[200:201], v[188:189], v[200:201]
	ds_load_b128 v[186:189], v2 offset:1472
	v_fmac_f64_e32 v[198:199], v[196:197], v[162:163]
	v_fma_f64 v[194:195], v[194:195], v[162:163], -v[164:165]
	scratch_load_b128 v[162:165], off, off offset:624
	v_fmac_f64_e32 v[206:207], v[6:7], v[166:167]
	v_add_f64_e32 v[26:27], v[26:27], v[202:203]
	v_add_f64_e32 v[196:197], v[200:201], v[204:205]
	;; [unrolled: 18-line block ×3, first 2 shown]
	v_fma_f64 v[202:203], v[4:5], v[178:179], -v[180:181]
	ds_load_b128 v[4:7], v2 offset:1520
	s_wait_loadcnt_dscnt 0xa01
	v_mul_f64_e32 v[198:199], v[194:195], v[192:193]
	v_mul_f64_e32 v[192:193], v[196:197], v[192:193]
	scratch_load_b128 v[178:181], off, off offset:672
	v_add_f64_e32 v[26:27], v[26:27], v[186:187]
	v_add_f64_e32 v[200:201], v[188:189], v[200:201]
	s_wait_loadcnt_dscnt 0xa00
	v_mul_f64_e32 v[206:207], v[4:5], v[176:177]
	v_mul_f64_e32 v[176:177], v[6:7], v[176:177]
	v_fmac_f64_e32 v[198:199], v[196:197], v[190:191]
	v_fma_f64 v[194:195], v[194:195], v[190:191], -v[192:193]
	ds_load_b128 v[186:189], v2 offset:1536
	scratch_load_b128 v[190:193], off, off offset:688
	v_add_f64_e32 v[26:27], v[26:27], v[202:203]
	v_add_f64_e32 v[196:197], v[200:201], v[204:205]
	v_fmac_f64_e32 v[206:207], v[6:7], v[174:175]
	v_fma_f64 v[202:203], v[4:5], v[174:175], -v[176:177]
	ds_load_b128 v[4:7], v2 offset:1552
	s_wait_loadcnt_dscnt 0xa01
	v_mul_f64_e32 v[200:201], v[186:187], v[10:11]
	v_mul_f64_e32 v[10:11], v[188:189], v[10:11]
	scratch_load_b128 v[174:177], off, off offset:704
	s_wait_loadcnt_dscnt 0xa00
	v_mul_f64_e32 v[204:205], v[4:5], v[14:15]
	v_mul_f64_e32 v[14:15], v[6:7], v[14:15]
	v_add_f64_e32 v[26:27], v[26:27], v[194:195]
	v_add_f64_e32 v[198:199], v[196:197], v[198:199]
	ds_load_b128 v[194:197], v2 offset:1568
	v_fmac_f64_e32 v[200:201], v[188:189], v[8:9]
	v_fma_f64 v[186:187], v[186:187], v[8:9], -v[10:11]
	scratch_load_b128 v[8:11], off, off offset:720
	v_fmac_f64_e32 v[204:205], v[6:7], v[12:13]
	v_add_f64_e32 v[26:27], v[26:27], v[202:203]
	v_add_f64_e32 v[188:189], v[198:199], v[206:207]
	v_fma_f64 v[202:203], v[4:5], v[12:13], -v[14:15]
	ds_load_b128 v[4:7], v2 offset:1584
	s_wait_loadcnt_dscnt 0xa01
	v_mul_f64_e32 v[198:199], v[194:195], v[18:19]
	v_mul_f64_e32 v[18:19], v[196:197], v[18:19]
	scratch_load_b128 v[12:15], off, off offset:736
	s_wait_loadcnt_dscnt 0xa00
	v_mul_f64_e32 v[206:207], v[4:5], v[24:25]
	v_mul_f64_e32 v[24:25], v[6:7], v[24:25]
	v_add_f64_e32 v[26:27], v[26:27], v[186:187]
	v_add_f64_e32 v[200:201], v[188:189], v[200:201]
	ds_load_b128 v[186:189], v2 offset:1600
	v_fmac_f64_e32 v[198:199], v[196:197], v[16:17]
	v_fma_f64 v[194:195], v[194:195], v[16:17], -v[18:19]
	scratch_load_b128 v[16:19], off, off offset:752
	v_fmac_f64_e32 v[206:207], v[6:7], v[22:23]
	v_add_f64_e32 v[26:27], v[26:27], v[202:203]
	v_add_f64_e32 v[196:197], v[200:201], v[204:205]
	;; [unrolled: 18-line block ×9, first 2 shown]
	v_fma_f64 v[202:203], v[4:5], v[158:159], -v[160:161]
	ds_load_b128 v[4:7], v2 offset:1840
	s_wait_loadcnt_dscnt 0xa01
	v_mul_f64_e32 v[198:199], v[194:195], v[164:165]
	v_mul_f64_e32 v[164:165], v[196:197], v[164:165]
	scratch_load_b128 v[158:161], off, off offset:992
	s_wait_loadcnt_dscnt 0xa00
	v_mul_f64_e32 v[206:207], v[4:5], v[168:169]
	v_mul_f64_e32 v[168:169], v[6:7], v[168:169]
	v_add_f64_e32 v[26:27], v[26:27], v[186:187]
	v_add_f64_e32 v[200:201], v[188:189], v[200:201]
	ds_load_b128 v[186:189], v2 offset:1856
	v_fmac_f64_e32 v[198:199], v[196:197], v[162:163]
	v_fma_f64 v[162:163], v[194:195], v[162:163], -v[164:165]
	s_wait_loadcnt_dscnt 0x900
	v_mul_f64_e32 v[194:195], v[186:187], v[172:173]
	v_mul_f64_e32 v[172:173], v[188:189], v[172:173]
	v_fmac_f64_e32 v[206:207], v[6:7], v[166:167]
	v_fma_f64 v[166:167], v[4:5], v[166:167], -v[168:169]
	v_add_f64_e32 v[26:27], v[26:27], v[202:203]
	v_add_f64_e32 v[164:165], v[200:201], v[204:205]
	v_fmac_f64_e32 v[194:195], v[188:189], v[170:171]
	v_fma_f64 v[170:171], v[186:187], v[170:171], -v[172:173]
	s_delay_alu instid0(VALU_DEP_4) | instskip(NEXT) | instid1(VALU_DEP_4)
	v_add_f64_e32 v[26:27], v[26:27], v[162:163]
	v_add_f64_e32 v[168:169], v[164:165], v[198:199]
	ds_load_b128 v[4:7], v2 offset:1872
	ds_load_b128 v[162:165], v2 offset:1888
	s_wait_loadcnt_dscnt 0x801
	v_mul_f64_e32 v[196:197], v[4:5], v[180:181]
	v_mul_f64_e32 v[180:181], v[6:7], v[180:181]
	s_wait_loadcnt_dscnt 0x700
	v_mul_f64_e32 v[172:173], v[162:163], v[192:193]
	v_mul_f64_e32 v[186:187], v[164:165], v[192:193]
	v_add_f64_e32 v[26:27], v[26:27], v[166:167]
	v_add_f64_e32 v[166:167], v[168:169], v[206:207]
	v_fmac_f64_e32 v[196:197], v[6:7], v[178:179]
	v_fma_f64 v[178:179], v[4:5], v[178:179], -v[180:181]
	v_fmac_f64_e32 v[172:173], v[164:165], v[190:191]
	v_fma_f64 v[162:163], v[162:163], v[190:191], -v[186:187]
	v_add_f64_e32 v[26:27], v[26:27], v[170:171]
	v_add_f64_e32 v[170:171], v[166:167], v[194:195]
	ds_load_b128 v[4:7], v2 offset:1904
	ds_load_b128 v[166:169], v2 offset:1920
	s_wait_loadcnt_dscnt 0x601
	v_mul_f64_e32 v[180:181], v[4:5], v[176:177]
	v_mul_f64_e32 v[176:177], v[6:7], v[176:177]
	v_add_f64_e32 v[26:27], v[26:27], v[178:179]
	v_add_f64_e32 v[164:165], v[170:171], v[196:197]
	s_wait_loadcnt_dscnt 0x500
	v_mul_f64_e32 v[170:171], v[166:167], v[10:11]
	v_mul_f64_e32 v[10:11], v[168:169], v[10:11]
	v_fmac_f64_e32 v[180:181], v[6:7], v[174:175]
	v_fma_f64 v[174:175], v[4:5], v[174:175], -v[176:177]
	v_add_f64_e32 v[26:27], v[26:27], v[162:163]
	v_add_f64_e32 v[172:173], v[164:165], v[172:173]
	ds_load_b128 v[4:7], v2 offset:1936
	ds_load_b128 v[162:165], v2 offset:1952
	v_fmac_f64_e32 v[170:171], v[168:169], v[8:9]
	v_fma_f64 v[8:9], v[166:167], v[8:9], -v[10:11]
	s_wait_loadcnt_dscnt 0x401
	v_mul_f64_e32 v[176:177], v[4:5], v[14:15]
	v_mul_f64_e32 v[14:15], v[6:7], v[14:15]
	s_wait_loadcnt_dscnt 0x300
	v_mul_f64_e32 v[166:167], v[162:163], v[18:19]
	v_mul_f64_e32 v[18:19], v[164:165], v[18:19]
	v_add_f64_e32 v[10:11], v[26:27], v[174:175]
	v_add_f64_e32 v[26:27], v[172:173], v[180:181]
	v_fmac_f64_e32 v[176:177], v[6:7], v[12:13]
	v_fma_f64 v[12:13], v[4:5], v[12:13], -v[14:15]
	v_fmac_f64_e32 v[166:167], v[164:165], v[16:17]
	v_fma_f64 v[16:17], v[162:163], v[16:17], -v[18:19]
	v_add_f64_e32 v[14:15], v[10:11], v[8:9]
	v_add_f64_e32 v[26:27], v[26:27], v[170:171]
	ds_load_b128 v[4:7], v2 offset:1968
	ds_load_b128 v[8:11], v2 offset:1984
	s_wait_loadcnt_dscnt 0x201
	v_mul_f64_e32 v[168:169], v[4:5], v[24:25]
	v_mul_f64_e32 v[24:25], v[6:7], v[24:25]
	s_wait_loadcnt_dscnt 0x100
	v_mul_f64_e32 v[18:19], v[8:9], v[156:157]
	v_add_f64_e32 v[12:13], v[14:15], v[12:13]
	v_add_f64_e32 v[14:15], v[26:27], v[176:177]
	v_mul_f64_e32 v[26:27], v[10:11], v[156:157]
	v_fmac_f64_e32 v[168:169], v[6:7], v[22:23]
	v_fma_f64 v[22:23], v[4:5], v[22:23], -v[24:25]
	ds_load_b128 v[4:7], v2 offset:2000
	v_fmac_f64_e32 v[18:19], v[10:11], v[154:155]
	v_add_f64_e32 v[12:13], v[12:13], v[16:17]
	v_add_f64_e32 v[14:15], v[14:15], v[166:167]
	v_fma_f64 v[8:9], v[8:9], v[154:155], -v[26:27]
	s_wait_loadcnt_dscnt 0x0
	v_mul_f64_e32 v[16:17], v[4:5], v[160:161]
	v_mul_f64_e32 v[24:25], v[6:7], v[160:161]
	v_add_f64_e32 v[10:11], v[12:13], v[22:23]
	v_add_f64_e32 v[12:13], v[14:15], v[168:169]
	s_delay_alu instid0(VALU_DEP_4) | instskip(NEXT) | instid1(VALU_DEP_4)
	v_fmac_f64_e32 v[16:17], v[6:7], v[158:159]
	v_fma_f64 v[4:5], v[4:5], v[158:159], -v[24:25]
	s_delay_alu instid0(VALU_DEP_4) | instskip(NEXT) | instid1(VALU_DEP_4)
	v_add_f64_e32 v[6:7], v[10:11], v[8:9]
	v_add_f64_e32 v[8:9], v[12:13], v[18:19]
	s_delay_alu instid0(VALU_DEP_2) | instskip(NEXT) | instid1(VALU_DEP_2)
	v_add_f64_e32 v[4:5], v[6:7], v[4:5]
	v_add_f64_e32 v[6:7], v[8:9], v[16:17]
	s_delay_alu instid0(VALU_DEP_2) | instskip(NEXT) | instid1(VALU_DEP_2)
	v_add_f64_e64 v[4:5], v[182:183], -v[4:5]
	v_add_f64_e64 v[6:7], v[184:185], -v[6:7]
	scratch_store_b128 off, v[4:7], off offset:304
	s_wait_xcnt 0x0
	v_cmpx_lt_u32_e32 18, v1
	s_cbranch_execz .LBB62_367
; %bb.366:
	scratch_load_b128 v[6:9], off, s62
	v_dual_mov_b32 v3, v2 :: v_dual_mov_b32 v4, v2
	v_mov_b32_e32 v5, v2
	scratch_store_b128 off, v[2:5], off offset:288
	s_wait_loadcnt 0x0
	ds_store_b128 v20, v[6:9]
.LBB62_367:
	s_wait_xcnt 0x0
	s_or_b32 exec_lo, exec_lo, s2
	s_wait_storecnt_dscnt 0x0
	s_barrier_signal -1
	s_barrier_wait -1
	s_clause 0x9
	scratch_load_b128 v[4:7], off, off offset:304
	scratch_load_b128 v[8:11], off, off offset:320
	;; [unrolled: 1-line block ×10, first 2 shown]
	ds_load_b128 v[174:177], v2 offset:1312
	ds_load_b128 v[182:185], v2 offset:1328
	s_clause 0x2
	scratch_load_b128 v[178:181], off, off offset:464
	scratch_load_b128 v[186:189], off, off offset:288
	;; [unrolled: 1-line block ×3, first 2 shown]
	s_mov_b32 s2, exec_lo
	s_wait_loadcnt_dscnt 0xc01
	v_mul_f64_e32 v[26:27], v[176:177], v[6:7]
	v_mul_f64_e32 v[198:199], v[174:175], v[6:7]
	s_wait_loadcnt_dscnt 0xb00
	v_mul_f64_e32 v[200:201], v[182:183], v[10:11]
	v_mul_f64_e32 v[10:11], v[184:185], v[10:11]
	s_delay_alu instid0(VALU_DEP_4) | instskip(NEXT) | instid1(VALU_DEP_4)
	v_fma_f64 v[26:27], v[174:175], v[4:5], -v[26:27]
	v_fmac_f64_e32 v[198:199], v[176:177], v[4:5]
	ds_load_b128 v[4:7], v2 offset:1344
	ds_load_b128 v[174:177], v2 offset:1360
	scratch_load_b128 v[194:197], off, off offset:496
	v_fmac_f64_e32 v[200:201], v[184:185], v[8:9]
	v_fma_f64 v[182:183], v[182:183], v[8:9], -v[10:11]
	scratch_load_b128 v[8:11], off, off offset:512
	s_wait_loadcnt_dscnt 0xc01
	v_mul_f64_e32 v[202:203], v[4:5], v[14:15]
	v_mul_f64_e32 v[14:15], v[6:7], v[14:15]
	v_add_f64_e32 v[26:27], 0, v[26:27]
	v_add_f64_e32 v[184:185], 0, v[198:199]
	s_wait_loadcnt_dscnt 0xb00
	v_mul_f64_e32 v[198:199], v[174:175], v[18:19]
	v_mul_f64_e32 v[18:19], v[176:177], v[18:19]
	v_fmac_f64_e32 v[202:203], v[6:7], v[12:13]
	v_fma_f64 v[204:205], v[4:5], v[12:13], -v[14:15]
	ds_load_b128 v[4:7], v2 offset:1376
	ds_load_b128 v[12:15], v2 offset:1392
	v_add_f64_e32 v[26:27], v[26:27], v[182:183]
	v_add_f64_e32 v[200:201], v[184:185], v[200:201]
	scratch_load_b128 v[182:185], off, off offset:528
	v_fmac_f64_e32 v[198:199], v[176:177], v[16:17]
	v_fma_f64 v[174:175], v[174:175], v[16:17], -v[18:19]
	scratch_load_b128 v[16:19], off, off offset:544
	s_wait_loadcnt_dscnt 0xc01
	v_mul_f64_e32 v[206:207], v[4:5], v[24:25]
	v_mul_f64_e32 v[24:25], v[6:7], v[24:25]
	v_add_f64_e32 v[26:27], v[26:27], v[204:205]
	v_add_f64_e32 v[176:177], v[200:201], v[202:203]
	s_wait_loadcnt_dscnt 0xb00
	v_mul_f64_e32 v[200:201], v[12:13], v[156:157]
	v_mul_f64_e32 v[156:157], v[14:15], v[156:157]
	v_fmac_f64_e32 v[206:207], v[6:7], v[22:23]
	v_fma_f64 v[202:203], v[4:5], v[22:23], -v[24:25]
	ds_load_b128 v[4:7], v2 offset:1408
	ds_load_b128 v[22:25], v2 offset:1424
	s_wait_loadcnt_dscnt 0xa01
	v_mul_f64_e32 v[204:205], v[4:5], v[160:161]
	v_add_f64_e32 v[26:27], v[26:27], v[174:175]
	v_add_f64_e32 v[198:199], v[176:177], v[198:199]
	scratch_load_b128 v[174:177], off, off offset:560
	v_mul_f64_e32 v[160:161], v[6:7], v[160:161]
	v_fmac_f64_e32 v[200:201], v[14:15], v[154:155]
	v_fma_f64 v[154:155], v[12:13], v[154:155], -v[156:157]
	scratch_load_b128 v[12:15], off, off offset:576
	v_fmac_f64_e32 v[204:205], v[6:7], v[158:159]
	v_add_f64_e32 v[26:27], v[26:27], v[202:203]
	v_add_f64_e32 v[156:157], v[198:199], v[206:207]
	s_wait_loadcnt_dscnt 0xb00
	v_mul_f64_e32 v[198:199], v[22:23], v[164:165]
	v_mul_f64_e32 v[164:165], v[24:25], v[164:165]
	v_fma_f64 v[202:203], v[4:5], v[158:159], -v[160:161]
	v_add_f64_e32 v[26:27], v[26:27], v[154:155]
	v_add_f64_e32 v[200:201], v[156:157], v[200:201]
	ds_load_b128 v[4:7], v2 offset:1440
	ds_load_b128 v[154:157], v2 offset:1456
	scratch_load_b128 v[158:161], off, off offset:592
	v_fmac_f64_e32 v[198:199], v[24:25], v[162:163]
	v_fma_f64 v[162:163], v[22:23], v[162:163], -v[164:165]
	scratch_load_b128 v[22:25], off, off offset:608
	s_wait_loadcnt_dscnt 0xc01
	v_mul_f64_e32 v[206:207], v[4:5], v[168:169]
	v_mul_f64_e32 v[168:169], v[6:7], v[168:169]
	v_add_f64_e32 v[26:27], v[26:27], v[202:203]
	v_add_f64_e32 v[164:165], v[200:201], v[204:205]
	s_wait_loadcnt_dscnt 0xb00
	v_mul_f64_e32 v[200:201], v[154:155], v[172:173]
	v_mul_f64_e32 v[172:173], v[156:157], v[172:173]
	v_fmac_f64_e32 v[206:207], v[6:7], v[166:167]
	v_fma_f64 v[202:203], v[4:5], v[166:167], -v[168:169]
	v_add_f64_e32 v[26:27], v[26:27], v[162:163]
	v_add_f64_e32 v[198:199], v[164:165], v[198:199]
	ds_load_b128 v[4:7], v2 offset:1472
	ds_load_b128 v[162:165], v2 offset:1488
	scratch_load_b128 v[166:169], off, off offset:624
	v_fmac_f64_e32 v[200:201], v[156:157], v[170:171]
	v_fma_f64 v[170:171], v[154:155], v[170:171], -v[172:173]
	scratch_load_b128 v[154:157], off, off offset:640
	s_wait_loadcnt_dscnt 0xc01
	v_mul_f64_e32 v[204:205], v[4:5], v[180:181]
	v_mul_f64_e32 v[180:181], v[6:7], v[180:181]
	v_add_f64_e32 v[26:27], v[26:27], v[202:203]
	v_add_f64_e32 v[172:173], v[198:199], v[206:207]
	s_wait_loadcnt_dscnt 0xa00
	v_mul_f64_e32 v[198:199], v[162:163], v[192:193]
	v_mul_f64_e32 v[192:193], v[164:165], v[192:193]
	v_fmac_f64_e32 v[204:205], v[6:7], v[178:179]
	;; [unrolled: 18-line block ×5, first 2 shown]
	v_fma_f64 v[202:203], v[4:5], v[174:175], -v[176:177]
	ds_load_b128 v[4:7], v2 offset:1600
	ds_load_b128 v[174:177], v2 offset:1616
	v_add_f64_e32 v[26:27], v[26:27], v[190:191]
	v_add_f64_e32 v[198:199], v[192:193], v[198:199]
	scratch_load_b128 v[190:193], off, off offset:752
	v_fmac_f64_e32 v[200:201], v[172:173], v[12:13]
	v_fma_f64 v[170:171], v[170:171], v[12:13], -v[14:15]
	scratch_load_b128 v[12:15], off, off offset:768
	s_wait_loadcnt_dscnt 0xb01
	v_mul_f64_e32 v[204:205], v[4:5], v[160:161]
	v_mul_f64_e32 v[160:161], v[6:7], v[160:161]
	v_add_f64_e32 v[26:27], v[26:27], v[202:203]
	v_add_f64_e32 v[172:173], v[198:199], v[206:207]
	s_wait_loadcnt_dscnt 0xa00
	v_mul_f64_e32 v[198:199], v[174:175], v[24:25]
	v_mul_f64_e32 v[202:203], v[176:177], v[24:25]
	v_fmac_f64_e32 v[204:205], v[6:7], v[158:159]
	v_fma_f64 v[206:207], v[4:5], v[158:159], -v[160:161]
	v_add_f64_e32 v[170:171], v[26:27], v[170:171]
	v_add_f64_e32 v[172:173], v[172:173], v[200:201]
	ds_load_b128 v[4:7], v2 offset:1632
	ds_load_b128 v[24:27], v2 offset:1648
	scratch_load_b128 v[158:161], off, off offset:784
	v_fmac_f64_e32 v[198:199], v[176:177], v[22:23]
	v_fma_f64 v[22:23], v[174:175], v[22:23], -v[202:203]
	s_wait_loadcnt_dscnt 0xa01
	v_mul_f64_e32 v[208:209], v[4:5], v[168:169]
	v_mul_f64_e32 v[200:201], v[6:7], v[168:169]
	s_wait_loadcnt_dscnt 0x900
	v_mul_f64_e32 v[176:177], v[24:25], v[156:157]
	v_mul_f64_e32 v[156:157], v[26:27], v[156:157]
	v_add_f64_e32 v[174:175], v[170:171], v[206:207]
	v_add_f64_e32 v[172:173], v[172:173], v[204:205]
	scratch_load_b128 v[168:171], off, off offset:800
	v_fmac_f64_e32 v[208:209], v[6:7], v[166:167]
	v_fma_f64 v[166:167], v[4:5], v[166:167], -v[200:201]
	v_fmac_f64_e32 v[176:177], v[26:27], v[154:155]
	v_fma_f64 v[26:27], v[24:25], v[154:155], -v[156:157]
	v_add_f64_e32 v[22:23], v[174:175], v[22:23]
	v_add_f64_e32 v[202:203], v[172:173], v[198:199]
	ds_load_b128 v[4:7], v2 offset:1664
	ds_load_b128 v[172:175], v2 offset:1680
	scratch_load_b128 v[198:201], off, off offset:816
	s_wait_loadcnt_dscnt 0xa01
	v_mul_f64_e32 v[204:205], v[4:5], v[180:181]
	v_mul_f64_e32 v[180:181], v[6:7], v[180:181]
	s_wait_loadcnt_dscnt 0x900
	v_mul_f64_e32 v[206:207], v[174:175], v[164:165]
	v_add_f64_e32 v[154:155], v[22:23], v[166:167]
	v_add_f64_e32 v[156:157], v[202:203], v[208:209]
	scratch_load_b128 v[22:25], off, off offset:832
	v_mul_f64_e32 v[202:203], v[172:173], v[164:165]
	v_fmac_f64_e32 v[204:205], v[6:7], v[178:179]
	v_fma_f64 v[178:179], v[4:5], v[178:179], -v[180:181]
	v_add_f64_e32 v[26:27], v[154:155], v[26:27]
	v_add_f64_e32 v[176:177], v[156:157], v[176:177]
	ds_load_b128 v[4:7], v2 offset:1696
	ds_load_b128 v[154:157], v2 offset:1712
	scratch_load_b128 v[164:167], off, off offset:848
	v_fmac_f64_e32 v[202:203], v[174:175], v[162:163]
	v_fma_f64 v[162:163], v[172:173], v[162:163], -v[206:207]
	scratch_load_b128 v[172:175], off, off offset:864
	s_wait_loadcnt_dscnt 0xb01
	v_mul_f64_e32 v[180:181], v[4:5], v[196:197]
	v_mul_f64_e32 v[196:197], v[6:7], v[196:197]
	v_add_f64_e32 v[26:27], v[26:27], v[178:179]
	v_add_f64_e32 v[176:177], v[176:177], v[204:205]
	s_wait_loadcnt_dscnt 0xa00
	v_mul_f64_e32 v[204:205], v[154:155], v[10:11]
	v_mul_f64_e32 v[10:11], v[156:157], v[10:11]
	v_fmac_f64_e32 v[180:181], v[6:7], v[194:195]
	v_fma_f64 v[206:207], v[4:5], v[194:195], -v[196:197]
	v_add_f64_e32 v[26:27], v[26:27], v[162:163]
	v_add_f64_e32 v[162:163], v[176:177], v[202:203]
	ds_load_b128 v[4:7], v2 offset:1728
	ds_load_b128 v[176:179], v2 offset:1744
	scratch_load_b128 v[194:197], off, off offset:880
	v_fmac_f64_e32 v[204:205], v[156:157], v[8:9]
	v_fma_f64 v[154:155], v[154:155], v[8:9], -v[10:11]
	scratch_load_b128 v[8:11], off, off offset:896
	s_wait_loadcnt_dscnt 0xb01
	v_mul_f64_e32 v[202:203], v[4:5], v[184:185]
	v_mul_f64_e32 v[184:185], v[6:7], v[184:185]
	v_add_f64_e32 v[26:27], v[26:27], v[206:207]
	v_add_f64_e32 v[156:157], v[162:163], v[180:181]
	s_wait_loadcnt_dscnt 0xa00
	v_mul_f64_e32 v[162:163], v[176:177], v[18:19]
	;; [unrolled: 18-line block ×5, first 2 shown]
	v_mul_f64_e32 v[202:203], v[156:157], v[24:25]
	v_fmac_f64_e32 v[206:207], v[6:7], v[198:199]
	v_fma_f64 v[198:199], v[4:5], v[198:199], -v[200:201]
	v_add_f64_e32 v[176:177], v[26:27], v[176:177]
	v_add_f64_e32 v[162:163], v[178:179], v[162:163]
	ds_load_b128 v[4:7], v2 offset:1856
	ds_load_b128 v[24:27], v2 offset:1872
	v_fmac_f64_e32 v[184:185], v[156:157], v[22:23]
	v_fma_f64 v[22:23], v[154:155], v[22:23], -v[202:203]
	s_wait_loadcnt_dscnt 0x901
	v_mul_f64_e32 v[178:179], v[4:5], v[166:167]
	v_mul_f64_e32 v[166:167], v[6:7], v[166:167]
	v_add_f64_e32 v[154:155], v[176:177], v[198:199]
	v_add_f64_e32 v[156:157], v[162:163], v[206:207]
	s_wait_loadcnt_dscnt 0x800
	v_mul_f64_e32 v[162:163], v[24:25], v[174:175]
	v_mul_f64_e32 v[174:175], v[26:27], v[174:175]
	v_fmac_f64_e32 v[178:179], v[6:7], v[164:165]
	v_fma_f64 v[164:165], v[4:5], v[164:165], -v[166:167]
	v_add_f64_e32 v[22:23], v[154:155], v[22:23]
	v_add_f64_e32 v[166:167], v[156:157], v[184:185]
	ds_load_b128 v[4:7], v2 offset:1888
	ds_load_b128 v[154:157], v2 offset:1904
	v_fmac_f64_e32 v[162:163], v[26:27], v[172:173]
	v_fma_f64 v[24:25], v[24:25], v[172:173], -v[174:175]
	s_wait_loadcnt_dscnt 0x701
	v_mul_f64_e32 v[176:177], v[4:5], v[196:197]
	v_mul_f64_e32 v[184:185], v[6:7], v[196:197]
	v_add_f64_e32 v[22:23], v[22:23], v[164:165]
	v_add_f64_e32 v[26:27], v[166:167], v[178:179]
	s_wait_loadcnt_dscnt 0x600
	v_mul_f64_e32 v[164:165], v[154:155], v[10:11]
	v_mul_f64_e32 v[10:11], v[156:157], v[10:11]
	v_fmac_f64_e32 v[176:177], v[6:7], v[194:195]
	v_fma_f64 v[166:167], v[4:5], v[194:195], -v[184:185]
	v_add_f64_e32 v[172:173], v[22:23], v[24:25]
	v_add_f64_e32 v[26:27], v[26:27], v[162:163]
	ds_load_b128 v[4:7], v2 offset:1920
	ds_load_b128 v[22:25], v2 offset:1936
	v_fmac_f64_e32 v[164:165], v[156:157], v[8:9]
	v_fma_f64 v[8:9], v[154:155], v[8:9], -v[10:11]
	s_wait_loadcnt_dscnt 0x501
	v_mul_f64_e32 v[162:163], v[4:5], v[182:183]
	v_mul_f64_e32 v[174:175], v[6:7], v[182:183]
	s_wait_loadcnt_dscnt 0x400
	v_mul_f64_e32 v[154:155], v[22:23], v[18:19]
	v_mul_f64_e32 v[18:19], v[24:25], v[18:19]
	v_add_f64_e32 v[10:11], v[172:173], v[166:167]
	v_add_f64_e32 v[26:27], v[26:27], v[176:177]
	v_fmac_f64_e32 v[162:163], v[6:7], v[180:181]
	v_fma_f64 v[156:157], v[4:5], v[180:181], -v[174:175]
	v_fmac_f64_e32 v[154:155], v[24:25], v[16:17]
	v_fma_f64 v[16:17], v[22:23], v[16:17], -v[18:19]
	v_add_f64_e32 v[166:167], v[10:11], v[8:9]
	v_add_f64_e32 v[26:27], v[26:27], v[164:165]
	ds_load_b128 v[4:7], v2 offset:1952
	ds_load_b128 v[8:11], v2 offset:1968
	s_wait_loadcnt_dscnt 0x301
	v_mul_f64_e32 v[164:165], v[4:5], v[192:193]
	v_mul_f64_e32 v[172:173], v[6:7], v[192:193]
	s_wait_loadcnt_dscnt 0x200
	v_mul_f64_e32 v[24:25], v[8:9], v[14:15]
	v_add_f64_e32 v[18:19], v[166:167], v[156:157]
	v_add_f64_e32 v[22:23], v[26:27], v[162:163]
	v_mul_f64_e32 v[26:27], v[10:11], v[14:15]
	v_fmac_f64_e32 v[164:165], v[6:7], v[190:191]
	v_fma_f64 v[156:157], v[4:5], v[190:191], -v[172:173]
	v_fmac_f64_e32 v[24:25], v[10:11], v[12:13]
	v_add_f64_e32 v[18:19], v[18:19], v[16:17]
	v_add_f64_e32 v[22:23], v[22:23], v[154:155]
	ds_load_b128 v[4:7], v2 offset:1984
	ds_load_b128 v[14:17], v2 offset:2000
	v_fma_f64 v[8:9], v[8:9], v[12:13], -v[26:27]
	s_wait_loadcnt_dscnt 0x101
	v_mul_f64_e32 v[2:3], v[4:5], v[160:161]
	v_mul_f64_e32 v[154:155], v[6:7], v[160:161]
	v_add_f64_e32 v[10:11], v[18:19], v[156:157]
	v_add_f64_e32 v[12:13], v[22:23], v[164:165]
	s_wait_loadcnt_dscnt 0x0
	v_mul_f64_e32 v[18:19], v[14:15], v[170:171]
	v_mul_f64_e32 v[22:23], v[16:17], v[170:171]
	v_fmac_f64_e32 v[2:3], v[6:7], v[158:159]
	v_fma_f64 v[4:5], v[4:5], v[158:159], -v[154:155]
	v_add_f64_e32 v[6:7], v[10:11], v[8:9]
	v_add_f64_e32 v[8:9], v[12:13], v[24:25]
	v_fmac_f64_e32 v[18:19], v[16:17], v[168:169]
	v_fma_f64 v[10:11], v[14:15], v[168:169], -v[22:23]
	s_delay_alu instid0(VALU_DEP_4) | instskip(NEXT) | instid1(VALU_DEP_4)
	v_add_f64_e32 v[4:5], v[6:7], v[4:5]
	v_add_f64_e32 v[2:3], v[8:9], v[2:3]
	s_delay_alu instid0(VALU_DEP_2) | instskip(NEXT) | instid1(VALU_DEP_2)
	v_add_f64_e32 v[4:5], v[4:5], v[10:11]
	v_add_f64_e32 v[6:7], v[2:3], v[18:19]
	s_delay_alu instid0(VALU_DEP_2) | instskip(NEXT) | instid1(VALU_DEP_2)
	v_add_f64_e64 v[2:3], v[186:187], -v[4:5]
	v_add_f64_e64 v[4:5], v[188:189], -v[6:7]
	scratch_store_b128 off, v[2:5], off offset:288
	s_wait_xcnt 0x0
	v_cmpx_lt_u32_e32 17, v1
	s_cbranch_execz .LBB62_369
; %bb.368:
	scratch_load_b128 v[2:5], off, s59
	v_mov_b32_e32 v6, 0
	s_delay_alu instid0(VALU_DEP_1)
	v_dual_mov_b32 v7, v6 :: v_dual_mov_b32 v8, v6
	v_mov_b32_e32 v9, v6
	scratch_store_b128 off, v[6:9], off offset:272
	s_wait_loadcnt 0x0
	ds_store_b128 v20, v[2:5]
.LBB62_369:
	s_wait_xcnt 0x0
	s_or_b32 exec_lo, exec_lo, s2
	s_wait_storecnt_dscnt 0x0
	s_barrier_signal -1
	s_barrier_wait -1
	s_clause 0x9
	scratch_load_b128 v[4:7], off, off offset:288
	scratch_load_b128 v[8:11], off, off offset:304
	;; [unrolled: 1-line block ×10, first 2 shown]
	v_mov_b32_e32 v2, 0
	s_mov_b32 s2, exec_lo
	ds_load_b128 v[174:177], v2 offset:1296
	s_clause 0x2
	scratch_load_b128 v[178:181], off, off offset:448
	scratch_load_b128 v[182:185], off, off offset:272
	;; [unrolled: 1-line block ×3, first 2 shown]
	s_wait_loadcnt_dscnt 0xc00
	v_mul_f64_e32 v[26:27], v[176:177], v[6:7]
	v_mul_f64_e32 v[198:199], v[174:175], v[6:7]
	ds_load_b128 v[186:189], v2 offset:1312
	ds_load_b128 v[194:197], v2 offset:1344
	v_fma_f64 v[26:27], v[174:175], v[4:5], -v[26:27]
	v_fmac_f64_e32 v[198:199], v[176:177], v[4:5]
	ds_load_b128 v[4:7], v2 offset:1328
	s_wait_loadcnt_dscnt 0xb02
	v_mul_f64_e32 v[200:201], v[186:187], v[10:11]
	v_mul_f64_e32 v[10:11], v[188:189], v[10:11]
	scratch_load_b128 v[174:177], off, off offset:480
	s_wait_loadcnt_dscnt 0xb00
	v_mul_f64_e32 v[202:203], v[4:5], v[14:15]
	v_mul_f64_e32 v[14:15], v[6:7], v[14:15]
	v_add_f64_e32 v[26:27], 0, v[26:27]
	v_fmac_f64_e32 v[200:201], v[188:189], v[8:9]
	v_fma_f64 v[186:187], v[186:187], v[8:9], -v[10:11]
	v_add_f64_e32 v[188:189], 0, v[198:199]
	scratch_load_b128 v[8:11], off, off offset:496
	v_fmac_f64_e32 v[202:203], v[6:7], v[12:13]
	v_fma_f64 v[204:205], v[4:5], v[12:13], -v[14:15]
	ds_load_b128 v[4:7], v2 offset:1360
	s_wait_loadcnt 0xb
	v_mul_f64_e32 v[198:199], v[194:195], v[18:19]
	v_mul_f64_e32 v[18:19], v[196:197], v[18:19]
	scratch_load_b128 v[12:15], off, off offset:512
	v_add_f64_e32 v[26:27], v[26:27], v[186:187]
	v_add_f64_e32 v[200:201], v[188:189], v[200:201]
	ds_load_b128 v[186:189], v2 offset:1376
	s_wait_loadcnt_dscnt 0xb01
	v_mul_f64_e32 v[206:207], v[4:5], v[24:25]
	v_mul_f64_e32 v[24:25], v[6:7], v[24:25]
	v_fmac_f64_e32 v[198:199], v[196:197], v[16:17]
	v_fma_f64 v[194:195], v[194:195], v[16:17], -v[18:19]
	scratch_load_b128 v[16:19], off, off offset:528
	v_add_f64_e32 v[26:27], v[26:27], v[204:205]
	v_add_f64_e32 v[196:197], v[200:201], v[202:203]
	v_fmac_f64_e32 v[206:207], v[6:7], v[22:23]
	v_fma_f64 v[202:203], v[4:5], v[22:23], -v[24:25]
	ds_load_b128 v[4:7], v2 offset:1392
	s_wait_loadcnt_dscnt 0xb01
	v_mul_f64_e32 v[200:201], v[186:187], v[156:157]
	v_mul_f64_e32 v[156:157], v[188:189], v[156:157]
	scratch_load_b128 v[22:25], off, off offset:544
	s_wait_loadcnt_dscnt 0xb00
	v_mul_f64_e32 v[204:205], v[4:5], v[160:161]
	v_mul_f64_e32 v[160:161], v[6:7], v[160:161]
	v_add_f64_e32 v[26:27], v[26:27], v[194:195]
	v_add_f64_e32 v[198:199], v[196:197], v[198:199]
	ds_load_b128 v[194:197], v2 offset:1408
	v_fmac_f64_e32 v[200:201], v[188:189], v[154:155]
	v_fma_f64 v[186:187], v[186:187], v[154:155], -v[156:157]
	scratch_load_b128 v[154:157], off, off offset:560
	v_fmac_f64_e32 v[204:205], v[6:7], v[158:159]
	v_add_f64_e32 v[26:27], v[26:27], v[202:203]
	v_add_f64_e32 v[188:189], v[198:199], v[206:207]
	v_fma_f64 v[202:203], v[4:5], v[158:159], -v[160:161]
	ds_load_b128 v[4:7], v2 offset:1424
	s_wait_loadcnt_dscnt 0xb01
	v_mul_f64_e32 v[198:199], v[194:195], v[164:165]
	v_mul_f64_e32 v[164:165], v[196:197], v[164:165]
	scratch_load_b128 v[158:161], off, off offset:576
	s_wait_loadcnt_dscnt 0xb00
	v_mul_f64_e32 v[206:207], v[4:5], v[168:169]
	v_mul_f64_e32 v[168:169], v[6:7], v[168:169]
	v_add_f64_e32 v[26:27], v[26:27], v[186:187]
	v_add_f64_e32 v[200:201], v[188:189], v[200:201]
	ds_load_b128 v[186:189], v2 offset:1440
	v_fmac_f64_e32 v[198:199], v[196:197], v[162:163]
	v_fma_f64 v[194:195], v[194:195], v[162:163], -v[164:165]
	scratch_load_b128 v[162:165], off, off offset:592
	v_fmac_f64_e32 v[206:207], v[6:7], v[166:167]
	v_add_f64_e32 v[26:27], v[26:27], v[202:203]
	v_add_f64_e32 v[196:197], v[200:201], v[204:205]
	;; [unrolled: 18-line block ×3, first 2 shown]
	v_fma_f64 v[202:203], v[4:5], v[178:179], -v[180:181]
	ds_load_b128 v[4:7], v2 offset:1488
	s_wait_loadcnt_dscnt 0xa01
	v_mul_f64_e32 v[198:199], v[194:195], v[192:193]
	v_mul_f64_e32 v[192:193], v[196:197], v[192:193]
	scratch_load_b128 v[178:181], off, off offset:640
	v_add_f64_e32 v[26:27], v[26:27], v[186:187]
	v_add_f64_e32 v[200:201], v[188:189], v[200:201]
	s_wait_loadcnt_dscnt 0xa00
	v_mul_f64_e32 v[206:207], v[4:5], v[176:177]
	v_mul_f64_e32 v[176:177], v[6:7], v[176:177]
	v_fmac_f64_e32 v[198:199], v[196:197], v[190:191]
	v_fma_f64 v[194:195], v[194:195], v[190:191], -v[192:193]
	ds_load_b128 v[186:189], v2 offset:1504
	scratch_load_b128 v[190:193], off, off offset:656
	v_add_f64_e32 v[26:27], v[26:27], v[202:203]
	v_add_f64_e32 v[196:197], v[200:201], v[204:205]
	v_fmac_f64_e32 v[206:207], v[6:7], v[174:175]
	v_fma_f64 v[202:203], v[4:5], v[174:175], -v[176:177]
	ds_load_b128 v[4:7], v2 offset:1520
	s_wait_loadcnt_dscnt 0xa01
	v_mul_f64_e32 v[200:201], v[186:187], v[10:11]
	v_mul_f64_e32 v[10:11], v[188:189], v[10:11]
	scratch_load_b128 v[174:177], off, off offset:672
	s_wait_loadcnt_dscnt 0xa00
	v_mul_f64_e32 v[204:205], v[4:5], v[14:15]
	v_mul_f64_e32 v[14:15], v[6:7], v[14:15]
	v_add_f64_e32 v[26:27], v[26:27], v[194:195]
	v_add_f64_e32 v[198:199], v[196:197], v[198:199]
	ds_load_b128 v[194:197], v2 offset:1536
	v_fmac_f64_e32 v[200:201], v[188:189], v[8:9]
	v_fma_f64 v[186:187], v[186:187], v[8:9], -v[10:11]
	scratch_load_b128 v[8:11], off, off offset:688
	v_fmac_f64_e32 v[204:205], v[6:7], v[12:13]
	v_add_f64_e32 v[26:27], v[26:27], v[202:203]
	v_add_f64_e32 v[188:189], v[198:199], v[206:207]
	v_fma_f64 v[202:203], v[4:5], v[12:13], -v[14:15]
	ds_load_b128 v[4:7], v2 offset:1552
	s_wait_loadcnt_dscnt 0xa01
	v_mul_f64_e32 v[198:199], v[194:195], v[18:19]
	v_mul_f64_e32 v[18:19], v[196:197], v[18:19]
	scratch_load_b128 v[12:15], off, off offset:704
	s_wait_loadcnt_dscnt 0xa00
	v_mul_f64_e32 v[206:207], v[4:5], v[24:25]
	v_mul_f64_e32 v[24:25], v[6:7], v[24:25]
	v_add_f64_e32 v[26:27], v[26:27], v[186:187]
	v_add_f64_e32 v[200:201], v[188:189], v[200:201]
	ds_load_b128 v[186:189], v2 offset:1568
	v_fmac_f64_e32 v[198:199], v[196:197], v[16:17]
	v_fma_f64 v[194:195], v[194:195], v[16:17], -v[18:19]
	scratch_load_b128 v[16:19], off, off offset:720
	v_fmac_f64_e32 v[206:207], v[6:7], v[22:23]
	v_add_f64_e32 v[26:27], v[26:27], v[202:203]
	v_add_f64_e32 v[196:197], v[200:201], v[204:205]
	;; [unrolled: 18-line block ×10, first 2 shown]
	v_fma_f64 v[202:203], v[4:5], v[166:167], -v[168:169]
	ds_load_b128 v[4:7], v2 offset:1840
	s_wait_loadcnt_dscnt 0xa01
	v_mul_f64_e32 v[200:201], v[186:187], v[172:173]
	v_mul_f64_e32 v[172:173], v[188:189], v[172:173]
	scratch_load_b128 v[166:169], off, off offset:992
	s_wait_loadcnt_dscnt 0xa00
	v_mul_f64_e32 v[204:205], v[4:5], v[180:181]
	v_mul_f64_e32 v[180:181], v[6:7], v[180:181]
	v_add_f64_e32 v[26:27], v[26:27], v[194:195]
	v_add_f64_e32 v[198:199], v[196:197], v[198:199]
	ds_load_b128 v[194:197], v2 offset:1856
	v_fmac_f64_e32 v[200:201], v[188:189], v[170:171]
	v_fma_f64 v[170:171], v[186:187], v[170:171], -v[172:173]
	s_wait_loadcnt_dscnt 0x900
	v_mul_f64_e32 v[186:187], v[194:195], v[192:193]
	v_mul_f64_e32 v[188:189], v[196:197], v[192:193]
	v_fmac_f64_e32 v[204:205], v[6:7], v[178:179]
	v_fma_f64 v[178:179], v[4:5], v[178:179], -v[180:181]
	v_add_f64_e32 v[26:27], v[26:27], v[202:203]
	v_add_f64_e32 v[172:173], v[198:199], v[206:207]
	v_fmac_f64_e32 v[186:187], v[196:197], v[190:191]
	v_fma_f64 v[188:189], v[194:195], v[190:191], -v[188:189]
	s_delay_alu instid0(VALU_DEP_4) | instskip(NEXT) | instid1(VALU_DEP_4)
	v_add_f64_e32 v[26:27], v[26:27], v[170:171]
	v_add_f64_e32 v[180:181], v[172:173], v[200:201]
	ds_load_b128 v[4:7], v2 offset:1872
	ds_load_b128 v[170:173], v2 offset:1888
	s_wait_loadcnt_dscnt 0x801
	v_mul_f64_e32 v[192:193], v[4:5], v[176:177]
	v_mul_f64_e32 v[176:177], v[6:7], v[176:177]
	v_add_f64_e32 v[26:27], v[26:27], v[178:179]
	v_add_f64_e32 v[178:179], v[180:181], v[204:205]
	s_wait_loadcnt_dscnt 0x700
	v_mul_f64_e32 v[180:181], v[170:171], v[10:11]
	v_mul_f64_e32 v[10:11], v[172:173], v[10:11]
	v_fmac_f64_e32 v[192:193], v[6:7], v[174:175]
	v_fma_f64 v[190:191], v[4:5], v[174:175], -v[176:177]
	ds_load_b128 v[4:7], v2 offset:1904
	ds_load_b128 v[174:177], v2 offset:1920
	v_add_f64_e32 v[26:27], v[26:27], v[188:189]
	v_add_f64_e32 v[178:179], v[178:179], v[186:187]
	v_fmac_f64_e32 v[180:181], v[172:173], v[8:9]
	v_fma_f64 v[8:9], v[170:171], v[8:9], -v[10:11]
	s_wait_loadcnt_dscnt 0x601
	v_mul_f64_e32 v[186:187], v[4:5], v[14:15]
	v_mul_f64_e32 v[14:15], v[6:7], v[14:15]
	s_wait_loadcnt_dscnt 0x500
	v_mul_f64_e32 v[170:171], v[174:175], v[18:19]
	v_mul_f64_e32 v[18:19], v[176:177], v[18:19]
	v_add_f64_e32 v[10:11], v[26:27], v[190:191]
	v_add_f64_e32 v[26:27], v[178:179], v[192:193]
	v_fmac_f64_e32 v[186:187], v[6:7], v[12:13]
	v_fma_f64 v[12:13], v[4:5], v[12:13], -v[14:15]
	v_fmac_f64_e32 v[170:171], v[176:177], v[16:17]
	v_fma_f64 v[16:17], v[174:175], v[16:17], -v[18:19]
	v_add_f64_e32 v[14:15], v[10:11], v[8:9]
	v_add_f64_e32 v[26:27], v[26:27], v[180:181]
	ds_load_b128 v[4:7], v2 offset:1936
	ds_load_b128 v[8:11], v2 offset:1952
	s_wait_loadcnt_dscnt 0x401
	v_mul_f64_e32 v[172:173], v[4:5], v[24:25]
	v_mul_f64_e32 v[24:25], v[6:7], v[24:25]
	s_wait_loadcnt_dscnt 0x300
	v_mul_f64_e32 v[18:19], v[8:9], v[156:157]
	v_add_f64_e32 v[12:13], v[14:15], v[12:13]
	v_add_f64_e32 v[14:15], v[26:27], v[186:187]
	v_mul_f64_e32 v[26:27], v[10:11], v[156:157]
	v_fmac_f64_e32 v[172:173], v[6:7], v[22:23]
	v_fma_f64 v[22:23], v[4:5], v[22:23], -v[24:25]
	v_fmac_f64_e32 v[18:19], v[10:11], v[154:155]
	v_add_f64_e32 v[16:17], v[12:13], v[16:17]
	v_add_f64_e32 v[24:25], v[14:15], v[170:171]
	ds_load_b128 v[4:7], v2 offset:1968
	ds_load_b128 v[12:15], v2 offset:1984
	v_fma_f64 v[8:9], v[8:9], v[154:155], -v[26:27]
	s_wait_loadcnt_dscnt 0x201
	v_mul_f64_e32 v[156:157], v[4:5], v[160:161]
	v_mul_f64_e32 v[160:161], v[6:7], v[160:161]
	v_add_f64_e32 v[10:11], v[16:17], v[22:23]
	v_add_f64_e32 v[16:17], v[24:25], v[172:173]
	s_wait_loadcnt_dscnt 0x100
	v_mul_f64_e32 v[22:23], v[12:13], v[164:165]
	v_mul_f64_e32 v[24:25], v[14:15], v[164:165]
	v_fmac_f64_e32 v[156:157], v[6:7], v[158:159]
	v_fma_f64 v[26:27], v[4:5], v[158:159], -v[160:161]
	ds_load_b128 v[4:7], v2 offset:2000
	v_add_f64_e32 v[8:9], v[10:11], v[8:9]
	v_add_f64_e32 v[10:11], v[16:17], v[18:19]
	v_fmac_f64_e32 v[22:23], v[14:15], v[162:163]
	v_fma_f64 v[12:13], v[12:13], v[162:163], -v[24:25]
	s_wait_loadcnt_dscnt 0x0
	v_mul_f64_e32 v[16:17], v[4:5], v[168:169]
	v_mul_f64_e32 v[18:19], v[6:7], v[168:169]
	v_add_f64_e32 v[8:9], v[8:9], v[26:27]
	v_add_f64_e32 v[10:11], v[10:11], v[156:157]
	s_delay_alu instid0(VALU_DEP_4) | instskip(NEXT) | instid1(VALU_DEP_4)
	v_fmac_f64_e32 v[16:17], v[6:7], v[166:167]
	v_fma_f64 v[4:5], v[4:5], v[166:167], -v[18:19]
	s_delay_alu instid0(VALU_DEP_4) | instskip(NEXT) | instid1(VALU_DEP_4)
	v_add_f64_e32 v[6:7], v[8:9], v[12:13]
	v_add_f64_e32 v[8:9], v[10:11], v[22:23]
	s_delay_alu instid0(VALU_DEP_2) | instskip(NEXT) | instid1(VALU_DEP_2)
	v_add_f64_e32 v[4:5], v[6:7], v[4:5]
	v_add_f64_e32 v[6:7], v[8:9], v[16:17]
	s_delay_alu instid0(VALU_DEP_2) | instskip(NEXT) | instid1(VALU_DEP_2)
	v_add_f64_e64 v[4:5], v[182:183], -v[4:5]
	v_add_f64_e64 v[6:7], v[184:185], -v[6:7]
	scratch_store_b128 off, v[4:7], off offset:272
	s_wait_xcnt 0x0
	v_cmpx_lt_u32_e32 16, v1
	s_cbranch_execz .LBB62_371
; %bb.370:
	scratch_load_b128 v[6:9], off, s56
	v_dual_mov_b32 v3, v2 :: v_dual_mov_b32 v4, v2
	v_mov_b32_e32 v5, v2
	scratch_store_b128 off, v[2:5], off offset:256
	s_wait_loadcnt 0x0
	ds_store_b128 v20, v[6:9]
.LBB62_371:
	s_wait_xcnt 0x0
	s_or_b32 exec_lo, exec_lo, s2
	s_wait_storecnt_dscnt 0x0
	s_barrier_signal -1
	s_barrier_wait -1
	s_clause 0x9
	scratch_load_b128 v[4:7], off, off offset:272
	scratch_load_b128 v[8:11], off, off offset:288
	scratch_load_b128 v[12:15], off, off offset:304
	scratch_load_b128 v[16:19], off, off offset:320
	scratch_load_b128 v[22:25], off, off offset:336
	scratch_load_b128 v[154:157], off, off offset:352
	scratch_load_b128 v[158:161], off, off offset:368
	scratch_load_b128 v[162:165], off, off offset:384
	scratch_load_b128 v[166:169], off, off offset:400
	scratch_load_b128 v[170:173], off, off offset:416
	ds_load_b128 v[174:177], v2 offset:1280
	ds_load_b128 v[182:185], v2 offset:1296
	s_clause 0x2
	scratch_load_b128 v[178:181], off, off offset:432
	scratch_load_b128 v[186:189], off, off offset:256
	;; [unrolled: 1-line block ×3, first 2 shown]
	s_mov_b32 s2, exec_lo
	s_wait_loadcnt_dscnt 0xc01
	v_mul_f64_e32 v[26:27], v[176:177], v[6:7]
	v_mul_f64_e32 v[198:199], v[174:175], v[6:7]
	s_wait_loadcnt_dscnt 0xb00
	v_mul_f64_e32 v[200:201], v[182:183], v[10:11]
	v_mul_f64_e32 v[10:11], v[184:185], v[10:11]
	s_delay_alu instid0(VALU_DEP_4) | instskip(NEXT) | instid1(VALU_DEP_4)
	v_fma_f64 v[26:27], v[174:175], v[4:5], -v[26:27]
	v_fmac_f64_e32 v[198:199], v[176:177], v[4:5]
	ds_load_b128 v[4:7], v2 offset:1312
	ds_load_b128 v[174:177], v2 offset:1328
	scratch_load_b128 v[194:197], off, off offset:464
	v_fmac_f64_e32 v[200:201], v[184:185], v[8:9]
	v_fma_f64 v[182:183], v[182:183], v[8:9], -v[10:11]
	scratch_load_b128 v[8:11], off, off offset:480
	s_wait_loadcnt_dscnt 0xc01
	v_mul_f64_e32 v[202:203], v[4:5], v[14:15]
	v_mul_f64_e32 v[14:15], v[6:7], v[14:15]
	v_add_f64_e32 v[26:27], 0, v[26:27]
	v_add_f64_e32 v[184:185], 0, v[198:199]
	s_wait_loadcnt_dscnt 0xb00
	v_mul_f64_e32 v[198:199], v[174:175], v[18:19]
	v_mul_f64_e32 v[18:19], v[176:177], v[18:19]
	v_fmac_f64_e32 v[202:203], v[6:7], v[12:13]
	v_fma_f64 v[204:205], v[4:5], v[12:13], -v[14:15]
	ds_load_b128 v[4:7], v2 offset:1344
	ds_load_b128 v[12:15], v2 offset:1360
	v_add_f64_e32 v[26:27], v[26:27], v[182:183]
	v_add_f64_e32 v[200:201], v[184:185], v[200:201]
	scratch_load_b128 v[182:185], off, off offset:496
	v_fmac_f64_e32 v[198:199], v[176:177], v[16:17]
	v_fma_f64 v[174:175], v[174:175], v[16:17], -v[18:19]
	scratch_load_b128 v[16:19], off, off offset:512
	s_wait_loadcnt_dscnt 0xc01
	v_mul_f64_e32 v[206:207], v[4:5], v[24:25]
	v_mul_f64_e32 v[24:25], v[6:7], v[24:25]
	v_add_f64_e32 v[26:27], v[26:27], v[204:205]
	v_add_f64_e32 v[176:177], v[200:201], v[202:203]
	s_wait_loadcnt_dscnt 0xb00
	v_mul_f64_e32 v[200:201], v[12:13], v[156:157]
	v_mul_f64_e32 v[156:157], v[14:15], v[156:157]
	v_fmac_f64_e32 v[206:207], v[6:7], v[22:23]
	v_fma_f64 v[202:203], v[4:5], v[22:23], -v[24:25]
	ds_load_b128 v[4:7], v2 offset:1376
	ds_load_b128 v[22:25], v2 offset:1392
	s_wait_loadcnt_dscnt 0xa01
	v_mul_f64_e32 v[204:205], v[4:5], v[160:161]
	v_add_f64_e32 v[26:27], v[26:27], v[174:175]
	v_add_f64_e32 v[198:199], v[176:177], v[198:199]
	scratch_load_b128 v[174:177], off, off offset:528
	v_mul_f64_e32 v[160:161], v[6:7], v[160:161]
	v_fmac_f64_e32 v[200:201], v[14:15], v[154:155]
	v_fma_f64 v[154:155], v[12:13], v[154:155], -v[156:157]
	scratch_load_b128 v[12:15], off, off offset:544
	v_fmac_f64_e32 v[204:205], v[6:7], v[158:159]
	v_add_f64_e32 v[26:27], v[26:27], v[202:203]
	v_add_f64_e32 v[156:157], v[198:199], v[206:207]
	s_wait_loadcnt_dscnt 0xb00
	v_mul_f64_e32 v[198:199], v[22:23], v[164:165]
	v_mul_f64_e32 v[164:165], v[24:25], v[164:165]
	v_fma_f64 v[202:203], v[4:5], v[158:159], -v[160:161]
	v_add_f64_e32 v[26:27], v[26:27], v[154:155]
	v_add_f64_e32 v[200:201], v[156:157], v[200:201]
	ds_load_b128 v[4:7], v2 offset:1408
	ds_load_b128 v[154:157], v2 offset:1424
	scratch_load_b128 v[158:161], off, off offset:560
	v_fmac_f64_e32 v[198:199], v[24:25], v[162:163]
	v_fma_f64 v[162:163], v[22:23], v[162:163], -v[164:165]
	scratch_load_b128 v[22:25], off, off offset:576
	s_wait_loadcnt_dscnt 0xc01
	v_mul_f64_e32 v[206:207], v[4:5], v[168:169]
	v_mul_f64_e32 v[168:169], v[6:7], v[168:169]
	v_add_f64_e32 v[26:27], v[26:27], v[202:203]
	v_add_f64_e32 v[164:165], v[200:201], v[204:205]
	s_wait_loadcnt_dscnt 0xb00
	v_mul_f64_e32 v[200:201], v[154:155], v[172:173]
	v_mul_f64_e32 v[172:173], v[156:157], v[172:173]
	v_fmac_f64_e32 v[206:207], v[6:7], v[166:167]
	v_fma_f64 v[202:203], v[4:5], v[166:167], -v[168:169]
	v_add_f64_e32 v[26:27], v[26:27], v[162:163]
	v_add_f64_e32 v[198:199], v[164:165], v[198:199]
	ds_load_b128 v[4:7], v2 offset:1440
	ds_load_b128 v[162:165], v2 offset:1456
	scratch_load_b128 v[166:169], off, off offset:592
	v_fmac_f64_e32 v[200:201], v[156:157], v[170:171]
	v_fma_f64 v[170:171], v[154:155], v[170:171], -v[172:173]
	scratch_load_b128 v[154:157], off, off offset:608
	s_wait_loadcnt_dscnt 0xc01
	v_mul_f64_e32 v[204:205], v[4:5], v[180:181]
	v_mul_f64_e32 v[180:181], v[6:7], v[180:181]
	v_add_f64_e32 v[26:27], v[26:27], v[202:203]
	v_add_f64_e32 v[172:173], v[198:199], v[206:207]
	s_wait_loadcnt_dscnt 0xa00
	v_mul_f64_e32 v[198:199], v[162:163], v[192:193]
	v_mul_f64_e32 v[192:193], v[164:165], v[192:193]
	v_fmac_f64_e32 v[204:205], v[6:7], v[178:179]
	;; [unrolled: 18-line block ×5, first 2 shown]
	v_fma_f64 v[202:203], v[4:5], v[174:175], -v[176:177]
	ds_load_b128 v[4:7], v2 offset:1568
	ds_load_b128 v[174:177], v2 offset:1584
	v_add_f64_e32 v[26:27], v[26:27], v[190:191]
	v_add_f64_e32 v[198:199], v[192:193], v[198:199]
	scratch_load_b128 v[190:193], off, off offset:720
	v_fmac_f64_e32 v[200:201], v[172:173], v[12:13]
	v_fma_f64 v[170:171], v[170:171], v[12:13], -v[14:15]
	scratch_load_b128 v[12:15], off, off offset:736
	s_wait_loadcnt_dscnt 0xb01
	v_mul_f64_e32 v[204:205], v[4:5], v[160:161]
	v_mul_f64_e32 v[160:161], v[6:7], v[160:161]
	v_add_f64_e32 v[26:27], v[26:27], v[202:203]
	v_add_f64_e32 v[172:173], v[198:199], v[206:207]
	s_wait_loadcnt_dscnt 0xa00
	v_mul_f64_e32 v[198:199], v[174:175], v[24:25]
	v_mul_f64_e32 v[202:203], v[176:177], v[24:25]
	v_fmac_f64_e32 v[204:205], v[6:7], v[158:159]
	v_fma_f64 v[206:207], v[4:5], v[158:159], -v[160:161]
	v_add_f64_e32 v[170:171], v[26:27], v[170:171]
	v_add_f64_e32 v[172:173], v[172:173], v[200:201]
	ds_load_b128 v[4:7], v2 offset:1600
	ds_load_b128 v[24:27], v2 offset:1616
	scratch_load_b128 v[158:161], off, off offset:752
	v_fmac_f64_e32 v[198:199], v[176:177], v[22:23]
	v_fma_f64 v[22:23], v[174:175], v[22:23], -v[202:203]
	s_wait_loadcnt_dscnt 0xa01
	v_mul_f64_e32 v[208:209], v[4:5], v[168:169]
	v_mul_f64_e32 v[200:201], v[6:7], v[168:169]
	s_wait_loadcnt_dscnt 0x900
	v_mul_f64_e32 v[176:177], v[24:25], v[156:157]
	v_mul_f64_e32 v[156:157], v[26:27], v[156:157]
	v_add_f64_e32 v[174:175], v[170:171], v[206:207]
	v_add_f64_e32 v[172:173], v[172:173], v[204:205]
	scratch_load_b128 v[168:171], off, off offset:768
	v_fmac_f64_e32 v[208:209], v[6:7], v[166:167]
	v_fma_f64 v[166:167], v[4:5], v[166:167], -v[200:201]
	v_fmac_f64_e32 v[176:177], v[26:27], v[154:155]
	v_fma_f64 v[26:27], v[24:25], v[154:155], -v[156:157]
	v_add_f64_e32 v[22:23], v[174:175], v[22:23]
	v_add_f64_e32 v[202:203], v[172:173], v[198:199]
	ds_load_b128 v[4:7], v2 offset:1632
	ds_load_b128 v[172:175], v2 offset:1648
	scratch_load_b128 v[198:201], off, off offset:784
	s_wait_loadcnt_dscnt 0xa01
	v_mul_f64_e32 v[204:205], v[4:5], v[180:181]
	v_mul_f64_e32 v[180:181], v[6:7], v[180:181]
	s_wait_loadcnt_dscnt 0x900
	v_mul_f64_e32 v[206:207], v[174:175], v[164:165]
	v_add_f64_e32 v[154:155], v[22:23], v[166:167]
	v_add_f64_e32 v[156:157], v[202:203], v[208:209]
	scratch_load_b128 v[22:25], off, off offset:800
	v_mul_f64_e32 v[202:203], v[172:173], v[164:165]
	v_fmac_f64_e32 v[204:205], v[6:7], v[178:179]
	v_fma_f64 v[178:179], v[4:5], v[178:179], -v[180:181]
	v_add_f64_e32 v[26:27], v[154:155], v[26:27]
	v_add_f64_e32 v[176:177], v[156:157], v[176:177]
	ds_load_b128 v[4:7], v2 offset:1664
	ds_load_b128 v[154:157], v2 offset:1680
	scratch_load_b128 v[164:167], off, off offset:816
	v_fmac_f64_e32 v[202:203], v[174:175], v[162:163]
	v_fma_f64 v[162:163], v[172:173], v[162:163], -v[206:207]
	scratch_load_b128 v[172:175], off, off offset:832
	s_wait_loadcnt_dscnt 0xb01
	v_mul_f64_e32 v[180:181], v[4:5], v[196:197]
	v_mul_f64_e32 v[196:197], v[6:7], v[196:197]
	v_add_f64_e32 v[26:27], v[26:27], v[178:179]
	v_add_f64_e32 v[176:177], v[176:177], v[204:205]
	s_wait_loadcnt_dscnt 0xa00
	v_mul_f64_e32 v[204:205], v[154:155], v[10:11]
	v_mul_f64_e32 v[10:11], v[156:157], v[10:11]
	v_fmac_f64_e32 v[180:181], v[6:7], v[194:195]
	v_fma_f64 v[206:207], v[4:5], v[194:195], -v[196:197]
	v_add_f64_e32 v[26:27], v[26:27], v[162:163]
	v_add_f64_e32 v[162:163], v[176:177], v[202:203]
	ds_load_b128 v[4:7], v2 offset:1696
	ds_load_b128 v[176:179], v2 offset:1712
	scratch_load_b128 v[194:197], off, off offset:848
	v_fmac_f64_e32 v[204:205], v[156:157], v[8:9]
	v_fma_f64 v[154:155], v[154:155], v[8:9], -v[10:11]
	scratch_load_b128 v[8:11], off, off offset:864
	s_wait_loadcnt_dscnt 0xb01
	v_mul_f64_e32 v[202:203], v[4:5], v[184:185]
	v_mul_f64_e32 v[184:185], v[6:7], v[184:185]
	v_add_f64_e32 v[26:27], v[26:27], v[206:207]
	v_add_f64_e32 v[156:157], v[162:163], v[180:181]
	s_wait_loadcnt_dscnt 0xa00
	v_mul_f64_e32 v[162:163], v[176:177], v[18:19]
	;; [unrolled: 18-line block ×6, first 2 shown]
	v_mul_f64_e32 v[174:175], v[26:27], v[174:175]
	v_fmac_f64_e32 v[204:205], v[6:7], v[164:165]
	v_fma_f64 v[166:167], v[4:5], v[164:165], -v[166:167]
	v_add_f64_e32 v[22:23], v[198:199], v[22:23]
	v_add_f64_e32 v[184:185], v[162:163], v[184:185]
	ds_load_b128 v[4:7], v2 offset:1856
	ds_load_b128 v[162:165], v2 offset:1872
	v_fmac_f64_e32 v[200:201], v[26:27], v[172:173]
	v_fma_f64 v[24:25], v[24:25], v[172:173], -v[174:175]
	s_wait_loadcnt_dscnt 0x901
	v_mul_f64_e32 v[198:199], v[4:5], v[196:197]
	v_mul_f64_e32 v[196:197], v[6:7], v[196:197]
	v_add_f64_e32 v[22:23], v[22:23], v[166:167]
	v_add_f64_e32 v[26:27], v[184:185], v[204:205]
	s_wait_loadcnt_dscnt 0x800
	v_mul_f64_e32 v[166:167], v[162:163], v[10:11]
	v_mul_f64_e32 v[10:11], v[164:165], v[10:11]
	v_fmac_f64_e32 v[198:199], v[6:7], v[194:195]
	v_fma_f64 v[172:173], v[4:5], v[194:195], -v[196:197]
	v_add_f64_e32 v[174:175], v[22:23], v[24:25]
	v_add_f64_e32 v[26:27], v[26:27], v[200:201]
	ds_load_b128 v[4:7], v2 offset:1888
	ds_load_b128 v[22:25], v2 offset:1904
	v_fmac_f64_e32 v[166:167], v[164:165], v[8:9]
	v_fma_f64 v[8:9], v[162:163], v[8:9], -v[10:11]
	s_wait_loadcnt_dscnt 0x701
	v_mul_f64_e32 v[184:185], v[4:5], v[182:183]
	v_mul_f64_e32 v[182:183], v[6:7], v[182:183]
	s_wait_loadcnt_dscnt 0x600
	v_mul_f64_e32 v[162:163], v[22:23], v[18:19]
	v_mul_f64_e32 v[18:19], v[24:25], v[18:19]
	v_add_f64_e32 v[10:11], v[174:175], v[172:173]
	v_add_f64_e32 v[26:27], v[26:27], v[198:199]
	v_fmac_f64_e32 v[184:185], v[6:7], v[180:181]
	v_fma_f64 v[164:165], v[4:5], v[180:181], -v[182:183]
	v_fmac_f64_e32 v[162:163], v[24:25], v[16:17]
	v_fma_f64 v[16:17], v[22:23], v[16:17], -v[18:19]
	v_add_f64_e32 v[172:173], v[10:11], v[8:9]
	v_add_f64_e32 v[26:27], v[26:27], v[166:167]
	ds_load_b128 v[4:7], v2 offset:1920
	ds_load_b128 v[8:11], v2 offset:1936
	s_wait_loadcnt_dscnt 0x501
	v_mul_f64_e32 v[166:167], v[4:5], v[192:193]
	v_mul_f64_e32 v[174:175], v[6:7], v[192:193]
	s_wait_loadcnt_dscnt 0x400
	v_mul_f64_e32 v[24:25], v[8:9], v[14:15]
	v_add_f64_e32 v[18:19], v[172:173], v[164:165]
	v_add_f64_e32 v[22:23], v[26:27], v[184:185]
	v_mul_f64_e32 v[26:27], v[10:11], v[14:15]
	v_fmac_f64_e32 v[166:167], v[6:7], v[190:191]
	v_fma_f64 v[164:165], v[4:5], v[190:191], -v[174:175]
	v_fmac_f64_e32 v[24:25], v[10:11], v[12:13]
	v_add_f64_e32 v[18:19], v[18:19], v[16:17]
	v_add_f64_e32 v[22:23], v[22:23], v[162:163]
	ds_load_b128 v[4:7], v2 offset:1952
	ds_load_b128 v[14:17], v2 offset:1968
	v_fma_f64 v[8:9], v[8:9], v[12:13], -v[26:27]
	s_wait_loadcnt_dscnt 0x301
	v_mul_f64_e32 v[162:163], v[4:5], v[160:161]
	v_mul_f64_e32 v[160:161], v[6:7], v[160:161]
	v_add_f64_e32 v[10:11], v[18:19], v[164:165]
	v_add_f64_e32 v[12:13], v[22:23], v[166:167]
	s_wait_loadcnt_dscnt 0x200
	v_mul_f64_e32 v[18:19], v[14:15], v[170:171]
	v_mul_f64_e32 v[22:23], v[16:17], v[170:171]
	v_fmac_f64_e32 v[162:163], v[6:7], v[158:159]
	v_fma_f64 v[26:27], v[4:5], v[158:159], -v[160:161]
	v_add_f64_e32 v[158:159], v[10:11], v[8:9]
	v_add_f64_e32 v[12:13], v[12:13], v[24:25]
	ds_load_b128 v[4:7], v2 offset:1984
	ds_load_b128 v[8:11], v2 offset:2000
	v_fmac_f64_e32 v[18:19], v[16:17], v[168:169]
	v_fma_f64 v[14:15], v[14:15], v[168:169], -v[22:23]
	s_wait_loadcnt_dscnt 0x101
	v_mul_f64_e32 v[2:3], v[4:5], v[178:179]
	v_mul_f64_e32 v[24:25], v[6:7], v[178:179]
	s_wait_loadcnt_dscnt 0x0
	v_mul_f64_e32 v[22:23], v[8:9], v[156:157]
	v_add_f64_e32 v[16:17], v[158:159], v[26:27]
	v_add_f64_e32 v[12:13], v[12:13], v[162:163]
	v_mul_f64_e32 v[26:27], v[10:11], v[156:157]
	v_fmac_f64_e32 v[2:3], v[6:7], v[176:177]
	v_fma_f64 v[4:5], v[4:5], v[176:177], -v[24:25]
	v_fmac_f64_e32 v[22:23], v[10:11], v[154:155]
	v_add_f64_e32 v[6:7], v[16:17], v[14:15]
	v_add_f64_e32 v[12:13], v[12:13], v[18:19]
	v_fma_f64 v[8:9], v[8:9], v[154:155], -v[26:27]
	s_delay_alu instid0(VALU_DEP_3) | instskip(NEXT) | instid1(VALU_DEP_3)
	v_add_f64_e32 v[4:5], v[6:7], v[4:5]
	v_add_f64_e32 v[2:3], v[12:13], v[2:3]
	s_delay_alu instid0(VALU_DEP_2) | instskip(NEXT) | instid1(VALU_DEP_2)
	v_add_f64_e32 v[4:5], v[4:5], v[8:9]
	v_add_f64_e32 v[6:7], v[2:3], v[22:23]
	s_delay_alu instid0(VALU_DEP_2) | instskip(NEXT) | instid1(VALU_DEP_2)
	v_add_f64_e64 v[2:3], v[186:187], -v[4:5]
	v_add_f64_e64 v[4:5], v[188:189], -v[6:7]
	scratch_store_b128 off, v[2:5], off offset:256
	s_wait_xcnt 0x0
	v_cmpx_lt_u32_e32 15, v1
	s_cbranch_execz .LBB62_373
; %bb.372:
	scratch_load_b128 v[2:5], off, s55
	v_mov_b32_e32 v6, 0
	s_delay_alu instid0(VALU_DEP_1)
	v_dual_mov_b32 v7, v6 :: v_dual_mov_b32 v8, v6
	v_mov_b32_e32 v9, v6
	scratch_store_b128 off, v[6:9], off offset:240
	s_wait_loadcnt 0x0
	ds_store_b128 v20, v[2:5]
.LBB62_373:
	s_wait_xcnt 0x0
	s_or_b32 exec_lo, exec_lo, s2
	s_wait_storecnt_dscnt 0x0
	s_barrier_signal -1
	s_barrier_wait -1
	s_clause 0x9
	scratch_load_b128 v[4:7], off, off offset:256
	scratch_load_b128 v[8:11], off, off offset:272
	;; [unrolled: 1-line block ×10, first 2 shown]
	v_mov_b32_e32 v2, 0
	s_mov_b32 s2, exec_lo
	ds_load_b128 v[174:177], v2 offset:1264
	s_clause 0x2
	scratch_load_b128 v[178:181], off, off offset:416
	scratch_load_b128 v[182:185], off, off offset:240
	;; [unrolled: 1-line block ×3, first 2 shown]
	s_wait_loadcnt_dscnt 0xc00
	v_mul_f64_e32 v[26:27], v[176:177], v[6:7]
	v_mul_f64_e32 v[198:199], v[174:175], v[6:7]
	ds_load_b128 v[186:189], v2 offset:1280
	ds_load_b128 v[194:197], v2 offset:1312
	v_fma_f64 v[26:27], v[174:175], v[4:5], -v[26:27]
	v_fmac_f64_e32 v[198:199], v[176:177], v[4:5]
	ds_load_b128 v[4:7], v2 offset:1296
	s_wait_loadcnt_dscnt 0xb02
	v_mul_f64_e32 v[200:201], v[186:187], v[10:11]
	v_mul_f64_e32 v[10:11], v[188:189], v[10:11]
	scratch_load_b128 v[174:177], off, off offset:448
	s_wait_loadcnt_dscnt 0xb00
	v_mul_f64_e32 v[202:203], v[4:5], v[14:15]
	v_mul_f64_e32 v[14:15], v[6:7], v[14:15]
	v_add_f64_e32 v[26:27], 0, v[26:27]
	v_fmac_f64_e32 v[200:201], v[188:189], v[8:9]
	v_fma_f64 v[186:187], v[186:187], v[8:9], -v[10:11]
	v_add_f64_e32 v[188:189], 0, v[198:199]
	scratch_load_b128 v[8:11], off, off offset:464
	v_fmac_f64_e32 v[202:203], v[6:7], v[12:13]
	v_fma_f64 v[204:205], v[4:5], v[12:13], -v[14:15]
	ds_load_b128 v[4:7], v2 offset:1328
	s_wait_loadcnt 0xb
	v_mul_f64_e32 v[198:199], v[194:195], v[18:19]
	v_mul_f64_e32 v[18:19], v[196:197], v[18:19]
	scratch_load_b128 v[12:15], off, off offset:480
	v_add_f64_e32 v[26:27], v[26:27], v[186:187]
	v_add_f64_e32 v[200:201], v[188:189], v[200:201]
	ds_load_b128 v[186:189], v2 offset:1344
	s_wait_loadcnt_dscnt 0xb01
	v_mul_f64_e32 v[206:207], v[4:5], v[24:25]
	v_mul_f64_e32 v[24:25], v[6:7], v[24:25]
	v_fmac_f64_e32 v[198:199], v[196:197], v[16:17]
	v_fma_f64 v[194:195], v[194:195], v[16:17], -v[18:19]
	scratch_load_b128 v[16:19], off, off offset:496
	v_add_f64_e32 v[26:27], v[26:27], v[204:205]
	v_add_f64_e32 v[196:197], v[200:201], v[202:203]
	v_fmac_f64_e32 v[206:207], v[6:7], v[22:23]
	v_fma_f64 v[202:203], v[4:5], v[22:23], -v[24:25]
	ds_load_b128 v[4:7], v2 offset:1360
	s_wait_loadcnt_dscnt 0xb01
	v_mul_f64_e32 v[200:201], v[186:187], v[156:157]
	v_mul_f64_e32 v[156:157], v[188:189], v[156:157]
	scratch_load_b128 v[22:25], off, off offset:512
	s_wait_loadcnt_dscnt 0xb00
	v_mul_f64_e32 v[204:205], v[4:5], v[160:161]
	v_mul_f64_e32 v[160:161], v[6:7], v[160:161]
	v_add_f64_e32 v[26:27], v[26:27], v[194:195]
	v_add_f64_e32 v[198:199], v[196:197], v[198:199]
	ds_load_b128 v[194:197], v2 offset:1376
	v_fmac_f64_e32 v[200:201], v[188:189], v[154:155]
	v_fma_f64 v[186:187], v[186:187], v[154:155], -v[156:157]
	scratch_load_b128 v[154:157], off, off offset:528
	v_fmac_f64_e32 v[204:205], v[6:7], v[158:159]
	v_add_f64_e32 v[26:27], v[26:27], v[202:203]
	v_add_f64_e32 v[188:189], v[198:199], v[206:207]
	v_fma_f64 v[202:203], v[4:5], v[158:159], -v[160:161]
	ds_load_b128 v[4:7], v2 offset:1392
	s_wait_loadcnt_dscnt 0xb01
	v_mul_f64_e32 v[198:199], v[194:195], v[164:165]
	v_mul_f64_e32 v[164:165], v[196:197], v[164:165]
	scratch_load_b128 v[158:161], off, off offset:544
	s_wait_loadcnt_dscnt 0xb00
	v_mul_f64_e32 v[206:207], v[4:5], v[168:169]
	v_mul_f64_e32 v[168:169], v[6:7], v[168:169]
	v_add_f64_e32 v[26:27], v[26:27], v[186:187]
	v_add_f64_e32 v[200:201], v[188:189], v[200:201]
	ds_load_b128 v[186:189], v2 offset:1408
	v_fmac_f64_e32 v[198:199], v[196:197], v[162:163]
	v_fma_f64 v[194:195], v[194:195], v[162:163], -v[164:165]
	scratch_load_b128 v[162:165], off, off offset:560
	v_fmac_f64_e32 v[206:207], v[6:7], v[166:167]
	v_add_f64_e32 v[26:27], v[26:27], v[202:203]
	v_add_f64_e32 v[196:197], v[200:201], v[204:205]
	;; [unrolled: 18-line block ×3, first 2 shown]
	v_fma_f64 v[202:203], v[4:5], v[178:179], -v[180:181]
	ds_load_b128 v[4:7], v2 offset:1456
	s_wait_loadcnt_dscnt 0xa01
	v_mul_f64_e32 v[198:199], v[194:195], v[192:193]
	v_mul_f64_e32 v[192:193], v[196:197], v[192:193]
	scratch_load_b128 v[178:181], off, off offset:608
	v_add_f64_e32 v[26:27], v[26:27], v[186:187]
	v_add_f64_e32 v[200:201], v[188:189], v[200:201]
	s_wait_loadcnt_dscnt 0xa00
	v_mul_f64_e32 v[206:207], v[4:5], v[176:177]
	v_mul_f64_e32 v[176:177], v[6:7], v[176:177]
	v_fmac_f64_e32 v[198:199], v[196:197], v[190:191]
	v_fma_f64 v[194:195], v[194:195], v[190:191], -v[192:193]
	ds_load_b128 v[186:189], v2 offset:1472
	scratch_load_b128 v[190:193], off, off offset:624
	v_add_f64_e32 v[26:27], v[26:27], v[202:203]
	v_add_f64_e32 v[196:197], v[200:201], v[204:205]
	v_fmac_f64_e32 v[206:207], v[6:7], v[174:175]
	v_fma_f64 v[202:203], v[4:5], v[174:175], -v[176:177]
	ds_load_b128 v[4:7], v2 offset:1488
	s_wait_loadcnt_dscnt 0xa01
	v_mul_f64_e32 v[200:201], v[186:187], v[10:11]
	v_mul_f64_e32 v[10:11], v[188:189], v[10:11]
	scratch_load_b128 v[174:177], off, off offset:640
	s_wait_loadcnt_dscnt 0xa00
	v_mul_f64_e32 v[204:205], v[4:5], v[14:15]
	v_mul_f64_e32 v[14:15], v[6:7], v[14:15]
	v_add_f64_e32 v[26:27], v[26:27], v[194:195]
	v_add_f64_e32 v[198:199], v[196:197], v[198:199]
	ds_load_b128 v[194:197], v2 offset:1504
	v_fmac_f64_e32 v[200:201], v[188:189], v[8:9]
	v_fma_f64 v[186:187], v[186:187], v[8:9], -v[10:11]
	scratch_load_b128 v[8:11], off, off offset:656
	v_fmac_f64_e32 v[204:205], v[6:7], v[12:13]
	v_add_f64_e32 v[26:27], v[26:27], v[202:203]
	v_add_f64_e32 v[188:189], v[198:199], v[206:207]
	v_fma_f64 v[202:203], v[4:5], v[12:13], -v[14:15]
	ds_load_b128 v[4:7], v2 offset:1520
	s_wait_loadcnt_dscnt 0xa01
	v_mul_f64_e32 v[198:199], v[194:195], v[18:19]
	v_mul_f64_e32 v[18:19], v[196:197], v[18:19]
	scratch_load_b128 v[12:15], off, off offset:672
	s_wait_loadcnt_dscnt 0xa00
	v_mul_f64_e32 v[206:207], v[4:5], v[24:25]
	v_mul_f64_e32 v[24:25], v[6:7], v[24:25]
	v_add_f64_e32 v[26:27], v[26:27], v[186:187]
	v_add_f64_e32 v[200:201], v[188:189], v[200:201]
	ds_load_b128 v[186:189], v2 offset:1536
	v_fmac_f64_e32 v[198:199], v[196:197], v[16:17]
	v_fma_f64 v[194:195], v[194:195], v[16:17], -v[18:19]
	scratch_load_b128 v[16:19], off, off offset:688
	v_fmac_f64_e32 v[206:207], v[6:7], v[22:23]
	v_add_f64_e32 v[26:27], v[26:27], v[202:203]
	v_add_f64_e32 v[196:197], v[200:201], v[204:205]
	;; [unrolled: 18-line block ×11, first 2 shown]
	v_fma_f64 v[202:203], v[4:5], v[178:179], -v[180:181]
	ds_load_b128 v[4:7], v2 offset:1840
	s_wait_loadcnt_dscnt 0xa01
	v_mul_f64_e32 v[198:199], v[194:195], v[192:193]
	v_mul_f64_e32 v[192:193], v[196:197], v[192:193]
	scratch_load_b128 v[178:181], off, off offset:992
	s_wait_loadcnt_dscnt 0xa00
	v_mul_f64_e32 v[206:207], v[4:5], v[176:177]
	v_mul_f64_e32 v[176:177], v[6:7], v[176:177]
	v_add_f64_e32 v[26:27], v[26:27], v[186:187]
	v_add_f64_e32 v[200:201], v[188:189], v[200:201]
	ds_load_b128 v[186:189], v2 offset:1856
	v_fmac_f64_e32 v[198:199], v[196:197], v[190:191]
	v_fma_f64 v[190:191], v[194:195], v[190:191], -v[192:193]
	s_wait_loadcnt_dscnt 0x900
	v_mul_f64_e32 v[194:195], v[186:187], v[10:11]
	v_mul_f64_e32 v[10:11], v[188:189], v[10:11]
	v_fmac_f64_e32 v[206:207], v[6:7], v[174:175]
	v_fma_f64 v[196:197], v[4:5], v[174:175], -v[176:177]
	ds_load_b128 v[4:7], v2 offset:1872
	ds_load_b128 v[174:177], v2 offset:1888
	v_add_f64_e32 v[26:27], v[26:27], v[202:203]
	v_add_f64_e32 v[192:193], v[200:201], v[204:205]
	v_fmac_f64_e32 v[194:195], v[188:189], v[8:9]
	v_fma_f64 v[8:9], v[186:187], v[8:9], -v[10:11]
	s_delay_alu instid0(VALU_DEP_4) | instskip(NEXT) | instid1(VALU_DEP_4)
	v_add_f64_e32 v[26:27], v[26:27], v[190:191]
	v_add_f64_e32 v[190:191], v[192:193], v[198:199]
	s_wait_loadcnt_dscnt 0x801
	v_mul_f64_e32 v[192:193], v[4:5], v[14:15]
	v_mul_f64_e32 v[14:15], v[6:7], v[14:15]
	s_wait_loadcnt_dscnt 0x700
	v_mul_f64_e32 v[186:187], v[174:175], v[18:19]
	v_mul_f64_e32 v[18:19], v[176:177], v[18:19]
	v_add_f64_e32 v[10:11], v[26:27], v[196:197]
	v_add_f64_e32 v[26:27], v[190:191], v[206:207]
	v_fmac_f64_e32 v[192:193], v[6:7], v[12:13]
	v_fma_f64 v[12:13], v[4:5], v[12:13], -v[14:15]
	v_fmac_f64_e32 v[186:187], v[176:177], v[16:17]
	v_fma_f64 v[16:17], v[174:175], v[16:17], -v[18:19]
	v_add_f64_e32 v[14:15], v[10:11], v[8:9]
	v_add_f64_e32 v[26:27], v[26:27], v[194:195]
	ds_load_b128 v[4:7], v2 offset:1904
	ds_load_b128 v[8:11], v2 offset:1920
	s_wait_loadcnt_dscnt 0x601
	v_mul_f64_e32 v[188:189], v[4:5], v[24:25]
	v_mul_f64_e32 v[24:25], v[6:7], v[24:25]
	s_wait_loadcnt_dscnt 0x500
	v_mul_f64_e32 v[18:19], v[8:9], v[156:157]
	v_add_f64_e32 v[12:13], v[14:15], v[12:13]
	v_add_f64_e32 v[14:15], v[26:27], v[192:193]
	v_mul_f64_e32 v[26:27], v[10:11], v[156:157]
	v_fmac_f64_e32 v[188:189], v[6:7], v[22:23]
	v_fma_f64 v[22:23], v[4:5], v[22:23], -v[24:25]
	v_fmac_f64_e32 v[18:19], v[10:11], v[154:155]
	v_add_f64_e32 v[16:17], v[12:13], v[16:17]
	v_add_f64_e32 v[24:25], v[14:15], v[186:187]
	ds_load_b128 v[4:7], v2 offset:1936
	ds_load_b128 v[12:15], v2 offset:1952
	v_fma_f64 v[8:9], v[8:9], v[154:155], -v[26:27]
	s_wait_loadcnt_dscnt 0x401
	v_mul_f64_e32 v[156:157], v[4:5], v[160:161]
	v_mul_f64_e32 v[160:161], v[6:7], v[160:161]
	v_add_f64_e32 v[10:11], v[16:17], v[22:23]
	v_add_f64_e32 v[16:17], v[24:25], v[188:189]
	s_wait_loadcnt_dscnt 0x300
	v_mul_f64_e32 v[22:23], v[12:13], v[164:165]
	v_mul_f64_e32 v[24:25], v[14:15], v[164:165]
	v_fmac_f64_e32 v[156:157], v[6:7], v[158:159]
	v_fma_f64 v[26:27], v[4:5], v[158:159], -v[160:161]
	v_add_f64_e32 v[154:155], v[10:11], v[8:9]
	v_add_f64_e32 v[16:17], v[16:17], v[18:19]
	ds_load_b128 v[4:7], v2 offset:1968
	ds_load_b128 v[8:11], v2 offset:1984
	v_fmac_f64_e32 v[22:23], v[14:15], v[162:163]
	v_fma_f64 v[12:13], v[12:13], v[162:163], -v[24:25]
	s_wait_loadcnt_dscnt 0x201
	v_mul_f64_e32 v[18:19], v[4:5], v[168:169]
	v_mul_f64_e32 v[158:159], v[6:7], v[168:169]
	s_wait_loadcnt_dscnt 0x100
	v_mul_f64_e32 v[24:25], v[8:9], v[172:173]
	v_add_f64_e32 v[14:15], v[154:155], v[26:27]
	v_add_f64_e32 v[16:17], v[16:17], v[156:157]
	v_mul_f64_e32 v[26:27], v[10:11], v[172:173]
	v_fmac_f64_e32 v[18:19], v[6:7], v[166:167]
	v_fma_f64 v[154:155], v[4:5], v[166:167], -v[158:159]
	ds_load_b128 v[4:7], v2 offset:2000
	v_fmac_f64_e32 v[24:25], v[10:11], v[170:171]
	v_add_f64_e32 v[12:13], v[14:15], v[12:13]
	v_add_f64_e32 v[14:15], v[16:17], v[22:23]
	v_fma_f64 v[8:9], v[8:9], v[170:171], -v[26:27]
	s_wait_loadcnt_dscnt 0x0
	v_mul_f64_e32 v[16:17], v[4:5], v[180:181]
	v_mul_f64_e32 v[22:23], v[6:7], v[180:181]
	v_add_f64_e32 v[10:11], v[12:13], v[154:155]
	v_add_f64_e32 v[12:13], v[14:15], v[18:19]
	s_delay_alu instid0(VALU_DEP_4) | instskip(NEXT) | instid1(VALU_DEP_4)
	v_fmac_f64_e32 v[16:17], v[6:7], v[178:179]
	v_fma_f64 v[4:5], v[4:5], v[178:179], -v[22:23]
	s_delay_alu instid0(VALU_DEP_4) | instskip(NEXT) | instid1(VALU_DEP_4)
	v_add_f64_e32 v[6:7], v[10:11], v[8:9]
	v_add_f64_e32 v[8:9], v[12:13], v[24:25]
	s_delay_alu instid0(VALU_DEP_2) | instskip(NEXT) | instid1(VALU_DEP_2)
	v_add_f64_e32 v[4:5], v[6:7], v[4:5]
	v_add_f64_e32 v[6:7], v[8:9], v[16:17]
	s_delay_alu instid0(VALU_DEP_2) | instskip(NEXT) | instid1(VALU_DEP_2)
	v_add_f64_e64 v[4:5], v[182:183], -v[4:5]
	v_add_f64_e64 v[6:7], v[184:185], -v[6:7]
	scratch_store_b128 off, v[4:7], off offset:240
	s_wait_xcnt 0x0
	v_cmpx_lt_u32_e32 14, v1
	s_cbranch_execz .LBB62_375
; %bb.374:
	scratch_load_b128 v[6:9], off, s64
	v_dual_mov_b32 v3, v2 :: v_dual_mov_b32 v4, v2
	v_mov_b32_e32 v5, v2
	scratch_store_b128 off, v[2:5], off offset:224
	s_wait_loadcnt 0x0
	ds_store_b128 v20, v[6:9]
.LBB62_375:
	s_wait_xcnt 0x0
	s_or_b32 exec_lo, exec_lo, s2
	s_wait_storecnt_dscnt 0x0
	s_barrier_signal -1
	s_barrier_wait -1
	s_clause 0x9
	scratch_load_b128 v[4:7], off, off offset:240
	scratch_load_b128 v[8:11], off, off offset:256
	;; [unrolled: 1-line block ×10, first 2 shown]
	ds_load_b128 v[174:177], v2 offset:1248
	ds_load_b128 v[182:185], v2 offset:1264
	s_clause 0x2
	scratch_load_b128 v[178:181], off, off offset:400
	scratch_load_b128 v[186:189], off, off offset:224
	;; [unrolled: 1-line block ×3, first 2 shown]
	s_mov_b32 s2, exec_lo
	s_wait_loadcnt_dscnt 0xc01
	v_mul_f64_e32 v[26:27], v[176:177], v[6:7]
	v_mul_f64_e32 v[198:199], v[174:175], v[6:7]
	s_wait_loadcnt_dscnt 0xb00
	v_mul_f64_e32 v[200:201], v[182:183], v[10:11]
	v_mul_f64_e32 v[10:11], v[184:185], v[10:11]
	s_delay_alu instid0(VALU_DEP_4) | instskip(NEXT) | instid1(VALU_DEP_4)
	v_fma_f64 v[26:27], v[174:175], v[4:5], -v[26:27]
	v_fmac_f64_e32 v[198:199], v[176:177], v[4:5]
	ds_load_b128 v[4:7], v2 offset:1280
	ds_load_b128 v[174:177], v2 offset:1296
	scratch_load_b128 v[194:197], off, off offset:432
	v_fmac_f64_e32 v[200:201], v[184:185], v[8:9]
	v_fma_f64 v[182:183], v[182:183], v[8:9], -v[10:11]
	scratch_load_b128 v[8:11], off, off offset:448
	s_wait_loadcnt_dscnt 0xc01
	v_mul_f64_e32 v[202:203], v[4:5], v[14:15]
	v_mul_f64_e32 v[14:15], v[6:7], v[14:15]
	v_add_f64_e32 v[26:27], 0, v[26:27]
	v_add_f64_e32 v[184:185], 0, v[198:199]
	s_wait_loadcnt_dscnt 0xb00
	v_mul_f64_e32 v[198:199], v[174:175], v[18:19]
	v_mul_f64_e32 v[18:19], v[176:177], v[18:19]
	v_fmac_f64_e32 v[202:203], v[6:7], v[12:13]
	v_fma_f64 v[204:205], v[4:5], v[12:13], -v[14:15]
	ds_load_b128 v[4:7], v2 offset:1312
	ds_load_b128 v[12:15], v2 offset:1328
	v_add_f64_e32 v[26:27], v[26:27], v[182:183]
	v_add_f64_e32 v[200:201], v[184:185], v[200:201]
	scratch_load_b128 v[182:185], off, off offset:464
	v_fmac_f64_e32 v[198:199], v[176:177], v[16:17]
	v_fma_f64 v[174:175], v[174:175], v[16:17], -v[18:19]
	scratch_load_b128 v[16:19], off, off offset:480
	s_wait_loadcnt_dscnt 0xc01
	v_mul_f64_e32 v[206:207], v[4:5], v[24:25]
	v_mul_f64_e32 v[24:25], v[6:7], v[24:25]
	v_add_f64_e32 v[26:27], v[26:27], v[204:205]
	v_add_f64_e32 v[176:177], v[200:201], v[202:203]
	s_wait_loadcnt_dscnt 0xb00
	v_mul_f64_e32 v[200:201], v[12:13], v[156:157]
	v_mul_f64_e32 v[156:157], v[14:15], v[156:157]
	v_fmac_f64_e32 v[206:207], v[6:7], v[22:23]
	v_fma_f64 v[202:203], v[4:5], v[22:23], -v[24:25]
	ds_load_b128 v[4:7], v2 offset:1344
	ds_load_b128 v[22:25], v2 offset:1360
	s_wait_loadcnt_dscnt 0xa01
	v_mul_f64_e32 v[204:205], v[4:5], v[160:161]
	v_add_f64_e32 v[26:27], v[26:27], v[174:175]
	v_add_f64_e32 v[198:199], v[176:177], v[198:199]
	scratch_load_b128 v[174:177], off, off offset:496
	v_mul_f64_e32 v[160:161], v[6:7], v[160:161]
	v_fmac_f64_e32 v[200:201], v[14:15], v[154:155]
	v_fma_f64 v[154:155], v[12:13], v[154:155], -v[156:157]
	scratch_load_b128 v[12:15], off, off offset:512
	v_fmac_f64_e32 v[204:205], v[6:7], v[158:159]
	v_add_f64_e32 v[26:27], v[26:27], v[202:203]
	v_add_f64_e32 v[156:157], v[198:199], v[206:207]
	s_wait_loadcnt_dscnt 0xb00
	v_mul_f64_e32 v[198:199], v[22:23], v[164:165]
	v_mul_f64_e32 v[164:165], v[24:25], v[164:165]
	v_fma_f64 v[202:203], v[4:5], v[158:159], -v[160:161]
	v_add_f64_e32 v[26:27], v[26:27], v[154:155]
	v_add_f64_e32 v[200:201], v[156:157], v[200:201]
	ds_load_b128 v[4:7], v2 offset:1376
	ds_load_b128 v[154:157], v2 offset:1392
	scratch_load_b128 v[158:161], off, off offset:528
	v_fmac_f64_e32 v[198:199], v[24:25], v[162:163]
	v_fma_f64 v[162:163], v[22:23], v[162:163], -v[164:165]
	scratch_load_b128 v[22:25], off, off offset:544
	s_wait_loadcnt_dscnt 0xc01
	v_mul_f64_e32 v[206:207], v[4:5], v[168:169]
	v_mul_f64_e32 v[168:169], v[6:7], v[168:169]
	v_add_f64_e32 v[26:27], v[26:27], v[202:203]
	v_add_f64_e32 v[164:165], v[200:201], v[204:205]
	s_wait_loadcnt_dscnt 0xb00
	v_mul_f64_e32 v[200:201], v[154:155], v[172:173]
	v_mul_f64_e32 v[172:173], v[156:157], v[172:173]
	v_fmac_f64_e32 v[206:207], v[6:7], v[166:167]
	v_fma_f64 v[202:203], v[4:5], v[166:167], -v[168:169]
	v_add_f64_e32 v[26:27], v[26:27], v[162:163]
	v_add_f64_e32 v[198:199], v[164:165], v[198:199]
	ds_load_b128 v[4:7], v2 offset:1408
	ds_load_b128 v[162:165], v2 offset:1424
	scratch_load_b128 v[166:169], off, off offset:560
	v_fmac_f64_e32 v[200:201], v[156:157], v[170:171]
	v_fma_f64 v[170:171], v[154:155], v[170:171], -v[172:173]
	scratch_load_b128 v[154:157], off, off offset:576
	s_wait_loadcnt_dscnt 0xc01
	v_mul_f64_e32 v[204:205], v[4:5], v[180:181]
	v_mul_f64_e32 v[180:181], v[6:7], v[180:181]
	v_add_f64_e32 v[26:27], v[26:27], v[202:203]
	v_add_f64_e32 v[172:173], v[198:199], v[206:207]
	s_wait_loadcnt_dscnt 0xa00
	v_mul_f64_e32 v[198:199], v[162:163], v[192:193]
	v_mul_f64_e32 v[192:193], v[164:165], v[192:193]
	v_fmac_f64_e32 v[204:205], v[6:7], v[178:179]
	v_fma_f64 v[202:203], v[4:5], v[178:179], -v[180:181]
	v_add_f64_e32 v[26:27], v[26:27], v[170:171]
	v_add_f64_e32 v[200:201], v[172:173], v[200:201]
	ds_load_b128 v[4:7], v2 offset:1440
	ds_load_b128 v[170:173], v2 offset:1456
	scratch_load_b128 v[178:181], off, off offset:592
	v_fmac_f64_e32 v[198:199], v[164:165], v[190:191]
	v_fma_f64 v[190:191], v[162:163], v[190:191], -v[192:193]
	scratch_load_b128 v[162:165], off, off offset:608
	s_wait_loadcnt_dscnt 0xb01
	v_mul_f64_e32 v[206:207], v[4:5], v[196:197]
	v_mul_f64_e32 v[196:197], v[6:7], v[196:197]
	v_add_f64_e32 v[26:27], v[26:27], v[202:203]
	v_add_f64_e32 v[192:193], v[200:201], v[204:205]
	s_wait_loadcnt_dscnt 0xa00
	v_mul_f64_e32 v[200:201], v[170:171], v[10:11]
	v_mul_f64_e32 v[10:11], v[172:173], v[10:11]
	v_fmac_f64_e32 v[206:207], v[6:7], v[194:195]
	v_fma_f64 v[202:203], v[4:5], v[194:195], -v[196:197]
	v_add_f64_e32 v[26:27], v[26:27], v[190:191]
	v_add_f64_e32 v[198:199], v[192:193], v[198:199]
	ds_load_b128 v[4:7], v2 offset:1472
	ds_load_b128 v[190:193], v2 offset:1488
	scratch_load_b128 v[194:197], off, off offset:624
	v_fmac_f64_e32 v[200:201], v[172:173], v[8:9]
	v_fma_f64 v[170:171], v[170:171], v[8:9], -v[10:11]
	scratch_load_b128 v[8:11], off, off offset:640
	s_wait_loadcnt_dscnt 0xb01
	v_mul_f64_e32 v[204:205], v[4:5], v[184:185]
	v_mul_f64_e32 v[184:185], v[6:7], v[184:185]
	v_add_f64_e32 v[26:27], v[26:27], v[202:203]
	v_add_f64_e32 v[172:173], v[198:199], v[206:207]
	s_wait_loadcnt_dscnt 0xa00
	v_mul_f64_e32 v[198:199], v[190:191], v[18:19]
	v_mul_f64_e32 v[18:19], v[192:193], v[18:19]
	v_fmac_f64_e32 v[204:205], v[6:7], v[182:183]
	v_fma_f64 v[202:203], v[4:5], v[182:183], -v[184:185]
	v_add_f64_e32 v[26:27], v[26:27], v[170:171]
	v_add_f64_e32 v[200:201], v[172:173], v[200:201]
	ds_load_b128 v[4:7], v2 offset:1504
	ds_load_b128 v[170:173], v2 offset:1520
	scratch_load_b128 v[182:185], off, off offset:656
	v_fmac_f64_e32 v[198:199], v[192:193], v[16:17]
	v_fma_f64 v[190:191], v[190:191], v[16:17], -v[18:19]
	scratch_load_b128 v[16:19], off, off offset:672
	s_wait_loadcnt_dscnt 0xb01
	v_mul_f64_e32 v[206:207], v[4:5], v[176:177]
	v_mul_f64_e32 v[176:177], v[6:7], v[176:177]
	v_add_f64_e32 v[26:27], v[26:27], v[202:203]
	v_add_f64_e32 v[192:193], v[200:201], v[204:205]
	s_wait_loadcnt_dscnt 0xa00
	v_mul_f64_e32 v[200:201], v[170:171], v[14:15]
	v_mul_f64_e32 v[14:15], v[172:173], v[14:15]
	v_fmac_f64_e32 v[206:207], v[6:7], v[174:175]
	v_fma_f64 v[202:203], v[4:5], v[174:175], -v[176:177]
	ds_load_b128 v[4:7], v2 offset:1536
	ds_load_b128 v[174:177], v2 offset:1552
	v_add_f64_e32 v[26:27], v[26:27], v[190:191]
	v_add_f64_e32 v[198:199], v[192:193], v[198:199]
	scratch_load_b128 v[190:193], off, off offset:688
	v_fmac_f64_e32 v[200:201], v[172:173], v[12:13]
	v_fma_f64 v[170:171], v[170:171], v[12:13], -v[14:15]
	scratch_load_b128 v[12:15], off, off offset:704
	s_wait_loadcnt_dscnt 0xb01
	v_mul_f64_e32 v[204:205], v[4:5], v[160:161]
	v_mul_f64_e32 v[160:161], v[6:7], v[160:161]
	v_add_f64_e32 v[26:27], v[26:27], v[202:203]
	v_add_f64_e32 v[172:173], v[198:199], v[206:207]
	s_wait_loadcnt_dscnt 0xa00
	v_mul_f64_e32 v[198:199], v[174:175], v[24:25]
	v_mul_f64_e32 v[202:203], v[176:177], v[24:25]
	v_fmac_f64_e32 v[204:205], v[6:7], v[158:159]
	v_fma_f64 v[206:207], v[4:5], v[158:159], -v[160:161]
	v_add_f64_e32 v[170:171], v[26:27], v[170:171]
	v_add_f64_e32 v[172:173], v[172:173], v[200:201]
	ds_load_b128 v[4:7], v2 offset:1568
	ds_load_b128 v[24:27], v2 offset:1584
	scratch_load_b128 v[158:161], off, off offset:720
	v_fmac_f64_e32 v[198:199], v[176:177], v[22:23]
	v_fma_f64 v[22:23], v[174:175], v[22:23], -v[202:203]
	s_wait_loadcnt_dscnt 0xa01
	v_mul_f64_e32 v[208:209], v[4:5], v[168:169]
	v_mul_f64_e32 v[200:201], v[6:7], v[168:169]
	s_wait_loadcnt_dscnt 0x900
	v_mul_f64_e32 v[176:177], v[24:25], v[156:157]
	v_mul_f64_e32 v[156:157], v[26:27], v[156:157]
	v_add_f64_e32 v[174:175], v[170:171], v[206:207]
	v_add_f64_e32 v[172:173], v[172:173], v[204:205]
	scratch_load_b128 v[168:171], off, off offset:736
	v_fmac_f64_e32 v[208:209], v[6:7], v[166:167]
	v_fma_f64 v[166:167], v[4:5], v[166:167], -v[200:201]
	v_fmac_f64_e32 v[176:177], v[26:27], v[154:155]
	v_fma_f64 v[26:27], v[24:25], v[154:155], -v[156:157]
	v_add_f64_e32 v[22:23], v[174:175], v[22:23]
	v_add_f64_e32 v[202:203], v[172:173], v[198:199]
	ds_load_b128 v[4:7], v2 offset:1600
	ds_load_b128 v[172:175], v2 offset:1616
	scratch_load_b128 v[198:201], off, off offset:752
	s_wait_loadcnt_dscnt 0xa01
	v_mul_f64_e32 v[204:205], v[4:5], v[180:181]
	v_mul_f64_e32 v[180:181], v[6:7], v[180:181]
	s_wait_loadcnt_dscnt 0x900
	v_mul_f64_e32 v[206:207], v[174:175], v[164:165]
	v_add_f64_e32 v[154:155], v[22:23], v[166:167]
	v_add_f64_e32 v[156:157], v[202:203], v[208:209]
	scratch_load_b128 v[22:25], off, off offset:768
	v_mul_f64_e32 v[202:203], v[172:173], v[164:165]
	v_fmac_f64_e32 v[204:205], v[6:7], v[178:179]
	v_fma_f64 v[178:179], v[4:5], v[178:179], -v[180:181]
	v_add_f64_e32 v[26:27], v[154:155], v[26:27]
	v_add_f64_e32 v[176:177], v[156:157], v[176:177]
	ds_load_b128 v[4:7], v2 offset:1632
	ds_load_b128 v[154:157], v2 offset:1648
	scratch_load_b128 v[164:167], off, off offset:784
	v_fmac_f64_e32 v[202:203], v[174:175], v[162:163]
	v_fma_f64 v[162:163], v[172:173], v[162:163], -v[206:207]
	scratch_load_b128 v[172:175], off, off offset:800
	s_wait_loadcnt_dscnt 0xb01
	v_mul_f64_e32 v[180:181], v[4:5], v[196:197]
	v_mul_f64_e32 v[196:197], v[6:7], v[196:197]
	v_add_f64_e32 v[26:27], v[26:27], v[178:179]
	v_add_f64_e32 v[176:177], v[176:177], v[204:205]
	s_wait_loadcnt_dscnt 0xa00
	v_mul_f64_e32 v[204:205], v[154:155], v[10:11]
	v_mul_f64_e32 v[10:11], v[156:157], v[10:11]
	v_fmac_f64_e32 v[180:181], v[6:7], v[194:195]
	v_fma_f64 v[206:207], v[4:5], v[194:195], -v[196:197]
	v_add_f64_e32 v[26:27], v[26:27], v[162:163]
	v_add_f64_e32 v[162:163], v[176:177], v[202:203]
	ds_load_b128 v[4:7], v2 offset:1664
	ds_load_b128 v[176:179], v2 offset:1680
	scratch_load_b128 v[194:197], off, off offset:816
	v_fmac_f64_e32 v[204:205], v[156:157], v[8:9]
	v_fma_f64 v[154:155], v[154:155], v[8:9], -v[10:11]
	scratch_load_b128 v[8:11], off, off offset:832
	s_wait_loadcnt_dscnt 0xb01
	v_mul_f64_e32 v[202:203], v[4:5], v[184:185]
	v_mul_f64_e32 v[184:185], v[6:7], v[184:185]
	v_add_f64_e32 v[26:27], v[26:27], v[206:207]
	v_add_f64_e32 v[156:157], v[162:163], v[180:181]
	s_wait_loadcnt_dscnt 0xa00
	v_mul_f64_e32 v[162:163], v[176:177], v[18:19]
	;; [unrolled: 18-line block ×5, first 2 shown]
	v_mul_f64_e32 v[202:203], v[156:157], v[24:25]
	v_fmac_f64_e32 v[206:207], v[6:7], v[198:199]
	v_fma_f64 v[198:199], v[4:5], v[198:199], -v[200:201]
	v_add_f64_e32 v[200:201], v[26:27], v[176:177]
	v_add_f64_e32 v[162:163], v[178:179], v[162:163]
	ds_load_b128 v[4:7], v2 offset:1792
	ds_load_b128 v[24:27], v2 offset:1808
	scratch_load_b128 v[176:179], off, off offset:944
	v_fmac_f64_e32 v[184:185], v[156:157], v[22:23]
	v_fma_f64 v[22:23], v[154:155], v[22:23], -v[202:203]
	scratch_load_b128 v[154:157], off, off offset:960
	s_wait_loadcnt_dscnt 0xb01
	v_mul_f64_e32 v[204:205], v[4:5], v[166:167]
	v_mul_f64_e32 v[166:167], v[6:7], v[166:167]
	s_wait_loadcnt_dscnt 0xa00
	v_mul_f64_e32 v[202:203], v[24:25], v[174:175]
	v_mul_f64_e32 v[174:175], v[26:27], v[174:175]
	v_add_f64_e32 v[198:199], v[200:201], v[198:199]
	v_add_f64_e32 v[162:163], v[162:163], v[206:207]
	v_fmac_f64_e32 v[204:205], v[6:7], v[164:165]
	v_fma_f64 v[166:167], v[4:5], v[164:165], -v[166:167]
	v_fmac_f64_e32 v[202:203], v[26:27], v[172:173]
	v_fma_f64 v[26:27], v[24:25], v[172:173], -v[174:175]
	v_add_f64_e32 v[22:23], v[198:199], v[22:23]
	v_add_f64_e32 v[184:185], v[162:163], v[184:185]
	ds_load_b128 v[4:7], v2 offset:1824
	ds_load_b128 v[162:165], v2 offset:1840
	scratch_load_b128 v[198:201], off, off offset:976
	s_wait_loadcnt_dscnt 0xa01
	v_mul_f64_e32 v[206:207], v[4:5], v[196:197]
	v_mul_f64_e32 v[196:197], v[6:7], v[196:197]
	v_add_f64_e32 v[166:167], v[22:23], v[166:167]
	v_add_f64_e32 v[172:173], v[184:185], v[204:205]
	scratch_load_b128 v[22:25], off, off offset:992
	s_wait_loadcnt_dscnt 0xa00
	v_mul_f64_e32 v[184:185], v[162:163], v[10:11]
	v_mul_f64_e32 v[10:11], v[164:165], v[10:11]
	v_fmac_f64_e32 v[206:207], v[6:7], v[194:195]
	v_fma_f64 v[194:195], v[4:5], v[194:195], -v[196:197]
	v_add_f64_e32 v[26:27], v[166:167], v[26:27]
	v_add_f64_e32 v[166:167], v[172:173], v[202:203]
	ds_load_b128 v[4:7], v2 offset:1856
	ds_load_b128 v[172:175], v2 offset:1872
	v_fmac_f64_e32 v[184:185], v[164:165], v[8:9]
	v_fma_f64 v[8:9], v[162:163], v[8:9], -v[10:11]
	s_wait_loadcnt_dscnt 0x901
	v_mul_f64_e32 v[196:197], v[4:5], v[182:183]
	v_mul_f64_e32 v[182:183], v[6:7], v[182:183]
	s_wait_loadcnt_dscnt 0x800
	v_mul_f64_e32 v[162:163], v[172:173], v[18:19]
	v_mul_f64_e32 v[18:19], v[174:175], v[18:19]
	v_add_f64_e32 v[10:11], v[26:27], v[194:195]
	v_add_f64_e32 v[26:27], v[166:167], v[206:207]
	v_fmac_f64_e32 v[196:197], v[6:7], v[180:181]
	v_fma_f64 v[164:165], v[4:5], v[180:181], -v[182:183]
	v_fmac_f64_e32 v[162:163], v[174:175], v[16:17]
	v_fma_f64 v[16:17], v[172:173], v[16:17], -v[18:19]
	v_add_f64_e32 v[166:167], v[10:11], v[8:9]
	v_add_f64_e32 v[26:27], v[26:27], v[184:185]
	ds_load_b128 v[4:7], v2 offset:1888
	ds_load_b128 v[8:11], v2 offset:1904
	s_wait_loadcnt_dscnt 0x701
	v_mul_f64_e32 v[180:181], v[4:5], v[192:193]
	v_mul_f64_e32 v[182:183], v[6:7], v[192:193]
	v_add_f64_e32 v[18:19], v[166:167], v[164:165]
	v_add_f64_e32 v[26:27], v[26:27], v[196:197]
	s_wait_loadcnt_dscnt 0x600
	v_mul_f64_e32 v[164:165], v[8:9], v[14:15]
	v_mul_f64_e32 v[166:167], v[10:11], v[14:15]
	v_fmac_f64_e32 v[180:181], v[6:7], v[190:191]
	v_fma_f64 v[172:173], v[4:5], v[190:191], -v[182:183]
	v_add_f64_e32 v[18:19], v[18:19], v[16:17]
	v_add_f64_e32 v[26:27], v[26:27], v[162:163]
	ds_load_b128 v[4:7], v2 offset:1920
	ds_load_b128 v[14:17], v2 offset:1936
	v_fmac_f64_e32 v[164:165], v[10:11], v[12:13]
	v_fma_f64 v[8:9], v[8:9], v[12:13], -v[166:167]
	s_wait_loadcnt_dscnt 0x501
	v_mul_f64_e32 v[162:163], v[4:5], v[160:161]
	v_mul_f64_e32 v[160:161], v[6:7], v[160:161]
	v_add_f64_e32 v[10:11], v[18:19], v[172:173]
	v_add_f64_e32 v[12:13], v[26:27], v[180:181]
	s_wait_loadcnt_dscnt 0x400
	v_mul_f64_e32 v[18:19], v[14:15], v[170:171]
	v_mul_f64_e32 v[26:27], v[16:17], v[170:171]
	v_fmac_f64_e32 v[162:163], v[6:7], v[158:159]
	v_fma_f64 v[158:159], v[4:5], v[158:159], -v[160:161]
	v_add_f64_e32 v[160:161], v[10:11], v[8:9]
	v_add_f64_e32 v[12:13], v[12:13], v[164:165]
	ds_load_b128 v[4:7], v2 offset:1952
	ds_load_b128 v[8:11], v2 offset:1968
	v_fmac_f64_e32 v[18:19], v[16:17], v[168:169]
	v_fma_f64 v[14:15], v[14:15], v[168:169], -v[26:27]
	s_wait_loadcnt_dscnt 0x301
	v_mul_f64_e32 v[164:165], v[4:5], v[178:179]
	v_mul_f64_e32 v[166:167], v[6:7], v[178:179]
	s_wait_loadcnt_dscnt 0x200
	v_mul_f64_e32 v[26:27], v[8:9], v[156:157]
	v_mul_f64_e32 v[156:157], v[10:11], v[156:157]
	v_add_f64_e32 v[16:17], v[160:161], v[158:159]
	v_add_f64_e32 v[12:13], v[12:13], v[162:163]
	v_fmac_f64_e32 v[164:165], v[6:7], v[176:177]
	v_fma_f64 v[158:159], v[4:5], v[176:177], -v[166:167]
	v_fmac_f64_e32 v[26:27], v[10:11], v[154:155]
	v_fma_f64 v[8:9], v[8:9], v[154:155], -v[156:157]
	v_add_f64_e32 v[16:17], v[16:17], v[14:15]
	v_add_f64_e32 v[18:19], v[12:13], v[18:19]
	ds_load_b128 v[4:7], v2 offset:1984
	ds_load_b128 v[12:15], v2 offset:2000
	s_wait_loadcnt_dscnt 0x101
	v_mul_f64_e32 v[2:3], v[4:5], v[200:201]
	v_mul_f64_e32 v[160:161], v[6:7], v[200:201]
	v_add_f64_e32 v[10:11], v[16:17], v[158:159]
	v_add_f64_e32 v[16:17], v[18:19], v[164:165]
	s_wait_loadcnt_dscnt 0x0
	v_mul_f64_e32 v[18:19], v[12:13], v[24:25]
	v_mul_f64_e32 v[24:25], v[14:15], v[24:25]
	v_fmac_f64_e32 v[2:3], v[6:7], v[198:199]
	v_fma_f64 v[4:5], v[4:5], v[198:199], -v[160:161]
	v_add_f64_e32 v[6:7], v[10:11], v[8:9]
	v_add_f64_e32 v[8:9], v[16:17], v[26:27]
	v_fmac_f64_e32 v[18:19], v[14:15], v[22:23]
	v_fma_f64 v[10:11], v[12:13], v[22:23], -v[24:25]
	s_delay_alu instid0(VALU_DEP_4) | instskip(NEXT) | instid1(VALU_DEP_4)
	v_add_f64_e32 v[4:5], v[6:7], v[4:5]
	v_add_f64_e32 v[2:3], v[8:9], v[2:3]
	s_delay_alu instid0(VALU_DEP_2) | instskip(NEXT) | instid1(VALU_DEP_2)
	v_add_f64_e32 v[4:5], v[4:5], v[10:11]
	v_add_f64_e32 v[6:7], v[2:3], v[18:19]
	s_delay_alu instid0(VALU_DEP_2) | instskip(NEXT) | instid1(VALU_DEP_2)
	v_add_f64_e64 v[2:3], v[186:187], -v[4:5]
	v_add_f64_e64 v[4:5], v[188:189], -v[6:7]
	scratch_store_b128 off, v[2:5], off offset:224
	s_wait_xcnt 0x0
	v_cmpx_lt_u32_e32 13, v1
	s_cbranch_execz .LBB62_377
; %bb.376:
	scratch_load_b128 v[2:5], off, s60
	v_mov_b32_e32 v6, 0
	s_delay_alu instid0(VALU_DEP_1)
	v_dual_mov_b32 v7, v6 :: v_dual_mov_b32 v8, v6
	v_mov_b32_e32 v9, v6
	scratch_store_b128 off, v[6:9], off offset:208
	s_wait_loadcnt 0x0
	ds_store_b128 v20, v[2:5]
.LBB62_377:
	s_wait_xcnt 0x0
	s_or_b32 exec_lo, exec_lo, s2
	s_wait_storecnt_dscnt 0x0
	s_barrier_signal -1
	s_barrier_wait -1
	s_clause 0x9
	scratch_load_b128 v[4:7], off, off offset:224
	scratch_load_b128 v[8:11], off, off offset:240
	;; [unrolled: 1-line block ×10, first 2 shown]
	v_mov_b32_e32 v2, 0
	s_mov_b32 s2, exec_lo
	ds_load_b128 v[174:177], v2 offset:1232
	s_clause 0x2
	scratch_load_b128 v[178:181], off, off offset:384
	scratch_load_b128 v[182:185], off, off offset:208
	;; [unrolled: 1-line block ×3, first 2 shown]
	s_wait_loadcnt_dscnt 0xc00
	v_mul_f64_e32 v[26:27], v[176:177], v[6:7]
	v_mul_f64_e32 v[198:199], v[174:175], v[6:7]
	ds_load_b128 v[186:189], v2 offset:1248
	ds_load_b128 v[194:197], v2 offset:1280
	v_fma_f64 v[26:27], v[174:175], v[4:5], -v[26:27]
	v_fmac_f64_e32 v[198:199], v[176:177], v[4:5]
	ds_load_b128 v[4:7], v2 offset:1264
	s_wait_loadcnt_dscnt 0xb02
	v_mul_f64_e32 v[200:201], v[186:187], v[10:11]
	v_mul_f64_e32 v[10:11], v[188:189], v[10:11]
	scratch_load_b128 v[174:177], off, off offset:416
	s_wait_loadcnt_dscnt 0xb00
	v_mul_f64_e32 v[202:203], v[4:5], v[14:15]
	v_mul_f64_e32 v[14:15], v[6:7], v[14:15]
	v_add_f64_e32 v[26:27], 0, v[26:27]
	v_fmac_f64_e32 v[200:201], v[188:189], v[8:9]
	v_fma_f64 v[186:187], v[186:187], v[8:9], -v[10:11]
	v_add_f64_e32 v[188:189], 0, v[198:199]
	scratch_load_b128 v[8:11], off, off offset:432
	v_fmac_f64_e32 v[202:203], v[6:7], v[12:13]
	v_fma_f64 v[204:205], v[4:5], v[12:13], -v[14:15]
	ds_load_b128 v[4:7], v2 offset:1296
	s_wait_loadcnt 0xb
	v_mul_f64_e32 v[198:199], v[194:195], v[18:19]
	v_mul_f64_e32 v[18:19], v[196:197], v[18:19]
	scratch_load_b128 v[12:15], off, off offset:448
	v_add_f64_e32 v[26:27], v[26:27], v[186:187]
	v_add_f64_e32 v[200:201], v[188:189], v[200:201]
	ds_load_b128 v[186:189], v2 offset:1312
	s_wait_loadcnt_dscnt 0xb01
	v_mul_f64_e32 v[206:207], v[4:5], v[24:25]
	v_mul_f64_e32 v[24:25], v[6:7], v[24:25]
	v_fmac_f64_e32 v[198:199], v[196:197], v[16:17]
	v_fma_f64 v[194:195], v[194:195], v[16:17], -v[18:19]
	scratch_load_b128 v[16:19], off, off offset:464
	v_add_f64_e32 v[26:27], v[26:27], v[204:205]
	v_add_f64_e32 v[196:197], v[200:201], v[202:203]
	v_fmac_f64_e32 v[206:207], v[6:7], v[22:23]
	v_fma_f64 v[202:203], v[4:5], v[22:23], -v[24:25]
	ds_load_b128 v[4:7], v2 offset:1328
	s_wait_loadcnt_dscnt 0xb01
	v_mul_f64_e32 v[200:201], v[186:187], v[156:157]
	v_mul_f64_e32 v[156:157], v[188:189], v[156:157]
	scratch_load_b128 v[22:25], off, off offset:480
	s_wait_loadcnt_dscnt 0xb00
	v_mul_f64_e32 v[204:205], v[4:5], v[160:161]
	v_mul_f64_e32 v[160:161], v[6:7], v[160:161]
	v_add_f64_e32 v[26:27], v[26:27], v[194:195]
	v_add_f64_e32 v[198:199], v[196:197], v[198:199]
	ds_load_b128 v[194:197], v2 offset:1344
	v_fmac_f64_e32 v[200:201], v[188:189], v[154:155]
	v_fma_f64 v[186:187], v[186:187], v[154:155], -v[156:157]
	scratch_load_b128 v[154:157], off, off offset:496
	v_fmac_f64_e32 v[204:205], v[6:7], v[158:159]
	v_add_f64_e32 v[26:27], v[26:27], v[202:203]
	v_add_f64_e32 v[188:189], v[198:199], v[206:207]
	v_fma_f64 v[202:203], v[4:5], v[158:159], -v[160:161]
	ds_load_b128 v[4:7], v2 offset:1360
	s_wait_loadcnt_dscnt 0xb01
	v_mul_f64_e32 v[198:199], v[194:195], v[164:165]
	v_mul_f64_e32 v[164:165], v[196:197], v[164:165]
	scratch_load_b128 v[158:161], off, off offset:512
	s_wait_loadcnt_dscnt 0xb00
	v_mul_f64_e32 v[206:207], v[4:5], v[168:169]
	v_mul_f64_e32 v[168:169], v[6:7], v[168:169]
	v_add_f64_e32 v[26:27], v[26:27], v[186:187]
	v_add_f64_e32 v[200:201], v[188:189], v[200:201]
	ds_load_b128 v[186:189], v2 offset:1376
	v_fmac_f64_e32 v[198:199], v[196:197], v[162:163]
	v_fma_f64 v[194:195], v[194:195], v[162:163], -v[164:165]
	scratch_load_b128 v[162:165], off, off offset:528
	v_fmac_f64_e32 v[206:207], v[6:7], v[166:167]
	v_add_f64_e32 v[26:27], v[26:27], v[202:203]
	v_add_f64_e32 v[196:197], v[200:201], v[204:205]
	;; [unrolled: 18-line block ×3, first 2 shown]
	v_fma_f64 v[202:203], v[4:5], v[178:179], -v[180:181]
	ds_load_b128 v[4:7], v2 offset:1424
	s_wait_loadcnt_dscnt 0xa01
	v_mul_f64_e32 v[198:199], v[194:195], v[192:193]
	v_mul_f64_e32 v[192:193], v[196:197], v[192:193]
	scratch_load_b128 v[178:181], off, off offset:576
	v_add_f64_e32 v[26:27], v[26:27], v[186:187]
	v_add_f64_e32 v[200:201], v[188:189], v[200:201]
	s_wait_loadcnt_dscnt 0xa00
	v_mul_f64_e32 v[206:207], v[4:5], v[176:177]
	v_mul_f64_e32 v[176:177], v[6:7], v[176:177]
	v_fmac_f64_e32 v[198:199], v[196:197], v[190:191]
	v_fma_f64 v[194:195], v[194:195], v[190:191], -v[192:193]
	ds_load_b128 v[186:189], v2 offset:1440
	scratch_load_b128 v[190:193], off, off offset:592
	v_add_f64_e32 v[26:27], v[26:27], v[202:203]
	v_add_f64_e32 v[196:197], v[200:201], v[204:205]
	v_fmac_f64_e32 v[206:207], v[6:7], v[174:175]
	v_fma_f64 v[202:203], v[4:5], v[174:175], -v[176:177]
	ds_load_b128 v[4:7], v2 offset:1456
	s_wait_loadcnt_dscnt 0xa01
	v_mul_f64_e32 v[200:201], v[186:187], v[10:11]
	v_mul_f64_e32 v[10:11], v[188:189], v[10:11]
	scratch_load_b128 v[174:177], off, off offset:608
	s_wait_loadcnt_dscnt 0xa00
	v_mul_f64_e32 v[204:205], v[4:5], v[14:15]
	v_mul_f64_e32 v[14:15], v[6:7], v[14:15]
	v_add_f64_e32 v[26:27], v[26:27], v[194:195]
	v_add_f64_e32 v[198:199], v[196:197], v[198:199]
	ds_load_b128 v[194:197], v2 offset:1472
	v_fmac_f64_e32 v[200:201], v[188:189], v[8:9]
	v_fma_f64 v[186:187], v[186:187], v[8:9], -v[10:11]
	scratch_load_b128 v[8:11], off, off offset:624
	v_fmac_f64_e32 v[204:205], v[6:7], v[12:13]
	v_add_f64_e32 v[26:27], v[26:27], v[202:203]
	v_add_f64_e32 v[188:189], v[198:199], v[206:207]
	v_fma_f64 v[202:203], v[4:5], v[12:13], -v[14:15]
	ds_load_b128 v[4:7], v2 offset:1488
	s_wait_loadcnt_dscnt 0xa01
	v_mul_f64_e32 v[198:199], v[194:195], v[18:19]
	v_mul_f64_e32 v[18:19], v[196:197], v[18:19]
	scratch_load_b128 v[12:15], off, off offset:640
	s_wait_loadcnt_dscnt 0xa00
	v_mul_f64_e32 v[206:207], v[4:5], v[24:25]
	v_mul_f64_e32 v[24:25], v[6:7], v[24:25]
	v_add_f64_e32 v[26:27], v[26:27], v[186:187]
	v_add_f64_e32 v[200:201], v[188:189], v[200:201]
	ds_load_b128 v[186:189], v2 offset:1504
	v_fmac_f64_e32 v[198:199], v[196:197], v[16:17]
	v_fma_f64 v[194:195], v[194:195], v[16:17], -v[18:19]
	scratch_load_b128 v[16:19], off, off offset:656
	v_fmac_f64_e32 v[206:207], v[6:7], v[22:23]
	v_add_f64_e32 v[26:27], v[26:27], v[202:203]
	v_add_f64_e32 v[196:197], v[200:201], v[204:205]
	;; [unrolled: 18-line block ×12, first 2 shown]
	v_fma_f64 v[202:203], v[4:5], v[174:175], -v[176:177]
	ds_load_b128 v[4:7], v2 offset:1840
	s_wait_loadcnt_dscnt 0xa01
	v_mul_f64_e32 v[200:201], v[186:187], v[10:11]
	v_mul_f64_e32 v[10:11], v[188:189], v[10:11]
	scratch_load_b128 v[174:177], off, off offset:992
	s_wait_loadcnt_dscnt 0xa00
	v_mul_f64_e32 v[204:205], v[4:5], v[14:15]
	v_mul_f64_e32 v[14:15], v[6:7], v[14:15]
	v_add_f64_e32 v[26:27], v[26:27], v[194:195]
	v_add_f64_e32 v[198:199], v[196:197], v[198:199]
	ds_load_b128 v[194:197], v2 offset:1856
	v_fmac_f64_e32 v[200:201], v[188:189], v[8:9]
	v_fma_f64 v[8:9], v[186:187], v[8:9], -v[10:11]
	s_wait_loadcnt_dscnt 0x900
	v_mul_f64_e32 v[186:187], v[194:195], v[18:19]
	v_mul_f64_e32 v[18:19], v[196:197], v[18:19]
	v_fmac_f64_e32 v[204:205], v[6:7], v[12:13]
	v_fma_f64 v[12:13], v[4:5], v[12:13], -v[14:15]
	v_add_f64_e32 v[10:11], v[26:27], v[202:203]
	v_add_f64_e32 v[26:27], v[198:199], v[206:207]
	v_fmac_f64_e32 v[186:187], v[196:197], v[16:17]
	v_fma_f64 v[16:17], v[194:195], v[16:17], -v[18:19]
	s_delay_alu instid0(VALU_DEP_4) | instskip(NEXT) | instid1(VALU_DEP_4)
	v_add_f64_e32 v[14:15], v[10:11], v[8:9]
	v_add_f64_e32 v[26:27], v[26:27], v[200:201]
	ds_load_b128 v[4:7], v2 offset:1872
	ds_load_b128 v[8:11], v2 offset:1888
	s_wait_loadcnt_dscnt 0x801
	v_mul_f64_e32 v[188:189], v[4:5], v[24:25]
	v_mul_f64_e32 v[24:25], v[6:7], v[24:25]
	s_wait_loadcnt_dscnt 0x700
	v_mul_f64_e32 v[18:19], v[8:9], v[156:157]
	v_add_f64_e32 v[12:13], v[14:15], v[12:13]
	v_add_f64_e32 v[14:15], v[26:27], v[204:205]
	v_mul_f64_e32 v[26:27], v[10:11], v[156:157]
	v_fmac_f64_e32 v[188:189], v[6:7], v[22:23]
	v_fma_f64 v[22:23], v[4:5], v[22:23], -v[24:25]
	v_fmac_f64_e32 v[18:19], v[10:11], v[154:155]
	v_add_f64_e32 v[16:17], v[12:13], v[16:17]
	v_add_f64_e32 v[24:25], v[14:15], v[186:187]
	ds_load_b128 v[4:7], v2 offset:1904
	ds_load_b128 v[12:15], v2 offset:1920
	v_fma_f64 v[8:9], v[8:9], v[154:155], -v[26:27]
	s_wait_loadcnt_dscnt 0x601
	v_mul_f64_e32 v[156:157], v[4:5], v[160:161]
	v_mul_f64_e32 v[160:161], v[6:7], v[160:161]
	v_add_f64_e32 v[10:11], v[16:17], v[22:23]
	v_add_f64_e32 v[16:17], v[24:25], v[188:189]
	s_wait_loadcnt_dscnt 0x500
	v_mul_f64_e32 v[22:23], v[12:13], v[164:165]
	v_mul_f64_e32 v[24:25], v[14:15], v[164:165]
	v_fmac_f64_e32 v[156:157], v[6:7], v[158:159]
	v_fma_f64 v[26:27], v[4:5], v[158:159], -v[160:161]
	v_add_f64_e32 v[154:155], v[10:11], v[8:9]
	v_add_f64_e32 v[16:17], v[16:17], v[18:19]
	ds_load_b128 v[4:7], v2 offset:1936
	ds_load_b128 v[8:11], v2 offset:1952
	v_fmac_f64_e32 v[22:23], v[14:15], v[162:163]
	v_fma_f64 v[12:13], v[12:13], v[162:163], -v[24:25]
	s_wait_loadcnt_dscnt 0x401
	v_mul_f64_e32 v[18:19], v[4:5], v[168:169]
	v_mul_f64_e32 v[158:159], v[6:7], v[168:169]
	s_wait_loadcnt_dscnt 0x300
	v_mul_f64_e32 v[24:25], v[8:9], v[172:173]
	v_add_f64_e32 v[14:15], v[154:155], v[26:27]
	v_add_f64_e32 v[16:17], v[16:17], v[156:157]
	v_mul_f64_e32 v[26:27], v[10:11], v[172:173]
	v_fmac_f64_e32 v[18:19], v[6:7], v[166:167]
	v_fma_f64 v[154:155], v[4:5], v[166:167], -v[158:159]
	v_fmac_f64_e32 v[24:25], v[10:11], v[170:171]
	v_add_f64_e32 v[156:157], v[14:15], v[12:13]
	v_add_f64_e32 v[16:17], v[16:17], v[22:23]
	ds_load_b128 v[4:7], v2 offset:1968
	ds_load_b128 v[12:15], v2 offset:1984
	v_fma_f64 v[8:9], v[8:9], v[170:171], -v[26:27]
	s_wait_loadcnt_dscnt 0x201
	v_mul_f64_e32 v[22:23], v[4:5], v[180:181]
	v_mul_f64_e32 v[158:159], v[6:7], v[180:181]
	s_wait_loadcnt_dscnt 0x100
	v_mul_f64_e32 v[26:27], v[14:15], v[192:193]
	v_add_f64_e32 v[10:11], v[156:157], v[154:155]
	v_add_f64_e32 v[16:17], v[16:17], v[18:19]
	v_mul_f64_e32 v[18:19], v[12:13], v[192:193]
	v_fmac_f64_e32 v[22:23], v[6:7], v[178:179]
	v_fma_f64 v[154:155], v[4:5], v[178:179], -v[158:159]
	ds_load_b128 v[4:7], v2 offset:2000
	v_fma_f64 v[12:13], v[12:13], v[190:191], -v[26:27]
	v_add_f64_e32 v[8:9], v[10:11], v[8:9]
	v_add_f64_e32 v[10:11], v[16:17], v[24:25]
	v_fmac_f64_e32 v[18:19], v[14:15], v[190:191]
	s_wait_loadcnt_dscnt 0x0
	v_mul_f64_e32 v[16:17], v[4:5], v[176:177]
	v_mul_f64_e32 v[24:25], v[6:7], v[176:177]
	v_add_f64_e32 v[8:9], v[8:9], v[154:155]
	v_add_f64_e32 v[10:11], v[10:11], v[22:23]
	s_delay_alu instid0(VALU_DEP_4) | instskip(NEXT) | instid1(VALU_DEP_4)
	v_fmac_f64_e32 v[16:17], v[6:7], v[174:175]
	v_fma_f64 v[4:5], v[4:5], v[174:175], -v[24:25]
	s_delay_alu instid0(VALU_DEP_4) | instskip(NEXT) | instid1(VALU_DEP_4)
	v_add_f64_e32 v[6:7], v[8:9], v[12:13]
	v_add_f64_e32 v[8:9], v[10:11], v[18:19]
	s_delay_alu instid0(VALU_DEP_2) | instskip(NEXT) | instid1(VALU_DEP_2)
	v_add_f64_e32 v[4:5], v[6:7], v[4:5]
	v_add_f64_e32 v[6:7], v[8:9], v[16:17]
	s_delay_alu instid0(VALU_DEP_2) | instskip(NEXT) | instid1(VALU_DEP_2)
	v_add_f64_e64 v[4:5], v[182:183], -v[4:5]
	v_add_f64_e64 v[6:7], v[184:185], -v[6:7]
	scratch_store_b128 off, v[4:7], off offset:208
	s_wait_xcnt 0x0
	v_cmpx_lt_u32_e32 12, v1
	s_cbranch_execz .LBB62_379
; %bb.378:
	scratch_load_b128 v[6:9], off, s57
	v_dual_mov_b32 v3, v2 :: v_dual_mov_b32 v4, v2
	v_mov_b32_e32 v5, v2
	scratch_store_b128 off, v[2:5], off offset:192
	s_wait_loadcnt 0x0
	ds_store_b128 v20, v[6:9]
.LBB62_379:
	s_wait_xcnt 0x0
	s_or_b32 exec_lo, exec_lo, s2
	s_wait_storecnt_dscnt 0x0
	s_barrier_signal -1
	s_barrier_wait -1
	s_clause 0x9
	scratch_load_b128 v[4:7], off, off offset:208
	scratch_load_b128 v[8:11], off, off offset:224
	;; [unrolled: 1-line block ×10, first 2 shown]
	ds_load_b128 v[174:177], v2 offset:1216
	ds_load_b128 v[182:185], v2 offset:1232
	s_clause 0x2
	scratch_load_b128 v[178:181], off, off offset:368
	scratch_load_b128 v[186:189], off, off offset:192
	;; [unrolled: 1-line block ×3, first 2 shown]
	s_mov_b32 s2, exec_lo
	s_wait_loadcnt_dscnt 0xc01
	v_mul_f64_e32 v[26:27], v[176:177], v[6:7]
	v_mul_f64_e32 v[198:199], v[174:175], v[6:7]
	s_wait_loadcnt_dscnt 0xb00
	v_mul_f64_e32 v[200:201], v[182:183], v[10:11]
	v_mul_f64_e32 v[10:11], v[184:185], v[10:11]
	s_delay_alu instid0(VALU_DEP_4) | instskip(NEXT) | instid1(VALU_DEP_4)
	v_fma_f64 v[26:27], v[174:175], v[4:5], -v[26:27]
	v_fmac_f64_e32 v[198:199], v[176:177], v[4:5]
	ds_load_b128 v[4:7], v2 offset:1248
	ds_load_b128 v[174:177], v2 offset:1264
	scratch_load_b128 v[194:197], off, off offset:400
	v_fmac_f64_e32 v[200:201], v[184:185], v[8:9]
	v_fma_f64 v[182:183], v[182:183], v[8:9], -v[10:11]
	scratch_load_b128 v[8:11], off, off offset:416
	s_wait_loadcnt_dscnt 0xc01
	v_mul_f64_e32 v[202:203], v[4:5], v[14:15]
	v_mul_f64_e32 v[14:15], v[6:7], v[14:15]
	v_add_f64_e32 v[26:27], 0, v[26:27]
	v_add_f64_e32 v[184:185], 0, v[198:199]
	s_wait_loadcnt_dscnt 0xb00
	v_mul_f64_e32 v[198:199], v[174:175], v[18:19]
	v_mul_f64_e32 v[18:19], v[176:177], v[18:19]
	v_fmac_f64_e32 v[202:203], v[6:7], v[12:13]
	v_fma_f64 v[204:205], v[4:5], v[12:13], -v[14:15]
	ds_load_b128 v[4:7], v2 offset:1280
	ds_load_b128 v[12:15], v2 offset:1296
	v_add_f64_e32 v[26:27], v[26:27], v[182:183]
	v_add_f64_e32 v[200:201], v[184:185], v[200:201]
	scratch_load_b128 v[182:185], off, off offset:432
	v_fmac_f64_e32 v[198:199], v[176:177], v[16:17]
	v_fma_f64 v[174:175], v[174:175], v[16:17], -v[18:19]
	scratch_load_b128 v[16:19], off, off offset:448
	s_wait_loadcnt_dscnt 0xc01
	v_mul_f64_e32 v[206:207], v[4:5], v[24:25]
	v_mul_f64_e32 v[24:25], v[6:7], v[24:25]
	v_add_f64_e32 v[26:27], v[26:27], v[204:205]
	v_add_f64_e32 v[176:177], v[200:201], v[202:203]
	s_wait_loadcnt_dscnt 0xb00
	v_mul_f64_e32 v[200:201], v[12:13], v[156:157]
	v_mul_f64_e32 v[156:157], v[14:15], v[156:157]
	v_fmac_f64_e32 v[206:207], v[6:7], v[22:23]
	v_fma_f64 v[202:203], v[4:5], v[22:23], -v[24:25]
	ds_load_b128 v[4:7], v2 offset:1312
	ds_load_b128 v[22:25], v2 offset:1328
	s_wait_loadcnt_dscnt 0xa01
	v_mul_f64_e32 v[204:205], v[4:5], v[160:161]
	v_add_f64_e32 v[26:27], v[26:27], v[174:175]
	v_add_f64_e32 v[198:199], v[176:177], v[198:199]
	scratch_load_b128 v[174:177], off, off offset:464
	v_mul_f64_e32 v[160:161], v[6:7], v[160:161]
	v_fmac_f64_e32 v[200:201], v[14:15], v[154:155]
	v_fma_f64 v[154:155], v[12:13], v[154:155], -v[156:157]
	scratch_load_b128 v[12:15], off, off offset:480
	v_fmac_f64_e32 v[204:205], v[6:7], v[158:159]
	v_add_f64_e32 v[26:27], v[26:27], v[202:203]
	v_add_f64_e32 v[156:157], v[198:199], v[206:207]
	s_wait_loadcnt_dscnt 0xb00
	v_mul_f64_e32 v[198:199], v[22:23], v[164:165]
	v_mul_f64_e32 v[164:165], v[24:25], v[164:165]
	v_fma_f64 v[202:203], v[4:5], v[158:159], -v[160:161]
	v_add_f64_e32 v[26:27], v[26:27], v[154:155]
	v_add_f64_e32 v[200:201], v[156:157], v[200:201]
	ds_load_b128 v[4:7], v2 offset:1344
	ds_load_b128 v[154:157], v2 offset:1360
	scratch_load_b128 v[158:161], off, off offset:496
	v_fmac_f64_e32 v[198:199], v[24:25], v[162:163]
	v_fma_f64 v[162:163], v[22:23], v[162:163], -v[164:165]
	scratch_load_b128 v[22:25], off, off offset:512
	s_wait_loadcnt_dscnt 0xc01
	v_mul_f64_e32 v[206:207], v[4:5], v[168:169]
	v_mul_f64_e32 v[168:169], v[6:7], v[168:169]
	v_add_f64_e32 v[26:27], v[26:27], v[202:203]
	v_add_f64_e32 v[164:165], v[200:201], v[204:205]
	s_wait_loadcnt_dscnt 0xb00
	v_mul_f64_e32 v[200:201], v[154:155], v[172:173]
	v_mul_f64_e32 v[172:173], v[156:157], v[172:173]
	v_fmac_f64_e32 v[206:207], v[6:7], v[166:167]
	v_fma_f64 v[202:203], v[4:5], v[166:167], -v[168:169]
	v_add_f64_e32 v[26:27], v[26:27], v[162:163]
	v_add_f64_e32 v[198:199], v[164:165], v[198:199]
	ds_load_b128 v[4:7], v2 offset:1376
	ds_load_b128 v[162:165], v2 offset:1392
	scratch_load_b128 v[166:169], off, off offset:528
	v_fmac_f64_e32 v[200:201], v[156:157], v[170:171]
	v_fma_f64 v[170:171], v[154:155], v[170:171], -v[172:173]
	scratch_load_b128 v[154:157], off, off offset:544
	s_wait_loadcnt_dscnt 0xc01
	v_mul_f64_e32 v[204:205], v[4:5], v[180:181]
	v_mul_f64_e32 v[180:181], v[6:7], v[180:181]
	v_add_f64_e32 v[26:27], v[26:27], v[202:203]
	v_add_f64_e32 v[172:173], v[198:199], v[206:207]
	s_wait_loadcnt_dscnt 0xa00
	v_mul_f64_e32 v[198:199], v[162:163], v[192:193]
	v_mul_f64_e32 v[192:193], v[164:165], v[192:193]
	v_fmac_f64_e32 v[204:205], v[6:7], v[178:179]
	;; [unrolled: 18-line block ×5, first 2 shown]
	v_fma_f64 v[202:203], v[4:5], v[174:175], -v[176:177]
	ds_load_b128 v[4:7], v2 offset:1504
	ds_load_b128 v[174:177], v2 offset:1520
	v_add_f64_e32 v[26:27], v[26:27], v[190:191]
	v_add_f64_e32 v[198:199], v[192:193], v[198:199]
	scratch_load_b128 v[190:193], off, off offset:656
	v_fmac_f64_e32 v[200:201], v[172:173], v[12:13]
	v_fma_f64 v[170:171], v[170:171], v[12:13], -v[14:15]
	scratch_load_b128 v[12:15], off, off offset:672
	s_wait_loadcnt_dscnt 0xb01
	v_mul_f64_e32 v[204:205], v[4:5], v[160:161]
	v_mul_f64_e32 v[160:161], v[6:7], v[160:161]
	v_add_f64_e32 v[26:27], v[26:27], v[202:203]
	v_add_f64_e32 v[172:173], v[198:199], v[206:207]
	s_wait_loadcnt_dscnt 0xa00
	v_mul_f64_e32 v[198:199], v[174:175], v[24:25]
	v_mul_f64_e32 v[202:203], v[176:177], v[24:25]
	v_fmac_f64_e32 v[204:205], v[6:7], v[158:159]
	v_fma_f64 v[206:207], v[4:5], v[158:159], -v[160:161]
	v_add_f64_e32 v[170:171], v[26:27], v[170:171]
	v_add_f64_e32 v[172:173], v[172:173], v[200:201]
	ds_load_b128 v[4:7], v2 offset:1536
	ds_load_b128 v[24:27], v2 offset:1552
	scratch_load_b128 v[158:161], off, off offset:688
	v_fmac_f64_e32 v[198:199], v[176:177], v[22:23]
	v_fma_f64 v[22:23], v[174:175], v[22:23], -v[202:203]
	s_wait_loadcnt_dscnt 0xa01
	v_mul_f64_e32 v[208:209], v[4:5], v[168:169]
	v_mul_f64_e32 v[200:201], v[6:7], v[168:169]
	s_wait_loadcnt_dscnt 0x900
	v_mul_f64_e32 v[176:177], v[24:25], v[156:157]
	v_mul_f64_e32 v[156:157], v[26:27], v[156:157]
	v_add_f64_e32 v[174:175], v[170:171], v[206:207]
	v_add_f64_e32 v[172:173], v[172:173], v[204:205]
	scratch_load_b128 v[168:171], off, off offset:704
	v_fmac_f64_e32 v[208:209], v[6:7], v[166:167]
	v_fma_f64 v[166:167], v[4:5], v[166:167], -v[200:201]
	v_fmac_f64_e32 v[176:177], v[26:27], v[154:155]
	v_fma_f64 v[26:27], v[24:25], v[154:155], -v[156:157]
	v_add_f64_e32 v[22:23], v[174:175], v[22:23]
	v_add_f64_e32 v[202:203], v[172:173], v[198:199]
	ds_load_b128 v[4:7], v2 offset:1568
	ds_load_b128 v[172:175], v2 offset:1584
	scratch_load_b128 v[198:201], off, off offset:720
	s_wait_loadcnt_dscnt 0xa01
	v_mul_f64_e32 v[204:205], v[4:5], v[180:181]
	v_mul_f64_e32 v[180:181], v[6:7], v[180:181]
	s_wait_loadcnt_dscnt 0x900
	v_mul_f64_e32 v[206:207], v[174:175], v[164:165]
	v_add_f64_e32 v[154:155], v[22:23], v[166:167]
	v_add_f64_e32 v[156:157], v[202:203], v[208:209]
	scratch_load_b128 v[22:25], off, off offset:736
	v_mul_f64_e32 v[202:203], v[172:173], v[164:165]
	v_fmac_f64_e32 v[204:205], v[6:7], v[178:179]
	v_fma_f64 v[178:179], v[4:5], v[178:179], -v[180:181]
	v_add_f64_e32 v[26:27], v[154:155], v[26:27]
	v_add_f64_e32 v[176:177], v[156:157], v[176:177]
	ds_load_b128 v[4:7], v2 offset:1600
	ds_load_b128 v[154:157], v2 offset:1616
	scratch_load_b128 v[164:167], off, off offset:752
	v_fmac_f64_e32 v[202:203], v[174:175], v[162:163]
	v_fma_f64 v[162:163], v[172:173], v[162:163], -v[206:207]
	scratch_load_b128 v[172:175], off, off offset:768
	s_wait_loadcnt_dscnt 0xb01
	v_mul_f64_e32 v[180:181], v[4:5], v[196:197]
	v_mul_f64_e32 v[196:197], v[6:7], v[196:197]
	v_add_f64_e32 v[26:27], v[26:27], v[178:179]
	v_add_f64_e32 v[176:177], v[176:177], v[204:205]
	s_wait_loadcnt_dscnt 0xa00
	v_mul_f64_e32 v[204:205], v[154:155], v[10:11]
	v_mul_f64_e32 v[10:11], v[156:157], v[10:11]
	v_fmac_f64_e32 v[180:181], v[6:7], v[194:195]
	v_fma_f64 v[206:207], v[4:5], v[194:195], -v[196:197]
	v_add_f64_e32 v[26:27], v[26:27], v[162:163]
	v_add_f64_e32 v[162:163], v[176:177], v[202:203]
	ds_load_b128 v[4:7], v2 offset:1632
	ds_load_b128 v[176:179], v2 offset:1648
	scratch_load_b128 v[194:197], off, off offset:784
	v_fmac_f64_e32 v[204:205], v[156:157], v[8:9]
	v_fma_f64 v[154:155], v[154:155], v[8:9], -v[10:11]
	scratch_load_b128 v[8:11], off, off offset:800
	s_wait_loadcnt_dscnt 0xb01
	v_mul_f64_e32 v[202:203], v[4:5], v[184:185]
	v_mul_f64_e32 v[184:185], v[6:7], v[184:185]
	v_add_f64_e32 v[26:27], v[26:27], v[206:207]
	v_add_f64_e32 v[156:157], v[162:163], v[180:181]
	s_wait_loadcnt_dscnt 0xa00
	v_mul_f64_e32 v[162:163], v[176:177], v[18:19]
	;; [unrolled: 18-line block ×5, first 2 shown]
	v_mul_f64_e32 v[202:203], v[156:157], v[24:25]
	v_fmac_f64_e32 v[206:207], v[6:7], v[198:199]
	v_fma_f64 v[198:199], v[4:5], v[198:199], -v[200:201]
	v_add_f64_e32 v[200:201], v[26:27], v[176:177]
	v_add_f64_e32 v[162:163], v[178:179], v[162:163]
	ds_load_b128 v[4:7], v2 offset:1760
	ds_load_b128 v[24:27], v2 offset:1776
	scratch_load_b128 v[176:179], off, off offset:912
	v_fmac_f64_e32 v[184:185], v[156:157], v[22:23]
	v_fma_f64 v[22:23], v[154:155], v[22:23], -v[202:203]
	scratch_load_b128 v[154:157], off, off offset:928
	s_wait_loadcnt_dscnt 0xb01
	v_mul_f64_e32 v[204:205], v[4:5], v[166:167]
	v_mul_f64_e32 v[166:167], v[6:7], v[166:167]
	s_wait_loadcnt_dscnt 0xa00
	v_mul_f64_e32 v[202:203], v[24:25], v[174:175]
	v_mul_f64_e32 v[174:175], v[26:27], v[174:175]
	v_add_f64_e32 v[198:199], v[200:201], v[198:199]
	v_add_f64_e32 v[162:163], v[162:163], v[206:207]
	v_fmac_f64_e32 v[204:205], v[6:7], v[164:165]
	v_fma_f64 v[166:167], v[4:5], v[164:165], -v[166:167]
	v_fmac_f64_e32 v[202:203], v[26:27], v[172:173]
	v_fma_f64 v[26:27], v[24:25], v[172:173], -v[174:175]
	v_add_f64_e32 v[22:23], v[198:199], v[22:23]
	v_add_f64_e32 v[184:185], v[162:163], v[184:185]
	ds_load_b128 v[4:7], v2 offset:1792
	ds_load_b128 v[162:165], v2 offset:1808
	scratch_load_b128 v[198:201], off, off offset:944
	s_wait_loadcnt_dscnt 0xa01
	v_mul_f64_e32 v[206:207], v[4:5], v[196:197]
	v_mul_f64_e32 v[196:197], v[6:7], v[196:197]
	v_add_f64_e32 v[166:167], v[22:23], v[166:167]
	v_add_f64_e32 v[172:173], v[184:185], v[204:205]
	scratch_load_b128 v[22:25], off, off offset:960
	s_wait_loadcnt_dscnt 0xa00
	v_mul_f64_e32 v[184:185], v[162:163], v[10:11]
	v_mul_f64_e32 v[10:11], v[164:165], v[10:11]
	v_fmac_f64_e32 v[206:207], v[6:7], v[194:195]
	v_fma_f64 v[204:205], v[4:5], v[194:195], -v[196:197]
	v_add_f64_e32 v[26:27], v[166:167], v[26:27]
	v_add_f64_e32 v[166:167], v[172:173], v[202:203]
	ds_load_b128 v[4:7], v2 offset:1824
	ds_load_b128 v[172:175], v2 offset:1840
	scratch_load_b128 v[194:197], off, off offset:976
	v_fmac_f64_e32 v[184:185], v[164:165], v[8:9]
	v_fma_f64 v[162:163], v[162:163], v[8:9], -v[10:11]
	scratch_load_b128 v[8:11], off, off offset:992
	s_wait_loadcnt_dscnt 0xb01
	v_mul_f64_e32 v[202:203], v[4:5], v[182:183]
	v_mul_f64_e32 v[182:183], v[6:7], v[182:183]
	v_add_f64_e32 v[26:27], v[26:27], v[204:205]
	v_add_f64_e32 v[164:165], v[166:167], v[206:207]
	s_wait_loadcnt_dscnt 0xa00
	v_mul_f64_e32 v[166:167], v[172:173], v[18:19]
	v_mul_f64_e32 v[18:19], v[174:175], v[18:19]
	v_fmac_f64_e32 v[202:203], v[6:7], v[180:181]
	v_fma_f64 v[180:181], v[4:5], v[180:181], -v[182:183]
	v_add_f64_e32 v[26:27], v[26:27], v[162:163]
	v_add_f64_e32 v[182:183], v[164:165], v[184:185]
	ds_load_b128 v[4:7], v2 offset:1856
	ds_load_b128 v[162:165], v2 offset:1872
	v_fmac_f64_e32 v[166:167], v[174:175], v[16:17]
	v_fma_f64 v[16:17], v[172:173], v[16:17], -v[18:19]
	s_wait_loadcnt_dscnt 0x901
	v_mul_f64_e32 v[184:185], v[4:5], v[192:193]
	v_mul_f64_e32 v[192:193], v[6:7], v[192:193]
	s_wait_loadcnt_dscnt 0x800
	v_mul_f64_e32 v[172:173], v[162:163], v[14:15]
	v_mul_f64_e32 v[174:175], v[164:165], v[14:15]
	v_add_f64_e32 v[18:19], v[26:27], v[180:181]
	v_add_f64_e32 v[26:27], v[182:183], v[202:203]
	v_fmac_f64_e32 v[184:185], v[6:7], v[190:191]
	v_fma_f64 v[180:181], v[4:5], v[190:191], -v[192:193]
	v_fmac_f64_e32 v[172:173], v[164:165], v[12:13]
	v_fma_f64 v[12:13], v[162:163], v[12:13], -v[174:175]
	v_add_f64_e32 v[18:19], v[18:19], v[16:17]
	v_add_f64_e32 v[26:27], v[26:27], v[166:167]
	ds_load_b128 v[4:7], v2 offset:1888
	ds_load_b128 v[14:17], v2 offset:1904
	s_wait_loadcnt_dscnt 0x701
	v_mul_f64_e32 v[166:167], v[4:5], v[160:161]
	v_mul_f64_e32 v[160:161], v[6:7], v[160:161]
	s_wait_loadcnt_dscnt 0x600
	v_mul_f64_e32 v[162:163], v[14:15], v[170:171]
	v_mul_f64_e32 v[164:165], v[16:17], v[170:171]
	v_add_f64_e32 v[18:19], v[18:19], v[180:181]
	v_add_f64_e32 v[26:27], v[26:27], v[184:185]
	v_fmac_f64_e32 v[166:167], v[6:7], v[158:159]
	v_fma_f64 v[170:171], v[4:5], v[158:159], -v[160:161]
	ds_load_b128 v[4:7], v2 offset:1920
	ds_load_b128 v[158:161], v2 offset:1936
	v_fmac_f64_e32 v[162:163], v[16:17], v[168:169]
	v_fma_f64 v[14:15], v[14:15], v[168:169], -v[164:165]
	v_add_f64_e32 v[12:13], v[18:19], v[12:13]
	v_add_f64_e32 v[18:19], v[26:27], v[172:173]
	s_wait_loadcnt_dscnt 0x501
	v_mul_f64_e32 v[26:27], v[4:5], v[178:179]
	v_mul_f64_e32 v[172:173], v[6:7], v[178:179]
	s_delay_alu instid0(VALU_DEP_4) | instskip(NEXT) | instid1(VALU_DEP_4)
	v_add_f64_e32 v[12:13], v[12:13], v[170:171]
	v_add_f64_e32 v[16:17], v[18:19], v[166:167]
	s_wait_loadcnt_dscnt 0x400
	v_mul_f64_e32 v[18:19], v[158:159], v[156:157]
	v_mul_f64_e32 v[156:157], v[160:161], v[156:157]
	v_fmac_f64_e32 v[26:27], v[6:7], v[176:177]
	v_fma_f64 v[164:165], v[4:5], v[176:177], -v[172:173]
	v_add_f64_e32 v[166:167], v[12:13], v[14:15]
	v_add_f64_e32 v[16:17], v[16:17], v[162:163]
	ds_load_b128 v[4:7], v2 offset:1952
	ds_load_b128 v[12:15], v2 offset:1968
	v_fmac_f64_e32 v[18:19], v[160:161], v[154:155]
	v_fma_f64 v[154:155], v[158:159], v[154:155], -v[156:157]
	s_wait_loadcnt_dscnt 0x301
	v_mul_f64_e32 v[162:163], v[4:5], v[200:201]
	v_mul_f64_e32 v[168:169], v[6:7], v[200:201]
	v_add_f64_e32 v[156:157], v[166:167], v[164:165]
	v_add_f64_e32 v[16:17], v[16:17], v[26:27]
	s_wait_loadcnt_dscnt 0x200
	v_mul_f64_e32 v[26:27], v[12:13], v[24:25]
	v_mul_f64_e32 v[24:25], v[14:15], v[24:25]
	v_fmac_f64_e32 v[162:163], v[6:7], v[198:199]
	v_fma_f64 v[158:159], v[4:5], v[198:199], -v[168:169]
	v_add_f64_e32 v[154:155], v[156:157], v[154:155]
	v_add_f64_e32 v[156:157], v[16:17], v[18:19]
	ds_load_b128 v[4:7], v2 offset:1984
	ds_load_b128 v[16:19], v2 offset:2000
	v_fmac_f64_e32 v[26:27], v[14:15], v[22:23]
	v_fma_f64 v[12:13], v[12:13], v[22:23], -v[24:25]
	s_wait_loadcnt_dscnt 0x101
	v_mul_f64_e32 v[2:3], v[4:5], v[196:197]
	v_mul_f64_e32 v[160:161], v[6:7], v[196:197]
	s_wait_loadcnt_dscnt 0x0
	v_mul_f64_e32 v[24:25], v[16:17], v[10:11]
	v_mul_f64_e32 v[10:11], v[18:19], v[10:11]
	v_add_f64_e32 v[14:15], v[154:155], v[158:159]
	v_add_f64_e32 v[22:23], v[156:157], v[162:163]
	v_fmac_f64_e32 v[2:3], v[6:7], v[194:195]
	v_fma_f64 v[4:5], v[4:5], v[194:195], -v[160:161]
	v_fmac_f64_e32 v[24:25], v[18:19], v[8:9]
	v_fma_f64 v[8:9], v[16:17], v[8:9], -v[10:11]
	v_add_f64_e32 v[6:7], v[14:15], v[12:13]
	v_add_f64_e32 v[12:13], v[22:23], v[26:27]
	s_delay_alu instid0(VALU_DEP_2) | instskip(NEXT) | instid1(VALU_DEP_2)
	v_add_f64_e32 v[4:5], v[6:7], v[4:5]
	v_add_f64_e32 v[2:3], v[12:13], v[2:3]
	s_delay_alu instid0(VALU_DEP_2) | instskip(NEXT) | instid1(VALU_DEP_2)
	;; [unrolled: 3-line block ×3, first 2 shown]
	v_add_f64_e64 v[2:3], v[186:187], -v[4:5]
	v_add_f64_e64 v[4:5], v[188:189], -v[6:7]
	scratch_store_b128 off, v[2:5], off offset:192
	s_wait_xcnt 0x0
	v_cmpx_lt_u32_e32 11, v1
	s_cbranch_execz .LBB62_381
; %bb.380:
	scratch_load_b128 v[2:5], off, s70
	v_mov_b32_e32 v6, 0
	s_delay_alu instid0(VALU_DEP_1)
	v_dual_mov_b32 v7, v6 :: v_dual_mov_b32 v8, v6
	v_mov_b32_e32 v9, v6
	scratch_store_b128 off, v[6:9], off offset:176
	s_wait_loadcnt 0x0
	ds_store_b128 v20, v[2:5]
.LBB62_381:
	s_wait_xcnt 0x0
	s_or_b32 exec_lo, exec_lo, s2
	s_wait_storecnt_dscnt 0x0
	s_barrier_signal -1
	s_barrier_wait -1
	s_clause 0x9
	scratch_load_b128 v[4:7], off, off offset:192
	scratch_load_b128 v[8:11], off, off offset:208
	;; [unrolled: 1-line block ×10, first 2 shown]
	v_mov_b32_e32 v2, 0
	s_mov_b32 s2, exec_lo
	ds_load_b128 v[174:177], v2 offset:1200
	s_clause 0x2
	scratch_load_b128 v[178:181], off, off offset:352
	scratch_load_b128 v[182:185], off, off offset:176
	;; [unrolled: 1-line block ×3, first 2 shown]
	s_wait_loadcnt_dscnt 0xc00
	v_mul_f64_e32 v[26:27], v[176:177], v[6:7]
	v_mul_f64_e32 v[198:199], v[174:175], v[6:7]
	ds_load_b128 v[186:189], v2 offset:1216
	ds_load_b128 v[194:197], v2 offset:1248
	v_fma_f64 v[26:27], v[174:175], v[4:5], -v[26:27]
	v_fmac_f64_e32 v[198:199], v[176:177], v[4:5]
	ds_load_b128 v[4:7], v2 offset:1232
	s_wait_loadcnt_dscnt 0xb02
	v_mul_f64_e32 v[200:201], v[186:187], v[10:11]
	v_mul_f64_e32 v[10:11], v[188:189], v[10:11]
	scratch_load_b128 v[174:177], off, off offset:384
	s_wait_loadcnt_dscnt 0xb00
	v_mul_f64_e32 v[202:203], v[4:5], v[14:15]
	v_mul_f64_e32 v[14:15], v[6:7], v[14:15]
	v_add_f64_e32 v[26:27], 0, v[26:27]
	v_fmac_f64_e32 v[200:201], v[188:189], v[8:9]
	v_fma_f64 v[186:187], v[186:187], v[8:9], -v[10:11]
	v_add_f64_e32 v[188:189], 0, v[198:199]
	scratch_load_b128 v[8:11], off, off offset:400
	v_fmac_f64_e32 v[202:203], v[6:7], v[12:13]
	v_fma_f64 v[204:205], v[4:5], v[12:13], -v[14:15]
	ds_load_b128 v[4:7], v2 offset:1264
	s_wait_loadcnt 0xb
	v_mul_f64_e32 v[198:199], v[194:195], v[18:19]
	v_mul_f64_e32 v[18:19], v[196:197], v[18:19]
	scratch_load_b128 v[12:15], off, off offset:416
	v_add_f64_e32 v[26:27], v[26:27], v[186:187]
	v_add_f64_e32 v[200:201], v[188:189], v[200:201]
	ds_load_b128 v[186:189], v2 offset:1280
	s_wait_loadcnt_dscnt 0xb01
	v_mul_f64_e32 v[206:207], v[4:5], v[24:25]
	v_mul_f64_e32 v[24:25], v[6:7], v[24:25]
	v_fmac_f64_e32 v[198:199], v[196:197], v[16:17]
	v_fma_f64 v[194:195], v[194:195], v[16:17], -v[18:19]
	scratch_load_b128 v[16:19], off, off offset:432
	v_add_f64_e32 v[26:27], v[26:27], v[204:205]
	v_add_f64_e32 v[196:197], v[200:201], v[202:203]
	v_fmac_f64_e32 v[206:207], v[6:7], v[22:23]
	v_fma_f64 v[202:203], v[4:5], v[22:23], -v[24:25]
	ds_load_b128 v[4:7], v2 offset:1296
	s_wait_loadcnt_dscnt 0xb01
	v_mul_f64_e32 v[200:201], v[186:187], v[156:157]
	v_mul_f64_e32 v[156:157], v[188:189], v[156:157]
	scratch_load_b128 v[22:25], off, off offset:448
	s_wait_loadcnt_dscnt 0xb00
	v_mul_f64_e32 v[204:205], v[4:5], v[160:161]
	v_mul_f64_e32 v[160:161], v[6:7], v[160:161]
	v_add_f64_e32 v[26:27], v[26:27], v[194:195]
	v_add_f64_e32 v[198:199], v[196:197], v[198:199]
	ds_load_b128 v[194:197], v2 offset:1312
	v_fmac_f64_e32 v[200:201], v[188:189], v[154:155]
	v_fma_f64 v[186:187], v[186:187], v[154:155], -v[156:157]
	scratch_load_b128 v[154:157], off, off offset:464
	v_fmac_f64_e32 v[204:205], v[6:7], v[158:159]
	v_add_f64_e32 v[26:27], v[26:27], v[202:203]
	v_add_f64_e32 v[188:189], v[198:199], v[206:207]
	v_fma_f64 v[202:203], v[4:5], v[158:159], -v[160:161]
	ds_load_b128 v[4:7], v2 offset:1328
	s_wait_loadcnt_dscnt 0xb01
	v_mul_f64_e32 v[198:199], v[194:195], v[164:165]
	v_mul_f64_e32 v[164:165], v[196:197], v[164:165]
	scratch_load_b128 v[158:161], off, off offset:480
	s_wait_loadcnt_dscnt 0xb00
	v_mul_f64_e32 v[206:207], v[4:5], v[168:169]
	v_mul_f64_e32 v[168:169], v[6:7], v[168:169]
	v_add_f64_e32 v[26:27], v[26:27], v[186:187]
	v_add_f64_e32 v[200:201], v[188:189], v[200:201]
	ds_load_b128 v[186:189], v2 offset:1344
	v_fmac_f64_e32 v[198:199], v[196:197], v[162:163]
	v_fma_f64 v[194:195], v[194:195], v[162:163], -v[164:165]
	scratch_load_b128 v[162:165], off, off offset:496
	v_fmac_f64_e32 v[206:207], v[6:7], v[166:167]
	v_add_f64_e32 v[26:27], v[26:27], v[202:203]
	v_add_f64_e32 v[196:197], v[200:201], v[204:205]
	;; [unrolled: 18-line block ×3, first 2 shown]
	v_fma_f64 v[202:203], v[4:5], v[178:179], -v[180:181]
	ds_load_b128 v[4:7], v2 offset:1392
	s_wait_loadcnt_dscnt 0xa01
	v_mul_f64_e32 v[198:199], v[194:195], v[192:193]
	v_mul_f64_e32 v[192:193], v[196:197], v[192:193]
	scratch_load_b128 v[178:181], off, off offset:544
	v_add_f64_e32 v[26:27], v[26:27], v[186:187]
	v_add_f64_e32 v[200:201], v[188:189], v[200:201]
	s_wait_loadcnt_dscnt 0xa00
	v_mul_f64_e32 v[206:207], v[4:5], v[176:177]
	v_mul_f64_e32 v[176:177], v[6:7], v[176:177]
	v_fmac_f64_e32 v[198:199], v[196:197], v[190:191]
	v_fma_f64 v[194:195], v[194:195], v[190:191], -v[192:193]
	ds_load_b128 v[186:189], v2 offset:1408
	scratch_load_b128 v[190:193], off, off offset:560
	v_add_f64_e32 v[26:27], v[26:27], v[202:203]
	v_add_f64_e32 v[196:197], v[200:201], v[204:205]
	v_fmac_f64_e32 v[206:207], v[6:7], v[174:175]
	v_fma_f64 v[202:203], v[4:5], v[174:175], -v[176:177]
	ds_load_b128 v[4:7], v2 offset:1424
	s_wait_loadcnt_dscnt 0xa01
	v_mul_f64_e32 v[200:201], v[186:187], v[10:11]
	v_mul_f64_e32 v[10:11], v[188:189], v[10:11]
	scratch_load_b128 v[174:177], off, off offset:576
	s_wait_loadcnt_dscnt 0xa00
	v_mul_f64_e32 v[204:205], v[4:5], v[14:15]
	v_mul_f64_e32 v[14:15], v[6:7], v[14:15]
	v_add_f64_e32 v[26:27], v[26:27], v[194:195]
	v_add_f64_e32 v[198:199], v[196:197], v[198:199]
	ds_load_b128 v[194:197], v2 offset:1440
	v_fmac_f64_e32 v[200:201], v[188:189], v[8:9]
	v_fma_f64 v[186:187], v[186:187], v[8:9], -v[10:11]
	scratch_load_b128 v[8:11], off, off offset:592
	v_fmac_f64_e32 v[204:205], v[6:7], v[12:13]
	v_add_f64_e32 v[26:27], v[26:27], v[202:203]
	v_add_f64_e32 v[188:189], v[198:199], v[206:207]
	v_fma_f64 v[202:203], v[4:5], v[12:13], -v[14:15]
	ds_load_b128 v[4:7], v2 offset:1456
	s_wait_loadcnt_dscnt 0xa01
	v_mul_f64_e32 v[198:199], v[194:195], v[18:19]
	v_mul_f64_e32 v[18:19], v[196:197], v[18:19]
	scratch_load_b128 v[12:15], off, off offset:608
	s_wait_loadcnt_dscnt 0xa00
	v_mul_f64_e32 v[206:207], v[4:5], v[24:25]
	v_mul_f64_e32 v[24:25], v[6:7], v[24:25]
	v_add_f64_e32 v[26:27], v[26:27], v[186:187]
	v_add_f64_e32 v[200:201], v[188:189], v[200:201]
	ds_load_b128 v[186:189], v2 offset:1472
	v_fmac_f64_e32 v[198:199], v[196:197], v[16:17]
	v_fma_f64 v[194:195], v[194:195], v[16:17], -v[18:19]
	scratch_load_b128 v[16:19], off, off offset:624
	v_fmac_f64_e32 v[206:207], v[6:7], v[22:23]
	v_add_f64_e32 v[26:27], v[26:27], v[202:203]
	v_add_f64_e32 v[196:197], v[200:201], v[204:205]
	v_fma_f64 v[202:203], v[4:5], v[22:23], -v[24:25]
	ds_load_b128 v[4:7], v2 offset:1488
	s_wait_loadcnt_dscnt 0xa01
	v_mul_f64_e32 v[200:201], v[186:187], v[156:157]
	v_mul_f64_e32 v[156:157], v[188:189], v[156:157]
	scratch_load_b128 v[22:25], off, off offset:640
	s_wait_loadcnt_dscnt 0xa00
	v_mul_f64_e32 v[204:205], v[4:5], v[160:161]
	v_mul_f64_e32 v[160:161], v[6:7], v[160:161]
	v_add_f64_e32 v[26:27], v[26:27], v[194:195]
	v_add_f64_e32 v[198:199], v[196:197], v[198:199]
	ds_load_b128 v[194:197], v2 offset:1504
	v_fmac_f64_e32 v[200:201], v[188:189], v[154:155]
	v_fma_f64 v[186:187], v[186:187], v[154:155], -v[156:157]
	scratch_load_b128 v[154:157], off, off offset:656
	v_fmac_f64_e32 v[204:205], v[6:7], v[158:159]
	v_add_f64_e32 v[26:27], v[26:27], v[202:203]
	v_add_f64_e32 v[188:189], v[198:199], v[206:207]
	v_fma_f64 v[202:203], v[4:5], v[158:159], -v[160:161]
	ds_load_b128 v[4:7], v2 offset:1520
	s_wait_loadcnt_dscnt 0xa01
	v_mul_f64_e32 v[198:199], v[194:195], v[164:165]
	v_mul_f64_e32 v[164:165], v[196:197], v[164:165]
	scratch_load_b128 v[158:161], off, off offset:672
	s_wait_loadcnt_dscnt 0xa00
	v_mul_f64_e32 v[206:207], v[4:5], v[168:169]
	v_mul_f64_e32 v[168:169], v[6:7], v[168:169]
	v_add_f64_e32 v[26:27], v[26:27], v[186:187]
	v_add_f64_e32 v[200:201], v[188:189], v[200:201]
	ds_load_b128 v[186:189], v2 offset:1536
	v_fmac_f64_e32 v[198:199], v[196:197], v[162:163]
	v_fma_f64 v[194:195], v[194:195], v[162:163], -v[164:165]
	scratch_load_b128 v[162:165], off, off offset:688
	v_fmac_f64_e32 v[206:207], v[6:7], v[166:167]
	v_add_f64_e32 v[26:27], v[26:27], v[202:203]
	v_add_f64_e32 v[196:197], v[200:201], v[204:205]
	v_fma_f64 v[202:203], v[4:5], v[166:167], -v[168:169]
	ds_load_b128 v[4:7], v2 offset:1552
	s_wait_loadcnt_dscnt 0xa01
	v_mul_f64_e32 v[200:201], v[186:187], v[172:173]
	v_mul_f64_e32 v[172:173], v[188:189], v[172:173]
	scratch_load_b128 v[166:169], off, off offset:704
	s_wait_loadcnt_dscnt 0xa00
	v_mul_f64_e32 v[204:205], v[4:5], v[180:181]
	v_mul_f64_e32 v[180:181], v[6:7], v[180:181]
	v_add_f64_e32 v[26:27], v[26:27], v[194:195]
	v_add_f64_e32 v[198:199], v[196:197], v[198:199]
	ds_load_b128 v[194:197], v2 offset:1568
	v_fmac_f64_e32 v[200:201], v[188:189], v[170:171]
	v_fma_f64 v[186:187], v[186:187], v[170:171], -v[172:173]
	scratch_load_b128 v[170:173], off, off offset:720
	v_fmac_f64_e32 v[204:205], v[6:7], v[178:179]
	v_add_f64_e32 v[26:27], v[26:27], v[202:203]
	v_add_f64_e32 v[188:189], v[198:199], v[206:207]
	v_fma_f64 v[202:203], v[4:5], v[178:179], -v[180:181]
	ds_load_b128 v[4:7], v2 offset:1584
	s_wait_loadcnt_dscnt 0xa01
	v_mul_f64_e32 v[198:199], v[194:195], v[192:193]
	v_mul_f64_e32 v[192:193], v[196:197], v[192:193]
	scratch_load_b128 v[178:181], off, off offset:736
	s_wait_loadcnt_dscnt 0xa00
	v_mul_f64_e32 v[206:207], v[4:5], v[176:177]
	v_mul_f64_e32 v[176:177], v[6:7], v[176:177]
	v_add_f64_e32 v[26:27], v[26:27], v[186:187]
	v_add_f64_e32 v[200:201], v[188:189], v[200:201]
	ds_load_b128 v[186:189], v2 offset:1600
	v_fmac_f64_e32 v[198:199], v[196:197], v[190:191]
	v_fma_f64 v[194:195], v[194:195], v[190:191], -v[192:193]
	scratch_load_b128 v[190:193], off, off offset:752
	v_fmac_f64_e32 v[206:207], v[6:7], v[174:175]
	v_add_f64_e32 v[26:27], v[26:27], v[202:203]
	v_add_f64_e32 v[196:197], v[200:201], v[204:205]
	v_fma_f64 v[202:203], v[4:5], v[174:175], -v[176:177]
	ds_load_b128 v[4:7], v2 offset:1616
	s_wait_loadcnt_dscnt 0xa01
	v_mul_f64_e32 v[200:201], v[186:187], v[10:11]
	v_mul_f64_e32 v[10:11], v[188:189], v[10:11]
	scratch_load_b128 v[174:177], off, off offset:768
	s_wait_loadcnt_dscnt 0xa00
	v_mul_f64_e32 v[204:205], v[4:5], v[14:15]
	v_mul_f64_e32 v[14:15], v[6:7], v[14:15]
	v_add_f64_e32 v[26:27], v[26:27], v[194:195]
	v_add_f64_e32 v[198:199], v[196:197], v[198:199]
	ds_load_b128 v[194:197], v2 offset:1632
	v_fmac_f64_e32 v[200:201], v[188:189], v[8:9]
	v_fma_f64 v[186:187], v[186:187], v[8:9], -v[10:11]
	scratch_load_b128 v[8:11], off, off offset:784
	v_fmac_f64_e32 v[204:205], v[6:7], v[12:13]
	v_add_f64_e32 v[26:27], v[26:27], v[202:203]
	v_add_f64_e32 v[188:189], v[198:199], v[206:207]
	v_fma_f64 v[202:203], v[4:5], v[12:13], -v[14:15]
	ds_load_b128 v[4:7], v2 offset:1648
	s_wait_loadcnt_dscnt 0xa01
	v_mul_f64_e32 v[198:199], v[194:195], v[18:19]
	v_mul_f64_e32 v[18:19], v[196:197], v[18:19]
	scratch_load_b128 v[12:15], off, off offset:800
	s_wait_loadcnt_dscnt 0xa00
	v_mul_f64_e32 v[206:207], v[4:5], v[24:25]
	v_mul_f64_e32 v[24:25], v[6:7], v[24:25]
	v_add_f64_e32 v[26:27], v[26:27], v[186:187]
	v_add_f64_e32 v[200:201], v[188:189], v[200:201]
	ds_load_b128 v[186:189], v2 offset:1664
	v_fmac_f64_e32 v[198:199], v[196:197], v[16:17]
	v_fma_f64 v[194:195], v[194:195], v[16:17], -v[18:19]
	scratch_load_b128 v[16:19], off, off offset:816
	v_fmac_f64_e32 v[206:207], v[6:7], v[22:23]
	v_add_f64_e32 v[26:27], v[26:27], v[202:203]
	v_add_f64_e32 v[196:197], v[200:201], v[204:205]
	v_fma_f64 v[202:203], v[4:5], v[22:23], -v[24:25]
	ds_load_b128 v[4:7], v2 offset:1680
	s_wait_loadcnt_dscnt 0xa01
	v_mul_f64_e32 v[200:201], v[186:187], v[156:157]
	v_mul_f64_e32 v[156:157], v[188:189], v[156:157]
	scratch_load_b128 v[22:25], off, off offset:832
	s_wait_loadcnt_dscnt 0xa00
	v_mul_f64_e32 v[204:205], v[4:5], v[160:161]
	v_mul_f64_e32 v[160:161], v[6:7], v[160:161]
	v_add_f64_e32 v[26:27], v[26:27], v[194:195]
	v_add_f64_e32 v[198:199], v[196:197], v[198:199]
	ds_load_b128 v[194:197], v2 offset:1696
	v_fmac_f64_e32 v[200:201], v[188:189], v[154:155]
	v_fma_f64 v[186:187], v[186:187], v[154:155], -v[156:157]
	scratch_load_b128 v[154:157], off, off offset:848
	v_fmac_f64_e32 v[204:205], v[6:7], v[158:159]
	v_add_f64_e32 v[26:27], v[26:27], v[202:203]
	v_add_f64_e32 v[188:189], v[198:199], v[206:207]
	v_fma_f64 v[202:203], v[4:5], v[158:159], -v[160:161]
	ds_load_b128 v[4:7], v2 offset:1712
	s_wait_loadcnt_dscnt 0xa01
	v_mul_f64_e32 v[198:199], v[194:195], v[164:165]
	v_mul_f64_e32 v[164:165], v[196:197], v[164:165]
	scratch_load_b128 v[158:161], off, off offset:864
	s_wait_loadcnt_dscnt 0xa00
	v_mul_f64_e32 v[206:207], v[4:5], v[168:169]
	v_mul_f64_e32 v[168:169], v[6:7], v[168:169]
	v_add_f64_e32 v[26:27], v[26:27], v[186:187]
	v_add_f64_e32 v[200:201], v[188:189], v[200:201]
	ds_load_b128 v[186:189], v2 offset:1728
	v_fmac_f64_e32 v[198:199], v[196:197], v[162:163]
	v_fma_f64 v[194:195], v[194:195], v[162:163], -v[164:165]
	scratch_load_b128 v[162:165], off, off offset:880
	v_fmac_f64_e32 v[206:207], v[6:7], v[166:167]
	v_add_f64_e32 v[26:27], v[26:27], v[202:203]
	v_add_f64_e32 v[196:197], v[200:201], v[204:205]
	v_fma_f64 v[202:203], v[4:5], v[166:167], -v[168:169]
	ds_load_b128 v[4:7], v2 offset:1744
	s_wait_loadcnt_dscnt 0xa01
	v_mul_f64_e32 v[200:201], v[186:187], v[172:173]
	v_mul_f64_e32 v[172:173], v[188:189], v[172:173]
	scratch_load_b128 v[166:169], off, off offset:896
	s_wait_loadcnt_dscnt 0xa00
	v_mul_f64_e32 v[204:205], v[4:5], v[180:181]
	v_mul_f64_e32 v[180:181], v[6:7], v[180:181]
	v_add_f64_e32 v[26:27], v[26:27], v[194:195]
	v_add_f64_e32 v[198:199], v[196:197], v[198:199]
	ds_load_b128 v[194:197], v2 offset:1760
	v_fmac_f64_e32 v[200:201], v[188:189], v[170:171]
	v_fma_f64 v[186:187], v[186:187], v[170:171], -v[172:173]
	scratch_load_b128 v[170:173], off, off offset:912
	v_fmac_f64_e32 v[204:205], v[6:7], v[178:179]
	v_add_f64_e32 v[26:27], v[26:27], v[202:203]
	v_add_f64_e32 v[188:189], v[198:199], v[206:207]
	v_fma_f64 v[202:203], v[4:5], v[178:179], -v[180:181]
	ds_load_b128 v[4:7], v2 offset:1776
	s_wait_loadcnt_dscnt 0xa01
	v_mul_f64_e32 v[198:199], v[194:195], v[192:193]
	v_mul_f64_e32 v[192:193], v[196:197], v[192:193]
	scratch_load_b128 v[178:181], off, off offset:928
	s_wait_loadcnt_dscnt 0xa00
	v_mul_f64_e32 v[206:207], v[4:5], v[176:177]
	v_mul_f64_e32 v[176:177], v[6:7], v[176:177]
	v_add_f64_e32 v[26:27], v[26:27], v[186:187]
	v_add_f64_e32 v[200:201], v[188:189], v[200:201]
	ds_load_b128 v[186:189], v2 offset:1792
	v_fmac_f64_e32 v[198:199], v[196:197], v[190:191]
	v_fma_f64 v[194:195], v[194:195], v[190:191], -v[192:193]
	scratch_load_b128 v[190:193], off, off offset:944
	v_fmac_f64_e32 v[206:207], v[6:7], v[174:175]
	v_add_f64_e32 v[26:27], v[26:27], v[202:203]
	v_add_f64_e32 v[196:197], v[200:201], v[204:205]
	v_fma_f64 v[202:203], v[4:5], v[174:175], -v[176:177]
	ds_load_b128 v[4:7], v2 offset:1808
	s_wait_loadcnt_dscnt 0xa01
	v_mul_f64_e32 v[200:201], v[186:187], v[10:11]
	v_mul_f64_e32 v[10:11], v[188:189], v[10:11]
	scratch_load_b128 v[174:177], off, off offset:960
	s_wait_loadcnt_dscnt 0xa00
	v_mul_f64_e32 v[204:205], v[4:5], v[14:15]
	v_mul_f64_e32 v[14:15], v[6:7], v[14:15]
	v_add_f64_e32 v[26:27], v[26:27], v[194:195]
	v_add_f64_e32 v[198:199], v[196:197], v[198:199]
	ds_load_b128 v[194:197], v2 offset:1824
	v_fmac_f64_e32 v[200:201], v[188:189], v[8:9]
	v_fma_f64 v[186:187], v[186:187], v[8:9], -v[10:11]
	scratch_load_b128 v[8:11], off, off offset:976
	v_fmac_f64_e32 v[204:205], v[6:7], v[12:13]
	v_add_f64_e32 v[26:27], v[26:27], v[202:203]
	v_add_f64_e32 v[188:189], v[198:199], v[206:207]
	v_fma_f64 v[202:203], v[4:5], v[12:13], -v[14:15]
	ds_load_b128 v[4:7], v2 offset:1840
	s_wait_loadcnt_dscnt 0xa01
	v_mul_f64_e32 v[198:199], v[194:195], v[18:19]
	v_mul_f64_e32 v[18:19], v[196:197], v[18:19]
	scratch_load_b128 v[12:15], off, off offset:992
	s_wait_loadcnt_dscnt 0xa00
	v_mul_f64_e32 v[206:207], v[4:5], v[24:25]
	v_mul_f64_e32 v[24:25], v[6:7], v[24:25]
	v_add_f64_e32 v[26:27], v[26:27], v[186:187]
	v_add_f64_e32 v[200:201], v[188:189], v[200:201]
	ds_load_b128 v[186:189], v2 offset:1856
	v_fmac_f64_e32 v[198:199], v[196:197], v[16:17]
	v_fma_f64 v[16:17], v[194:195], v[16:17], -v[18:19]
	s_wait_loadcnt_dscnt 0x900
	v_mul_f64_e32 v[194:195], v[186:187], v[156:157]
	v_mul_f64_e32 v[156:157], v[188:189], v[156:157]
	v_fmac_f64_e32 v[206:207], v[6:7], v[22:23]
	v_fma_f64 v[22:23], v[4:5], v[22:23], -v[24:25]
	v_add_f64_e32 v[18:19], v[26:27], v[202:203]
	v_add_f64_e32 v[26:27], v[200:201], v[204:205]
	v_fmac_f64_e32 v[194:195], v[188:189], v[154:155]
	v_fma_f64 v[154:155], v[186:187], v[154:155], -v[156:157]
	s_delay_alu instid0(VALU_DEP_4) | instskip(NEXT) | instid1(VALU_DEP_4)
	v_add_f64_e32 v[24:25], v[18:19], v[16:17]
	v_add_f64_e32 v[26:27], v[26:27], v[198:199]
	ds_load_b128 v[4:7], v2 offset:1872
	ds_load_b128 v[16:19], v2 offset:1888
	s_wait_loadcnt_dscnt 0x801
	v_mul_f64_e32 v[196:197], v[4:5], v[160:161]
	v_mul_f64_e32 v[160:161], v[6:7], v[160:161]
	s_wait_loadcnt_dscnt 0x700
	v_mul_f64_e32 v[156:157], v[18:19], v[164:165]
	v_add_f64_e32 v[22:23], v[24:25], v[22:23]
	v_add_f64_e32 v[24:25], v[26:27], v[206:207]
	v_mul_f64_e32 v[26:27], v[16:17], v[164:165]
	v_fmac_f64_e32 v[196:197], v[6:7], v[158:159]
	v_fma_f64 v[158:159], v[4:5], v[158:159], -v[160:161]
	v_fma_f64 v[16:17], v[16:17], v[162:163], -v[156:157]
	v_add_f64_e32 v[154:155], v[22:23], v[154:155]
	v_add_f64_e32 v[160:161], v[24:25], v[194:195]
	ds_load_b128 v[4:7], v2 offset:1904
	ds_load_b128 v[22:25], v2 offset:1920
	v_fmac_f64_e32 v[26:27], v[18:19], v[162:163]
	s_wait_loadcnt_dscnt 0x601
	v_mul_f64_e32 v[164:165], v[4:5], v[168:169]
	v_mul_f64_e32 v[168:169], v[6:7], v[168:169]
	s_wait_loadcnt_dscnt 0x500
	v_mul_f64_e32 v[156:157], v[22:23], v[172:173]
	v_add_f64_e32 v[18:19], v[154:155], v[158:159]
	v_add_f64_e32 v[154:155], v[160:161], v[196:197]
	v_mul_f64_e32 v[158:159], v[24:25], v[172:173]
	v_fmac_f64_e32 v[164:165], v[6:7], v[166:167]
	v_fma_f64 v[160:161], v[4:5], v[166:167], -v[168:169]
	v_fmac_f64_e32 v[156:157], v[24:25], v[170:171]
	v_add_f64_e32 v[162:163], v[18:19], v[16:17]
	v_add_f64_e32 v[26:27], v[154:155], v[26:27]
	ds_load_b128 v[4:7], v2 offset:1936
	ds_load_b128 v[16:19], v2 offset:1952
	v_fma_f64 v[22:23], v[22:23], v[170:171], -v[158:159]
	s_wait_loadcnt_dscnt 0x401
	v_mul_f64_e32 v[154:155], v[4:5], v[180:181]
	v_mul_f64_e32 v[166:167], v[6:7], v[180:181]
	s_wait_loadcnt_dscnt 0x300
	v_mul_f64_e32 v[158:159], v[16:17], v[192:193]
	v_add_f64_e32 v[24:25], v[162:163], v[160:161]
	v_add_f64_e32 v[26:27], v[26:27], v[164:165]
	v_mul_f64_e32 v[160:161], v[18:19], v[192:193]
	v_fmac_f64_e32 v[154:155], v[6:7], v[178:179]
	v_fma_f64 v[162:163], v[4:5], v[178:179], -v[166:167]
	v_fmac_f64_e32 v[158:159], v[18:19], v[190:191]
	v_add_f64_e32 v[164:165], v[24:25], v[22:23]
	v_add_f64_e32 v[26:27], v[26:27], v[156:157]
	ds_load_b128 v[4:7], v2 offset:1968
	ds_load_b128 v[22:25], v2 offset:1984
	v_fma_f64 v[16:17], v[16:17], v[190:191], -v[160:161]
	s_wait_loadcnt_dscnt 0x201
	v_mul_f64_e32 v[156:157], v[4:5], v[176:177]
	v_mul_f64_e32 v[166:167], v[6:7], v[176:177]
	v_add_f64_e32 v[18:19], v[164:165], v[162:163]
	v_add_f64_e32 v[26:27], v[26:27], v[154:155]
	s_wait_loadcnt_dscnt 0x100
	v_mul_f64_e32 v[154:155], v[22:23], v[10:11]
	v_mul_f64_e32 v[10:11], v[24:25], v[10:11]
	v_fmac_f64_e32 v[156:157], v[6:7], v[174:175]
	v_fma_f64 v[160:161], v[4:5], v[174:175], -v[166:167]
	ds_load_b128 v[4:7], v2 offset:2000
	v_add_f64_e32 v[16:17], v[18:19], v[16:17]
	v_add_f64_e32 v[18:19], v[26:27], v[158:159]
	v_fmac_f64_e32 v[154:155], v[24:25], v[8:9]
	v_fma_f64 v[8:9], v[22:23], v[8:9], -v[10:11]
	s_wait_loadcnt_dscnt 0x0
	v_mul_f64_e32 v[26:27], v[4:5], v[14:15]
	v_mul_f64_e32 v[14:15], v[6:7], v[14:15]
	v_add_f64_e32 v[10:11], v[16:17], v[160:161]
	v_add_f64_e32 v[16:17], v[18:19], v[156:157]
	s_delay_alu instid0(VALU_DEP_4) | instskip(NEXT) | instid1(VALU_DEP_4)
	v_fmac_f64_e32 v[26:27], v[6:7], v[12:13]
	v_fma_f64 v[4:5], v[4:5], v[12:13], -v[14:15]
	s_delay_alu instid0(VALU_DEP_4) | instskip(NEXT) | instid1(VALU_DEP_4)
	v_add_f64_e32 v[6:7], v[10:11], v[8:9]
	v_add_f64_e32 v[8:9], v[16:17], v[154:155]
	s_delay_alu instid0(VALU_DEP_2) | instskip(NEXT) | instid1(VALU_DEP_2)
	v_add_f64_e32 v[4:5], v[6:7], v[4:5]
	v_add_f64_e32 v[6:7], v[8:9], v[26:27]
	s_delay_alu instid0(VALU_DEP_2) | instskip(NEXT) | instid1(VALU_DEP_2)
	v_add_f64_e64 v[4:5], v[182:183], -v[4:5]
	v_add_f64_e64 v[6:7], v[184:185], -v[6:7]
	scratch_store_b128 off, v[4:7], off offset:176
	s_wait_xcnt 0x0
	v_cmpx_lt_u32_e32 10, v1
	s_cbranch_execz .LBB62_383
; %bb.382:
	scratch_load_b128 v[6:9], off, s71
	v_dual_mov_b32 v3, v2 :: v_dual_mov_b32 v4, v2
	v_mov_b32_e32 v5, v2
	scratch_store_b128 off, v[2:5], off offset:160
	s_wait_loadcnt 0x0
	ds_store_b128 v20, v[6:9]
.LBB62_383:
	s_wait_xcnt 0x0
	s_or_b32 exec_lo, exec_lo, s2
	s_wait_storecnt_dscnt 0x0
	s_barrier_signal -1
	s_barrier_wait -1
	s_clause 0x9
	scratch_load_b128 v[4:7], off, off offset:176
	scratch_load_b128 v[8:11], off, off offset:192
	;; [unrolled: 1-line block ×10, first 2 shown]
	ds_load_b128 v[174:177], v2 offset:1184
	ds_load_b128 v[182:185], v2 offset:1200
	s_clause 0x2
	scratch_load_b128 v[178:181], off, off offset:336
	scratch_load_b128 v[186:189], off, off offset:160
	;; [unrolled: 1-line block ×3, first 2 shown]
	s_mov_b32 s2, exec_lo
	s_wait_loadcnt_dscnt 0xc01
	v_mul_f64_e32 v[26:27], v[176:177], v[6:7]
	v_mul_f64_e32 v[198:199], v[174:175], v[6:7]
	s_wait_loadcnt_dscnt 0xb00
	v_mul_f64_e32 v[200:201], v[182:183], v[10:11]
	v_mul_f64_e32 v[10:11], v[184:185], v[10:11]
	s_delay_alu instid0(VALU_DEP_4) | instskip(NEXT) | instid1(VALU_DEP_4)
	v_fma_f64 v[26:27], v[174:175], v[4:5], -v[26:27]
	v_fmac_f64_e32 v[198:199], v[176:177], v[4:5]
	ds_load_b128 v[4:7], v2 offset:1216
	ds_load_b128 v[174:177], v2 offset:1232
	scratch_load_b128 v[194:197], off, off offset:368
	v_fmac_f64_e32 v[200:201], v[184:185], v[8:9]
	v_fma_f64 v[182:183], v[182:183], v[8:9], -v[10:11]
	scratch_load_b128 v[8:11], off, off offset:384
	s_wait_loadcnt_dscnt 0xc01
	v_mul_f64_e32 v[202:203], v[4:5], v[14:15]
	v_mul_f64_e32 v[14:15], v[6:7], v[14:15]
	v_add_f64_e32 v[26:27], 0, v[26:27]
	v_add_f64_e32 v[184:185], 0, v[198:199]
	s_wait_loadcnt_dscnt 0xb00
	v_mul_f64_e32 v[198:199], v[174:175], v[18:19]
	v_mul_f64_e32 v[18:19], v[176:177], v[18:19]
	v_fmac_f64_e32 v[202:203], v[6:7], v[12:13]
	v_fma_f64 v[204:205], v[4:5], v[12:13], -v[14:15]
	ds_load_b128 v[4:7], v2 offset:1248
	ds_load_b128 v[12:15], v2 offset:1264
	v_add_f64_e32 v[26:27], v[26:27], v[182:183]
	v_add_f64_e32 v[200:201], v[184:185], v[200:201]
	scratch_load_b128 v[182:185], off, off offset:400
	v_fmac_f64_e32 v[198:199], v[176:177], v[16:17]
	v_fma_f64 v[174:175], v[174:175], v[16:17], -v[18:19]
	scratch_load_b128 v[16:19], off, off offset:416
	s_wait_loadcnt_dscnt 0xc01
	v_mul_f64_e32 v[206:207], v[4:5], v[24:25]
	v_mul_f64_e32 v[24:25], v[6:7], v[24:25]
	v_add_f64_e32 v[26:27], v[26:27], v[204:205]
	v_add_f64_e32 v[176:177], v[200:201], v[202:203]
	s_wait_loadcnt_dscnt 0xb00
	v_mul_f64_e32 v[200:201], v[12:13], v[156:157]
	v_mul_f64_e32 v[156:157], v[14:15], v[156:157]
	v_fmac_f64_e32 v[206:207], v[6:7], v[22:23]
	v_fma_f64 v[202:203], v[4:5], v[22:23], -v[24:25]
	ds_load_b128 v[4:7], v2 offset:1280
	ds_load_b128 v[22:25], v2 offset:1296
	s_wait_loadcnt_dscnt 0xa01
	v_mul_f64_e32 v[204:205], v[4:5], v[160:161]
	v_add_f64_e32 v[26:27], v[26:27], v[174:175]
	v_add_f64_e32 v[198:199], v[176:177], v[198:199]
	scratch_load_b128 v[174:177], off, off offset:432
	v_mul_f64_e32 v[160:161], v[6:7], v[160:161]
	v_fmac_f64_e32 v[200:201], v[14:15], v[154:155]
	v_fma_f64 v[154:155], v[12:13], v[154:155], -v[156:157]
	scratch_load_b128 v[12:15], off, off offset:448
	v_fmac_f64_e32 v[204:205], v[6:7], v[158:159]
	v_add_f64_e32 v[26:27], v[26:27], v[202:203]
	v_add_f64_e32 v[156:157], v[198:199], v[206:207]
	s_wait_loadcnt_dscnt 0xb00
	v_mul_f64_e32 v[198:199], v[22:23], v[164:165]
	v_mul_f64_e32 v[164:165], v[24:25], v[164:165]
	v_fma_f64 v[202:203], v[4:5], v[158:159], -v[160:161]
	v_add_f64_e32 v[26:27], v[26:27], v[154:155]
	v_add_f64_e32 v[200:201], v[156:157], v[200:201]
	ds_load_b128 v[4:7], v2 offset:1312
	ds_load_b128 v[154:157], v2 offset:1328
	scratch_load_b128 v[158:161], off, off offset:464
	v_fmac_f64_e32 v[198:199], v[24:25], v[162:163]
	v_fma_f64 v[162:163], v[22:23], v[162:163], -v[164:165]
	scratch_load_b128 v[22:25], off, off offset:480
	s_wait_loadcnt_dscnt 0xc01
	v_mul_f64_e32 v[206:207], v[4:5], v[168:169]
	v_mul_f64_e32 v[168:169], v[6:7], v[168:169]
	v_add_f64_e32 v[26:27], v[26:27], v[202:203]
	v_add_f64_e32 v[164:165], v[200:201], v[204:205]
	s_wait_loadcnt_dscnt 0xb00
	v_mul_f64_e32 v[200:201], v[154:155], v[172:173]
	v_mul_f64_e32 v[172:173], v[156:157], v[172:173]
	v_fmac_f64_e32 v[206:207], v[6:7], v[166:167]
	v_fma_f64 v[202:203], v[4:5], v[166:167], -v[168:169]
	v_add_f64_e32 v[26:27], v[26:27], v[162:163]
	v_add_f64_e32 v[198:199], v[164:165], v[198:199]
	ds_load_b128 v[4:7], v2 offset:1344
	ds_load_b128 v[162:165], v2 offset:1360
	scratch_load_b128 v[166:169], off, off offset:496
	v_fmac_f64_e32 v[200:201], v[156:157], v[170:171]
	v_fma_f64 v[170:171], v[154:155], v[170:171], -v[172:173]
	scratch_load_b128 v[154:157], off, off offset:512
	s_wait_loadcnt_dscnt 0xc01
	v_mul_f64_e32 v[204:205], v[4:5], v[180:181]
	v_mul_f64_e32 v[180:181], v[6:7], v[180:181]
	v_add_f64_e32 v[26:27], v[26:27], v[202:203]
	v_add_f64_e32 v[172:173], v[198:199], v[206:207]
	s_wait_loadcnt_dscnt 0xa00
	v_mul_f64_e32 v[198:199], v[162:163], v[192:193]
	v_mul_f64_e32 v[192:193], v[164:165], v[192:193]
	v_fmac_f64_e32 v[204:205], v[6:7], v[178:179]
	;; [unrolled: 18-line block ×5, first 2 shown]
	v_fma_f64 v[202:203], v[4:5], v[174:175], -v[176:177]
	ds_load_b128 v[4:7], v2 offset:1472
	ds_load_b128 v[174:177], v2 offset:1488
	v_add_f64_e32 v[26:27], v[26:27], v[190:191]
	v_add_f64_e32 v[198:199], v[192:193], v[198:199]
	scratch_load_b128 v[190:193], off, off offset:624
	v_fmac_f64_e32 v[200:201], v[172:173], v[12:13]
	v_fma_f64 v[170:171], v[170:171], v[12:13], -v[14:15]
	scratch_load_b128 v[12:15], off, off offset:640
	s_wait_loadcnt_dscnt 0xb01
	v_mul_f64_e32 v[204:205], v[4:5], v[160:161]
	v_mul_f64_e32 v[160:161], v[6:7], v[160:161]
	v_add_f64_e32 v[26:27], v[26:27], v[202:203]
	v_add_f64_e32 v[172:173], v[198:199], v[206:207]
	s_wait_loadcnt_dscnt 0xa00
	v_mul_f64_e32 v[198:199], v[174:175], v[24:25]
	v_mul_f64_e32 v[202:203], v[176:177], v[24:25]
	v_fmac_f64_e32 v[204:205], v[6:7], v[158:159]
	v_fma_f64 v[206:207], v[4:5], v[158:159], -v[160:161]
	v_add_f64_e32 v[170:171], v[26:27], v[170:171]
	v_add_f64_e32 v[172:173], v[172:173], v[200:201]
	ds_load_b128 v[4:7], v2 offset:1504
	ds_load_b128 v[24:27], v2 offset:1520
	scratch_load_b128 v[158:161], off, off offset:656
	v_fmac_f64_e32 v[198:199], v[176:177], v[22:23]
	v_fma_f64 v[22:23], v[174:175], v[22:23], -v[202:203]
	s_wait_loadcnt_dscnt 0xa01
	v_mul_f64_e32 v[208:209], v[4:5], v[168:169]
	v_mul_f64_e32 v[200:201], v[6:7], v[168:169]
	s_wait_loadcnt_dscnt 0x900
	v_mul_f64_e32 v[176:177], v[24:25], v[156:157]
	v_mul_f64_e32 v[156:157], v[26:27], v[156:157]
	v_add_f64_e32 v[174:175], v[170:171], v[206:207]
	v_add_f64_e32 v[172:173], v[172:173], v[204:205]
	scratch_load_b128 v[168:171], off, off offset:672
	v_fmac_f64_e32 v[208:209], v[6:7], v[166:167]
	v_fma_f64 v[166:167], v[4:5], v[166:167], -v[200:201]
	v_fmac_f64_e32 v[176:177], v[26:27], v[154:155]
	v_fma_f64 v[26:27], v[24:25], v[154:155], -v[156:157]
	v_add_f64_e32 v[22:23], v[174:175], v[22:23]
	v_add_f64_e32 v[202:203], v[172:173], v[198:199]
	ds_load_b128 v[4:7], v2 offset:1536
	ds_load_b128 v[172:175], v2 offset:1552
	scratch_load_b128 v[198:201], off, off offset:688
	s_wait_loadcnt_dscnt 0xa01
	v_mul_f64_e32 v[204:205], v[4:5], v[180:181]
	v_mul_f64_e32 v[180:181], v[6:7], v[180:181]
	s_wait_loadcnt_dscnt 0x900
	v_mul_f64_e32 v[206:207], v[174:175], v[164:165]
	v_add_f64_e32 v[154:155], v[22:23], v[166:167]
	v_add_f64_e32 v[156:157], v[202:203], v[208:209]
	scratch_load_b128 v[22:25], off, off offset:704
	v_mul_f64_e32 v[202:203], v[172:173], v[164:165]
	v_fmac_f64_e32 v[204:205], v[6:7], v[178:179]
	v_fma_f64 v[178:179], v[4:5], v[178:179], -v[180:181]
	v_add_f64_e32 v[26:27], v[154:155], v[26:27]
	v_add_f64_e32 v[176:177], v[156:157], v[176:177]
	ds_load_b128 v[4:7], v2 offset:1568
	ds_load_b128 v[154:157], v2 offset:1584
	scratch_load_b128 v[164:167], off, off offset:720
	v_fmac_f64_e32 v[202:203], v[174:175], v[162:163]
	v_fma_f64 v[162:163], v[172:173], v[162:163], -v[206:207]
	scratch_load_b128 v[172:175], off, off offset:736
	s_wait_loadcnt_dscnt 0xb01
	v_mul_f64_e32 v[180:181], v[4:5], v[196:197]
	v_mul_f64_e32 v[196:197], v[6:7], v[196:197]
	v_add_f64_e32 v[26:27], v[26:27], v[178:179]
	v_add_f64_e32 v[176:177], v[176:177], v[204:205]
	s_wait_loadcnt_dscnt 0xa00
	v_mul_f64_e32 v[204:205], v[154:155], v[10:11]
	v_mul_f64_e32 v[10:11], v[156:157], v[10:11]
	v_fmac_f64_e32 v[180:181], v[6:7], v[194:195]
	v_fma_f64 v[206:207], v[4:5], v[194:195], -v[196:197]
	v_add_f64_e32 v[26:27], v[26:27], v[162:163]
	v_add_f64_e32 v[162:163], v[176:177], v[202:203]
	ds_load_b128 v[4:7], v2 offset:1600
	ds_load_b128 v[176:179], v2 offset:1616
	scratch_load_b128 v[194:197], off, off offset:752
	v_fmac_f64_e32 v[204:205], v[156:157], v[8:9]
	v_fma_f64 v[154:155], v[154:155], v[8:9], -v[10:11]
	scratch_load_b128 v[8:11], off, off offset:768
	s_wait_loadcnt_dscnt 0xb01
	v_mul_f64_e32 v[202:203], v[4:5], v[184:185]
	v_mul_f64_e32 v[184:185], v[6:7], v[184:185]
	v_add_f64_e32 v[26:27], v[26:27], v[206:207]
	v_add_f64_e32 v[156:157], v[162:163], v[180:181]
	s_wait_loadcnt_dscnt 0xa00
	v_mul_f64_e32 v[162:163], v[176:177], v[18:19]
	;; [unrolled: 18-line block ×5, first 2 shown]
	v_mul_f64_e32 v[202:203], v[156:157], v[24:25]
	v_fmac_f64_e32 v[206:207], v[6:7], v[198:199]
	v_fma_f64 v[198:199], v[4:5], v[198:199], -v[200:201]
	v_add_f64_e32 v[200:201], v[26:27], v[176:177]
	v_add_f64_e32 v[162:163], v[178:179], v[162:163]
	ds_load_b128 v[4:7], v2 offset:1728
	ds_load_b128 v[24:27], v2 offset:1744
	scratch_load_b128 v[176:179], off, off offset:880
	v_fmac_f64_e32 v[184:185], v[156:157], v[22:23]
	v_fma_f64 v[22:23], v[154:155], v[22:23], -v[202:203]
	scratch_load_b128 v[154:157], off, off offset:896
	s_wait_loadcnt_dscnt 0xb01
	v_mul_f64_e32 v[204:205], v[4:5], v[166:167]
	v_mul_f64_e32 v[166:167], v[6:7], v[166:167]
	s_wait_loadcnt_dscnt 0xa00
	v_mul_f64_e32 v[202:203], v[24:25], v[174:175]
	v_mul_f64_e32 v[174:175], v[26:27], v[174:175]
	v_add_f64_e32 v[198:199], v[200:201], v[198:199]
	v_add_f64_e32 v[162:163], v[162:163], v[206:207]
	v_fmac_f64_e32 v[204:205], v[6:7], v[164:165]
	v_fma_f64 v[166:167], v[4:5], v[164:165], -v[166:167]
	v_fmac_f64_e32 v[202:203], v[26:27], v[172:173]
	v_fma_f64 v[26:27], v[24:25], v[172:173], -v[174:175]
	v_add_f64_e32 v[22:23], v[198:199], v[22:23]
	v_add_f64_e32 v[184:185], v[162:163], v[184:185]
	ds_load_b128 v[4:7], v2 offset:1760
	ds_load_b128 v[162:165], v2 offset:1776
	scratch_load_b128 v[198:201], off, off offset:912
	s_wait_loadcnt_dscnt 0xa01
	v_mul_f64_e32 v[206:207], v[4:5], v[196:197]
	v_mul_f64_e32 v[196:197], v[6:7], v[196:197]
	v_add_f64_e32 v[166:167], v[22:23], v[166:167]
	v_add_f64_e32 v[172:173], v[184:185], v[204:205]
	scratch_load_b128 v[22:25], off, off offset:928
	s_wait_loadcnt_dscnt 0xa00
	v_mul_f64_e32 v[184:185], v[162:163], v[10:11]
	v_mul_f64_e32 v[10:11], v[164:165], v[10:11]
	v_fmac_f64_e32 v[206:207], v[6:7], v[194:195]
	v_fma_f64 v[204:205], v[4:5], v[194:195], -v[196:197]
	v_add_f64_e32 v[26:27], v[166:167], v[26:27]
	v_add_f64_e32 v[166:167], v[172:173], v[202:203]
	ds_load_b128 v[4:7], v2 offset:1792
	ds_load_b128 v[172:175], v2 offset:1808
	scratch_load_b128 v[194:197], off, off offset:944
	v_fmac_f64_e32 v[184:185], v[164:165], v[8:9]
	v_fma_f64 v[162:163], v[162:163], v[8:9], -v[10:11]
	scratch_load_b128 v[8:11], off, off offset:960
	s_wait_loadcnt_dscnt 0xb01
	v_mul_f64_e32 v[202:203], v[4:5], v[182:183]
	v_mul_f64_e32 v[182:183], v[6:7], v[182:183]
	v_add_f64_e32 v[26:27], v[26:27], v[204:205]
	v_add_f64_e32 v[164:165], v[166:167], v[206:207]
	s_wait_loadcnt_dscnt 0xa00
	v_mul_f64_e32 v[166:167], v[172:173], v[18:19]
	v_mul_f64_e32 v[18:19], v[174:175], v[18:19]
	v_fmac_f64_e32 v[202:203], v[6:7], v[180:181]
	v_fma_f64 v[204:205], v[4:5], v[180:181], -v[182:183]
	v_add_f64_e32 v[26:27], v[26:27], v[162:163]
	v_add_f64_e32 v[184:185], v[164:165], v[184:185]
	ds_load_b128 v[4:7], v2 offset:1824
	ds_load_b128 v[162:165], v2 offset:1840
	scratch_load_b128 v[180:183], off, off offset:976
	v_fmac_f64_e32 v[166:167], v[174:175], v[16:17]
	v_fma_f64 v[172:173], v[172:173], v[16:17], -v[18:19]
	scratch_load_b128 v[16:19], off, off offset:992
	s_wait_loadcnt_dscnt 0xb01
	v_mul_f64_e32 v[206:207], v[4:5], v[192:193]
	v_mul_f64_e32 v[192:193], v[6:7], v[192:193]
	v_add_f64_e32 v[26:27], v[26:27], v[204:205]
	v_add_f64_e32 v[174:175], v[184:185], v[202:203]
	s_wait_loadcnt_dscnt 0xa00
	v_mul_f64_e32 v[184:185], v[162:163], v[14:15]
	v_mul_f64_e32 v[14:15], v[164:165], v[14:15]
	v_fmac_f64_e32 v[206:207], v[6:7], v[190:191]
	v_fma_f64 v[190:191], v[4:5], v[190:191], -v[192:193]
	v_add_f64_e32 v[26:27], v[26:27], v[172:173]
	v_add_f64_e32 v[166:167], v[174:175], v[166:167]
	ds_load_b128 v[4:7], v2 offset:1856
	ds_load_b128 v[172:175], v2 offset:1872
	v_fmac_f64_e32 v[184:185], v[164:165], v[12:13]
	v_fma_f64 v[12:13], v[162:163], v[12:13], -v[14:15]
	s_wait_loadcnt_dscnt 0x901
	v_mul_f64_e32 v[192:193], v[4:5], v[160:161]
	v_mul_f64_e32 v[160:161], v[6:7], v[160:161]
	s_wait_loadcnt_dscnt 0x800
	v_mul_f64_e32 v[162:163], v[172:173], v[170:171]
	v_mul_f64_e32 v[164:165], v[174:175], v[170:171]
	v_add_f64_e32 v[14:15], v[26:27], v[190:191]
	v_add_f64_e32 v[26:27], v[166:167], v[206:207]
	v_fmac_f64_e32 v[192:193], v[6:7], v[158:159]
	v_fma_f64 v[158:159], v[4:5], v[158:159], -v[160:161]
	v_fmac_f64_e32 v[162:163], v[174:175], v[168:169]
	v_fma_f64 v[164:165], v[172:173], v[168:169], -v[164:165]
	v_add_f64_e32 v[160:161], v[14:15], v[12:13]
	v_add_f64_e32 v[26:27], v[26:27], v[184:185]
	ds_load_b128 v[4:7], v2 offset:1888
	ds_load_b128 v[12:15], v2 offset:1904
	s_wait_loadcnt_dscnt 0x701
	v_mul_f64_e32 v[166:167], v[4:5], v[178:179]
	v_mul_f64_e32 v[170:171], v[6:7], v[178:179]
	s_wait_loadcnt_dscnt 0x600
	v_mul_f64_e32 v[168:169], v[14:15], v[156:157]
	v_add_f64_e32 v[158:159], v[160:161], v[158:159]
	v_add_f64_e32 v[26:27], v[26:27], v[192:193]
	v_mul_f64_e32 v[160:161], v[12:13], v[156:157]
	v_fmac_f64_e32 v[166:167], v[6:7], v[176:177]
	v_fma_f64 v[170:171], v[4:5], v[176:177], -v[170:171]
	v_fma_f64 v[12:13], v[12:13], v[154:155], -v[168:169]
	v_add_f64_e32 v[164:165], v[158:159], v[164:165]
	v_add_f64_e32 v[26:27], v[26:27], v[162:163]
	ds_load_b128 v[4:7], v2 offset:1920
	ds_load_b128 v[156:159], v2 offset:1936
	v_fmac_f64_e32 v[160:161], v[14:15], v[154:155]
	s_wait_loadcnt_dscnt 0x501
	v_mul_f64_e32 v[162:163], v[4:5], v[200:201]
	v_mul_f64_e32 v[172:173], v[6:7], v[200:201]
	v_add_f64_e32 v[14:15], v[164:165], v[170:171]
	v_add_f64_e32 v[26:27], v[26:27], v[166:167]
	s_wait_loadcnt_dscnt 0x400
	v_mul_f64_e32 v[154:155], v[156:157], v[24:25]
	v_mul_f64_e32 v[24:25], v[158:159], v[24:25]
	v_fmac_f64_e32 v[162:163], v[6:7], v[198:199]
	v_fma_f64 v[164:165], v[4:5], v[198:199], -v[172:173]
	v_add_f64_e32 v[166:167], v[14:15], v[12:13]
	v_add_f64_e32 v[26:27], v[26:27], v[160:161]
	ds_load_b128 v[4:7], v2 offset:1952
	ds_load_b128 v[12:15], v2 offset:1968
	v_fmac_f64_e32 v[154:155], v[158:159], v[22:23]
	v_fma_f64 v[22:23], v[156:157], v[22:23], -v[24:25]
	s_wait_loadcnt_dscnt 0x301
	v_mul_f64_e32 v[160:161], v[4:5], v[196:197]
	v_mul_f64_e32 v[168:169], v[6:7], v[196:197]
	s_wait_loadcnt_dscnt 0x200
	v_mul_f64_e32 v[156:157], v[12:13], v[10:11]
	v_mul_f64_e32 v[10:11], v[14:15], v[10:11]
	v_add_f64_e32 v[24:25], v[166:167], v[164:165]
	v_add_f64_e32 v[26:27], v[26:27], v[162:163]
	v_fmac_f64_e32 v[160:161], v[6:7], v[194:195]
	v_fma_f64 v[158:159], v[4:5], v[194:195], -v[168:169]
	v_fmac_f64_e32 v[156:157], v[14:15], v[8:9]
	v_fma_f64 v[8:9], v[12:13], v[8:9], -v[10:11]
	v_add_f64_e32 v[162:163], v[24:25], v[22:23]
	v_add_f64_e32 v[26:27], v[26:27], v[154:155]
	ds_load_b128 v[4:7], v2 offset:1984
	ds_load_b128 v[22:25], v2 offset:2000
	s_wait_loadcnt_dscnt 0x101
	v_mul_f64_e32 v[2:3], v[4:5], v[182:183]
	v_mul_f64_e32 v[154:155], v[6:7], v[182:183]
	s_wait_loadcnt_dscnt 0x0
	v_mul_f64_e32 v[14:15], v[22:23], v[18:19]
	v_mul_f64_e32 v[18:19], v[24:25], v[18:19]
	v_add_f64_e32 v[10:11], v[162:163], v[158:159]
	v_add_f64_e32 v[12:13], v[26:27], v[160:161]
	v_fmac_f64_e32 v[2:3], v[6:7], v[180:181]
	v_fma_f64 v[4:5], v[4:5], v[180:181], -v[154:155]
	v_fmac_f64_e32 v[14:15], v[24:25], v[16:17]
	v_add_f64_e32 v[6:7], v[10:11], v[8:9]
	v_add_f64_e32 v[8:9], v[12:13], v[156:157]
	v_fma_f64 v[10:11], v[22:23], v[16:17], -v[18:19]
	s_delay_alu instid0(VALU_DEP_3) | instskip(NEXT) | instid1(VALU_DEP_3)
	v_add_f64_e32 v[4:5], v[6:7], v[4:5]
	v_add_f64_e32 v[2:3], v[8:9], v[2:3]
	s_delay_alu instid0(VALU_DEP_2) | instskip(NEXT) | instid1(VALU_DEP_2)
	v_add_f64_e32 v[4:5], v[4:5], v[10:11]
	v_add_f64_e32 v[6:7], v[2:3], v[14:15]
	s_delay_alu instid0(VALU_DEP_2) | instskip(NEXT) | instid1(VALU_DEP_2)
	v_add_f64_e64 v[2:3], v[186:187], -v[4:5]
	v_add_f64_e64 v[4:5], v[188:189], -v[6:7]
	scratch_store_b128 off, v[2:5], off offset:160
	s_wait_xcnt 0x0
	v_cmpx_lt_u32_e32 9, v1
	s_cbranch_execz .LBB62_385
; %bb.384:
	scratch_load_b128 v[2:5], off, s72
	v_mov_b32_e32 v6, 0
	s_delay_alu instid0(VALU_DEP_1)
	v_dual_mov_b32 v7, v6 :: v_dual_mov_b32 v8, v6
	v_mov_b32_e32 v9, v6
	scratch_store_b128 off, v[6:9], off offset:144
	s_wait_loadcnt 0x0
	ds_store_b128 v20, v[2:5]
.LBB62_385:
	s_wait_xcnt 0x0
	s_or_b32 exec_lo, exec_lo, s2
	s_wait_storecnt_dscnt 0x0
	s_barrier_signal -1
	s_barrier_wait -1
	s_clause 0x9
	scratch_load_b128 v[4:7], off, off offset:160
	scratch_load_b128 v[8:11], off, off offset:176
	;; [unrolled: 1-line block ×10, first 2 shown]
	v_mov_b32_e32 v2, 0
	s_mov_b32 s2, exec_lo
	ds_load_b128 v[174:177], v2 offset:1168
	s_clause 0x2
	scratch_load_b128 v[178:181], off, off offset:320
	scratch_load_b128 v[182:185], off, off offset:144
	;; [unrolled: 1-line block ×3, first 2 shown]
	s_wait_loadcnt_dscnt 0xc00
	v_mul_f64_e32 v[26:27], v[176:177], v[6:7]
	v_mul_f64_e32 v[198:199], v[174:175], v[6:7]
	ds_load_b128 v[186:189], v2 offset:1184
	ds_load_b128 v[194:197], v2 offset:1216
	v_fma_f64 v[26:27], v[174:175], v[4:5], -v[26:27]
	v_fmac_f64_e32 v[198:199], v[176:177], v[4:5]
	ds_load_b128 v[4:7], v2 offset:1200
	s_wait_loadcnt_dscnt 0xb02
	v_mul_f64_e32 v[200:201], v[186:187], v[10:11]
	v_mul_f64_e32 v[10:11], v[188:189], v[10:11]
	scratch_load_b128 v[174:177], off, off offset:352
	s_wait_loadcnt_dscnt 0xb00
	v_mul_f64_e32 v[202:203], v[4:5], v[14:15]
	v_mul_f64_e32 v[14:15], v[6:7], v[14:15]
	v_add_f64_e32 v[26:27], 0, v[26:27]
	v_fmac_f64_e32 v[200:201], v[188:189], v[8:9]
	v_fma_f64 v[186:187], v[186:187], v[8:9], -v[10:11]
	v_add_f64_e32 v[188:189], 0, v[198:199]
	scratch_load_b128 v[8:11], off, off offset:368
	v_fmac_f64_e32 v[202:203], v[6:7], v[12:13]
	v_fma_f64 v[204:205], v[4:5], v[12:13], -v[14:15]
	ds_load_b128 v[4:7], v2 offset:1232
	s_wait_loadcnt 0xb
	v_mul_f64_e32 v[198:199], v[194:195], v[18:19]
	v_mul_f64_e32 v[18:19], v[196:197], v[18:19]
	scratch_load_b128 v[12:15], off, off offset:384
	v_add_f64_e32 v[26:27], v[26:27], v[186:187]
	v_add_f64_e32 v[200:201], v[188:189], v[200:201]
	ds_load_b128 v[186:189], v2 offset:1248
	s_wait_loadcnt_dscnt 0xb01
	v_mul_f64_e32 v[206:207], v[4:5], v[24:25]
	v_mul_f64_e32 v[24:25], v[6:7], v[24:25]
	v_fmac_f64_e32 v[198:199], v[196:197], v[16:17]
	v_fma_f64 v[194:195], v[194:195], v[16:17], -v[18:19]
	scratch_load_b128 v[16:19], off, off offset:400
	v_add_f64_e32 v[26:27], v[26:27], v[204:205]
	v_add_f64_e32 v[196:197], v[200:201], v[202:203]
	v_fmac_f64_e32 v[206:207], v[6:7], v[22:23]
	v_fma_f64 v[202:203], v[4:5], v[22:23], -v[24:25]
	ds_load_b128 v[4:7], v2 offset:1264
	s_wait_loadcnt_dscnt 0xb01
	v_mul_f64_e32 v[200:201], v[186:187], v[156:157]
	v_mul_f64_e32 v[156:157], v[188:189], v[156:157]
	scratch_load_b128 v[22:25], off, off offset:416
	s_wait_loadcnt_dscnt 0xb00
	v_mul_f64_e32 v[204:205], v[4:5], v[160:161]
	v_mul_f64_e32 v[160:161], v[6:7], v[160:161]
	v_add_f64_e32 v[26:27], v[26:27], v[194:195]
	v_add_f64_e32 v[198:199], v[196:197], v[198:199]
	ds_load_b128 v[194:197], v2 offset:1280
	v_fmac_f64_e32 v[200:201], v[188:189], v[154:155]
	v_fma_f64 v[186:187], v[186:187], v[154:155], -v[156:157]
	scratch_load_b128 v[154:157], off, off offset:432
	v_fmac_f64_e32 v[204:205], v[6:7], v[158:159]
	v_add_f64_e32 v[26:27], v[26:27], v[202:203]
	v_add_f64_e32 v[188:189], v[198:199], v[206:207]
	v_fma_f64 v[202:203], v[4:5], v[158:159], -v[160:161]
	ds_load_b128 v[4:7], v2 offset:1296
	s_wait_loadcnt_dscnt 0xb01
	v_mul_f64_e32 v[198:199], v[194:195], v[164:165]
	v_mul_f64_e32 v[164:165], v[196:197], v[164:165]
	scratch_load_b128 v[158:161], off, off offset:448
	s_wait_loadcnt_dscnt 0xb00
	v_mul_f64_e32 v[206:207], v[4:5], v[168:169]
	v_mul_f64_e32 v[168:169], v[6:7], v[168:169]
	v_add_f64_e32 v[26:27], v[26:27], v[186:187]
	v_add_f64_e32 v[200:201], v[188:189], v[200:201]
	ds_load_b128 v[186:189], v2 offset:1312
	v_fmac_f64_e32 v[198:199], v[196:197], v[162:163]
	v_fma_f64 v[194:195], v[194:195], v[162:163], -v[164:165]
	scratch_load_b128 v[162:165], off, off offset:464
	v_fmac_f64_e32 v[206:207], v[6:7], v[166:167]
	v_add_f64_e32 v[26:27], v[26:27], v[202:203]
	v_add_f64_e32 v[196:197], v[200:201], v[204:205]
	v_fma_f64 v[202:203], v[4:5], v[166:167], -v[168:169]
	ds_load_b128 v[4:7], v2 offset:1328
	s_wait_loadcnt_dscnt 0xb01
	v_mul_f64_e32 v[200:201], v[186:187], v[172:173]
	v_mul_f64_e32 v[172:173], v[188:189], v[172:173]
	scratch_load_b128 v[166:169], off, off offset:480
	s_wait_loadcnt_dscnt 0xb00
	v_mul_f64_e32 v[204:205], v[4:5], v[180:181]
	v_mul_f64_e32 v[180:181], v[6:7], v[180:181]
	v_add_f64_e32 v[26:27], v[26:27], v[194:195]
	v_add_f64_e32 v[198:199], v[196:197], v[198:199]
	ds_load_b128 v[194:197], v2 offset:1344
	v_fmac_f64_e32 v[200:201], v[188:189], v[170:171]
	v_fma_f64 v[186:187], v[186:187], v[170:171], -v[172:173]
	scratch_load_b128 v[170:173], off, off offset:496
	v_fmac_f64_e32 v[204:205], v[6:7], v[178:179]
	v_add_f64_e32 v[26:27], v[26:27], v[202:203]
	v_add_f64_e32 v[188:189], v[198:199], v[206:207]
	v_fma_f64 v[202:203], v[4:5], v[178:179], -v[180:181]
	ds_load_b128 v[4:7], v2 offset:1360
	s_wait_loadcnt_dscnt 0xa01
	v_mul_f64_e32 v[198:199], v[194:195], v[192:193]
	v_mul_f64_e32 v[192:193], v[196:197], v[192:193]
	scratch_load_b128 v[178:181], off, off offset:512
	v_add_f64_e32 v[26:27], v[26:27], v[186:187]
	v_add_f64_e32 v[200:201], v[188:189], v[200:201]
	s_wait_loadcnt_dscnt 0xa00
	v_mul_f64_e32 v[206:207], v[4:5], v[176:177]
	v_mul_f64_e32 v[176:177], v[6:7], v[176:177]
	v_fmac_f64_e32 v[198:199], v[196:197], v[190:191]
	v_fma_f64 v[194:195], v[194:195], v[190:191], -v[192:193]
	ds_load_b128 v[186:189], v2 offset:1376
	scratch_load_b128 v[190:193], off, off offset:528
	v_add_f64_e32 v[26:27], v[26:27], v[202:203]
	v_add_f64_e32 v[196:197], v[200:201], v[204:205]
	v_fmac_f64_e32 v[206:207], v[6:7], v[174:175]
	v_fma_f64 v[202:203], v[4:5], v[174:175], -v[176:177]
	ds_load_b128 v[4:7], v2 offset:1392
	s_wait_loadcnt_dscnt 0xa01
	v_mul_f64_e32 v[200:201], v[186:187], v[10:11]
	v_mul_f64_e32 v[10:11], v[188:189], v[10:11]
	scratch_load_b128 v[174:177], off, off offset:544
	s_wait_loadcnt_dscnt 0xa00
	v_mul_f64_e32 v[204:205], v[4:5], v[14:15]
	v_mul_f64_e32 v[14:15], v[6:7], v[14:15]
	v_add_f64_e32 v[26:27], v[26:27], v[194:195]
	v_add_f64_e32 v[198:199], v[196:197], v[198:199]
	ds_load_b128 v[194:197], v2 offset:1408
	v_fmac_f64_e32 v[200:201], v[188:189], v[8:9]
	v_fma_f64 v[186:187], v[186:187], v[8:9], -v[10:11]
	scratch_load_b128 v[8:11], off, off offset:560
	v_fmac_f64_e32 v[204:205], v[6:7], v[12:13]
	v_add_f64_e32 v[26:27], v[26:27], v[202:203]
	v_add_f64_e32 v[188:189], v[198:199], v[206:207]
	v_fma_f64 v[202:203], v[4:5], v[12:13], -v[14:15]
	ds_load_b128 v[4:7], v2 offset:1424
	s_wait_loadcnt_dscnt 0xa01
	v_mul_f64_e32 v[198:199], v[194:195], v[18:19]
	v_mul_f64_e32 v[18:19], v[196:197], v[18:19]
	scratch_load_b128 v[12:15], off, off offset:576
	s_wait_loadcnt_dscnt 0xa00
	v_mul_f64_e32 v[206:207], v[4:5], v[24:25]
	v_mul_f64_e32 v[24:25], v[6:7], v[24:25]
	v_add_f64_e32 v[26:27], v[26:27], v[186:187]
	v_add_f64_e32 v[200:201], v[188:189], v[200:201]
	ds_load_b128 v[186:189], v2 offset:1440
	v_fmac_f64_e32 v[198:199], v[196:197], v[16:17]
	v_fma_f64 v[194:195], v[194:195], v[16:17], -v[18:19]
	scratch_load_b128 v[16:19], off, off offset:592
	v_fmac_f64_e32 v[206:207], v[6:7], v[22:23]
	v_add_f64_e32 v[26:27], v[26:27], v[202:203]
	v_add_f64_e32 v[196:197], v[200:201], v[204:205]
	;; [unrolled: 18-line block ×14, first 2 shown]
	v_fma_f64 v[202:203], v[4:5], v[22:23], -v[24:25]
	ds_load_b128 v[4:7], v2 offset:1840
	s_wait_loadcnt_dscnt 0xa01
	v_mul_f64_e32 v[200:201], v[186:187], v[156:157]
	v_mul_f64_e32 v[156:157], v[188:189], v[156:157]
	scratch_load_b128 v[22:25], off, off offset:992
	s_wait_loadcnt_dscnt 0xa00
	v_mul_f64_e32 v[204:205], v[4:5], v[160:161]
	v_mul_f64_e32 v[160:161], v[6:7], v[160:161]
	v_add_f64_e32 v[26:27], v[26:27], v[194:195]
	v_add_f64_e32 v[198:199], v[196:197], v[198:199]
	ds_load_b128 v[194:197], v2 offset:1856
	v_fmac_f64_e32 v[200:201], v[188:189], v[154:155]
	v_fma_f64 v[154:155], v[186:187], v[154:155], -v[156:157]
	s_wait_loadcnt_dscnt 0x900
	v_mul_f64_e32 v[186:187], v[194:195], v[164:165]
	v_mul_f64_e32 v[164:165], v[196:197], v[164:165]
	v_fmac_f64_e32 v[204:205], v[6:7], v[158:159]
	v_fma_f64 v[158:159], v[4:5], v[158:159], -v[160:161]
	v_add_f64_e32 v[26:27], v[26:27], v[202:203]
	v_add_f64_e32 v[156:157], v[198:199], v[206:207]
	v_fmac_f64_e32 v[186:187], v[196:197], v[162:163]
	v_fma_f64 v[162:163], v[194:195], v[162:163], -v[164:165]
	s_delay_alu instid0(VALU_DEP_4) | instskip(NEXT) | instid1(VALU_DEP_4)
	v_add_f64_e32 v[26:27], v[26:27], v[154:155]
	v_add_f64_e32 v[160:161], v[156:157], v[200:201]
	ds_load_b128 v[4:7], v2 offset:1872
	ds_load_b128 v[154:157], v2 offset:1888
	s_wait_loadcnt_dscnt 0x801
	v_mul_f64_e32 v[188:189], v[4:5], v[168:169]
	v_mul_f64_e32 v[168:169], v[6:7], v[168:169]
	s_wait_loadcnt_dscnt 0x700
	v_mul_f64_e32 v[164:165], v[154:155], v[172:173]
	v_mul_f64_e32 v[172:173], v[156:157], v[172:173]
	v_add_f64_e32 v[26:27], v[26:27], v[158:159]
	v_add_f64_e32 v[158:159], v[160:161], v[204:205]
	v_fmac_f64_e32 v[188:189], v[6:7], v[166:167]
	v_fma_f64 v[166:167], v[4:5], v[166:167], -v[168:169]
	v_fmac_f64_e32 v[164:165], v[156:157], v[170:171]
	v_fma_f64 v[154:155], v[154:155], v[170:171], -v[172:173]
	v_add_f64_e32 v[26:27], v[26:27], v[162:163]
	v_add_f64_e32 v[162:163], v[158:159], v[186:187]
	ds_load_b128 v[4:7], v2 offset:1904
	ds_load_b128 v[158:161], v2 offset:1920
	s_wait_loadcnt_dscnt 0x601
	v_mul_f64_e32 v[168:169], v[4:5], v[180:181]
	v_mul_f64_e32 v[180:181], v[6:7], v[180:181]
	v_add_f64_e32 v[26:27], v[26:27], v[166:167]
	v_add_f64_e32 v[156:157], v[162:163], v[188:189]
	s_wait_loadcnt_dscnt 0x500
	v_mul_f64_e32 v[162:163], v[158:159], v[192:193]
	v_mul_f64_e32 v[166:167], v[160:161], v[192:193]
	v_fmac_f64_e32 v[168:169], v[6:7], v[178:179]
	v_fma_f64 v[170:171], v[4:5], v[178:179], -v[180:181]
	v_add_f64_e32 v[26:27], v[26:27], v[154:155]
	v_add_f64_e32 v[164:165], v[156:157], v[164:165]
	ds_load_b128 v[4:7], v2 offset:1936
	ds_load_b128 v[154:157], v2 offset:1952
	v_fmac_f64_e32 v[162:163], v[160:161], v[190:191]
	v_fma_f64 v[158:159], v[158:159], v[190:191], -v[166:167]
	s_wait_loadcnt_dscnt 0x401
	v_mul_f64_e32 v[172:173], v[4:5], v[176:177]
	v_mul_f64_e32 v[176:177], v[6:7], v[176:177]
	v_add_f64_e32 v[26:27], v[26:27], v[170:171]
	v_add_f64_e32 v[160:161], v[164:165], v[168:169]
	s_wait_loadcnt_dscnt 0x300
	v_mul_f64_e32 v[164:165], v[154:155], v[10:11]
	v_mul_f64_e32 v[10:11], v[156:157], v[10:11]
	v_fmac_f64_e32 v[172:173], v[6:7], v[174:175]
	v_fma_f64 v[166:167], v[4:5], v[174:175], -v[176:177]
	v_add_f64_e32 v[26:27], v[26:27], v[158:159]
	v_add_f64_e32 v[162:163], v[160:161], v[162:163]
	ds_load_b128 v[4:7], v2 offset:1968
	ds_load_b128 v[158:161], v2 offset:1984
	v_fmac_f64_e32 v[164:165], v[156:157], v[8:9]
	v_fma_f64 v[8:9], v[154:155], v[8:9], -v[10:11]
	s_wait_loadcnt_dscnt 0x201
	v_mul_f64_e32 v[168:169], v[4:5], v[14:15]
	v_mul_f64_e32 v[14:15], v[6:7], v[14:15]
	s_wait_loadcnt_dscnt 0x100
	v_mul_f64_e32 v[154:155], v[158:159], v[18:19]
	v_mul_f64_e32 v[18:19], v[160:161], v[18:19]
	v_add_f64_e32 v[10:11], v[26:27], v[166:167]
	v_add_f64_e32 v[26:27], v[162:163], v[172:173]
	v_fmac_f64_e32 v[168:169], v[6:7], v[12:13]
	v_fma_f64 v[12:13], v[4:5], v[12:13], -v[14:15]
	ds_load_b128 v[4:7], v2 offset:2000
	v_fmac_f64_e32 v[154:155], v[160:161], v[16:17]
	v_fma_f64 v[16:17], v[158:159], v[16:17], -v[18:19]
	v_add_f64_e32 v[8:9], v[10:11], v[8:9]
	v_add_f64_e32 v[10:11], v[26:27], v[164:165]
	s_wait_loadcnt_dscnt 0x0
	v_mul_f64_e32 v[14:15], v[4:5], v[24:25]
	v_mul_f64_e32 v[24:25], v[6:7], v[24:25]
	s_delay_alu instid0(VALU_DEP_4) | instskip(NEXT) | instid1(VALU_DEP_4)
	v_add_f64_e32 v[8:9], v[8:9], v[12:13]
	v_add_f64_e32 v[10:11], v[10:11], v[168:169]
	s_delay_alu instid0(VALU_DEP_4) | instskip(NEXT) | instid1(VALU_DEP_4)
	v_fmac_f64_e32 v[14:15], v[6:7], v[22:23]
	v_fma_f64 v[4:5], v[4:5], v[22:23], -v[24:25]
	s_delay_alu instid0(VALU_DEP_4) | instskip(NEXT) | instid1(VALU_DEP_4)
	v_add_f64_e32 v[6:7], v[8:9], v[16:17]
	v_add_f64_e32 v[8:9], v[10:11], v[154:155]
	s_delay_alu instid0(VALU_DEP_2) | instskip(NEXT) | instid1(VALU_DEP_2)
	v_add_f64_e32 v[4:5], v[6:7], v[4:5]
	v_add_f64_e32 v[6:7], v[8:9], v[14:15]
	s_delay_alu instid0(VALU_DEP_2) | instskip(NEXT) | instid1(VALU_DEP_2)
	v_add_f64_e64 v[4:5], v[182:183], -v[4:5]
	v_add_f64_e64 v[6:7], v[184:185], -v[6:7]
	scratch_store_b128 off, v[4:7], off offset:144
	s_wait_xcnt 0x0
	v_cmpx_lt_u32_e32 8, v1
	s_cbranch_execz .LBB62_387
; %bb.386:
	scratch_load_b128 v[6:9], off, s73
	v_dual_mov_b32 v3, v2 :: v_dual_mov_b32 v4, v2
	v_mov_b32_e32 v5, v2
	scratch_store_b128 off, v[2:5], off offset:128
	s_wait_loadcnt 0x0
	ds_store_b128 v20, v[6:9]
.LBB62_387:
	s_wait_xcnt 0x0
	s_or_b32 exec_lo, exec_lo, s2
	s_wait_storecnt_dscnt 0x0
	s_barrier_signal -1
	s_barrier_wait -1
	s_clause 0x9
	scratch_load_b128 v[4:7], off, off offset:144
	scratch_load_b128 v[8:11], off, off offset:160
	;; [unrolled: 1-line block ×10, first 2 shown]
	ds_load_b128 v[174:177], v2 offset:1152
	ds_load_b128 v[182:185], v2 offset:1168
	s_clause 0x2
	scratch_load_b128 v[178:181], off, off offset:304
	scratch_load_b128 v[186:189], off, off offset:128
	;; [unrolled: 1-line block ×3, first 2 shown]
	s_mov_b32 s2, exec_lo
	s_wait_loadcnt_dscnt 0xc01
	v_mul_f64_e32 v[26:27], v[176:177], v[6:7]
	v_mul_f64_e32 v[198:199], v[174:175], v[6:7]
	s_wait_loadcnt_dscnt 0xb00
	v_mul_f64_e32 v[200:201], v[182:183], v[10:11]
	v_mul_f64_e32 v[10:11], v[184:185], v[10:11]
	s_delay_alu instid0(VALU_DEP_4) | instskip(NEXT) | instid1(VALU_DEP_4)
	v_fma_f64 v[26:27], v[174:175], v[4:5], -v[26:27]
	v_fmac_f64_e32 v[198:199], v[176:177], v[4:5]
	ds_load_b128 v[4:7], v2 offset:1184
	ds_load_b128 v[174:177], v2 offset:1200
	scratch_load_b128 v[194:197], off, off offset:336
	v_fmac_f64_e32 v[200:201], v[184:185], v[8:9]
	v_fma_f64 v[182:183], v[182:183], v[8:9], -v[10:11]
	scratch_load_b128 v[8:11], off, off offset:352
	s_wait_loadcnt_dscnt 0xc01
	v_mul_f64_e32 v[202:203], v[4:5], v[14:15]
	v_mul_f64_e32 v[14:15], v[6:7], v[14:15]
	v_add_f64_e32 v[26:27], 0, v[26:27]
	v_add_f64_e32 v[184:185], 0, v[198:199]
	s_wait_loadcnt_dscnt 0xb00
	v_mul_f64_e32 v[198:199], v[174:175], v[18:19]
	v_mul_f64_e32 v[18:19], v[176:177], v[18:19]
	v_fmac_f64_e32 v[202:203], v[6:7], v[12:13]
	v_fma_f64 v[204:205], v[4:5], v[12:13], -v[14:15]
	ds_load_b128 v[4:7], v2 offset:1216
	ds_load_b128 v[12:15], v2 offset:1232
	v_add_f64_e32 v[26:27], v[26:27], v[182:183]
	v_add_f64_e32 v[200:201], v[184:185], v[200:201]
	scratch_load_b128 v[182:185], off, off offset:368
	v_fmac_f64_e32 v[198:199], v[176:177], v[16:17]
	v_fma_f64 v[174:175], v[174:175], v[16:17], -v[18:19]
	scratch_load_b128 v[16:19], off, off offset:384
	s_wait_loadcnt_dscnt 0xc01
	v_mul_f64_e32 v[206:207], v[4:5], v[24:25]
	v_mul_f64_e32 v[24:25], v[6:7], v[24:25]
	v_add_f64_e32 v[26:27], v[26:27], v[204:205]
	v_add_f64_e32 v[176:177], v[200:201], v[202:203]
	s_wait_loadcnt_dscnt 0xb00
	v_mul_f64_e32 v[200:201], v[12:13], v[156:157]
	v_mul_f64_e32 v[156:157], v[14:15], v[156:157]
	v_fmac_f64_e32 v[206:207], v[6:7], v[22:23]
	v_fma_f64 v[202:203], v[4:5], v[22:23], -v[24:25]
	ds_load_b128 v[4:7], v2 offset:1248
	ds_load_b128 v[22:25], v2 offset:1264
	s_wait_loadcnt_dscnt 0xa01
	v_mul_f64_e32 v[204:205], v[4:5], v[160:161]
	v_add_f64_e32 v[26:27], v[26:27], v[174:175]
	v_add_f64_e32 v[198:199], v[176:177], v[198:199]
	scratch_load_b128 v[174:177], off, off offset:400
	v_mul_f64_e32 v[160:161], v[6:7], v[160:161]
	v_fmac_f64_e32 v[200:201], v[14:15], v[154:155]
	v_fma_f64 v[154:155], v[12:13], v[154:155], -v[156:157]
	scratch_load_b128 v[12:15], off, off offset:416
	v_fmac_f64_e32 v[204:205], v[6:7], v[158:159]
	v_add_f64_e32 v[26:27], v[26:27], v[202:203]
	v_add_f64_e32 v[156:157], v[198:199], v[206:207]
	s_wait_loadcnt_dscnt 0xb00
	v_mul_f64_e32 v[198:199], v[22:23], v[164:165]
	v_mul_f64_e32 v[164:165], v[24:25], v[164:165]
	v_fma_f64 v[202:203], v[4:5], v[158:159], -v[160:161]
	v_add_f64_e32 v[26:27], v[26:27], v[154:155]
	v_add_f64_e32 v[200:201], v[156:157], v[200:201]
	ds_load_b128 v[4:7], v2 offset:1280
	ds_load_b128 v[154:157], v2 offset:1296
	scratch_load_b128 v[158:161], off, off offset:432
	v_fmac_f64_e32 v[198:199], v[24:25], v[162:163]
	v_fma_f64 v[162:163], v[22:23], v[162:163], -v[164:165]
	scratch_load_b128 v[22:25], off, off offset:448
	s_wait_loadcnt_dscnt 0xc01
	v_mul_f64_e32 v[206:207], v[4:5], v[168:169]
	v_mul_f64_e32 v[168:169], v[6:7], v[168:169]
	v_add_f64_e32 v[26:27], v[26:27], v[202:203]
	v_add_f64_e32 v[164:165], v[200:201], v[204:205]
	s_wait_loadcnt_dscnt 0xb00
	v_mul_f64_e32 v[200:201], v[154:155], v[172:173]
	v_mul_f64_e32 v[172:173], v[156:157], v[172:173]
	v_fmac_f64_e32 v[206:207], v[6:7], v[166:167]
	v_fma_f64 v[202:203], v[4:5], v[166:167], -v[168:169]
	v_add_f64_e32 v[26:27], v[26:27], v[162:163]
	v_add_f64_e32 v[198:199], v[164:165], v[198:199]
	ds_load_b128 v[4:7], v2 offset:1312
	ds_load_b128 v[162:165], v2 offset:1328
	scratch_load_b128 v[166:169], off, off offset:464
	v_fmac_f64_e32 v[200:201], v[156:157], v[170:171]
	v_fma_f64 v[170:171], v[154:155], v[170:171], -v[172:173]
	scratch_load_b128 v[154:157], off, off offset:480
	s_wait_loadcnt_dscnt 0xc01
	v_mul_f64_e32 v[204:205], v[4:5], v[180:181]
	v_mul_f64_e32 v[180:181], v[6:7], v[180:181]
	v_add_f64_e32 v[26:27], v[26:27], v[202:203]
	v_add_f64_e32 v[172:173], v[198:199], v[206:207]
	s_wait_loadcnt_dscnt 0xa00
	v_mul_f64_e32 v[198:199], v[162:163], v[192:193]
	v_mul_f64_e32 v[192:193], v[164:165], v[192:193]
	v_fmac_f64_e32 v[204:205], v[6:7], v[178:179]
	;; [unrolled: 18-line block ×5, first 2 shown]
	v_fma_f64 v[202:203], v[4:5], v[174:175], -v[176:177]
	ds_load_b128 v[4:7], v2 offset:1440
	ds_load_b128 v[174:177], v2 offset:1456
	v_add_f64_e32 v[26:27], v[26:27], v[190:191]
	v_add_f64_e32 v[198:199], v[192:193], v[198:199]
	scratch_load_b128 v[190:193], off, off offset:592
	v_fmac_f64_e32 v[200:201], v[172:173], v[12:13]
	v_fma_f64 v[170:171], v[170:171], v[12:13], -v[14:15]
	scratch_load_b128 v[12:15], off, off offset:608
	s_wait_loadcnt_dscnt 0xb01
	v_mul_f64_e32 v[204:205], v[4:5], v[160:161]
	v_mul_f64_e32 v[160:161], v[6:7], v[160:161]
	v_add_f64_e32 v[26:27], v[26:27], v[202:203]
	v_add_f64_e32 v[172:173], v[198:199], v[206:207]
	s_wait_loadcnt_dscnt 0xa00
	v_mul_f64_e32 v[198:199], v[174:175], v[24:25]
	v_mul_f64_e32 v[202:203], v[176:177], v[24:25]
	v_fmac_f64_e32 v[204:205], v[6:7], v[158:159]
	v_fma_f64 v[206:207], v[4:5], v[158:159], -v[160:161]
	v_add_f64_e32 v[170:171], v[26:27], v[170:171]
	v_add_f64_e32 v[172:173], v[172:173], v[200:201]
	ds_load_b128 v[4:7], v2 offset:1472
	ds_load_b128 v[24:27], v2 offset:1488
	scratch_load_b128 v[158:161], off, off offset:624
	v_fmac_f64_e32 v[198:199], v[176:177], v[22:23]
	v_fma_f64 v[22:23], v[174:175], v[22:23], -v[202:203]
	s_wait_loadcnt_dscnt 0xa01
	v_mul_f64_e32 v[208:209], v[4:5], v[168:169]
	v_mul_f64_e32 v[200:201], v[6:7], v[168:169]
	s_wait_loadcnt_dscnt 0x900
	v_mul_f64_e32 v[176:177], v[24:25], v[156:157]
	v_mul_f64_e32 v[156:157], v[26:27], v[156:157]
	v_add_f64_e32 v[174:175], v[170:171], v[206:207]
	v_add_f64_e32 v[172:173], v[172:173], v[204:205]
	scratch_load_b128 v[168:171], off, off offset:640
	v_fmac_f64_e32 v[208:209], v[6:7], v[166:167]
	v_fma_f64 v[166:167], v[4:5], v[166:167], -v[200:201]
	v_fmac_f64_e32 v[176:177], v[26:27], v[154:155]
	v_fma_f64 v[26:27], v[24:25], v[154:155], -v[156:157]
	v_add_f64_e32 v[22:23], v[174:175], v[22:23]
	v_add_f64_e32 v[202:203], v[172:173], v[198:199]
	ds_load_b128 v[4:7], v2 offset:1504
	ds_load_b128 v[172:175], v2 offset:1520
	scratch_load_b128 v[198:201], off, off offset:656
	s_wait_loadcnt_dscnt 0xa01
	v_mul_f64_e32 v[204:205], v[4:5], v[180:181]
	v_mul_f64_e32 v[180:181], v[6:7], v[180:181]
	s_wait_loadcnt_dscnt 0x900
	v_mul_f64_e32 v[206:207], v[174:175], v[164:165]
	v_add_f64_e32 v[154:155], v[22:23], v[166:167]
	v_add_f64_e32 v[156:157], v[202:203], v[208:209]
	scratch_load_b128 v[22:25], off, off offset:672
	v_mul_f64_e32 v[202:203], v[172:173], v[164:165]
	v_fmac_f64_e32 v[204:205], v[6:7], v[178:179]
	v_fma_f64 v[178:179], v[4:5], v[178:179], -v[180:181]
	v_add_f64_e32 v[26:27], v[154:155], v[26:27]
	v_add_f64_e32 v[176:177], v[156:157], v[176:177]
	ds_load_b128 v[4:7], v2 offset:1536
	ds_load_b128 v[154:157], v2 offset:1552
	scratch_load_b128 v[164:167], off, off offset:688
	v_fmac_f64_e32 v[202:203], v[174:175], v[162:163]
	v_fma_f64 v[162:163], v[172:173], v[162:163], -v[206:207]
	scratch_load_b128 v[172:175], off, off offset:704
	s_wait_loadcnt_dscnt 0xb01
	v_mul_f64_e32 v[180:181], v[4:5], v[196:197]
	v_mul_f64_e32 v[196:197], v[6:7], v[196:197]
	v_add_f64_e32 v[26:27], v[26:27], v[178:179]
	v_add_f64_e32 v[176:177], v[176:177], v[204:205]
	s_wait_loadcnt_dscnt 0xa00
	v_mul_f64_e32 v[204:205], v[154:155], v[10:11]
	v_mul_f64_e32 v[10:11], v[156:157], v[10:11]
	v_fmac_f64_e32 v[180:181], v[6:7], v[194:195]
	v_fma_f64 v[206:207], v[4:5], v[194:195], -v[196:197]
	v_add_f64_e32 v[26:27], v[26:27], v[162:163]
	v_add_f64_e32 v[162:163], v[176:177], v[202:203]
	ds_load_b128 v[4:7], v2 offset:1568
	ds_load_b128 v[176:179], v2 offset:1584
	scratch_load_b128 v[194:197], off, off offset:720
	v_fmac_f64_e32 v[204:205], v[156:157], v[8:9]
	v_fma_f64 v[154:155], v[154:155], v[8:9], -v[10:11]
	scratch_load_b128 v[8:11], off, off offset:736
	s_wait_loadcnt_dscnt 0xb01
	v_mul_f64_e32 v[202:203], v[4:5], v[184:185]
	v_mul_f64_e32 v[184:185], v[6:7], v[184:185]
	v_add_f64_e32 v[26:27], v[26:27], v[206:207]
	v_add_f64_e32 v[156:157], v[162:163], v[180:181]
	s_wait_loadcnt_dscnt 0xa00
	v_mul_f64_e32 v[162:163], v[176:177], v[18:19]
	;; [unrolled: 18-line block ×5, first 2 shown]
	v_mul_f64_e32 v[202:203], v[156:157], v[24:25]
	v_fmac_f64_e32 v[206:207], v[6:7], v[198:199]
	v_fma_f64 v[198:199], v[4:5], v[198:199], -v[200:201]
	v_add_f64_e32 v[200:201], v[26:27], v[176:177]
	v_add_f64_e32 v[162:163], v[178:179], v[162:163]
	ds_load_b128 v[4:7], v2 offset:1696
	ds_load_b128 v[24:27], v2 offset:1712
	scratch_load_b128 v[176:179], off, off offset:848
	v_fmac_f64_e32 v[184:185], v[156:157], v[22:23]
	v_fma_f64 v[22:23], v[154:155], v[22:23], -v[202:203]
	scratch_load_b128 v[154:157], off, off offset:864
	s_wait_loadcnt_dscnt 0xb01
	v_mul_f64_e32 v[204:205], v[4:5], v[166:167]
	v_mul_f64_e32 v[166:167], v[6:7], v[166:167]
	s_wait_loadcnt_dscnt 0xa00
	v_mul_f64_e32 v[202:203], v[24:25], v[174:175]
	v_mul_f64_e32 v[174:175], v[26:27], v[174:175]
	v_add_f64_e32 v[198:199], v[200:201], v[198:199]
	v_add_f64_e32 v[162:163], v[162:163], v[206:207]
	v_fmac_f64_e32 v[204:205], v[6:7], v[164:165]
	v_fma_f64 v[166:167], v[4:5], v[164:165], -v[166:167]
	v_fmac_f64_e32 v[202:203], v[26:27], v[172:173]
	v_fma_f64 v[26:27], v[24:25], v[172:173], -v[174:175]
	v_add_f64_e32 v[22:23], v[198:199], v[22:23]
	v_add_f64_e32 v[184:185], v[162:163], v[184:185]
	ds_load_b128 v[4:7], v2 offset:1728
	ds_load_b128 v[162:165], v2 offset:1744
	scratch_load_b128 v[198:201], off, off offset:880
	s_wait_loadcnt_dscnt 0xa01
	v_mul_f64_e32 v[206:207], v[4:5], v[196:197]
	v_mul_f64_e32 v[196:197], v[6:7], v[196:197]
	v_add_f64_e32 v[166:167], v[22:23], v[166:167]
	v_add_f64_e32 v[172:173], v[184:185], v[204:205]
	scratch_load_b128 v[22:25], off, off offset:896
	s_wait_loadcnt_dscnt 0xa00
	v_mul_f64_e32 v[184:185], v[162:163], v[10:11]
	v_mul_f64_e32 v[10:11], v[164:165], v[10:11]
	v_fmac_f64_e32 v[206:207], v[6:7], v[194:195]
	v_fma_f64 v[204:205], v[4:5], v[194:195], -v[196:197]
	v_add_f64_e32 v[26:27], v[166:167], v[26:27]
	v_add_f64_e32 v[166:167], v[172:173], v[202:203]
	ds_load_b128 v[4:7], v2 offset:1760
	ds_load_b128 v[172:175], v2 offset:1776
	scratch_load_b128 v[194:197], off, off offset:912
	v_fmac_f64_e32 v[184:185], v[164:165], v[8:9]
	v_fma_f64 v[162:163], v[162:163], v[8:9], -v[10:11]
	scratch_load_b128 v[8:11], off, off offset:928
	s_wait_loadcnt_dscnt 0xb01
	v_mul_f64_e32 v[202:203], v[4:5], v[182:183]
	v_mul_f64_e32 v[182:183], v[6:7], v[182:183]
	v_add_f64_e32 v[26:27], v[26:27], v[204:205]
	v_add_f64_e32 v[164:165], v[166:167], v[206:207]
	s_wait_loadcnt_dscnt 0xa00
	v_mul_f64_e32 v[166:167], v[172:173], v[18:19]
	v_mul_f64_e32 v[18:19], v[174:175], v[18:19]
	v_fmac_f64_e32 v[202:203], v[6:7], v[180:181]
	v_fma_f64 v[204:205], v[4:5], v[180:181], -v[182:183]
	v_add_f64_e32 v[26:27], v[26:27], v[162:163]
	v_add_f64_e32 v[184:185], v[164:165], v[184:185]
	ds_load_b128 v[4:7], v2 offset:1792
	ds_load_b128 v[162:165], v2 offset:1808
	scratch_load_b128 v[180:183], off, off offset:944
	v_fmac_f64_e32 v[166:167], v[174:175], v[16:17]
	v_fma_f64 v[172:173], v[172:173], v[16:17], -v[18:19]
	scratch_load_b128 v[16:19], off, off offset:960
	s_wait_loadcnt_dscnt 0xb01
	v_mul_f64_e32 v[206:207], v[4:5], v[192:193]
	v_mul_f64_e32 v[192:193], v[6:7], v[192:193]
	v_add_f64_e32 v[26:27], v[26:27], v[204:205]
	v_add_f64_e32 v[174:175], v[184:185], v[202:203]
	;; [unrolled: 18-line block ×3, first 2 shown]
	s_wait_loadcnt_dscnt 0xa00
	v_mul_f64_e32 v[166:167], v[172:173], v[170:171]
	v_mul_f64_e32 v[170:171], v[174:175], v[170:171]
	v_fmac_f64_e32 v[204:205], v[6:7], v[158:159]
	v_fma_f64 v[202:203], v[4:5], v[158:159], -v[160:161]
	ds_load_b128 v[4:7], v2 offset:1856
	ds_load_b128 v[158:161], v2 offset:1872
	v_add_f64_e32 v[26:27], v[26:27], v[162:163]
	v_add_f64_e32 v[162:163], v[164:165], v[184:185]
	v_fmac_f64_e32 v[166:167], v[174:175], v[168:169]
	v_fma_f64 v[168:169], v[172:173], v[168:169], -v[170:171]
	s_wait_loadcnt_dscnt 0x901
	v_mul_f64_e32 v[184:185], v[4:5], v[178:179]
	v_mul_f64_e32 v[164:165], v[6:7], v[178:179]
	s_wait_loadcnt_dscnt 0x800
	v_mul_f64_e32 v[170:171], v[158:159], v[156:157]
	v_mul_f64_e32 v[156:157], v[160:161], v[156:157]
	v_add_f64_e32 v[26:27], v[26:27], v[202:203]
	v_add_f64_e32 v[162:163], v[162:163], v[204:205]
	v_fmac_f64_e32 v[184:185], v[6:7], v[176:177]
	v_fma_f64 v[172:173], v[4:5], v[176:177], -v[164:165]
	v_fmac_f64_e32 v[170:171], v[160:161], v[154:155]
	v_fma_f64 v[154:155], v[158:159], v[154:155], -v[156:157]
	v_add_f64_e32 v[26:27], v[26:27], v[168:169]
	v_add_f64_e32 v[166:167], v[162:163], v[166:167]
	ds_load_b128 v[4:7], v2 offset:1888
	ds_load_b128 v[162:165], v2 offset:1904
	s_wait_loadcnt_dscnt 0x701
	v_mul_f64_e32 v[168:169], v[4:5], v[200:201]
	v_mul_f64_e32 v[174:175], v[6:7], v[200:201]
	v_add_f64_e32 v[26:27], v[26:27], v[172:173]
	v_add_f64_e32 v[156:157], v[166:167], v[184:185]
	s_wait_loadcnt_dscnt 0x600
	v_mul_f64_e32 v[158:159], v[162:163], v[24:25]
	v_mul_f64_e32 v[160:161], v[164:165], v[24:25]
	v_fmac_f64_e32 v[168:169], v[6:7], v[198:199]
	v_fma_f64 v[166:167], v[4:5], v[198:199], -v[174:175]
	v_add_f64_e32 v[154:155], v[26:27], v[154:155]
	v_add_f64_e32 v[156:157], v[156:157], v[170:171]
	ds_load_b128 v[4:7], v2 offset:1920
	ds_load_b128 v[24:27], v2 offset:1936
	v_fmac_f64_e32 v[158:159], v[164:165], v[22:23]
	v_fma_f64 v[22:23], v[162:163], v[22:23], -v[160:161]
	s_wait_loadcnt_dscnt 0x501
	v_mul_f64_e32 v[170:171], v[4:5], v[196:197]
	v_mul_f64_e32 v[172:173], v[6:7], v[196:197]
	s_wait_loadcnt_dscnt 0x400
	v_mul_f64_e32 v[160:161], v[24:25], v[10:11]
	v_mul_f64_e32 v[10:11], v[26:27], v[10:11]
	v_add_f64_e32 v[154:155], v[154:155], v[166:167]
	v_add_f64_e32 v[156:157], v[156:157], v[168:169]
	v_fmac_f64_e32 v[170:171], v[6:7], v[194:195]
	v_fma_f64 v[162:163], v[4:5], v[194:195], -v[172:173]
	v_fmac_f64_e32 v[160:161], v[26:27], v[8:9]
	v_fma_f64 v[8:9], v[24:25], v[8:9], -v[10:11]
	v_add_f64_e32 v[22:23], v[154:155], v[22:23]
	v_add_f64_e32 v[158:159], v[156:157], v[158:159]
	ds_load_b128 v[4:7], v2 offset:1952
	ds_load_b128 v[154:157], v2 offset:1968
	s_wait_loadcnt_dscnt 0x301
	v_mul_f64_e32 v[164:165], v[4:5], v[182:183]
	v_mul_f64_e32 v[166:167], v[6:7], v[182:183]
	s_wait_loadcnt_dscnt 0x200
	v_mul_f64_e32 v[24:25], v[154:155], v[18:19]
	v_mul_f64_e32 v[18:19], v[156:157], v[18:19]
	v_add_f64_e32 v[10:11], v[22:23], v[162:163]
	v_add_f64_e32 v[22:23], v[158:159], v[170:171]
	v_fmac_f64_e32 v[164:165], v[6:7], v[180:181]
	v_fma_f64 v[26:27], v[4:5], v[180:181], -v[166:167]
	v_fmac_f64_e32 v[24:25], v[156:157], v[16:17]
	v_fma_f64 v[16:17], v[154:155], v[16:17], -v[18:19]
	v_add_f64_e32 v[158:159], v[10:11], v[8:9]
	v_add_f64_e32 v[22:23], v[22:23], v[160:161]
	ds_load_b128 v[4:7], v2 offset:1984
	ds_load_b128 v[8:11], v2 offset:2000
	s_wait_loadcnt_dscnt 0x101
	v_mul_f64_e32 v[2:3], v[4:5], v[192:193]
	v_mul_f64_e32 v[160:161], v[6:7], v[192:193]
	v_add_f64_e32 v[18:19], v[158:159], v[26:27]
	v_add_f64_e32 v[22:23], v[22:23], v[164:165]
	s_wait_loadcnt_dscnt 0x0
	v_mul_f64_e32 v[26:27], v[8:9], v[14:15]
	v_mul_f64_e32 v[14:15], v[10:11], v[14:15]
	v_fmac_f64_e32 v[2:3], v[6:7], v[190:191]
	v_fma_f64 v[4:5], v[4:5], v[190:191], -v[160:161]
	v_add_f64_e32 v[6:7], v[18:19], v[16:17]
	v_add_f64_e32 v[16:17], v[22:23], v[24:25]
	v_fmac_f64_e32 v[26:27], v[10:11], v[12:13]
	v_fma_f64 v[8:9], v[8:9], v[12:13], -v[14:15]
	s_delay_alu instid0(VALU_DEP_4) | instskip(NEXT) | instid1(VALU_DEP_4)
	v_add_f64_e32 v[4:5], v[6:7], v[4:5]
	v_add_f64_e32 v[2:3], v[16:17], v[2:3]
	s_delay_alu instid0(VALU_DEP_2) | instskip(NEXT) | instid1(VALU_DEP_2)
	v_add_f64_e32 v[4:5], v[4:5], v[8:9]
	v_add_f64_e32 v[6:7], v[2:3], v[26:27]
	s_delay_alu instid0(VALU_DEP_2) | instskip(NEXT) | instid1(VALU_DEP_2)
	v_add_f64_e64 v[2:3], v[186:187], -v[4:5]
	v_add_f64_e64 v[4:5], v[188:189], -v[6:7]
	scratch_store_b128 off, v[2:5], off offset:128
	s_wait_xcnt 0x0
	v_cmpx_lt_u32_e32 7, v1
	s_cbranch_execz .LBB62_389
; %bb.388:
	scratch_load_b128 v[2:5], off, s74
	v_mov_b32_e32 v6, 0
	s_delay_alu instid0(VALU_DEP_1)
	v_dual_mov_b32 v7, v6 :: v_dual_mov_b32 v8, v6
	v_mov_b32_e32 v9, v6
	scratch_store_b128 off, v[6:9], off offset:112
	s_wait_loadcnt 0x0
	ds_store_b128 v20, v[2:5]
.LBB62_389:
	s_wait_xcnt 0x0
	s_or_b32 exec_lo, exec_lo, s2
	s_wait_storecnt_dscnt 0x0
	s_barrier_signal -1
	s_barrier_wait -1
	s_clause 0x9
	scratch_load_b128 v[4:7], off, off offset:128
	scratch_load_b128 v[8:11], off, off offset:144
	;; [unrolled: 1-line block ×10, first 2 shown]
	v_mov_b32_e32 v2, 0
	s_mov_b32 s2, exec_lo
	ds_load_b128 v[174:177], v2 offset:1136
	s_clause 0x2
	scratch_load_b128 v[178:181], off, off offset:288
	scratch_load_b128 v[182:185], off, off offset:112
	scratch_load_b128 v[190:193], off, off offset:304
	s_wait_loadcnt_dscnt 0xc00
	v_mul_f64_e32 v[26:27], v[176:177], v[6:7]
	v_mul_f64_e32 v[198:199], v[174:175], v[6:7]
	ds_load_b128 v[186:189], v2 offset:1152
	ds_load_b128 v[194:197], v2 offset:1184
	v_fma_f64 v[26:27], v[174:175], v[4:5], -v[26:27]
	v_fmac_f64_e32 v[198:199], v[176:177], v[4:5]
	ds_load_b128 v[4:7], v2 offset:1168
	s_wait_loadcnt_dscnt 0xb02
	v_mul_f64_e32 v[200:201], v[186:187], v[10:11]
	v_mul_f64_e32 v[10:11], v[188:189], v[10:11]
	scratch_load_b128 v[174:177], off, off offset:320
	s_wait_loadcnt_dscnt 0xb00
	v_mul_f64_e32 v[202:203], v[4:5], v[14:15]
	v_mul_f64_e32 v[14:15], v[6:7], v[14:15]
	v_add_f64_e32 v[26:27], 0, v[26:27]
	v_fmac_f64_e32 v[200:201], v[188:189], v[8:9]
	v_fma_f64 v[186:187], v[186:187], v[8:9], -v[10:11]
	v_add_f64_e32 v[188:189], 0, v[198:199]
	scratch_load_b128 v[8:11], off, off offset:336
	v_fmac_f64_e32 v[202:203], v[6:7], v[12:13]
	v_fma_f64 v[204:205], v[4:5], v[12:13], -v[14:15]
	ds_load_b128 v[4:7], v2 offset:1200
	s_wait_loadcnt 0xb
	v_mul_f64_e32 v[198:199], v[194:195], v[18:19]
	v_mul_f64_e32 v[18:19], v[196:197], v[18:19]
	scratch_load_b128 v[12:15], off, off offset:352
	v_add_f64_e32 v[26:27], v[26:27], v[186:187]
	v_add_f64_e32 v[200:201], v[188:189], v[200:201]
	ds_load_b128 v[186:189], v2 offset:1216
	s_wait_loadcnt_dscnt 0xb01
	v_mul_f64_e32 v[206:207], v[4:5], v[24:25]
	v_mul_f64_e32 v[24:25], v[6:7], v[24:25]
	v_fmac_f64_e32 v[198:199], v[196:197], v[16:17]
	v_fma_f64 v[194:195], v[194:195], v[16:17], -v[18:19]
	scratch_load_b128 v[16:19], off, off offset:368
	v_add_f64_e32 v[26:27], v[26:27], v[204:205]
	v_add_f64_e32 v[196:197], v[200:201], v[202:203]
	v_fmac_f64_e32 v[206:207], v[6:7], v[22:23]
	v_fma_f64 v[202:203], v[4:5], v[22:23], -v[24:25]
	ds_load_b128 v[4:7], v2 offset:1232
	s_wait_loadcnt_dscnt 0xb01
	v_mul_f64_e32 v[200:201], v[186:187], v[156:157]
	v_mul_f64_e32 v[156:157], v[188:189], v[156:157]
	scratch_load_b128 v[22:25], off, off offset:384
	s_wait_loadcnt_dscnt 0xb00
	v_mul_f64_e32 v[204:205], v[4:5], v[160:161]
	v_mul_f64_e32 v[160:161], v[6:7], v[160:161]
	v_add_f64_e32 v[26:27], v[26:27], v[194:195]
	v_add_f64_e32 v[198:199], v[196:197], v[198:199]
	ds_load_b128 v[194:197], v2 offset:1248
	v_fmac_f64_e32 v[200:201], v[188:189], v[154:155]
	v_fma_f64 v[186:187], v[186:187], v[154:155], -v[156:157]
	scratch_load_b128 v[154:157], off, off offset:400
	v_fmac_f64_e32 v[204:205], v[6:7], v[158:159]
	v_add_f64_e32 v[26:27], v[26:27], v[202:203]
	v_add_f64_e32 v[188:189], v[198:199], v[206:207]
	v_fma_f64 v[202:203], v[4:5], v[158:159], -v[160:161]
	ds_load_b128 v[4:7], v2 offset:1264
	s_wait_loadcnt_dscnt 0xb01
	v_mul_f64_e32 v[198:199], v[194:195], v[164:165]
	v_mul_f64_e32 v[164:165], v[196:197], v[164:165]
	scratch_load_b128 v[158:161], off, off offset:416
	s_wait_loadcnt_dscnt 0xb00
	v_mul_f64_e32 v[206:207], v[4:5], v[168:169]
	v_mul_f64_e32 v[168:169], v[6:7], v[168:169]
	v_add_f64_e32 v[26:27], v[26:27], v[186:187]
	v_add_f64_e32 v[200:201], v[188:189], v[200:201]
	ds_load_b128 v[186:189], v2 offset:1280
	v_fmac_f64_e32 v[198:199], v[196:197], v[162:163]
	v_fma_f64 v[194:195], v[194:195], v[162:163], -v[164:165]
	scratch_load_b128 v[162:165], off, off offset:432
	v_fmac_f64_e32 v[206:207], v[6:7], v[166:167]
	v_add_f64_e32 v[26:27], v[26:27], v[202:203]
	v_add_f64_e32 v[196:197], v[200:201], v[204:205]
	;; [unrolled: 18-line block ×3, first 2 shown]
	v_fma_f64 v[202:203], v[4:5], v[178:179], -v[180:181]
	ds_load_b128 v[4:7], v2 offset:1328
	s_wait_loadcnt_dscnt 0xa01
	v_mul_f64_e32 v[198:199], v[194:195], v[192:193]
	v_mul_f64_e32 v[192:193], v[196:197], v[192:193]
	scratch_load_b128 v[178:181], off, off offset:480
	v_add_f64_e32 v[26:27], v[26:27], v[186:187]
	v_add_f64_e32 v[200:201], v[188:189], v[200:201]
	s_wait_loadcnt_dscnt 0xa00
	v_mul_f64_e32 v[206:207], v[4:5], v[176:177]
	v_mul_f64_e32 v[176:177], v[6:7], v[176:177]
	v_fmac_f64_e32 v[198:199], v[196:197], v[190:191]
	v_fma_f64 v[194:195], v[194:195], v[190:191], -v[192:193]
	ds_load_b128 v[186:189], v2 offset:1344
	scratch_load_b128 v[190:193], off, off offset:496
	v_add_f64_e32 v[26:27], v[26:27], v[202:203]
	v_add_f64_e32 v[196:197], v[200:201], v[204:205]
	v_fmac_f64_e32 v[206:207], v[6:7], v[174:175]
	v_fma_f64 v[202:203], v[4:5], v[174:175], -v[176:177]
	ds_load_b128 v[4:7], v2 offset:1360
	s_wait_loadcnt_dscnt 0xa01
	v_mul_f64_e32 v[200:201], v[186:187], v[10:11]
	v_mul_f64_e32 v[10:11], v[188:189], v[10:11]
	scratch_load_b128 v[174:177], off, off offset:512
	s_wait_loadcnt_dscnt 0xa00
	v_mul_f64_e32 v[204:205], v[4:5], v[14:15]
	v_mul_f64_e32 v[14:15], v[6:7], v[14:15]
	v_add_f64_e32 v[26:27], v[26:27], v[194:195]
	v_add_f64_e32 v[198:199], v[196:197], v[198:199]
	ds_load_b128 v[194:197], v2 offset:1376
	v_fmac_f64_e32 v[200:201], v[188:189], v[8:9]
	v_fma_f64 v[186:187], v[186:187], v[8:9], -v[10:11]
	scratch_load_b128 v[8:11], off, off offset:528
	v_fmac_f64_e32 v[204:205], v[6:7], v[12:13]
	v_add_f64_e32 v[26:27], v[26:27], v[202:203]
	v_add_f64_e32 v[188:189], v[198:199], v[206:207]
	v_fma_f64 v[202:203], v[4:5], v[12:13], -v[14:15]
	ds_load_b128 v[4:7], v2 offset:1392
	s_wait_loadcnt_dscnt 0xa01
	v_mul_f64_e32 v[198:199], v[194:195], v[18:19]
	v_mul_f64_e32 v[18:19], v[196:197], v[18:19]
	scratch_load_b128 v[12:15], off, off offset:544
	s_wait_loadcnt_dscnt 0xa00
	v_mul_f64_e32 v[206:207], v[4:5], v[24:25]
	v_mul_f64_e32 v[24:25], v[6:7], v[24:25]
	v_add_f64_e32 v[26:27], v[26:27], v[186:187]
	v_add_f64_e32 v[200:201], v[188:189], v[200:201]
	ds_load_b128 v[186:189], v2 offset:1408
	v_fmac_f64_e32 v[198:199], v[196:197], v[16:17]
	v_fma_f64 v[194:195], v[194:195], v[16:17], -v[18:19]
	scratch_load_b128 v[16:19], off, off offset:560
	v_fmac_f64_e32 v[206:207], v[6:7], v[22:23]
	v_add_f64_e32 v[26:27], v[26:27], v[202:203]
	v_add_f64_e32 v[196:197], v[200:201], v[204:205]
	;; [unrolled: 18-line block ×15, first 2 shown]
	v_fma_f64 v[202:203], v[4:5], v[158:159], -v[160:161]
	ds_load_b128 v[4:7], v2 offset:1840
	s_wait_loadcnt_dscnt 0xa01
	v_mul_f64_e32 v[198:199], v[194:195], v[164:165]
	v_mul_f64_e32 v[164:165], v[196:197], v[164:165]
	scratch_load_b128 v[158:161], off, off offset:992
	s_wait_loadcnt_dscnt 0xa00
	v_mul_f64_e32 v[206:207], v[4:5], v[168:169]
	v_mul_f64_e32 v[168:169], v[6:7], v[168:169]
	v_add_f64_e32 v[26:27], v[26:27], v[186:187]
	v_add_f64_e32 v[200:201], v[188:189], v[200:201]
	ds_load_b128 v[186:189], v2 offset:1856
	v_fmac_f64_e32 v[198:199], v[196:197], v[162:163]
	v_fma_f64 v[162:163], v[194:195], v[162:163], -v[164:165]
	s_wait_loadcnt_dscnt 0x900
	v_mul_f64_e32 v[194:195], v[186:187], v[172:173]
	v_mul_f64_e32 v[172:173], v[188:189], v[172:173]
	v_fmac_f64_e32 v[206:207], v[6:7], v[166:167]
	v_fma_f64 v[166:167], v[4:5], v[166:167], -v[168:169]
	v_add_f64_e32 v[26:27], v[26:27], v[202:203]
	v_add_f64_e32 v[164:165], v[200:201], v[204:205]
	v_fmac_f64_e32 v[194:195], v[188:189], v[170:171]
	v_fma_f64 v[170:171], v[186:187], v[170:171], -v[172:173]
	s_delay_alu instid0(VALU_DEP_4) | instskip(NEXT) | instid1(VALU_DEP_4)
	v_add_f64_e32 v[26:27], v[26:27], v[162:163]
	v_add_f64_e32 v[168:169], v[164:165], v[198:199]
	ds_load_b128 v[4:7], v2 offset:1872
	ds_load_b128 v[162:165], v2 offset:1888
	s_wait_loadcnt_dscnt 0x801
	v_mul_f64_e32 v[196:197], v[4:5], v[180:181]
	v_mul_f64_e32 v[180:181], v[6:7], v[180:181]
	s_wait_loadcnt_dscnt 0x700
	v_mul_f64_e32 v[172:173], v[162:163], v[192:193]
	v_mul_f64_e32 v[186:187], v[164:165], v[192:193]
	v_add_f64_e32 v[26:27], v[26:27], v[166:167]
	v_add_f64_e32 v[166:167], v[168:169], v[206:207]
	v_fmac_f64_e32 v[196:197], v[6:7], v[178:179]
	v_fma_f64 v[178:179], v[4:5], v[178:179], -v[180:181]
	v_fmac_f64_e32 v[172:173], v[164:165], v[190:191]
	v_fma_f64 v[162:163], v[162:163], v[190:191], -v[186:187]
	v_add_f64_e32 v[26:27], v[26:27], v[170:171]
	v_add_f64_e32 v[170:171], v[166:167], v[194:195]
	ds_load_b128 v[4:7], v2 offset:1904
	ds_load_b128 v[166:169], v2 offset:1920
	s_wait_loadcnt_dscnt 0x601
	v_mul_f64_e32 v[180:181], v[4:5], v[176:177]
	v_mul_f64_e32 v[176:177], v[6:7], v[176:177]
	v_add_f64_e32 v[26:27], v[26:27], v[178:179]
	v_add_f64_e32 v[164:165], v[170:171], v[196:197]
	s_wait_loadcnt_dscnt 0x500
	v_mul_f64_e32 v[170:171], v[166:167], v[10:11]
	v_mul_f64_e32 v[10:11], v[168:169], v[10:11]
	v_fmac_f64_e32 v[180:181], v[6:7], v[174:175]
	v_fma_f64 v[174:175], v[4:5], v[174:175], -v[176:177]
	v_add_f64_e32 v[26:27], v[26:27], v[162:163]
	v_add_f64_e32 v[172:173], v[164:165], v[172:173]
	ds_load_b128 v[4:7], v2 offset:1936
	ds_load_b128 v[162:165], v2 offset:1952
	v_fmac_f64_e32 v[170:171], v[168:169], v[8:9]
	v_fma_f64 v[8:9], v[166:167], v[8:9], -v[10:11]
	s_wait_loadcnt_dscnt 0x401
	v_mul_f64_e32 v[176:177], v[4:5], v[14:15]
	v_mul_f64_e32 v[14:15], v[6:7], v[14:15]
	s_wait_loadcnt_dscnt 0x300
	v_mul_f64_e32 v[166:167], v[162:163], v[18:19]
	v_mul_f64_e32 v[18:19], v[164:165], v[18:19]
	v_add_f64_e32 v[10:11], v[26:27], v[174:175]
	v_add_f64_e32 v[26:27], v[172:173], v[180:181]
	v_fmac_f64_e32 v[176:177], v[6:7], v[12:13]
	v_fma_f64 v[12:13], v[4:5], v[12:13], -v[14:15]
	v_fmac_f64_e32 v[166:167], v[164:165], v[16:17]
	v_fma_f64 v[16:17], v[162:163], v[16:17], -v[18:19]
	v_add_f64_e32 v[14:15], v[10:11], v[8:9]
	v_add_f64_e32 v[26:27], v[26:27], v[170:171]
	ds_load_b128 v[4:7], v2 offset:1968
	ds_load_b128 v[8:11], v2 offset:1984
	s_wait_loadcnt_dscnt 0x201
	v_mul_f64_e32 v[168:169], v[4:5], v[24:25]
	v_mul_f64_e32 v[24:25], v[6:7], v[24:25]
	s_wait_loadcnt_dscnt 0x100
	v_mul_f64_e32 v[18:19], v[8:9], v[156:157]
	v_add_f64_e32 v[12:13], v[14:15], v[12:13]
	v_add_f64_e32 v[14:15], v[26:27], v[176:177]
	v_mul_f64_e32 v[26:27], v[10:11], v[156:157]
	v_fmac_f64_e32 v[168:169], v[6:7], v[22:23]
	v_fma_f64 v[22:23], v[4:5], v[22:23], -v[24:25]
	ds_load_b128 v[4:7], v2 offset:2000
	v_fmac_f64_e32 v[18:19], v[10:11], v[154:155]
	v_add_f64_e32 v[12:13], v[12:13], v[16:17]
	v_add_f64_e32 v[14:15], v[14:15], v[166:167]
	v_fma_f64 v[8:9], v[8:9], v[154:155], -v[26:27]
	s_wait_loadcnt_dscnt 0x0
	v_mul_f64_e32 v[16:17], v[4:5], v[160:161]
	v_mul_f64_e32 v[24:25], v[6:7], v[160:161]
	v_add_f64_e32 v[10:11], v[12:13], v[22:23]
	v_add_f64_e32 v[12:13], v[14:15], v[168:169]
	s_delay_alu instid0(VALU_DEP_4) | instskip(NEXT) | instid1(VALU_DEP_4)
	v_fmac_f64_e32 v[16:17], v[6:7], v[158:159]
	v_fma_f64 v[4:5], v[4:5], v[158:159], -v[24:25]
	s_delay_alu instid0(VALU_DEP_4) | instskip(NEXT) | instid1(VALU_DEP_4)
	v_add_f64_e32 v[6:7], v[10:11], v[8:9]
	v_add_f64_e32 v[8:9], v[12:13], v[18:19]
	s_delay_alu instid0(VALU_DEP_2) | instskip(NEXT) | instid1(VALU_DEP_2)
	v_add_f64_e32 v[4:5], v[6:7], v[4:5]
	v_add_f64_e32 v[6:7], v[8:9], v[16:17]
	s_delay_alu instid0(VALU_DEP_2) | instskip(NEXT) | instid1(VALU_DEP_2)
	v_add_f64_e64 v[4:5], v[182:183], -v[4:5]
	v_add_f64_e64 v[6:7], v[184:185], -v[6:7]
	scratch_store_b128 off, v[4:7], off offset:112
	s_wait_xcnt 0x0
	v_cmpx_lt_u32_e32 6, v1
	s_cbranch_execz .LBB62_391
; %bb.390:
	scratch_load_b128 v[6:9], off, s75
	v_dual_mov_b32 v3, v2 :: v_dual_mov_b32 v4, v2
	v_mov_b32_e32 v5, v2
	scratch_store_b128 off, v[2:5], off offset:96
	s_wait_loadcnt 0x0
	ds_store_b128 v20, v[6:9]
.LBB62_391:
	s_wait_xcnt 0x0
	s_or_b32 exec_lo, exec_lo, s2
	s_wait_storecnt_dscnt 0x0
	s_barrier_signal -1
	s_barrier_wait -1
	s_clause 0x9
	scratch_load_b128 v[4:7], off, off offset:112
	scratch_load_b128 v[8:11], off, off offset:128
	;; [unrolled: 1-line block ×10, first 2 shown]
	ds_load_b128 v[174:177], v2 offset:1120
	ds_load_b128 v[182:185], v2 offset:1136
	s_clause 0x2
	scratch_load_b128 v[178:181], off, off offset:272
	scratch_load_b128 v[186:189], off, off offset:96
	;; [unrolled: 1-line block ×3, first 2 shown]
	s_mov_b32 s2, exec_lo
	s_wait_loadcnt_dscnt 0xc01
	v_mul_f64_e32 v[26:27], v[176:177], v[6:7]
	v_mul_f64_e32 v[198:199], v[174:175], v[6:7]
	s_wait_loadcnt_dscnt 0xb00
	v_mul_f64_e32 v[200:201], v[182:183], v[10:11]
	v_mul_f64_e32 v[10:11], v[184:185], v[10:11]
	s_delay_alu instid0(VALU_DEP_4) | instskip(NEXT) | instid1(VALU_DEP_4)
	v_fma_f64 v[26:27], v[174:175], v[4:5], -v[26:27]
	v_fmac_f64_e32 v[198:199], v[176:177], v[4:5]
	ds_load_b128 v[4:7], v2 offset:1152
	ds_load_b128 v[174:177], v2 offset:1168
	scratch_load_b128 v[194:197], off, off offset:304
	v_fmac_f64_e32 v[200:201], v[184:185], v[8:9]
	v_fma_f64 v[182:183], v[182:183], v[8:9], -v[10:11]
	scratch_load_b128 v[8:11], off, off offset:320
	s_wait_loadcnt_dscnt 0xc01
	v_mul_f64_e32 v[202:203], v[4:5], v[14:15]
	v_mul_f64_e32 v[14:15], v[6:7], v[14:15]
	v_add_f64_e32 v[26:27], 0, v[26:27]
	v_add_f64_e32 v[184:185], 0, v[198:199]
	s_wait_loadcnt_dscnt 0xb00
	v_mul_f64_e32 v[198:199], v[174:175], v[18:19]
	v_mul_f64_e32 v[18:19], v[176:177], v[18:19]
	v_fmac_f64_e32 v[202:203], v[6:7], v[12:13]
	v_fma_f64 v[204:205], v[4:5], v[12:13], -v[14:15]
	ds_load_b128 v[4:7], v2 offset:1184
	ds_load_b128 v[12:15], v2 offset:1200
	v_add_f64_e32 v[26:27], v[26:27], v[182:183]
	v_add_f64_e32 v[200:201], v[184:185], v[200:201]
	scratch_load_b128 v[182:185], off, off offset:336
	v_fmac_f64_e32 v[198:199], v[176:177], v[16:17]
	v_fma_f64 v[174:175], v[174:175], v[16:17], -v[18:19]
	scratch_load_b128 v[16:19], off, off offset:352
	s_wait_loadcnt_dscnt 0xc01
	v_mul_f64_e32 v[206:207], v[4:5], v[24:25]
	v_mul_f64_e32 v[24:25], v[6:7], v[24:25]
	v_add_f64_e32 v[26:27], v[26:27], v[204:205]
	v_add_f64_e32 v[176:177], v[200:201], v[202:203]
	s_wait_loadcnt_dscnt 0xb00
	v_mul_f64_e32 v[200:201], v[12:13], v[156:157]
	v_mul_f64_e32 v[156:157], v[14:15], v[156:157]
	v_fmac_f64_e32 v[206:207], v[6:7], v[22:23]
	v_fma_f64 v[202:203], v[4:5], v[22:23], -v[24:25]
	ds_load_b128 v[4:7], v2 offset:1216
	ds_load_b128 v[22:25], v2 offset:1232
	s_wait_loadcnt_dscnt 0xa01
	v_mul_f64_e32 v[204:205], v[4:5], v[160:161]
	v_add_f64_e32 v[26:27], v[26:27], v[174:175]
	v_add_f64_e32 v[198:199], v[176:177], v[198:199]
	scratch_load_b128 v[174:177], off, off offset:368
	v_mul_f64_e32 v[160:161], v[6:7], v[160:161]
	v_fmac_f64_e32 v[200:201], v[14:15], v[154:155]
	v_fma_f64 v[154:155], v[12:13], v[154:155], -v[156:157]
	scratch_load_b128 v[12:15], off, off offset:384
	v_fmac_f64_e32 v[204:205], v[6:7], v[158:159]
	v_add_f64_e32 v[26:27], v[26:27], v[202:203]
	v_add_f64_e32 v[156:157], v[198:199], v[206:207]
	s_wait_loadcnt_dscnt 0xb00
	v_mul_f64_e32 v[198:199], v[22:23], v[164:165]
	v_mul_f64_e32 v[164:165], v[24:25], v[164:165]
	v_fma_f64 v[202:203], v[4:5], v[158:159], -v[160:161]
	v_add_f64_e32 v[26:27], v[26:27], v[154:155]
	v_add_f64_e32 v[200:201], v[156:157], v[200:201]
	ds_load_b128 v[4:7], v2 offset:1248
	ds_load_b128 v[154:157], v2 offset:1264
	scratch_load_b128 v[158:161], off, off offset:400
	v_fmac_f64_e32 v[198:199], v[24:25], v[162:163]
	v_fma_f64 v[162:163], v[22:23], v[162:163], -v[164:165]
	scratch_load_b128 v[22:25], off, off offset:416
	s_wait_loadcnt_dscnt 0xc01
	v_mul_f64_e32 v[206:207], v[4:5], v[168:169]
	v_mul_f64_e32 v[168:169], v[6:7], v[168:169]
	v_add_f64_e32 v[26:27], v[26:27], v[202:203]
	v_add_f64_e32 v[164:165], v[200:201], v[204:205]
	s_wait_loadcnt_dscnt 0xb00
	v_mul_f64_e32 v[200:201], v[154:155], v[172:173]
	v_mul_f64_e32 v[172:173], v[156:157], v[172:173]
	v_fmac_f64_e32 v[206:207], v[6:7], v[166:167]
	v_fma_f64 v[202:203], v[4:5], v[166:167], -v[168:169]
	v_add_f64_e32 v[26:27], v[26:27], v[162:163]
	v_add_f64_e32 v[198:199], v[164:165], v[198:199]
	ds_load_b128 v[4:7], v2 offset:1280
	ds_load_b128 v[162:165], v2 offset:1296
	scratch_load_b128 v[166:169], off, off offset:432
	v_fmac_f64_e32 v[200:201], v[156:157], v[170:171]
	v_fma_f64 v[170:171], v[154:155], v[170:171], -v[172:173]
	scratch_load_b128 v[154:157], off, off offset:448
	s_wait_loadcnt_dscnt 0xc01
	v_mul_f64_e32 v[204:205], v[4:5], v[180:181]
	v_mul_f64_e32 v[180:181], v[6:7], v[180:181]
	v_add_f64_e32 v[26:27], v[26:27], v[202:203]
	v_add_f64_e32 v[172:173], v[198:199], v[206:207]
	s_wait_loadcnt_dscnt 0xa00
	v_mul_f64_e32 v[198:199], v[162:163], v[192:193]
	v_mul_f64_e32 v[192:193], v[164:165], v[192:193]
	v_fmac_f64_e32 v[204:205], v[6:7], v[178:179]
	;; [unrolled: 18-line block ×5, first 2 shown]
	v_fma_f64 v[202:203], v[4:5], v[174:175], -v[176:177]
	ds_load_b128 v[4:7], v2 offset:1408
	ds_load_b128 v[174:177], v2 offset:1424
	v_add_f64_e32 v[26:27], v[26:27], v[190:191]
	v_add_f64_e32 v[198:199], v[192:193], v[198:199]
	scratch_load_b128 v[190:193], off, off offset:560
	v_fmac_f64_e32 v[200:201], v[172:173], v[12:13]
	v_fma_f64 v[170:171], v[170:171], v[12:13], -v[14:15]
	scratch_load_b128 v[12:15], off, off offset:576
	s_wait_loadcnt_dscnt 0xb01
	v_mul_f64_e32 v[204:205], v[4:5], v[160:161]
	v_mul_f64_e32 v[160:161], v[6:7], v[160:161]
	v_add_f64_e32 v[26:27], v[26:27], v[202:203]
	v_add_f64_e32 v[172:173], v[198:199], v[206:207]
	s_wait_loadcnt_dscnt 0xa00
	v_mul_f64_e32 v[198:199], v[174:175], v[24:25]
	v_mul_f64_e32 v[202:203], v[176:177], v[24:25]
	v_fmac_f64_e32 v[204:205], v[6:7], v[158:159]
	v_fma_f64 v[206:207], v[4:5], v[158:159], -v[160:161]
	v_add_f64_e32 v[170:171], v[26:27], v[170:171]
	v_add_f64_e32 v[172:173], v[172:173], v[200:201]
	ds_load_b128 v[4:7], v2 offset:1440
	ds_load_b128 v[24:27], v2 offset:1456
	scratch_load_b128 v[158:161], off, off offset:592
	v_fmac_f64_e32 v[198:199], v[176:177], v[22:23]
	v_fma_f64 v[22:23], v[174:175], v[22:23], -v[202:203]
	s_wait_loadcnt_dscnt 0xa01
	v_mul_f64_e32 v[208:209], v[4:5], v[168:169]
	v_mul_f64_e32 v[200:201], v[6:7], v[168:169]
	s_wait_loadcnt_dscnt 0x900
	v_mul_f64_e32 v[176:177], v[24:25], v[156:157]
	v_mul_f64_e32 v[156:157], v[26:27], v[156:157]
	v_add_f64_e32 v[174:175], v[170:171], v[206:207]
	v_add_f64_e32 v[172:173], v[172:173], v[204:205]
	scratch_load_b128 v[168:171], off, off offset:608
	v_fmac_f64_e32 v[208:209], v[6:7], v[166:167]
	v_fma_f64 v[166:167], v[4:5], v[166:167], -v[200:201]
	v_fmac_f64_e32 v[176:177], v[26:27], v[154:155]
	v_fma_f64 v[26:27], v[24:25], v[154:155], -v[156:157]
	v_add_f64_e32 v[22:23], v[174:175], v[22:23]
	v_add_f64_e32 v[202:203], v[172:173], v[198:199]
	ds_load_b128 v[4:7], v2 offset:1472
	ds_load_b128 v[172:175], v2 offset:1488
	scratch_load_b128 v[198:201], off, off offset:624
	s_wait_loadcnt_dscnt 0xa01
	v_mul_f64_e32 v[204:205], v[4:5], v[180:181]
	v_mul_f64_e32 v[180:181], v[6:7], v[180:181]
	s_wait_loadcnt_dscnt 0x900
	v_mul_f64_e32 v[206:207], v[174:175], v[164:165]
	v_add_f64_e32 v[154:155], v[22:23], v[166:167]
	v_add_f64_e32 v[156:157], v[202:203], v[208:209]
	scratch_load_b128 v[22:25], off, off offset:640
	v_mul_f64_e32 v[202:203], v[172:173], v[164:165]
	v_fmac_f64_e32 v[204:205], v[6:7], v[178:179]
	v_fma_f64 v[178:179], v[4:5], v[178:179], -v[180:181]
	v_add_f64_e32 v[26:27], v[154:155], v[26:27]
	v_add_f64_e32 v[176:177], v[156:157], v[176:177]
	ds_load_b128 v[4:7], v2 offset:1504
	ds_load_b128 v[154:157], v2 offset:1520
	scratch_load_b128 v[164:167], off, off offset:656
	v_fmac_f64_e32 v[202:203], v[174:175], v[162:163]
	v_fma_f64 v[162:163], v[172:173], v[162:163], -v[206:207]
	scratch_load_b128 v[172:175], off, off offset:672
	s_wait_loadcnt_dscnt 0xb01
	v_mul_f64_e32 v[180:181], v[4:5], v[196:197]
	v_mul_f64_e32 v[196:197], v[6:7], v[196:197]
	v_add_f64_e32 v[26:27], v[26:27], v[178:179]
	v_add_f64_e32 v[176:177], v[176:177], v[204:205]
	s_wait_loadcnt_dscnt 0xa00
	v_mul_f64_e32 v[204:205], v[154:155], v[10:11]
	v_mul_f64_e32 v[10:11], v[156:157], v[10:11]
	v_fmac_f64_e32 v[180:181], v[6:7], v[194:195]
	v_fma_f64 v[206:207], v[4:5], v[194:195], -v[196:197]
	v_add_f64_e32 v[26:27], v[26:27], v[162:163]
	v_add_f64_e32 v[162:163], v[176:177], v[202:203]
	ds_load_b128 v[4:7], v2 offset:1536
	ds_load_b128 v[176:179], v2 offset:1552
	scratch_load_b128 v[194:197], off, off offset:688
	v_fmac_f64_e32 v[204:205], v[156:157], v[8:9]
	v_fma_f64 v[154:155], v[154:155], v[8:9], -v[10:11]
	scratch_load_b128 v[8:11], off, off offset:704
	s_wait_loadcnt_dscnt 0xb01
	v_mul_f64_e32 v[202:203], v[4:5], v[184:185]
	v_mul_f64_e32 v[184:185], v[6:7], v[184:185]
	v_add_f64_e32 v[26:27], v[26:27], v[206:207]
	v_add_f64_e32 v[156:157], v[162:163], v[180:181]
	s_wait_loadcnt_dscnt 0xa00
	v_mul_f64_e32 v[162:163], v[176:177], v[18:19]
	;; [unrolled: 18-line block ×5, first 2 shown]
	v_mul_f64_e32 v[202:203], v[156:157], v[24:25]
	v_fmac_f64_e32 v[206:207], v[6:7], v[198:199]
	v_fma_f64 v[198:199], v[4:5], v[198:199], -v[200:201]
	v_add_f64_e32 v[200:201], v[26:27], v[176:177]
	v_add_f64_e32 v[162:163], v[178:179], v[162:163]
	ds_load_b128 v[4:7], v2 offset:1664
	ds_load_b128 v[24:27], v2 offset:1680
	scratch_load_b128 v[176:179], off, off offset:816
	v_fmac_f64_e32 v[184:185], v[156:157], v[22:23]
	v_fma_f64 v[22:23], v[154:155], v[22:23], -v[202:203]
	scratch_load_b128 v[154:157], off, off offset:832
	s_wait_loadcnt_dscnt 0xb01
	v_mul_f64_e32 v[204:205], v[4:5], v[166:167]
	v_mul_f64_e32 v[166:167], v[6:7], v[166:167]
	s_wait_loadcnt_dscnt 0xa00
	v_mul_f64_e32 v[202:203], v[24:25], v[174:175]
	v_mul_f64_e32 v[174:175], v[26:27], v[174:175]
	v_add_f64_e32 v[198:199], v[200:201], v[198:199]
	v_add_f64_e32 v[162:163], v[162:163], v[206:207]
	v_fmac_f64_e32 v[204:205], v[6:7], v[164:165]
	v_fma_f64 v[166:167], v[4:5], v[164:165], -v[166:167]
	v_fmac_f64_e32 v[202:203], v[26:27], v[172:173]
	v_fma_f64 v[26:27], v[24:25], v[172:173], -v[174:175]
	v_add_f64_e32 v[22:23], v[198:199], v[22:23]
	v_add_f64_e32 v[184:185], v[162:163], v[184:185]
	ds_load_b128 v[4:7], v2 offset:1696
	ds_load_b128 v[162:165], v2 offset:1712
	scratch_load_b128 v[198:201], off, off offset:848
	s_wait_loadcnt_dscnt 0xa01
	v_mul_f64_e32 v[206:207], v[4:5], v[196:197]
	v_mul_f64_e32 v[196:197], v[6:7], v[196:197]
	v_add_f64_e32 v[166:167], v[22:23], v[166:167]
	v_add_f64_e32 v[172:173], v[184:185], v[204:205]
	scratch_load_b128 v[22:25], off, off offset:864
	s_wait_loadcnt_dscnt 0xa00
	v_mul_f64_e32 v[184:185], v[162:163], v[10:11]
	v_mul_f64_e32 v[10:11], v[164:165], v[10:11]
	v_fmac_f64_e32 v[206:207], v[6:7], v[194:195]
	v_fma_f64 v[204:205], v[4:5], v[194:195], -v[196:197]
	v_add_f64_e32 v[26:27], v[166:167], v[26:27]
	v_add_f64_e32 v[166:167], v[172:173], v[202:203]
	ds_load_b128 v[4:7], v2 offset:1728
	ds_load_b128 v[172:175], v2 offset:1744
	scratch_load_b128 v[194:197], off, off offset:880
	v_fmac_f64_e32 v[184:185], v[164:165], v[8:9]
	v_fma_f64 v[162:163], v[162:163], v[8:9], -v[10:11]
	scratch_load_b128 v[8:11], off, off offset:896
	s_wait_loadcnt_dscnt 0xb01
	v_mul_f64_e32 v[202:203], v[4:5], v[182:183]
	v_mul_f64_e32 v[182:183], v[6:7], v[182:183]
	v_add_f64_e32 v[26:27], v[26:27], v[204:205]
	v_add_f64_e32 v[164:165], v[166:167], v[206:207]
	s_wait_loadcnt_dscnt 0xa00
	v_mul_f64_e32 v[166:167], v[172:173], v[18:19]
	v_mul_f64_e32 v[18:19], v[174:175], v[18:19]
	v_fmac_f64_e32 v[202:203], v[6:7], v[180:181]
	v_fma_f64 v[204:205], v[4:5], v[180:181], -v[182:183]
	v_add_f64_e32 v[26:27], v[26:27], v[162:163]
	v_add_f64_e32 v[184:185], v[164:165], v[184:185]
	ds_load_b128 v[4:7], v2 offset:1760
	ds_load_b128 v[162:165], v2 offset:1776
	scratch_load_b128 v[180:183], off, off offset:912
	v_fmac_f64_e32 v[166:167], v[174:175], v[16:17]
	v_fma_f64 v[172:173], v[172:173], v[16:17], -v[18:19]
	scratch_load_b128 v[16:19], off, off offset:928
	s_wait_loadcnt_dscnt 0xb01
	v_mul_f64_e32 v[206:207], v[4:5], v[192:193]
	v_mul_f64_e32 v[192:193], v[6:7], v[192:193]
	v_add_f64_e32 v[26:27], v[26:27], v[204:205]
	v_add_f64_e32 v[174:175], v[184:185], v[202:203]
	;; [unrolled: 18-line block ×3, first 2 shown]
	s_wait_loadcnt_dscnt 0xa00
	v_mul_f64_e32 v[202:203], v[172:173], v[170:171]
	v_mul_f64_e32 v[166:167], v[174:175], v[170:171]
	v_fmac_f64_e32 v[204:205], v[6:7], v[158:159]
	v_fma_f64 v[170:171], v[4:5], v[158:159], -v[160:161]
	ds_load_b128 v[4:7], v2 offset:1824
	ds_load_b128 v[158:161], v2 offset:1840
	v_add_f64_e32 v[26:27], v[26:27], v[162:163]
	v_add_f64_e32 v[184:185], v[164:165], v[184:185]
	scratch_load_b128 v[162:165], off, off offset:976
	v_fmac_f64_e32 v[202:203], v[174:175], v[168:169]
	v_fma_f64 v[172:173], v[172:173], v[168:169], -v[166:167]
	scratch_load_b128 v[166:169], off, off offset:992
	s_wait_loadcnt_dscnt 0xb01
	v_mul_f64_e32 v[206:207], v[4:5], v[178:179]
	v_mul_f64_e32 v[178:179], v[6:7], v[178:179]
	s_wait_loadcnt_dscnt 0xa00
	v_mul_f64_e32 v[174:175], v[158:159], v[156:157]
	v_mul_f64_e32 v[156:157], v[160:161], v[156:157]
	v_add_f64_e32 v[26:27], v[26:27], v[170:171]
	v_add_f64_e32 v[170:171], v[184:185], v[204:205]
	v_fmac_f64_e32 v[206:207], v[6:7], v[176:177]
	v_fma_f64 v[176:177], v[4:5], v[176:177], -v[178:179]
	v_fmac_f64_e32 v[174:175], v[160:161], v[154:155]
	v_fma_f64 v[154:155], v[158:159], v[154:155], -v[156:157]
	v_add_f64_e32 v[26:27], v[26:27], v[172:173]
	v_add_f64_e32 v[178:179], v[170:171], v[202:203]
	ds_load_b128 v[4:7], v2 offset:1856
	ds_load_b128 v[170:173], v2 offset:1872
	s_wait_loadcnt_dscnt 0x901
	v_mul_f64_e32 v[184:185], v[4:5], v[200:201]
	v_mul_f64_e32 v[200:201], v[6:7], v[200:201]
	v_add_f64_e32 v[26:27], v[26:27], v[176:177]
	v_add_f64_e32 v[156:157], v[178:179], v[206:207]
	s_wait_loadcnt_dscnt 0x800
	v_mul_f64_e32 v[158:159], v[170:171], v[24:25]
	v_mul_f64_e32 v[160:161], v[172:173], v[24:25]
	v_fmac_f64_e32 v[184:185], v[6:7], v[198:199]
	v_fma_f64 v[176:177], v[4:5], v[198:199], -v[200:201]
	v_add_f64_e32 v[154:155], v[26:27], v[154:155]
	v_add_f64_e32 v[156:157], v[156:157], v[174:175]
	ds_load_b128 v[4:7], v2 offset:1888
	ds_load_b128 v[24:27], v2 offset:1904
	v_fmac_f64_e32 v[158:159], v[172:173], v[22:23]
	v_fma_f64 v[22:23], v[170:171], v[22:23], -v[160:161]
	s_wait_loadcnt_dscnt 0x701
	v_mul_f64_e32 v[174:175], v[4:5], v[196:197]
	v_mul_f64_e32 v[178:179], v[6:7], v[196:197]
	s_wait_loadcnt_dscnt 0x600
	v_mul_f64_e32 v[160:161], v[24:25], v[10:11]
	v_mul_f64_e32 v[10:11], v[26:27], v[10:11]
	v_add_f64_e32 v[154:155], v[154:155], v[176:177]
	v_add_f64_e32 v[156:157], v[156:157], v[184:185]
	v_fmac_f64_e32 v[174:175], v[6:7], v[194:195]
	v_fma_f64 v[170:171], v[4:5], v[194:195], -v[178:179]
	v_fmac_f64_e32 v[160:161], v[26:27], v[8:9]
	v_fma_f64 v[8:9], v[24:25], v[8:9], -v[10:11]
	v_add_f64_e32 v[22:23], v[154:155], v[22:23]
	v_add_f64_e32 v[158:159], v[156:157], v[158:159]
	ds_load_b128 v[4:7], v2 offset:1920
	ds_load_b128 v[154:157], v2 offset:1936
	s_wait_loadcnt_dscnt 0x501
	v_mul_f64_e32 v[172:173], v[4:5], v[182:183]
	v_mul_f64_e32 v[176:177], v[6:7], v[182:183]
	s_wait_loadcnt_dscnt 0x400
	v_mul_f64_e32 v[24:25], v[154:155], v[18:19]
	v_mul_f64_e32 v[18:19], v[156:157], v[18:19]
	v_add_f64_e32 v[10:11], v[22:23], v[170:171]
	v_add_f64_e32 v[22:23], v[158:159], v[174:175]
	v_fmac_f64_e32 v[172:173], v[6:7], v[180:181]
	v_fma_f64 v[26:27], v[4:5], v[180:181], -v[176:177]
	v_fmac_f64_e32 v[24:25], v[156:157], v[16:17]
	v_fma_f64 v[16:17], v[154:155], v[16:17], -v[18:19]
	v_add_f64_e32 v[158:159], v[10:11], v[8:9]
	v_add_f64_e32 v[22:23], v[22:23], v[160:161]
	ds_load_b128 v[4:7], v2 offset:1952
	ds_load_b128 v[8:11], v2 offset:1968
	s_wait_loadcnt_dscnt 0x301
	v_mul_f64_e32 v[160:161], v[4:5], v[192:193]
	v_mul_f64_e32 v[170:171], v[6:7], v[192:193]
	s_wait_loadcnt_dscnt 0x200
	v_mul_f64_e32 v[154:155], v[10:11], v[14:15]
	v_add_f64_e32 v[18:19], v[158:159], v[26:27]
	v_add_f64_e32 v[22:23], v[22:23], v[172:173]
	v_mul_f64_e32 v[26:27], v[8:9], v[14:15]
	v_fmac_f64_e32 v[160:161], v[6:7], v[190:191]
	v_fma_f64 v[156:157], v[4:5], v[190:191], -v[170:171]
	v_fma_f64 v[8:9], v[8:9], v[12:13], -v[154:155]
	v_add_f64_e32 v[18:19], v[18:19], v[16:17]
	v_add_f64_e32 v[22:23], v[22:23], v[24:25]
	ds_load_b128 v[4:7], v2 offset:1984
	ds_load_b128 v[14:17], v2 offset:2000
	v_fmac_f64_e32 v[26:27], v[10:11], v[12:13]
	s_wait_loadcnt_dscnt 0x101
	v_mul_f64_e32 v[2:3], v[4:5], v[164:165]
	v_mul_f64_e32 v[24:25], v[6:7], v[164:165]
	v_add_f64_e32 v[10:11], v[18:19], v[156:157]
	v_add_f64_e32 v[12:13], v[22:23], v[160:161]
	s_wait_loadcnt_dscnt 0x0
	v_mul_f64_e32 v[18:19], v[14:15], v[168:169]
	v_mul_f64_e32 v[22:23], v[16:17], v[168:169]
	v_fmac_f64_e32 v[2:3], v[6:7], v[162:163]
	v_fma_f64 v[4:5], v[4:5], v[162:163], -v[24:25]
	v_add_f64_e32 v[6:7], v[10:11], v[8:9]
	v_add_f64_e32 v[8:9], v[12:13], v[26:27]
	v_fmac_f64_e32 v[18:19], v[16:17], v[166:167]
	v_fma_f64 v[10:11], v[14:15], v[166:167], -v[22:23]
	s_delay_alu instid0(VALU_DEP_4) | instskip(NEXT) | instid1(VALU_DEP_4)
	v_add_f64_e32 v[4:5], v[6:7], v[4:5]
	v_add_f64_e32 v[2:3], v[8:9], v[2:3]
	s_delay_alu instid0(VALU_DEP_2) | instskip(NEXT) | instid1(VALU_DEP_2)
	v_add_f64_e32 v[4:5], v[4:5], v[10:11]
	v_add_f64_e32 v[6:7], v[2:3], v[18:19]
	s_delay_alu instid0(VALU_DEP_2) | instskip(NEXT) | instid1(VALU_DEP_2)
	v_add_f64_e64 v[2:3], v[186:187], -v[4:5]
	v_add_f64_e64 v[4:5], v[188:189], -v[6:7]
	scratch_store_b128 off, v[2:5], off offset:96
	s_wait_xcnt 0x0
	v_cmpx_lt_u32_e32 5, v1
	s_cbranch_execz .LBB62_393
; %bb.392:
	scratch_load_b128 v[2:5], off, s76
	v_mov_b32_e32 v6, 0
	s_delay_alu instid0(VALU_DEP_1)
	v_dual_mov_b32 v7, v6 :: v_dual_mov_b32 v8, v6
	v_mov_b32_e32 v9, v6
	scratch_store_b128 off, v[6:9], off offset:80
	s_wait_loadcnt 0x0
	ds_store_b128 v20, v[2:5]
.LBB62_393:
	s_wait_xcnt 0x0
	s_or_b32 exec_lo, exec_lo, s2
	s_wait_storecnt_dscnt 0x0
	s_barrier_signal -1
	s_barrier_wait -1
	s_clause 0x9
	scratch_load_b128 v[4:7], off, off offset:96
	scratch_load_b128 v[8:11], off, off offset:112
	;; [unrolled: 1-line block ×10, first 2 shown]
	v_mov_b32_e32 v2, 0
	s_mov_b32 s2, exec_lo
	ds_load_b128 v[174:177], v2 offset:1104
	s_clause 0x2
	scratch_load_b128 v[178:181], off, off offset:256
	scratch_load_b128 v[182:185], off, off offset:80
	;; [unrolled: 1-line block ×3, first 2 shown]
	s_wait_loadcnt_dscnt 0xc00
	v_mul_f64_e32 v[26:27], v[176:177], v[6:7]
	v_mul_f64_e32 v[198:199], v[174:175], v[6:7]
	ds_load_b128 v[186:189], v2 offset:1120
	ds_load_b128 v[194:197], v2 offset:1152
	v_fma_f64 v[26:27], v[174:175], v[4:5], -v[26:27]
	v_fmac_f64_e32 v[198:199], v[176:177], v[4:5]
	ds_load_b128 v[4:7], v2 offset:1136
	s_wait_loadcnt_dscnt 0xb02
	v_mul_f64_e32 v[200:201], v[186:187], v[10:11]
	v_mul_f64_e32 v[10:11], v[188:189], v[10:11]
	scratch_load_b128 v[174:177], off, off offset:288
	s_wait_loadcnt_dscnt 0xb00
	v_mul_f64_e32 v[202:203], v[4:5], v[14:15]
	v_mul_f64_e32 v[14:15], v[6:7], v[14:15]
	v_add_f64_e32 v[26:27], 0, v[26:27]
	v_fmac_f64_e32 v[200:201], v[188:189], v[8:9]
	v_fma_f64 v[186:187], v[186:187], v[8:9], -v[10:11]
	v_add_f64_e32 v[188:189], 0, v[198:199]
	scratch_load_b128 v[8:11], off, off offset:304
	v_fmac_f64_e32 v[202:203], v[6:7], v[12:13]
	v_fma_f64 v[204:205], v[4:5], v[12:13], -v[14:15]
	ds_load_b128 v[4:7], v2 offset:1168
	s_wait_loadcnt 0xb
	v_mul_f64_e32 v[198:199], v[194:195], v[18:19]
	v_mul_f64_e32 v[18:19], v[196:197], v[18:19]
	scratch_load_b128 v[12:15], off, off offset:320
	v_add_f64_e32 v[26:27], v[26:27], v[186:187]
	v_add_f64_e32 v[200:201], v[188:189], v[200:201]
	ds_load_b128 v[186:189], v2 offset:1184
	s_wait_loadcnt_dscnt 0xb01
	v_mul_f64_e32 v[206:207], v[4:5], v[24:25]
	v_mul_f64_e32 v[24:25], v[6:7], v[24:25]
	v_fmac_f64_e32 v[198:199], v[196:197], v[16:17]
	v_fma_f64 v[194:195], v[194:195], v[16:17], -v[18:19]
	scratch_load_b128 v[16:19], off, off offset:336
	v_add_f64_e32 v[26:27], v[26:27], v[204:205]
	v_add_f64_e32 v[196:197], v[200:201], v[202:203]
	v_fmac_f64_e32 v[206:207], v[6:7], v[22:23]
	v_fma_f64 v[202:203], v[4:5], v[22:23], -v[24:25]
	ds_load_b128 v[4:7], v2 offset:1200
	s_wait_loadcnt_dscnt 0xb01
	v_mul_f64_e32 v[200:201], v[186:187], v[156:157]
	v_mul_f64_e32 v[156:157], v[188:189], v[156:157]
	scratch_load_b128 v[22:25], off, off offset:352
	s_wait_loadcnt_dscnt 0xb00
	v_mul_f64_e32 v[204:205], v[4:5], v[160:161]
	v_mul_f64_e32 v[160:161], v[6:7], v[160:161]
	v_add_f64_e32 v[26:27], v[26:27], v[194:195]
	v_add_f64_e32 v[198:199], v[196:197], v[198:199]
	ds_load_b128 v[194:197], v2 offset:1216
	v_fmac_f64_e32 v[200:201], v[188:189], v[154:155]
	v_fma_f64 v[186:187], v[186:187], v[154:155], -v[156:157]
	scratch_load_b128 v[154:157], off, off offset:368
	v_fmac_f64_e32 v[204:205], v[6:7], v[158:159]
	v_add_f64_e32 v[26:27], v[26:27], v[202:203]
	v_add_f64_e32 v[188:189], v[198:199], v[206:207]
	v_fma_f64 v[202:203], v[4:5], v[158:159], -v[160:161]
	ds_load_b128 v[4:7], v2 offset:1232
	s_wait_loadcnt_dscnt 0xb01
	v_mul_f64_e32 v[198:199], v[194:195], v[164:165]
	v_mul_f64_e32 v[164:165], v[196:197], v[164:165]
	scratch_load_b128 v[158:161], off, off offset:384
	s_wait_loadcnt_dscnt 0xb00
	v_mul_f64_e32 v[206:207], v[4:5], v[168:169]
	v_mul_f64_e32 v[168:169], v[6:7], v[168:169]
	v_add_f64_e32 v[26:27], v[26:27], v[186:187]
	v_add_f64_e32 v[200:201], v[188:189], v[200:201]
	ds_load_b128 v[186:189], v2 offset:1248
	v_fmac_f64_e32 v[198:199], v[196:197], v[162:163]
	v_fma_f64 v[194:195], v[194:195], v[162:163], -v[164:165]
	scratch_load_b128 v[162:165], off, off offset:400
	v_fmac_f64_e32 v[206:207], v[6:7], v[166:167]
	v_add_f64_e32 v[26:27], v[26:27], v[202:203]
	v_add_f64_e32 v[196:197], v[200:201], v[204:205]
	v_fma_f64 v[202:203], v[4:5], v[166:167], -v[168:169]
	ds_load_b128 v[4:7], v2 offset:1264
	s_wait_loadcnt_dscnt 0xb01
	v_mul_f64_e32 v[200:201], v[186:187], v[172:173]
	v_mul_f64_e32 v[172:173], v[188:189], v[172:173]
	scratch_load_b128 v[166:169], off, off offset:416
	s_wait_loadcnt_dscnt 0xb00
	v_mul_f64_e32 v[204:205], v[4:5], v[180:181]
	v_mul_f64_e32 v[180:181], v[6:7], v[180:181]
	v_add_f64_e32 v[26:27], v[26:27], v[194:195]
	v_add_f64_e32 v[198:199], v[196:197], v[198:199]
	ds_load_b128 v[194:197], v2 offset:1280
	v_fmac_f64_e32 v[200:201], v[188:189], v[170:171]
	v_fma_f64 v[186:187], v[186:187], v[170:171], -v[172:173]
	scratch_load_b128 v[170:173], off, off offset:432
	v_fmac_f64_e32 v[204:205], v[6:7], v[178:179]
	v_add_f64_e32 v[26:27], v[26:27], v[202:203]
	v_add_f64_e32 v[188:189], v[198:199], v[206:207]
	v_fma_f64 v[202:203], v[4:5], v[178:179], -v[180:181]
	ds_load_b128 v[4:7], v2 offset:1296
	s_wait_loadcnt_dscnt 0xa01
	v_mul_f64_e32 v[198:199], v[194:195], v[192:193]
	v_mul_f64_e32 v[192:193], v[196:197], v[192:193]
	scratch_load_b128 v[178:181], off, off offset:448
	v_add_f64_e32 v[26:27], v[26:27], v[186:187]
	v_add_f64_e32 v[200:201], v[188:189], v[200:201]
	s_wait_loadcnt_dscnt 0xa00
	v_mul_f64_e32 v[206:207], v[4:5], v[176:177]
	v_mul_f64_e32 v[176:177], v[6:7], v[176:177]
	v_fmac_f64_e32 v[198:199], v[196:197], v[190:191]
	v_fma_f64 v[194:195], v[194:195], v[190:191], -v[192:193]
	ds_load_b128 v[186:189], v2 offset:1312
	scratch_load_b128 v[190:193], off, off offset:464
	v_add_f64_e32 v[26:27], v[26:27], v[202:203]
	v_add_f64_e32 v[196:197], v[200:201], v[204:205]
	v_fmac_f64_e32 v[206:207], v[6:7], v[174:175]
	v_fma_f64 v[202:203], v[4:5], v[174:175], -v[176:177]
	ds_load_b128 v[4:7], v2 offset:1328
	s_wait_loadcnt_dscnt 0xa01
	v_mul_f64_e32 v[200:201], v[186:187], v[10:11]
	v_mul_f64_e32 v[10:11], v[188:189], v[10:11]
	scratch_load_b128 v[174:177], off, off offset:480
	s_wait_loadcnt_dscnt 0xa00
	v_mul_f64_e32 v[204:205], v[4:5], v[14:15]
	v_mul_f64_e32 v[14:15], v[6:7], v[14:15]
	v_add_f64_e32 v[26:27], v[26:27], v[194:195]
	v_add_f64_e32 v[198:199], v[196:197], v[198:199]
	ds_load_b128 v[194:197], v2 offset:1344
	v_fmac_f64_e32 v[200:201], v[188:189], v[8:9]
	v_fma_f64 v[186:187], v[186:187], v[8:9], -v[10:11]
	scratch_load_b128 v[8:11], off, off offset:496
	v_fmac_f64_e32 v[204:205], v[6:7], v[12:13]
	v_add_f64_e32 v[26:27], v[26:27], v[202:203]
	v_add_f64_e32 v[188:189], v[198:199], v[206:207]
	v_fma_f64 v[202:203], v[4:5], v[12:13], -v[14:15]
	ds_load_b128 v[4:7], v2 offset:1360
	s_wait_loadcnt_dscnt 0xa01
	v_mul_f64_e32 v[198:199], v[194:195], v[18:19]
	v_mul_f64_e32 v[18:19], v[196:197], v[18:19]
	scratch_load_b128 v[12:15], off, off offset:512
	s_wait_loadcnt_dscnt 0xa00
	v_mul_f64_e32 v[206:207], v[4:5], v[24:25]
	v_mul_f64_e32 v[24:25], v[6:7], v[24:25]
	v_add_f64_e32 v[26:27], v[26:27], v[186:187]
	v_add_f64_e32 v[200:201], v[188:189], v[200:201]
	ds_load_b128 v[186:189], v2 offset:1376
	v_fmac_f64_e32 v[198:199], v[196:197], v[16:17]
	v_fma_f64 v[194:195], v[194:195], v[16:17], -v[18:19]
	scratch_load_b128 v[16:19], off, off offset:528
	v_fmac_f64_e32 v[206:207], v[6:7], v[22:23]
	v_add_f64_e32 v[26:27], v[26:27], v[202:203]
	v_add_f64_e32 v[196:197], v[200:201], v[204:205]
	;; [unrolled: 18-line block ×16, first 2 shown]
	v_fma_f64 v[202:203], v[4:5], v[166:167], -v[168:169]
	ds_load_b128 v[4:7], v2 offset:1840
	s_wait_loadcnt_dscnt 0xa01
	v_mul_f64_e32 v[200:201], v[186:187], v[172:173]
	v_mul_f64_e32 v[172:173], v[188:189], v[172:173]
	scratch_load_b128 v[166:169], off, off offset:992
	s_wait_loadcnt_dscnt 0xa00
	v_mul_f64_e32 v[204:205], v[4:5], v[180:181]
	v_mul_f64_e32 v[180:181], v[6:7], v[180:181]
	v_add_f64_e32 v[26:27], v[26:27], v[194:195]
	v_add_f64_e32 v[198:199], v[196:197], v[198:199]
	ds_load_b128 v[194:197], v2 offset:1856
	v_fmac_f64_e32 v[200:201], v[188:189], v[170:171]
	v_fma_f64 v[170:171], v[186:187], v[170:171], -v[172:173]
	s_wait_loadcnt_dscnt 0x900
	v_mul_f64_e32 v[186:187], v[194:195], v[192:193]
	v_mul_f64_e32 v[188:189], v[196:197], v[192:193]
	v_fmac_f64_e32 v[204:205], v[6:7], v[178:179]
	v_fma_f64 v[178:179], v[4:5], v[178:179], -v[180:181]
	v_add_f64_e32 v[26:27], v[26:27], v[202:203]
	v_add_f64_e32 v[172:173], v[198:199], v[206:207]
	v_fmac_f64_e32 v[186:187], v[196:197], v[190:191]
	v_fma_f64 v[188:189], v[194:195], v[190:191], -v[188:189]
	s_delay_alu instid0(VALU_DEP_4) | instskip(NEXT) | instid1(VALU_DEP_4)
	v_add_f64_e32 v[26:27], v[26:27], v[170:171]
	v_add_f64_e32 v[180:181], v[172:173], v[200:201]
	ds_load_b128 v[4:7], v2 offset:1872
	ds_load_b128 v[170:173], v2 offset:1888
	s_wait_loadcnt_dscnt 0x801
	v_mul_f64_e32 v[192:193], v[4:5], v[176:177]
	v_mul_f64_e32 v[176:177], v[6:7], v[176:177]
	v_add_f64_e32 v[26:27], v[26:27], v[178:179]
	v_add_f64_e32 v[178:179], v[180:181], v[204:205]
	s_wait_loadcnt_dscnt 0x700
	v_mul_f64_e32 v[180:181], v[170:171], v[10:11]
	v_mul_f64_e32 v[10:11], v[172:173], v[10:11]
	v_fmac_f64_e32 v[192:193], v[6:7], v[174:175]
	v_fma_f64 v[190:191], v[4:5], v[174:175], -v[176:177]
	ds_load_b128 v[4:7], v2 offset:1904
	ds_load_b128 v[174:177], v2 offset:1920
	v_add_f64_e32 v[26:27], v[26:27], v[188:189]
	v_add_f64_e32 v[178:179], v[178:179], v[186:187]
	v_fmac_f64_e32 v[180:181], v[172:173], v[8:9]
	v_fma_f64 v[8:9], v[170:171], v[8:9], -v[10:11]
	s_wait_loadcnt_dscnt 0x601
	v_mul_f64_e32 v[186:187], v[4:5], v[14:15]
	v_mul_f64_e32 v[14:15], v[6:7], v[14:15]
	s_wait_loadcnt_dscnt 0x500
	v_mul_f64_e32 v[170:171], v[174:175], v[18:19]
	v_mul_f64_e32 v[18:19], v[176:177], v[18:19]
	v_add_f64_e32 v[10:11], v[26:27], v[190:191]
	v_add_f64_e32 v[26:27], v[178:179], v[192:193]
	v_fmac_f64_e32 v[186:187], v[6:7], v[12:13]
	v_fma_f64 v[12:13], v[4:5], v[12:13], -v[14:15]
	v_fmac_f64_e32 v[170:171], v[176:177], v[16:17]
	v_fma_f64 v[16:17], v[174:175], v[16:17], -v[18:19]
	v_add_f64_e32 v[14:15], v[10:11], v[8:9]
	v_add_f64_e32 v[26:27], v[26:27], v[180:181]
	ds_load_b128 v[4:7], v2 offset:1936
	ds_load_b128 v[8:11], v2 offset:1952
	s_wait_loadcnt_dscnt 0x401
	v_mul_f64_e32 v[172:173], v[4:5], v[24:25]
	v_mul_f64_e32 v[24:25], v[6:7], v[24:25]
	s_wait_loadcnt_dscnt 0x300
	v_mul_f64_e32 v[18:19], v[8:9], v[156:157]
	v_add_f64_e32 v[12:13], v[14:15], v[12:13]
	v_add_f64_e32 v[14:15], v[26:27], v[186:187]
	v_mul_f64_e32 v[26:27], v[10:11], v[156:157]
	v_fmac_f64_e32 v[172:173], v[6:7], v[22:23]
	v_fma_f64 v[22:23], v[4:5], v[22:23], -v[24:25]
	v_fmac_f64_e32 v[18:19], v[10:11], v[154:155]
	v_add_f64_e32 v[16:17], v[12:13], v[16:17]
	v_add_f64_e32 v[24:25], v[14:15], v[170:171]
	ds_load_b128 v[4:7], v2 offset:1968
	ds_load_b128 v[12:15], v2 offset:1984
	v_fma_f64 v[8:9], v[8:9], v[154:155], -v[26:27]
	s_wait_loadcnt_dscnt 0x201
	v_mul_f64_e32 v[156:157], v[4:5], v[160:161]
	v_mul_f64_e32 v[160:161], v[6:7], v[160:161]
	v_add_f64_e32 v[10:11], v[16:17], v[22:23]
	v_add_f64_e32 v[16:17], v[24:25], v[172:173]
	s_wait_loadcnt_dscnt 0x100
	v_mul_f64_e32 v[22:23], v[12:13], v[164:165]
	v_mul_f64_e32 v[24:25], v[14:15], v[164:165]
	v_fmac_f64_e32 v[156:157], v[6:7], v[158:159]
	v_fma_f64 v[26:27], v[4:5], v[158:159], -v[160:161]
	ds_load_b128 v[4:7], v2 offset:2000
	v_add_f64_e32 v[8:9], v[10:11], v[8:9]
	v_add_f64_e32 v[10:11], v[16:17], v[18:19]
	v_fmac_f64_e32 v[22:23], v[14:15], v[162:163]
	v_fma_f64 v[12:13], v[12:13], v[162:163], -v[24:25]
	s_wait_loadcnt_dscnt 0x0
	v_mul_f64_e32 v[16:17], v[4:5], v[168:169]
	v_mul_f64_e32 v[18:19], v[6:7], v[168:169]
	v_add_f64_e32 v[8:9], v[8:9], v[26:27]
	v_add_f64_e32 v[10:11], v[10:11], v[156:157]
	s_delay_alu instid0(VALU_DEP_4) | instskip(NEXT) | instid1(VALU_DEP_4)
	v_fmac_f64_e32 v[16:17], v[6:7], v[166:167]
	v_fma_f64 v[4:5], v[4:5], v[166:167], -v[18:19]
	s_delay_alu instid0(VALU_DEP_4) | instskip(NEXT) | instid1(VALU_DEP_4)
	v_add_f64_e32 v[6:7], v[8:9], v[12:13]
	v_add_f64_e32 v[8:9], v[10:11], v[22:23]
	s_delay_alu instid0(VALU_DEP_2) | instskip(NEXT) | instid1(VALU_DEP_2)
	v_add_f64_e32 v[4:5], v[6:7], v[4:5]
	v_add_f64_e32 v[6:7], v[8:9], v[16:17]
	s_delay_alu instid0(VALU_DEP_2) | instskip(NEXT) | instid1(VALU_DEP_2)
	v_add_f64_e64 v[4:5], v[182:183], -v[4:5]
	v_add_f64_e64 v[6:7], v[184:185], -v[6:7]
	scratch_store_b128 off, v[4:7], off offset:80
	s_wait_xcnt 0x0
	v_cmpx_lt_u32_e32 4, v1
	s_cbranch_execz .LBB62_395
; %bb.394:
	scratch_load_b128 v[6:9], off, s51
	v_dual_mov_b32 v3, v2 :: v_dual_mov_b32 v4, v2
	v_mov_b32_e32 v5, v2
	scratch_store_b128 off, v[2:5], off offset:64
	s_wait_loadcnt 0x0
	ds_store_b128 v20, v[6:9]
.LBB62_395:
	s_wait_xcnt 0x0
	s_or_b32 exec_lo, exec_lo, s2
	s_wait_storecnt_dscnt 0x0
	s_barrier_signal -1
	s_barrier_wait -1
	s_clause 0x9
	scratch_load_b128 v[4:7], off, off offset:80
	scratch_load_b128 v[8:11], off, off offset:96
	;; [unrolled: 1-line block ×10, first 2 shown]
	ds_load_b128 v[174:177], v2 offset:1088
	ds_load_b128 v[182:185], v2 offset:1104
	s_clause 0x2
	scratch_load_b128 v[178:181], off, off offset:240
	scratch_load_b128 v[186:189], off, off offset:64
	;; [unrolled: 1-line block ×3, first 2 shown]
	s_mov_b32 s2, exec_lo
	s_wait_loadcnt_dscnt 0xc01
	v_mul_f64_e32 v[26:27], v[176:177], v[6:7]
	v_mul_f64_e32 v[198:199], v[174:175], v[6:7]
	s_wait_loadcnt_dscnt 0xb00
	v_mul_f64_e32 v[200:201], v[182:183], v[10:11]
	v_mul_f64_e32 v[10:11], v[184:185], v[10:11]
	s_delay_alu instid0(VALU_DEP_4) | instskip(NEXT) | instid1(VALU_DEP_4)
	v_fma_f64 v[26:27], v[174:175], v[4:5], -v[26:27]
	v_fmac_f64_e32 v[198:199], v[176:177], v[4:5]
	ds_load_b128 v[4:7], v2 offset:1120
	ds_load_b128 v[174:177], v2 offset:1136
	scratch_load_b128 v[194:197], off, off offset:272
	v_fmac_f64_e32 v[200:201], v[184:185], v[8:9]
	v_fma_f64 v[182:183], v[182:183], v[8:9], -v[10:11]
	scratch_load_b128 v[8:11], off, off offset:288
	s_wait_loadcnt_dscnt 0xc01
	v_mul_f64_e32 v[202:203], v[4:5], v[14:15]
	v_mul_f64_e32 v[14:15], v[6:7], v[14:15]
	v_add_f64_e32 v[26:27], 0, v[26:27]
	v_add_f64_e32 v[184:185], 0, v[198:199]
	s_wait_loadcnt_dscnt 0xb00
	v_mul_f64_e32 v[198:199], v[174:175], v[18:19]
	v_mul_f64_e32 v[18:19], v[176:177], v[18:19]
	v_fmac_f64_e32 v[202:203], v[6:7], v[12:13]
	v_fma_f64 v[204:205], v[4:5], v[12:13], -v[14:15]
	ds_load_b128 v[4:7], v2 offset:1152
	ds_load_b128 v[12:15], v2 offset:1168
	v_add_f64_e32 v[26:27], v[26:27], v[182:183]
	v_add_f64_e32 v[200:201], v[184:185], v[200:201]
	scratch_load_b128 v[182:185], off, off offset:304
	v_fmac_f64_e32 v[198:199], v[176:177], v[16:17]
	v_fma_f64 v[174:175], v[174:175], v[16:17], -v[18:19]
	scratch_load_b128 v[16:19], off, off offset:320
	s_wait_loadcnt_dscnt 0xc01
	v_mul_f64_e32 v[206:207], v[4:5], v[24:25]
	v_mul_f64_e32 v[24:25], v[6:7], v[24:25]
	v_add_f64_e32 v[26:27], v[26:27], v[204:205]
	v_add_f64_e32 v[176:177], v[200:201], v[202:203]
	s_wait_loadcnt_dscnt 0xb00
	v_mul_f64_e32 v[200:201], v[12:13], v[156:157]
	v_mul_f64_e32 v[156:157], v[14:15], v[156:157]
	v_fmac_f64_e32 v[206:207], v[6:7], v[22:23]
	v_fma_f64 v[202:203], v[4:5], v[22:23], -v[24:25]
	ds_load_b128 v[4:7], v2 offset:1184
	ds_load_b128 v[22:25], v2 offset:1200
	s_wait_loadcnt_dscnt 0xa01
	v_mul_f64_e32 v[204:205], v[4:5], v[160:161]
	v_add_f64_e32 v[26:27], v[26:27], v[174:175]
	v_add_f64_e32 v[198:199], v[176:177], v[198:199]
	scratch_load_b128 v[174:177], off, off offset:336
	v_mul_f64_e32 v[160:161], v[6:7], v[160:161]
	v_fmac_f64_e32 v[200:201], v[14:15], v[154:155]
	v_fma_f64 v[154:155], v[12:13], v[154:155], -v[156:157]
	scratch_load_b128 v[12:15], off, off offset:352
	v_fmac_f64_e32 v[204:205], v[6:7], v[158:159]
	v_add_f64_e32 v[26:27], v[26:27], v[202:203]
	v_add_f64_e32 v[156:157], v[198:199], v[206:207]
	s_wait_loadcnt_dscnt 0xb00
	v_mul_f64_e32 v[198:199], v[22:23], v[164:165]
	v_mul_f64_e32 v[164:165], v[24:25], v[164:165]
	v_fma_f64 v[202:203], v[4:5], v[158:159], -v[160:161]
	v_add_f64_e32 v[26:27], v[26:27], v[154:155]
	v_add_f64_e32 v[200:201], v[156:157], v[200:201]
	ds_load_b128 v[4:7], v2 offset:1216
	ds_load_b128 v[154:157], v2 offset:1232
	scratch_load_b128 v[158:161], off, off offset:368
	v_fmac_f64_e32 v[198:199], v[24:25], v[162:163]
	v_fma_f64 v[162:163], v[22:23], v[162:163], -v[164:165]
	scratch_load_b128 v[22:25], off, off offset:384
	s_wait_loadcnt_dscnt 0xc01
	v_mul_f64_e32 v[206:207], v[4:5], v[168:169]
	v_mul_f64_e32 v[168:169], v[6:7], v[168:169]
	v_add_f64_e32 v[26:27], v[26:27], v[202:203]
	v_add_f64_e32 v[164:165], v[200:201], v[204:205]
	s_wait_loadcnt_dscnt 0xb00
	v_mul_f64_e32 v[200:201], v[154:155], v[172:173]
	v_mul_f64_e32 v[172:173], v[156:157], v[172:173]
	v_fmac_f64_e32 v[206:207], v[6:7], v[166:167]
	v_fma_f64 v[202:203], v[4:5], v[166:167], -v[168:169]
	v_add_f64_e32 v[26:27], v[26:27], v[162:163]
	v_add_f64_e32 v[198:199], v[164:165], v[198:199]
	ds_load_b128 v[4:7], v2 offset:1248
	ds_load_b128 v[162:165], v2 offset:1264
	scratch_load_b128 v[166:169], off, off offset:400
	v_fmac_f64_e32 v[200:201], v[156:157], v[170:171]
	v_fma_f64 v[170:171], v[154:155], v[170:171], -v[172:173]
	scratch_load_b128 v[154:157], off, off offset:416
	s_wait_loadcnt_dscnt 0xc01
	v_mul_f64_e32 v[204:205], v[4:5], v[180:181]
	v_mul_f64_e32 v[180:181], v[6:7], v[180:181]
	v_add_f64_e32 v[26:27], v[26:27], v[202:203]
	v_add_f64_e32 v[172:173], v[198:199], v[206:207]
	s_wait_loadcnt_dscnt 0xa00
	v_mul_f64_e32 v[198:199], v[162:163], v[192:193]
	v_mul_f64_e32 v[192:193], v[164:165], v[192:193]
	v_fmac_f64_e32 v[204:205], v[6:7], v[178:179]
	;; [unrolled: 18-line block ×5, first 2 shown]
	v_fma_f64 v[202:203], v[4:5], v[174:175], -v[176:177]
	ds_load_b128 v[4:7], v2 offset:1376
	ds_load_b128 v[174:177], v2 offset:1392
	v_add_f64_e32 v[26:27], v[26:27], v[190:191]
	v_add_f64_e32 v[198:199], v[192:193], v[198:199]
	scratch_load_b128 v[190:193], off, off offset:528
	v_fmac_f64_e32 v[200:201], v[172:173], v[12:13]
	v_fma_f64 v[170:171], v[170:171], v[12:13], -v[14:15]
	scratch_load_b128 v[12:15], off, off offset:544
	s_wait_loadcnt_dscnt 0xb01
	v_mul_f64_e32 v[204:205], v[4:5], v[160:161]
	v_mul_f64_e32 v[160:161], v[6:7], v[160:161]
	v_add_f64_e32 v[26:27], v[26:27], v[202:203]
	v_add_f64_e32 v[172:173], v[198:199], v[206:207]
	s_wait_loadcnt_dscnt 0xa00
	v_mul_f64_e32 v[198:199], v[174:175], v[24:25]
	v_mul_f64_e32 v[202:203], v[176:177], v[24:25]
	v_fmac_f64_e32 v[204:205], v[6:7], v[158:159]
	v_fma_f64 v[206:207], v[4:5], v[158:159], -v[160:161]
	v_add_f64_e32 v[170:171], v[26:27], v[170:171]
	v_add_f64_e32 v[172:173], v[172:173], v[200:201]
	ds_load_b128 v[4:7], v2 offset:1408
	ds_load_b128 v[24:27], v2 offset:1424
	scratch_load_b128 v[158:161], off, off offset:560
	v_fmac_f64_e32 v[198:199], v[176:177], v[22:23]
	v_fma_f64 v[22:23], v[174:175], v[22:23], -v[202:203]
	s_wait_loadcnt_dscnt 0xa01
	v_mul_f64_e32 v[208:209], v[4:5], v[168:169]
	v_mul_f64_e32 v[200:201], v[6:7], v[168:169]
	s_wait_loadcnt_dscnt 0x900
	v_mul_f64_e32 v[176:177], v[24:25], v[156:157]
	v_mul_f64_e32 v[156:157], v[26:27], v[156:157]
	v_add_f64_e32 v[174:175], v[170:171], v[206:207]
	v_add_f64_e32 v[172:173], v[172:173], v[204:205]
	scratch_load_b128 v[168:171], off, off offset:576
	v_fmac_f64_e32 v[208:209], v[6:7], v[166:167]
	v_fma_f64 v[166:167], v[4:5], v[166:167], -v[200:201]
	v_fmac_f64_e32 v[176:177], v[26:27], v[154:155]
	v_fma_f64 v[26:27], v[24:25], v[154:155], -v[156:157]
	v_add_f64_e32 v[22:23], v[174:175], v[22:23]
	v_add_f64_e32 v[202:203], v[172:173], v[198:199]
	ds_load_b128 v[4:7], v2 offset:1440
	ds_load_b128 v[172:175], v2 offset:1456
	scratch_load_b128 v[198:201], off, off offset:592
	s_wait_loadcnt_dscnt 0xa01
	v_mul_f64_e32 v[204:205], v[4:5], v[180:181]
	v_mul_f64_e32 v[180:181], v[6:7], v[180:181]
	s_wait_loadcnt_dscnt 0x900
	v_mul_f64_e32 v[206:207], v[174:175], v[164:165]
	v_add_f64_e32 v[154:155], v[22:23], v[166:167]
	v_add_f64_e32 v[156:157], v[202:203], v[208:209]
	scratch_load_b128 v[22:25], off, off offset:608
	v_mul_f64_e32 v[202:203], v[172:173], v[164:165]
	v_fmac_f64_e32 v[204:205], v[6:7], v[178:179]
	v_fma_f64 v[178:179], v[4:5], v[178:179], -v[180:181]
	v_add_f64_e32 v[26:27], v[154:155], v[26:27]
	v_add_f64_e32 v[176:177], v[156:157], v[176:177]
	ds_load_b128 v[4:7], v2 offset:1472
	ds_load_b128 v[154:157], v2 offset:1488
	scratch_load_b128 v[164:167], off, off offset:624
	v_fmac_f64_e32 v[202:203], v[174:175], v[162:163]
	v_fma_f64 v[162:163], v[172:173], v[162:163], -v[206:207]
	scratch_load_b128 v[172:175], off, off offset:640
	s_wait_loadcnt_dscnt 0xb01
	v_mul_f64_e32 v[180:181], v[4:5], v[196:197]
	v_mul_f64_e32 v[196:197], v[6:7], v[196:197]
	v_add_f64_e32 v[26:27], v[26:27], v[178:179]
	v_add_f64_e32 v[176:177], v[176:177], v[204:205]
	s_wait_loadcnt_dscnt 0xa00
	v_mul_f64_e32 v[204:205], v[154:155], v[10:11]
	v_mul_f64_e32 v[10:11], v[156:157], v[10:11]
	v_fmac_f64_e32 v[180:181], v[6:7], v[194:195]
	v_fma_f64 v[206:207], v[4:5], v[194:195], -v[196:197]
	v_add_f64_e32 v[26:27], v[26:27], v[162:163]
	v_add_f64_e32 v[162:163], v[176:177], v[202:203]
	ds_load_b128 v[4:7], v2 offset:1504
	ds_load_b128 v[176:179], v2 offset:1520
	scratch_load_b128 v[194:197], off, off offset:656
	v_fmac_f64_e32 v[204:205], v[156:157], v[8:9]
	v_fma_f64 v[154:155], v[154:155], v[8:9], -v[10:11]
	scratch_load_b128 v[8:11], off, off offset:672
	s_wait_loadcnt_dscnt 0xb01
	v_mul_f64_e32 v[202:203], v[4:5], v[184:185]
	v_mul_f64_e32 v[184:185], v[6:7], v[184:185]
	v_add_f64_e32 v[26:27], v[26:27], v[206:207]
	v_add_f64_e32 v[156:157], v[162:163], v[180:181]
	s_wait_loadcnt_dscnt 0xa00
	v_mul_f64_e32 v[162:163], v[176:177], v[18:19]
	;; [unrolled: 18-line block ×5, first 2 shown]
	v_mul_f64_e32 v[202:203], v[156:157], v[24:25]
	v_fmac_f64_e32 v[206:207], v[6:7], v[198:199]
	v_fma_f64 v[198:199], v[4:5], v[198:199], -v[200:201]
	v_add_f64_e32 v[200:201], v[26:27], v[176:177]
	v_add_f64_e32 v[162:163], v[178:179], v[162:163]
	ds_load_b128 v[4:7], v2 offset:1632
	ds_load_b128 v[24:27], v2 offset:1648
	scratch_load_b128 v[176:179], off, off offset:784
	v_fmac_f64_e32 v[184:185], v[156:157], v[22:23]
	v_fma_f64 v[22:23], v[154:155], v[22:23], -v[202:203]
	scratch_load_b128 v[154:157], off, off offset:800
	s_wait_loadcnt_dscnt 0xb01
	v_mul_f64_e32 v[204:205], v[4:5], v[166:167]
	v_mul_f64_e32 v[166:167], v[6:7], v[166:167]
	s_wait_loadcnt_dscnt 0xa00
	v_mul_f64_e32 v[202:203], v[24:25], v[174:175]
	v_mul_f64_e32 v[174:175], v[26:27], v[174:175]
	v_add_f64_e32 v[198:199], v[200:201], v[198:199]
	v_add_f64_e32 v[162:163], v[162:163], v[206:207]
	v_fmac_f64_e32 v[204:205], v[6:7], v[164:165]
	v_fma_f64 v[166:167], v[4:5], v[164:165], -v[166:167]
	v_fmac_f64_e32 v[202:203], v[26:27], v[172:173]
	v_fma_f64 v[26:27], v[24:25], v[172:173], -v[174:175]
	v_add_f64_e32 v[22:23], v[198:199], v[22:23]
	v_add_f64_e32 v[184:185], v[162:163], v[184:185]
	ds_load_b128 v[4:7], v2 offset:1664
	ds_load_b128 v[162:165], v2 offset:1680
	scratch_load_b128 v[198:201], off, off offset:816
	s_wait_loadcnt_dscnt 0xa01
	v_mul_f64_e32 v[206:207], v[4:5], v[196:197]
	v_mul_f64_e32 v[196:197], v[6:7], v[196:197]
	v_add_f64_e32 v[166:167], v[22:23], v[166:167]
	v_add_f64_e32 v[172:173], v[184:185], v[204:205]
	scratch_load_b128 v[22:25], off, off offset:832
	s_wait_loadcnt_dscnt 0xa00
	v_mul_f64_e32 v[184:185], v[162:163], v[10:11]
	v_mul_f64_e32 v[10:11], v[164:165], v[10:11]
	v_fmac_f64_e32 v[206:207], v[6:7], v[194:195]
	v_fma_f64 v[204:205], v[4:5], v[194:195], -v[196:197]
	v_add_f64_e32 v[26:27], v[166:167], v[26:27]
	v_add_f64_e32 v[166:167], v[172:173], v[202:203]
	ds_load_b128 v[4:7], v2 offset:1696
	ds_load_b128 v[172:175], v2 offset:1712
	scratch_load_b128 v[194:197], off, off offset:848
	v_fmac_f64_e32 v[184:185], v[164:165], v[8:9]
	v_fma_f64 v[162:163], v[162:163], v[8:9], -v[10:11]
	scratch_load_b128 v[8:11], off, off offset:864
	s_wait_loadcnt_dscnt 0xb01
	v_mul_f64_e32 v[202:203], v[4:5], v[182:183]
	v_mul_f64_e32 v[182:183], v[6:7], v[182:183]
	v_add_f64_e32 v[26:27], v[26:27], v[204:205]
	v_add_f64_e32 v[164:165], v[166:167], v[206:207]
	s_wait_loadcnt_dscnt 0xa00
	v_mul_f64_e32 v[166:167], v[172:173], v[18:19]
	v_mul_f64_e32 v[18:19], v[174:175], v[18:19]
	v_fmac_f64_e32 v[202:203], v[6:7], v[180:181]
	v_fma_f64 v[204:205], v[4:5], v[180:181], -v[182:183]
	v_add_f64_e32 v[26:27], v[26:27], v[162:163]
	v_add_f64_e32 v[184:185], v[164:165], v[184:185]
	ds_load_b128 v[4:7], v2 offset:1728
	ds_load_b128 v[162:165], v2 offset:1744
	scratch_load_b128 v[180:183], off, off offset:880
	v_fmac_f64_e32 v[166:167], v[174:175], v[16:17]
	v_fma_f64 v[172:173], v[172:173], v[16:17], -v[18:19]
	scratch_load_b128 v[16:19], off, off offset:896
	s_wait_loadcnt_dscnt 0xb01
	v_mul_f64_e32 v[206:207], v[4:5], v[192:193]
	v_mul_f64_e32 v[192:193], v[6:7], v[192:193]
	v_add_f64_e32 v[26:27], v[26:27], v[204:205]
	v_add_f64_e32 v[174:175], v[184:185], v[202:203]
	;; [unrolled: 18-line block ×3, first 2 shown]
	s_wait_loadcnt_dscnt 0xa00
	v_mul_f64_e32 v[202:203], v[172:173], v[170:171]
	v_mul_f64_e32 v[166:167], v[174:175], v[170:171]
	v_fmac_f64_e32 v[204:205], v[6:7], v[158:159]
	v_fma_f64 v[170:171], v[4:5], v[158:159], -v[160:161]
	ds_load_b128 v[4:7], v2 offset:1792
	ds_load_b128 v[158:161], v2 offset:1808
	v_add_f64_e32 v[26:27], v[26:27], v[162:163]
	v_add_f64_e32 v[184:185], v[164:165], v[184:185]
	scratch_load_b128 v[162:165], off, off offset:944
	v_fmac_f64_e32 v[202:203], v[174:175], v[168:169]
	v_fma_f64 v[172:173], v[172:173], v[168:169], -v[166:167]
	scratch_load_b128 v[166:169], off, off offset:960
	s_wait_loadcnt_dscnt 0xb01
	v_mul_f64_e32 v[206:207], v[4:5], v[178:179]
	v_mul_f64_e32 v[178:179], v[6:7], v[178:179]
	v_add_f64_e32 v[26:27], v[26:27], v[170:171]
	v_add_f64_e32 v[170:171], v[184:185], v[204:205]
	s_wait_loadcnt_dscnt 0xa00
	v_mul_f64_e32 v[184:185], v[158:159], v[156:157]
	v_mul_f64_e32 v[156:157], v[160:161], v[156:157]
	v_fmac_f64_e32 v[206:207], v[6:7], v[176:177]
	v_fma_f64 v[178:179], v[4:5], v[176:177], -v[178:179]
	v_add_f64_e32 v[26:27], v[26:27], v[172:173]
	v_add_f64_e32 v[202:203], v[170:171], v[202:203]
	ds_load_b128 v[4:7], v2 offset:1824
	ds_load_b128 v[170:173], v2 offset:1840
	scratch_load_b128 v[174:177], off, off offset:976
	v_fmac_f64_e32 v[184:185], v[160:161], v[154:155]
	v_fma_f64 v[158:159], v[158:159], v[154:155], -v[156:157]
	scratch_load_b128 v[154:157], off, off offset:992
	s_wait_loadcnt_dscnt 0xb01
	v_mul_f64_e32 v[204:205], v[4:5], v[200:201]
	v_mul_f64_e32 v[200:201], v[6:7], v[200:201]
	v_add_f64_e32 v[26:27], v[26:27], v[178:179]
	v_add_f64_e32 v[160:161], v[202:203], v[206:207]
	s_wait_loadcnt_dscnt 0xa00
	v_mul_f64_e32 v[178:179], v[170:171], v[24:25]
	v_mul_f64_e32 v[202:203], v[172:173], v[24:25]
	v_fmac_f64_e32 v[204:205], v[6:7], v[198:199]
	v_fma_f64 v[198:199], v[4:5], v[198:199], -v[200:201]
	v_add_f64_e32 v[158:159], v[26:27], v[158:159]
	v_add_f64_e32 v[160:161], v[160:161], v[184:185]
	ds_load_b128 v[4:7], v2 offset:1856
	ds_load_b128 v[24:27], v2 offset:1872
	v_fmac_f64_e32 v[178:179], v[172:173], v[22:23]
	v_fma_f64 v[22:23], v[170:171], v[22:23], -v[202:203]
	s_wait_loadcnt_dscnt 0x901
	v_mul_f64_e32 v[184:185], v[4:5], v[196:197]
	v_mul_f64_e32 v[196:197], v[6:7], v[196:197]
	s_wait_loadcnt_dscnt 0x800
	v_mul_f64_e32 v[170:171], v[24:25], v[10:11]
	v_mul_f64_e32 v[10:11], v[26:27], v[10:11]
	v_add_f64_e32 v[158:159], v[158:159], v[198:199]
	v_add_f64_e32 v[160:161], v[160:161], v[204:205]
	v_fmac_f64_e32 v[184:185], v[6:7], v[194:195]
	v_fma_f64 v[172:173], v[4:5], v[194:195], -v[196:197]
	v_fmac_f64_e32 v[170:171], v[26:27], v[8:9]
	v_fma_f64 v[8:9], v[24:25], v[8:9], -v[10:11]
	v_add_f64_e32 v[22:23], v[158:159], v[22:23]
	v_add_f64_e32 v[178:179], v[160:161], v[178:179]
	ds_load_b128 v[4:7], v2 offset:1888
	ds_load_b128 v[158:161], v2 offset:1904
	s_wait_loadcnt_dscnt 0x701
	v_mul_f64_e32 v[194:195], v[4:5], v[182:183]
	v_mul_f64_e32 v[182:183], v[6:7], v[182:183]
	s_wait_loadcnt_dscnt 0x600
	v_mul_f64_e32 v[24:25], v[158:159], v[18:19]
	v_mul_f64_e32 v[18:19], v[160:161], v[18:19]
	v_add_f64_e32 v[10:11], v[22:23], v[172:173]
	v_add_f64_e32 v[22:23], v[178:179], v[184:185]
	v_fmac_f64_e32 v[194:195], v[6:7], v[180:181]
	v_fma_f64 v[26:27], v[4:5], v[180:181], -v[182:183]
	v_fmac_f64_e32 v[24:25], v[160:161], v[16:17]
	v_fma_f64 v[16:17], v[158:159], v[16:17], -v[18:19]
	v_add_f64_e32 v[172:173], v[10:11], v[8:9]
	v_add_f64_e32 v[22:23], v[22:23], v[170:171]
	ds_load_b128 v[4:7], v2 offset:1920
	ds_load_b128 v[8:11], v2 offset:1936
	s_wait_loadcnt_dscnt 0x501
	v_mul_f64_e32 v[170:171], v[4:5], v[192:193]
	v_mul_f64_e32 v[178:179], v[6:7], v[192:193]
	s_wait_loadcnt_dscnt 0x400
	v_mul_f64_e32 v[158:159], v[10:11], v[14:15]
	v_add_f64_e32 v[18:19], v[172:173], v[26:27]
	v_add_f64_e32 v[22:23], v[22:23], v[194:195]
	v_mul_f64_e32 v[26:27], v[8:9], v[14:15]
	v_fmac_f64_e32 v[170:171], v[6:7], v[190:191]
	v_fma_f64 v[160:161], v[4:5], v[190:191], -v[178:179]
	v_fma_f64 v[8:9], v[8:9], v[12:13], -v[158:159]
	v_add_f64_e32 v[18:19], v[18:19], v[16:17]
	v_add_f64_e32 v[22:23], v[22:23], v[24:25]
	ds_load_b128 v[4:7], v2 offset:1952
	ds_load_b128 v[14:17], v2 offset:1968
	v_fmac_f64_e32 v[26:27], v[10:11], v[12:13]
	s_wait_loadcnt_dscnt 0x301
	v_mul_f64_e32 v[24:25], v[4:5], v[164:165]
	v_mul_f64_e32 v[164:165], v[6:7], v[164:165]
	v_add_f64_e32 v[10:11], v[18:19], v[160:161]
	v_add_f64_e32 v[12:13], v[22:23], v[170:171]
	s_wait_loadcnt_dscnt 0x200
	v_mul_f64_e32 v[18:19], v[14:15], v[168:169]
	v_mul_f64_e32 v[22:23], v[16:17], v[168:169]
	v_fmac_f64_e32 v[24:25], v[6:7], v[162:163]
	v_fma_f64 v[158:159], v[4:5], v[162:163], -v[164:165]
	v_add_f64_e32 v[160:161], v[10:11], v[8:9]
	v_add_f64_e32 v[12:13], v[12:13], v[26:27]
	ds_load_b128 v[4:7], v2 offset:1984
	ds_load_b128 v[8:11], v2 offset:2000
	v_fmac_f64_e32 v[18:19], v[16:17], v[166:167]
	v_fma_f64 v[14:15], v[14:15], v[166:167], -v[22:23]
	s_wait_loadcnt_dscnt 0x101
	v_mul_f64_e32 v[2:3], v[4:5], v[176:177]
	v_mul_f64_e32 v[26:27], v[6:7], v[176:177]
	s_wait_loadcnt_dscnt 0x0
	v_mul_f64_e32 v[22:23], v[8:9], v[156:157]
	v_add_f64_e32 v[16:17], v[160:161], v[158:159]
	v_add_f64_e32 v[12:13], v[12:13], v[24:25]
	v_mul_f64_e32 v[24:25], v[10:11], v[156:157]
	v_fmac_f64_e32 v[2:3], v[6:7], v[174:175]
	v_fma_f64 v[4:5], v[4:5], v[174:175], -v[26:27]
	v_fmac_f64_e32 v[22:23], v[10:11], v[154:155]
	v_add_f64_e32 v[6:7], v[16:17], v[14:15]
	v_add_f64_e32 v[12:13], v[12:13], v[18:19]
	v_fma_f64 v[8:9], v[8:9], v[154:155], -v[24:25]
	s_delay_alu instid0(VALU_DEP_3) | instskip(NEXT) | instid1(VALU_DEP_3)
	v_add_f64_e32 v[4:5], v[6:7], v[4:5]
	v_add_f64_e32 v[2:3], v[12:13], v[2:3]
	s_delay_alu instid0(VALU_DEP_2) | instskip(NEXT) | instid1(VALU_DEP_2)
	v_add_f64_e32 v[4:5], v[4:5], v[8:9]
	v_add_f64_e32 v[6:7], v[2:3], v[22:23]
	s_delay_alu instid0(VALU_DEP_2) | instskip(NEXT) | instid1(VALU_DEP_2)
	v_add_f64_e64 v[2:3], v[186:187], -v[4:5]
	v_add_f64_e64 v[4:5], v[188:189], -v[6:7]
	scratch_store_b128 off, v[2:5], off offset:64
	s_wait_xcnt 0x0
	v_cmpx_lt_u32_e32 3, v1
	s_cbranch_execz .LBB62_397
; %bb.396:
	scratch_load_b128 v[2:5], off, s52
	v_mov_b32_e32 v6, 0
	s_delay_alu instid0(VALU_DEP_1)
	v_dual_mov_b32 v7, v6 :: v_dual_mov_b32 v8, v6
	v_mov_b32_e32 v9, v6
	scratch_store_b128 off, v[6:9], off offset:48
	s_wait_loadcnt 0x0
	ds_store_b128 v20, v[2:5]
.LBB62_397:
	s_wait_xcnt 0x0
	s_or_b32 exec_lo, exec_lo, s2
	s_wait_storecnt_dscnt 0x0
	s_barrier_signal -1
	s_barrier_wait -1
	s_clause 0x9
	scratch_load_b128 v[4:7], off, off offset:64
	scratch_load_b128 v[8:11], off, off offset:80
	;; [unrolled: 1-line block ×10, first 2 shown]
	v_mov_b32_e32 v2, 0
	s_mov_b32 s2, exec_lo
	ds_load_b128 v[174:177], v2 offset:1072
	s_clause 0x2
	scratch_load_b128 v[178:181], off, off offset:224
	scratch_load_b128 v[182:185], off, off offset:48
	scratch_load_b128 v[190:193], off, off offset:240
	s_wait_loadcnt_dscnt 0xc00
	v_mul_f64_e32 v[26:27], v[176:177], v[6:7]
	v_mul_f64_e32 v[198:199], v[174:175], v[6:7]
	ds_load_b128 v[186:189], v2 offset:1088
	ds_load_b128 v[194:197], v2 offset:1120
	v_fma_f64 v[26:27], v[174:175], v[4:5], -v[26:27]
	v_fmac_f64_e32 v[198:199], v[176:177], v[4:5]
	ds_load_b128 v[4:7], v2 offset:1104
	s_wait_loadcnt_dscnt 0xb02
	v_mul_f64_e32 v[200:201], v[186:187], v[10:11]
	v_mul_f64_e32 v[10:11], v[188:189], v[10:11]
	scratch_load_b128 v[174:177], off, off offset:256
	s_wait_loadcnt_dscnt 0xb00
	v_mul_f64_e32 v[202:203], v[4:5], v[14:15]
	v_mul_f64_e32 v[14:15], v[6:7], v[14:15]
	v_add_f64_e32 v[26:27], 0, v[26:27]
	v_fmac_f64_e32 v[200:201], v[188:189], v[8:9]
	v_fma_f64 v[186:187], v[186:187], v[8:9], -v[10:11]
	v_add_f64_e32 v[188:189], 0, v[198:199]
	scratch_load_b128 v[8:11], off, off offset:272
	v_fmac_f64_e32 v[202:203], v[6:7], v[12:13]
	v_fma_f64 v[204:205], v[4:5], v[12:13], -v[14:15]
	ds_load_b128 v[4:7], v2 offset:1136
	s_wait_loadcnt 0xb
	v_mul_f64_e32 v[198:199], v[194:195], v[18:19]
	v_mul_f64_e32 v[18:19], v[196:197], v[18:19]
	scratch_load_b128 v[12:15], off, off offset:288
	v_add_f64_e32 v[26:27], v[26:27], v[186:187]
	v_add_f64_e32 v[200:201], v[188:189], v[200:201]
	ds_load_b128 v[186:189], v2 offset:1152
	s_wait_loadcnt_dscnt 0xb01
	v_mul_f64_e32 v[206:207], v[4:5], v[24:25]
	v_mul_f64_e32 v[24:25], v[6:7], v[24:25]
	v_fmac_f64_e32 v[198:199], v[196:197], v[16:17]
	v_fma_f64 v[194:195], v[194:195], v[16:17], -v[18:19]
	scratch_load_b128 v[16:19], off, off offset:304
	v_add_f64_e32 v[26:27], v[26:27], v[204:205]
	v_add_f64_e32 v[196:197], v[200:201], v[202:203]
	v_fmac_f64_e32 v[206:207], v[6:7], v[22:23]
	v_fma_f64 v[202:203], v[4:5], v[22:23], -v[24:25]
	ds_load_b128 v[4:7], v2 offset:1168
	s_wait_loadcnt_dscnt 0xb01
	v_mul_f64_e32 v[200:201], v[186:187], v[156:157]
	v_mul_f64_e32 v[156:157], v[188:189], v[156:157]
	scratch_load_b128 v[22:25], off, off offset:320
	s_wait_loadcnt_dscnt 0xb00
	v_mul_f64_e32 v[204:205], v[4:5], v[160:161]
	v_mul_f64_e32 v[160:161], v[6:7], v[160:161]
	v_add_f64_e32 v[26:27], v[26:27], v[194:195]
	v_add_f64_e32 v[198:199], v[196:197], v[198:199]
	ds_load_b128 v[194:197], v2 offset:1184
	v_fmac_f64_e32 v[200:201], v[188:189], v[154:155]
	v_fma_f64 v[186:187], v[186:187], v[154:155], -v[156:157]
	scratch_load_b128 v[154:157], off, off offset:336
	v_fmac_f64_e32 v[204:205], v[6:7], v[158:159]
	v_add_f64_e32 v[26:27], v[26:27], v[202:203]
	v_add_f64_e32 v[188:189], v[198:199], v[206:207]
	v_fma_f64 v[202:203], v[4:5], v[158:159], -v[160:161]
	ds_load_b128 v[4:7], v2 offset:1200
	s_wait_loadcnt_dscnt 0xb01
	v_mul_f64_e32 v[198:199], v[194:195], v[164:165]
	v_mul_f64_e32 v[164:165], v[196:197], v[164:165]
	scratch_load_b128 v[158:161], off, off offset:352
	s_wait_loadcnt_dscnt 0xb00
	v_mul_f64_e32 v[206:207], v[4:5], v[168:169]
	v_mul_f64_e32 v[168:169], v[6:7], v[168:169]
	v_add_f64_e32 v[26:27], v[26:27], v[186:187]
	v_add_f64_e32 v[200:201], v[188:189], v[200:201]
	ds_load_b128 v[186:189], v2 offset:1216
	v_fmac_f64_e32 v[198:199], v[196:197], v[162:163]
	v_fma_f64 v[194:195], v[194:195], v[162:163], -v[164:165]
	scratch_load_b128 v[162:165], off, off offset:368
	v_fmac_f64_e32 v[206:207], v[6:7], v[166:167]
	v_add_f64_e32 v[26:27], v[26:27], v[202:203]
	v_add_f64_e32 v[196:197], v[200:201], v[204:205]
	;; [unrolled: 18-line block ×3, first 2 shown]
	v_fma_f64 v[202:203], v[4:5], v[178:179], -v[180:181]
	ds_load_b128 v[4:7], v2 offset:1264
	s_wait_loadcnt_dscnt 0xa01
	v_mul_f64_e32 v[198:199], v[194:195], v[192:193]
	v_mul_f64_e32 v[192:193], v[196:197], v[192:193]
	scratch_load_b128 v[178:181], off, off offset:416
	v_add_f64_e32 v[26:27], v[26:27], v[186:187]
	v_add_f64_e32 v[200:201], v[188:189], v[200:201]
	s_wait_loadcnt_dscnt 0xa00
	v_mul_f64_e32 v[206:207], v[4:5], v[176:177]
	v_mul_f64_e32 v[176:177], v[6:7], v[176:177]
	v_fmac_f64_e32 v[198:199], v[196:197], v[190:191]
	v_fma_f64 v[194:195], v[194:195], v[190:191], -v[192:193]
	ds_load_b128 v[186:189], v2 offset:1280
	scratch_load_b128 v[190:193], off, off offset:432
	v_add_f64_e32 v[26:27], v[26:27], v[202:203]
	v_add_f64_e32 v[196:197], v[200:201], v[204:205]
	v_fmac_f64_e32 v[206:207], v[6:7], v[174:175]
	v_fma_f64 v[202:203], v[4:5], v[174:175], -v[176:177]
	ds_load_b128 v[4:7], v2 offset:1296
	s_wait_loadcnt_dscnt 0xa01
	v_mul_f64_e32 v[200:201], v[186:187], v[10:11]
	v_mul_f64_e32 v[10:11], v[188:189], v[10:11]
	scratch_load_b128 v[174:177], off, off offset:448
	s_wait_loadcnt_dscnt 0xa00
	v_mul_f64_e32 v[204:205], v[4:5], v[14:15]
	v_mul_f64_e32 v[14:15], v[6:7], v[14:15]
	v_add_f64_e32 v[26:27], v[26:27], v[194:195]
	v_add_f64_e32 v[198:199], v[196:197], v[198:199]
	ds_load_b128 v[194:197], v2 offset:1312
	v_fmac_f64_e32 v[200:201], v[188:189], v[8:9]
	v_fma_f64 v[186:187], v[186:187], v[8:9], -v[10:11]
	scratch_load_b128 v[8:11], off, off offset:464
	v_fmac_f64_e32 v[204:205], v[6:7], v[12:13]
	v_add_f64_e32 v[26:27], v[26:27], v[202:203]
	v_add_f64_e32 v[188:189], v[198:199], v[206:207]
	v_fma_f64 v[202:203], v[4:5], v[12:13], -v[14:15]
	ds_load_b128 v[4:7], v2 offset:1328
	s_wait_loadcnt_dscnt 0xa01
	v_mul_f64_e32 v[198:199], v[194:195], v[18:19]
	v_mul_f64_e32 v[18:19], v[196:197], v[18:19]
	scratch_load_b128 v[12:15], off, off offset:480
	s_wait_loadcnt_dscnt 0xa00
	v_mul_f64_e32 v[206:207], v[4:5], v[24:25]
	v_mul_f64_e32 v[24:25], v[6:7], v[24:25]
	v_add_f64_e32 v[26:27], v[26:27], v[186:187]
	v_add_f64_e32 v[200:201], v[188:189], v[200:201]
	ds_load_b128 v[186:189], v2 offset:1344
	v_fmac_f64_e32 v[198:199], v[196:197], v[16:17]
	v_fma_f64 v[194:195], v[194:195], v[16:17], -v[18:19]
	scratch_load_b128 v[16:19], off, off offset:496
	v_fmac_f64_e32 v[206:207], v[6:7], v[22:23]
	v_add_f64_e32 v[26:27], v[26:27], v[202:203]
	v_add_f64_e32 v[196:197], v[200:201], v[204:205]
	;; [unrolled: 18-line block ×17, first 2 shown]
	v_fma_f64 v[202:203], v[4:5], v[178:179], -v[180:181]
	ds_load_b128 v[4:7], v2 offset:1840
	s_wait_loadcnt_dscnt 0xa01
	v_mul_f64_e32 v[198:199], v[194:195], v[192:193]
	v_mul_f64_e32 v[192:193], v[196:197], v[192:193]
	scratch_load_b128 v[178:181], off, off offset:992
	s_wait_loadcnt_dscnt 0xa00
	v_mul_f64_e32 v[206:207], v[4:5], v[176:177]
	v_mul_f64_e32 v[176:177], v[6:7], v[176:177]
	v_add_f64_e32 v[26:27], v[26:27], v[186:187]
	v_add_f64_e32 v[200:201], v[188:189], v[200:201]
	ds_load_b128 v[186:189], v2 offset:1856
	v_fmac_f64_e32 v[198:199], v[196:197], v[190:191]
	v_fma_f64 v[190:191], v[194:195], v[190:191], -v[192:193]
	s_wait_loadcnt_dscnt 0x900
	v_mul_f64_e32 v[194:195], v[186:187], v[10:11]
	v_mul_f64_e32 v[10:11], v[188:189], v[10:11]
	v_fmac_f64_e32 v[206:207], v[6:7], v[174:175]
	v_fma_f64 v[196:197], v[4:5], v[174:175], -v[176:177]
	ds_load_b128 v[4:7], v2 offset:1872
	ds_load_b128 v[174:177], v2 offset:1888
	v_add_f64_e32 v[26:27], v[26:27], v[202:203]
	v_add_f64_e32 v[192:193], v[200:201], v[204:205]
	v_fmac_f64_e32 v[194:195], v[188:189], v[8:9]
	v_fma_f64 v[8:9], v[186:187], v[8:9], -v[10:11]
	s_delay_alu instid0(VALU_DEP_4) | instskip(NEXT) | instid1(VALU_DEP_4)
	v_add_f64_e32 v[26:27], v[26:27], v[190:191]
	v_add_f64_e32 v[190:191], v[192:193], v[198:199]
	s_wait_loadcnt_dscnt 0x801
	v_mul_f64_e32 v[192:193], v[4:5], v[14:15]
	v_mul_f64_e32 v[14:15], v[6:7], v[14:15]
	s_wait_loadcnt_dscnt 0x700
	v_mul_f64_e32 v[186:187], v[174:175], v[18:19]
	v_mul_f64_e32 v[18:19], v[176:177], v[18:19]
	v_add_f64_e32 v[10:11], v[26:27], v[196:197]
	v_add_f64_e32 v[26:27], v[190:191], v[206:207]
	v_fmac_f64_e32 v[192:193], v[6:7], v[12:13]
	v_fma_f64 v[12:13], v[4:5], v[12:13], -v[14:15]
	v_fmac_f64_e32 v[186:187], v[176:177], v[16:17]
	v_fma_f64 v[16:17], v[174:175], v[16:17], -v[18:19]
	v_add_f64_e32 v[14:15], v[10:11], v[8:9]
	v_add_f64_e32 v[26:27], v[26:27], v[194:195]
	ds_load_b128 v[4:7], v2 offset:1904
	ds_load_b128 v[8:11], v2 offset:1920
	s_wait_loadcnt_dscnt 0x601
	v_mul_f64_e32 v[188:189], v[4:5], v[24:25]
	v_mul_f64_e32 v[24:25], v[6:7], v[24:25]
	s_wait_loadcnt_dscnt 0x500
	v_mul_f64_e32 v[18:19], v[8:9], v[156:157]
	v_add_f64_e32 v[12:13], v[14:15], v[12:13]
	v_add_f64_e32 v[14:15], v[26:27], v[192:193]
	v_mul_f64_e32 v[26:27], v[10:11], v[156:157]
	v_fmac_f64_e32 v[188:189], v[6:7], v[22:23]
	v_fma_f64 v[22:23], v[4:5], v[22:23], -v[24:25]
	v_fmac_f64_e32 v[18:19], v[10:11], v[154:155]
	v_add_f64_e32 v[16:17], v[12:13], v[16:17]
	v_add_f64_e32 v[24:25], v[14:15], v[186:187]
	ds_load_b128 v[4:7], v2 offset:1936
	ds_load_b128 v[12:15], v2 offset:1952
	v_fma_f64 v[8:9], v[8:9], v[154:155], -v[26:27]
	s_wait_loadcnt_dscnt 0x401
	v_mul_f64_e32 v[156:157], v[4:5], v[160:161]
	v_mul_f64_e32 v[160:161], v[6:7], v[160:161]
	v_add_f64_e32 v[10:11], v[16:17], v[22:23]
	v_add_f64_e32 v[16:17], v[24:25], v[188:189]
	s_wait_loadcnt_dscnt 0x300
	v_mul_f64_e32 v[22:23], v[12:13], v[164:165]
	v_mul_f64_e32 v[24:25], v[14:15], v[164:165]
	v_fmac_f64_e32 v[156:157], v[6:7], v[158:159]
	v_fma_f64 v[26:27], v[4:5], v[158:159], -v[160:161]
	v_add_f64_e32 v[154:155], v[10:11], v[8:9]
	v_add_f64_e32 v[16:17], v[16:17], v[18:19]
	ds_load_b128 v[4:7], v2 offset:1968
	ds_load_b128 v[8:11], v2 offset:1984
	v_fmac_f64_e32 v[22:23], v[14:15], v[162:163]
	v_fma_f64 v[12:13], v[12:13], v[162:163], -v[24:25]
	s_wait_loadcnt_dscnt 0x201
	v_mul_f64_e32 v[18:19], v[4:5], v[168:169]
	v_mul_f64_e32 v[158:159], v[6:7], v[168:169]
	s_wait_loadcnt_dscnt 0x100
	v_mul_f64_e32 v[24:25], v[8:9], v[172:173]
	v_add_f64_e32 v[14:15], v[154:155], v[26:27]
	v_add_f64_e32 v[16:17], v[16:17], v[156:157]
	v_mul_f64_e32 v[26:27], v[10:11], v[172:173]
	v_fmac_f64_e32 v[18:19], v[6:7], v[166:167]
	v_fma_f64 v[154:155], v[4:5], v[166:167], -v[158:159]
	ds_load_b128 v[4:7], v2 offset:2000
	v_fmac_f64_e32 v[24:25], v[10:11], v[170:171]
	v_add_f64_e32 v[12:13], v[14:15], v[12:13]
	v_add_f64_e32 v[14:15], v[16:17], v[22:23]
	v_fma_f64 v[8:9], v[8:9], v[170:171], -v[26:27]
	s_wait_loadcnt_dscnt 0x0
	v_mul_f64_e32 v[16:17], v[4:5], v[180:181]
	v_mul_f64_e32 v[22:23], v[6:7], v[180:181]
	v_add_f64_e32 v[10:11], v[12:13], v[154:155]
	v_add_f64_e32 v[12:13], v[14:15], v[18:19]
	s_delay_alu instid0(VALU_DEP_4) | instskip(NEXT) | instid1(VALU_DEP_4)
	v_fmac_f64_e32 v[16:17], v[6:7], v[178:179]
	v_fma_f64 v[4:5], v[4:5], v[178:179], -v[22:23]
	s_delay_alu instid0(VALU_DEP_4) | instskip(NEXT) | instid1(VALU_DEP_4)
	v_add_f64_e32 v[6:7], v[10:11], v[8:9]
	v_add_f64_e32 v[8:9], v[12:13], v[24:25]
	s_delay_alu instid0(VALU_DEP_2) | instskip(NEXT) | instid1(VALU_DEP_2)
	v_add_f64_e32 v[4:5], v[6:7], v[4:5]
	v_add_f64_e32 v[6:7], v[8:9], v[16:17]
	s_delay_alu instid0(VALU_DEP_2) | instskip(NEXT) | instid1(VALU_DEP_2)
	v_add_f64_e64 v[4:5], v[182:183], -v[4:5]
	v_add_f64_e64 v[6:7], v[184:185], -v[6:7]
	scratch_store_b128 off, v[4:7], off offset:48
	s_wait_xcnt 0x0
	v_cmpx_lt_u32_e32 2, v1
	s_cbranch_execz .LBB62_399
; %bb.398:
	scratch_load_b128 v[6:9], off, s53
	v_dual_mov_b32 v3, v2 :: v_dual_mov_b32 v4, v2
	v_mov_b32_e32 v5, v2
	scratch_store_b128 off, v[2:5], off offset:32
	s_wait_loadcnt 0x0
	ds_store_b128 v20, v[6:9]
.LBB62_399:
	s_wait_xcnt 0x0
	s_or_b32 exec_lo, exec_lo, s2
	s_wait_storecnt_dscnt 0x0
	s_barrier_signal -1
	s_barrier_wait -1
	s_clause 0x9
	scratch_load_b128 v[4:7], off, off offset:48
	scratch_load_b128 v[8:11], off, off offset:64
	;; [unrolled: 1-line block ×10, first 2 shown]
	ds_load_b128 v[174:177], v2 offset:1056
	ds_load_b128 v[182:185], v2 offset:1072
	s_clause 0x2
	scratch_load_b128 v[178:181], off, off offset:208
	scratch_load_b128 v[186:189], off, off offset:32
	scratch_load_b128 v[190:193], off, off offset:224
	s_mov_b32 s2, exec_lo
	v_ashrrev_i32_e32 v33, 31, v32
	v_ashrrev_i32_e32 v37, 31, v36
	;; [unrolled: 1-line block ×4, first 2 shown]
	ds_load_b128 v[194:197], v2 offset:1104
	v_ashrrev_i32_e32 v35, 31, v34
	v_dual_ashrrev_i32 v39, 31, v38 :: v_dual_ashrrev_i32 v49, 31, v48
	v_ashrrev_i32_e32 v53, 31, v52
	v_ashrrev_i32_e32 v57, 31, v56
	;; [unrolled: 1-line block ×4, first 2 shown]
	v_dual_ashrrev_i32 v69, 31, v68 :: v_dual_ashrrev_i32 v43, 31, v42
	v_dual_ashrrev_i32 v47, 31, v46 :: v_dual_ashrrev_i32 v73, 31, v72
	v_ashrrev_i32_e32 v59, 31, v58
	v_ashrrev_i32_e32 v51, 31, v50
	;; [unrolled: 1-line block ×3, first 2 shown]
	v_dual_ashrrev_i32 v63, 31, v62 :: v_dual_ashrrev_i32 v77, 31, v76
	v_ashrrev_i32_e32 v67, 31, v66
	v_dual_ashrrev_i32 v71, 31, v70 :: v_dual_ashrrev_i32 v81, 31, v80
	v_ashrrev_i32_e32 v85, 31, v84
	v_dual_ashrrev_i32 v89, 31, v88 :: v_dual_ashrrev_i32 v75, 31, v74
	v_dual_ashrrev_i32 v79, 31, v78 :: v_dual_ashrrev_i32 v93, 31, v92
	v_ashrrev_i32_e32 v97, 31, v96
	v_dual_ashrrev_i32 v101, 31, v100 :: v_dual_ashrrev_i32 v83, 31, v82
	v_dual_ashrrev_i32 v87, 31, v86 :: v_dual_ashrrev_i32 v105, 31, v104
	;; [unrolled: 1-line block ×3, first 2 shown]
	v_ashrrev_i32_e32 v95, 31, v94
	v_dual_ashrrev_i32 v99, 31, v98 :: v_dual_ashrrev_i32 v113, 31, v112
	v_dual_ashrrev_i32 v103, 31, v102 :: v_dual_ashrrev_i32 v117, 31, v116
	v_ashrrev_i32_e32 v107, 31, v106
	v_dual_ashrrev_i32 v111, 31, v110 :: v_dual_ashrrev_i32 v121, 31, v120
	v_ashrrev_i32_e32 v125, 31, v124
	v_dual_ashrrev_i32 v129, 31, v128 :: v_dual_ashrrev_i32 v115, 31, v114
	v_dual_ashrrev_i32 v119, 31, v118 :: v_dual_ashrrev_i32 v133, 31, v132
	v_ashrrev_i32_e32 v137, 31, v136
	v_dual_ashrrev_i32 v141, 31, v140 :: v_dual_ashrrev_i32 v123, 31, v122
	v_dual_ashrrev_i32 v127, 31, v126 :: v_dual_ashrrev_i32 v145, 31, v144
	;; [unrolled: 1-line block ×3, first 2 shown]
	v_ashrrev_i32_e32 v135, 31, v134
	v_dual_ashrrev_i32 v139, 31, v138 :: v_dual_ashrrev_i32 v153, 31, v152
	v_ashrrev_i32_e32 v143, 31, v142
	v_ashrrev_i32_e32 v147, 31, v146
	;; [unrolled: 1-line block ×3, first 2 shown]
	s_wait_loadcnt_dscnt 0xc02
	v_mul_f64_e32 v[26:27], v[176:177], v[6:7]
	v_mul_f64_e32 v[198:199], v[174:175], v[6:7]
	s_wait_loadcnt_dscnt 0xb01
	v_mul_f64_e32 v[200:201], v[182:183], v[10:11]
	v_mul_f64_e32 v[10:11], v[184:185], v[10:11]
	s_delay_alu instid0(VALU_DEP_4) | instskip(NEXT) | instid1(VALU_DEP_4)
	v_fma_f64 v[26:27], v[174:175], v[4:5], -v[26:27]
	v_fmac_f64_e32 v[198:199], v[176:177], v[4:5]
	ds_load_b128 v[4:7], v2 offset:1088
	scratch_load_b128 v[174:177], off, off offset:240
	v_fmac_f64_e32 v[200:201], v[184:185], v[8:9]
	v_fma_f64 v[182:183], v[182:183], v[8:9], -v[10:11]
	scratch_load_b128 v[8:11], off, off offset:256
	s_wait_loadcnt_dscnt 0xc00
	v_mul_f64_e32 v[202:203], v[4:5], v[14:15]
	v_mul_f64_e32 v[14:15], v[6:7], v[14:15]
	v_add_f64_e32 v[26:27], 0, v[26:27]
	v_add_f64_e32 v[184:185], 0, v[198:199]
	s_wait_loadcnt 0xb
	v_mul_f64_e32 v[198:199], v[194:195], v[18:19]
	v_mul_f64_e32 v[18:19], v[196:197], v[18:19]
	v_fmac_f64_e32 v[202:203], v[6:7], v[12:13]
	v_fma_f64 v[204:205], v[4:5], v[12:13], -v[14:15]
	ds_load_b128 v[4:7], v2 offset:1120
	scratch_load_b128 v[12:15], off, off offset:272
	v_add_f64_e32 v[26:27], v[26:27], v[182:183]
	v_add_f64_e32 v[200:201], v[184:185], v[200:201]
	ds_load_b128 v[182:185], v2 offset:1136
	v_fmac_f64_e32 v[198:199], v[196:197], v[16:17]
	v_fma_f64 v[194:195], v[194:195], v[16:17], -v[18:19]
	scratch_load_b128 v[16:19], off, off offset:288
	s_wait_loadcnt_dscnt 0xc01
	v_mul_f64_e32 v[206:207], v[4:5], v[24:25]
	v_mul_f64_e32 v[24:25], v[6:7], v[24:25]
	v_add_f64_e32 v[26:27], v[26:27], v[204:205]
	v_add_f64_e32 v[196:197], v[200:201], v[202:203]
	s_wait_loadcnt_dscnt 0xb00
	v_mul_f64_e32 v[200:201], v[182:183], v[156:157]
	v_mul_f64_e32 v[156:157], v[184:185], v[156:157]
	v_fmac_f64_e32 v[206:207], v[6:7], v[22:23]
	v_fma_f64 v[202:203], v[4:5], v[22:23], -v[24:25]
	ds_load_b128 v[4:7], v2 offset:1152
	scratch_load_b128 v[22:25], off, off offset:304
	v_add_f64_e32 v[26:27], v[26:27], v[194:195]
	v_add_f64_e32 v[198:199], v[196:197], v[198:199]
	ds_load_b128 v[194:197], v2 offset:1168
	s_wait_loadcnt_dscnt 0xb01
	v_mul_f64_e32 v[204:205], v[4:5], v[160:161]
	v_mul_f64_e32 v[160:161], v[6:7], v[160:161]
	v_fmac_f64_e32 v[200:201], v[184:185], v[154:155]
	v_fma_f64 v[182:183], v[182:183], v[154:155], -v[156:157]
	scratch_load_b128 v[154:157], off, off offset:320
	v_add_f64_e32 v[26:27], v[26:27], v[202:203]
	v_add_f64_e32 v[184:185], v[198:199], v[206:207]
	s_wait_loadcnt_dscnt 0xb00
	v_mul_f64_e32 v[198:199], v[194:195], v[164:165]
	v_mul_f64_e32 v[164:165], v[196:197], v[164:165]
	v_fmac_f64_e32 v[204:205], v[6:7], v[158:159]
	v_fma_f64 v[202:203], v[4:5], v[158:159], -v[160:161]
	ds_load_b128 v[4:7], v2 offset:1184
	scratch_load_b128 v[158:161], off, off offset:336
	v_add_f64_e32 v[26:27], v[26:27], v[182:183]
	v_add_f64_e32 v[200:201], v[184:185], v[200:201]
	ds_load_b128 v[182:185], v2 offset:1200
	s_wait_loadcnt_dscnt 0xb01
	v_mul_f64_e32 v[206:207], v[4:5], v[168:169]
	v_mul_f64_e32 v[168:169], v[6:7], v[168:169]
	v_fmac_f64_e32 v[198:199], v[196:197], v[162:163]
	v_fma_f64 v[194:195], v[194:195], v[162:163], -v[164:165]
	scratch_load_b128 v[162:165], off, off offset:352
	;; [unrolled: 18-line block ×22, first 2 shown]
	v_add_f64_e32 v[26:27], v[26:27], v[202:203]
	v_add_f64_e32 v[196:197], v[200:201], v[204:205]
	s_wait_loadcnt_dscnt 0xa00
	v_mul_f64_e32 v[200:201], v[182:183], v[10:11]
	v_mul_f64_e32 v[10:11], v[184:185], v[10:11]
	v_fmac_f64_e32 v[206:207], v[6:7], v[174:175]
	v_fma_f64 v[202:203], v[4:5], v[174:175], -v[176:177]
	ds_load_b128 v[4:7], v2 offset:1856
	ds_load_b128 v[174:177], v2 offset:1872
	v_add_f64_e32 v[26:27], v[26:27], v[194:195]
	v_add_f64_e32 v[194:195], v[196:197], v[198:199]
	s_wait_loadcnt_dscnt 0x901
	v_mul_f64_e32 v[196:197], v[4:5], v[14:15]
	v_mul_f64_e32 v[14:15], v[6:7], v[14:15]
	v_fmac_f64_e32 v[200:201], v[184:185], v[8:9]
	v_fma_f64 v[8:9], v[182:183], v[8:9], -v[10:11]
	s_wait_loadcnt_dscnt 0x800
	v_mul_f64_e32 v[182:183], v[174:175], v[18:19]
	v_mul_f64_e32 v[18:19], v[176:177], v[18:19]
	v_add_f64_e32 v[10:11], v[26:27], v[202:203]
	v_add_f64_e32 v[26:27], v[194:195], v[206:207]
	v_fmac_f64_e32 v[196:197], v[6:7], v[12:13]
	v_fma_f64 v[12:13], v[4:5], v[12:13], -v[14:15]
	v_fmac_f64_e32 v[182:183], v[176:177], v[16:17]
	v_fma_f64 v[16:17], v[174:175], v[16:17], -v[18:19]
	v_add_f64_e32 v[14:15], v[10:11], v[8:9]
	v_add_f64_e32 v[26:27], v[26:27], v[200:201]
	ds_load_b128 v[4:7], v2 offset:1888
	ds_load_b128 v[8:11], v2 offset:1904
	s_wait_loadcnt_dscnt 0x701
	v_mul_f64_e32 v[184:185], v[4:5], v[24:25]
	v_mul_f64_e32 v[24:25], v[6:7], v[24:25]
	s_wait_loadcnt_dscnt 0x600
	v_mul_f64_e32 v[18:19], v[8:9], v[156:157]
	v_add_f64_e32 v[12:13], v[14:15], v[12:13]
	v_add_f64_e32 v[14:15], v[26:27], v[196:197]
	v_mul_f64_e32 v[26:27], v[10:11], v[156:157]
	v_fmac_f64_e32 v[184:185], v[6:7], v[22:23]
	v_fma_f64 v[22:23], v[4:5], v[22:23], -v[24:25]
	v_fmac_f64_e32 v[18:19], v[10:11], v[154:155]
	v_add_f64_e32 v[16:17], v[12:13], v[16:17]
	v_add_f64_e32 v[24:25], v[14:15], v[182:183]
	ds_load_b128 v[4:7], v2 offset:1920
	ds_load_b128 v[12:15], v2 offset:1936
	v_fma_f64 v[8:9], v[8:9], v[154:155], -v[26:27]
	s_wait_loadcnt_dscnt 0x501
	v_mul_f64_e32 v[156:157], v[4:5], v[160:161]
	v_mul_f64_e32 v[160:161], v[6:7], v[160:161]
	v_add_f64_e32 v[10:11], v[16:17], v[22:23]
	v_add_f64_e32 v[16:17], v[24:25], v[184:185]
	s_wait_loadcnt_dscnt 0x400
	v_mul_f64_e32 v[22:23], v[12:13], v[164:165]
	v_mul_f64_e32 v[24:25], v[14:15], v[164:165]
	v_fmac_f64_e32 v[156:157], v[6:7], v[158:159]
	v_fma_f64 v[26:27], v[4:5], v[158:159], -v[160:161]
	v_add_f64_e32 v[154:155], v[10:11], v[8:9]
	v_add_f64_e32 v[16:17], v[16:17], v[18:19]
	ds_load_b128 v[4:7], v2 offset:1952
	ds_load_b128 v[8:11], v2 offset:1968
	v_fmac_f64_e32 v[22:23], v[14:15], v[162:163]
	v_fma_f64 v[12:13], v[12:13], v[162:163], -v[24:25]
	s_wait_loadcnt_dscnt 0x301
	v_mul_f64_e32 v[18:19], v[4:5], v[168:169]
	v_mul_f64_e32 v[158:159], v[6:7], v[168:169]
	s_wait_loadcnt_dscnt 0x200
	v_mul_f64_e32 v[24:25], v[8:9], v[172:173]
	v_add_f64_e32 v[14:15], v[154:155], v[26:27]
	v_add_f64_e32 v[16:17], v[16:17], v[156:157]
	v_mul_f64_e32 v[26:27], v[10:11], v[172:173]
	v_fmac_f64_e32 v[18:19], v[6:7], v[166:167]
	v_fma_f64 v[154:155], v[4:5], v[166:167], -v[158:159]
	v_fmac_f64_e32 v[24:25], v[10:11], v[170:171]
	v_add_f64_e32 v[156:157], v[14:15], v[12:13]
	v_add_f64_e32 v[16:17], v[16:17], v[22:23]
	ds_load_b128 v[4:7], v2 offset:1984
	ds_load_b128 v[12:15], v2 offset:2000
	v_fma_f64 v[8:9], v[8:9], v[170:171], -v[26:27]
	s_wait_loadcnt_dscnt 0x101
	v_mul_f64_e32 v[2:3], v[4:5], v[180:181]
	v_mul_f64_e32 v[22:23], v[6:7], v[180:181]
	s_wait_loadcnt_dscnt 0x0
	v_mul_f64_e32 v[26:27], v[14:15], v[192:193]
	v_add_f64_e32 v[10:11], v[156:157], v[154:155]
	v_add_f64_e32 v[16:17], v[16:17], v[18:19]
	v_mul_f64_e32 v[18:19], v[12:13], v[192:193]
	v_fmac_f64_e32 v[2:3], v[6:7], v[178:179]
	v_fma_f64 v[4:5], v[4:5], v[178:179], -v[22:23]
	v_add_f64_e32 v[6:7], v[10:11], v[8:9]
	v_add_f64_e32 v[8:9], v[16:17], v[24:25]
	v_fmac_f64_e32 v[18:19], v[14:15], v[190:191]
	v_fma_f64 v[10:11], v[12:13], v[190:191], -v[26:27]
	s_delay_alu instid0(VALU_DEP_4) | instskip(NEXT) | instid1(VALU_DEP_4)
	v_add_f64_e32 v[4:5], v[6:7], v[4:5]
	v_add_f64_e32 v[2:3], v[8:9], v[2:3]
	s_delay_alu instid0(VALU_DEP_2) | instskip(NEXT) | instid1(VALU_DEP_2)
	v_add_f64_e32 v[4:5], v[4:5], v[10:11]
	v_add_f64_e32 v[6:7], v[2:3], v[18:19]
	s_delay_alu instid0(VALU_DEP_2) | instskip(NEXT) | instid1(VALU_DEP_2)
	v_add_f64_e64 v[2:3], v[186:187], -v[4:5]
	v_add_f64_e64 v[4:5], v[188:189], -v[6:7]
	scratch_store_b128 off, v[2:5], off offset:32
	s_wait_xcnt 0x0
	v_cmpx_lt_u32_e32 1, v1
	s_cbranch_execz .LBB62_401
; %bb.400:
	scratch_load_b128 v[2:5], off, s54
	v_mov_b32_e32 v6, 0
	s_delay_alu instid0(VALU_DEP_1)
	v_dual_mov_b32 v7, v6 :: v_dual_mov_b32 v8, v6
	v_mov_b32_e32 v9, v6
	scratch_store_b128 off, v[6:9], off offset:16
	s_wait_loadcnt 0x0
	ds_store_b128 v20, v[2:5]
.LBB62_401:
	s_wait_xcnt 0x0
	s_or_b32 exec_lo, exec_lo, s2
	s_wait_storecnt_dscnt 0x0
	s_barrier_signal -1
	s_barrier_wait -1
	s_clause 0x9
	scratch_load_b128 v[4:7], off, off offset:32
	scratch_load_b128 v[8:11], off, off offset:48
	;; [unrolled: 1-line block ×10, first 2 shown]
	v_mov_b32_e32 v2, 0
	s_mov_b32 s2, exec_lo
	ds_load_b128 v[174:177], v2 offset:1040
	s_clause 0x2
	scratch_load_b128 v[178:181], off, off offset:192
	scratch_load_b128 v[182:185], off, off offset:16
	;; [unrolled: 1-line block ×3, first 2 shown]
	s_wait_loadcnt_dscnt 0xc00
	v_mul_f64_e32 v[26:27], v[176:177], v[6:7]
	v_mul_f64_e32 v[198:199], v[174:175], v[6:7]
	ds_load_b128 v[186:189], v2 offset:1056
	ds_load_b128 v[194:197], v2 offset:1088
	v_fma_f64 v[26:27], v[174:175], v[4:5], -v[26:27]
	v_fmac_f64_e32 v[198:199], v[176:177], v[4:5]
	ds_load_b128 v[4:7], v2 offset:1072
	s_wait_loadcnt_dscnt 0xb02
	v_mul_f64_e32 v[200:201], v[186:187], v[10:11]
	v_mul_f64_e32 v[10:11], v[188:189], v[10:11]
	scratch_load_b128 v[174:177], off, off offset:224
	s_wait_loadcnt_dscnt 0xb00
	v_mul_f64_e32 v[202:203], v[4:5], v[14:15]
	v_mul_f64_e32 v[14:15], v[6:7], v[14:15]
	v_add_f64_e32 v[26:27], 0, v[26:27]
	v_fmac_f64_e32 v[200:201], v[188:189], v[8:9]
	v_fma_f64 v[186:187], v[186:187], v[8:9], -v[10:11]
	v_add_f64_e32 v[188:189], 0, v[198:199]
	scratch_load_b128 v[8:11], off, off offset:240
	v_fmac_f64_e32 v[202:203], v[6:7], v[12:13]
	v_fma_f64 v[204:205], v[4:5], v[12:13], -v[14:15]
	ds_load_b128 v[4:7], v2 offset:1104
	s_wait_loadcnt 0xb
	v_mul_f64_e32 v[198:199], v[194:195], v[18:19]
	v_mul_f64_e32 v[18:19], v[196:197], v[18:19]
	scratch_load_b128 v[12:15], off, off offset:256
	v_add_f64_e32 v[26:27], v[26:27], v[186:187]
	v_add_f64_e32 v[200:201], v[188:189], v[200:201]
	ds_load_b128 v[186:189], v2 offset:1120
	s_wait_loadcnt_dscnt 0xb01
	v_mul_f64_e32 v[206:207], v[4:5], v[24:25]
	v_mul_f64_e32 v[24:25], v[6:7], v[24:25]
	v_fmac_f64_e32 v[198:199], v[196:197], v[16:17]
	v_fma_f64 v[194:195], v[194:195], v[16:17], -v[18:19]
	scratch_load_b128 v[16:19], off, off offset:272
	v_add_f64_e32 v[26:27], v[26:27], v[204:205]
	v_add_f64_e32 v[196:197], v[200:201], v[202:203]
	v_fmac_f64_e32 v[206:207], v[6:7], v[22:23]
	v_fma_f64 v[202:203], v[4:5], v[22:23], -v[24:25]
	ds_load_b128 v[4:7], v2 offset:1136
	s_wait_loadcnt_dscnt 0xb01
	v_mul_f64_e32 v[200:201], v[186:187], v[156:157]
	v_mul_f64_e32 v[156:157], v[188:189], v[156:157]
	scratch_load_b128 v[22:25], off, off offset:288
	s_wait_loadcnt_dscnt 0xb00
	v_mul_f64_e32 v[204:205], v[4:5], v[160:161]
	v_mul_f64_e32 v[160:161], v[6:7], v[160:161]
	v_add_f64_e32 v[26:27], v[26:27], v[194:195]
	v_add_f64_e32 v[198:199], v[196:197], v[198:199]
	ds_load_b128 v[194:197], v2 offset:1152
	v_fmac_f64_e32 v[200:201], v[188:189], v[154:155]
	v_fma_f64 v[186:187], v[186:187], v[154:155], -v[156:157]
	scratch_load_b128 v[154:157], off, off offset:304
	v_fmac_f64_e32 v[204:205], v[6:7], v[158:159]
	v_add_f64_e32 v[26:27], v[26:27], v[202:203]
	v_add_f64_e32 v[188:189], v[198:199], v[206:207]
	v_fma_f64 v[202:203], v[4:5], v[158:159], -v[160:161]
	ds_load_b128 v[4:7], v2 offset:1168
	s_wait_loadcnt_dscnt 0xb01
	v_mul_f64_e32 v[198:199], v[194:195], v[164:165]
	v_mul_f64_e32 v[164:165], v[196:197], v[164:165]
	scratch_load_b128 v[158:161], off, off offset:320
	s_wait_loadcnt_dscnt 0xb00
	v_mul_f64_e32 v[206:207], v[4:5], v[168:169]
	v_mul_f64_e32 v[168:169], v[6:7], v[168:169]
	v_add_f64_e32 v[26:27], v[26:27], v[186:187]
	v_add_f64_e32 v[200:201], v[188:189], v[200:201]
	ds_load_b128 v[186:189], v2 offset:1184
	v_fmac_f64_e32 v[198:199], v[196:197], v[162:163]
	v_fma_f64 v[194:195], v[194:195], v[162:163], -v[164:165]
	scratch_load_b128 v[162:165], off, off offset:336
	v_fmac_f64_e32 v[206:207], v[6:7], v[166:167]
	v_add_f64_e32 v[26:27], v[26:27], v[202:203]
	v_add_f64_e32 v[196:197], v[200:201], v[204:205]
	;; [unrolled: 18-line block ×3, first 2 shown]
	v_fma_f64 v[202:203], v[4:5], v[178:179], -v[180:181]
	ds_load_b128 v[4:7], v2 offset:1232
	s_wait_loadcnt_dscnt 0xa01
	v_mul_f64_e32 v[198:199], v[194:195], v[192:193]
	v_mul_f64_e32 v[192:193], v[196:197], v[192:193]
	scratch_load_b128 v[178:181], off, off offset:384
	v_add_f64_e32 v[26:27], v[26:27], v[186:187]
	v_add_f64_e32 v[200:201], v[188:189], v[200:201]
	s_wait_loadcnt_dscnt 0xa00
	v_mul_f64_e32 v[206:207], v[4:5], v[176:177]
	v_mul_f64_e32 v[176:177], v[6:7], v[176:177]
	v_fmac_f64_e32 v[198:199], v[196:197], v[190:191]
	v_fma_f64 v[194:195], v[194:195], v[190:191], -v[192:193]
	ds_load_b128 v[186:189], v2 offset:1248
	scratch_load_b128 v[190:193], off, off offset:400
	v_add_f64_e32 v[26:27], v[26:27], v[202:203]
	v_add_f64_e32 v[196:197], v[200:201], v[204:205]
	v_fmac_f64_e32 v[206:207], v[6:7], v[174:175]
	v_fma_f64 v[202:203], v[4:5], v[174:175], -v[176:177]
	ds_load_b128 v[4:7], v2 offset:1264
	s_wait_loadcnt_dscnt 0xa01
	v_mul_f64_e32 v[200:201], v[186:187], v[10:11]
	v_mul_f64_e32 v[10:11], v[188:189], v[10:11]
	scratch_load_b128 v[174:177], off, off offset:416
	s_wait_loadcnt_dscnt 0xa00
	v_mul_f64_e32 v[204:205], v[4:5], v[14:15]
	v_mul_f64_e32 v[14:15], v[6:7], v[14:15]
	v_add_f64_e32 v[26:27], v[26:27], v[194:195]
	v_add_f64_e32 v[198:199], v[196:197], v[198:199]
	ds_load_b128 v[194:197], v2 offset:1280
	v_fmac_f64_e32 v[200:201], v[188:189], v[8:9]
	v_fma_f64 v[186:187], v[186:187], v[8:9], -v[10:11]
	scratch_load_b128 v[8:11], off, off offset:432
	v_fmac_f64_e32 v[204:205], v[6:7], v[12:13]
	v_add_f64_e32 v[26:27], v[26:27], v[202:203]
	v_add_f64_e32 v[188:189], v[198:199], v[206:207]
	v_fma_f64 v[202:203], v[4:5], v[12:13], -v[14:15]
	ds_load_b128 v[4:7], v2 offset:1296
	s_wait_loadcnt_dscnt 0xa01
	v_mul_f64_e32 v[198:199], v[194:195], v[18:19]
	v_mul_f64_e32 v[18:19], v[196:197], v[18:19]
	scratch_load_b128 v[12:15], off, off offset:448
	s_wait_loadcnt_dscnt 0xa00
	v_mul_f64_e32 v[206:207], v[4:5], v[24:25]
	v_mul_f64_e32 v[24:25], v[6:7], v[24:25]
	v_add_f64_e32 v[26:27], v[26:27], v[186:187]
	v_add_f64_e32 v[200:201], v[188:189], v[200:201]
	ds_load_b128 v[186:189], v2 offset:1312
	v_fmac_f64_e32 v[198:199], v[196:197], v[16:17]
	v_fma_f64 v[194:195], v[194:195], v[16:17], -v[18:19]
	scratch_load_b128 v[16:19], off, off offset:464
	v_fmac_f64_e32 v[206:207], v[6:7], v[22:23]
	v_add_f64_e32 v[26:27], v[26:27], v[202:203]
	v_add_f64_e32 v[196:197], v[200:201], v[204:205]
	;; [unrolled: 18-line block ×18, first 2 shown]
	v_fma_f64 v[202:203], v[4:5], v[174:175], -v[176:177]
	ds_load_b128 v[4:7], v2 offset:1840
	s_wait_loadcnt_dscnt 0xa01
	v_mul_f64_e32 v[200:201], v[186:187], v[10:11]
	v_mul_f64_e32 v[10:11], v[188:189], v[10:11]
	scratch_load_b128 v[174:177], off, off offset:992
	s_wait_loadcnt_dscnt 0xa00
	v_mul_f64_e32 v[204:205], v[4:5], v[14:15]
	v_mul_f64_e32 v[14:15], v[6:7], v[14:15]
	v_add_f64_e32 v[26:27], v[26:27], v[194:195]
	v_add_f64_e32 v[198:199], v[196:197], v[198:199]
	ds_load_b128 v[194:197], v2 offset:1856
	v_fmac_f64_e32 v[200:201], v[188:189], v[8:9]
	v_fma_f64 v[8:9], v[186:187], v[8:9], -v[10:11]
	s_wait_loadcnt_dscnt 0x900
	v_mul_f64_e32 v[186:187], v[194:195], v[18:19]
	v_mul_f64_e32 v[18:19], v[196:197], v[18:19]
	v_fmac_f64_e32 v[204:205], v[6:7], v[12:13]
	v_fma_f64 v[12:13], v[4:5], v[12:13], -v[14:15]
	v_add_f64_e32 v[10:11], v[26:27], v[202:203]
	v_add_f64_e32 v[26:27], v[198:199], v[206:207]
	v_fmac_f64_e32 v[186:187], v[196:197], v[16:17]
	v_fma_f64 v[16:17], v[194:195], v[16:17], -v[18:19]
	s_delay_alu instid0(VALU_DEP_4) | instskip(NEXT) | instid1(VALU_DEP_4)
	v_add_f64_e32 v[14:15], v[10:11], v[8:9]
	v_add_f64_e32 v[26:27], v[26:27], v[200:201]
	ds_load_b128 v[4:7], v2 offset:1872
	ds_load_b128 v[8:11], v2 offset:1888
	s_wait_loadcnt_dscnt 0x801
	v_mul_f64_e32 v[188:189], v[4:5], v[24:25]
	v_mul_f64_e32 v[24:25], v[6:7], v[24:25]
	s_wait_loadcnt_dscnt 0x700
	v_mul_f64_e32 v[18:19], v[8:9], v[156:157]
	v_add_f64_e32 v[12:13], v[14:15], v[12:13]
	v_add_f64_e32 v[14:15], v[26:27], v[204:205]
	v_mul_f64_e32 v[26:27], v[10:11], v[156:157]
	v_fmac_f64_e32 v[188:189], v[6:7], v[22:23]
	v_fma_f64 v[22:23], v[4:5], v[22:23], -v[24:25]
	v_fmac_f64_e32 v[18:19], v[10:11], v[154:155]
	v_add_f64_e32 v[16:17], v[12:13], v[16:17]
	v_add_f64_e32 v[24:25], v[14:15], v[186:187]
	ds_load_b128 v[4:7], v2 offset:1904
	ds_load_b128 v[12:15], v2 offset:1920
	v_fma_f64 v[8:9], v[8:9], v[154:155], -v[26:27]
	s_wait_loadcnt_dscnt 0x601
	v_mul_f64_e32 v[156:157], v[4:5], v[160:161]
	v_mul_f64_e32 v[160:161], v[6:7], v[160:161]
	v_add_f64_e32 v[10:11], v[16:17], v[22:23]
	v_add_f64_e32 v[16:17], v[24:25], v[188:189]
	s_wait_loadcnt_dscnt 0x500
	v_mul_f64_e32 v[22:23], v[12:13], v[164:165]
	v_mul_f64_e32 v[24:25], v[14:15], v[164:165]
	v_fmac_f64_e32 v[156:157], v[6:7], v[158:159]
	v_fma_f64 v[26:27], v[4:5], v[158:159], -v[160:161]
	v_add_f64_e32 v[154:155], v[10:11], v[8:9]
	v_add_f64_e32 v[16:17], v[16:17], v[18:19]
	ds_load_b128 v[4:7], v2 offset:1936
	ds_load_b128 v[8:11], v2 offset:1952
	v_fmac_f64_e32 v[22:23], v[14:15], v[162:163]
	v_fma_f64 v[12:13], v[12:13], v[162:163], -v[24:25]
	s_wait_loadcnt_dscnt 0x401
	v_mul_f64_e32 v[18:19], v[4:5], v[168:169]
	v_mul_f64_e32 v[158:159], v[6:7], v[168:169]
	s_wait_loadcnt_dscnt 0x300
	v_mul_f64_e32 v[24:25], v[8:9], v[172:173]
	v_add_f64_e32 v[14:15], v[154:155], v[26:27]
	v_add_f64_e32 v[16:17], v[16:17], v[156:157]
	v_mul_f64_e32 v[26:27], v[10:11], v[172:173]
	v_fmac_f64_e32 v[18:19], v[6:7], v[166:167]
	v_fma_f64 v[154:155], v[4:5], v[166:167], -v[158:159]
	v_fmac_f64_e32 v[24:25], v[10:11], v[170:171]
	v_add_f64_e32 v[156:157], v[14:15], v[12:13]
	v_add_f64_e32 v[16:17], v[16:17], v[22:23]
	ds_load_b128 v[4:7], v2 offset:1968
	ds_load_b128 v[12:15], v2 offset:1984
	v_fma_f64 v[8:9], v[8:9], v[170:171], -v[26:27]
	s_wait_loadcnt_dscnt 0x201
	v_mul_f64_e32 v[22:23], v[4:5], v[180:181]
	v_mul_f64_e32 v[158:159], v[6:7], v[180:181]
	s_wait_loadcnt_dscnt 0x100
	v_mul_f64_e32 v[26:27], v[14:15], v[192:193]
	v_add_f64_e32 v[10:11], v[156:157], v[154:155]
	v_add_f64_e32 v[16:17], v[16:17], v[18:19]
	v_mul_f64_e32 v[18:19], v[12:13], v[192:193]
	v_fmac_f64_e32 v[22:23], v[6:7], v[178:179]
	v_fma_f64 v[154:155], v[4:5], v[178:179], -v[158:159]
	ds_load_b128 v[4:7], v2 offset:2000
	v_fma_f64 v[12:13], v[12:13], v[190:191], -v[26:27]
	v_add_f64_e32 v[8:9], v[10:11], v[8:9]
	v_add_f64_e32 v[10:11], v[16:17], v[24:25]
	v_fmac_f64_e32 v[18:19], v[14:15], v[190:191]
	s_wait_loadcnt_dscnt 0x0
	v_mul_f64_e32 v[16:17], v[4:5], v[176:177]
	v_mul_f64_e32 v[24:25], v[6:7], v[176:177]
	v_add_f64_e32 v[8:9], v[8:9], v[154:155]
	v_add_f64_e32 v[10:11], v[10:11], v[22:23]
	s_delay_alu instid0(VALU_DEP_4) | instskip(NEXT) | instid1(VALU_DEP_4)
	v_fmac_f64_e32 v[16:17], v[6:7], v[174:175]
	v_fma_f64 v[4:5], v[4:5], v[174:175], -v[24:25]
	s_delay_alu instid0(VALU_DEP_4) | instskip(NEXT) | instid1(VALU_DEP_4)
	v_add_f64_e32 v[6:7], v[8:9], v[12:13]
	v_add_f64_e32 v[8:9], v[10:11], v[18:19]
	s_delay_alu instid0(VALU_DEP_2) | instskip(NEXT) | instid1(VALU_DEP_2)
	v_add_f64_e32 v[4:5], v[6:7], v[4:5]
	v_add_f64_e32 v[6:7], v[8:9], v[16:17]
	s_delay_alu instid0(VALU_DEP_2) | instskip(NEXT) | instid1(VALU_DEP_2)
	v_add_f64_e64 v[4:5], v[182:183], -v[4:5]
	v_add_f64_e64 v[6:7], v[184:185], -v[6:7]
	scratch_store_b128 off, v[4:7], off offset:16
	s_wait_xcnt 0x0
	v_cmpx_ne_u32_e32 0, v1
	s_cbranch_execz .LBB62_403
; %bb.402:
	scratch_load_b128 v[6:9], off, off
	v_dual_mov_b32 v3, v2 :: v_dual_mov_b32 v4, v2
	v_mov_b32_e32 v5, v2
	scratch_store_b128 off, v[2:5], off
	s_wait_loadcnt 0x0
	ds_store_b128 v20, v[6:9]
.LBB62_403:
	s_wait_xcnt 0x0
	s_or_b32 exec_lo, exec_lo, s2
	s_wait_storecnt_dscnt 0x0
	s_barrier_signal -1
	s_barrier_wait -1
	s_clause 0x9
	scratch_load_b128 v[4:7], off, off offset:16
	scratch_load_b128 v[8:11], off, off offset:32
	;; [unrolled: 1-line block ×10, first 2 shown]
	ds_load_b128 v[170:173], v2 offset:1024
	ds_load_b128 v[178:181], v2 offset:1040
	s_clause 0x2
	scratch_load_b128 v[174:177], off, off offset:176
	scratch_load_b128 v[190:193], off, off
	scratch_load_b128 v[182:185], off, off offset:192
	s_and_b32 vcc_lo, exec_lo, s77
	s_wait_loadcnt_dscnt 0xc01
	v_mul_f64_e32 v[186:187], v[172:173], v[6:7]
	v_mul_f64_e32 v[194:195], v[170:171], v[6:7]
	s_wait_loadcnt_dscnt 0xb00
	v_mul_f64_e32 v[196:197], v[178:179], v[10:11]
	v_mul_f64_e32 v[10:11], v[180:181], v[10:11]
	s_delay_alu instid0(VALU_DEP_4) | instskip(NEXT) | instid1(VALU_DEP_4)
	v_fma_f64 v[198:199], v[170:171], v[4:5], -v[186:187]
	v_fmac_f64_e32 v[194:195], v[172:173], v[4:5]
	ds_load_b128 v[4:7], v2 offset:1056
	ds_load_b128 v[170:173], v2 offset:1072
	scratch_load_b128 v[186:189], off, off offset:208
	v_fmac_f64_e32 v[196:197], v[180:181], v[8:9]
	v_fma_f64 v[178:179], v[178:179], v[8:9], -v[10:11]
	scratch_load_b128 v[8:11], off, off offset:224
	s_wait_loadcnt_dscnt 0xc01
	v_mul_f64_e32 v[200:201], v[4:5], v[14:15]
	v_mul_f64_e32 v[14:15], v[6:7], v[14:15]
	v_add_f64_e32 v[180:181], 0, v[198:199]
	v_add_f64_e32 v[194:195], 0, v[194:195]
	s_wait_loadcnt_dscnt 0xb00
	v_mul_f64_e32 v[198:199], v[170:171], v[18:19]
	v_mul_f64_e32 v[18:19], v[172:173], v[18:19]
	v_fmac_f64_e32 v[200:201], v[6:7], v[12:13]
	v_fma_f64 v[202:203], v[4:5], v[12:13], -v[14:15]
	ds_load_b128 v[4:7], v2 offset:1088
	ds_load_b128 v[12:15], v2 offset:1104
	v_add_f64_e32 v[204:205], v[180:181], v[178:179]
	v_add_f64_e32 v[194:195], v[194:195], v[196:197]
	scratch_load_b128 v[178:181], off, off offset:240
	v_fmac_f64_e32 v[198:199], v[172:173], v[16:17]
	v_fma_f64 v[170:171], v[170:171], v[16:17], -v[18:19]
	scratch_load_b128 v[16:19], off, off offset:256
	s_wait_loadcnt_dscnt 0xc01
	v_mul_f64_e32 v[196:197], v[4:5], v[22:23]
	v_mul_f64_e32 v[22:23], v[6:7], v[22:23]
	v_add_f64_e32 v[172:173], v[204:205], v[202:203]
	v_add_f64_e32 v[194:195], v[194:195], v[200:201]
	s_wait_loadcnt_dscnt 0xb00
	v_mul_f64_e32 v[200:201], v[12:13], v[26:27]
	v_mul_f64_e32 v[26:27], v[14:15], v[26:27]
	v_fmac_f64_e32 v[196:197], v[6:7], v[20:21]
	v_fma_f64 v[202:203], v[4:5], v[20:21], -v[22:23]
	ds_load_b128 v[4:7], v2 offset:1120
	ds_load_b128 v[20:23], v2 offset:1136
	v_add_f64_e32 v[204:205], v[172:173], v[170:171]
	v_add_f64_e32 v[194:195], v[194:195], v[198:199]
	scratch_load_b128 v[170:173], off, off offset:272
	s_wait_loadcnt_dscnt 0xb01
	v_mul_f64_e32 v[198:199], v[4:5], v[156:157]
	v_mul_f64_e32 v[156:157], v[6:7], v[156:157]
	v_fmac_f64_e32 v[200:201], v[14:15], v[24:25]
	v_fma_f64 v[24:25], v[12:13], v[24:25], -v[26:27]
	scratch_load_b128 v[12:15], off, off offset:288
	v_add_f64_e32 v[26:27], v[204:205], v[202:203]
	v_add_f64_e32 v[194:195], v[194:195], v[196:197]
	s_wait_loadcnt_dscnt 0xb00
	v_mul_f64_e32 v[196:197], v[20:21], v[160:161]
	v_mul_f64_e32 v[160:161], v[22:23], v[160:161]
	v_fmac_f64_e32 v[198:199], v[6:7], v[154:155]
	v_fma_f64 v[202:203], v[4:5], v[154:155], -v[156:157]
	v_add_f64_e32 v[204:205], v[26:27], v[24:25]
	v_add_f64_e32 v[194:195], v[194:195], v[200:201]
	ds_load_b128 v[4:7], v2 offset:1152
	ds_load_b128 v[24:27], v2 offset:1168
	scratch_load_b128 v[154:157], off, off offset:304
	v_fmac_f64_e32 v[196:197], v[22:23], v[158:159]
	v_fma_f64 v[158:159], v[20:21], v[158:159], -v[160:161]
	scratch_load_b128 v[20:23], off, off offset:320
	s_wait_loadcnt_dscnt 0xc01
	v_mul_f64_e32 v[200:201], v[4:5], v[164:165]
	v_mul_f64_e32 v[164:165], v[6:7], v[164:165]
	v_add_f64_e32 v[160:161], v[204:205], v[202:203]
	v_add_f64_e32 v[194:195], v[194:195], v[198:199]
	s_wait_loadcnt_dscnt 0xb00
	v_mul_f64_e32 v[198:199], v[24:25], v[168:169]
	v_mul_f64_e32 v[168:169], v[26:27], v[168:169]
	v_fmac_f64_e32 v[200:201], v[6:7], v[162:163]
	v_fma_f64 v[202:203], v[4:5], v[162:163], -v[164:165]
	v_add_f64_e32 v[204:205], v[160:161], v[158:159]
	v_add_f64_e32 v[194:195], v[194:195], v[196:197]
	ds_load_b128 v[4:7], v2 offset:1184
	ds_load_b128 v[158:161], v2 offset:1200
	scratch_load_b128 v[162:165], off, off offset:336
	v_fmac_f64_e32 v[198:199], v[26:27], v[166:167]
	v_fma_f64 v[166:167], v[24:25], v[166:167], -v[168:169]
	scratch_load_b128 v[24:27], off, off offset:352
	s_wait_loadcnt_dscnt 0xc01
	v_mul_f64_e32 v[196:197], v[4:5], v[176:177]
	v_mul_f64_e32 v[176:177], v[6:7], v[176:177]
	;; [unrolled: 18-line block ×5, first 2 shown]
	v_add_f64_e32 v[184:185], v[204:205], v[202:203]
	v_add_f64_e32 v[194:195], v[194:195], v[200:201]
	s_wait_loadcnt_dscnt 0xa00
	v_mul_f64_e32 v[200:201], v[166:167], v[14:15]
	v_mul_f64_e32 v[14:15], v[168:169], v[14:15]
	v_fmac_f64_e32 v[196:197], v[6:7], v[170:171]
	v_fma_f64 v[202:203], v[4:5], v[170:171], -v[172:173]
	ds_load_b128 v[4:7], v2 offset:1312
	ds_load_b128 v[170:173], v2 offset:1328
	v_add_f64_e32 v[204:205], v[184:185], v[182:183]
	v_add_f64_e32 v[194:195], v[194:195], v[198:199]
	scratch_load_b128 v[182:185], off, off offset:464
	v_fmac_f64_e32 v[200:201], v[168:169], v[12:13]
	v_fma_f64 v[166:167], v[166:167], v[12:13], -v[14:15]
	scratch_load_b128 v[12:15], off, off offset:480
	s_wait_loadcnt_dscnt 0xb01
	v_mul_f64_e32 v[198:199], v[4:5], v[156:157]
	v_mul_f64_e32 v[156:157], v[6:7], v[156:157]
	v_add_f64_e32 v[168:169], v[204:205], v[202:203]
	v_add_f64_e32 v[194:195], v[194:195], v[196:197]
	s_wait_loadcnt_dscnt 0xa00
	v_mul_f64_e32 v[196:197], v[170:171], v[22:23]
	v_mul_f64_e32 v[22:23], v[172:173], v[22:23]
	v_fmac_f64_e32 v[198:199], v[6:7], v[154:155]
	v_fma_f64 v[202:203], v[4:5], v[154:155], -v[156:157]
	ds_load_b128 v[4:7], v2 offset:1344
	ds_load_b128 v[154:157], v2 offset:1360
	v_add_f64_e32 v[204:205], v[168:169], v[166:167]
	v_add_f64_e32 v[194:195], v[194:195], v[200:201]
	scratch_load_b128 v[166:169], off, off offset:496
	s_wait_loadcnt_dscnt 0xa01
	v_mul_f64_e32 v[200:201], v[4:5], v[164:165]
	v_mul_f64_e32 v[164:165], v[6:7], v[164:165]
	v_fmac_f64_e32 v[196:197], v[172:173], v[20:21]
	v_fma_f64 v[170:171], v[170:171], v[20:21], -v[22:23]
	scratch_load_b128 v[20:23], off, off offset:512
	v_add_f64_e32 v[172:173], v[204:205], v[202:203]
	v_add_f64_e32 v[194:195], v[194:195], v[198:199]
	s_wait_loadcnt_dscnt 0xa00
	v_mul_f64_e32 v[198:199], v[154:155], v[26:27]
	v_mul_f64_e32 v[26:27], v[156:157], v[26:27]
	v_fmac_f64_e32 v[200:201], v[6:7], v[162:163]
	v_fma_f64 v[202:203], v[4:5], v[162:163], -v[164:165]
	ds_load_b128 v[4:7], v2 offset:1376
	ds_load_b128 v[162:165], v2 offset:1392
	v_add_f64_e32 v[204:205], v[172:173], v[170:171]
	v_add_f64_e32 v[194:195], v[194:195], v[196:197]
	scratch_load_b128 v[170:173], off, off offset:528
	s_wait_loadcnt_dscnt 0xa01
	v_mul_f64_e32 v[196:197], v[4:5], v[176:177]
	v_mul_f64_e32 v[176:177], v[6:7], v[176:177]
	v_fmac_f64_e32 v[198:199], v[156:157], v[24:25]
	v_fma_f64 v[154:155], v[154:155], v[24:25], -v[26:27]
	scratch_load_b128 v[24:27], off, off offset:544
	v_add_f64_e32 v[156:157], v[204:205], v[202:203]
	v_add_f64_e32 v[194:195], v[194:195], v[200:201]
	s_wait_loadcnt_dscnt 0xa00
	v_mul_f64_e32 v[200:201], v[162:163], v[160:161]
	v_mul_f64_e32 v[160:161], v[164:165], v[160:161]
	v_fmac_f64_e32 v[196:197], v[6:7], v[174:175]
	v_fma_f64 v[202:203], v[4:5], v[174:175], -v[176:177]
	v_add_f64_e32 v[204:205], v[156:157], v[154:155]
	v_add_f64_e32 v[194:195], v[194:195], v[198:199]
	ds_load_b128 v[4:7], v2 offset:1408
	ds_load_b128 v[154:157], v2 offset:1424
	scratch_load_b128 v[174:177], off, off offset:560
	v_fmac_f64_e32 v[200:201], v[164:165], v[158:159]
	v_fma_f64 v[162:163], v[162:163], v[158:159], -v[160:161]
	scratch_load_b128 v[158:161], off, off offset:576
	s_wait_loadcnt_dscnt 0xb01
	v_mul_f64_e32 v[198:199], v[4:5], v[188:189]
	v_mul_f64_e32 v[188:189], v[6:7], v[188:189]
	v_add_f64_e32 v[164:165], v[204:205], v[202:203]
	v_add_f64_e32 v[194:195], v[194:195], v[196:197]
	s_wait_loadcnt_dscnt 0xa00
	v_mul_f64_e32 v[196:197], v[154:155], v[10:11]
	v_mul_f64_e32 v[10:11], v[156:157], v[10:11]
	v_fmac_f64_e32 v[198:199], v[6:7], v[186:187]
	v_fma_f64 v[202:203], v[4:5], v[186:187], -v[188:189]
	v_add_f64_e32 v[204:205], v[164:165], v[162:163]
	v_add_f64_e32 v[194:195], v[194:195], v[200:201]
	ds_load_b128 v[4:7], v2 offset:1440
	ds_load_b128 v[162:165], v2 offset:1456
	scratch_load_b128 v[186:189], off, off offset:592
	v_fmac_f64_e32 v[196:197], v[156:157], v[8:9]
	v_fma_f64 v[154:155], v[154:155], v[8:9], -v[10:11]
	scratch_load_b128 v[8:11], off, off offset:608
	s_wait_loadcnt_dscnt 0xb01
	v_mul_f64_e32 v[200:201], v[4:5], v[180:181]
	v_mul_f64_e32 v[180:181], v[6:7], v[180:181]
	;; [unrolled: 18-line block ×14, first 2 shown]
	v_add_f64_e32 v[156:157], v[204:205], v[202:203]
	v_add_f64_e32 v[194:195], v[194:195], v[198:199]
	s_wait_loadcnt_dscnt 0xa00
	v_mul_f64_e32 v[198:199], v[162:163], v[18:19]
	v_mul_f64_e32 v[18:19], v[164:165], v[18:19]
	v_fmac_f64_e32 v[200:201], v[6:7], v[178:179]
	v_fma_f64 v[178:179], v[4:5], v[178:179], -v[180:181]
	v_add_f64_e32 v[180:181], v[156:157], v[154:155]
	v_add_f64_e32 v[194:195], v[194:195], v[196:197]
	ds_load_b128 v[4:7], v2 offset:1856
	ds_load_b128 v[154:157], v2 offset:1872
	v_fmac_f64_e32 v[198:199], v[164:165], v[16:17]
	v_fma_f64 v[16:17], v[162:163], v[16:17], -v[18:19]
	s_wait_loadcnt_dscnt 0x901
	v_mul_f64_e32 v[196:197], v[4:5], v[184:185]
	v_mul_f64_e32 v[184:185], v[6:7], v[184:185]
	s_wait_loadcnt_dscnt 0x800
	v_mul_f64_e32 v[164:165], v[154:155], v[14:15]
	v_add_f64_e32 v[18:19], v[180:181], v[178:179]
	v_add_f64_e32 v[162:163], v[194:195], v[200:201]
	v_mul_f64_e32 v[178:179], v[156:157], v[14:15]
	v_fmac_f64_e32 v[196:197], v[6:7], v[182:183]
	v_fma_f64 v[180:181], v[4:5], v[182:183], -v[184:185]
	v_fmac_f64_e32 v[164:165], v[156:157], v[12:13]
	v_lshl_add_u64 v[184:185], v[36:37], 4, s[8:9]
	v_lshl_add_u64 v[36:37], v[98:99], 4, s[8:9]
	v_add_f64_e32 v[18:19], v[18:19], v[16:17]
	v_add_f64_e32 v[162:163], v[162:163], v[198:199]
	ds_load_b128 v[4:7], v2 offset:1888
	ds_load_b128 v[14:17], v2 offset:1904
	v_fma_f64 v[12:13], v[154:155], v[12:13], -v[178:179]
	v_lshl_add_u64 v[178:179], v[42:43], 4, s[8:9]
	v_lshl_add_u64 v[42:43], v[104:105], 4, s[8:9]
	s_wait_loadcnt_dscnt 0x701
	v_mul_f64_e32 v[182:183], v[4:5], v[168:169]
	v_mul_f64_e32 v[168:169], v[6:7], v[168:169]
	v_add_f64_e32 v[18:19], v[18:19], v[180:181]
	v_add_f64_e32 v[154:155], v[162:163], v[196:197]
	s_wait_loadcnt_dscnt 0x600
	v_mul_f64_e32 v[162:163], v[14:15], v[22:23]
	v_mul_f64_e32 v[22:23], v[16:17], v[22:23]
	v_lshl_add_u64 v[180:181], v[38:39], 4, s[8:9]
	v_lshl_add_u64 v[38:39], v[100:101], 4, s[8:9]
	v_fmac_f64_e32 v[182:183], v[6:7], v[166:167]
	v_fma_f64 v[166:167], v[4:5], v[166:167], -v[168:169]
	v_add_f64_e32 v[12:13], v[18:19], v[12:13]
	v_add_f64_e32 v[18:19], v[154:155], v[164:165]
	ds_load_b128 v[4:7], v2 offset:1920
	ds_load_b128 v[154:157], v2 offset:1936
	v_fmac_f64_e32 v[162:163], v[16:17], v[20:21]
	v_fma_f64 v[14:15], v[14:15], v[20:21], -v[22:23]
	s_wait_loadcnt_dscnt 0x501
	v_mul_f64_e32 v[164:165], v[4:5], v[172:173]
	v_mul_f64_e32 v[168:169], v[6:7], v[172:173]
	s_wait_loadcnt_dscnt 0x400
	v_mul_f64_e32 v[20:21], v[156:157], v[26:27]
	v_lshl_add_u64 v[172:173], v[46:47], 4, s[8:9]
	v_lshl_add_u64 v[46:47], v[108:109], 4, s[8:9]
	v_add_f64_e32 v[12:13], v[12:13], v[166:167]
	v_add_f64_e32 v[16:17], v[18:19], v[182:183]
	v_mul_f64_e32 v[18:19], v[154:155], v[26:27]
	v_lshl_add_u64 v[182:183], v[40:41], 4, s[8:9]
	v_lshl_add_u64 v[40:41], v[102:103], 4, s[8:9]
	v_fmac_f64_e32 v[164:165], v[6:7], v[170:171]
	v_fma_f64 v[22:23], v[4:5], v[170:171], -v[168:169]
	v_fma_f64 v[20:21], v[154:155], v[24:25], -v[20:21]
	v_lshl_add_u64 v[170:171], v[50:51], 4, s[8:9]
	v_lshl_add_u64 v[168:169], v[52:53], 4, s[8:9]
	;; [unrolled: 1-line block ×4, first 2 shown]
	v_add_f64_e32 v[26:27], v[12:13], v[14:15]
	v_add_f64_e32 v[16:17], v[16:17], v[162:163]
	ds_load_b128 v[4:7], v2 offset:1952
	ds_load_b128 v[12:15], v2 offset:1968
	v_fmac_f64_e32 v[18:19], v[156:157], v[24:25]
	s_wait_loadcnt_dscnt 0x301
	v_mul_f64_e32 v[162:163], v[4:5], v[176:177]
	v_mul_f64_e32 v[166:167], v[6:7], v[176:177]
	s_wait_loadcnt_dscnt 0x200
	v_mul_f64_e32 v[24:25], v[12:13], v[160:161]
	v_lshl_add_u64 v[176:177], v[44:45], 4, s[8:9]
	v_lshl_add_u64 v[44:45], v[106:107], 4, s[8:9]
	v_add_f64_e32 v[22:23], v[26:27], v[22:23]
	v_add_f64_e32 v[16:17], v[16:17], v[164:165]
	v_mul_f64_e32 v[26:27], v[14:15], v[160:161]
	v_lshl_add_u64 v[164:165], v[54:55], 4, s[8:9]
	v_lshl_add_u64 v[160:161], v[60:61], 4, s[8:9]
	;; [unrolled: 1-line block ×4, first 2 shown]
	v_fmac_f64_e32 v[162:163], v[6:7], v[174:175]
	v_fma_f64 v[154:155], v[4:5], v[174:175], -v[166:167]
	v_fmac_f64_e32 v[24:25], v[14:15], v[158:159]
	v_lshl_add_u64 v[174:175], v[48:49], 4, s[8:9]
	v_lshl_add_u64 v[166:167], v[56:57], 4, s[8:9]
	;; [unrolled: 1-line block ×4, first 2 shown]
	v_add_f64_e32 v[20:21], v[22:23], v[20:21]
	v_add_f64_e32 v[22:23], v[16:17], v[18:19]
	ds_load_b128 v[4:7], v2 offset:1984
	ds_load_b128 v[16:19], v2 offset:2000
	v_fma_f64 v[12:13], v[12:13], v[158:159], -v[26:27]
	v_lshl_add_u64 v[158:159], v[64:65], 4, s[8:9]
	v_lshl_add_u64 v[26:27], v[68:69], 4, s[8:9]
	;; [unrolled: 1-line block ×4, first 2 shown]
	s_wait_loadcnt_dscnt 0x101
	v_mul_f64_e32 v[2:3], v[4:5], v[188:189]
	v_mul_f64_e32 v[156:157], v[6:7], v[188:189]
	v_lshl_add_u64 v[188:189], v[32:33], 4, s[8:9]
	v_add_f64_e32 v[14:15], v[20:21], v[154:155]
	v_add_f64_e32 v[20:21], v[22:23], v[162:163]
	s_wait_loadcnt_dscnt 0x0
	v_mul_f64_e32 v[22:23], v[16:17], v[10:11]
	v_mul_f64_e32 v[10:11], v[18:19], v[10:11]
	v_lshl_add_u64 v[162:163], v[58:59], 4, s[8:9]
	v_lshl_add_u64 v[154:155], v[66:67], 4, s[8:9]
	v_lshl_add_u64 v[58:59], v[120:121], 4, s[8:9]
	v_lshl_add_u64 v[66:67], v[128:129], 4, s[8:9]
	v_fmac_f64_e32 v[2:3], v[6:7], v[186:187]
	v_fma_f64 v[4:5], v[4:5], v[186:187], -v[156:157]
	v_lshl_add_u64 v[186:187], v[34:35], 4, s[8:9]
	v_lshl_add_u64 v[156:157], v[62:63], 4, s[8:9]
	;; [unrolled: 1-line block ×4, first 2 shown]
	v_add_f64_e32 v[6:7], v[14:15], v[12:13]
	v_add_f64_e32 v[12:13], v[20:21], v[24:25]
	v_fmac_f64_e32 v[22:23], v[18:19], v[8:9]
	v_fma_f64 v[8:9], v[16:17], v[8:9], -v[10:11]
	v_lshl_add_u64 v[10:11], v[78:79], 4, s[8:9]
	v_lshl_add_u64 v[14:15], v[82:83], 4, s[8:9]
	;; [unrolled: 1-line block ×11, first 2 shown]
	v_add_f64_e32 v[4:5], v[6:7], v[4:5]
	v_add_f64_e32 v[2:3], v[12:13], v[2:3]
	v_lshl_add_u64 v[6:7], v[74:75], 4, s[8:9]
	v_lshl_add_u64 v[12:13], v[80:81], 4, s[8:9]
	;; [unrolled: 1-line block ×4, first 2 shown]
	v_add_f64_e32 v[32:33], v[4:5], v[8:9]
	v_add_f64_e32 v[194:195], v[2:3], v[22:23]
	v_lshl_add_u64 v[2:3], v[70:71], 4, s[8:9]
	v_lshl_add_u64 v[4:5], v[72:73], 4, s[8:9]
	;; [unrolled: 1-line block ×8, first 2 shown]
	v_add_f64_e64 v[190:191], v[190:191], -v[32:33]
	v_add_f64_e64 v[192:193], v[192:193], -v[194:195]
	v_lshl_add_u64 v[32:33], v[94:95], 4, s[8:9]
	scratch_store_b128 off, v[190:193], off
	s_cbranch_vccz .LBB62_528
; %bb.404:
	v_mov_b32_e32 v92, 0
	s_load_b64 s[2:3], s[0:1], 0x4
	v_bfe_u32 v94, v0, 10, 10
	v_bfe_u32 v0, v0, 20, 10
	global_load_b32 v93, v92, s[16:17] offset:244
	s_wait_kmcnt 0x0
	s_lshr_b32 s0, s2, 16
	v_mul_u32_u24_e32 v94, s3, v94
	s_mul_i32 s0, s0, s3
	s_delay_alu instid0(SALU_CYCLE_1) | instskip(NEXT) | instid1(VALU_DEP_1)
	v_mul_u32_u24_e32 v1, s0, v1
	v_add3_u32 v0, v1, v94, v0
	s_delay_alu instid0(VALU_DEP_1)
	v_lshl_add_u32 v0, v0, 4, 0x7e8
	s_wait_loadcnt 0x0
	v_cmp_ne_u32_e32 vcc_lo, 62, v93
	s_cbranch_vccz .LBB62_406
; %bb.405:
	v_lshlrev_b32_e32 v1, 4, v93
	s_clause 0x1
	scratch_load_b128 v[94:97], off, s24
	scratch_load_b128 v[98:101], v1, off offset:-16
	s_wait_loadcnt 0x1
	ds_store_2addr_b64 v0, v[94:95], v[96:97] offset1:1
	s_wait_loadcnt 0x0
	s_clause 0x1
	scratch_store_b128 off, v[98:101], s24
	scratch_store_b128 v1, v[94:97], off offset:-16
.LBB62_406:
	global_load_b32 v1, v92, s[16:17] offset:240
	s_wait_loadcnt 0x0
	v_cmp_eq_u32_e32 vcc_lo, 61, v1
	s_cbranch_vccnz .LBB62_408
; %bb.407:
	v_lshlrev_b32_e32 v1, 4, v1
	s_clause 0x1
	scratch_load_b128 v[92:95], off, s29
	scratch_load_b128 v[96:99], v1, off offset:-16
	s_wait_loadcnt 0x1
	ds_store_2addr_b64 v0, v[92:93], v[94:95] offset1:1
	s_wait_loadcnt 0x0
	s_clause 0x1
	scratch_store_b128 off, v[96:99], s29
	scratch_store_b128 v1, v[92:95], off offset:-16
.LBB62_408:
	s_wait_xcnt 0x0
	v_mov_b32_e32 v1, 0
	global_load_b32 v92, v1, s[16:17] offset:236
	s_wait_loadcnt 0x0
	v_cmp_eq_u32_e32 vcc_lo, 60, v92
	s_cbranch_vccnz .LBB62_410
; %bb.409:
	v_lshlrev_b32_e32 v92, 4, v92
	s_delay_alu instid0(VALU_DEP_1)
	v_mov_b32_e32 v100, v92
	s_clause 0x1
	scratch_load_b128 v[92:95], off, s10
	scratch_load_b128 v[96:99], v100, off offset:-16
	s_wait_loadcnt 0x1
	ds_store_2addr_b64 v0, v[92:93], v[94:95] offset1:1
	s_wait_loadcnt 0x0
	s_clause 0x1
	scratch_store_b128 off, v[96:99], s10
	scratch_store_b128 v100, v[92:95], off offset:-16
.LBB62_410:
	global_load_b32 v1, v1, s[16:17] offset:232
	s_wait_loadcnt 0x0
	v_cmp_eq_u32_e32 vcc_lo, 59, v1
	s_cbranch_vccnz .LBB62_412
; %bb.411:
	s_wait_xcnt 0x0
	v_lshlrev_b32_e32 v1, 4, v1
	s_clause 0x1
	scratch_load_b128 v[92:95], off, s12
	scratch_load_b128 v[96:99], v1, off offset:-16
	s_wait_loadcnt 0x1
	ds_store_2addr_b64 v0, v[92:93], v[94:95] offset1:1
	s_wait_loadcnt 0x0
	s_clause 0x1
	scratch_store_b128 off, v[96:99], s12
	scratch_store_b128 v1, v[92:95], off offset:-16
.LBB62_412:
	s_wait_xcnt 0x0
	v_mov_b32_e32 v1, 0
	global_load_b32 v92, v1, s[16:17] offset:228
	s_wait_loadcnt 0x0
	v_cmp_eq_u32_e32 vcc_lo, 58, v92
	s_cbranch_vccnz .LBB62_414
; %bb.413:
	v_lshlrev_b32_e32 v92, 4, v92
	s_delay_alu instid0(VALU_DEP_1)
	v_mov_b32_e32 v100, v92
	s_clause 0x1
	scratch_load_b128 v[92:95], off, s11
	scratch_load_b128 v[96:99], v100, off offset:-16
	s_wait_loadcnt 0x1
	ds_store_2addr_b64 v0, v[92:93], v[94:95] offset1:1
	s_wait_loadcnt 0x0
	s_clause 0x1
	scratch_store_b128 off, v[96:99], s11
	scratch_store_b128 v100, v[92:95], off offset:-16
.LBB62_414:
	global_load_b32 v1, v1, s[16:17] offset:224
	s_wait_loadcnt 0x0
	v_cmp_eq_u32_e32 vcc_lo, 57, v1
	s_cbranch_vccnz .LBB62_416
; %bb.415:
	s_wait_xcnt 0x0
	v_lshlrev_b32_e32 v1, 4, v1
	s_clause 0x1
	scratch_load_b128 v[92:95], off, s14
	scratch_load_b128 v[96:99], v1, off offset:-16
	s_wait_loadcnt 0x1
	ds_store_2addr_b64 v0, v[92:93], v[94:95] offset1:1
	s_wait_loadcnt 0x0
	s_clause 0x1
	scratch_store_b128 off, v[96:99], s14
	scratch_store_b128 v1, v[92:95], off offset:-16
.LBB62_416:
	;; [unrolled: 37-line block ×29, first 2 shown]
	s_wait_xcnt 0x0
	v_mov_b32_e32 v1, 0
	global_load_b32 v92, v1, s[16:17] offset:4
	s_wait_loadcnt 0x0
	v_cmp_eq_u32_e32 vcc_lo, 2, v92
	s_cbranch_vccnz .LBB62_526
; %bb.525:
	v_lshlrev_b32_e32 v92, 4, v92
	s_delay_alu instid0(VALU_DEP_1)
	v_mov_b32_e32 v100, v92
	s_clause 0x1
	scratch_load_b128 v[92:95], off, s54
	scratch_load_b128 v[96:99], v100, off offset:-16
	s_wait_loadcnt 0x1
	ds_store_2addr_b64 v0, v[92:93], v[94:95] offset1:1
	s_wait_loadcnt 0x0
	s_clause 0x1
	scratch_store_b128 off, v[96:99], s54
	scratch_store_b128 v100, v[92:95], off offset:-16
.LBB62_526:
	global_load_b32 v1, v1, s[16:17]
	s_wait_loadcnt 0x0
	v_cmp_eq_u32_e32 vcc_lo, 1, v1
	s_cbranch_vccnz .LBB62_528
; %bb.527:
	s_wait_xcnt 0x0
	v_lshlrev_b32_e32 v1, 4, v1
	scratch_load_b128 v[92:95], off, off
	scratch_load_b128 v[96:99], v1, off offset:-16
	s_wait_loadcnt 0x1
	ds_store_2addr_b64 v0, v[92:93], v[94:95] offset1:1
	s_wait_loadcnt 0x0
	scratch_store_b128 off, v[96:99], off
	scratch_store_b128 v1, v[92:95], off offset:-16
.LBB62_528:
	scratch_load_b128 v[92:95], off, off
	s_clause 0x1d
	scratch_load_b128 v[96:99], off, s54
	scratch_load_b128 v[100:103], off, s53
	;; [unrolled: 1-line block ×26, first 2 shown]
	; meta instruction
	; meta instruction
	;; [unrolled: 1-line block ×15, first 2 shown]
	scratch_load_b128 v[238:241], off, s47
	scratch_load_b128 v[242:245], off, s48
	;; [unrolled: 1-line block ×4, first 2 shown]
	s_wait_loadcnt 0x1e
	global_store_b128 v[28:29], v[92:95], off
	s_clause 0x1
	scratch_load_b128 v[92:95], off, s45
	scratch_load_b128 v[254:257], off, s46
	s_wait_loadcnt 0x1f
	global_store_b128 v[30:31], v[96:99], off
	s_wait_loadcnt 0x1e
	global_store_b128 v[188:189], v[100:103], off
	s_clause 0x1
	scratch_load_b128 v[28:31], off, s43
	scratch_load_b128 v[96:99], off, s44
	s_wait_loadcnt 0x1f
	global_store_b128 v[186:187], v[104:107], off
	s_clause 0x1
	scratch_load_b128 v[100:103], off, s41
	scratch_load_b128 v[104:107], off, s42
	;; [unrolled: 5-line block ×3, first 2 shown]
	s_wait_loadcnt 0x21
	global_store_b128 v[180:181], v[112:115], off
	s_wait_loadcnt 0x20
	global_store_b128 v[182:183], v[116:119], off
	s_clause 0x1
	scratch_load_b128 v[112:115], off, s37
	scratch_load_b128 v[116:119], off, s38
	s_wait_loadcnt 0x21
	global_store_b128 v[178:179], v[120:123], off
	s_clause 0x1
	scratch_load_b128 v[120:123], off, s35
	scratch_load_b128 v[178:181], off, s36
	s_wait_loadcnt 0x22
	global_store_b128 v[176:177], v[124:127], off
	s_clause 0x2
	scratch_load_b128 v[124:127], off, s33
	s_set_vgpr_msb 64                       ;  msbs: dst=1 src0=0 src1=0 src2=0
	scratch_load_b128 v[2:5] /*v[258:261]*/, off, s34
	s_wait_loadcnt 0x23
	global_store_b128 v[172:173], v[128:131], off
	s_wait_loadcnt 0x22
	global_store_b128 v[174:175], v[132:135], off
	s_set_vgpr_msb 0                        ;  msbs: dst=0 src0=0 src1=0 src2=0
	s_clause 0x1
	scratch_load_b128 v[128:131], off, s30
	scratch_load_b128 v[132:135], off, s31
	s_wait_loadcnt 0x23
	global_store_b128 v[170:171], v[136:139], off
	s_clause 0x1
	scratch_load_b128 v[136:139], off, s27
	scratch_load_b128 v[170:173], off, s28
	s_wait_loadcnt 0x24
	global_store_b128 v[168:169], v[140:143], off
	s_clause 0x1
	scratch_load_b128 v[140:143], off, s23
	scratch_load_b128 v[174:177], off, s25
	s_wait_loadcnt 0x25
	global_store_b128 v[164:165], v[144:147], off
	s_wait_loadcnt 0x24
	global_store_b128 v[166:167], v[148:151], off
	s_clause 0x1
	scratch_load_b128 v[144:147], off, s21
	scratch_load_b128 v[148:151], off, s22
	s_wait_loadcnt 0x25
	global_store_b128 v[162:163], v[190:193], off
	s_clause 0x1
	scratch_load_b128 v[162:165], off, s15
	scratch_load_b128 v[166:169], off, s20
	s_wait_loadcnt 0x26
	global_store_b128 v[160:161], v[194:197], off
	s_clause 0x1
	scratch_load_b128 v[188:191], off, s13
	scratch_load_b128 v[192:195], off, s14
	s_wait_loadcnt 0x27
	global_store_b128 v[156:157], v[198:201], off
	s_wait_loadcnt 0x26
	global_store_b128 v[158:159], v[202:205], off
	s_clause 0x1
	scratch_load_b128 v[156:159], off, s11
	scratch_load_b128 v[196:199], off, s12
	s_wait_loadcnt 0x27
	global_store_b128 v[154:155], v[206:209], off
	s_clause 0x1
	scratch_load_b128 v[152:155], off, s10
	scratch_load_b128 v[200:203], off, s29
	s_wait_loadcnt 0x28
	global_store_b128 v[26:27], v[210:213], off
	s_clause 0x1
	scratch_load_b128 v[204:207], off, s24
	scratch_load_b128 v[208:211], off, s26
	s_wait_loadcnt 0x29
	global_store_b128 v[2:3], v[214:217], off
	s_wait_loadcnt 0x28
	global_store_b128 v[4:5], v[218:221], off
	s_wait_loadcnt 0x27
	global_store_b128 v[6:7], v[222:225], off
	s_wait_loadcnt 0x26
	global_store_b128 v[8:9], v[226:229], off
	;; [unrolled: 2-line block ×21, first 2 shown]
	s_wait_loadcnt 0x12
	s_set_vgpr_msb 4                        ;  msbs: dst=0 src0=0 src1=1 src2=0
	global_store_b128 v[54:55], v[2:5] /*v[258:261]*/, off
	s_wait_loadcnt 0x11
	s_set_vgpr_msb 0                        ;  msbs: dst=0 src0=0 src1=0 src2=0
	global_store_b128 v[56:57], v[128:131], off
	s_wait_loadcnt 0x10
	global_store_b128 v[58:59], v[132:135], off
	s_wait_loadcnt 0xf
	;; [unrolled: 2-line block ×17, first 2 shown]
	global_store_b128 v[90:91], v[208:211], off
	s_sendmsg sendmsg(MSG_DEALLOC_VGPRS)
	s_endpgm
	.section	.rodata,"a",@progbits
	.p2align	6, 0x0
	.amdhsa_kernel _ZN9rocsolver6v33100L18getri_kernel_smallILi63E19rocblas_complex_numIdEPS3_EEvT1_iilPiilS6_bb
		.amdhsa_group_segment_fixed_size 3048
		.amdhsa_private_segment_fixed_size 1024
		.amdhsa_kernarg_size 60
		.amdhsa_user_sgpr_count 4
		.amdhsa_user_sgpr_dispatch_ptr 1
		.amdhsa_user_sgpr_queue_ptr 0
		.amdhsa_user_sgpr_kernarg_segment_ptr 1
		.amdhsa_user_sgpr_dispatch_id 0
		.amdhsa_user_sgpr_kernarg_preload_length 0
		.amdhsa_user_sgpr_kernarg_preload_offset 0
		.amdhsa_user_sgpr_private_segment_size 0
		.amdhsa_wavefront_size32 1
		.amdhsa_uses_dynamic_stack 0
		.amdhsa_enable_private_segment 1
		.amdhsa_system_sgpr_workgroup_id_x 1
		.amdhsa_system_sgpr_workgroup_id_y 0
		.amdhsa_system_sgpr_workgroup_id_z 0
		.amdhsa_system_sgpr_workgroup_info 0
		.amdhsa_system_vgpr_workitem_id 2
		.amdhsa_next_free_vgpr 266
		.amdhsa_next_free_sgpr 105
		.amdhsa_named_barrier_count 0
		.amdhsa_reserve_vcc 1
		.amdhsa_float_round_mode_32 0
		.amdhsa_float_round_mode_16_64 0
		.amdhsa_float_denorm_mode_32 3
		.amdhsa_float_denorm_mode_16_64 3
		.amdhsa_fp16_overflow 0
		.amdhsa_memory_ordered 1
		.amdhsa_forward_progress 1
		.amdhsa_inst_pref_size 255
		.amdhsa_round_robin_scheduling 0
		.amdhsa_exception_fp_ieee_invalid_op 0
		.amdhsa_exception_fp_denorm_src 0
		.amdhsa_exception_fp_ieee_div_zero 0
		.amdhsa_exception_fp_ieee_overflow 0
		.amdhsa_exception_fp_ieee_underflow 0
		.amdhsa_exception_fp_ieee_inexact 0
		.amdhsa_exception_int_div_zero 0
	.end_amdhsa_kernel
	.section	.text._ZN9rocsolver6v33100L18getri_kernel_smallILi63E19rocblas_complex_numIdEPS3_EEvT1_iilPiilS6_bb,"axG",@progbits,_ZN9rocsolver6v33100L18getri_kernel_smallILi63E19rocblas_complex_numIdEPS3_EEvT1_iilPiilS6_bb,comdat
.Lfunc_end62:
	.size	_ZN9rocsolver6v33100L18getri_kernel_smallILi63E19rocblas_complex_numIdEPS3_EEvT1_iilPiilS6_bb, .Lfunc_end62-_ZN9rocsolver6v33100L18getri_kernel_smallILi63E19rocblas_complex_numIdEPS3_EEvT1_iilPiilS6_bb
                                        ; -- End function
	.set _ZN9rocsolver6v33100L18getri_kernel_smallILi63E19rocblas_complex_numIdEPS3_EEvT1_iilPiilS6_bb.num_vgpr, 266
	.set _ZN9rocsolver6v33100L18getri_kernel_smallILi63E19rocblas_complex_numIdEPS3_EEvT1_iilPiilS6_bb.num_agpr, 0
	.set _ZN9rocsolver6v33100L18getri_kernel_smallILi63E19rocblas_complex_numIdEPS3_EEvT1_iilPiilS6_bb.numbered_sgpr, 105
	.set _ZN9rocsolver6v33100L18getri_kernel_smallILi63E19rocblas_complex_numIdEPS3_EEvT1_iilPiilS6_bb.num_named_barrier, 0
	.set _ZN9rocsolver6v33100L18getri_kernel_smallILi63E19rocblas_complex_numIdEPS3_EEvT1_iilPiilS6_bb.private_seg_size, 1024
	.set _ZN9rocsolver6v33100L18getri_kernel_smallILi63E19rocblas_complex_numIdEPS3_EEvT1_iilPiilS6_bb.uses_vcc, 1
	.set _ZN9rocsolver6v33100L18getri_kernel_smallILi63E19rocblas_complex_numIdEPS3_EEvT1_iilPiilS6_bb.uses_flat_scratch, 1
	.set _ZN9rocsolver6v33100L18getri_kernel_smallILi63E19rocblas_complex_numIdEPS3_EEvT1_iilPiilS6_bb.has_dyn_sized_stack, 0
	.set _ZN9rocsolver6v33100L18getri_kernel_smallILi63E19rocblas_complex_numIdEPS3_EEvT1_iilPiilS6_bb.has_recursion, 0
	.set _ZN9rocsolver6v33100L18getri_kernel_smallILi63E19rocblas_complex_numIdEPS3_EEvT1_iilPiilS6_bb.has_indirect_call, 0
	.section	.AMDGPU.csdata,"",@progbits
; Kernel info:
; codeLenInByte = 141260
; TotalNumSgprs: 107
; NumVgprs: 266
; ScratchSize: 1024
; MemoryBound: 0
; FloatMode: 240
; IeeeMode: 1
; LDSByteSize: 3048 bytes/workgroup (compile time only)
; SGPRBlocks: 0
; VGPRBlocks: 16
; NumSGPRsForWavesPerEU: 107
; NumVGPRsForWavesPerEU: 266
; NamedBarCnt: 0
; Occupancy: 3
; WaveLimiterHint : 1
; COMPUTE_PGM_RSRC2:SCRATCH_EN: 1
; COMPUTE_PGM_RSRC2:USER_SGPR: 4
; COMPUTE_PGM_RSRC2:TRAP_HANDLER: 0
; COMPUTE_PGM_RSRC2:TGID_X_EN: 1
; COMPUTE_PGM_RSRC2:TGID_Y_EN: 0
; COMPUTE_PGM_RSRC2:TGID_Z_EN: 0
; COMPUTE_PGM_RSRC2:TIDIG_COMP_CNT: 2
	.section	.text._ZN9rocsolver6v33100L18getri_kernel_smallILi64E19rocblas_complex_numIdEPS3_EEvT1_iilPiilS6_bb,"axG",@progbits,_ZN9rocsolver6v33100L18getri_kernel_smallILi64E19rocblas_complex_numIdEPS3_EEvT1_iilPiilS6_bb,comdat
	.globl	_ZN9rocsolver6v33100L18getri_kernel_smallILi64E19rocblas_complex_numIdEPS3_EEvT1_iilPiilS6_bb ; -- Begin function _ZN9rocsolver6v33100L18getri_kernel_smallILi64E19rocblas_complex_numIdEPS3_EEvT1_iilPiilS6_bb
	.p2align	8
	.type	_ZN9rocsolver6v33100L18getri_kernel_smallILi64E19rocblas_complex_numIdEPS3_EEvT1_iilPiilS6_bb,@function
_ZN9rocsolver6v33100L18getri_kernel_smallILi64E19rocblas_complex_numIdEPS3_EEvT1_iilPiilS6_bb: ; @_ZN9rocsolver6v33100L18getri_kernel_smallILi64E19rocblas_complex_numIdEPS3_EEvT1_iilPiilS6_bb
; %bb.0:
	v_and_b32_e32 v1, 0x3ff, v0
	s_mov_b32 s4, exec_lo
	s_delay_alu instid0(VALU_DEP_1)
	v_cmpx_gt_u32_e32 64, v1
	s_cbranch_execz .LBB63_282
; %bb.1:
	s_clause 0x2
	s_load_b32 s8, s[2:3], 0x38
	s_load_b128 s[12:15], s[2:3], 0x10
	s_load_b128 s[4:7], s[2:3], 0x28
                                        ; implicit-def: $vgpr256 : SGPR spill to VGPR lane
	s_getreg_b32 s11, hwreg(HW_REG_IB_STS2, 6, 4)
                                        ; implicit-def: $sgpr16_sgpr17
	s_wait_kmcnt 0x0
	s_bitcmp1_b32 s8, 8
	s_cselect_b32 s9, -1, 0
	s_and_b32 s10, ttmp6, 15
	s_set_vgpr_msb 64                       ;  msbs: dst=1 src0=0 src1=0 src2=0
	v_writelane_b32 v0 /*v256*/, s9, 0
	s_bfe_u32 s9, ttmp6, 0x4000c
	s_delay_alu instid0(SALU_CYCLE_1) | instskip(NEXT) | instid1(SALU_CYCLE_1)
	s_add_co_i32 s9, s9, 1
	s_mul_i32 s9, ttmp9, s9
	s_delay_alu instid0(SALU_CYCLE_1)
	s_add_co_i32 s10, s10, s9
	s_cmp_eq_u32 s11, 0
	s_cselect_b32 s18, ttmp9, s10
	s_bfe_u32 s8, s8, 0x10008
	s_ashr_i32 s19, s18, 31
	s_cmp_eq_u32 s8, 0
	s_set_vgpr_msb 0                        ;  msbs: dst=0 src0=0 src1=0 src2=0
	s_cbranch_scc1 .LBB63_3
; %bb.2:
	s_load_b32 s8, s[2:3], 0x20
	s_mul_u64 s[4:5], s[4:5], s[18:19]
	s_delay_alu instid0(SALU_CYCLE_1) | instskip(NEXT) | instid1(SALU_CYCLE_1)
	s_lshl_b64 s[4:5], s[4:5], 2
	s_add_nc_u64 s[4:5], s[14:15], s[4:5]
	s_wait_kmcnt 0x0
	s_ashr_i32 s9, s8, 31
	s_delay_alu instid0(SALU_CYCLE_1) | instskip(NEXT) | instid1(SALU_CYCLE_1)
	s_lshl_b64 s[8:9], s[8:9], 2
	s_add_nc_u64 s[16:17], s[4:5], s[8:9]
.LBB63_3:
	s_clause 0x1
	s_load_b128 s[8:11], s[2:3], 0x0
	s_load_b32 s4, s[2:3], 0x38
	s_wait_xcnt 0x0
	s_mul_u64 s[2:3], s[12:13], s[18:19]
	s_movk_i32 s42, 0x230
	s_lshl_b64 s[2:3], s[2:3], 4
	s_movk_i32 s50, 0x240
	s_movk_i32 s79, 0x250
	;; [unrolled: 1-line block ×15, first 2 shown]
	s_wait_kmcnt 0x0
	v_add3_u32 v36, s11, s11, v1
	s_ashr_i32 s13, s10, 31
	s_mov_b32 s12, s10
	s_add_nc_u64 s[2:3], s[8:9], s[2:3]
	s_lshl_b64 s[8:9], s[12:13], 4
	v_add_nc_u32_e32 v38, s11, v36
	s_add_nc_u64 s[8:9], s[2:3], s[8:9]
	s_ashr_i32 s3, s11, 31
	s_mov_b32 s2, s11
	s_clause 0x1
	global_load_b128 v[2:5], v1, s[8:9] scale_offset
	global_load_b128 v[6:9], v36, s[8:9] scale_offset
	v_add_nc_u32_e32 v40, s11, v38
	s_movk_i32 s93, 0x330
	s_movk_i32 s94, 0x340
	;; [unrolled: 1-line block ×4, first 2 shown]
	v_add_nc_u32_e32 v42, s11, v40
	s_movk_i32 s97, 0x370
	s_movk_i32 s98, 0x380
	;; [unrolled: 1-line block ×4, first 2 shown]
	v_add_nc_u32_e32 v44, s11, v42
	global_load_b128 v[10:13], v38, s[8:9] scale_offset
	s_movk_i32 s101, 0x3b0
	s_movk_i32 s104, 0x3c0
	s_movk_i32 vcc_lo, 0x3d0
	v_add_nc_u32_e32 v46, s11, v44
	global_load_b128 v[16:19], v40, s[8:9] scale_offset
	s_movk_i32 vcc_hi, 0x3e0
	s_movk_i32 s78, 0x3f0
	s_mov_b32 s54, 16
	v_add_nc_u32_e32 v48, s11, v46
	s_mov_b32 s53, 32
	s_mov_b32 s52, 48
	;; [unrolled: 1-line block ×3, first 2 shown]
	s_movk_i32 s77, 0x50
	v_add_nc_u32_e32 v50, s11, v48
	s_movk_i32 s76, 0x60
	s_movk_i32 s75, 0x70
	s_movk_i32 s74, 0x80
	s_movk_i32 s73, 0x90
	v_add_nc_u32_e32 v52, s11, v50
	s_movk_i32 s72, 0xa0
	s_movk_i32 s71, 0xb0
	s_movk_i32 s70, 0xc0
	;; [unrolled: 5-line block ×6, first 2 shown]
	s_movk_i32 s47, 0x1d0
	v_dual_add_nc_u32 v62, s11, v60 :: v_dual_lshlrev_b32 v14, 4, v1
	s_movk_i32 s48, 0x1e0
	s_movk_i32 s45, 0x1f0
	;; [unrolled: 1-line block ×3, first 2 shown]
	s_delay_alu instid0(VALU_DEP_1) | instskip(SKIP_3) | instid1(VALU_DEP_1)
	v_dual_mov_b32 v15, 0 :: v_dual_add_nc_u32 v64, s11, v62
	s_movk_i32 s43, 0x210
	s_movk_i32 s44, 0x220
	s_mov_b32 s41, s42
	v_add_nc_u32_e32 v66, s11, v64
	v_add_nc_u64_e32 v[32:33], s[8:9], v[14:15]
	s_mov_b32 s42, s50
	s_mov_b32 s39, s79
	;; [unrolled: 1-line block ×3, first 2 shown]
	v_add_nc_u32_e32 v68, s11, v66
	s_mov_b32 s37, s81
	s_mov_b32 s38, s82
	v_lshl_add_u64 v[34:35], s[2:3], 4, v[32:33]
	s_mov_b32 s31, s83
	v_add_nc_u32_e32 v70, s11, v68
	s_mov_b32 s35, s84
	s_clause 0x3
	global_load_b128 v[20:23], v[34:35], off
	global_load_b128 v[24:27], v42, s[8:9] scale_offset
	global_load_b128 v[28:31], v44, s[8:9] scale_offset
	;; [unrolled: 1-line block ×3, first 2 shown]
	v_add_nc_u32_e32 v72, s11, v70
	s_clause 0x8
	global_load_b128 v[144:147], v48, s[8:9] scale_offset
	global_load_b128 v[148:151], v50, s[8:9] scale_offset
	;; [unrolled: 1-line block ×9, first 2 shown]
	v_add_nc_u32_e32 v74, s11, v72
	s_mov_b32 s27, s85
	s_mov_b32 s30, s86
	;; [unrolled: 1-line block ×4, first 2 shown]
	v_add_nc_u32_e32 v76, s11, v74
	s_clause 0x4
	global_load_b128 v[180:183], v66, s[8:9] scale_offset
	global_load_b128 v[184:187], v68, s[8:9] scale_offset
	;; [unrolled: 1-line block ×5, first 2 shown]
	s_mov_b32 s22, s89
	s_mov_b32 s23, s90
	v_add_nc_u32_e32 v78, s11, v76
	s_mov_b32 s20, s91
	s_mov_b32 s21, s92
	s_mov_b32 s14, s93
	s_mov_b32 s15, s94
	v_add_nc_u32_e32 v80, s11, v78
	s_mov_b32 s12, s95
	s_mov_b32 s13, s96
	;; [unrolled: 5-line block ×3, first 2 shown]
	s_mov_b32 s33, s104
	s_mov_b32 s26, vcc_lo
	v_add_nc_u32_e32 v84, s11, v82
	s_clause 0x1
	global_load_b128 v[200:203], v76, s[8:9] scale_offset
	global_load_b128 v[204:207], v78, s[8:9] scale_offset
	s_mov_b32 s28, vcc_hi
	s_mov_b32 s50, s78
	s_bitcmp0_b32 s4, 0
	v_add_nc_u32_e32 v86, s11, v84
	s_mov_b32 s3, -1
	s_delay_alu instid0(VALU_DEP_1)
	v_add_nc_u32_e32 v88, s11, v86
	s_clause 0x4
	global_load_b128 v[208:211], v80, s[8:9] scale_offset
	global_load_b128 v[212:215], v82, s[8:9] scale_offset
	;; [unrolled: 1-line block ×5, first 2 shown]
	v_add_nc_u32_e32 v90, s11, v88
	s_delay_alu instid0(VALU_DEP_1) | instskip(NEXT) | instid1(VALU_DEP_1)
	v_add_nc_u32_e32 v92, s11, v90
	v_add_nc_u32_e32 v94, s11, v92
	s_delay_alu instid0(VALU_DEP_1) | instskip(NEXT) | instid1(VALU_DEP_1)
	v_add_nc_u32_e32 v96, s11, v94
	v_add_nc_u32_e32 v98, s11, v96
	s_clause 0x1
	global_load_b128 v[228:231], v90, s[8:9] scale_offset
	global_load_b128 v[232:235], v92, s[8:9] scale_offset
	v_add_nc_u32_e32 v100, s11, v98
	s_clause 0x2
	global_load_b128 v[236:239], v94, s[8:9] scale_offset
	global_load_b128 v[240:243], v96, s[8:9] scale_offset
	;; [unrolled: 1-line block ×3, first 2 shown]
	v_add_nc_u32_e32 v102, s11, v100
	s_delay_alu instid0(VALU_DEP_1) | instskip(NEXT) | instid1(VALU_DEP_1)
	v_add_nc_u32_e32 v104, s11, v102
	v_add_nc_u32_e32 v106, s11, v104
	s_delay_alu instid0(VALU_DEP_1)
	v_add_nc_u32_e32 v108, s11, v106
	s_clause 0x1
	global_load_b128 v[248:251], v100, s[8:9] scale_offset
	global_load_b128 v[252:255], v102, s[8:9] scale_offset
	s_wait_loadcnt 0x23
	scratch_store_b128 off, v[2:5], off
	s_wait_loadcnt 0x22
	scratch_store_b128 off, v[6:9], off offset:32
	v_add_nc_u32_e32 v110, s11, v108
	s_delay_alu instid0(VALU_DEP_1)
	v_add_nc_u32_e32 v112, s11, v110
	s_clause 0x1
	global_load_b128 v[2:5], v104, s[8:9] scale_offset
	global_load_b128 v[6:9], v106, s[8:9] scale_offset
	s_wait_loadcnt 0x23
	scratch_store_b128 off, v[10:13], off offset:48
	s_wait_loadcnt 0x22
	scratch_store_b128 off, v[16:19], off offset:64
	v_add_nc_u32_e32 v114, s11, v112
	s_clause 0x1
	global_load_b128 v[10:13], v108, s[8:9] scale_offset
	global_load_b128 v[16:19], v110, s[8:9] scale_offset
	v_add_nc_u32_e32 v116, s11, v114
	s_delay_alu instid0(VALU_DEP_1) | instskip(NEXT) | instid1(VALU_DEP_1)
	v_add_nc_u32_e32 v118, s11, v116
	v_add_nc_u32_e32 v120, s11, v118
	s_delay_alu instid0(VALU_DEP_1) | instskip(NEXT) | instid1(VALU_DEP_1)
	v_add_nc_u32_e32 v122, s11, v120
	;; [unrolled: 3-line block ×5, first 2 shown]
	v_add_nc_u32_e32 v136, s11, v134
	s_delay_alu instid0(VALU_DEP_1)
	v_add_nc_u32_e32 v138, s11, v136
	s_wait_loadcnt 0x23
	scratch_store_b128 off, v[20:23], off offset:16
	s_wait_loadcnt 0x22
	scratch_store_b128 off, v[24:27], off offset:80
	;; [unrolled: 2-line block ×3, first 2 shown]
	s_clause 0x1
	global_load_b128 v[20:23], v112, s[8:9] scale_offset
	global_load_b128 v[24:27], v114, s[8:9] scale_offset
	s_wait_loadcnt 0x22
	scratch_store_b128 off, v[140:143], off offset:112
	s_wait_loadcnt 0x21
	scratch_store_b128 off, v[144:147], off offset:128
	s_wait_xcnt 0x1
	v_add_nc_u32_e32 v140, s11, v138
	s_clause 0x2
	global_load_b128 v[28:31], v116, s[8:9] scale_offset
	s_set_vgpr_msb 64                       ;  msbs: dst=1 src0=0 src1=0 src2=0
	global_load_b128 v[2:5] /*v[258:261]*/, v118, s[8:9] scale_offset
	s_wait_loadcnt 0x22
	scratch_store_b128 off, v[148:151], off offset:144
	s_wait_loadcnt 0x21
	scratch_store_b128 off, v[152:155], off offset:160
	;; [unrolled: 2-line block ×3, first 2 shown]
	s_clause 0x1
	global_load_b128 v[6:9] /*v[262:265]*/, v120, s[8:9] scale_offset
	global_load_b128 v[10:13] /*v[266:269]*/, v122, s[8:9] scale_offset
	s_set_vgpr_msb 0                        ;  msbs: dst=0 src0=0 src1=0 src2=0
	v_add_nc_u32_e32 v142, s11, v140
	s_wait_loadcnt 0x21
	scratch_store_b128 off, v[160:163], off offset:192
	s_wait_loadcnt 0x20
	scratch_store_b128 off, v[164:167], off offset:208
	s_clause 0x1
	global_load_b128 v[160:163], v124, s[8:9] scale_offset
	global_load_b128 v[164:167], v126, s[8:9] scale_offset
	s_wait_loadcnt 0x21
	scratch_store_b128 off, v[168:171], off offset:224
	s_wait_loadcnt 0x20
	scratch_store_b128 off, v[172:175], off offset:240
	;; [unrolled: 2-line block ×3, first 2 shown]
	v_add_nc_u32_e32 v144, s11, v142
	s_clause 0x1
	global_load_b128 v[168:171], v128, s[8:9] scale_offset
	global_load_b128 v[172:175], v130, s[8:9] scale_offset
	s_wait_loadcnt 0x20
	scratch_store_b128 off, v[180:183], off offset:272
	s_wait_loadcnt 0x1f
	scratch_store_b128 off, v[184:187], off offset:288
	s_clause 0x1
	global_load_b128 v[176:179], v132, s[8:9] scale_offset
	global_load_b128 v[180:183], v134, s[8:9] scale_offset
	s_wait_loadcnt 0x20
	scratch_store_b128 off, v[188:191], off offset:304
	v_add_nc_u32_e32 v146, s11, v144
	s_wait_loadcnt 0x1f
	scratch_store_b128 off, v[192:195], off offset:320
	s_wait_loadcnt 0x1e
	scratch_store_b128 off, v[196:199], off offset:336
	s_clause 0x1
	global_load_b128 v[184:187], v136, s[8:9] scale_offset
	global_load_b128 v[188:191], v138, s[8:9] scale_offset
	s_wait_loadcnt 0x1f
	scratch_store_b128 off, v[200:203], off offset:352
	s_wait_loadcnt 0x1e
	scratch_store_b128 off, v[204:207], off offset:368
	v_add_nc_u32_e32 v148, s11, v146
	s_clause 0x1
	global_load_b128 v[192:195], v140, s[8:9] scale_offset
	global_load_b128 v[196:199], v142, s[8:9] scale_offset
	v_add_nc_u32_e32 v150, s11, v148
	s_wait_loadcnt 0x1f
	scratch_store_b128 off, v[208:211], off offset:384
	s_wait_loadcnt 0x1e
	scratch_store_b128 off, v[212:215], off offset:400
	;; [unrolled: 2-line block ×3, first 2 shown]
	v_add_nc_u32_e32 v152, s11, v150
	s_clause 0x1
	global_load_b128 v[200:203], v144, s[8:9] scale_offset
	global_load_b128 v[204:207], v146, s[8:9] scale_offset
	s_wait_loadcnt 0x1e
	scratch_store_b128 off, v[220:223], off offset:432
	s_wait_loadcnt 0x1d
	scratch_store_b128 off, v[224:227], off offset:448
	v_add_nc_u32_e32 v154, s11, v152
	s_delay_alu instid0(VALU_DEP_1)
	v_add_nc_u32_e32 v158, s11, v154
	s_clause 0x1
	global_load_b128 v[208:211], v148, s[8:9] scale_offset
	global_load_b128 v[212:215], v150, s[8:9] scale_offset
	s_wait_loadcnt 0x1e
	scratch_store_b128 off, v[228:231], off offset:464
	s_wait_loadcnt 0x1d
	scratch_store_b128 off, v[232:235], off offset:480
	v_add_nc_u32_e32 v156, s11, v158
	s_clause 0x1
	global_load_b128 v[216:219], v152, s[8:9] scale_offset
	global_load_b128 v[220:223], v154, s[8:9] scale_offset
	s_mov_b32 s11, s98
	s_wait_loadcnt 0x1e
	scratch_store_b128 off, v[236:239], off offset:496
	s_wait_loadcnt 0x1d
	scratch_store_b128 off, v[240:243], off offset:512
	s_wait_loadcnt 0x1c
	scratch_store_b128 off, v[244:247], off offset:528
	s_clause 0x1
	global_load_b128 v[224:227], v158, s[8:9] scale_offset
	global_load_b128 v[228:231], v156, s[8:9] scale_offset
	s_wait_loadcnt 0x1d
	scratch_store_b128 off, v[248:251], off offset:544
	s_wait_loadcnt 0x1c
	scratch_store_b128 off, v[252:255], off offset:560
	s_wait_loadcnt 0x1b
	scratch_store_b128 off, v[2:5], off offset:576
	s_wait_loadcnt 0x1a
	scratch_store_b128 off, v[6:9], off offset:592
	s_wait_loadcnt 0x19
	scratch_store_b128 off, v[10:13], off offset:608
	s_wait_loadcnt 0x18
	scratch_store_b128 off, v[16:19], off offset:624
	s_wait_loadcnt 0x17
	scratch_store_b128 off, v[20:23], off offset:640
	s_wait_loadcnt 0x16
	scratch_store_b128 off, v[24:27], off offset:656
	s_wait_loadcnt 0x15
	scratch_store_b128 off, v[28:31], off offset:672
	s_wait_loadcnt 0x14
	s_set_vgpr_msb 4                        ;  msbs: dst=0 src0=0 src1=1 src2=0
	scratch_store_b128 off, v[2:5] /*v[258:261]*/, off offset:688
	s_wait_loadcnt 0x13
	scratch_store_b128 off, v[6:9] /*v[262:265]*/, off offset:704
	s_wait_loadcnt 0x12
	;; [unrolled: 2-line block ×3, first 2 shown]
	s_set_vgpr_msb 0                        ;  msbs: dst=0 src0=0 src1=0 src2=0
	scratch_store_b128 off, v[160:163], off offset:736
	s_wait_loadcnt 0x10
	scratch_store_b128 off, v[164:167], off offset:752
	s_wait_loadcnt 0xf
	;; [unrolled: 2-line block ×17, first 2 shown]
	scratch_store_b128 off, v[228:231], off offset:1008
	s_cbranch_scc1 .LBB63_280
; %bb.4:
	v_cmp_eq_u32_e64 s2, 0, v1
	s_wait_xcnt 0x0
	s_and_saveexec_b32 s3, s2
; %bb.5:
	v_mov_b32_e32 v2, 0
	ds_store_b32 v2, v2 offset:2048
; %bb.6:
	s_or_b32 exec_lo, exec_lo, s3
	s_wait_storecnt_dscnt 0x0
	s_barrier_signal -1
	s_barrier_wait -1
	scratch_load_b128 v[2:5], v1, off scale_offset
	s_wait_loadcnt 0x0
	v_cmp_eq_f64_e32 vcc_lo, 0, v[2:3]
	v_cmp_eq_f64_e64 s3, 0, v[4:5]
	s_and_b32 s3, vcc_lo, s3
	s_delay_alu instid0(SALU_CYCLE_1)
	s_and_saveexec_b32 s4, s3
	s_cbranch_execz .LBB63_10
; %bb.7:
	v_mov_b32_e32 v2, 0
	s_mov_b32 s5, 0
	ds_load_b32 v3, v2 offset:2048
	s_wait_dscnt 0x0
	v_readfirstlane_b32 s3, v3
	v_add_nc_u32_e32 v3, 1, v1
	s_cmp_eq_u32 s3, 0
	s_delay_alu instid0(VALU_DEP_1) | instskip(SKIP_1) | instid1(SALU_CYCLE_1)
	v_cmp_gt_i32_e32 vcc_lo, s3, v3
	s_cselect_b32 s78, -1, 0
	s_or_b32 s78, s78, vcc_lo
	s_delay_alu instid0(SALU_CYCLE_1)
	s_and_b32 exec_lo, exec_lo, s78
	s_cbranch_execz .LBB63_10
; %bb.8:
	v_mov_b32_e32 v4, s3
.LBB63_9:                               ; =>This Inner Loop Header: Depth=1
	ds_cmpstore_rtn_b32 v4, v2, v3, v4 offset:2048
	s_wait_dscnt 0x0
	v_cmp_ne_u32_e32 vcc_lo, 0, v4
	v_cmp_le_i32_e64 s3, v4, v3
	s_and_b32 s3, vcc_lo, s3
	s_delay_alu instid0(SALU_CYCLE_1) | instskip(NEXT) | instid1(SALU_CYCLE_1)
	s_and_b32 s3, exec_lo, s3
	s_or_b32 s5, s3, s5
	s_delay_alu instid0(SALU_CYCLE_1)
	s_and_not1_b32 exec_lo, exec_lo, s5
	s_cbranch_execnz .LBB63_9
.LBB63_10:
	s_or_b32 exec_lo, exec_lo, s4
	v_mov_b32_e32 v2, 0
	s_barrier_signal -1
	s_barrier_wait -1
	ds_load_b32 v3, v2 offset:2048
	s_and_saveexec_b32 s3, s2
	s_cbranch_execz .LBB63_12
; %bb.11:
	s_lshl_b64 s[4:5], s[18:19], 2
	s_delay_alu instid0(SALU_CYCLE_1)
	s_add_nc_u64 s[4:5], s[6:7], s[4:5]
	s_wait_dscnt 0x0
	global_store_b32 v2, v3, s[4:5]
.LBB63_12:
	s_wait_xcnt 0x0
	s_or_b32 exec_lo, exec_lo, s3
	s_wait_dscnt 0x0
	v_cmp_ne_u32_e32 vcc_lo, 0, v3
	s_mov_b32 s3, 0
	s_cbranch_vccnz .LBB63_280
; %bb.13:
	v_lshl_add_u32 v15, v1, 4, 0
                                        ; implicit-def: $vgpr6_vgpr7
                                        ; implicit-def: $vgpr10_vgpr11
	scratch_load_b128 v[2:5], v15, off
	s_wait_loadcnt 0x0
	v_cmp_ngt_f64_e64 s3, |v[2:3]|, |v[4:5]|
	s_wait_xcnt 0x0
	s_and_saveexec_b32 s4, s3
	s_delay_alu instid0(SALU_CYCLE_1)
	s_xor_b32 s3, exec_lo, s4
	s_cbranch_execz .LBB63_15
; %bb.14:
	v_div_scale_f64 v[6:7], null, v[4:5], v[4:5], v[2:3]
	v_div_scale_f64 v[12:13], vcc_lo, v[2:3], v[4:5], v[2:3]
	s_delay_alu instid0(VALU_DEP_2) | instskip(SKIP_1) | instid1(TRANS32_DEP_1)
	v_rcp_f64_e32 v[8:9], v[6:7]
	v_nop
	v_fma_f64 v[10:11], -v[6:7], v[8:9], 1.0
	s_delay_alu instid0(VALU_DEP_1) | instskip(NEXT) | instid1(VALU_DEP_1)
	v_fmac_f64_e32 v[8:9], v[8:9], v[10:11]
	v_fma_f64 v[10:11], -v[6:7], v[8:9], 1.0
	s_delay_alu instid0(VALU_DEP_1) | instskip(NEXT) | instid1(VALU_DEP_1)
	v_fmac_f64_e32 v[8:9], v[8:9], v[10:11]
	v_mul_f64_e32 v[10:11], v[12:13], v[8:9]
	s_delay_alu instid0(VALU_DEP_1) | instskip(NEXT) | instid1(VALU_DEP_1)
	v_fma_f64 v[6:7], -v[6:7], v[10:11], v[12:13]
	v_div_fmas_f64 v[6:7], v[6:7], v[8:9], v[10:11]
	s_delay_alu instid0(VALU_DEP_1) | instskip(NEXT) | instid1(VALU_DEP_1)
	v_div_fixup_f64 v[6:7], v[6:7], v[4:5], v[2:3]
	v_fmac_f64_e32 v[4:5], v[2:3], v[6:7]
	s_delay_alu instid0(VALU_DEP_1) | instskip(SKIP_1) | instid1(VALU_DEP_2)
	v_div_scale_f64 v[2:3], null, v[4:5], v[4:5], 1.0
	v_div_scale_f64 v[12:13], vcc_lo, 1.0, v[4:5], 1.0
	v_rcp_f64_e32 v[8:9], v[2:3]
	v_nop
	s_delay_alu instid0(TRANS32_DEP_1) | instskip(NEXT) | instid1(VALU_DEP_1)
	v_fma_f64 v[10:11], -v[2:3], v[8:9], 1.0
	v_fmac_f64_e32 v[8:9], v[8:9], v[10:11]
	s_delay_alu instid0(VALU_DEP_1) | instskip(NEXT) | instid1(VALU_DEP_1)
	v_fma_f64 v[10:11], -v[2:3], v[8:9], 1.0
	v_fmac_f64_e32 v[8:9], v[8:9], v[10:11]
	s_delay_alu instid0(VALU_DEP_1) | instskip(NEXT) | instid1(VALU_DEP_1)
	v_mul_f64_e32 v[10:11], v[12:13], v[8:9]
	v_fma_f64 v[2:3], -v[2:3], v[10:11], v[12:13]
	s_delay_alu instid0(VALU_DEP_1) | instskip(NEXT) | instid1(VALU_DEP_1)
	v_div_fmas_f64 v[2:3], v[2:3], v[8:9], v[10:11]
	v_div_fixup_f64 v[8:9], v[2:3], v[4:5], 1.0
                                        ; implicit-def: $vgpr2_vgpr3
	s_delay_alu instid0(VALU_DEP_1) | instskip(SKIP_1) | instid1(VALU_DEP_2)
	v_mul_f64_e32 v[6:7], v[6:7], v[8:9]
	v_xor_b32_e32 v9, 0x80000000, v9
	v_xor_b32_e32 v11, 0x80000000, v7
	s_delay_alu instid0(VALU_DEP_3)
	v_mov_b32_e32 v10, v6
.LBB63_15:
	s_and_not1_saveexec_b32 s3, s3
	s_cbranch_execz .LBB63_17
; %bb.16:
	v_div_scale_f64 v[6:7], null, v[2:3], v[2:3], v[4:5]
	v_div_scale_f64 v[12:13], vcc_lo, v[4:5], v[2:3], v[4:5]
	s_delay_alu instid0(VALU_DEP_2) | instskip(SKIP_1) | instid1(TRANS32_DEP_1)
	v_rcp_f64_e32 v[8:9], v[6:7]
	v_nop
	v_fma_f64 v[10:11], -v[6:7], v[8:9], 1.0
	s_delay_alu instid0(VALU_DEP_1) | instskip(NEXT) | instid1(VALU_DEP_1)
	v_fmac_f64_e32 v[8:9], v[8:9], v[10:11]
	v_fma_f64 v[10:11], -v[6:7], v[8:9], 1.0
	s_delay_alu instid0(VALU_DEP_1) | instskip(NEXT) | instid1(VALU_DEP_1)
	v_fmac_f64_e32 v[8:9], v[8:9], v[10:11]
	v_mul_f64_e32 v[10:11], v[12:13], v[8:9]
	s_delay_alu instid0(VALU_DEP_1) | instskip(NEXT) | instid1(VALU_DEP_1)
	v_fma_f64 v[6:7], -v[6:7], v[10:11], v[12:13]
	v_div_fmas_f64 v[6:7], v[6:7], v[8:9], v[10:11]
	s_delay_alu instid0(VALU_DEP_1) | instskip(NEXT) | instid1(VALU_DEP_1)
	v_div_fixup_f64 v[8:9], v[6:7], v[2:3], v[4:5]
	v_fmac_f64_e32 v[2:3], v[4:5], v[8:9]
	s_delay_alu instid0(VALU_DEP_1) | instskip(NEXT) | instid1(VALU_DEP_1)
	v_div_scale_f64 v[4:5], null, v[2:3], v[2:3], 1.0
	v_rcp_f64_e32 v[6:7], v[4:5]
	v_nop
	s_delay_alu instid0(TRANS32_DEP_1) | instskip(NEXT) | instid1(VALU_DEP_1)
	v_fma_f64 v[10:11], -v[4:5], v[6:7], 1.0
	v_fmac_f64_e32 v[6:7], v[6:7], v[10:11]
	s_delay_alu instid0(VALU_DEP_1) | instskip(NEXT) | instid1(VALU_DEP_1)
	v_fma_f64 v[10:11], -v[4:5], v[6:7], 1.0
	v_fmac_f64_e32 v[6:7], v[6:7], v[10:11]
	v_div_scale_f64 v[10:11], vcc_lo, 1.0, v[2:3], 1.0
	s_delay_alu instid0(VALU_DEP_1) | instskip(NEXT) | instid1(VALU_DEP_1)
	v_mul_f64_e32 v[12:13], v[10:11], v[6:7]
	v_fma_f64 v[4:5], -v[4:5], v[12:13], v[10:11]
	s_delay_alu instid0(VALU_DEP_1) | instskip(NEXT) | instid1(VALU_DEP_1)
	v_div_fmas_f64 v[4:5], v[4:5], v[6:7], v[12:13]
	v_div_fixup_f64 v[6:7], v[4:5], v[2:3], 1.0
	s_delay_alu instid0(VALU_DEP_1)
	v_mul_f64_e64 v[8:9], v[8:9], -v[6:7]
	v_xor_b32_e32 v11, 0x80000000, v7
	v_mov_b32_e32 v10, v6
.LBB63_17:
	s_or_b32 exec_lo, exec_lo, s3
	s_clause 0x1
	scratch_store_b128 v15, v[6:9], off
	scratch_load_b128 v[2:5], off, s54
	v_xor_b32_e32 v13, 0x80000000, v9
	v_mov_b32_e32 v12, v8
	s_wait_xcnt 0x1
	v_add_nc_u32_e32 v6, 0x400, v14
	ds_store_b128 v14, v[10:13]
	s_wait_loadcnt 0x0
	ds_store_b128 v14, v[2:5] offset:1024
	s_wait_storecnt_dscnt 0x0
	s_barrier_signal -1
	s_barrier_wait -1
	s_wait_xcnt 0x0
	s_and_saveexec_b32 s3, s2
	s_cbranch_execz .LBB63_19
; %bb.18:
	scratch_load_b128 v[2:5], v15, off
	ds_load_b128 v[8:11], v6
	v_mov_b32_e32 v7, 0
	ds_load_b128 v[16:19], v7 offset:16
	s_wait_loadcnt_dscnt 0x1
	v_mul_f64_e32 v[12:13], v[8:9], v[4:5]
	v_mul_f64_e32 v[4:5], v[10:11], v[4:5]
	s_delay_alu instid0(VALU_DEP_2) | instskip(NEXT) | instid1(VALU_DEP_2)
	v_fmac_f64_e32 v[12:13], v[10:11], v[2:3]
	v_fma_f64 v[2:3], v[8:9], v[2:3], -v[4:5]
	s_delay_alu instid0(VALU_DEP_2) | instskip(NEXT) | instid1(VALU_DEP_2)
	v_add_f64_e32 v[8:9], 0, v[12:13]
	v_add_f64_e32 v[2:3], 0, v[2:3]
	s_wait_dscnt 0x0
	s_delay_alu instid0(VALU_DEP_2) | instskip(NEXT) | instid1(VALU_DEP_2)
	v_mul_f64_e32 v[10:11], v[8:9], v[18:19]
	v_mul_f64_e32 v[4:5], v[2:3], v[18:19]
	s_delay_alu instid0(VALU_DEP_2) | instskip(NEXT) | instid1(VALU_DEP_2)
	v_fma_f64 v[2:3], v[2:3], v[16:17], -v[10:11]
	v_fmac_f64_e32 v[4:5], v[8:9], v[16:17]
	scratch_store_b128 off, v[2:5], off offset:16
.LBB63_19:
	s_wait_xcnt 0x0
	s_or_b32 exec_lo, exec_lo, s3
	s_wait_storecnt 0x0
	s_barrier_signal -1
	s_barrier_wait -1
	scratch_load_b128 v[2:5], off, s53
	v_cmp_gt_u32_e32 vcc_lo, 2, v1
	s_wait_loadcnt 0x0
	ds_store_b128 v6, v[2:5]
	s_wait_dscnt 0x0
	s_barrier_signal -1
	s_barrier_wait -1
	s_and_saveexec_b32 s3, vcc_lo
	s_cbranch_execz .LBB63_23
; %bb.20:
	scratch_load_b128 v[2:5], v15, off
	ds_load_b128 v[8:11], v6
	s_wait_loadcnt_dscnt 0x0
	v_mul_f64_e32 v[12:13], v[10:11], v[4:5]
	v_mul_f64_e32 v[16:17], v[8:9], v[4:5]
	s_delay_alu instid0(VALU_DEP_2) | instskip(NEXT) | instid1(VALU_DEP_2)
	v_fma_f64 v[4:5], v[8:9], v[2:3], -v[12:13]
	v_fmac_f64_e32 v[16:17], v[10:11], v[2:3]
	s_delay_alu instid0(VALU_DEP_2) | instskip(NEXT) | instid1(VALU_DEP_2)
	v_add_f64_e32 v[4:5], 0, v[4:5]
	v_add_f64_e32 v[2:3], 0, v[16:17]
	s_and_saveexec_b32 s4, s2
	s_cbranch_execz .LBB63_22
; %bb.21:
	scratch_load_b128 v[8:11], off, off offset:16
	v_mov_b32_e32 v7, 0
	ds_load_b128 v[16:19], v7 offset:1040
	s_wait_loadcnt_dscnt 0x0
	v_mul_f64_e32 v[12:13], v[16:17], v[10:11]
	v_mul_f64_e32 v[10:11], v[18:19], v[10:11]
	s_delay_alu instid0(VALU_DEP_2) | instskip(NEXT) | instid1(VALU_DEP_2)
	v_fmac_f64_e32 v[12:13], v[18:19], v[8:9]
	v_fma_f64 v[8:9], v[16:17], v[8:9], -v[10:11]
	s_delay_alu instid0(VALU_DEP_2) | instskip(NEXT) | instid1(VALU_DEP_2)
	v_add_f64_e32 v[2:3], v[2:3], v[12:13]
	v_add_f64_e32 v[4:5], v[4:5], v[8:9]
.LBB63_22:
	s_or_b32 exec_lo, exec_lo, s4
	v_mov_b32_e32 v7, 0
	ds_load_b128 v[8:11], v7 offset:32
	s_wait_dscnt 0x0
	v_mul_f64_e32 v[16:17], v[2:3], v[10:11]
	v_mul_f64_e32 v[12:13], v[4:5], v[10:11]
	s_delay_alu instid0(VALU_DEP_2) | instskip(NEXT) | instid1(VALU_DEP_2)
	v_fma_f64 v[10:11], v[4:5], v[8:9], -v[16:17]
	v_fmac_f64_e32 v[12:13], v[2:3], v[8:9]
	scratch_store_b128 off, v[10:13], off offset:32
.LBB63_23:
	s_wait_xcnt 0x0
	s_or_b32 exec_lo, exec_lo, s3
	s_wait_storecnt 0x0
	s_barrier_signal -1
	s_barrier_wait -1
	scratch_load_b128 v[2:5], off, s52
	v_add_nc_u32_e32 v7, -1, v1
	s_mov_b32 s4, exec_lo
	s_wait_loadcnt 0x0
	ds_store_b128 v6, v[2:5]
	s_wait_dscnt 0x0
	s_barrier_signal -1
	s_barrier_wait -1
	v_cmpx_gt_u32_e32 3, v1
	s_cbranch_execz .LBB63_27
; %bb.24:
	v_dual_mov_b32 v10, v14 :: v_dual_add_nc_u32 v8, -1, v1
	v_mov_b64_e32 v[2:3], 0
	v_mov_b64_e32 v[4:5], 0
	v_add_nc_u32_e32 v9, 0x400, v14
	s_delay_alu instid0(VALU_DEP_4)
	v_or_b32_e32 v10, 8, v10
	s_mov_b32 s5, 0
.LBB63_25:                              ; =>This Inner Loop Header: Depth=1
	scratch_load_b128 v[16:19], v10, off offset:-8
	ds_load_b128 v[20:23], v9
	v_dual_add_nc_u32 v8, 1, v8 :: v_dual_add_nc_u32 v9, 16, v9
	s_wait_xcnt 0x0
	v_add_nc_u32_e32 v10, 16, v10
	s_delay_alu instid0(VALU_DEP_2) | instskip(SKIP_4) | instid1(VALU_DEP_2)
	v_cmp_lt_u32_e64 s3, 1, v8
	s_or_b32 s5, s3, s5
	s_wait_loadcnt_dscnt 0x0
	v_mul_f64_e32 v[12:13], v[22:23], v[18:19]
	v_mul_f64_e32 v[18:19], v[20:21], v[18:19]
	v_fma_f64 v[12:13], v[20:21], v[16:17], -v[12:13]
	s_delay_alu instid0(VALU_DEP_2) | instskip(NEXT) | instid1(VALU_DEP_2)
	v_fmac_f64_e32 v[18:19], v[22:23], v[16:17]
	v_add_f64_e32 v[4:5], v[4:5], v[12:13]
	s_delay_alu instid0(VALU_DEP_2)
	v_add_f64_e32 v[2:3], v[2:3], v[18:19]
	s_and_not1_b32 exec_lo, exec_lo, s5
	s_cbranch_execnz .LBB63_25
; %bb.26:
	s_or_b32 exec_lo, exec_lo, s5
	v_mov_b32_e32 v8, 0
	ds_load_b128 v[8:11], v8 offset:48
	s_wait_dscnt 0x0
	v_mul_f64_e32 v[16:17], v[2:3], v[10:11]
	v_mul_f64_e32 v[12:13], v[4:5], v[10:11]
	s_delay_alu instid0(VALU_DEP_2) | instskip(NEXT) | instid1(VALU_DEP_2)
	v_fma_f64 v[10:11], v[4:5], v[8:9], -v[16:17]
	v_fmac_f64_e32 v[12:13], v[2:3], v[8:9]
	scratch_store_b128 off, v[10:13], off offset:48
.LBB63_27:
	s_wait_xcnt 0x0
	s_or_b32 exec_lo, exec_lo, s4
	s_wait_storecnt 0x0
	s_barrier_signal -1
	s_barrier_wait -1
	scratch_load_b128 v[2:5], off, s51
	v_cmp_gt_u32_e64 s3, 4, v1
	s_wait_loadcnt 0x0
	ds_store_b128 v6, v[2:5]
	s_wait_dscnt 0x0
	s_barrier_signal -1
	s_barrier_wait -1
	s_and_saveexec_b32 s5, s3
	s_cbranch_execz .LBB63_31
; %bb.28:
	v_dual_mov_b32 v10, v14 :: v_dual_add_nc_u32 v8, -1, v1
	v_mov_b64_e32 v[2:3], 0
	v_mov_b64_e32 v[4:5], 0
	v_add_nc_u32_e32 v9, 0x400, v14
	s_delay_alu instid0(VALU_DEP_4)
	v_or_b32_e32 v10, 8, v10
	s_mov_b32 s79, 0
.LBB63_29:                              ; =>This Inner Loop Header: Depth=1
	scratch_load_b128 v[16:19], v10, off offset:-8
	ds_load_b128 v[20:23], v9
	v_dual_add_nc_u32 v8, 1, v8 :: v_dual_add_nc_u32 v9, 16, v9
	s_wait_xcnt 0x0
	v_add_nc_u32_e32 v10, 16, v10
	s_delay_alu instid0(VALU_DEP_2) | instskip(SKIP_4) | instid1(VALU_DEP_2)
	v_cmp_lt_u32_e64 s4, 2, v8
	s_or_b32 s79, s4, s79
	s_wait_loadcnt_dscnt 0x0
	v_mul_f64_e32 v[12:13], v[22:23], v[18:19]
	v_mul_f64_e32 v[18:19], v[20:21], v[18:19]
	v_fma_f64 v[12:13], v[20:21], v[16:17], -v[12:13]
	s_delay_alu instid0(VALU_DEP_2) | instskip(NEXT) | instid1(VALU_DEP_2)
	v_fmac_f64_e32 v[18:19], v[22:23], v[16:17]
	v_add_f64_e32 v[4:5], v[4:5], v[12:13]
	s_delay_alu instid0(VALU_DEP_2)
	v_add_f64_e32 v[2:3], v[2:3], v[18:19]
	s_and_not1_b32 exec_lo, exec_lo, s79
	s_cbranch_execnz .LBB63_29
; %bb.30:
	s_or_b32 exec_lo, exec_lo, s79
	v_mov_b32_e32 v8, 0
	ds_load_b128 v[8:11], v8 offset:64
	s_wait_dscnt 0x0
	v_mul_f64_e32 v[16:17], v[2:3], v[10:11]
	v_mul_f64_e32 v[12:13], v[4:5], v[10:11]
	s_delay_alu instid0(VALU_DEP_2) | instskip(NEXT) | instid1(VALU_DEP_2)
	v_fma_f64 v[10:11], v[4:5], v[8:9], -v[16:17]
	v_fmac_f64_e32 v[12:13], v[2:3], v[8:9]
	scratch_store_b128 off, v[10:13], off offset:64
.LBB63_31:
	s_wait_xcnt 0x0
	s_or_b32 exec_lo, exec_lo, s5
	s_wait_storecnt 0x0
	s_barrier_signal -1
	s_barrier_wait -1
	scratch_load_b128 v[2:5], off, s77
	s_mov_b32 s5, exec_lo
	s_wait_loadcnt 0x0
	ds_store_b128 v6, v[2:5]
	s_wait_dscnt 0x0
	s_barrier_signal -1
	s_barrier_wait -1
	v_cmpx_gt_u32_e32 5, v1
	s_cbranch_execz .LBB63_35
; %bb.32:
	v_dual_mov_b32 v10, v14 :: v_dual_add_nc_u32 v8, -1, v1
	v_mov_b64_e32 v[2:3], 0
	v_mov_b64_e32 v[4:5], 0
	v_add_nc_u32_e32 v9, 0x400, v14
	s_delay_alu instid0(VALU_DEP_4)
	v_or_b32_e32 v10, 8, v10
	s_mov_b32 s79, 0
.LBB63_33:                              ; =>This Inner Loop Header: Depth=1
	scratch_load_b128 v[16:19], v10, off offset:-8
	ds_load_b128 v[20:23], v9
	v_dual_add_nc_u32 v8, 1, v8 :: v_dual_add_nc_u32 v9, 16, v9
	s_wait_xcnt 0x0
	v_add_nc_u32_e32 v10, 16, v10
	s_delay_alu instid0(VALU_DEP_2) | instskip(SKIP_4) | instid1(VALU_DEP_2)
	v_cmp_lt_u32_e64 s4, 3, v8
	s_or_b32 s79, s4, s79
	s_wait_loadcnt_dscnt 0x0
	v_mul_f64_e32 v[12:13], v[22:23], v[18:19]
	v_mul_f64_e32 v[18:19], v[20:21], v[18:19]
	v_fma_f64 v[12:13], v[20:21], v[16:17], -v[12:13]
	s_delay_alu instid0(VALU_DEP_2) | instskip(NEXT) | instid1(VALU_DEP_2)
	v_fmac_f64_e32 v[18:19], v[22:23], v[16:17]
	v_add_f64_e32 v[4:5], v[4:5], v[12:13]
	s_delay_alu instid0(VALU_DEP_2)
	v_add_f64_e32 v[2:3], v[2:3], v[18:19]
	s_and_not1_b32 exec_lo, exec_lo, s79
	s_cbranch_execnz .LBB63_33
; %bb.34:
	s_or_b32 exec_lo, exec_lo, s79
	v_mov_b32_e32 v8, 0
	ds_load_b128 v[8:11], v8 offset:80
	s_wait_dscnt 0x0
	v_mul_f64_e32 v[16:17], v[2:3], v[10:11]
	v_mul_f64_e32 v[12:13], v[4:5], v[10:11]
	s_delay_alu instid0(VALU_DEP_2) | instskip(NEXT) | instid1(VALU_DEP_2)
	v_fma_f64 v[10:11], v[4:5], v[8:9], -v[16:17]
	v_fmac_f64_e32 v[12:13], v[2:3], v[8:9]
	scratch_store_b128 off, v[10:13], off offset:80
.LBB63_35:
	s_wait_xcnt 0x0
	s_or_b32 exec_lo, exec_lo, s5
	s_wait_storecnt 0x0
	s_barrier_signal -1
	s_barrier_wait -1
	scratch_load_b128 v[2:5], off, s76
	v_cmp_gt_u32_e64 s4, 6, v1
	s_wait_loadcnt 0x0
	ds_store_b128 v6, v[2:5]
	s_wait_dscnt 0x0
	s_barrier_signal -1
	s_barrier_wait -1
	s_and_saveexec_b32 s79, s4
	s_cbranch_execz .LBB63_39
; %bb.36:
	v_dual_mov_b32 v10, v14 :: v_dual_add_nc_u32 v8, -1, v1
	v_mov_b64_e32 v[2:3], 0
	v_mov_b64_e32 v[4:5], 0
	v_add_nc_u32_e32 v9, 0x400, v14
	s_delay_alu instid0(VALU_DEP_4)
	v_or_b32_e32 v10, 8, v10
	s_mov_b32 s80, 0
.LBB63_37:                              ; =>This Inner Loop Header: Depth=1
	scratch_load_b128 v[16:19], v10, off offset:-8
	ds_load_b128 v[20:23], v9
	v_dual_add_nc_u32 v8, 1, v8 :: v_dual_add_nc_u32 v9, 16, v9
	s_wait_xcnt 0x0
	v_add_nc_u32_e32 v10, 16, v10
	s_delay_alu instid0(VALU_DEP_2) | instskip(SKIP_4) | instid1(VALU_DEP_2)
	v_cmp_lt_u32_e64 s5, 4, v8
	s_or_b32 s80, s5, s80
	s_wait_loadcnt_dscnt 0x0
	v_mul_f64_e32 v[12:13], v[22:23], v[18:19]
	v_mul_f64_e32 v[18:19], v[20:21], v[18:19]
	v_fma_f64 v[12:13], v[20:21], v[16:17], -v[12:13]
	s_delay_alu instid0(VALU_DEP_2) | instskip(NEXT) | instid1(VALU_DEP_2)
	v_fmac_f64_e32 v[18:19], v[22:23], v[16:17]
	v_add_f64_e32 v[4:5], v[4:5], v[12:13]
	s_delay_alu instid0(VALU_DEP_2)
	v_add_f64_e32 v[2:3], v[2:3], v[18:19]
	s_and_not1_b32 exec_lo, exec_lo, s80
	s_cbranch_execnz .LBB63_37
; %bb.38:
	s_or_b32 exec_lo, exec_lo, s80
	v_mov_b32_e32 v8, 0
	ds_load_b128 v[8:11], v8 offset:96
	s_wait_dscnt 0x0
	v_mul_f64_e32 v[16:17], v[2:3], v[10:11]
	v_mul_f64_e32 v[12:13], v[4:5], v[10:11]
	s_delay_alu instid0(VALU_DEP_2) | instskip(NEXT) | instid1(VALU_DEP_2)
	v_fma_f64 v[10:11], v[4:5], v[8:9], -v[16:17]
	v_fmac_f64_e32 v[12:13], v[2:3], v[8:9]
	scratch_store_b128 off, v[10:13], off offset:96
.LBB63_39:
	s_wait_xcnt 0x0
	s_or_b32 exec_lo, exec_lo, s79
	s_wait_storecnt 0x0
	s_barrier_signal -1
	s_barrier_wait -1
	scratch_load_b128 v[2:5], off, s75
	s_mov_b32 s79, exec_lo
	s_wait_loadcnt 0x0
	ds_store_b128 v6, v[2:5]
	s_wait_dscnt 0x0
	s_barrier_signal -1
	s_barrier_wait -1
	v_cmpx_gt_u32_e32 7, v1
	s_cbranch_execz .LBB63_43
; %bb.40:
	v_dual_mov_b32 v10, v14 :: v_dual_add_nc_u32 v8, -1, v1
	v_mov_b64_e32 v[2:3], 0
	v_mov_b64_e32 v[4:5], 0
	v_add_nc_u32_e32 v9, 0x400, v14
	s_delay_alu instid0(VALU_DEP_4)
	v_or_b32_e32 v10, 8, v10
	s_mov_b32 s80, 0
.LBB63_41:                              ; =>This Inner Loop Header: Depth=1
	scratch_load_b128 v[16:19], v10, off offset:-8
	ds_load_b128 v[20:23], v9
	v_dual_add_nc_u32 v8, 1, v8 :: v_dual_add_nc_u32 v9, 16, v9
	s_wait_xcnt 0x0
	v_add_nc_u32_e32 v10, 16, v10
	s_delay_alu instid0(VALU_DEP_2) | instskip(SKIP_4) | instid1(VALU_DEP_2)
	v_cmp_lt_u32_e64 s5, 5, v8
	s_or_b32 s80, s5, s80
	s_wait_loadcnt_dscnt 0x0
	v_mul_f64_e32 v[12:13], v[22:23], v[18:19]
	v_mul_f64_e32 v[18:19], v[20:21], v[18:19]
	v_fma_f64 v[12:13], v[20:21], v[16:17], -v[12:13]
	s_delay_alu instid0(VALU_DEP_2) | instskip(NEXT) | instid1(VALU_DEP_2)
	v_fmac_f64_e32 v[18:19], v[22:23], v[16:17]
	v_add_f64_e32 v[4:5], v[4:5], v[12:13]
	s_delay_alu instid0(VALU_DEP_2)
	v_add_f64_e32 v[2:3], v[2:3], v[18:19]
	s_and_not1_b32 exec_lo, exec_lo, s80
	s_cbranch_execnz .LBB63_41
; %bb.42:
	s_or_b32 exec_lo, exec_lo, s80
	v_mov_b32_e32 v8, 0
	ds_load_b128 v[8:11], v8 offset:112
	s_wait_dscnt 0x0
	v_mul_f64_e32 v[16:17], v[2:3], v[10:11]
	v_mul_f64_e32 v[12:13], v[4:5], v[10:11]
	s_delay_alu instid0(VALU_DEP_2) | instskip(NEXT) | instid1(VALU_DEP_2)
	v_fma_f64 v[10:11], v[4:5], v[8:9], -v[16:17]
	v_fmac_f64_e32 v[12:13], v[2:3], v[8:9]
	scratch_store_b128 off, v[10:13], off offset:112
.LBB63_43:
	s_wait_xcnt 0x0
	s_or_b32 exec_lo, exec_lo, s79
	s_wait_storecnt 0x0
	s_barrier_signal -1
	s_barrier_wait -1
	scratch_load_b128 v[2:5], off, s74
	s_mov_b32 s79, exec_lo
	s_wait_loadcnt 0x0
	ds_store_b128 v6, v[2:5]
	s_wait_dscnt 0x0
	s_barrier_signal -1
	s_barrier_wait -1
	v_cmpx_gt_u32_e32 8, v1
	s_cbranch_execz .LBB63_59
; %bb.44:
	scratch_load_b128 v[2:5], v15, off
	ds_load_b128 v[8:11], v6
	s_mov_b32 s80, exec_lo
	s_wait_loadcnt_dscnt 0x0
	v_mul_f64_e32 v[12:13], v[10:11], v[4:5]
	v_mul_f64_e32 v[16:17], v[8:9], v[4:5]
	s_delay_alu instid0(VALU_DEP_2) | instskip(NEXT) | instid1(VALU_DEP_2)
	v_fma_f64 v[4:5], v[8:9], v[2:3], -v[12:13]
	v_fmac_f64_e32 v[16:17], v[10:11], v[2:3]
	s_delay_alu instid0(VALU_DEP_2) | instskip(NEXT) | instid1(VALU_DEP_2)
	v_add_f64_e32 v[4:5], 0, v[4:5]
	v_add_f64_e32 v[2:3], 0, v[16:17]
	v_cmpx_ne_u32_e32 7, v1
	s_cbranch_execz .LBB63_58
; %bb.45:
	scratch_load_b128 v[8:11], v15, off offset:16
	ds_load_b128 v[16:19], v6 offset:16
	s_wait_loadcnt_dscnt 0x0
	v_mul_f64_e32 v[12:13], v[18:19], v[10:11]
	v_mul_f64_e32 v[10:11], v[16:17], v[10:11]
	s_delay_alu instid0(VALU_DEP_2) | instskip(NEXT) | instid1(VALU_DEP_2)
	v_fma_f64 v[12:13], v[16:17], v[8:9], -v[12:13]
	v_fmac_f64_e32 v[10:11], v[18:19], v[8:9]
	s_delay_alu instid0(VALU_DEP_2) | instskip(NEXT) | instid1(VALU_DEP_2)
	v_add_f64_e32 v[4:5], v[4:5], v[12:13]
	v_add_f64_e32 v[2:3], v[2:3], v[10:11]
	s_and_saveexec_b32 s5, s4
	s_cbranch_execz .LBB63_57
; %bb.46:
	scratch_load_b128 v[8:11], v15, off offset:32
	ds_load_b128 v[16:19], v6 offset:32
	s_mov_b32 s81, exec_lo
	s_wait_loadcnt_dscnt 0x0
	v_mul_f64_e32 v[12:13], v[18:19], v[10:11]
	v_mul_f64_e32 v[10:11], v[16:17], v[10:11]
	s_delay_alu instid0(VALU_DEP_2) | instskip(NEXT) | instid1(VALU_DEP_2)
	v_fma_f64 v[12:13], v[16:17], v[8:9], -v[12:13]
	v_fmac_f64_e32 v[10:11], v[18:19], v[8:9]
	s_delay_alu instid0(VALU_DEP_2) | instskip(NEXT) | instid1(VALU_DEP_2)
	v_add_f64_e32 v[4:5], v[4:5], v[12:13]
	v_add_f64_e32 v[2:3], v[2:3], v[10:11]
	v_cmpx_ne_u32_e32 5, v1
	s_cbranch_execz .LBB63_56
; %bb.47:
	scratch_load_b128 v[8:11], v15, off offset:48
	ds_load_b128 v[16:19], v6 offset:48
	s_wait_loadcnt_dscnt 0x0
	v_mul_f64_e32 v[12:13], v[18:19], v[10:11]
	v_mul_f64_e32 v[10:11], v[16:17], v[10:11]
	s_delay_alu instid0(VALU_DEP_2) | instskip(NEXT) | instid1(VALU_DEP_2)
	v_fma_f64 v[12:13], v[16:17], v[8:9], -v[12:13]
	v_fmac_f64_e32 v[10:11], v[18:19], v[8:9]
	s_delay_alu instid0(VALU_DEP_2) | instskip(NEXT) | instid1(VALU_DEP_2)
	v_add_f64_e32 v[4:5], v[4:5], v[12:13]
	v_add_f64_e32 v[2:3], v[2:3], v[10:11]
	s_and_saveexec_b32 s4, s3
	s_cbranch_execz .LBB63_55
; %bb.48:
	scratch_load_b128 v[8:11], v15, off offset:64
	ds_load_b128 v[16:19], v6 offset:64
	s_mov_b32 s82, exec_lo
	s_wait_loadcnt_dscnt 0x0
	v_mul_f64_e32 v[12:13], v[18:19], v[10:11]
	v_mul_f64_e32 v[10:11], v[16:17], v[10:11]
	s_delay_alu instid0(VALU_DEP_2) | instskip(NEXT) | instid1(VALU_DEP_2)
	v_fma_f64 v[12:13], v[16:17], v[8:9], -v[12:13]
	v_fmac_f64_e32 v[10:11], v[18:19], v[8:9]
	s_delay_alu instid0(VALU_DEP_2) | instskip(NEXT) | instid1(VALU_DEP_2)
	v_add_f64_e32 v[4:5], v[4:5], v[12:13]
	v_add_f64_e32 v[2:3], v[2:3], v[10:11]
	v_cmpx_ne_u32_e32 3, v1
	s_cbranch_execz .LBB63_54
; %bb.49:
	scratch_load_b128 v[8:11], v15, off offset:80
	ds_load_b128 v[16:19], v6 offset:80
	s_wait_loadcnt_dscnt 0x0
	v_mul_f64_e32 v[12:13], v[18:19], v[10:11]
	v_mul_f64_e32 v[10:11], v[16:17], v[10:11]
	s_delay_alu instid0(VALU_DEP_2) | instskip(NEXT) | instid1(VALU_DEP_2)
	v_fma_f64 v[12:13], v[16:17], v[8:9], -v[12:13]
	v_fmac_f64_e32 v[10:11], v[18:19], v[8:9]
	s_delay_alu instid0(VALU_DEP_2) | instskip(NEXT) | instid1(VALU_DEP_2)
	v_add_f64_e32 v[4:5], v[4:5], v[12:13]
	v_add_f64_e32 v[2:3], v[2:3], v[10:11]
	s_and_saveexec_b32 s3, vcc_lo
	s_cbranch_execz .LBB63_53
; %bb.50:
	scratch_load_b128 v[8:11], v15, off offset:96
	ds_load_b128 v[16:19], v6 offset:96
	s_wait_loadcnt_dscnt 0x0
	v_mul_f64_e32 v[12:13], v[18:19], v[10:11]
	v_mul_f64_e32 v[10:11], v[16:17], v[10:11]
	s_delay_alu instid0(VALU_DEP_2) | instskip(NEXT) | instid1(VALU_DEP_2)
	v_fma_f64 v[12:13], v[16:17], v[8:9], -v[12:13]
	v_fmac_f64_e32 v[10:11], v[18:19], v[8:9]
	s_delay_alu instid0(VALU_DEP_2) | instskip(NEXT) | instid1(VALU_DEP_2)
	v_add_f64_e32 v[4:5], v[4:5], v[12:13]
	v_add_f64_e32 v[2:3], v[2:3], v[10:11]
	s_and_saveexec_b32 s83, s2
	s_cbranch_execz .LBB63_52
; %bb.51:
	scratch_load_b128 v[8:11], v15, off offset:112
	ds_load_b128 v[16:19], v6 offset:112
	s_wait_loadcnt_dscnt 0x0
	v_mul_f64_e32 v[12:13], v[18:19], v[10:11]
	v_mul_f64_e32 v[10:11], v[16:17], v[10:11]
	s_delay_alu instid0(VALU_DEP_2) | instskip(NEXT) | instid1(VALU_DEP_2)
	v_fma_f64 v[12:13], v[16:17], v[8:9], -v[12:13]
	v_fmac_f64_e32 v[10:11], v[18:19], v[8:9]
	s_delay_alu instid0(VALU_DEP_2) | instskip(NEXT) | instid1(VALU_DEP_2)
	v_add_f64_e32 v[4:5], v[4:5], v[12:13]
	v_add_f64_e32 v[2:3], v[2:3], v[10:11]
.LBB63_52:
	s_or_b32 exec_lo, exec_lo, s83
.LBB63_53:
	s_delay_alu instid0(SALU_CYCLE_1)
	s_or_b32 exec_lo, exec_lo, s3
.LBB63_54:
	s_delay_alu instid0(SALU_CYCLE_1)
	s_or_b32 exec_lo, exec_lo, s82
.LBB63_55:
	s_delay_alu instid0(SALU_CYCLE_1)
	s_or_b32 exec_lo, exec_lo, s4
.LBB63_56:
	s_delay_alu instid0(SALU_CYCLE_1)
	s_or_b32 exec_lo, exec_lo, s81
.LBB63_57:
	s_delay_alu instid0(SALU_CYCLE_1)
	s_or_b32 exec_lo, exec_lo, s5
.LBB63_58:
	s_delay_alu instid0(SALU_CYCLE_1)
	s_or_b32 exec_lo, exec_lo, s80
	v_mov_b32_e32 v8, 0
	ds_load_b128 v[8:11], v8 offset:128
	s_wait_dscnt 0x0
	v_mul_f64_e32 v[16:17], v[2:3], v[10:11]
	v_mul_f64_e32 v[12:13], v[4:5], v[10:11]
	s_delay_alu instid0(VALU_DEP_2) | instskip(NEXT) | instid1(VALU_DEP_2)
	v_fma_f64 v[10:11], v[4:5], v[8:9], -v[16:17]
	v_fmac_f64_e32 v[12:13], v[2:3], v[8:9]
	scratch_store_b128 off, v[10:13], off offset:128
.LBB63_59:
	s_wait_xcnt 0x0
	s_or_b32 exec_lo, exec_lo, s79
	s_wait_storecnt 0x0
	s_barrier_signal -1
	s_barrier_wait -1
	scratch_load_b128 v[2:5], off, s73
	s_mov_b32 s2, exec_lo
	s_wait_loadcnt 0x0
	ds_store_b128 v6, v[2:5]
	s_wait_dscnt 0x0
	s_barrier_signal -1
	s_barrier_wait -1
	v_cmpx_gt_u32_e32 9, v1
	s_cbranch_execz .LBB63_63
; %bb.60:
	v_dual_mov_b32 v10, v14 :: v_dual_add_nc_u32 v8, -1, v1
	v_mov_b64_e32 v[2:3], 0
	v_mov_b64_e32 v[4:5], 0
	v_add_nc_u32_e32 v9, 0x400, v14
	s_delay_alu instid0(VALU_DEP_4)
	v_or_b32_e32 v10, 8, v10
	s_mov_b32 s3, 0
.LBB63_61:                              ; =>This Inner Loop Header: Depth=1
	scratch_load_b128 v[16:19], v10, off offset:-8
	ds_load_b128 v[20:23], v9
	v_dual_add_nc_u32 v8, 1, v8 :: v_dual_add_nc_u32 v9, 16, v9
	s_wait_xcnt 0x0
	v_add_nc_u32_e32 v10, 16, v10
	s_delay_alu instid0(VALU_DEP_2) | instskip(SKIP_4) | instid1(VALU_DEP_2)
	v_cmp_lt_u32_e32 vcc_lo, 7, v8
	s_or_b32 s3, vcc_lo, s3
	s_wait_loadcnt_dscnt 0x0
	v_mul_f64_e32 v[12:13], v[22:23], v[18:19]
	v_mul_f64_e32 v[18:19], v[20:21], v[18:19]
	v_fma_f64 v[12:13], v[20:21], v[16:17], -v[12:13]
	s_delay_alu instid0(VALU_DEP_2) | instskip(NEXT) | instid1(VALU_DEP_2)
	v_fmac_f64_e32 v[18:19], v[22:23], v[16:17]
	v_add_f64_e32 v[4:5], v[4:5], v[12:13]
	s_delay_alu instid0(VALU_DEP_2)
	v_add_f64_e32 v[2:3], v[2:3], v[18:19]
	s_and_not1_b32 exec_lo, exec_lo, s3
	s_cbranch_execnz .LBB63_61
; %bb.62:
	s_or_b32 exec_lo, exec_lo, s3
	v_mov_b32_e32 v8, 0
	ds_load_b128 v[8:11], v8 offset:144
	s_wait_dscnt 0x0
	v_mul_f64_e32 v[16:17], v[2:3], v[10:11]
	v_mul_f64_e32 v[12:13], v[4:5], v[10:11]
	s_delay_alu instid0(VALU_DEP_2) | instskip(NEXT) | instid1(VALU_DEP_2)
	v_fma_f64 v[10:11], v[4:5], v[8:9], -v[16:17]
	v_fmac_f64_e32 v[12:13], v[2:3], v[8:9]
	scratch_store_b128 off, v[10:13], off offset:144
.LBB63_63:
	s_wait_xcnt 0x0
	s_or_b32 exec_lo, exec_lo, s2
	s_wait_storecnt 0x0
	s_barrier_signal -1
	s_barrier_wait -1
	scratch_load_b128 v[2:5], off, s72
	s_mov_b32 s2, exec_lo
	s_wait_loadcnt 0x0
	ds_store_b128 v6, v[2:5]
	s_wait_dscnt 0x0
	s_barrier_signal -1
	s_barrier_wait -1
	v_cmpx_gt_u32_e32 10, v1
	s_cbranch_execz .LBB63_67
; %bb.64:
	v_dual_mov_b32 v10, v14 :: v_dual_add_nc_u32 v8, -1, v1
	v_mov_b64_e32 v[2:3], 0
	v_mov_b64_e32 v[4:5], 0
	v_add_nc_u32_e32 v9, 0x400, v14
	s_delay_alu instid0(VALU_DEP_4)
	v_or_b32_e32 v10, 8, v10
	s_mov_b32 s3, 0
.LBB63_65:                              ; =>This Inner Loop Header: Depth=1
	scratch_load_b128 v[16:19], v10, off offset:-8
	ds_load_b128 v[20:23], v9
	v_dual_add_nc_u32 v8, 1, v8 :: v_dual_add_nc_u32 v9, 16, v9
	s_wait_xcnt 0x0
	v_add_nc_u32_e32 v10, 16, v10
	s_delay_alu instid0(VALU_DEP_2) | instskip(SKIP_4) | instid1(VALU_DEP_2)
	v_cmp_lt_u32_e32 vcc_lo, 8, v8
	s_or_b32 s3, vcc_lo, s3
	s_wait_loadcnt_dscnt 0x0
	v_mul_f64_e32 v[12:13], v[22:23], v[18:19]
	v_mul_f64_e32 v[18:19], v[20:21], v[18:19]
	v_fma_f64 v[12:13], v[20:21], v[16:17], -v[12:13]
	s_delay_alu instid0(VALU_DEP_2) | instskip(NEXT) | instid1(VALU_DEP_2)
	v_fmac_f64_e32 v[18:19], v[22:23], v[16:17]
	v_add_f64_e32 v[4:5], v[4:5], v[12:13]
	s_delay_alu instid0(VALU_DEP_2)
	v_add_f64_e32 v[2:3], v[2:3], v[18:19]
	s_and_not1_b32 exec_lo, exec_lo, s3
	s_cbranch_execnz .LBB63_65
; %bb.66:
	s_or_b32 exec_lo, exec_lo, s3
	v_mov_b32_e32 v8, 0
	ds_load_b128 v[8:11], v8 offset:160
	s_wait_dscnt 0x0
	v_mul_f64_e32 v[16:17], v[2:3], v[10:11]
	v_mul_f64_e32 v[12:13], v[4:5], v[10:11]
	s_delay_alu instid0(VALU_DEP_2) | instskip(NEXT) | instid1(VALU_DEP_2)
	v_fma_f64 v[10:11], v[4:5], v[8:9], -v[16:17]
	v_fmac_f64_e32 v[12:13], v[2:3], v[8:9]
	scratch_store_b128 off, v[10:13], off offset:160
.LBB63_67:
	;; [unrolled: 54-line block ×10, first 2 shown]
	s_wait_xcnt 0x0
	s_or_b32 exec_lo, exec_lo, s2
	s_wait_storecnt 0x0
	s_barrier_signal -1
	s_barrier_wait -1
	scratch_load_b128 v[2:5], off, s65
	s_mov_b32 s2, exec_lo
	s_wait_loadcnt 0x0
	ds_store_b128 v6, v[2:5]
	s_wait_dscnt 0x0
	s_barrier_signal -1
	s_barrier_wait -1
	v_cmpx_gt_u32_e32 19, v1
	s_cbranch_execz .LBB63_103
; %bb.100:
	v_dual_mov_b32 v10, v14 :: v_dual_add_nc_u32 v8, -1, v1
	v_mov_b64_e32 v[2:3], 0
	v_mov_b64_e32 v[4:5], 0
	v_add_nc_u32_e32 v9, 0x400, v14
	s_delay_alu instid0(VALU_DEP_4)
	v_or_b32_e32 v10, 8, v10
	s_mov_b32 s3, 0
.LBB63_101:                             ; =>This Inner Loop Header: Depth=1
	scratch_load_b128 v[16:19], v10, off offset:-8
	ds_load_b128 v[20:23], v9
	v_dual_add_nc_u32 v8, 1, v8 :: v_dual_add_nc_u32 v9, 16, v9
	s_wait_xcnt 0x0
	v_add_nc_u32_e32 v10, 16, v10
	s_delay_alu instid0(VALU_DEP_2) | instskip(SKIP_4) | instid1(VALU_DEP_2)
	v_cmp_lt_u32_e32 vcc_lo, 17, v8
	s_or_b32 s3, vcc_lo, s3
	s_wait_loadcnt_dscnt 0x0
	v_mul_f64_e32 v[12:13], v[22:23], v[18:19]
	v_mul_f64_e32 v[18:19], v[20:21], v[18:19]
	v_fma_f64 v[12:13], v[20:21], v[16:17], -v[12:13]
	s_delay_alu instid0(VALU_DEP_2) | instskip(NEXT) | instid1(VALU_DEP_2)
	v_fmac_f64_e32 v[18:19], v[22:23], v[16:17]
	v_add_f64_e32 v[4:5], v[4:5], v[12:13]
	s_delay_alu instid0(VALU_DEP_2)
	v_add_f64_e32 v[2:3], v[2:3], v[18:19]
	s_and_not1_b32 exec_lo, exec_lo, s3
	s_cbranch_execnz .LBB63_101
; %bb.102:
	s_or_b32 exec_lo, exec_lo, s3
	v_mov_b32_e32 v8, 0
	ds_load_b128 v[8:11], v8 offset:304
	s_wait_dscnt 0x0
	v_mul_f64_e32 v[16:17], v[2:3], v[10:11]
	v_mul_f64_e32 v[12:13], v[4:5], v[10:11]
	s_delay_alu instid0(VALU_DEP_2) | instskip(NEXT) | instid1(VALU_DEP_2)
	v_fma_f64 v[10:11], v[4:5], v[8:9], -v[16:17]
	v_fmac_f64_e32 v[12:13], v[2:3], v[8:9]
	scratch_store_b128 off, v[10:13], off offset:304
.LBB63_103:
	s_wait_xcnt 0x0
	s_or_b32 exec_lo, exec_lo, s2
	s_wait_storecnt 0x0
	s_barrier_signal -1
	s_barrier_wait -1
	scratch_load_b128 v[2:5], off, s67
	s_mov_b32 s2, exec_lo
	s_wait_loadcnt 0x0
	ds_store_b128 v6, v[2:5]
	s_wait_dscnt 0x0
	s_barrier_signal -1
	s_barrier_wait -1
	v_cmpx_gt_u32_e32 20, v1
	s_cbranch_execz .LBB63_107
; %bb.104:
	v_dual_mov_b32 v10, v14 :: v_dual_add_nc_u32 v8, -1, v1
	v_mov_b64_e32 v[2:3], 0
	v_mov_b64_e32 v[4:5], 0
	v_add_nc_u32_e32 v9, 0x400, v14
	s_delay_alu instid0(VALU_DEP_4)
	v_or_b32_e32 v10, 8, v10
	s_mov_b32 s3, 0
.LBB63_105:                             ; =>This Inner Loop Header: Depth=1
	scratch_load_b128 v[16:19], v10, off offset:-8
	ds_load_b128 v[20:23], v9
	v_dual_add_nc_u32 v8, 1, v8 :: v_dual_add_nc_u32 v9, 16, v9
	s_wait_xcnt 0x0
	v_add_nc_u32_e32 v10, 16, v10
	s_delay_alu instid0(VALU_DEP_2) | instskip(SKIP_4) | instid1(VALU_DEP_2)
	v_cmp_lt_u32_e32 vcc_lo, 18, v8
	s_or_b32 s3, vcc_lo, s3
	s_wait_loadcnt_dscnt 0x0
	v_mul_f64_e32 v[12:13], v[22:23], v[18:19]
	v_mul_f64_e32 v[18:19], v[20:21], v[18:19]
	v_fma_f64 v[12:13], v[20:21], v[16:17], -v[12:13]
	s_delay_alu instid0(VALU_DEP_2) | instskip(NEXT) | instid1(VALU_DEP_2)
	v_fmac_f64_e32 v[18:19], v[22:23], v[16:17]
	v_add_f64_e32 v[4:5], v[4:5], v[12:13]
	s_delay_alu instid0(VALU_DEP_2)
	v_add_f64_e32 v[2:3], v[2:3], v[18:19]
	s_and_not1_b32 exec_lo, exec_lo, s3
	s_cbranch_execnz .LBB63_105
; %bb.106:
	s_or_b32 exec_lo, exec_lo, s3
	v_mov_b32_e32 v8, 0
	ds_load_b128 v[8:11], v8 offset:320
	s_wait_dscnt 0x0
	v_mul_f64_e32 v[16:17], v[2:3], v[10:11]
	v_mul_f64_e32 v[12:13], v[4:5], v[10:11]
	s_delay_alu instid0(VALU_DEP_2) | instskip(NEXT) | instid1(VALU_DEP_2)
	v_fma_f64 v[10:11], v[4:5], v[8:9], -v[16:17]
	v_fmac_f64_e32 v[12:13], v[2:3], v[8:9]
	scratch_store_b128 off, v[10:13], off offset:320
.LBB63_107:
	;; [unrolled: 54-line block ×44, first 2 shown]
	s_wait_xcnt 0x0
	s_or_b32 exec_lo, exec_lo, s2
	s_wait_storecnt 0x0
	s_barrier_signal -1
	s_barrier_wait -1
	scratch_load_b128 v[2:5], off, s50
	s_mov_b32 s2, exec_lo
	s_wait_loadcnt 0x0
	ds_store_b128 v6, v[2:5]
	s_wait_dscnt 0x0
	s_barrier_signal -1
	s_barrier_wait -1
	v_cmpx_ne_u32_e32 63, v1
	s_cbranch_execz .LBB63_279
; %bb.276:
	v_mov_b32_e32 v8, v14
	v_mov_b64_e32 v[2:3], 0
	v_mov_b64_e32 v[4:5], 0
	s_mov_b32 s3, 0
	s_delay_alu instid0(VALU_DEP_3)
	v_or_b32_e32 v8, 8, v8
.LBB63_277:                             ; =>This Inner Loop Header: Depth=1
	scratch_load_b128 v[10:13], v8, off offset:-8
	ds_load_b128 v[14:17], v6
	v_dual_add_nc_u32 v7, 1, v7 :: v_dual_add_nc_u32 v6, 16, v6
	s_wait_xcnt 0x0
	v_add_nc_u32_e32 v8, 16, v8
	s_delay_alu instid0(VALU_DEP_2) | instskip(SKIP_4) | instid1(VALU_DEP_2)
	v_cmp_lt_u32_e32 vcc_lo, 61, v7
	s_or_b32 s3, vcc_lo, s3
	s_wait_loadcnt_dscnt 0x0
	v_mul_f64_e32 v[18:19], v[16:17], v[12:13]
	v_mul_f64_e32 v[12:13], v[14:15], v[12:13]
	v_fma_f64 v[14:15], v[14:15], v[10:11], -v[18:19]
	s_delay_alu instid0(VALU_DEP_2) | instskip(NEXT) | instid1(VALU_DEP_2)
	v_fmac_f64_e32 v[12:13], v[16:17], v[10:11]
	v_add_f64_e32 v[4:5], v[4:5], v[14:15]
	s_delay_alu instid0(VALU_DEP_2)
	v_add_f64_e32 v[2:3], v[2:3], v[12:13]
	s_and_not1_b32 exec_lo, exec_lo, s3
	s_cbranch_execnz .LBB63_277
; %bb.278:
	s_or_b32 exec_lo, exec_lo, s3
	v_mov_b32_e32 v6, 0
	ds_load_b128 v[6:9], v6 offset:1008
	s_wait_dscnt 0x0
	v_mul_f64_e32 v[12:13], v[2:3], v[8:9]
	v_mul_f64_e32 v[10:11], v[4:5], v[8:9]
	s_delay_alu instid0(VALU_DEP_2) | instskip(NEXT) | instid1(VALU_DEP_2)
	v_fma_f64 v[8:9], v[4:5], v[6:7], -v[12:13]
	v_fmac_f64_e32 v[10:11], v[2:3], v[6:7]
	scratch_store_b128 off, v[8:11], off offset:1008
.LBB63_279:
	s_wait_xcnt 0x0
	s_or_b32 exec_lo, exec_lo, s2
	s_mov_b32 s3, -1
	s_wait_storecnt 0x0
	s_barrier_signal -1
	s_barrier_wait -1
.LBB63_280:
	s_and_b32 vcc_lo, exec_lo, s3
	s_cbranch_vccz .LBB63_282
; %bb.281:
	s_wait_xcnt 0x1b
	v_mov_b32_e32 v2, 0
	s_lshl_b64 s[2:3], s[18:19], 2
	s_delay_alu instid0(SALU_CYCLE_1)
	s_add_nc_u64 s[2:3], s[6:7], s[2:3]
	global_load_b32 v2, v2, s[2:3]
	s_wait_loadcnt 0x0
	v_cmp_ne_u32_e32 vcc_lo, 0, v2
	s_cbranch_vccz .LBB63_283
.LBB63_282:
	s_sendmsg sendmsg(MSG_DEALLOC_VGPRS)
	s_endpgm
.LBB63_283:
	s_wait_xcnt 0x12
	v_lshl_add_u32 v160, v1, 4, 0x400
	s_wait_xcnt 0x0
	s_mov_b32 s2, exec_lo
	v_cmpx_eq_u32_e32 63, v1
	s_cbranch_execz .LBB63_285
; %bb.284:
	scratch_load_b128 v[2:5], off, s28
	v_mov_b32_e32 v6, 0
	s_delay_alu instid0(VALU_DEP_1)
	v_dual_mov_b32 v7, v6 :: v_dual_mov_b32 v8, v6
	v_mov_b32_e32 v9, v6
	scratch_store_b128 off, v[6:9], off offset:992
	s_wait_loadcnt 0x0
	ds_store_b128 v160, v[2:5]
.LBB63_285:
	s_wait_xcnt 0x0
	s_or_b32 exec_lo, exec_lo, s2
	s_wait_storecnt_dscnt 0x0
	s_barrier_signal -1
	s_barrier_wait -1
	s_clause 0x1
	scratch_load_b128 v[4:7], off, off offset:1008
	scratch_load_b128 v[8:11], off, off offset:992
	v_mov_b32_e32 v2, 0
	s_mov_b32 s2, exec_lo
	ds_load_b128 v[12:15], v2 offset:2032
	s_wait_loadcnt_dscnt 0x100
	v_mul_f64_e32 v[16:17], v[14:15], v[6:7]
	v_mul_f64_e32 v[6:7], v[12:13], v[6:7]
	s_delay_alu instid0(VALU_DEP_2) | instskip(NEXT) | instid1(VALU_DEP_2)
	v_fma_f64 v[12:13], v[12:13], v[4:5], -v[16:17]
	v_fmac_f64_e32 v[6:7], v[14:15], v[4:5]
	s_delay_alu instid0(VALU_DEP_2) | instskip(NEXT) | instid1(VALU_DEP_2)
	v_add_f64_e32 v[4:5], 0, v[12:13]
	v_add_f64_e32 v[6:7], 0, v[6:7]
	s_wait_loadcnt 0x0
	s_delay_alu instid0(VALU_DEP_2) | instskip(NEXT) | instid1(VALU_DEP_2)
	v_add_f64_e64 v[4:5], v[8:9], -v[4:5]
	v_add_f64_e64 v[6:7], v[10:11], -v[6:7]
	scratch_store_b128 off, v[4:7], off offset:992
	s_wait_xcnt 0x0
	v_cmpx_lt_u32_e32 61, v1
	s_cbranch_execz .LBB63_287
; %bb.286:
	scratch_load_b128 v[6:9], off, s26
	v_dual_mov_b32 v3, v2 :: v_dual_mov_b32 v4, v2
	v_mov_b32_e32 v5, v2
	scratch_store_b128 off, v[2:5], off offset:976
	s_wait_loadcnt 0x0
	ds_store_b128 v160, v[6:9]
.LBB63_287:
	s_wait_xcnt 0x0
	s_or_b32 exec_lo, exec_lo, s2
	s_wait_storecnt_dscnt 0x0
	s_barrier_signal -1
	s_barrier_wait -1
	s_clause 0x2
	scratch_load_b128 v[4:7], off, off offset:992
	scratch_load_b128 v[8:11], off, off offset:1008
	;; [unrolled: 1-line block ×3, first 2 shown]
	ds_load_b128 v[16:19], v2 offset:2016
	ds_load_b128 v[20:23], v2 offset:2032
	s_mov_b32 s2, exec_lo
	s_wait_loadcnt_dscnt 0x201
	v_mul_f64_e32 v[2:3], v[18:19], v[6:7]
	v_mul_f64_e32 v[6:7], v[16:17], v[6:7]
	s_wait_loadcnt_dscnt 0x100
	v_mul_f64_e32 v[24:25], v[20:21], v[10:11]
	v_mul_f64_e32 v[10:11], v[22:23], v[10:11]
	s_delay_alu instid0(VALU_DEP_4) | instskip(NEXT) | instid1(VALU_DEP_4)
	v_fma_f64 v[2:3], v[16:17], v[4:5], -v[2:3]
	v_fmac_f64_e32 v[6:7], v[18:19], v[4:5]
	s_delay_alu instid0(VALU_DEP_4) | instskip(NEXT) | instid1(VALU_DEP_4)
	v_fmac_f64_e32 v[24:25], v[22:23], v[8:9]
	v_fma_f64 v[4:5], v[20:21], v[8:9], -v[10:11]
	s_delay_alu instid0(VALU_DEP_4) | instskip(NEXT) | instid1(VALU_DEP_4)
	v_add_f64_e32 v[2:3], 0, v[2:3]
	v_add_f64_e32 v[6:7], 0, v[6:7]
	s_delay_alu instid0(VALU_DEP_2) | instskip(NEXT) | instid1(VALU_DEP_2)
	v_add_f64_e32 v[2:3], v[2:3], v[4:5]
	v_add_f64_e32 v[4:5], v[6:7], v[24:25]
	s_wait_loadcnt 0x0
	s_delay_alu instid0(VALU_DEP_2) | instskip(NEXT) | instid1(VALU_DEP_2)
	v_add_f64_e64 v[2:3], v[12:13], -v[2:3]
	v_add_f64_e64 v[4:5], v[14:15], -v[4:5]
	scratch_store_b128 off, v[2:5], off offset:976
	s_wait_xcnt 0x0
	v_cmpx_lt_u32_e32 60, v1
	s_cbranch_execz .LBB63_289
; %bb.288:
	scratch_load_b128 v[2:5], off, s33
	v_mov_b32_e32 v6, 0
	s_delay_alu instid0(VALU_DEP_1)
	v_dual_mov_b32 v7, v6 :: v_dual_mov_b32 v8, v6
	v_mov_b32_e32 v9, v6
	scratch_store_b128 off, v[6:9], off offset:960
	s_wait_loadcnt 0x0
	ds_store_b128 v160, v[2:5]
.LBB63_289:
	s_wait_xcnt 0x0
	s_or_b32 exec_lo, exec_lo, s2
	s_wait_storecnt_dscnt 0x0
	s_barrier_signal -1
	s_barrier_wait -1
	s_clause 0x3
	scratch_load_b128 v[4:7], off, off offset:976
	scratch_load_b128 v[8:11], off, off offset:992
	;; [unrolled: 1-line block ×4, first 2 shown]
	v_mov_b32_e32 v2, 0
	ds_load_b128 v[20:23], v2 offset:2000
	ds_load_b128 v[24:27], v2 offset:2016
	s_mov_b32 s2, exec_lo
	s_wait_loadcnt_dscnt 0x301
	v_mul_f64_e32 v[28:29], v[22:23], v[6:7]
	v_mul_f64_e32 v[30:31], v[20:21], v[6:7]
	s_wait_loadcnt_dscnt 0x200
	v_mul_f64_e32 v[162:163], v[24:25], v[10:11]
	v_mul_f64_e32 v[10:11], v[26:27], v[10:11]
	s_delay_alu instid0(VALU_DEP_4) | instskip(NEXT) | instid1(VALU_DEP_4)
	v_fma_f64 v[20:21], v[20:21], v[4:5], -v[28:29]
	v_fmac_f64_e32 v[30:31], v[22:23], v[4:5]
	ds_load_b128 v[4:7], v2 offset:2032
	v_fmac_f64_e32 v[162:163], v[26:27], v[8:9]
	v_fma_f64 v[8:9], v[24:25], v[8:9], -v[10:11]
	s_wait_loadcnt_dscnt 0x100
	v_mul_f64_e32 v[22:23], v[4:5], v[14:15]
	v_mul_f64_e32 v[14:15], v[6:7], v[14:15]
	v_add_f64_e32 v[10:11], 0, v[20:21]
	v_add_f64_e32 v[20:21], 0, v[30:31]
	s_delay_alu instid0(VALU_DEP_4) | instskip(NEXT) | instid1(VALU_DEP_4)
	v_fmac_f64_e32 v[22:23], v[6:7], v[12:13]
	v_fma_f64 v[4:5], v[4:5], v[12:13], -v[14:15]
	s_delay_alu instid0(VALU_DEP_4) | instskip(NEXT) | instid1(VALU_DEP_4)
	v_add_f64_e32 v[6:7], v[10:11], v[8:9]
	v_add_f64_e32 v[8:9], v[20:21], v[162:163]
	s_delay_alu instid0(VALU_DEP_2) | instskip(NEXT) | instid1(VALU_DEP_2)
	v_add_f64_e32 v[4:5], v[6:7], v[4:5]
	v_add_f64_e32 v[6:7], v[8:9], v[22:23]
	s_wait_loadcnt 0x0
	s_delay_alu instid0(VALU_DEP_2) | instskip(NEXT) | instid1(VALU_DEP_2)
	v_add_f64_e64 v[4:5], v[16:17], -v[4:5]
	v_add_f64_e64 v[6:7], v[18:19], -v[6:7]
	scratch_store_b128 off, v[4:7], off offset:960
	s_wait_xcnt 0x0
	v_cmpx_lt_u32_e32 59, v1
	s_cbranch_execz .LBB63_291
; %bb.290:
	scratch_load_b128 v[6:9], off, s29
	v_dual_mov_b32 v3, v2 :: v_dual_mov_b32 v4, v2
	v_mov_b32_e32 v5, v2
	scratch_store_b128 off, v[2:5], off offset:944
	s_wait_loadcnt 0x0
	ds_store_b128 v160, v[6:9]
.LBB63_291:
	s_wait_xcnt 0x0
	s_or_b32 exec_lo, exec_lo, s2
	s_wait_storecnt_dscnt 0x0
	s_barrier_signal -1
	s_barrier_wait -1
	s_clause 0x4
	scratch_load_b128 v[4:7], off, off offset:960
	scratch_load_b128 v[8:11], off, off offset:976
	;; [unrolled: 1-line block ×5, first 2 shown]
	ds_load_b128 v[24:27], v2 offset:1984
	ds_load_b128 v[28:31], v2 offset:2000
	s_mov_b32 s2, exec_lo
	s_wait_loadcnt_dscnt 0x401
	v_mul_f64_e32 v[162:163], v[26:27], v[6:7]
	v_mul_f64_e32 v[164:165], v[24:25], v[6:7]
	s_wait_loadcnt_dscnt 0x300
	v_mul_f64_e32 v[166:167], v[28:29], v[10:11]
	v_mul_f64_e32 v[10:11], v[30:31], v[10:11]
	s_delay_alu instid0(VALU_DEP_4) | instskip(NEXT) | instid1(VALU_DEP_4)
	v_fma_f64 v[162:163], v[24:25], v[4:5], -v[162:163]
	v_fmac_f64_e32 v[164:165], v[26:27], v[4:5]
	ds_load_b128 v[4:7], v2 offset:2016
	ds_load_b128 v[24:27], v2 offset:2032
	v_fmac_f64_e32 v[166:167], v[30:31], v[8:9]
	v_fma_f64 v[8:9], v[28:29], v[8:9], -v[10:11]
	s_wait_loadcnt_dscnt 0x201
	v_mul_f64_e32 v[2:3], v[4:5], v[14:15]
	v_mul_f64_e32 v[14:15], v[6:7], v[14:15]
	s_wait_loadcnt_dscnt 0x100
	v_mul_f64_e32 v[30:31], v[24:25], v[18:19]
	v_mul_f64_e32 v[18:19], v[26:27], v[18:19]
	v_add_f64_e32 v[10:11], 0, v[162:163]
	v_add_f64_e32 v[28:29], 0, v[164:165]
	v_fmac_f64_e32 v[2:3], v[6:7], v[12:13]
	v_fma_f64 v[4:5], v[4:5], v[12:13], -v[14:15]
	v_fmac_f64_e32 v[30:31], v[26:27], v[16:17]
	v_add_f64_e32 v[6:7], v[10:11], v[8:9]
	v_add_f64_e32 v[8:9], v[28:29], v[166:167]
	v_fma_f64 v[10:11], v[24:25], v[16:17], -v[18:19]
	s_delay_alu instid0(VALU_DEP_3) | instskip(NEXT) | instid1(VALU_DEP_3)
	v_add_f64_e32 v[4:5], v[6:7], v[4:5]
	v_add_f64_e32 v[2:3], v[8:9], v[2:3]
	s_delay_alu instid0(VALU_DEP_2) | instskip(NEXT) | instid1(VALU_DEP_2)
	v_add_f64_e32 v[4:5], v[4:5], v[10:11]
	v_add_f64_e32 v[6:7], v[2:3], v[30:31]
	s_wait_loadcnt 0x0
	s_delay_alu instid0(VALU_DEP_2) | instskip(NEXT) | instid1(VALU_DEP_2)
	v_add_f64_e64 v[2:3], v[20:21], -v[4:5]
	v_add_f64_e64 v[4:5], v[22:23], -v[6:7]
	scratch_store_b128 off, v[2:5], off offset:944
	s_wait_xcnt 0x0
	v_cmpx_lt_u32_e32 58, v1
	s_cbranch_execz .LBB63_293
; %bb.292:
	scratch_load_b128 v[2:5], off, s36
	v_mov_b32_e32 v6, 0
	s_delay_alu instid0(VALU_DEP_1)
	v_dual_mov_b32 v7, v6 :: v_dual_mov_b32 v8, v6
	v_mov_b32_e32 v9, v6
	scratch_store_b128 off, v[6:9], off offset:928
	s_wait_loadcnt 0x0
	ds_store_b128 v160, v[2:5]
.LBB63_293:
	s_wait_xcnt 0x0
	s_or_b32 exec_lo, exec_lo, s2
	s_wait_storecnt_dscnt 0x0
	s_barrier_signal -1
	s_barrier_wait -1
	s_clause 0x5
	scratch_load_b128 v[4:7], off, off offset:944
	scratch_load_b128 v[8:11], off, off offset:960
	;; [unrolled: 1-line block ×6, first 2 shown]
	v_mov_b32_e32 v2, 0
	ds_load_b128 v[28:31], v2 offset:1968
	ds_load_b128 v[162:165], v2 offset:1984
	s_mov_b32 s2, exec_lo
	s_wait_loadcnt_dscnt 0x501
	v_mul_f64_e32 v[166:167], v[30:31], v[6:7]
	v_mul_f64_e32 v[168:169], v[28:29], v[6:7]
	s_wait_loadcnt_dscnt 0x400
	v_mul_f64_e32 v[170:171], v[162:163], v[10:11]
	v_mul_f64_e32 v[10:11], v[164:165], v[10:11]
	s_delay_alu instid0(VALU_DEP_4) | instskip(NEXT) | instid1(VALU_DEP_4)
	v_fma_f64 v[166:167], v[28:29], v[4:5], -v[166:167]
	v_fmac_f64_e32 v[168:169], v[30:31], v[4:5]
	ds_load_b128 v[4:7], v2 offset:2000
	ds_load_b128 v[28:31], v2 offset:2016
	v_fmac_f64_e32 v[170:171], v[164:165], v[8:9]
	v_fma_f64 v[8:9], v[162:163], v[8:9], -v[10:11]
	s_wait_loadcnt_dscnt 0x301
	v_mul_f64_e32 v[172:173], v[4:5], v[14:15]
	v_mul_f64_e32 v[14:15], v[6:7], v[14:15]
	s_wait_loadcnt_dscnt 0x200
	v_mul_f64_e32 v[164:165], v[28:29], v[18:19]
	v_mul_f64_e32 v[18:19], v[30:31], v[18:19]
	v_add_f64_e32 v[10:11], 0, v[166:167]
	v_add_f64_e32 v[162:163], 0, v[168:169]
	v_fmac_f64_e32 v[172:173], v[6:7], v[12:13]
	v_fma_f64 v[12:13], v[4:5], v[12:13], -v[14:15]
	ds_load_b128 v[4:7], v2 offset:2032
	v_fmac_f64_e32 v[164:165], v[30:31], v[16:17]
	v_fma_f64 v[16:17], v[28:29], v[16:17], -v[18:19]
	v_add_f64_e32 v[8:9], v[10:11], v[8:9]
	v_add_f64_e32 v[10:11], v[162:163], v[170:171]
	s_wait_loadcnt_dscnt 0x100
	v_mul_f64_e32 v[14:15], v[4:5], v[22:23]
	v_mul_f64_e32 v[22:23], v[6:7], v[22:23]
	s_delay_alu instid0(VALU_DEP_4) | instskip(NEXT) | instid1(VALU_DEP_4)
	v_add_f64_e32 v[8:9], v[8:9], v[12:13]
	v_add_f64_e32 v[10:11], v[10:11], v[172:173]
	s_delay_alu instid0(VALU_DEP_4) | instskip(NEXT) | instid1(VALU_DEP_4)
	v_fmac_f64_e32 v[14:15], v[6:7], v[20:21]
	v_fma_f64 v[4:5], v[4:5], v[20:21], -v[22:23]
	s_delay_alu instid0(VALU_DEP_4) | instskip(NEXT) | instid1(VALU_DEP_4)
	v_add_f64_e32 v[6:7], v[8:9], v[16:17]
	v_add_f64_e32 v[8:9], v[10:11], v[164:165]
	s_delay_alu instid0(VALU_DEP_2) | instskip(NEXT) | instid1(VALU_DEP_2)
	v_add_f64_e32 v[4:5], v[6:7], v[4:5]
	v_add_f64_e32 v[6:7], v[8:9], v[14:15]
	s_wait_loadcnt 0x0
	s_delay_alu instid0(VALU_DEP_2) | instskip(NEXT) | instid1(VALU_DEP_2)
	v_add_f64_e64 v[4:5], v[24:25], -v[4:5]
	v_add_f64_e64 v[6:7], v[26:27], -v[6:7]
	scratch_store_b128 off, v[4:7], off offset:928
	s_wait_xcnt 0x0
	v_cmpx_lt_u32_e32 57, v1
	s_cbranch_execz .LBB63_295
; %bb.294:
	scratch_load_b128 v[6:9], off, s34
	v_dual_mov_b32 v3, v2 :: v_dual_mov_b32 v4, v2
	v_mov_b32_e32 v5, v2
	scratch_store_b128 off, v[2:5], off offset:912
	s_wait_loadcnt 0x0
	ds_store_b128 v160, v[6:9]
.LBB63_295:
	s_wait_xcnt 0x0
	s_or_b32 exec_lo, exec_lo, s2
	s_wait_storecnt_dscnt 0x0
	s_barrier_signal -1
	s_barrier_wait -1
	s_clause 0x6
	scratch_load_b128 v[4:7], off, off offset:928
	scratch_load_b128 v[8:11], off, off offset:944
	;; [unrolled: 1-line block ×7, first 2 shown]
	ds_load_b128 v[162:165], v2 offset:1952
	ds_load_b128 v[166:169], v2 offset:1968
	s_mov_b32 s2, exec_lo
	s_wait_loadcnt_dscnt 0x601
	v_mul_f64_e32 v[170:171], v[164:165], v[6:7]
	v_mul_f64_e32 v[172:173], v[162:163], v[6:7]
	s_wait_loadcnt_dscnt 0x500
	v_mul_f64_e32 v[174:175], v[166:167], v[10:11]
	v_mul_f64_e32 v[10:11], v[168:169], v[10:11]
	s_delay_alu instid0(VALU_DEP_4) | instskip(NEXT) | instid1(VALU_DEP_4)
	v_fma_f64 v[170:171], v[162:163], v[4:5], -v[170:171]
	v_fmac_f64_e32 v[172:173], v[164:165], v[4:5]
	ds_load_b128 v[4:7], v2 offset:1984
	ds_load_b128 v[162:165], v2 offset:2000
	v_fmac_f64_e32 v[174:175], v[168:169], v[8:9]
	v_fma_f64 v[8:9], v[166:167], v[8:9], -v[10:11]
	s_wait_loadcnt_dscnt 0x401
	v_mul_f64_e32 v[176:177], v[4:5], v[14:15]
	v_mul_f64_e32 v[14:15], v[6:7], v[14:15]
	s_wait_loadcnt_dscnt 0x300
	v_mul_f64_e32 v[168:169], v[162:163], v[18:19]
	v_mul_f64_e32 v[18:19], v[164:165], v[18:19]
	v_add_f64_e32 v[10:11], 0, v[170:171]
	v_add_f64_e32 v[166:167], 0, v[172:173]
	v_fmac_f64_e32 v[176:177], v[6:7], v[12:13]
	v_fma_f64 v[12:13], v[4:5], v[12:13], -v[14:15]
	v_fmac_f64_e32 v[168:169], v[164:165], v[16:17]
	v_fma_f64 v[16:17], v[162:163], v[16:17], -v[18:19]
	v_add_f64_e32 v[14:15], v[10:11], v[8:9]
	v_add_f64_e32 v[166:167], v[166:167], v[174:175]
	ds_load_b128 v[4:7], v2 offset:2016
	ds_load_b128 v[8:11], v2 offset:2032
	s_wait_loadcnt_dscnt 0x201
	v_mul_f64_e32 v[2:3], v[4:5], v[22:23]
	v_mul_f64_e32 v[22:23], v[6:7], v[22:23]
	s_wait_loadcnt_dscnt 0x100
	v_mul_f64_e32 v[18:19], v[8:9], v[26:27]
	v_mul_f64_e32 v[26:27], v[10:11], v[26:27]
	v_add_f64_e32 v[12:13], v[14:15], v[12:13]
	v_add_f64_e32 v[14:15], v[166:167], v[176:177]
	v_fmac_f64_e32 v[2:3], v[6:7], v[20:21]
	v_fma_f64 v[4:5], v[4:5], v[20:21], -v[22:23]
	v_fmac_f64_e32 v[18:19], v[10:11], v[24:25]
	v_fma_f64 v[8:9], v[8:9], v[24:25], -v[26:27]
	v_add_f64_e32 v[6:7], v[12:13], v[16:17]
	v_add_f64_e32 v[12:13], v[14:15], v[168:169]
	s_delay_alu instid0(VALU_DEP_2) | instskip(NEXT) | instid1(VALU_DEP_2)
	v_add_f64_e32 v[4:5], v[6:7], v[4:5]
	v_add_f64_e32 v[2:3], v[12:13], v[2:3]
	s_delay_alu instid0(VALU_DEP_2) | instskip(NEXT) | instid1(VALU_DEP_2)
	v_add_f64_e32 v[4:5], v[4:5], v[8:9]
	v_add_f64_e32 v[6:7], v[2:3], v[18:19]
	s_wait_loadcnt 0x0
	s_delay_alu instid0(VALU_DEP_2) | instskip(NEXT) | instid1(VALU_DEP_2)
	v_add_f64_e64 v[2:3], v[28:29], -v[4:5]
	v_add_f64_e64 v[4:5], v[30:31], -v[6:7]
	scratch_store_b128 off, v[2:5], off offset:912
	s_wait_xcnt 0x0
	v_cmpx_lt_u32_e32 56, v1
	s_cbranch_execz .LBB63_297
; %bb.296:
	scratch_load_b128 v[2:5], off, s11
	v_mov_b32_e32 v6, 0
	s_delay_alu instid0(VALU_DEP_1)
	v_dual_mov_b32 v7, v6 :: v_dual_mov_b32 v8, v6
	v_mov_b32_e32 v9, v6
	scratch_store_b128 off, v[6:9], off offset:896
	s_wait_loadcnt 0x0
	ds_store_b128 v160, v[2:5]
.LBB63_297:
	s_wait_xcnt 0x0
	s_or_b32 exec_lo, exec_lo, s2
	s_wait_storecnt_dscnt 0x0
	s_barrier_signal -1
	s_barrier_wait -1
	s_clause 0x7
	scratch_load_b128 v[4:7], off, off offset:912
	scratch_load_b128 v[8:11], off, off offset:928
	;; [unrolled: 1-line block ×8, first 2 shown]
	v_mov_b32_e32 v2, 0
	ds_load_b128 v[166:169], v2 offset:1936
	ds_load_b128 v[170:173], v2 offset:1952
	s_mov_b32 s2, exec_lo
	s_wait_loadcnt_dscnt 0x701
	v_mul_f64_e32 v[174:175], v[168:169], v[6:7]
	v_mul_f64_e32 v[176:177], v[166:167], v[6:7]
	s_wait_loadcnt_dscnt 0x600
	v_mul_f64_e32 v[178:179], v[170:171], v[10:11]
	v_mul_f64_e32 v[10:11], v[172:173], v[10:11]
	s_delay_alu instid0(VALU_DEP_4) | instskip(NEXT) | instid1(VALU_DEP_4)
	v_fma_f64 v[174:175], v[166:167], v[4:5], -v[174:175]
	v_fmac_f64_e32 v[176:177], v[168:169], v[4:5]
	ds_load_b128 v[4:7], v2 offset:1968
	ds_load_b128 v[166:169], v2 offset:1984
	v_fmac_f64_e32 v[178:179], v[172:173], v[8:9]
	v_fma_f64 v[8:9], v[170:171], v[8:9], -v[10:11]
	s_wait_loadcnt_dscnt 0x501
	v_mul_f64_e32 v[180:181], v[4:5], v[14:15]
	v_mul_f64_e32 v[14:15], v[6:7], v[14:15]
	s_wait_loadcnt_dscnt 0x400
	v_mul_f64_e32 v[172:173], v[166:167], v[18:19]
	v_mul_f64_e32 v[18:19], v[168:169], v[18:19]
	v_add_f64_e32 v[10:11], 0, v[174:175]
	v_add_f64_e32 v[170:171], 0, v[176:177]
	v_fmac_f64_e32 v[180:181], v[6:7], v[12:13]
	v_fma_f64 v[12:13], v[4:5], v[12:13], -v[14:15]
	v_fmac_f64_e32 v[172:173], v[168:169], v[16:17]
	v_fma_f64 v[16:17], v[166:167], v[16:17], -v[18:19]
	v_add_f64_e32 v[14:15], v[10:11], v[8:9]
	v_add_f64_e32 v[170:171], v[170:171], v[178:179]
	ds_load_b128 v[4:7], v2 offset:2000
	ds_load_b128 v[8:11], v2 offset:2016
	s_wait_loadcnt_dscnt 0x301
	v_mul_f64_e32 v[174:175], v[4:5], v[22:23]
	v_mul_f64_e32 v[22:23], v[6:7], v[22:23]
	s_wait_loadcnt_dscnt 0x200
	v_mul_f64_e32 v[18:19], v[8:9], v[26:27]
	v_mul_f64_e32 v[26:27], v[10:11], v[26:27]
	v_add_f64_e32 v[12:13], v[14:15], v[12:13]
	v_add_f64_e32 v[14:15], v[170:171], v[180:181]
	v_fmac_f64_e32 v[174:175], v[6:7], v[20:21]
	v_fma_f64 v[20:21], v[4:5], v[20:21], -v[22:23]
	ds_load_b128 v[4:7], v2 offset:2032
	v_fmac_f64_e32 v[18:19], v[10:11], v[24:25]
	v_fma_f64 v[8:9], v[8:9], v[24:25], -v[26:27]
	v_add_f64_e32 v[12:13], v[12:13], v[16:17]
	v_add_f64_e32 v[14:15], v[14:15], v[172:173]
	s_wait_loadcnt_dscnt 0x100
	v_mul_f64_e32 v[16:17], v[4:5], v[30:31]
	v_mul_f64_e32 v[22:23], v[6:7], v[30:31]
	s_delay_alu instid0(VALU_DEP_4) | instskip(NEXT) | instid1(VALU_DEP_4)
	v_add_f64_e32 v[10:11], v[12:13], v[20:21]
	v_add_f64_e32 v[12:13], v[14:15], v[174:175]
	s_delay_alu instid0(VALU_DEP_4) | instskip(NEXT) | instid1(VALU_DEP_4)
	v_fmac_f64_e32 v[16:17], v[6:7], v[28:29]
	v_fma_f64 v[4:5], v[4:5], v[28:29], -v[22:23]
	s_delay_alu instid0(VALU_DEP_4) | instskip(NEXT) | instid1(VALU_DEP_4)
	v_add_f64_e32 v[6:7], v[10:11], v[8:9]
	v_add_f64_e32 v[8:9], v[12:13], v[18:19]
	s_delay_alu instid0(VALU_DEP_2) | instskip(NEXT) | instid1(VALU_DEP_2)
	v_add_f64_e32 v[4:5], v[6:7], v[4:5]
	v_add_f64_e32 v[6:7], v[8:9], v[16:17]
	s_wait_loadcnt 0x0
	s_delay_alu instid0(VALU_DEP_2) | instskip(NEXT) | instid1(VALU_DEP_2)
	v_add_f64_e64 v[4:5], v[162:163], -v[4:5]
	v_add_f64_e64 v[6:7], v[164:165], -v[6:7]
	scratch_store_b128 off, v[4:7], off offset:896
	s_wait_xcnt 0x0
	v_cmpx_lt_u32_e32 55, v1
	s_cbranch_execz .LBB63_299
; %bb.298:
	scratch_load_b128 v[6:9], off, s10
	v_dual_mov_b32 v3, v2 :: v_dual_mov_b32 v4, v2
	v_mov_b32_e32 v5, v2
	scratch_store_b128 off, v[2:5], off offset:880
	s_wait_loadcnt 0x0
	ds_store_b128 v160, v[6:9]
.LBB63_299:
	s_wait_xcnt 0x0
	s_or_b32 exec_lo, exec_lo, s2
	s_wait_storecnt_dscnt 0x0
	s_barrier_signal -1
	s_barrier_wait -1
	s_clause 0x7
	scratch_load_b128 v[4:7], off, off offset:896
	scratch_load_b128 v[8:11], off, off offset:912
	scratch_load_b128 v[12:15], off, off offset:928
	scratch_load_b128 v[16:19], off, off offset:944
	scratch_load_b128 v[20:23], off, off offset:960
	scratch_load_b128 v[24:27], off, off offset:976
	scratch_load_b128 v[28:31], off, off offset:992
	scratch_load_b128 v[162:165], off, off offset:1008
	ds_load_b128 v[166:169], v2 offset:1920
	ds_load_b128 v[170:173], v2 offset:1936
	scratch_load_b128 v[174:177], off, off offset:880
	s_mov_b32 s2, exec_lo
	s_wait_loadcnt_dscnt 0x801
	v_mul_f64_e32 v[178:179], v[168:169], v[6:7]
	v_mul_f64_e32 v[180:181], v[166:167], v[6:7]
	s_wait_loadcnt_dscnt 0x700
	v_mul_f64_e32 v[182:183], v[170:171], v[10:11]
	v_mul_f64_e32 v[10:11], v[172:173], v[10:11]
	s_delay_alu instid0(VALU_DEP_4) | instskip(NEXT) | instid1(VALU_DEP_4)
	v_fma_f64 v[178:179], v[166:167], v[4:5], -v[178:179]
	v_fmac_f64_e32 v[180:181], v[168:169], v[4:5]
	ds_load_b128 v[4:7], v2 offset:1952
	ds_load_b128 v[166:169], v2 offset:1968
	v_fmac_f64_e32 v[182:183], v[172:173], v[8:9]
	v_fma_f64 v[8:9], v[170:171], v[8:9], -v[10:11]
	s_wait_loadcnt_dscnt 0x601
	v_mul_f64_e32 v[184:185], v[4:5], v[14:15]
	v_mul_f64_e32 v[14:15], v[6:7], v[14:15]
	s_wait_loadcnt_dscnt 0x500
	v_mul_f64_e32 v[172:173], v[166:167], v[18:19]
	v_mul_f64_e32 v[18:19], v[168:169], v[18:19]
	v_add_f64_e32 v[10:11], 0, v[178:179]
	v_add_f64_e32 v[170:171], 0, v[180:181]
	v_fmac_f64_e32 v[184:185], v[6:7], v[12:13]
	v_fma_f64 v[12:13], v[4:5], v[12:13], -v[14:15]
	v_fmac_f64_e32 v[172:173], v[168:169], v[16:17]
	v_fma_f64 v[16:17], v[166:167], v[16:17], -v[18:19]
	v_add_f64_e32 v[14:15], v[10:11], v[8:9]
	v_add_f64_e32 v[170:171], v[170:171], v[182:183]
	ds_load_b128 v[4:7], v2 offset:1984
	ds_load_b128 v[8:11], v2 offset:2000
	s_wait_loadcnt_dscnt 0x401
	v_mul_f64_e32 v[178:179], v[4:5], v[22:23]
	v_mul_f64_e32 v[22:23], v[6:7], v[22:23]
	s_wait_loadcnt_dscnt 0x300
	v_mul_f64_e32 v[18:19], v[8:9], v[26:27]
	v_mul_f64_e32 v[26:27], v[10:11], v[26:27]
	v_add_f64_e32 v[12:13], v[14:15], v[12:13]
	v_add_f64_e32 v[14:15], v[170:171], v[184:185]
	v_fmac_f64_e32 v[178:179], v[6:7], v[20:21]
	v_fma_f64 v[20:21], v[4:5], v[20:21], -v[22:23]
	v_fmac_f64_e32 v[18:19], v[10:11], v[24:25]
	v_fma_f64 v[8:9], v[8:9], v[24:25], -v[26:27]
	v_add_f64_e32 v[16:17], v[12:13], v[16:17]
	v_add_f64_e32 v[22:23], v[14:15], v[172:173]
	ds_load_b128 v[4:7], v2 offset:2016
	ds_load_b128 v[12:15], v2 offset:2032
	s_wait_loadcnt_dscnt 0x201
	v_mul_f64_e32 v[2:3], v[4:5], v[30:31]
	v_mul_f64_e32 v[30:31], v[6:7], v[30:31]
	v_add_f64_e32 v[10:11], v[16:17], v[20:21]
	v_add_f64_e32 v[16:17], v[22:23], v[178:179]
	s_wait_loadcnt_dscnt 0x100
	v_mul_f64_e32 v[20:21], v[12:13], v[164:165]
	v_mul_f64_e32 v[22:23], v[14:15], v[164:165]
	v_fmac_f64_e32 v[2:3], v[6:7], v[28:29]
	v_fma_f64 v[4:5], v[4:5], v[28:29], -v[30:31]
	v_add_f64_e32 v[6:7], v[10:11], v[8:9]
	v_add_f64_e32 v[8:9], v[16:17], v[18:19]
	v_fmac_f64_e32 v[20:21], v[14:15], v[162:163]
	v_fma_f64 v[10:11], v[12:13], v[162:163], -v[22:23]
	s_delay_alu instid0(VALU_DEP_4) | instskip(NEXT) | instid1(VALU_DEP_4)
	v_add_f64_e32 v[4:5], v[6:7], v[4:5]
	v_add_f64_e32 v[2:3], v[8:9], v[2:3]
	s_delay_alu instid0(VALU_DEP_2) | instskip(NEXT) | instid1(VALU_DEP_2)
	v_add_f64_e32 v[4:5], v[4:5], v[10:11]
	v_add_f64_e32 v[6:7], v[2:3], v[20:21]
	s_wait_loadcnt 0x0
	s_delay_alu instid0(VALU_DEP_2) | instskip(NEXT) | instid1(VALU_DEP_2)
	v_add_f64_e64 v[2:3], v[174:175], -v[4:5]
	v_add_f64_e64 v[4:5], v[176:177], -v[6:7]
	scratch_store_b128 off, v[2:5], off offset:880
	s_wait_xcnt 0x0
	v_cmpx_lt_u32_e32 54, v1
	s_cbranch_execz .LBB63_301
; %bb.300:
	scratch_load_b128 v[2:5], off, s13
	v_mov_b32_e32 v6, 0
	s_delay_alu instid0(VALU_DEP_1)
	v_dual_mov_b32 v7, v6 :: v_dual_mov_b32 v8, v6
	v_mov_b32_e32 v9, v6
	scratch_store_b128 off, v[6:9], off offset:864
	s_wait_loadcnt 0x0
	ds_store_b128 v160, v[2:5]
.LBB63_301:
	s_wait_xcnt 0x0
	s_or_b32 exec_lo, exec_lo, s2
	s_wait_storecnt_dscnt 0x0
	s_barrier_signal -1
	s_barrier_wait -1
	s_clause 0x8
	scratch_load_b128 v[4:7], off, off offset:880
	scratch_load_b128 v[8:11], off, off offset:896
	;; [unrolled: 1-line block ×9, first 2 shown]
	v_mov_b32_e32 v2, 0
	scratch_load_b128 v[174:177], off, off offset:864
	s_mov_b32 s2, exec_lo
	ds_load_b128 v[170:173], v2 offset:1904
	ds_load_b128 v[178:181], v2 offset:1920
	s_wait_loadcnt_dscnt 0x901
	v_mul_f64_e32 v[182:183], v[172:173], v[6:7]
	v_mul_f64_e32 v[184:185], v[170:171], v[6:7]
	s_wait_loadcnt_dscnt 0x800
	v_mul_f64_e32 v[186:187], v[178:179], v[10:11]
	v_mul_f64_e32 v[10:11], v[180:181], v[10:11]
	s_delay_alu instid0(VALU_DEP_4) | instskip(NEXT) | instid1(VALU_DEP_4)
	v_fma_f64 v[182:183], v[170:171], v[4:5], -v[182:183]
	v_fmac_f64_e32 v[184:185], v[172:173], v[4:5]
	ds_load_b128 v[4:7], v2 offset:1936
	ds_load_b128 v[170:173], v2 offset:1952
	v_fmac_f64_e32 v[186:187], v[180:181], v[8:9]
	v_fma_f64 v[8:9], v[178:179], v[8:9], -v[10:11]
	s_wait_loadcnt_dscnt 0x701
	v_mul_f64_e32 v[188:189], v[4:5], v[14:15]
	v_mul_f64_e32 v[14:15], v[6:7], v[14:15]
	s_wait_loadcnt_dscnt 0x600
	v_mul_f64_e32 v[180:181], v[170:171], v[18:19]
	v_mul_f64_e32 v[18:19], v[172:173], v[18:19]
	v_add_f64_e32 v[10:11], 0, v[182:183]
	v_add_f64_e32 v[178:179], 0, v[184:185]
	v_fmac_f64_e32 v[188:189], v[6:7], v[12:13]
	v_fma_f64 v[12:13], v[4:5], v[12:13], -v[14:15]
	v_fmac_f64_e32 v[180:181], v[172:173], v[16:17]
	v_fma_f64 v[16:17], v[170:171], v[16:17], -v[18:19]
	v_add_f64_e32 v[14:15], v[10:11], v[8:9]
	v_add_f64_e32 v[178:179], v[178:179], v[186:187]
	ds_load_b128 v[4:7], v2 offset:1968
	ds_load_b128 v[8:11], v2 offset:1984
	s_wait_loadcnt_dscnt 0x501
	v_mul_f64_e32 v[182:183], v[4:5], v[22:23]
	v_mul_f64_e32 v[22:23], v[6:7], v[22:23]
	s_wait_loadcnt_dscnt 0x400
	v_mul_f64_e32 v[18:19], v[8:9], v[26:27]
	v_mul_f64_e32 v[26:27], v[10:11], v[26:27]
	v_add_f64_e32 v[12:13], v[14:15], v[12:13]
	v_add_f64_e32 v[14:15], v[178:179], v[188:189]
	v_fmac_f64_e32 v[182:183], v[6:7], v[20:21]
	v_fma_f64 v[20:21], v[4:5], v[20:21], -v[22:23]
	v_fmac_f64_e32 v[18:19], v[10:11], v[24:25]
	v_fma_f64 v[8:9], v[8:9], v[24:25], -v[26:27]
	v_add_f64_e32 v[16:17], v[12:13], v[16:17]
	v_add_f64_e32 v[22:23], v[14:15], v[180:181]
	ds_load_b128 v[4:7], v2 offset:2000
	ds_load_b128 v[12:15], v2 offset:2016
	s_wait_loadcnt_dscnt 0x301
	v_mul_f64_e32 v[170:171], v[4:5], v[30:31]
	v_mul_f64_e32 v[30:31], v[6:7], v[30:31]
	v_add_f64_e32 v[10:11], v[16:17], v[20:21]
	v_add_f64_e32 v[16:17], v[22:23], v[182:183]
	s_wait_loadcnt_dscnt 0x200
	v_mul_f64_e32 v[20:21], v[12:13], v[164:165]
	v_mul_f64_e32 v[22:23], v[14:15], v[164:165]
	v_fmac_f64_e32 v[170:171], v[6:7], v[28:29]
	v_fma_f64 v[24:25], v[4:5], v[28:29], -v[30:31]
	ds_load_b128 v[4:7], v2 offset:2032
	v_add_f64_e32 v[8:9], v[10:11], v[8:9]
	v_add_f64_e32 v[10:11], v[16:17], v[18:19]
	v_fmac_f64_e32 v[20:21], v[14:15], v[162:163]
	v_fma_f64 v[12:13], v[12:13], v[162:163], -v[22:23]
	s_wait_loadcnt_dscnt 0x100
	v_mul_f64_e32 v[16:17], v[4:5], v[168:169]
	v_mul_f64_e32 v[18:19], v[6:7], v[168:169]
	v_add_f64_e32 v[8:9], v[8:9], v[24:25]
	v_add_f64_e32 v[10:11], v[10:11], v[170:171]
	s_delay_alu instid0(VALU_DEP_4) | instskip(NEXT) | instid1(VALU_DEP_4)
	v_fmac_f64_e32 v[16:17], v[6:7], v[166:167]
	v_fma_f64 v[4:5], v[4:5], v[166:167], -v[18:19]
	s_delay_alu instid0(VALU_DEP_4) | instskip(NEXT) | instid1(VALU_DEP_4)
	v_add_f64_e32 v[6:7], v[8:9], v[12:13]
	v_add_f64_e32 v[8:9], v[10:11], v[20:21]
	s_delay_alu instid0(VALU_DEP_2) | instskip(NEXT) | instid1(VALU_DEP_2)
	v_add_f64_e32 v[4:5], v[6:7], v[4:5]
	v_add_f64_e32 v[6:7], v[8:9], v[16:17]
	s_wait_loadcnt 0x0
	s_delay_alu instid0(VALU_DEP_2) | instskip(NEXT) | instid1(VALU_DEP_2)
	v_add_f64_e64 v[4:5], v[174:175], -v[4:5]
	v_add_f64_e64 v[6:7], v[176:177], -v[6:7]
	scratch_store_b128 off, v[4:7], off offset:864
	s_wait_xcnt 0x0
	v_cmpx_lt_u32_e32 53, v1
	s_cbranch_execz .LBB63_303
; %bb.302:
	scratch_load_b128 v[6:9], off, s12
	v_dual_mov_b32 v3, v2 :: v_dual_mov_b32 v4, v2
	v_mov_b32_e32 v5, v2
	scratch_store_b128 off, v[2:5], off offset:848
	s_wait_loadcnt 0x0
	ds_store_b128 v160, v[6:9]
.LBB63_303:
	s_wait_xcnt 0x0
	s_or_b32 exec_lo, exec_lo, s2
	s_wait_storecnt_dscnt 0x0
	s_barrier_signal -1
	s_barrier_wait -1
	s_clause 0x9
	scratch_load_b128 v[4:7], off, off offset:864
	scratch_load_b128 v[8:11], off, off offset:880
	;; [unrolled: 1-line block ×10, first 2 shown]
	ds_load_b128 v[174:177], v2 offset:1888
	ds_load_b128 v[178:181], v2 offset:1904
	scratch_load_b128 v[182:185], off, off offset:848
	s_mov_b32 s2, exec_lo
	s_wait_loadcnt_dscnt 0xa01
	v_mul_f64_e32 v[186:187], v[176:177], v[6:7]
	v_mul_f64_e32 v[188:189], v[174:175], v[6:7]
	s_wait_loadcnt_dscnt 0x900
	v_mul_f64_e32 v[190:191], v[178:179], v[10:11]
	v_mul_f64_e32 v[10:11], v[180:181], v[10:11]
	s_delay_alu instid0(VALU_DEP_4) | instskip(NEXT) | instid1(VALU_DEP_4)
	v_fma_f64 v[186:187], v[174:175], v[4:5], -v[186:187]
	v_fmac_f64_e32 v[188:189], v[176:177], v[4:5]
	ds_load_b128 v[4:7], v2 offset:1920
	ds_load_b128 v[174:177], v2 offset:1936
	v_fmac_f64_e32 v[190:191], v[180:181], v[8:9]
	v_fma_f64 v[8:9], v[178:179], v[8:9], -v[10:11]
	s_wait_loadcnt_dscnt 0x801
	v_mul_f64_e32 v[192:193], v[4:5], v[14:15]
	v_mul_f64_e32 v[14:15], v[6:7], v[14:15]
	s_wait_loadcnt_dscnt 0x700
	v_mul_f64_e32 v[180:181], v[174:175], v[18:19]
	v_mul_f64_e32 v[18:19], v[176:177], v[18:19]
	v_add_f64_e32 v[10:11], 0, v[186:187]
	v_add_f64_e32 v[178:179], 0, v[188:189]
	v_fmac_f64_e32 v[192:193], v[6:7], v[12:13]
	v_fma_f64 v[12:13], v[4:5], v[12:13], -v[14:15]
	v_fmac_f64_e32 v[180:181], v[176:177], v[16:17]
	v_fma_f64 v[16:17], v[174:175], v[16:17], -v[18:19]
	v_add_f64_e32 v[14:15], v[10:11], v[8:9]
	v_add_f64_e32 v[178:179], v[178:179], v[190:191]
	ds_load_b128 v[4:7], v2 offset:1952
	ds_load_b128 v[8:11], v2 offset:1968
	s_wait_loadcnt_dscnt 0x601
	v_mul_f64_e32 v[186:187], v[4:5], v[22:23]
	v_mul_f64_e32 v[22:23], v[6:7], v[22:23]
	s_wait_loadcnt_dscnt 0x500
	v_mul_f64_e32 v[18:19], v[8:9], v[26:27]
	v_mul_f64_e32 v[26:27], v[10:11], v[26:27]
	v_add_f64_e32 v[12:13], v[14:15], v[12:13]
	v_add_f64_e32 v[14:15], v[178:179], v[192:193]
	v_fmac_f64_e32 v[186:187], v[6:7], v[20:21]
	v_fma_f64 v[20:21], v[4:5], v[20:21], -v[22:23]
	v_fmac_f64_e32 v[18:19], v[10:11], v[24:25]
	v_fma_f64 v[8:9], v[8:9], v[24:25], -v[26:27]
	v_add_f64_e32 v[16:17], v[12:13], v[16:17]
	v_add_f64_e32 v[22:23], v[14:15], v[180:181]
	ds_load_b128 v[4:7], v2 offset:1984
	ds_load_b128 v[12:15], v2 offset:2000
	s_wait_loadcnt_dscnt 0x401
	v_mul_f64_e32 v[174:175], v[4:5], v[30:31]
	v_mul_f64_e32 v[30:31], v[6:7], v[30:31]
	v_add_f64_e32 v[10:11], v[16:17], v[20:21]
	v_add_f64_e32 v[16:17], v[22:23], v[186:187]
	s_wait_loadcnt_dscnt 0x300
	v_mul_f64_e32 v[20:21], v[12:13], v[164:165]
	v_mul_f64_e32 v[22:23], v[14:15], v[164:165]
	v_fmac_f64_e32 v[174:175], v[6:7], v[28:29]
	v_fma_f64 v[24:25], v[4:5], v[28:29], -v[30:31]
	v_add_f64_e32 v[26:27], v[10:11], v[8:9]
	v_add_f64_e32 v[16:17], v[16:17], v[18:19]
	ds_load_b128 v[4:7], v2 offset:2016
	ds_load_b128 v[8:11], v2 offset:2032
	v_fmac_f64_e32 v[20:21], v[14:15], v[162:163]
	v_fma_f64 v[12:13], v[12:13], v[162:163], -v[22:23]
	s_wait_loadcnt_dscnt 0x201
	v_mul_f64_e32 v[2:3], v[4:5], v[168:169]
	v_mul_f64_e32 v[18:19], v[6:7], v[168:169]
	s_wait_loadcnt_dscnt 0x100
	v_mul_f64_e32 v[22:23], v[8:9], v[172:173]
	v_add_f64_e32 v[14:15], v[26:27], v[24:25]
	v_add_f64_e32 v[16:17], v[16:17], v[174:175]
	v_mul_f64_e32 v[24:25], v[10:11], v[172:173]
	v_fmac_f64_e32 v[2:3], v[6:7], v[166:167]
	v_fma_f64 v[4:5], v[4:5], v[166:167], -v[18:19]
	v_fmac_f64_e32 v[22:23], v[10:11], v[170:171]
	v_add_f64_e32 v[6:7], v[14:15], v[12:13]
	v_add_f64_e32 v[12:13], v[16:17], v[20:21]
	v_fma_f64 v[8:9], v[8:9], v[170:171], -v[24:25]
	s_delay_alu instid0(VALU_DEP_3) | instskip(NEXT) | instid1(VALU_DEP_3)
	v_add_f64_e32 v[4:5], v[6:7], v[4:5]
	v_add_f64_e32 v[2:3], v[12:13], v[2:3]
	s_delay_alu instid0(VALU_DEP_2) | instskip(NEXT) | instid1(VALU_DEP_2)
	v_add_f64_e32 v[4:5], v[4:5], v[8:9]
	v_add_f64_e32 v[6:7], v[2:3], v[22:23]
	s_wait_loadcnt 0x0
	s_delay_alu instid0(VALU_DEP_2) | instskip(NEXT) | instid1(VALU_DEP_2)
	v_add_f64_e64 v[2:3], v[182:183], -v[4:5]
	v_add_f64_e64 v[4:5], v[184:185], -v[6:7]
	scratch_store_b128 off, v[2:5], off offset:848
	s_wait_xcnt 0x0
	v_cmpx_lt_u32_e32 52, v1
	s_cbranch_execz .LBB63_305
; %bb.304:
	scratch_load_b128 v[2:5], off, s15
	v_mov_b32_e32 v6, 0
	s_delay_alu instid0(VALU_DEP_1)
	v_dual_mov_b32 v7, v6 :: v_dual_mov_b32 v8, v6
	v_mov_b32_e32 v9, v6
	scratch_store_b128 off, v[6:9], off offset:832
	s_wait_loadcnt 0x0
	ds_store_b128 v160, v[2:5]
.LBB63_305:
	s_wait_xcnt 0x0
	s_or_b32 exec_lo, exec_lo, s2
	s_wait_storecnt_dscnt 0x0
	s_barrier_signal -1
	s_barrier_wait -1
	s_clause 0x9
	scratch_load_b128 v[4:7], off, off offset:848
	scratch_load_b128 v[8:11], off, off offset:864
	;; [unrolled: 1-line block ×10, first 2 shown]
	v_mov_b32_e32 v2, 0
	s_mov_b32 s2, exec_lo
	ds_load_b128 v[174:177], v2 offset:1872
	s_clause 0x1
	scratch_load_b128 v[178:181], off, off offset:1008
	scratch_load_b128 v[182:185], off, off offset:832
	s_wait_loadcnt_dscnt 0xb00
	v_mul_f64_e32 v[190:191], v[176:177], v[6:7]
	v_mul_f64_e32 v[192:193], v[174:175], v[6:7]
	ds_load_b128 v[186:189], v2 offset:1888
	s_wait_loadcnt_dscnt 0xa00
	v_mul_f64_e32 v[194:195], v[186:187], v[10:11]
	v_mul_f64_e32 v[10:11], v[188:189], v[10:11]
	v_fma_f64 v[190:191], v[174:175], v[4:5], -v[190:191]
	v_fmac_f64_e32 v[192:193], v[176:177], v[4:5]
	ds_load_b128 v[4:7], v2 offset:1904
	ds_load_b128 v[174:177], v2 offset:1920
	s_wait_loadcnt_dscnt 0x901
	v_mul_f64_e32 v[196:197], v[4:5], v[14:15]
	v_mul_f64_e32 v[14:15], v[6:7], v[14:15]
	v_fmac_f64_e32 v[194:195], v[188:189], v[8:9]
	v_fma_f64 v[8:9], v[186:187], v[8:9], -v[10:11]
	s_wait_loadcnt_dscnt 0x800
	v_mul_f64_e32 v[188:189], v[174:175], v[18:19]
	v_mul_f64_e32 v[18:19], v[176:177], v[18:19]
	v_add_f64_e32 v[10:11], 0, v[190:191]
	v_add_f64_e32 v[186:187], 0, v[192:193]
	v_fmac_f64_e32 v[196:197], v[6:7], v[12:13]
	v_fma_f64 v[12:13], v[4:5], v[12:13], -v[14:15]
	v_fmac_f64_e32 v[188:189], v[176:177], v[16:17]
	v_fma_f64 v[16:17], v[174:175], v[16:17], -v[18:19]
	v_add_f64_e32 v[14:15], v[10:11], v[8:9]
	v_add_f64_e32 v[186:187], v[186:187], v[194:195]
	ds_load_b128 v[4:7], v2 offset:1936
	ds_load_b128 v[8:11], v2 offset:1952
	s_wait_loadcnt_dscnt 0x701
	v_mul_f64_e32 v[190:191], v[4:5], v[22:23]
	v_mul_f64_e32 v[22:23], v[6:7], v[22:23]
	s_wait_loadcnt_dscnt 0x600
	v_mul_f64_e32 v[18:19], v[8:9], v[26:27]
	v_mul_f64_e32 v[26:27], v[10:11], v[26:27]
	v_add_f64_e32 v[12:13], v[14:15], v[12:13]
	v_add_f64_e32 v[14:15], v[186:187], v[196:197]
	v_fmac_f64_e32 v[190:191], v[6:7], v[20:21]
	v_fma_f64 v[20:21], v[4:5], v[20:21], -v[22:23]
	v_fmac_f64_e32 v[18:19], v[10:11], v[24:25]
	v_fma_f64 v[8:9], v[8:9], v[24:25], -v[26:27]
	v_add_f64_e32 v[16:17], v[12:13], v[16:17]
	v_add_f64_e32 v[22:23], v[14:15], v[188:189]
	ds_load_b128 v[4:7], v2 offset:1968
	ds_load_b128 v[12:15], v2 offset:1984
	s_wait_loadcnt_dscnt 0x501
	v_mul_f64_e32 v[174:175], v[4:5], v[30:31]
	v_mul_f64_e32 v[30:31], v[6:7], v[30:31]
	v_add_f64_e32 v[10:11], v[16:17], v[20:21]
	v_add_f64_e32 v[16:17], v[22:23], v[190:191]
	s_wait_loadcnt_dscnt 0x400
	v_mul_f64_e32 v[20:21], v[12:13], v[164:165]
	v_mul_f64_e32 v[22:23], v[14:15], v[164:165]
	v_fmac_f64_e32 v[174:175], v[6:7], v[28:29]
	v_fma_f64 v[24:25], v[4:5], v[28:29], -v[30:31]
	v_add_f64_e32 v[26:27], v[10:11], v[8:9]
	v_add_f64_e32 v[16:17], v[16:17], v[18:19]
	ds_load_b128 v[4:7], v2 offset:2000
	ds_load_b128 v[8:11], v2 offset:2016
	v_fmac_f64_e32 v[20:21], v[14:15], v[162:163]
	v_fma_f64 v[12:13], v[12:13], v[162:163], -v[22:23]
	s_wait_loadcnt_dscnt 0x301
	v_mul_f64_e32 v[18:19], v[4:5], v[168:169]
	v_mul_f64_e32 v[28:29], v[6:7], v[168:169]
	s_wait_loadcnt_dscnt 0x200
	v_mul_f64_e32 v[22:23], v[8:9], v[172:173]
	v_add_f64_e32 v[14:15], v[26:27], v[24:25]
	v_add_f64_e32 v[16:17], v[16:17], v[174:175]
	v_mul_f64_e32 v[24:25], v[10:11], v[172:173]
	v_fmac_f64_e32 v[18:19], v[6:7], v[166:167]
	v_fma_f64 v[26:27], v[4:5], v[166:167], -v[28:29]
	ds_load_b128 v[4:7], v2 offset:2032
	v_fmac_f64_e32 v[22:23], v[10:11], v[170:171]
	v_add_f64_e32 v[12:13], v[14:15], v[12:13]
	v_add_f64_e32 v[14:15], v[16:17], v[20:21]
	v_fma_f64 v[8:9], v[8:9], v[170:171], -v[24:25]
	s_wait_loadcnt_dscnt 0x100
	v_mul_f64_e32 v[16:17], v[4:5], v[180:181]
	v_mul_f64_e32 v[20:21], v[6:7], v[180:181]
	v_add_f64_e32 v[10:11], v[12:13], v[26:27]
	v_add_f64_e32 v[12:13], v[14:15], v[18:19]
	s_delay_alu instid0(VALU_DEP_4) | instskip(NEXT) | instid1(VALU_DEP_4)
	v_fmac_f64_e32 v[16:17], v[6:7], v[178:179]
	v_fma_f64 v[4:5], v[4:5], v[178:179], -v[20:21]
	s_delay_alu instid0(VALU_DEP_4) | instskip(NEXT) | instid1(VALU_DEP_4)
	v_add_f64_e32 v[6:7], v[10:11], v[8:9]
	v_add_f64_e32 v[8:9], v[12:13], v[22:23]
	s_delay_alu instid0(VALU_DEP_2) | instskip(NEXT) | instid1(VALU_DEP_2)
	v_add_f64_e32 v[4:5], v[6:7], v[4:5]
	v_add_f64_e32 v[6:7], v[8:9], v[16:17]
	s_wait_loadcnt 0x0
	s_delay_alu instid0(VALU_DEP_2) | instskip(NEXT) | instid1(VALU_DEP_2)
	v_add_f64_e64 v[4:5], v[182:183], -v[4:5]
	v_add_f64_e64 v[6:7], v[184:185], -v[6:7]
	scratch_store_b128 off, v[4:7], off offset:832
	s_wait_xcnt 0x0
	v_cmpx_lt_u32_e32 51, v1
	s_cbranch_execz .LBB63_307
; %bb.306:
	scratch_load_b128 v[6:9], off, s14
	v_dual_mov_b32 v3, v2 :: v_dual_mov_b32 v4, v2
	v_mov_b32_e32 v5, v2
	scratch_store_b128 off, v[2:5], off offset:816
	s_wait_loadcnt 0x0
	ds_store_b128 v160, v[6:9]
.LBB63_307:
	s_wait_xcnt 0x0
	s_or_b32 exec_lo, exec_lo, s2
	s_wait_storecnt_dscnt 0x0
	s_barrier_signal -1
	s_barrier_wait -1
	s_clause 0x9
	scratch_load_b128 v[4:7], off, off offset:832
	scratch_load_b128 v[8:11], off, off offset:848
	;; [unrolled: 1-line block ×10, first 2 shown]
	ds_load_b128 v[174:177], v2 offset:1856
	ds_load_b128 v[182:185], v2 offset:1872
	s_clause 0x2
	scratch_load_b128 v[178:181], off, off offset:992
	scratch_load_b128 v[186:189], off, off offset:816
	;; [unrolled: 1-line block ×3, first 2 shown]
	s_mov_b32 s2, exec_lo
	s_wait_loadcnt_dscnt 0xc01
	v_mul_f64_e32 v[194:195], v[176:177], v[6:7]
	v_mul_f64_e32 v[196:197], v[174:175], v[6:7]
	s_wait_loadcnt_dscnt 0xb00
	v_mul_f64_e32 v[198:199], v[182:183], v[10:11]
	v_mul_f64_e32 v[10:11], v[184:185], v[10:11]
	s_delay_alu instid0(VALU_DEP_4) | instskip(NEXT) | instid1(VALU_DEP_4)
	v_fma_f64 v[194:195], v[174:175], v[4:5], -v[194:195]
	v_fmac_f64_e32 v[196:197], v[176:177], v[4:5]
	ds_load_b128 v[4:7], v2 offset:1888
	ds_load_b128 v[174:177], v2 offset:1904
	v_fmac_f64_e32 v[198:199], v[184:185], v[8:9]
	v_fma_f64 v[8:9], v[182:183], v[8:9], -v[10:11]
	s_wait_loadcnt_dscnt 0xa01
	v_mul_f64_e32 v[200:201], v[4:5], v[14:15]
	v_mul_f64_e32 v[14:15], v[6:7], v[14:15]
	s_wait_loadcnt_dscnt 0x900
	v_mul_f64_e32 v[184:185], v[174:175], v[18:19]
	v_mul_f64_e32 v[18:19], v[176:177], v[18:19]
	v_add_f64_e32 v[10:11], 0, v[194:195]
	v_add_f64_e32 v[182:183], 0, v[196:197]
	v_fmac_f64_e32 v[200:201], v[6:7], v[12:13]
	v_fma_f64 v[12:13], v[4:5], v[12:13], -v[14:15]
	v_fmac_f64_e32 v[184:185], v[176:177], v[16:17]
	v_fma_f64 v[16:17], v[174:175], v[16:17], -v[18:19]
	v_add_f64_e32 v[14:15], v[10:11], v[8:9]
	v_add_f64_e32 v[182:183], v[182:183], v[198:199]
	ds_load_b128 v[4:7], v2 offset:1920
	ds_load_b128 v[8:11], v2 offset:1936
	s_wait_loadcnt_dscnt 0x801
	v_mul_f64_e32 v[194:195], v[4:5], v[22:23]
	v_mul_f64_e32 v[22:23], v[6:7], v[22:23]
	s_wait_loadcnt_dscnt 0x700
	v_mul_f64_e32 v[18:19], v[8:9], v[26:27]
	v_mul_f64_e32 v[26:27], v[10:11], v[26:27]
	v_add_f64_e32 v[12:13], v[14:15], v[12:13]
	v_add_f64_e32 v[14:15], v[182:183], v[200:201]
	v_fmac_f64_e32 v[194:195], v[6:7], v[20:21]
	v_fma_f64 v[20:21], v[4:5], v[20:21], -v[22:23]
	v_fmac_f64_e32 v[18:19], v[10:11], v[24:25]
	v_fma_f64 v[8:9], v[8:9], v[24:25], -v[26:27]
	v_add_f64_e32 v[16:17], v[12:13], v[16:17]
	v_add_f64_e32 v[22:23], v[14:15], v[184:185]
	ds_load_b128 v[4:7], v2 offset:1952
	ds_load_b128 v[12:15], v2 offset:1968
	s_wait_loadcnt_dscnt 0x601
	v_mul_f64_e32 v[174:175], v[4:5], v[30:31]
	v_mul_f64_e32 v[30:31], v[6:7], v[30:31]
	v_add_f64_e32 v[10:11], v[16:17], v[20:21]
	v_add_f64_e32 v[16:17], v[22:23], v[194:195]
	s_wait_loadcnt_dscnt 0x500
	v_mul_f64_e32 v[20:21], v[12:13], v[164:165]
	v_mul_f64_e32 v[22:23], v[14:15], v[164:165]
	v_fmac_f64_e32 v[174:175], v[6:7], v[28:29]
	v_fma_f64 v[24:25], v[4:5], v[28:29], -v[30:31]
	v_add_f64_e32 v[26:27], v[10:11], v[8:9]
	v_add_f64_e32 v[16:17], v[16:17], v[18:19]
	ds_load_b128 v[4:7], v2 offset:1984
	ds_load_b128 v[8:11], v2 offset:2000
	v_fmac_f64_e32 v[20:21], v[14:15], v[162:163]
	v_fma_f64 v[12:13], v[12:13], v[162:163], -v[22:23]
	s_wait_loadcnt_dscnt 0x401
	v_mul_f64_e32 v[18:19], v[4:5], v[168:169]
	v_mul_f64_e32 v[28:29], v[6:7], v[168:169]
	s_wait_loadcnt_dscnt 0x300
	v_mul_f64_e32 v[22:23], v[8:9], v[172:173]
	v_add_f64_e32 v[14:15], v[26:27], v[24:25]
	v_add_f64_e32 v[16:17], v[16:17], v[174:175]
	v_mul_f64_e32 v[24:25], v[10:11], v[172:173]
	v_fmac_f64_e32 v[18:19], v[6:7], v[166:167]
	v_fma_f64 v[26:27], v[4:5], v[166:167], -v[28:29]
	v_fmac_f64_e32 v[22:23], v[10:11], v[170:171]
	v_add_f64_e32 v[28:29], v[14:15], v[12:13]
	v_add_f64_e32 v[16:17], v[16:17], v[20:21]
	ds_load_b128 v[4:7], v2 offset:2016
	ds_load_b128 v[12:15], v2 offset:2032
	v_fma_f64 v[8:9], v[8:9], v[170:171], -v[24:25]
	s_wait_loadcnt_dscnt 0x201
	v_mul_f64_e32 v[2:3], v[4:5], v[180:181]
	v_mul_f64_e32 v[20:21], v[6:7], v[180:181]
	s_wait_loadcnt_dscnt 0x0
	v_mul_f64_e32 v[24:25], v[14:15], v[192:193]
	v_add_f64_e32 v[10:11], v[28:29], v[26:27]
	v_add_f64_e32 v[16:17], v[16:17], v[18:19]
	v_mul_f64_e32 v[18:19], v[12:13], v[192:193]
	v_fmac_f64_e32 v[2:3], v[6:7], v[178:179]
	v_fma_f64 v[4:5], v[4:5], v[178:179], -v[20:21]
	v_add_f64_e32 v[6:7], v[10:11], v[8:9]
	v_add_f64_e32 v[8:9], v[16:17], v[22:23]
	v_fmac_f64_e32 v[18:19], v[14:15], v[190:191]
	v_fma_f64 v[10:11], v[12:13], v[190:191], -v[24:25]
	s_delay_alu instid0(VALU_DEP_4) | instskip(NEXT) | instid1(VALU_DEP_4)
	v_add_f64_e32 v[4:5], v[6:7], v[4:5]
	v_add_f64_e32 v[2:3], v[8:9], v[2:3]
	s_delay_alu instid0(VALU_DEP_2) | instskip(NEXT) | instid1(VALU_DEP_2)
	v_add_f64_e32 v[4:5], v[4:5], v[10:11]
	v_add_f64_e32 v[6:7], v[2:3], v[18:19]
	s_delay_alu instid0(VALU_DEP_2) | instskip(NEXT) | instid1(VALU_DEP_2)
	v_add_f64_e64 v[2:3], v[186:187], -v[4:5]
	v_add_f64_e64 v[4:5], v[188:189], -v[6:7]
	scratch_store_b128 off, v[2:5], off offset:816
	s_wait_xcnt 0x0
	v_cmpx_lt_u32_e32 50, v1
	s_cbranch_execz .LBB63_309
; %bb.308:
	scratch_load_b128 v[2:5], off, s21
	v_mov_b32_e32 v6, 0
	s_delay_alu instid0(VALU_DEP_1)
	v_dual_mov_b32 v7, v6 :: v_dual_mov_b32 v8, v6
	v_mov_b32_e32 v9, v6
	scratch_store_b128 off, v[6:9], off offset:800
	s_wait_loadcnt 0x0
	ds_store_b128 v160, v[2:5]
.LBB63_309:
	s_wait_xcnt 0x0
	s_or_b32 exec_lo, exec_lo, s2
	s_wait_storecnt_dscnt 0x0
	s_barrier_signal -1
	s_barrier_wait -1
	s_clause 0x9
	scratch_load_b128 v[4:7], off, off offset:816
	scratch_load_b128 v[8:11], off, off offset:832
	;; [unrolled: 1-line block ×10, first 2 shown]
	v_mov_b32_e32 v2, 0
	s_mov_b32 s2, exec_lo
	ds_load_b128 v[174:177], v2 offset:1840
	s_clause 0x2
	scratch_load_b128 v[178:181], off, off offset:976
	scratch_load_b128 v[182:185], off, off offset:800
	;; [unrolled: 1-line block ×3, first 2 shown]
	s_wait_loadcnt_dscnt 0xc00
	v_mul_f64_e32 v[194:195], v[176:177], v[6:7]
	v_mul_f64_e32 v[198:199], v[174:175], v[6:7]
	ds_load_b128 v[186:189], v2 offset:1856
	v_fma_f64 v[202:203], v[174:175], v[4:5], -v[194:195]
	v_fmac_f64_e32 v[198:199], v[176:177], v[4:5]
	ds_load_b128 v[4:7], v2 offset:1872
	s_wait_loadcnt_dscnt 0xb01
	v_mul_f64_e32 v[200:201], v[186:187], v[10:11]
	v_mul_f64_e32 v[10:11], v[188:189], v[10:11]
	scratch_load_b128 v[174:177], off, off offset:1008
	ds_load_b128 v[194:197], v2 offset:1888
	s_wait_loadcnt_dscnt 0xb01
	v_mul_f64_e32 v[204:205], v[4:5], v[14:15]
	v_mul_f64_e32 v[14:15], v[6:7], v[14:15]
	v_fmac_f64_e32 v[200:201], v[188:189], v[8:9]
	v_fma_f64 v[8:9], v[186:187], v[8:9], -v[10:11]
	v_add_f64_e32 v[10:11], 0, v[202:203]
	v_add_f64_e32 v[186:187], 0, v[198:199]
	s_wait_loadcnt_dscnt 0xa00
	v_mul_f64_e32 v[188:189], v[194:195], v[18:19]
	v_mul_f64_e32 v[18:19], v[196:197], v[18:19]
	v_fmac_f64_e32 v[204:205], v[6:7], v[12:13]
	v_fma_f64 v[12:13], v[4:5], v[12:13], -v[14:15]
	v_add_f64_e32 v[14:15], v[10:11], v[8:9]
	v_add_f64_e32 v[186:187], v[186:187], v[200:201]
	ds_load_b128 v[4:7], v2 offset:1904
	ds_load_b128 v[8:11], v2 offset:1920
	v_fmac_f64_e32 v[188:189], v[196:197], v[16:17]
	v_fma_f64 v[16:17], v[194:195], v[16:17], -v[18:19]
	s_wait_loadcnt_dscnt 0x901
	v_mul_f64_e32 v[198:199], v[4:5], v[22:23]
	v_mul_f64_e32 v[22:23], v[6:7], v[22:23]
	s_wait_loadcnt_dscnt 0x800
	v_mul_f64_e32 v[18:19], v[8:9], v[26:27]
	v_mul_f64_e32 v[26:27], v[10:11], v[26:27]
	v_add_f64_e32 v[12:13], v[14:15], v[12:13]
	v_add_f64_e32 v[14:15], v[186:187], v[204:205]
	v_fmac_f64_e32 v[198:199], v[6:7], v[20:21]
	v_fma_f64 v[20:21], v[4:5], v[20:21], -v[22:23]
	v_fmac_f64_e32 v[18:19], v[10:11], v[24:25]
	v_fma_f64 v[8:9], v[8:9], v[24:25], -v[26:27]
	v_add_f64_e32 v[16:17], v[12:13], v[16:17]
	v_add_f64_e32 v[22:23], v[14:15], v[188:189]
	ds_load_b128 v[4:7], v2 offset:1936
	ds_load_b128 v[12:15], v2 offset:1952
	s_wait_loadcnt_dscnt 0x701
	v_mul_f64_e32 v[186:187], v[4:5], v[30:31]
	v_mul_f64_e32 v[30:31], v[6:7], v[30:31]
	v_add_f64_e32 v[10:11], v[16:17], v[20:21]
	v_add_f64_e32 v[16:17], v[22:23], v[198:199]
	s_wait_loadcnt_dscnt 0x600
	v_mul_f64_e32 v[20:21], v[12:13], v[164:165]
	v_mul_f64_e32 v[22:23], v[14:15], v[164:165]
	v_fmac_f64_e32 v[186:187], v[6:7], v[28:29]
	v_fma_f64 v[24:25], v[4:5], v[28:29], -v[30:31]
	v_add_f64_e32 v[26:27], v[10:11], v[8:9]
	v_add_f64_e32 v[16:17], v[16:17], v[18:19]
	ds_load_b128 v[4:7], v2 offset:1968
	ds_load_b128 v[8:11], v2 offset:1984
	v_fmac_f64_e32 v[20:21], v[14:15], v[162:163]
	v_fma_f64 v[12:13], v[12:13], v[162:163], -v[22:23]
	s_wait_loadcnt_dscnt 0x501
	v_mul_f64_e32 v[18:19], v[4:5], v[168:169]
	v_mul_f64_e32 v[28:29], v[6:7], v[168:169]
	s_wait_loadcnt_dscnt 0x400
	v_mul_f64_e32 v[22:23], v[8:9], v[172:173]
	v_add_f64_e32 v[14:15], v[26:27], v[24:25]
	v_add_f64_e32 v[16:17], v[16:17], v[186:187]
	v_mul_f64_e32 v[24:25], v[10:11], v[172:173]
	v_fmac_f64_e32 v[18:19], v[6:7], v[166:167]
	v_fma_f64 v[26:27], v[4:5], v[166:167], -v[28:29]
	v_fmac_f64_e32 v[22:23], v[10:11], v[170:171]
	v_add_f64_e32 v[28:29], v[14:15], v[12:13]
	v_add_f64_e32 v[16:17], v[16:17], v[20:21]
	ds_load_b128 v[4:7], v2 offset:2000
	ds_load_b128 v[12:15], v2 offset:2016
	v_fma_f64 v[8:9], v[8:9], v[170:171], -v[24:25]
	s_wait_loadcnt_dscnt 0x301
	v_mul_f64_e32 v[20:21], v[4:5], v[180:181]
	v_mul_f64_e32 v[30:31], v[6:7], v[180:181]
	s_wait_loadcnt_dscnt 0x100
	v_mul_f64_e32 v[24:25], v[14:15], v[192:193]
	v_add_f64_e32 v[10:11], v[28:29], v[26:27]
	v_add_f64_e32 v[16:17], v[16:17], v[18:19]
	v_mul_f64_e32 v[18:19], v[12:13], v[192:193]
	v_fmac_f64_e32 v[20:21], v[6:7], v[178:179]
	v_fma_f64 v[26:27], v[4:5], v[178:179], -v[30:31]
	ds_load_b128 v[4:7], v2 offset:2032
	v_fma_f64 v[12:13], v[12:13], v[190:191], -v[24:25]
	v_add_f64_e32 v[8:9], v[10:11], v[8:9]
	v_add_f64_e32 v[10:11], v[16:17], v[22:23]
	v_fmac_f64_e32 v[18:19], v[14:15], v[190:191]
	s_wait_loadcnt_dscnt 0x0
	v_mul_f64_e32 v[16:17], v[4:5], v[176:177]
	v_mul_f64_e32 v[22:23], v[6:7], v[176:177]
	v_add_f64_e32 v[8:9], v[8:9], v[26:27]
	v_add_f64_e32 v[10:11], v[10:11], v[20:21]
	s_delay_alu instid0(VALU_DEP_4) | instskip(NEXT) | instid1(VALU_DEP_4)
	v_fmac_f64_e32 v[16:17], v[6:7], v[174:175]
	v_fma_f64 v[4:5], v[4:5], v[174:175], -v[22:23]
	s_delay_alu instid0(VALU_DEP_4) | instskip(NEXT) | instid1(VALU_DEP_4)
	v_add_f64_e32 v[6:7], v[8:9], v[12:13]
	v_add_f64_e32 v[8:9], v[10:11], v[18:19]
	s_delay_alu instid0(VALU_DEP_2) | instskip(NEXT) | instid1(VALU_DEP_2)
	v_add_f64_e32 v[4:5], v[6:7], v[4:5]
	v_add_f64_e32 v[6:7], v[8:9], v[16:17]
	s_delay_alu instid0(VALU_DEP_2) | instskip(NEXT) | instid1(VALU_DEP_2)
	v_add_f64_e64 v[4:5], v[182:183], -v[4:5]
	v_add_f64_e64 v[6:7], v[184:185], -v[6:7]
	scratch_store_b128 off, v[4:7], off offset:800
	s_wait_xcnt 0x0
	v_cmpx_lt_u32_e32 49, v1
	s_cbranch_execz .LBB63_311
; %bb.310:
	scratch_load_b128 v[6:9], off, s20
	v_dual_mov_b32 v3, v2 :: v_dual_mov_b32 v4, v2
	v_mov_b32_e32 v5, v2
	scratch_store_b128 off, v[2:5], off offset:784
	s_wait_loadcnt 0x0
	ds_store_b128 v160, v[6:9]
.LBB63_311:
	s_wait_xcnt 0x0
	s_or_b32 exec_lo, exec_lo, s2
	s_wait_storecnt_dscnt 0x0
	s_barrier_signal -1
	s_barrier_wait -1
	s_clause 0x9
	scratch_load_b128 v[4:7], off, off offset:800
	scratch_load_b128 v[8:11], off, off offset:816
	;; [unrolled: 1-line block ×10, first 2 shown]
	ds_load_b128 v[174:177], v2 offset:1824
	ds_load_b128 v[182:185], v2 offset:1840
	s_clause 0x2
	scratch_load_b128 v[178:181], off, off offset:960
	scratch_load_b128 v[186:189], off, off offset:784
	scratch_load_b128 v[190:193], off, off offset:976
	s_mov_b32 s2, exec_lo
	s_wait_loadcnt_dscnt 0xc01
	v_mul_f64_e32 v[194:195], v[176:177], v[6:7]
	v_mul_f64_e32 v[198:199], v[174:175], v[6:7]
	s_wait_loadcnt_dscnt 0xb00
	v_mul_f64_e32 v[200:201], v[182:183], v[10:11]
	v_mul_f64_e32 v[10:11], v[184:185], v[10:11]
	s_delay_alu instid0(VALU_DEP_4) | instskip(NEXT) | instid1(VALU_DEP_4)
	v_fma_f64 v[202:203], v[174:175], v[4:5], -v[194:195]
	v_fmac_f64_e32 v[198:199], v[176:177], v[4:5]
	ds_load_b128 v[4:7], v2 offset:1856
	ds_load_b128 v[174:177], v2 offset:1872
	scratch_load_b128 v[194:197], off, off offset:992
	v_fmac_f64_e32 v[200:201], v[184:185], v[8:9]
	v_fma_f64 v[182:183], v[182:183], v[8:9], -v[10:11]
	scratch_load_b128 v[8:11], off, off offset:1008
	s_wait_loadcnt_dscnt 0xc01
	v_mul_f64_e32 v[204:205], v[4:5], v[14:15]
	v_mul_f64_e32 v[14:15], v[6:7], v[14:15]
	v_add_f64_e32 v[184:185], 0, v[202:203]
	v_add_f64_e32 v[198:199], 0, v[198:199]
	s_wait_loadcnt_dscnt 0xb00
	v_mul_f64_e32 v[202:203], v[174:175], v[18:19]
	v_mul_f64_e32 v[18:19], v[176:177], v[18:19]
	v_fmac_f64_e32 v[204:205], v[6:7], v[12:13]
	v_fma_f64 v[206:207], v[4:5], v[12:13], -v[14:15]
	ds_load_b128 v[4:7], v2 offset:1888
	ds_load_b128 v[12:15], v2 offset:1904
	v_add_f64_e32 v[182:183], v[184:185], v[182:183]
	v_add_f64_e32 v[184:185], v[198:199], v[200:201]
	v_fmac_f64_e32 v[202:203], v[176:177], v[16:17]
	v_fma_f64 v[16:17], v[174:175], v[16:17], -v[18:19]
	s_wait_loadcnt_dscnt 0xa01
	v_mul_f64_e32 v[198:199], v[4:5], v[22:23]
	v_mul_f64_e32 v[22:23], v[6:7], v[22:23]
	s_wait_loadcnt_dscnt 0x900
	v_mul_f64_e32 v[176:177], v[12:13], v[26:27]
	v_mul_f64_e32 v[26:27], v[14:15], v[26:27]
	v_add_f64_e32 v[18:19], v[182:183], v[206:207]
	v_add_f64_e32 v[174:175], v[184:185], v[204:205]
	v_fmac_f64_e32 v[198:199], v[6:7], v[20:21]
	v_fma_f64 v[20:21], v[4:5], v[20:21], -v[22:23]
	v_fmac_f64_e32 v[176:177], v[14:15], v[24:25]
	v_fma_f64 v[12:13], v[12:13], v[24:25], -v[26:27]
	v_add_f64_e32 v[22:23], v[18:19], v[16:17]
	v_add_f64_e32 v[174:175], v[174:175], v[202:203]
	ds_load_b128 v[4:7], v2 offset:1920
	ds_load_b128 v[16:19], v2 offset:1936
	s_wait_loadcnt_dscnt 0x801
	v_mul_f64_e32 v[182:183], v[4:5], v[30:31]
	v_mul_f64_e32 v[30:31], v[6:7], v[30:31]
	s_wait_loadcnt_dscnt 0x700
	v_mul_f64_e32 v[24:25], v[18:19], v[164:165]
	v_add_f64_e32 v[14:15], v[22:23], v[20:21]
	v_add_f64_e32 v[20:21], v[174:175], v[198:199]
	v_mul_f64_e32 v[22:23], v[16:17], v[164:165]
	v_fmac_f64_e32 v[182:183], v[6:7], v[28:29]
	v_fma_f64 v[26:27], v[4:5], v[28:29], -v[30:31]
	v_fma_f64 v[16:17], v[16:17], v[162:163], -v[24:25]
	v_add_f64_e32 v[28:29], v[14:15], v[12:13]
	v_add_f64_e32 v[20:21], v[20:21], v[176:177]
	ds_load_b128 v[4:7], v2 offset:1952
	ds_load_b128 v[12:15], v2 offset:1968
	v_fmac_f64_e32 v[22:23], v[18:19], v[162:163]
	s_wait_loadcnt_dscnt 0x601
	v_mul_f64_e32 v[30:31], v[4:5], v[168:169]
	v_mul_f64_e32 v[164:165], v[6:7], v[168:169]
	s_wait_loadcnt_dscnt 0x500
	v_mul_f64_e32 v[24:25], v[12:13], v[172:173]
	v_add_f64_e32 v[18:19], v[28:29], v[26:27]
	v_add_f64_e32 v[20:21], v[20:21], v[182:183]
	v_mul_f64_e32 v[26:27], v[14:15], v[172:173]
	v_fmac_f64_e32 v[30:31], v[6:7], v[166:167]
	v_fma_f64 v[28:29], v[4:5], v[166:167], -v[164:165]
	v_fmac_f64_e32 v[24:25], v[14:15], v[170:171]
	v_add_f64_e32 v[162:163], v[18:19], v[16:17]
	v_add_f64_e32 v[20:21], v[20:21], v[22:23]
	ds_load_b128 v[4:7], v2 offset:1984
	ds_load_b128 v[16:19], v2 offset:2000
	v_fma_f64 v[12:13], v[12:13], v[170:171], -v[26:27]
	s_wait_loadcnt_dscnt 0x401
	v_mul_f64_e32 v[22:23], v[4:5], v[180:181]
	v_mul_f64_e32 v[164:165], v[6:7], v[180:181]
	s_wait_loadcnt_dscnt 0x200
	v_mul_f64_e32 v[26:27], v[16:17], v[192:193]
	v_add_f64_e32 v[14:15], v[162:163], v[28:29]
	v_add_f64_e32 v[20:21], v[20:21], v[30:31]
	v_mul_f64_e32 v[28:29], v[18:19], v[192:193]
	v_fmac_f64_e32 v[22:23], v[6:7], v[178:179]
	v_fma_f64 v[30:31], v[4:5], v[178:179], -v[164:165]
	v_fmac_f64_e32 v[26:27], v[18:19], v[190:191]
	v_add_f64_e32 v[162:163], v[14:15], v[12:13]
	v_add_f64_e32 v[20:21], v[20:21], v[24:25]
	ds_load_b128 v[4:7], v2 offset:2016
	ds_load_b128 v[12:15], v2 offset:2032
	v_fma_f64 v[16:17], v[16:17], v[190:191], -v[28:29]
	s_wait_loadcnt_dscnt 0x101
	v_mul_f64_e32 v[2:3], v[4:5], v[196:197]
	v_mul_f64_e32 v[24:25], v[6:7], v[196:197]
	v_add_f64_e32 v[18:19], v[162:163], v[30:31]
	v_add_f64_e32 v[20:21], v[20:21], v[22:23]
	s_wait_loadcnt_dscnt 0x0
	v_mul_f64_e32 v[22:23], v[12:13], v[10:11]
	v_mul_f64_e32 v[10:11], v[14:15], v[10:11]
	v_fmac_f64_e32 v[2:3], v[6:7], v[194:195]
	v_fma_f64 v[4:5], v[4:5], v[194:195], -v[24:25]
	v_add_f64_e32 v[6:7], v[18:19], v[16:17]
	v_add_f64_e32 v[16:17], v[20:21], v[26:27]
	v_fmac_f64_e32 v[22:23], v[14:15], v[8:9]
	v_fma_f64 v[8:9], v[12:13], v[8:9], -v[10:11]
	s_delay_alu instid0(VALU_DEP_4) | instskip(NEXT) | instid1(VALU_DEP_4)
	v_add_f64_e32 v[4:5], v[6:7], v[4:5]
	v_add_f64_e32 v[2:3], v[16:17], v[2:3]
	s_delay_alu instid0(VALU_DEP_2) | instskip(NEXT) | instid1(VALU_DEP_2)
	v_add_f64_e32 v[4:5], v[4:5], v[8:9]
	v_add_f64_e32 v[6:7], v[2:3], v[22:23]
	s_delay_alu instid0(VALU_DEP_2) | instskip(NEXT) | instid1(VALU_DEP_2)
	v_add_f64_e64 v[2:3], v[186:187], -v[4:5]
	v_add_f64_e64 v[4:5], v[188:189], -v[6:7]
	scratch_store_b128 off, v[2:5], off offset:784
	s_wait_xcnt 0x0
	v_cmpx_lt_u32_e32 48, v1
	s_cbranch_execz .LBB63_313
; %bb.312:
	scratch_load_b128 v[2:5], off, s23
	v_mov_b32_e32 v6, 0
	s_delay_alu instid0(VALU_DEP_1)
	v_dual_mov_b32 v7, v6 :: v_dual_mov_b32 v8, v6
	v_mov_b32_e32 v9, v6
	scratch_store_b128 off, v[6:9], off offset:768
	s_wait_loadcnt 0x0
	ds_store_b128 v160, v[2:5]
.LBB63_313:
	s_wait_xcnt 0x0
	s_or_b32 exec_lo, exec_lo, s2
	s_wait_storecnt_dscnt 0x0
	s_barrier_signal -1
	s_barrier_wait -1
	s_clause 0x9
	scratch_load_b128 v[4:7], off, off offset:784
	scratch_load_b128 v[8:11], off, off offset:800
	;; [unrolled: 1-line block ×10, first 2 shown]
	v_mov_b32_e32 v2, 0
	s_mov_b32 s2, exec_lo
	ds_load_b128 v[174:177], v2 offset:1808
	s_clause 0x2
	scratch_load_b128 v[178:181], off, off offset:944
	scratch_load_b128 v[182:185], off, off offset:768
	;; [unrolled: 1-line block ×3, first 2 shown]
	s_wait_loadcnt_dscnt 0xc00
	v_mul_f64_e32 v[194:195], v[176:177], v[6:7]
	v_mul_f64_e32 v[198:199], v[174:175], v[6:7]
	ds_load_b128 v[186:189], v2 offset:1824
	v_fma_f64 v[202:203], v[174:175], v[4:5], -v[194:195]
	v_fmac_f64_e32 v[198:199], v[176:177], v[4:5]
	ds_load_b128 v[4:7], v2 offset:1840
	s_wait_loadcnt_dscnt 0xb01
	v_mul_f64_e32 v[200:201], v[186:187], v[10:11]
	v_mul_f64_e32 v[10:11], v[188:189], v[10:11]
	scratch_load_b128 v[174:177], off, off offset:976
	ds_load_b128 v[194:197], v2 offset:1856
	s_wait_loadcnt_dscnt 0xb01
	v_mul_f64_e32 v[204:205], v[4:5], v[14:15]
	v_mul_f64_e32 v[14:15], v[6:7], v[14:15]
	v_add_f64_e32 v[198:199], 0, v[198:199]
	v_fmac_f64_e32 v[200:201], v[188:189], v[8:9]
	v_fma_f64 v[186:187], v[186:187], v[8:9], -v[10:11]
	v_add_f64_e32 v[188:189], 0, v[202:203]
	scratch_load_b128 v[8:11], off, off offset:992
	v_fmac_f64_e32 v[204:205], v[6:7], v[12:13]
	v_fma_f64 v[206:207], v[4:5], v[12:13], -v[14:15]
	ds_load_b128 v[4:7], v2 offset:1872
	s_wait_loadcnt_dscnt 0xb01
	v_mul_f64_e32 v[202:203], v[194:195], v[18:19]
	v_mul_f64_e32 v[18:19], v[196:197], v[18:19]
	scratch_load_b128 v[12:15], off, off offset:1008
	v_add_f64_e32 v[198:199], v[198:199], v[200:201]
	v_add_f64_e32 v[208:209], v[188:189], v[186:187]
	ds_load_b128 v[186:189], v2 offset:1888
	s_wait_loadcnt_dscnt 0xb01
	v_mul_f64_e32 v[200:201], v[4:5], v[22:23]
	v_mul_f64_e32 v[22:23], v[6:7], v[22:23]
	v_fmac_f64_e32 v[202:203], v[196:197], v[16:17]
	v_fma_f64 v[16:17], v[194:195], v[16:17], -v[18:19]
	s_wait_loadcnt_dscnt 0xa00
	v_mul_f64_e32 v[196:197], v[186:187], v[26:27]
	v_mul_f64_e32 v[26:27], v[188:189], v[26:27]
	v_add_f64_e32 v[194:195], v[198:199], v[204:205]
	v_add_f64_e32 v[18:19], v[208:209], v[206:207]
	v_fmac_f64_e32 v[200:201], v[6:7], v[20:21]
	v_fma_f64 v[20:21], v[4:5], v[20:21], -v[22:23]
	v_fmac_f64_e32 v[196:197], v[188:189], v[24:25]
	v_fma_f64 v[24:25], v[186:187], v[24:25], -v[26:27]
	v_add_f64_e32 v[194:195], v[194:195], v[202:203]
	v_add_f64_e32 v[22:23], v[18:19], v[16:17]
	ds_load_b128 v[4:7], v2 offset:1904
	ds_load_b128 v[16:19], v2 offset:1920
	s_wait_loadcnt_dscnt 0x901
	v_mul_f64_e32 v[198:199], v[4:5], v[30:31]
	v_mul_f64_e32 v[30:31], v[6:7], v[30:31]
	s_wait_loadcnt_dscnt 0x800
	v_mul_f64_e32 v[26:27], v[16:17], v[164:165]
	v_mul_f64_e32 v[164:165], v[18:19], v[164:165]
	v_add_f64_e32 v[20:21], v[22:23], v[20:21]
	v_add_f64_e32 v[22:23], v[194:195], v[200:201]
	v_fmac_f64_e32 v[198:199], v[6:7], v[28:29]
	v_fma_f64 v[28:29], v[4:5], v[28:29], -v[30:31]
	v_fmac_f64_e32 v[26:27], v[18:19], v[162:163]
	v_fma_f64 v[16:17], v[16:17], v[162:163], -v[164:165]
	v_add_f64_e32 v[24:25], v[20:21], v[24:25]
	v_add_f64_e32 v[30:31], v[22:23], v[196:197]
	ds_load_b128 v[4:7], v2 offset:1936
	ds_load_b128 v[20:23], v2 offset:1952
	s_wait_loadcnt_dscnt 0x701
	v_mul_f64_e32 v[186:187], v[4:5], v[168:169]
	v_mul_f64_e32 v[168:169], v[6:7], v[168:169]
	v_add_f64_e32 v[18:19], v[24:25], v[28:29]
	v_add_f64_e32 v[24:25], v[30:31], v[198:199]
	s_wait_loadcnt_dscnt 0x600
	v_mul_f64_e32 v[28:29], v[20:21], v[172:173]
	v_mul_f64_e32 v[30:31], v[22:23], v[172:173]
	v_fmac_f64_e32 v[186:187], v[6:7], v[166:167]
	v_fma_f64 v[162:163], v[4:5], v[166:167], -v[168:169]
	v_add_f64_e32 v[164:165], v[18:19], v[16:17]
	v_add_f64_e32 v[24:25], v[24:25], v[26:27]
	ds_load_b128 v[4:7], v2 offset:1968
	ds_load_b128 v[16:19], v2 offset:1984
	v_fmac_f64_e32 v[28:29], v[22:23], v[170:171]
	v_fma_f64 v[20:21], v[20:21], v[170:171], -v[30:31]
	s_wait_loadcnt_dscnt 0x501
	v_mul_f64_e32 v[26:27], v[4:5], v[180:181]
	v_mul_f64_e32 v[166:167], v[6:7], v[180:181]
	s_wait_loadcnt_dscnt 0x300
	v_mul_f64_e32 v[30:31], v[16:17], v[192:193]
	v_add_f64_e32 v[22:23], v[164:165], v[162:163]
	v_add_f64_e32 v[24:25], v[24:25], v[186:187]
	v_mul_f64_e32 v[162:163], v[18:19], v[192:193]
	v_fmac_f64_e32 v[26:27], v[6:7], v[178:179]
	v_fma_f64 v[164:165], v[4:5], v[178:179], -v[166:167]
	v_fmac_f64_e32 v[30:31], v[18:19], v[190:191]
	v_add_f64_e32 v[166:167], v[22:23], v[20:21]
	v_add_f64_e32 v[24:25], v[24:25], v[28:29]
	ds_load_b128 v[4:7], v2 offset:2000
	ds_load_b128 v[20:23], v2 offset:2016
	v_fma_f64 v[16:17], v[16:17], v[190:191], -v[162:163]
	s_wait_loadcnt_dscnt 0x201
	v_mul_f64_e32 v[28:29], v[4:5], v[176:177]
	v_mul_f64_e32 v[168:169], v[6:7], v[176:177]
	v_add_f64_e32 v[18:19], v[166:167], v[164:165]
	v_add_f64_e32 v[24:25], v[24:25], v[26:27]
	s_wait_loadcnt_dscnt 0x100
	v_mul_f64_e32 v[26:27], v[20:21], v[10:11]
	v_mul_f64_e32 v[10:11], v[22:23], v[10:11]
	v_fmac_f64_e32 v[28:29], v[6:7], v[174:175]
	v_fma_f64 v[162:163], v[4:5], v[174:175], -v[168:169]
	ds_load_b128 v[4:7], v2 offset:2032
	v_add_f64_e32 v[16:17], v[18:19], v[16:17]
	v_add_f64_e32 v[18:19], v[24:25], v[30:31]
	v_fmac_f64_e32 v[26:27], v[22:23], v[8:9]
	v_fma_f64 v[8:9], v[20:21], v[8:9], -v[10:11]
	s_wait_loadcnt_dscnt 0x0
	v_mul_f64_e32 v[24:25], v[4:5], v[14:15]
	v_mul_f64_e32 v[14:15], v[6:7], v[14:15]
	v_add_f64_e32 v[10:11], v[16:17], v[162:163]
	v_add_f64_e32 v[16:17], v[18:19], v[28:29]
	s_delay_alu instid0(VALU_DEP_4) | instskip(NEXT) | instid1(VALU_DEP_4)
	v_fmac_f64_e32 v[24:25], v[6:7], v[12:13]
	v_fma_f64 v[4:5], v[4:5], v[12:13], -v[14:15]
	s_delay_alu instid0(VALU_DEP_4) | instskip(NEXT) | instid1(VALU_DEP_4)
	v_add_f64_e32 v[6:7], v[10:11], v[8:9]
	v_add_f64_e32 v[8:9], v[16:17], v[26:27]
	s_delay_alu instid0(VALU_DEP_2) | instskip(NEXT) | instid1(VALU_DEP_2)
	v_add_f64_e32 v[4:5], v[6:7], v[4:5]
	v_add_f64_e32 v[6:7], v[8:9], v[24:25]
	s_delay_alu instid0(VALU_DEP_2) | instskip(NEXT) | instid1(VALU_DEP_2)
	v_add_f64_e64 v[4:5], v[182:183], -v[4:5]
	v_add_f64_e64 v[6:7], v[184:185], -v[6:7]
	scratch_store_b128 off, v[4:7], off offset:768
	s_wait_xcnt 0x0
	v_cmpx_lt_u32_e32 47, v1
	s_cbranch_execz .LBB63_315
; %bb.314:
	scratch_load_b128 v[6:9], off, s22
	v_dual_mov_b32 v3, v2 :: v_dual_mov_b32 v4, v2
	v_mov_b32_e32 v5, v2
	scratch_store_b128 off, v[2:5], off offset:752
	s_wait_loadcnt 0x0
	ds_store_b128 v160, v[6:9]
.LBB63_315:
	s_wait_xcnt 0x0
	s_or_b32 exec_lo, exec_lo, s2
	s_wait_storecnt_dscnt 0x0
	s_barrier_signal -1
	s_barrier_wait -1
	s_clause 0x9
	scratch_load_b128 v[4:7], off, off offset:768
	scratch_load_b128 v[8:11], off, off offset:784
	;; [unrolled: 1-line block ×10, first 2 shown]
	ds_load_b128 v[174:177], v2 offset:1792
	ds_load_b128 v[182:185], v2 offset:1808
	s_clause 0x2
	scratch_load_b128 v[178:181], off, off offset:928
	scratch_load_b128 v[186:189], off, off offset:752
	;; [unrolled: 1-line block ×3, first 2 shown]
	s_mov_b32 s2, exec_lo
	s_wait_loadcnt_dscnt 0xc01
	v_mul_f64_e32 v[194:195], v[176:177], v[6:7]
	v_mul_f64_e32 v[198:199], v[174:175], v[6:7]
	s_wait_loadcnt_dscnt 0xb00
	v_mul_f64_e32 v[200:201], v[182:183], v[10:11]
	v_mul_f64_e32 v[10:11], v[184:185], v[10:11]
	s_delay_alu instid0(VALU_DEP_4) | instskip(NEXT) | instid1(VALU_DEP_4)
	v_fma_f64 v[202:203], v[174:175], v[4:5], -v[194:195]
	v_fmac_f64_e32 v[198:199], v[176:177], v[4:5]
	ds_load_b128 v[4:7], v2 offset:1824
	ds_load_b128 v[174:177], v2 offset:1840
	scratch_load_b128 v[194:197], off, off offset:960
	v_fmac_f64_e32 v[200:201], v[184:185], v[8:9]
	v_fma_f64 v[182:183], v[182:183], v[8:9], -v[10:11]
	scratch_load_b128 v[8:11], off, off offset:976
	s_wait_loadcnt_dscnt 0xc01
	v_mul_f64_e32 v[204:205], v[4:5], v[14:15]
	v_mul_f64_e32 v[14:15], v[6:7], v[14:15]
	v_add_f64_e32 v[184:185], 0, v[202:203]
	v_add_f64_e32 v[198:199], 0, v[198:199]
	s_wait_loadcnt_dscnt 0xb00
	v_mul_f64_e32 v[202:203], v[174:175], v[18:19]
	v_mul_f64_e32 v[18:19], v[176:177], v[18:19]
	v_fmac_f64_e32 v[204:205], v[6:7], v[12:13]
	v_fma_f64 v[206:207], v[4:5], v[12:13], -v[14:15]
	ds_load_b128 v[4:7], v2 offset:1856
	ds_load_b128 v[12:15], v2 offset:1872
	v_add_f64_e32 v[208:209], v[184:185], v[182:183]
	v_add_f64_e32 v[198:199], v[198:199], v[200:201]
	scratch_load_b128 v[182:185], off, off offset:992
	v_fmac_f64_e32 v[202:203], v[176:177], v[16:17]
	v_fma_f64 v[174:175], v[174:175], v[16:17], -v[18:19]
	scratch_load_b128 v[16:19], off, off offset:1008
	s_wait_loadcnt_dscnt 0xc01
	v_mul_f64_e32 v[200:201], v[4:5], v[22:23]
	v_mul_f64_e32 v[22:23], v[6:7], v[22:23]
	v_add_f64_e32 v[176:177], v[208:209], v[206:207]
	v_add_f64_e32 v[198:199], v[198:199], v[204:205]
	s_wait_loadcnt_dscnt 0xb00
	v_mul_f64_e32 v[204:205], v[12:13], v[26:27]
	v_mul_f64_e32 v[26:27], v[14:15], v[26:27]
	v_fmac_f64_e32 v[200:201], v[6:7], v[20:21]
	v_fma_f64 v[206:207], v[4:5], v[20:21], -v[22:23]
	ds_load_b128 v[4:7], v2 offset:1888
	ds_load_b128 v[20:23], v2 offset:1904
	v_add_f64_e32 v[174:175], v[176:177], v[174:175]
	v_add_f64_e32 v[176:177], v[198:199], v[202:203]
	s_wait_loadcnt_dscnt 0xa01
	v_mul_f64_e32 v[198:199], v[4:5], v[30:31]
	v_mul_f64_e32 v[30:31], v[6:7], v[30:31]
	v_fmac_f64_e32 v[204:205], v[14:15], v[24:25]
	v_fma_f64 v[12:13], v[12:13], v[24:25], -v[26:27]
	s_wait_loadcnt_dscnt 0x900
	v_mul_f64_e32 v[26:27], v[20:21], v[164:165]
	v_mul_f64_e32 v[164:165], v[22:23], v[164:165]
	v_add_f64_e32 v[14:15], v[174:175], v[206:207]
	v_add_f64_e32 v[24:25], v[176:177], v[200:201]
	v_fmac_f64_e32 v[198:199], v[6:7], v[28:29]
	v_fma_f64 v[28:29], v[4:5], v[28:29], -v[30:31]
	v_fmac_f64_e32 v[26:27], v[22:23], v[162:163]
	v_fma_f64 v[20:21], v[20:21], v[162:163], -v[164:165]
	v_add_f64_e32 v[30:31], v[14:15], v[12:13]
	v_add_f64_e32 v[24:25], v[24:25], v[204:205]
	ds_load_b128 v[4:7], v2 offset:1920
	ds_load_b128 v[12:15], v2 offset:1936
	s_wait_loadcnt_dscnt 0x801
	v_mul_f64_e32 v[174:175], v[4:5], v[168:169]
	v_mul_f64_e32 v[168:169], v[6:7], v[168:169]
	v_add_f64_e32 v[22:23], v[30:31], v[28:29]
	v_add_f64_e32 v[24:25], v[24:25], v[198:199]
	s_wait_loadcnt_dscnt 0x700
	v_mul_f64_e32 v[28:29], v[12:13], v[172:173]
	v_mul_f64_e32 v[30:31], v[14:15], v[172:173]
	v_fmac_f64_e32 v[174:175], v[6:7], v[166:167]
	v_fma_f64 v[162:163], v[4:5], v[166:167], -v[168:169]
	v_add_f64_e32 v[164:165], v[22:23], v[20:21]
	v_add_f64_e32 v[24:25], v[24:25], v[26:27]
	ds_load_b128 v[4:7], v2 offset:1952
	ds_load_b128 v[20:23], v2 offset:1968
	v_fmac_f64_e32 v[28:29], v[14:15], v[170:171]
	v_fma_f64 v[12:13], v[12:13], v[170:171], -v[30:31]
	s_wait_loadcnt_dscnt 0x601
	v_mul_f64_e32 v[26:27], v[4:5], v[180:181]
	v_mul_f64_e32 v[166:167], v[6:7], v[180:181]
	s_wait_loadcnt_dscnt 0x400
	v_mul_f64_e32 v[30:31], v[20:21], v[192:193]
	v_add_f64_e32 v[14:15], v[164:165], v[162:163]
	v_add_f64_e32 v[24:25], v[24:25], v[174:175]
	v_mul_f64_e32 v[162:163], v[22:23], v[192:193]
	v_fmac_f64_e32 v[26:27], v[6:7], v[178:179]
	v_fma_f64 v[164:165], v[4:5], v[178:179], -v[166:167]
	v_fmac_f64_e32 v[30:31], v[22:23], v[190:191]
	v_add_f64_e32 v[166:167], v[14:15], v[12:13]
	v_add_f64_e32 v[24:25], v[24:25], v[28:29]
	ds_load_b128 v[4:7], v2 offset:1984
	ds_load_b128 v[12:15], v2 offset:2000
	v_fma_f64 v[20:21], v[20:21], v[190:191], -v[162:163]
	s_wait_loadcnt_dscnt 0x301
	v_mul_f64_e32 v[28:29], v[4:5], v[196:197]
	v_mul_f64_e32 v[168:169], v[6:7], v[196:197]
	v_add_f64_e32 v[22:23], v[166:167], v[164:165]
	v_add_f64_e32 v[24:25], v[24:25], v[26:27]
	s_wait_loadcnt_dscnt 0x200
	v_mul_f64_e32 v[26:27], v[12:13], v[10:11]
	v_mul_f64_e32 v[10:11], v[14:15], v[10:11]
	v_fmac_f64_e32 v[28:29], v[6:7], v[194:195]
	v_fma_f64 v[162:163], v[4:5], v[194:195], -v[168:169]
	v_add_f64_e32 v[164:165], v[22:23], v[20:21]
	v_add_f64_e32 v[24:25], v[24:25], v[30:31]
	ds_load_b128 v[4:7], v2 offset:2016
	ds_load_b128 v[20:23], v2 offset:2032
	v_fmac_f64_e32 v[26:27], v[14:15], v[8:9]
	v_fma_f64 v[8:9], v[12:13], v[8:9], -v[10:11]
	s_wait_loadcnt_dscnt 0x101
	v_mul_f64_e32 v[2:3], v[4:5], v[184:185]
	v_mul_f64_e32 v[30:31], v[6:7], v[184:185]
	s_wait_loadcnt_dscnt 0x0
	v_mul_f64_e32 v[14:15], v[20:21], v[18:19]
	v_mul_f64_e32 v[18:19], v[22:23], v[18:19]
	v_add_f64_e32 v[10:11], v[164:165], v[162:163]
	v_add_f64_e32 v[12:13], v[24:25], v[28:29]
	v_fmac_f64_e32 v[2:3], v[6:7], v[182:183]
	v_fma_f64 v[4:5], v[4:5], v[182:183], -v[30:31]
	v_fmac_f64_e32 v[14:15], v[22:23], v[16:17]
	v_add_f64_e32 v[6:7], v[10:11], v[8:9]
	v_add_f64_e32 v[8:9], v[12:13], v[26:27]
	v_fma_f64 v[10:11], v[20:21], v[16:17], -v[18:19]
	s_delay_alu instid0(VALU_DEP_3) | instskip(NEXT) | instid1(VALU_DEP_3)
	v_add_f64_e32 v[4:5], v[6:7], v[4:5]
	v_add_f64_e32 v[2:3], v[8:9], v[2:3]
	s_delay_alu instid0(VALU_DEP_2) | instskip(NEXT) | instid1(VALU_DEP_2)
	v_add_f64_e32 v[4:5], v[4:5], v[10:11]
	v_add_f64_e32 v[6:7], v[2:3], v[14:15]
	s_delay_alu instid0(VALU_DEP_2) | instskip(NEXT) | instid1(VALU_DEP_2)
	v_add_f64_e64 v[2:3], v[186:187], -v[4:5]
	v_add_f64_e64 v[4:5], v[188:189], -v[6:7]
	scratch_store_b128 off, v[2:5], off offset:752
	s_wait_xcnt 0x0
	v_cmpx_lt_u32_e32 46, v1
	s_cbranch_execz .LBB63_317
; %bb.316:
	scratch_load_b128 v[2:5], off, s25
	v_mov_b32_e32 v6, 0
	s_delay_alu instid0(VALU_DEP_1)
	v_dual_mov_b32 v7, v6 :: v_dual_mov_b32 v8, v6
	v_mov_b32_e32 v9, v6
	scratch_store_b128 off, v[6:9], off offset:736
	s_wait_loadcnt 0x0
	ds_store_b128 v160, v[2:5]
.LBB63_317:
	s_wait_xcnt 0x0
	s_or_b32 exec_lo, exec_lo, s2
	s_wait_storecnt_dscnt 0x0
	s_barrier_signal -1
	s_barrier_wait -1
	s_clause 0x9
	scratch_load_b128 v[4:7], off, off offset:752
	scratch_load_b128 v[8:11], off, off offset:768
	;; [unrolled: 1-line block ×10, first 2 shown]
	v_mov_b32_e32 v2, 0
	s_mov_b32 s2, exec_lo
	ds_load_b128 v[174:177], v2 offset:1776
	s_clause 0x2
	scratch_load_b128 v[178:181], off, off offset:912
	scratch_load_b128 v[182:185], off, off offset:736
	;; [unrolled: 1-line block ×3, first 2 shown]
	s_wait_loadcnt_dscnt 0xc00
	v_mul_f64_e32 v[194:195], v[176:177], v[6:7]
	v_mul_f64_e32 v[198:199], v[174:175], v[6:7]
	ds_load_b128 v[186:189], v2 offset:1792
	v_fma_f64 v[202:203], v[174:175], v[4:5], -v[194:195]
	v_fmac_f64_e32 v[198:199], v[176:177], v[4:5]
	ds_load_b128 v[4:7], v2 offset:1808
	s_wait_loadcnt_dscnt 0xb01
	v_mul_f64_e32 v[200:201], v[186:187], v[10:11]
	v_mul_f64_e32 v[10:11], v[188:189], v[10:11]
	scratch_load_b128 v[174:177], off, off offset:944
	ds_load_b128 v[194:197], v2 offset:1824
	s_wait_loadcnt_dscnt 0xb01
	v_mul_f64_e32 v[204:205], v[4:5], v[14:15]
	v_mul_f64_e32 v[14:15], v[6:7], v[14:15]
	v_add_f64_e32 v[198:199], 0, v[198:199]
	v_fmac_f64_e32 v[200:201], v[188:189], v[8:9]
	v_fma_f64 v[186:187], v[186:187], v[8:9], -v[10:11]
	v_add_f64_e32 v[188:189], 0, v[202:203]
	scratch_load_b128 v[8:11], off, off offset:960
	v_fmac_f64_e32 v[204:205], v[6:7], v[12:13]
	v_fma_f64 v[206:207], v[4:5], v[12:13], -v[14:15]
	ds_load_b128 v[4:7], v2 offset:1840
	s_wait_loadcnt_dscnt 0xb01
	v_mul_f64_e32 v[202:203], v[194:195], v[18:19]
	v_mul_f64_e32 v[18:19], v[196:197], v[18:19]
	scratch_load_b128 v[12:15], off, off offset:976
	v_add_f64_e32 v[198:199], v[198:199], v[200:201]
	v_add_f64_e32 v[208:209], v[188:189], v[186:187]
	ds_load_b128 v[186:189], v2 offset:1856
	s_wait_loadcnt_dscnt 0xb01
	v_mul_f64_e32 v[200:201], v[4:5], v[22:23]
	v_mul_f64_e32 v[22:23], v[6:7], v[22:23]
	v_fmac_f64_e32 v[202:203], v[196:197], v[16:17]
	v_fma_f64 v[194:195], v[194:195], v[16:17], -v[18:19]
	scratch_load_b128 v[16:19], off, off offset:992
	v_add_f64_e32 v[198:199], v[198:199], v[204:205]
	v_add_f64_e32 v[196:197], v[208:209], v[206:207]
	v_fmac_f64_e32 v[200:201], v[6:7], v[20:21]
	v_fma_f64 v[206:207], v[4:5], v[20:21], -v[22:23]
	ds_load_b128 v[4:7], v2 offset:1872
	s_wait_loadcnt_dscnt 0xb01
	v_mul_f64_e32 v[204:205], v[186:187], v[26:27]
	v_mul_f64_e32 v[26:27], v[188:189], v[26:27]
	scratch_load_b128 v[20:23], off, off offset:1008
	v_add_f64_e32 v[198:199], v[198:199], v[202:203]
	s_wait_loadcnt_dscnt 0xb00
	v_mul_f64_e32 v[202:203], v[4:5], v[30:31]
	v_add_f64_e32 v[208:209], v[196:197], v[194:195]
	v_mul_f64_e32 v[30:31], v[6:7], v[30:31]
	ds_load_b128 v[194:197], v2 offset:1888
	v_fmac_f64_e32 v[204:205], v[188:189], v[24:25]
	v_fma_f64 v[24:25], v[186:187], v[24:25], -v[26:27]
	s_wait_loadcnt_dscnt 0xa00
	v_mul_f64_e32 v[188:189], v[194:195], v[164:165]
	v_mul_f64_e32 v[164:165], v[196:197], v[164:165]
	v_add_f64_e32 v[186:187], v[198:199], v[200:201]
	v_fmac_f64_e32 v[202:203], v[6:7], v[28:29]
	v_add_f64_e32 v[26:27], v[208:209], v[206:207]
	v_fma_f64 v[28:29], v[4:5], v[28:29], -v[30:31]
	v_fmac_f64_e32 v[188:189], v[196:197], v[162:163]
	v_fma_f64 v[162:163], v[194:195], v[162:163], -v[164:165]
	v_add_f64_e32 v[186:187], v[186:187], v[204:205]
	v_add_f64_e32 v[30:31], v[26:27], v[24:25]
	ds_load_b128 v[4:7], v2 offset:1904
	ds_load_b128 v[24:27], v2 offset:1920
	s_wait_loadcnt_dscnt 0x901
	v_mul_f64_e32 v[198:199], v[4:5], v[168:169]
	v_mul_f64_e32 v[168:169], v[6:7], v[168:169]
	s_wait_loadcnt_dscnt 0x800
	v_mul_f64_e32 v[164:165], v[24:25], v[172:173]
	v_mul_f64_e32 v[172:173], v[26:27], v[172:173]
	v_add_f64_e32 v[28:29], v[30:31], v[28:29]
	v_add_f64_e32 v[30:31], v[186:187], v[202:203]
	v_fmac_f64_e32 v[198:199], v[6:7], v[166:167]
	v_fma_f64 v[166:167], v[4:5], v[166:167], -v[168:169]
	v_fmac_f64_e32 v[164:165], v[26:27], v[170:171]
	v_fma_f64 v[24:25], v[24:25], v[170:171], -v[172:173]
	v_add_f64_e32 v[162:163], v[28:29], v[162:163]
	v_add_f64_e32 v[168:169], v[30:31], v[188:189]
	ds_load_b128 v[4:7], v2 offset:1936
	ds_load_b128 v[28:31], v2 offset:1952
	s_wait_loadcnt_dscnt 0x701
	v_mul_f64_e32 v[186:187], v[4:5], v[180:181]
	v_mul_f64_e32 v[180:181], v[6:7], v[180:181]
	v_add_f64_e32 v[26:27], v[162:163], v[166:167]
	v_add_f64_e32 v[162:163], v[168:169], v[198:199]
	s_wait_loadcnt_dscnt 0x500
	v_mul_f64_e32 v[166:167], v[28:29], v[192:193]
	v_mul_f64_e32 v[168:169], v[30:31], v[192:193]
	v_fmac_f64_e32 v[186:187], v[6:7], v[178:179]
	v_fma_f64 v[170:171], v[4:5], v[178:179], -v[180:181]
	v_add_f64_e32 v[172:173], v[26:27], v[24:25]
	v_add_f64_e32 v[162:163], v[162:163], v[164:165]
	ds_load_b128 v[4:7], v2 offset:1968
	ds_load_b128 v[24:27], v2 offset:1984
	v_fmac_f64_e32 v[166:167], v[30:31], v[190:191]
	v_fma_f64 v[28:29], v[28:29], v[190:191], -v[168:169]
	s_wait_loadcnt_dscnt 0x401
	v_mul_f64_e32 v[164:165], v[4:5], v[176:177]
	v_mul_f64_e32 v[176:177], v[6:7], v[176:177]
	v_add_f64_e32 v[30:31], v[172:173], v[170:171]
	v_add_f64_e32 v[162:163], v[162:163], v[186:187]
	s_wait_loadcnt_dscnt 0x300
	v_mul_f64_e32 v[168:169], v[24:25], v[10:11]
	v_mul_f64_e32 v[10:11], v[26:27], v[10:11]
	v_fmac_f64_e32 v[164:165], v[6:7], v[174:175]
	v_fma_f64 v[170:171], v[4:5], v[174:175], -v[176:177]
	v_add_f64_e32 v[172:173], v[30:31], v[28:29]
	v_add_f64_e32 v[162:163], v[162:163], v[166:167]
	ds_load_b128 v[4:7], v2 offset:2000
	ds_load_b128 v[28:31], v2 offset:2016
	v_fmac_f64_e32 v[168:169], v[26:27], v[8:9]
	v_fma_f64 v[8:9], v[24:25], v[8:9], -v[10:11]
	s_wait_loadcnt_dscnt 0x201
	v_mul_f64_e32 v[166:167], v[4:5], v[14:15]
	v_mul_f64_e32 v[14:15], v[6:7], v[14:15]
	s_wait_loadcnt_dscnt 0x100
	v_mul_f64_e32 v[26:27], v[28:29], v[18:19]
	v_mul_f64_e32 v[18:19], v[30:31], v[18:19]
	v_add_f64_e32 v[10:11], v[172:173], v[170:171]
	v_add_f64_e32 v[24:25], v[162:163], v[164:165]
	v_fmac_f64_e32 v[166:167], v[6:7], v[12:13]
	v_fma_f64 v[12:13], v[4:5], v[12:13], -v[14:15]
	ds_load_b128 v[4:7], v2 offset:2032
	v_fmac_f64_e32 v[26:27], v[30:31], v[16:17]
	v_fma_f64 v[16:17], v[28:29], v[16:17], -v[18:19]
	v_add_f64_e32 v[8:9], v[10:11], v[8:9]
	v_add_f64_e32 v[10:11], v[24:25], v[168:169]
	s_wait_loadcnt_dscnt 0x0
	v_mul_f64_e32 v[14:15], v[4:5], v[22:23]
	v_mul_f64_e32 v[22:23], v[6:7], v[22:23]
	s_delay_alu instid0(VALU_DEP_4) | instskip(NEXT) | instid1(VALU_DEP_4)
	v_add_f64_e32 v[8:9], v[8:9], v[12:13]
	v_add_f64_e32 v[10:11], v[10:11], v[166:167]
	s_delay_alu instid0(VALU_DEP_4) | instskip(NEXT) | instid1(VALU_DEP_4)
	v_fmac_f64_e32 v[14:15], v[6:7], v[20:21]
	v_fma_f64 v[4:5], v[4:5], v[20:21], -v[22:23]
	s_delay_alu instid0(VALU_DEP_4) | instskip(NEXT) | instid1(VALU_DEP_4)
	v_add_f64_e32 v[6:7], v[8:9], v[16:17]
	v_add_f64_e32 v[8:9], v[10:11], v[26:27]
	s_delay_alu instid0(VALU_DEP_2) | instskip(NEXT) | instid1(VALU_DEP_2)
	v_add_f64_e32 v[4:5], v[6:7], v[4:5]
	v_add_f64_e32 v[6:7], v[8:9], v[14:15]
	s_delay_alu instid0(VALU_DEP_2) | instskip(NEXT) | instid1(VALU_DEP_2)
	v_add_f64_e64 v[4:5], v[182:183], -v[4:5]
	v_add_f64_e64 v[6:7], v[184:185], -v[6:7]
	scratch_store_b128 off, v[4:7], off offset:736
	s_wait_xcnt 0x0
	v_cmpx_lt_u32_e32 45, v1
	s_cbranch_execz .LBB63_319
; %bb.318:
	scratch_load_b128 v[6:9], off, s24
	v_dual_mov_b32 v3, v2 :: v_dual_mov_b32 v4, v2
	v_mov_b32_e32 v5, v2
	scratch_store_b128 off, v[2:5], off offset:720
	s_wait_loadcnt 0x0
	ds_store_b128 v160, v[6:9]
.LBB63_319:
	s_wait_xcnt 0x0
	s_or_b32 exec_lo, exec_lo, s2
	s_wait_storecnt_dscnt 0x0
	s_barrier_signal -1
	s_barrier_wait -1
	s_clause 0x9
	scratch_load_b128 v[4:7], off, off offset:736
	scratch_load_b128 v[8:11], off, off offset:752
	;; [unrolled: 1-line block ×10, first 2 shown]
	ds_load_b128 v[174:177], v2 offset:1760
	ds_load_b128 v[182:185], v2 offset:1776
	s_clause 0x2
	scratch_load_b128 v[178:181], off, off offset:896
	scratch_load_b128 v[186:189], off, off offset:720
	;; [unrolled: 1-line block ×3, first 2 shown]
	s_mov_b32 s2, exec_lo
	s_wait_loadcnt_dscnt 0xc01
	v_mul_f64_e32 v[194:195], v[176:177], v[6:7]
	v_mul_f64_e32 v[198:199], v[174:175], v[6:7]
	s_wait_loadcnt_dscnt 0xb00
	v_mul_f64_e32 v[200:201], v[182:183], v[10:11]
	v_mul_f64_e32 v[10:11], v[184:185], v[10:11]
	s_delay_alu instid0(VALU_DEP_4) | instskip(NEXT) | instid1(VALU_DEP_4)
	v_fma_f64 v[202:203], v[174:175], v[4:5], -v[194:195]
	v_fmac_f64_e32 v[198:199], v[176:177], v[4:5]
	ds_load_b128 v[4:7], v2 offset:1792
	ds_load_b128 v[174:177], v2 offset:1808
	scratch_load_b128 v[194:197], off, off offset:928
	v_fmac_f64_e32 v[200:201], v[184:185], v[8:9]
	v_fma_f64 v[182:183], v[182:183], v[8:9], -v[10:11]
	scratch_load_b128 v[8:11], off, off offset:944
	s_wait_loadcnt_dscnt 0xc01
	v_mul_f64_e32 v[204:205], v[4:5], v[14:15]
	v_mul_f64_e32 v[14:15], v[6:7], v[14:15]
	v_add_f64_e32 v[184:185], 0, v[202:203]
	v_add_f64_e32 v[198:199], 0, v[198:199]
	s_wait_loadcnt_dscnt 0xb00
	v_mul_f64_e32 v[202:203], v[174:175], v[18:19]
	v_mul_f64_e32 v[18:19], v[176:177], v[18:19]
	v_fmac_f64_e32 v[204:205], v[6:7], v[12:13]
	v_fma_f64 v[206:207], v[4:5], v[12:13], -v[14:15]
	ds_load_b128 v[4:7], v2 offset:1824
	ds_load_b128 v[12:15], v2 offset:1840
	v_add_f64_e32 v[208:209], v[184:185], v[182:183]
	v_add_f64_e32 v[198:199], v[198:199], v[200:201]
	scratch_load_b128 v[182:185], off, off offset:960
	v_fmac_f64_e32 v[202:203], v[176:177], v[16:17]
	v_fma_f64 v[174:175], v[174:175], v[16:17], -v[18:19]
	scratch_load_b128 v[16:19], off, off offset:976
	s_wait_loadcnt_dscnt 0xc01
	v_mul_f64_e32 v[200:201], v[4:5], v[22:23]
	v_mul_f64_e32 v[22:23], v[6:7], v[22:23]
	v_add_f64_e32 v[176:177], v[208:209], v[206:207]
	v_add_f64_e32 v[198:199], v[198:199], v[204:205]
	s_wait_loadcnt_dscnt 0xb00
	v_mul_f64_e32 v[204:205], v[12:13], v[26:27]
	v_mul_f64_e32 v[26:27], v[14:15], v[26:27]
	v_fmac_f64_e32 v[200:201], v[6:7], v[20:21]
	v_fma_f64 v[206:207], v[4:5], v[20:21], -v[22:23]
	ds_load_b128 v[4:7], v2 offset:1856
	ds_load_b128 v[20:23], v2 offset:1872
	v_add_f64_e32 v[208:209], v[176:177], v[174:175]
	v_add_f64_e32 v[198:199], v[198:199], v[202:203]
	scratch_load_b128 v[174:177], off, off offset:992
	s_wait_loadcnt_dscnt 0xb01
	v_mul_f64_e32 v[202:203], v[4:5], v[30:31]
	v_mul_f64_e32 v[30:31], v[6:7], v[30:31]
	v_fmac_f64_e32 v[204:205], v[14:15], v[24:25]
	v_fma_f64 v[24:25], v[12:13], v[24:25], -v[26:27]
	scratch_load_b128 v[12:15], off, off offset:1008
	v_add_f64_e32 v[26:27], v[208:209], v[206:207]
	v_add_f64_e32 v[198:199], v[198:199], v[200:201]
	s_wait_loadcnt_dscnt 0xb00
	v_mul_f64_e32 v[200:201], v[20:21], v[164:165]
	v_mul_f64_e32 v[164:165], v[22:23], v[164:165]
	v_fmac_f64_e32 v[202:203], v[6:7], v[28:29]
	v_fma_f64 v[28:29], v[4:5], v[28:29], -v[30:31]
	v_add_f64_e32 v[30:31], v[26:27], v[24:25]
	v_add_f64_e32 v[198:199], v[198:199], v[204:205]
	ds_load_b128 v[4:7], v2 offset:1888
	ds_load_b128 v[24:27], v2 offset:1904
	v_fmac_f64_e32 v[200:201], v[22:23], v[162:163]
	v_fma_f64 v[20:21], v[20:21], v[162:163], -v[164:165]
	s_wait_loadcnt_dscnt 0xa01
	v_mul_f64_e32 v[204:205], v[4:5], v[168:169]
	v_mul_f64_e32 v[168:169], v[6:7], v[168:169]
	s_wait_loadcnt_dscnt 0x900
	v_mul_f64_e32 v[162:163], v[26:27], v[172:173]
	v_add_f64_e32 v[22:23], v[30:31], v[28:29]
	v_add_f64_e32 v[28:29], v[198:199], v[202:203]
	v_mul_f64_e32 v[30:31], v[24:25], v[172:173]
	v_fmac_f64_e32 v[204:205], v[6:7], v[166:167]
	v_fma_f64 v[164:165], v[4:5], v[166:167], -v[168:169]
	v_fma_f64 v[24:25], v[24:25], v[170:171], -v[162:163]
	v_add_f64_e32 v[166:167], v[22:23], v[20:21]
	v_add_f64_e32 v[28:29], v[28:29], v[200:201]
	ds_load_b128 v[4:7], v2 offset:1920
	ds_load_b128 v[20:23], v2 offset:1936
	v_fmac_f64_e32 v[30:31], v[26:27], v[170:171]
	s_wait_loadcnt_dscnt 0x801
	v_mul_f64_e32 v[168:169], v[4:5], v[180:181]
	v_mul_f64_e32 v[172:173], v[6:7], v[180:181]
	s_wait_loadcnt_dscnt 0x600
	v_mul_f64_e32 v[162:163], v[20:21], v[192:193]
	v_add_f64_e32 v[26:27], v[166:167], v[164:165]
	v_add_f64_e32 v[28:29], v[28:29], v[204:205]
	v_mul_f64_e32 v[164:165], v[22:23], v[192:193]
	v_fmac_f64_e32 v[168:169], v[6:7], v[178:179]
	v_fma_f64 v[166:167], v[4:5], v[178:179], -v[172:173]
	v_fmac_f64_e32 v[162:163], v[22:23], v[190:191]
	v_add_f64_e32 v[170:171], v[26:27], v[24:25]
	v_add_f64_e32 v[28:29], v[28:29], v[30:31]
	ds_load_b128 v[4:7], v2 offset:1952
	ds_load_b128 v[24:27], v2 offset:1968
	v_fma_f64 v[20:21], v[20:21], v[190:191], -v[164:165]
	s_wait_loadcnt_dscnt 0x501
	v_mul_f64_e32 v[30:31], v[4:5], v[196:197]
	v_mul_f64_e32 v[172:173], v[6:7], v[196:197]
	s_wait_loadcnt_dscnt 0x400
	v_mul_f64_e32 v[164:165], v[24:25], v[10:11]
	v_mul_f64_e32 v[10:11], v[26:27], v[10:11]
	v_add_f64_e32 v[22:23], v[170:171], v[166:167]
	v_add_f64_e32 v[28:29], v[28:29], v[168:169]
	v_fmac_f64_e32 v[30:31], v[6:7], v[194:195]
	v_fma_f64 v[166:167], v[4:5], v[194:195], -v[172:173]
	v_fmac_f64_e32 v[164:165], v[26:27], v[8:9]
	v_fma_f64 v[8:9], v[24:25], v[8:9], -v[10:11]
	v_add_f64_e32 v[168:169], v[22:23], v[20:21]
	v_add_f64_e32 v[28:29], v[28:29], v[162:163]
	ds_load_b128 v[4:7], v2 offset:1984
	ds_load_b128 v[20:23], v2 offset:2000
	s_wait_loadcnt_dscnt 0x301
	v_mul_f64_e32 v[162:163], v[4:5], v[184:185]
	v_mul_f64_e32 v[170:171], v[6:7], v[184:185]
	s_wait_loadcnt_dscnt 0x200
	v_mul_f64_e32 v[26:27], v[20:21], v[18:19]
	v_mul_f64_e32 v[18:19], v[22:23], v[18:19]
	v_add_f64_e32 v[10:11], v[168:169], v[166:167]
	v_add_f64_e32 v[24:25], v[28:29], v[30:31]
	v_fmac_f64_e32 v[162:163], v[6:7], v[182:183]
	v_fma_f64 v[28:29], v[4:5], v[182:183], -v[170:171]
	v_fmac_f64_e32 v[26:27], v[22:23], v[16:17]
	v_fma_f64 v[16:17], v[20:21], v[16:17], -v[18:19]
	v_add_f64_e32 v[30:31], v[10:11], v[8:9]
	v_add_f64_e32 v[24:25], v[24:25], v[164:165]
	ds_load_b128 v[4:7], v2 offset:2016
	ds_load_b128 v[8:11], v2 offset:2032
	s_wait_loadcnt_dscnt 0x101
	v_mul_f64_e32 v[2:3], v[4:5], v[176:177]
	v_mul_f64_e32 v[164:165], v[6:7], v[176:177]
	s_wait_loadcnt_dscnt 0x0
	v_mul_f64_e32 v[22:23], v[8:9], v[14:15]
	v_mul_f64_e32 v[14:15], v[10:11], v[14:15]
	v_add_f64_e32 v[18:19], v[30:31], v[28:29]
	v_add_f64_e32 v[20:21], v[24:25], v[162:163]
	v_fmac_f64_e32 v[2:3], v[6:7], v[174:175]
	v_fma_f64 v[4:5], v[4:5], v[174:175], -v[164:165]
	v_fmac_f64_e32 v[22:23], v[10:11], v[12:13]
	v_fma_f64 v[8:9], v[8:9], v[12:13], -v[14:15]
	v_add_f64_e32 v[6:7], v[18:19], v[16:17]
	v_add_f64_e32 v[16:17], v[20:21], v[26:27]
	s_delay_alu instid0(VALU_DEP_2) | instskip(NEXT) | instid1(VALU_DEP_2)
	v_add_f64_e32 v[4:5], v[6:7], v[4:5]
	v_add_f64_e32 v[2:3], v[16:17], v[2:3]
	s_delay_alu instid0(VALU_DEP_2) | instskip(NEXT) | instid1(VALU_DEP_2)
	;; [unrolled: 3-line block ×3, first 2 shown]
	v_add_f64_e64 v[2:3], v[186:187], -v[4:5]
	v_add_f64_e64 v[4:5], v[188:189], -v[6:7]
	scratch_store_b128 off, v[2:5], off offset:720
	s_wait_xcnt 0x0
	v_cmpx_lt_u32_e32 44, v1
	s_cbranch_execz .LBB63_321
; %bb.320:
	scratch_load_b128 v[2:5], off, s30
	v_mov_b32_e32 v6, 0
	s_delay_alu instid0(VALU_DEP_1)
	v_dual_mov_b32 v7, v6 :: v_dual_mov_b32 v8, v6
	v_mov_b32_e32 v9, v6
	scratch_store_b128 off, v[6:9], off offset:704
	s_wait_loadcnt 0x0
	ds_store_b128 v160, v[2:5]
.LBB63_321:
	s_wait_xcnt 0x0
	s_or_b32 exec_lo, exec_lo, s2
	s_wait_storecnt_dscnt 0x0
	s_barrier_signal -1
	s_barrier_wait -1
	s_clause 0x9
	scratch_load_b128 v[4:7], off, off offset:720
	scratch_load_b128 v[8:11], off, off offset:736
	;; [unrolled: 1-line block ×10, first 2 shown]
	v_mov_b32_e32 v2, 0
	s_mov_b32 s2, exec_lo
	ds_load_b128 v[174:177], v2 offset:1744
	s_clause 0x2
	scratch_load_b128 v[178:181], off, off offset:880
	scratch_load_b128 v[182:185], off, off offset:704
	;; [unrolled: 1-line block ×3, first 2 shown]
	s_wait_loadcnt_dscnt 0xc00
	v_mul_f64_e32 v[194:195], v[176:177], v[6:7]
	v_mul_f64_e32 v[198:199], v[174:175], v[6:7]
	ds_load_b128 v[186:189], v2 offset:1760
	v_fma_f64 v[202:203], v[174:175], v[4:5], -v[194:195]
	v_fmac_f64_e32 v[198:199], v[176:177], v[4:5]
	ds_load_b128 v[4:7], v2 offset:1776
	s_wait_loadcnt_dscnt 0xb01
	v_mul_f64_e32 v[200:201], v[186:187], v[10:11]
	v_mul_f64_e32 v[10:11], v[188:189], v[10:11]
	scratch_load_b128 v[174:177], off, off offset:912
	ds_load_b128 v[194:197], v2 offset:1792
	s_wait_loadcnt_dscnt 0xb01
	v_mul_f64_e32 v[204:205], v[4:5], v[14:15]
	v_mul_f64_e32 v[14:15], v[6:7], v[14:15]
	v_add_f64_e32 v[198:199], 0, v[198:199]
	v_fmac_f64_e32 v[200:201], v[188:189], v[8:9]
	v_fma_f64 v[186:187], v[186:187], v[8:9], -v[10:11]
	v_add_f64_e32 v[188:189], 0, v[202:203]
	scratch_load_b128 v[8:11], off, off offset:928
	v_fmac_f64_e32 v[204:205], v[6:7], v[12:13]
	v_fma_f64 v[206:207], v[4:5], v[12:13], -v[14:15]
	ds_load_b128 v[4:7], v2 offset:1808
	s_wait_loadcnt_dscnt 0xb01
	v_mul_f64_e32 v[202:203], v[194:195], v[18:19]
	v_mul_f64_e32 v[18:19], v[196:197], v[18:19]
	scratch_load_b128 v[12:15], off, off offset:944
	v_add_f64_e32 v[198:199], v[198:199], v[200:201]
	v_add_f64_e32 v[208:209], v[188:189], v[186:187]
	ds_load_b128 v[186:189], v2 offset:1824
	s_wait_loadcnt_dscnt 0xb01
	v_mul_f64_e32 v[200:201], v[4:5], v[22:23]
	v_mul_f64_e32 v[22:23], v[6:7], v[22:23]
	v_fmac_f64_e32 v[202:203], v[196:197], v[16:17]
	v_fma_f64 v[194:195], v[194:195], v[16:17], -v[18:19]
	scratch_load_b128 v[16:19], off, off offset:960
	v_add_f64_e32 v[198:199], v[198:199], v[204:205]
	v_add_f64_e32 v[196:197], v[208:209], v[206:207]
	v_fmac_f64_e32 v[200:201], v[6:7], v[20:21]
	v_fma_f64 v[206:207], v[4:5], v[20:21], -v[22:23]
	ds_load_b128 v[4:7], v2 offset:1840
	s_wait_loadcnt_dscnt 0xb01
	v_mul_f64_e32 v[204:205], v[186:187], v[26:27]
	v_mul_f64_e32 v[26:27], v[188:189], v[26:27]
	scratch_load_b128 v[20:23], off, off offset:976
	v_add_f64_e32 v[198:199], v[198:199], v[202:203]
	s_wait_loadcnt_dscnt 0xb00
	v_mul_f64_e32 v[202:203], v[4:5], v[30:31]
	v_add_f64_e32 v[208:209], v[196:197], v[194:195]
	v_mul_f64_e32 v[30:31], v[6:7], v[30:31]
	ds_load_b128 v[194:197], v2 offset:1856
	v_fmac_f64_e32 v[204:205], v[188:189], v[24:25]
	v_fma_f64 v[186:187], v[186:187], v[24:25], -v[26:27]
	scratch_load_b128 v[24:27], off, off offset:992
	v_add_f64_e32 v[198:199], v[198:199], v[200:201]
	v_fmac_f64_e32 v[202:203], v[6:7], v[28:29]
	v_add_f64_e32 v[188:189], v[208:209], v[206:207]
	v_fma_f64 v[206:207], v[4:5], v[28:29], -v[30:31]
	ds_load_b128 v[4:7], v2 offset:1872
	s_wait_loadcnt_dscnt 0xb01
	v_mul_f64_e32 v[200:201], v[194:195], v[164:165]
	v_mul_f64_e32 v[164:165], v[196:197], v[164:165]
	scratch_load_b128 v[28:31], off, off offset:1008
	v_add_f64_e32 v[198:199], v[198:199], v[204:205]
	s_wait_loadcnt_dscnt 0xb00
	v_mul_f64_e32 v[204:205], v[4:5], v[168:169]
	v_add_f64_e32 v[208:209], v[188:189], v[186:187]
	v_mul_f64_e32 v[168:169], v[6:7], v[168:169]
	ds_load_b128 v[186:189], v2 offset:1888
	v_fmac_f64_e32 v[200:201], v[196:197], v[162:163]
	v_fma_f64 v[162:163], v[194:195], v[162:163], -v[164:165]
	s_wait_loadcnt_dscnt 0xa00
	v_mul_f64_e32 v[196:197], v[186:187], v[172:173]
	v_mul_f64_e32 v[172:173], v[188:189], v[172:173]
	v_add_f64_e32 v[194:195], v[198:199], v[202:203]
	v_fmac_f64_e32 v[204:205], v[6:7], v[166:167]
	v_add_f64_e32 v[164:165], v[208:209], v[206:207]
	v_fma_f64 v[166:167], v[4:5], v[166:167], -v[168:169]
	v_fmac_f64_e32 v[196:197], v[188:189], v[170:171]
	v_fma_f64 v[170:171], v[186:187], v[170:171], -v[172:173]
	v_add_f64_e32 v[194:195], v[194:195], v[200:201]
	v_add_f64_e32 v[168:169], v[164:165], v[162:163]
	ds_load_b128 v[4:7], v2 offset:1904
	ds_load_b128 v[162:165], v2 offset:1920
	s_wait_loadcnt_dscnt 0x901
	v_mul_f64_e32 v[198:199], v[4:5], v[180:181]
	v_mul_f64_e32 v[180:181], v[6:7], v[180:181]
	s_wait_loadcnt_dscnt 0x700
	v_mul_f64_e32 v[172:173], v[162:163], v[192:193]
	v_mul_f64_e32 v[186:187], v[164:165], v[192:193]
	v_add_f64_e32 v[166:167], v[168:169], v[166:167]
	v_add_f64_e32 v[168:169], v[194:195], v[204:205]
	v_fmac_f64_e32 v[198:199], v[6:7], v[178:179]
	v_fma_f64 v[178:179], v[4:5], v[178:179], -v[180:181]
	v_fmac_f64_e32 v[172:173], v[164:165], v[190:191]
	v_fma_f64 v[162:163], v[162:163], v[190:191], -v[186:187]
	v_add_f64_e32 v[170:171], v[166:167], v[170:171]
	v_add_f64_e32 v[180:181], v[168:169], v[196:197]
	ds_load_b128 v[4:7], v2 offset:1936
	ds_load_b128 v[166:169], v2 offset:1952
	s_wait_loadcnt_dscnt 0x601
	v_mul_f64_e32 v[188:189], v[4:5], v[176:177]
	v_mul_f64_e32 v[176:177], v[6:7], v[176:177]
	v_add_f64_e32 v[164:165], v[170:171], v[178:179]
	v_add_f64_e32 v[170:171], v[180:181], v[198:199]
	s_wait_loadcnt_dscnt 0x500
	v_mul_f64_e32 v[178:179], v[166:167], v[10:11]
	v_mul_f64_e32 v[10:11], v[168:169], v[10:11]
	v_fmac_f64_e32 v[188:189], v[6:7], v[174:175]
	v_fma_f64 v[174:175], v[4:5], v[174:175], -v[176:177]
	v_add_f64_e32 v[176:177], v[164:165], v[162:163]
	v_add_f64_e32 v[170:171], v[170:171], v[172:173]
	ds_load_b128 v[4:7], v2 offset:1968
	ds_load_b128 v[162:165], v2 offset:1984
	v_fmac_f64_e32 v[178:179], v[168:169], v[8:9]
	v_fma_f64 v[8:9], v[166:167], v[8:9], -v[10:11]
	s_wait_loadcnt_dscnt 0x401
	v_mul_f64_e32 v[172:173], v[4:5], v[14:15]
	v_mul_f64_e32 v[14:15], v[6:7], v[14:15]
	s_wait_loadcnt_dscnt 0x300
	v_mul_f64_e32 v[168:169], v[162:163], v[18:19]
	v_mul_f64_e32 v[18:19], v[164:165], v[18:19]
	v_add_f64_e32 v[10:11], v[176:177], v[174:175]
	v_add_f64_e32 v[166:167], v[170:171], v[188:189]
	v_fmac_f64_e32 v[172:173], v[6:7], v[12:13]
	v_fma_f64 v[12:13], v[4:5], v[12:13], -v[14:15]
	v_fmac_f64_e32 v[168:169], v[164:165], v[16:17]
	v_fma_f64 v[16:17], v[162:163], v[16:17], -v[18:19]
	v_add_f64_e32 v[14:15], v[10:11], v[8:9]
	v_add_f64_e32 v[166:167], v[166:167], v[178:179]
	ds_load_b128 v[4:7], v2 offset:2000
	ds_load_b128 v[8:11], v2 offset:2016
	s_wait_loadcnt_dscnt 0x201
	v_mul_f64_e32 v[170:171], v[4:5], v[22:23]
	v_mul_f64_e32 v[22:23], v[6:7], v[22:23]
	s_wait_loadcnt_dscnt 0x100
	v_mul_f64_e32 v[18:19], v[8:9], v[26:27]
	v_mul_f64_e32 v[26:27], v[10:11], v[26:27]
	v_add_f64_e32 v[12:13], v[14:15], v[12:13]
	v_add_f64_e32 v[14:15], v[166:167], v[172:173]
	v_fmac_f64_e32 v[170:171], v[6:7], v[20:21]
	v_fma_f64 v[20:21], v[4:5], v[20:21], -v[22:23]
	ds_load_b128 v[4:7], v2 offset:2032
	v_fmac_f64_e32 v[18:19], v[10:11], v[24:25]
	v_fma_f64 v[8:9], v[8:9], v[24:25], -v[26:27]
	v_add_f64_e32 v[12:13], v[12:13], v[16:17]
	v_add_f64_e32 v[14:15], v[14:15], v[168:169]
	s_wait_loadcnt_dscnt 0x0
	v_mul_f64_e32 v[16:17], v[4:5], v[30:31]
	v_mul_f64_e32 v[22:23], v[6:7], v[30:31]
	s_delay_alu instid0(VALU_DEP_4) | instskip(NEXT) | instid1(VALU_DEP_4)
	v_add_f64_e32 v[10:11], v[12:13], v[20:21]
	v_add_f64_e32 v[12:13], v[14:15], v[170:171]
	s_delay_alu instid0(VALU_DEP_4) | instskip(NEXT) | instid1(VALU_DEP_4)
	v_fmac_f64_e32 v[16:17], v[6:7], v[28:29]
	v_fma_f64 v[4:5], v[4:5], v[28:29], -v[22:23]
	s_delay_alu instid0(VALU_DEP_4) | instskip(NEXT) | instid1(VALU_DEP_4)
	v_add_f64_e32 v[6:7], v[10:11], v[8:9]
	v_add_f64_e32 v[8:9], v[12:13], v[18:19]
	s_delay_alu instid0(VALU_DEP_2) | instskip(NEXT) | instid1(VALU_DEP_2)
	v_add_f64_e32 v[4:5], v[6:7], v[4:5]
	v_add_f64_e32 v[6:7], v[8:9], v[16:17]
	s_delay_alu instid0(VALU_DEP_2) | instskip(NEXT) | instid1(VALU_DEP_2)
	v_add_f64_e64 v[4:5], v[182:183], -v[4:5]
	v_add_f64_e64 v[6:7], v[184:185], -v[6:7]
	scratch_store_b128 off, v[4:7], off offset:704
	s_wait_xcnt 0x0
	v_cmpx_lt_u32_e32 43, v1
	s_cbranch_execz .LBB63_323
; %bb.322:
	scratch_load_b128 v[6:9], off, s27
	v_dual_mov_b32 v3, v2 :: v_dual_mov_b32 v4, v2
	v_mov_b32_e32 v5, v2
	scratch_store_b128 off, v[2:5], off offset:688
	s_wait_loadcnt 0x0
	ds_store_b128 v160, v[6:9]
.LBB63_323:
	s_wait_xcnt 0x0
	s_or_b32 exec_lo, exec_lo, s2
	s_wait_storecnt_dscnt 0x0
	s_barrier_signal -1
	s_barrier_wait -1
	s_clause 0x9
	scratch_load_b128 v[4:7], off, off offset:704
	scratch_load_b128 v[8:11], off, off offset:720
	scratch_load_b128 v[12:15], off, off offset:736
	scratch_load_b128 v[16:19], off, off offset:752
	scratch_load_b128 v[20:23], off, off offset:768
	scratch_load_b128 v[24:27], off, off offset:784
	scratch_load_b128 v[28:31], off, off offset:800
	scratch_load_b128 v[162:165], off, off offset:816
	scratch_load_b128 v[166:169], off, off offset:832
	scratch_load_b128 v[170:173], off, off offset:848
	ds_load_b128 v[174:177], v2 offset:1728
	ds_load_b128 v[182:185], v2 offset:1744
	s_clause 0x2
	scratch_load_b128 v[178:181], off, off offset:864
	scratch_load_b128 v[186:189], off, off offset:688
	;; [unrolled: 1-line block ×3, first 2 shown]
	s_mov_b32 s2, exec_lo
	s_wait_loadcnt_dscnt 0xc01
	v_mul_f64_e32 v[194:195], v[176:177], v[6:7]
	v_mul_f64_e32 v[198:199], v[174:175], v[6:7]
	s_wait_loadcnt_dscnt 0xb00
	v_mul_f64_e32 v[200:201], v[182:183], v[10:11]
	v_mul_f64_e32 v[10:11], v[184:185], v[10:11]
	s_delay_alu instid0(VALU_DEP_4) | instskip(NEXT) | instid1(VALU_DEP_4)
	v_fma_f64 v[202:203], v[174:175], v[4:5], -v[194:195]
	v_fmac_f64_e32 v[198:199], v[176:177], v[4:5]
	ds_load_b128 v[4:7], v2 offset:1760
	ds_load_b128 v[174:177], v2 offset:1776
	scratch_load_b128 v[194:197], off, off offset:896
	v_fmac_f64_e32 v[200:201], v[184:185], v[8:9]
	v_fma_f64 v[182:183], v[182:183], v[8:9], -v[10:11]
	scratch_load_b128 v[8:11], off, off offset:912
	s_wait_loadcnt_dscnt 0xc01
	v_mul_f64_e32 v[204:205], v[4:5], v[14:15]
	v_mul_f64_e32 v[14:15], v[6:7], v[14:15]
	v_add_f64_e32 v[184:185], 0, v[202:203]
	v_add_f64_e32 v[198:199], 0, v[198:199]
	s_wait_loadcnt_dscnt 0xb00
	v_mul_f64_e32 v[202:203], v[174:175], v[18:19]
	v_mul_f64_e32 v[18:19], v[176:177], v[18:19]
	v_fmac_f64_e32 v[204:205], v[6:7], v[12:13]
	v_fma_f64 v[206:207], v[4:5], v[12:13], -v[14:15]
	ds_load_b128 v[4:7], v2 offset:1792
	ds_load_b128 v[12:15], v2 offset:1808
	v_add_f64_e32 v[208:209], v[184:185], v[182:183]
	v_add_f64_e32 v[198:199], v[198:199], v[200:201]
	scratch_load_b128 v[182:185], off, off offset:928
	v_fmac_f64_e32 v[202:203], v[176:177], v[16:17]
	v_fma_f64 v[174:175], v[174:175], v[16:17], -v[18:19]
	scratch_load_b128 v[16:19], off, off offset:944
	s_wait_loadcnt_dscnt 0xc01
	v_mul_f64_e32 v[200:201], v[4:5], v[22:23]
	v_mul_f64_e32 v[22:23], v[6:7], v[22:23]
	v_add_f64_e32 v[176:177], v[208:209], v[206:207]
	v_add_f64_e32 v[198:199], v[198:199], v[204:205]
	s_wait_loadcnt_dscnt 0xb00
	v_mul_f64_e32 v[204:205], v[12:13], v[26:27]
	v_mul_f64_e32 v[26:27], v[14:15], v[26:27]
	v_fmac_f64_e32 v[200:201], v[6:7], v[20:21]
	v_fma_f64 v[206:207], v[4:5], v[20:21], -v[22:23]
	ds_load_b128 v[4:7], v2 offset:1824
	ds_load_b128 v[20:23], v2 offset:1840
	v_add_f64_e32 v[208:209], v[176:177], v[174:175]
	v_add_f64_e32 v[198:199], v[198:199], v[202:203]
	scratch_load_b128 v[174:177], off, off offset:960
	s_wait_loadcnt_dscnt 0xb01
	v_mul_f64_e32 v[202:203], v[4:5], v[30:31]
	v_mul_f64_e32 v[30:31], v[6:7], v[30:31]
	v_fmac_f64_e32 v[204:205], v[14:15], v[24:25]
	v_fma_f64 v[24:25], v[12:13], v[24:25], -v[26:27]
	scratch_load_b128 v[12:15], off, off offset:976
	v_add_f64_e32 v[26:27], v[208:209], v[206:207]
	v_add_f64_e32 v[198:199], v[198:199], v[200:201]
	s_wait_loadcnt_dscnt 0xb00
	v_mul_f64_e32 v[200:201], v[20:21], v[164:165]
	v_mul_f64_e32 v[164:165], v[22:23], v[164:165]
	v_fmac_f64_e32 v[202:203], v[6:7], v[28:29]
	v_fma_f64 v[206:207], v[4:5], v[28:29], -v[30:31]
	v_add_f64_e32 v[208:209], v[26:27], v[24:25]
	v_add_f64_e32 v[198:199], v[198:199], v[204:205]
	ds_load_b128 v[4:7], v2 offset:1856
	ds_load_b128 v[24:27], v2 offset:1872
	scratch_load_b128 v[28:31], off, off offset:992
	v_fmac_f64_e32 v[200:201], v[22:23], v[162:163]
	v_fma_f64 v[162:163], v[20:21], v[162:163], -v[164:165]
	scratch_load_b128 v[20:23], off, off offset:1008
	s_wait_loadcnt_dscnt 0xc01
	v_mul_f64_e32 v[204:205], v[4:5], v[168:169]
	v_mul_f64_e32 v[168:169], v[6:7], v[168:169]
	v_add_f64_e32 v[164:165], v[208:209], v[206:207]
	v_add_f64_e32 v[198:199], v[198:199], v[202:203]
	s_wait_loadcnt_dscnt 0xb00
	v_mul_f64_e32 v[202:203], v[24:25], v[172:173]
	v_mul_f64_e32 v[172:173], v[26:27], v[172:173]
	v_fmac_f64_e32 v[204:205], v[6:7], v[166:167]
	v_fma_f64 v[166:167], v[4:5], v[166:167], -v[168:169]
	v_add_f64_e32 v[168:169], v[164:165], v[162:163]
	v_add_f64_e32 v[198:199], v[198:199], v[200:201]
	ds_load_b128 v[4:7], v2 offset:1888
	ds_load_b128 v[162:165], v2 offset:1904
	v_fmac_f64_e32 v[202:203], v[26:27], v[170:171]
	v_fma_f64 v[24:25], v[24:25], v[170:171], -v[172:173]
	s_wait_loadcnt_dscnt 0xa01
	v_mul_f64_e32 v[200:201], v[4:5], v[180:181]
	v_mul_f64_e32 v[180:181], v[6:7], v[180:181]
	s_wait_loadcnt_dscnt 0x800
	v_mul_f64_e32 v[170:171], v[164:165], v[192:193]
	v_add_f64_e32 v[26:27], v[168:169], v[166:167]
	v_add_f64_e32 v[166:167], v[198:199], v[204:205]
	v_mul_f64_e32 v[168:169], v[162:163], v[192:193]
	v_fmac_f64_e32 v[200:201], v[6:7], v[178:179]
	v_fma_f64 v[172:173], v[4:5], v[178:179], -v[180:181]
	v_fma_f64 v[162:163], v[162:163], v[190:191], -v[170:171]
	v_add_f64_e32 v[178:179], v[26:27], v[24:25]
	v_add_f64_e32 v[166:167], v[166:167], v[202:203]
	ds_load_b128 v[4:7], v2 offset:1920
	ds_load_b128 v[24:27], v2 offset:1936
	v_fmac_f64_e32 v[168:169], v[164:165], v[190:191]
	s_wait_loadcnt_dscnt 0x701
	v_mul_f64_e32 v[180:181], v[4:5], v[196:197]
	v_mul_f64_e32 v[192:193], v[6:7], v[196:197]
	s_wait_loadcnt_dscnt 0x600
	v_mul_f64_e32 v[170:171], v[24:25], v[10:11]
	v_mul_f64_e32 v[10:11], v[26:27], v[10:11]
	v_add_f64_e32 v[164:165], v[178:179], v[172:173]
	v_add_f64_e32 v[166:167], v[166:167], v[200:201]
	v_fmac_f64_e32 v[180:181], v[6:7], v[194:195]
	v_fma_f64 v[172:173], v[4:5], v[194:195], -v[192:193]
	v_fmac_f64_e32 v[170:171], v[26:27], v[8:9]
	v_fma_f64 v[8:9], v[24:25], v[8:9], -v[10:11]
	v_add_f64_e32 v[178:179], v[164:165], v[162:163]
	v_add_f64_e32 v[166:167], v[166:167], v[168:169]
	ds_load_b128 v[4:7], v2 offset:1952
	ds_load_b128 v[162:165], v2 offset:1968
	s_wait_loadcnt_dscnt 0x501
	v_mul_f64_e32 v[168:169], v[4:5], v[184:185]
	v_mul_f64_e32 v[184:185], v[6:7], v[184:185]
	s_wait_loadcnt_dscnt 0x400
	v_mul_f64_e32 v[26:27], v[162:163], v[18:19]
	v_mul_f64_e32 v[18:19], v[164:165], v[18:19]
	v_add_f64_e32 v[10:11], v[178:179], v[172:173]
	v_add_f64_e32 v[24:25], v[166:167], v[180:181]
	v_fmac_f64_e32 v[168:169], v[6:7], v[182:183]
	v_fma_f64 v[166:167], v[4:5], v[182:183], -v[184:185]
	v_fmac_f64_e32 v[26:27], v[164:165], v[16:17]
	v_fma_f64 v[16:17], v[162:163], v[16:17], -v[18:19]
	v_add_f64_e32 v[172:173], v[10:11], v[8:9]
	v_add_f64_e32 v[24:25], v[24:25], v[170:171]
	ds_load_b128 v[4:7], v2 offset:1984
	ds_load_b128 v[8:11], v2 offset:2000
	s_wait_loadcnt_dscnt 0x301
	v_mul_f64_e32 v[170:171], v[4:5], v[176:177]
	v_mul_f64_e32 v[176:177], v[6:7], v[176:177]
	s_wait_loadcnt_dscnt 0x200
	v_mul_f64_e32 v[162:163], v[8:9], v[14:15]
	v_mul_f64_e32 v[164:165], v[10:11], v[14:15]
	v_add_f64_e32 v[18:19], v[172:173], v[166:167]
	v_add_f64_e32 v[24:25], v[24:25], v[168:169]
	v_fmac_f64_e32 v[170:171], v[6:7], v[174:175]
	v_fma_f64 v[166:167], v[4:5], v[174:175], -v[176:177]
	v_fmac_f64_e32 v[162:163], v[10:11], v[12:13]
	v_fma_f64 v[8:9], v[8:9], v[12:13], -v[164:165]
	v_add_f64_e32 v[18:19], v[18:19], v[16:17]
	v_add_f64_e32 v[24:25], v[24:25], v[26:27]
	ds_load_b128 v[4:7], v2 offset:2016
	ds_load_b128 v[14:17], v2 offset:2032
	s_wait_loadcnt_dscnt 0x101
	v_mul_f64_e32 v[2:3], v[4:5], v[30:31]
	v_mul_f64_e32 v[26:27], v[6:7], v[30:31]
	v_add_f64_e32 v[10:11], v[18:19], v[166:167]
	v_add_f64_e32 v[12:13], v[24:25], v[170:171]
	s_wait_loadcnt_dscnt 0x0
	v_mul_f64_e32 v[18:19], v[14:15], v[22:23]
	v_mul_f64_e32 v[22:23], v[16:17], v[22:23]
	v_fmac_f64_e32 v[2:3], v[6:7], v[28:29]
	v_fma_f64 v[4:5], v[4:5], v[28:29], -v[26:27]
	v_add_f64_e32 v[6:7], v[10:11], v[8:9]
	v_add_f64_e32 v[8:9], v[12:13], v[162:163]
	v_fmac_f64_e32 v[18:19], v[16:17], v[20:21]
	v_fma_f64 v[10:11], v[14:15], v[20:21], -v[22:23]
	s_delay_alu instid0(VALU_DEP_4) | instskip(NEXT) | instid1(VALU_DEP_4)
	v_add_f64_e32 v[4:5], v[6:7], v[4:5]
	v_add_f64_e32 v[2:3], v[8:9], v[2:3]
	s_delay_alu instid0(VALU_DEP_2) | instskip(NEXT) | instid1(VALU_DEP_2)
	v_add_f64_e32 v[4:5], v[4:5], v[10:11]
	v_add_f64_e32 v[6:7], v[2:3], v[18:19]
	s_delay_alu instid0(VALU_DEP_2) | instskip(NEXT) | instid1(VALU_DEP_2)
	v_add_f64_e64 v[2:3], v[186:187], -v[4:5]
	v_add_f64_e64 v[4:5], v[188:189], -v[6:7]
	scratch_store_b128 off, v[2:5], off offset:688
	s_wait_xcnt 0x0
	v_cmpx_lt_u32_e32 42, v1
	s_cbranch_execz .LBB63_325
; %bb.324:
	scratch_load_b128 v[2:5], off, s35
	v_mov_b32_e32 v6, 0
	s_delay_alu instid0(VALU_DEP_1)
	v_dual_mov_b32 v7, v6 :: v_dual_mov_b32 v8, v6
	v_mov_b32_e32 v9, v6
	scratch_store_b128 off, v[6:9], off offset:672
	s_wait_loadcnt 0x0
	ds_store_b128 v160, v[2:5]
.LBB63_325:
	s_wait_xcnt 0x0
	s_or_b32 exec_lo, exec_lo, s2
	s_wait_storecnt_dscnt 0x0
	s_barrier_signal -1
	s_barrier_wait -1
	s_clause 0x9
	scratch_load_b128 v[4:7], off, off offset:688
	scratch_load_b128 v[8:11], off, off offset:704
	;; [unrolled: 1-line block ×10, first 2 shown]
	v_mov_b32_e32 v2, 0
	s_mov_b32 s2, exec_lo
	ds_load_b128 v[174:177], v2 offset:1712
	s_clause 0x2
	scratch_load_b128 v[178:181], off, off offset:848
	scratch_load_b128 v[182:185], off, off offset:672
	;; [unrolled: 1-line block ×3, first 2 shown]
	s_wait_loadcnt_dscnt 0xc00
	v_mul_f64_e32 v[194:195], v[176:177], v[6:7]
	v_mul_f64_e32 v[198:199], v[174:175], v[6:7]
	ds_load_b128 v[186:189], v2 offset:1728
	v_fma_f64 v[202:203], v[174:175], v[4:5], -v[194:195]
	v_fmac_f64_e32 v[198:199], v[176:177], v[4:5]
	ds_load_b128 v[4:7], v2 offset:1744
	s_wait_loadcnt_dscnt 0xb01
	v_mul_f64_e32 v[200:201], v[186:187], v[10:11]
	v_mul_f64_e32 v[10:11], v[188:189], v[10:11]
	scratch_load_b128 v[174:177], off, off offset:880
	ds_load_b128 v[194:197], v2 offset:1760
	s_wait_loadcnt_dscnt 0xb01
	v_mul_f64_e32 v[204:205], v[4:5], v[14:15]
	v_mul_f64_e32 v[14:15], v[6:7], v[14:15]
	v_add_f64_e32 v[198:199], 0, v[198:199]
	v_fmac_f64_e32 v[200:201], v[188:189], v[8:9]
	v_fma_f64 v[186:187], v[186:187], v[8:9], -v[10:11]
	v_add_f64_e32 v[188:189], 0, v[202:203]
	scratch_load_b128 v[8:11], off, off offset:896
	v_fmac_f64_e32 v[204:205], v[6:7], v[12:13]
	v_fma_f64 v[206:207], v[4:5], v[12:13], -v[14:15]
	ds_load_b128 v[4:7], v2 offset:1776
	s_wait_loadcnt_dscnt 0xb01
	v_mul_f64_e32 v[202:203], v[194:195], v[18:19]
	v_mul_f64_e32 v[18:19], v[196:197], v[18:19]
	scratch_load_b128 v[12:15], off, off offset:912
	v_add_f64_e32 v[198:199], v[198:199], v[200:201]
	v_add_f64_e32 v[208:209], v[188:189], v[186:187]
	ds_load_b128 v[186:189], v2 offset:1792
	s_wait_loadcnt_dscnt 0xb01
	v_mul_f64_e32 v[200:201], v[4:5], v[22:23]
	v_mul_f64_e32 v[22:23], v[6:7], v[22:23]
	v_fmac_f64_e32 v[202:203], v[196:197], v[16:17]
	v_fma_f64 v[194:195], v[194:195], v[16:17], -v[18:19]
	scratch_load_b128 v[16:19], off, off offset:928
	v_add_f64_e32 v[198:199], v[198:199], v[204:205]
	v_add_f64_e32 v[196:197], v[208:209], v[206:207]
	v_fmac_f64_e32 v[200:201], v[6:7], v[20:21]
	v_fma_f64 v[206:207], v[4:5], v[20:21], -v[22:23]
	ds_load_b128 v[4:7], v2 offset:1808
	s_wait_loadcnt_dscnt 0xb01
	v_mul_f64_e32 v[204:205], v[186:187], v[26:27]
	v_mul_f64_e32 v[26:27], v[188:189], v[26:27]
	scratch_load_b128 v[20:23], off, off offset:944
	v_add_f64_e32 v[198:199], v[198:199], v[202:203]
	s_wait_loadcnt_dscnt 0xb00
	v_mul_f64_e32 v[202:203], v[4:5], v[30:31]
	v_add_f64_e32 v[208:209], v[196:197], v[194:195]
	v_mul_f64_e32 v[30:31], v[6:7], v[30:31]
	ds_load_b128 v[194:197], v2 offset:1824
	v_fmac_f64_e32 v[204:205], v[188:189], v[24:25]
	v_fma_f64 v[186:187], v[186:187], v[24:25], -v[26:27]
	scratch_load_b128 v[24:27], off, off offset:960
	v_add_f64_e32 v[198:199], v[198:199], v[200:201]
	v_fmac_f64_e32 v[202:203], v[6:7], v[28:29]
	v_add_f64_e32 v[188:189], v[208:209], v[206:207]
	v_fma_f64 v[206:207], v[4:5], v[28:29], -v[30:31]
	ds_load_b128 v[4:7], v2 offset:1840
	s_wait_loadcnt_dscnt 0xb01
	v_mul_f64_e32 v[200:201], v[194:195], v[164:165]
	v_mul_f64_e32 v[164:165], v[196:197], v[164:165]
	scratch_load_b128 v[28:31], off, off offset:976
	v_add_f64_e32 v[198:199], v[198:199], v[204:205]
	s_wait_loadcnt_dscnt 0xb00
	v_mul_f64_e32 v[204:205], v[4:5], v[168:169]
	v_add_f64_e32 v[208:209], v[188:189], v[186:187]
	v_mul_f64_e32 v[168:169], v[6:7], v[168:169]
	ds_load_b128 v[186:189], v2 offset:1856
	v_fmac_f64_e32 v[200:201], v[196:197], v[162:163]
	v_fma_f64 v[194:195], v[194:195], v[162:163], -v[164:165]
	scratch_load_b128 v[162:165], off, off offset:992
	v_add_f64_e32 v[198:199], v[198:199], v[202:203]
	v_fmac_f64_e32 v[204:205], v[6:7], v[166:167]
	v_add_f64_e32 v[196:197], v[208:209], v[206:207]
	v_fma_f64 v[206:207], v[4:5], v[166:167], -v[168:169]
	ds_load_b128 v[4:7], v2 offset:1872
	s_wait_loadcnt_dscnt 0xb01
	v_mul_f64_e32 v[202:203], v[186:187], v[172:173]
	v_mul_f64_e32 v[172:173], v[188:189], v[172:173]
	scratch_load_b128 v[166:169], off, off offset:1008
	v_add_f64_e32 v[198:199], v[198:199], v[200:201]
	s_wait_loadcnt_dscnt 0xb00
	v_mul_f64_e32 v[200:201], v[4:5], v[180:181]
	v_add_f64_e32 v[208:209], v[196:197], v[194:195]
	v_mul_f64_e32 v[180:181], v[6:7], v[180:181]
	ds_load_b128 v[194:197], v2 offset:1888
	v_fmac_f64_e32 v[202:203], v[188:189], v[170:171]
	v_fma_f64 v[170:171], v[186:187], v[170:171], -v[172:173]
	s_wait_loadcnt_dscnt 0x900
	v_mul_f64_e32 v[188:189], v[194:195], v[192:193]
	v_mul_f64_e32 v[192:193], v[196:197], v[192:193]
	v_add_f64_e32 v[186:187], v[198:199], v[204:205]
	v_fmac_f64_e32 v[200:201], v[6:7], v[178:179]
	v_add_f64_e32 v[172:173], v[208:209], v[206:207]
	v_fma_f64 v[178:179], v[4:5], v[178:179], -v[180:181]
	v_fmac_f64_e32 v[188:189], v[196:197], v[190:191]
	v_fma_f64 v[190:191], v[194:195], v[190:191], -v[192:193]
	v_add_f64_e32 v[186:187], v[186:187], v[202:203]
	v_add_f64_e32 v[180:181], v[172:173], v[170:171]
	ds_load_b128 v[4:7], v2 offset:1904
	ds_load_b128 v[170:173], v2 offset:1920
	s_wait_loadcnt_dscnt 0x801
	v_mul_f64_e32 v[198:199], v[4:5], v[176:177]
	v_mul_f64_e32 v[176:177], v[6:7], v[176:177]
	v_add_f64_e32 v[178:179], v[180:181], v[178:179]
	v_add_f64_e32 v[180:181], v[186:187], v[200:201]
	s_wait_loadcnt_dscnt 0x700
	v_mul_f64_e32 v[186:187], v[170:171], v[10:11]
	v_mul_f64_e32 v[10:11], v[172:173], v[10:11]
	v_fmac_f64_e32 v[198:199], v[6:7], v[174:175]
	v_fma_f64 v[192:193], v[4:5], v[174:175], -v[176:177]
	ds_load_b128 v[4:7], v2 offset:1936
	ds_load_b128 v[174:177], v2 offset:1952
	v_add_f64_e32 v[178:179], v[178:179], v[190:191]
	v_add_f64_e32 v[180:181], v[180:181], v[188:189]
	v_fmac_f64_e32 v[186:187], v[172:173], v[8:9]
	v_fma_f64 v[8:9], v[170:171], v[8:9], -v[10:11]
	s_wait_loadcnt_dscnt 0x601
	v_mul_f64_e32 v[188:189], v[4:5], v[14:15]
	v_mul_f64_e32 v[14:15], v[6:7], v[14:15]
	s_wait_loadcnt_dscnt 0x500
	v_mul_f64_e32 v[172:173], v[174:175], v[18:19]
	v_mul_f64_e32 v[18:19], v[176:177], v[18:19]
	v_add_f64_e32 v[10:11], v[178:179], v[192:193]
	v_add_f64_e32 v[170:171], v[180:181], v[198:199]
	v_fmac_f64_e32 v[188:189], v[6:7], v[12:13]
	v_fma_f64 v[12:13], v[4:5], v[12:13], -v[14:15]
	v_fmac_f64_e32 v[172:173], v[176:177], v[16:17]
	v_fma_f64 v[16:17], v[174:175], v[16:17], -v[18:19]
	v_add_f64_e32 v[14:15], v[10:11], v[8:9]
	v_add_f64_e32 v[170:171], v[170:171], v[186:187]
	ds_load_b128 v[4:7], v2 offset:1968
	ds_load_b128 v[8:11], v2 offset:1984
	s_wait_loadcnt_dscnt 0x401
	v_mul_f64_e32 v[178:179], v[4:5], v[22:23]
	v_mul_f64_e32 v[22:23], v[6:7], v[22:23]
	s_wait_loadcnt_dscnt 0x300
	v_mul_f64_e32 v[18:19], v[8:9], v[26:27]
	v_mul_f64_e32 v[26:27], v[10:11], v[26:27]
	v_add_f64_e32 v[12:13], v[14:15], v[12:13]
	v_add_f64_e32 v[14:15], v[170:171], v[188:189]
	v_fmac_f64_e32 v[178:179], v[6:7], v[20:21]
	v_fma_f64 v[20:21], v[4:5], v[20:21], -v[22:23]
	v_fmac_f64_e32 v[18:19], v[10:11], v[24:25]
	v_fma_f64 v[8:9], v[8:9], v[24:25], -v[26:27]
	v_add_f64_e32 v[16:17], v[12:13], v[16:17]
	v_add_f64_e32 v[22:23], v[14:15], v[172:173]
	ds_load_b128 v[4:7], v2 offset:2000
	ds_load_b128 v[12:15], v2 offset:2016
	s_wait_loadcnt_dscnt 0x201
	v_mul_f64_e32 v[170:171], v[4:5], v[30:31]
	v_mul_f64_e32 v[30:31], v[6:7], v[30:31]
	v_add_f64_e32 v[10:11], v[16:17], v[20:21]
	v_add_f64_e32 v[16:17], v[22:23], v[178:179]
	s_wait_loadcnt_dscnt 0x100
	v_mul_f64_e32 v[20:21], v[12:13], v[164:165]
	v_mul_f64_e32 v[22:23], v[14:15], v[164:165]
	v_fmac_f64_e32 v[170:171], v[6:7], v[28:29]
	v_fma_f64 v[24:25], v[4:5], v[28:29], -v[30:31]
	ds_load_b128 v[4:7], v2 offset:2032
	v_add_f64_e32 v[8:9], v[10:11], v[8:9]
	v_add_f64_e32 v[10:11], v[16:17], v[18:19]
	v_fmac_f64_e32 v[20:21], v[14:15], v[162:163]
	v_fma_f64 v[12:13], v[12:13], v[162:163], -v[22:23]
	s_wait_loadcnt_dscnt 0x0
	v_mul_f64_e32 v[16:17], v[4:5], v[168:169]
	v_mul_f64_e32 v[18:19], v[6:7], v[168:169]
	v_add_f64_e32 v[8:9], v[8:9], v[24:25]
	v_add_f64_e32 v[10:11], v[10:11], v[170:171]
	s_delay_alu instid0(VALU_DEP_4) | instskip(NEXT) | instid1(VALU_DEP_4)
	v_fmac_f64_e32 v[16:17], v[6:7], v[166:167]
	v_fma_f64 v[4:5], v[4:5], v[166:167], -v[18:19]
	s_delay_alu instid0(VALU_DEP_4) | instskip(NEXT) | instid1(VALU_DEP_4)
	v_add_f64_e32 v[6:7], v[8:9], v[12:13]
	v_add_f64_e32 v[8:9], v[10:11], v[20:21]
	s_delay_alu instid0(VALU_DEP_2) | instskip(NEXT) | instid1(VALU_DEP_2)
	v_add_f64_e32 v[4:5], v[6:7], v[4:5]
	v_add_f64_e32 v[6:7], v[8:9], v[16:17]
	s_delay_alu instid0(VALU_DEP_2) | instskip(NEXT) | instid1(VALU_DEP_2)
	v_add_f64_e64 v[4:5], v[182:183], -v[4:5]
	v_add_f64_e64 v[6:7], v[184:185], -v[6:7]
	scratch_store_b128 off, v[4:7], off offset:672
	s_wait_xcnt 0x0
	v_cmpx_lt_u32_e32 41, v1
	s_cbranch_execz .LBB63_327
; %bb.326:
	scratch_load_b128 v[6:9], off, s31
	v_dual_mov_b32 v3, v2 :: v_dual_mov_b32 v4, v2
	v_mov_b32_e32 v5, v2
	scratch_store_b128 off, v[2:5], off offset:656
	s_wait_loadcnt 0x0
	ds_store_b128 v160, v[6:9]
.LBB63_327:
	s_wait_xcnt 0x0
	s_or_b32 exec_lo, exec_lo, s2
	s_wait_storecnt_dscnt 0x0
	s_barrier_signal -1
	s_barrier_wait -1
	s_clause 0x9
	scratch_load_b128 v[4:7], off, off offset:672
	scratch_load_b128 v[8:11], off, off offset:688
	scratch_load_b128 v[12:15], off, off offset:704
	scratch_load_b128 v[16:19], off, off offset:720
	scratch_load_b128 v[20:23], off, off offset:736
	scratch_load_b128 v[24:27], off, off offset:752
	scratch_load_b128 v[28:31], off, off offset:768
	scratch_load_b128 v[162:165], off, off offset:784
	scratch_load_b128 v[166:169], off, off offset:800
	scratch_load_b128 v[170:173], off, off offset:816
	ds_load_b128 v[174:177], v2 offset:1696
	ds_load_b128 v[182:185], v2 offset:1712
	s_clause 0x2
	scratch_load_b128 v[178:181], off, off offset:832
	scratch_load_b128 v[186:189], off, off offset:656
	;; [unrolled: 1-line block ×3, first 2 shown]
	s_mov_b32 s2, exec_lo
	s_wait_loadcnt_dscnt 0xc01
	v_mul_f64_e32 v[194:195], v[176:177], v[6:7]
	v_mul_f64_e32 v[198:199], v[174:175], v[6:7]
	s_wait_loadcnt_dscnt 0xb00
	v_mul_f64_e32 v[200:201], v[182:183], v[10:11]
	v_mul_f64_e32 v[10:11], v[184:185], v[10:11]
	s_delay_alu instid0(VALU_DEP_4) | instskip(NEXT) | instid1(VALU_DEP_4)
	v_fma_f64 v[202:203], v[174:175], v[4:5], -v[194:195]
	v_fmac_f64_e32 v[198:199], v[176:177], v[4:5]
	ds_load_b128 v[4:7], v2 offset:1728
	ds_load_b128 v[174:177], v2 offset:1744
	scratch_load_b128 v[194:197], off, off offset:864
	v_fmac_f64_e32 v[200:201], v[184:185], v[8:9]
	v_fma_f64 v[182:183], v[182:183], v[8:9], -v[10:11]
	scratch_load_b128 v[8:11], off, off offset:880
	s_wait_loadcnt_dscnt 0xc01
	v_mul_f64_e32 v[204:205], v[4:5], v[14:15]
	v_mul_f64_e32 v[14:15], v[6:7], v[14:15]
	v_add_f64_e32 v[184:185], 0, v[202:203]
	v_add_f64_e32 v[198:199], 0, v[198:199]
	s_wait_loadcnt_dscnt 0xb00
	v_mul_f64_e32 v[202:203], v[174:175], v[18:19]
	v_mul_f64_e32 v[18:19], v[176:177], v[18:19]
	v_fmac_f64_e32 v[204:205], v[6:7], v[12:13]
	v_fma_f64 v[206:207], v[4:5], v[12:13], -v[14:15]
	ds_load_b128 v[4:7], v2 offset:1760
	ds_load_b128 v[12:15], v2 offset:1776
	v_add_f64_e32 v[208:209], v[184:185], v[182:183]
	v_add_f64_e32 v[198:199], v[198:199], v[200:201]
	scratch_load_b128 v[182:185], off, off offset:896
	v_fmac_f64_e32 v[202:203], v[176:177], v[16:17]
	v_fma_f64 v[174:175], v[174:175], v[16:17], -v[18:19]
	scratch_load_b128 v[16:19], off, off offset:912
	s_wait_loadcnt_dscnt 0xc01
	v_mul_f64_e32 v[200:201], v[4:5], v[22:23]
	v_mul_f64_e32 v[22:23], v[6:7], v[22:23]
	v_add_f64_e32 v[176:177], v[208:209], v[206:207]
	v_add_f64_e32 v[198:199], v[198:199], v[204:205]
	s_wait_loadcnt_dscnt 0xb00
	v_mul_f64_e32 v[204:205], v[12:13], v[26:27]
	v_mul_f64_e32 v[26:27], v[14:15], v[26:27]
	v_fmac_f64_e32 v[200:201], v[6:7], v[20:21]
	v_fma_f64 v[206:207], v[4:5], v[20:21], -v[22:23]
	ds_load_b128 v[4:7], v2 offset:1792
	ds_load_b128 v[20:23], v2 offset:1808
	v_add_f64_e32 v[208:209], v[176:177], v[174:175]
	v_add_f64_e32 v[198:199], v[198:199], v[202:203]
	scratch_load_b128 v[174:177], off, off offset:928
	s_wait_loadcnt_dscnt 0xb01
	v_mul_f64_e32 v[202:203], v[4:5], v[30:31]
	v_mul_f64_e32 v[30:31], v[6:7], v[30:31]
	v_fmac_f64_e32 v[204:205], v[14:15], v[24:25]
	v_fma_f64 v[24:25], v[12:13], v[24:25], -v[26:27]
	scratch_load_b128 v[12:15], off, off offset:944
	v_add_f64_e32 v[26:27], v[208:209], v[206:207]
	v_add_f64_e32 v[198:199], v[198:199], v[200:201]
	s_wait_loadcnt_dscnt 0xb00
	v_mul_f64_e32 v[200:201], v[20:21], v[164:165]
	v_mul_f64_e32 v[164:165], v[22:23], v[164:165]
	v_fmac_f64_e32 v[202:203], v[6:7], v[28:29]
	v_fma_f64 v[206:207], v[4:5], v[28:29], -v[30:31]
	v_add_f64_e32 v[208:209], v[26:27], v[24:25]
	v_add_f64_e32 v[198:199], v[198:199], v[204:205]
	ds_load_b128 v[4:7], v2 offset:1824
	ds_load_b128 v[24:27], v2 offset:1840
	scratch_load_b128 v[28:31], off, off offset:960
	v_fmac_f64_e32 v[200:201], v[22:23], v[162:163]
	v_fma_f64 v[162:163], v[20:21], v[162:163], -v[164:165]
	scratch_load_b128 v[20:23], off, off offset:976
	s_wait_loadcnt_dscnt 0xc01
	v_mul_f64_e32 v[204:205], v[4:5], v[168:169]
	v_mul_f64_e32 v[168:169], v[6:7], v[168:169]
	v_add_f64_e32 v[164:165], v[208:209], v[206:207]
	v_add_f64_e32 v[198:199], v[198:199], v[202:203]
	s_wait_loadcnt_dscnt 0xb00
	v_mul_f64_e32 v[202:203], v[24:25], v[172:173]
	v_mul_f64_e32 v[172:173], v[26:27], v[172:173]
	v_fmac_f64_e32 v[204:205], v[6:7], v[166:167]
	v_fma_f64 v[206:207], v[4:5], v[166:167], -v[168:169]
	v_add_f64_e32 v[208:209], v[164:165], v[162:163]
	v_add_f64_e32 v[198:199], v[198:199], v[200:201]
	ds_load_b128 v[4:7], v2 offset:1856
	ds_load_b128 v[162:165], v2 offset:1872
	scratch_load_b128 v[166:169], off, off offset:992
	v_fmac_f64_e32 v[202:203], v[26:27], v[170:171]
	v_fma_f64 v[170:171], v[24:25], v[170:171], -v[172:173]
	scratch_load_b128 v[24:27], off, off offset:1008
	s_wait_loadcnt_dscnt 0xc01
	v_mul_f64_e32 v[200:201], v[4:5], v[180:181]
	v_mul_f64_e32 v[180:181], v[6:7], v[180:181]
	v_add_f64_e32 v[172:173], v[208:209], v[206:207]
	v_add_f64_e32 v[198:199], v[198:199], v[204:205]
	s_wait_loadcnt_dscnt 0xa00
	v_mul_f64_e32 v[204:205], v[162:163], v[192:193]
	v_mul_f64_e32 v[192:193], v[164:165], v[192:193]
	v_fmac_f64_e32 v[200:201], v[6:7], v[178:179]
	v_fma_f64 v[178:179], v[4:5], v[178:179], -v[180:181]
	v_add_f64_e32 v[180:181], v[172:173], v[170:171]
	v_add_f64_e32 v[198:199], v[198:199], v[202:203]
	ds_load_b128 v[4:7], v2 offset:1888
	ds_load_b128 v[170:173], v2 offset:1904
	v_fmac_f64_e32 v[204:205], v[164:165], v[190:191]
	v_fma_f64 v[162:163], v[162:163], v[190:191], -v[192:193]
	s_wait_loadcnt_dscnt 0x901
	v_mul_f64_e32 v[202:203], v[4:5], v[196:197]
	v_mul_f64_e32 v[196:197], v[6:7], v[196:197]
	v_add_f64_e32 v[164:165], v[180:181], v[178:179]
	v_add_f64_e32 v[178:179], v[198:199], v[200:201]
	s_wait_loadcnt_dscnt 0x800
	v_mul_f64_e32 v[180:181], v[170:171], v[10:11]
	v_mul_f64_e32 v[10:11], v[172:173], v[10:11]
	v_fmac_f64_e32 v[202:203], v[6:7], v[194:195]
	v_fma_f64 v[190:191], v[4:5], v[194:195], -v[196:197]
	v_add_f64_e32 v[192:193], v[164:165], v[162:163]
	v_add_f64_e32 v[178:179], v[178:179], v[204:205]
	ds_load_b128 v[4:7], v2 offset:1920
	ds_load_b128 v[162:165], v2 offset:1936
	v_fmac_f64_e32 v[180:181], v[172:173], v[8:9]
	v_fma_f64 v[8:9], v[170:171], v[8:9], -v[10:11]
	s_wait_loadcnt_dscnt 0x701
	v_mul_f64_e32 v[194:195], v[4:5], v[184:185]
	v_mul_f64_e32 v[184:185], v[6:7], v[184:185]
	s_wait_loadcnt_dscnt 0x600
	v_mul_f64_e32 v[172:173], v[162:163], v[18:19]
	v_mul_f64_e32 v[18:19], v[164:165], v[18:19]
	v_add_f64_e32 v[10:11], v[192:193], v[190:191]
	v_add_f64_e32 v[170:171], v[178:179], v[202:203]
	v_fmac_f64_e32 v[194:195], v[6:7], v[182:183]
	v_fma_f64 v[178:179], v[4:5], v[182:183], -v[184:185]
	v_fmac_f64_e32 v[172:173], v[164:165], v[16:17]
	v_fma_f64 v[16:17], v[162:163], v[16:17], -v[18:19]
	v_add_f64_e32 v[182:183], v[10:11], v[8:9]
	v_add_f64_e32 v[170:171], v[170:171], v[180:181]
	ds_load_b128 v[4:7], v2 offset:1952
	ds_load_b128 v[8:11], v2 offset:1968
	s_wait_loadcnt_dscnt 0x501
	v_mul_f64_e32 v[180:181], v[4:5], v[176:177]
	v_mul_f64_e32 v[176:177], v[6:7], v[176:177]
	s_wait_loadcnt_dscnt 0x400
	v_mul_f64_e32 v[164:165], v[8:9], v[14:15]
	v_add_f64_e32 v[18:19], v[182:183], v[178:179]
	v_add_f64_e32 v[162:163], v[170:171], v[194:195]
	v_mul_f64_e32 v[170:171], v[10:11], v[14:15]
	v_fmac_f64_e32 v[180:181], v[6:7], v[174:175]
	v_fma_f64 v[174:175], v[4:5], v[174:175], -v[176:177]
	v_fmac_f64_e32 v[164:165], v[10:11], v[12:13]
	v_add_f64_e32 v[18:19], v[18:19], v[16:17]
	v_add_f64_e32 v[162:163], v[162:163], v[172:173]
	ds_load_b128 v[4:7], v2 offset:1984
	ds_load_b128 v[14:17], v2 offset:2000
	v_fma_f64 v[8:9], v[8:9], v[12:13], -v[170:171]
	s_wait_loadcnt_dscnt 0x301
	v_mul_f64_e32 v[172:173], v[4:5], v[30:31]
	v_mul_f64_e32 v[30:31], v[6:7], v[30:31]
	v_add_f64_e32 v[10:11], v[18:19], v[174:175]
	v_add_f64_e32 v[12:13], v[162:163], v[180:181]
	s_wait_loadcnt_dscnt 0x200
	v_mul_f64_e32 v[18:19], v[14:15], v[22:23]
	v_mul_f64_e32 v[22:23], v[16:17], v[22:23]
	v_fmac_f64_e32 v[172:173], v[6:7], v[28:29]
	v_fma_f64 v[28:29], v[4:5], v[28:29], -v[30:31]
	v_add_f64_e32 v[30:31], v[10:11], v[8:9]
	v_add_f64_e32 v[12:13], v[12:13], v[164:165]
	ds_load_b128 v[4:7], v2 offset:2016
	ds_load_b128 v[8:11], v2 offset:2032
	v_fmac_f64_e32 v[18:19], v[16:17], v[20:21]
	v_fma_f64 v[14:15], v[14:15], v[20:21], -v[22:23]
	s_wait_loadcnt_dscnt 0x101
	v_mul_f64_e32 v[2:3], v[4:5], v[168:169]
	v_mul_f64_e32 v[162:163], v[6:7], v[168:169]
	s_wait_loadcnt_dscnt 0x0
	v_mul_f64_e32 v[20:21], v[8:9], v[26:27]
	v_mul_f64_e32 v[22:23], v[10:11], v[26:27]
	v_add_f64_e32 v[16:17], v[30:31], v[28:29]
	v_add_f64_e32 v[12:13], v[12:13], v[172:173]
	v_fmac_f64_e32 v[2:3], v[6:7], v[166:167]
	v_fma_f64 v[4:5], v[4:5], v[166:167], -v[162:163]
	v_fmac_f64_e32 v[20:21], v[10:11], v[24:25]
	v_fma_f64 v[8:9], v[8:9], v[24:25], -v[22:23]
	v_add_f64_e32 v[6:7], v[16:17], v[14:15]
	v_add_f64_e32 v[12:13], v[12:13], v[18:19]
	s_delay_alu instid0(VALU_DEP_2) | instskip(NEXT) | instid1(VALU_DEP_2)
	v_add_f64_e32 v[4:5], v[6:7], v[4:5]
	v_add_f64_e32 v[2:3], v[12:13], v[2:3]
	s_delay_alu instid0(VALU_DEP_2) | instskip(NEXT) | instid1(VALU_DEP_2)
	;; [unrolled: 3-line block ×3, first 2 shown]
	v_add_f64_e64 v[2:3], v[186:187], -v[4:5]
	v_add_f64_e64 v[4:5], v[188:189], -v[6:7]
	scratch_store_b128 off, v[2:5], off offset:656
	s_wait_xcnt 0x0
	v_cmpx_lt_u32_e32 40, v1
	s_cbranch_execz .LBB63_329
; %bb.328:
	scratch_load_b128 v[2:5], off, s38
	v_mov_b32_e32 v6, 0
	s_delay_alu instid0(VALU_DEP_1)
	v_dual_mov_b32 v7, v6 :: v_dual_mov_b32 v8, v6
	v_mov_b32_e32 v9, v6
	scratch_store_b128 off, v[6:9], off offset:640
	s_wait_loadcnt 0x0
	ds_store_b128 v160, v[2:5]
.LBB63_329:
	s_wait_xcnt 0x0
	s_or_b32 exec_lo, exec_lo, s2
	s_wait_storecnt_dscnt 0x0
	s_barrier_signal -1
	s_barrier_wait -1
	s_clause 0x9
	scratch_load_b128 v[4:7], off, off offset:656
	scratch_load_b128 v[8:11], off, off offset:672
	;; [unrolled: 1-line block ×10, first 2 shown]
	v_mov_b32_e32 v2, 0
	s_mov_b32 s2, exec_lo
	ds_load_b128 v[174:177], v2 offset:1680
	s_clause 0x2
	scratch_load_b128 v[178:181], off, off offset:816
	scratch_load_b128 v[182:185], off, off offset:640
	;; [unrolled: 1-line block ×3, first 2 shown]
	s_wait_loadcnt_dscnt 0xc00
	v_mul_f64_e32 v[194:195], v[176:177], v[6:7]
	v_mul_f64_e32 v[198:199], v[174:175], v[6:7]
	ds_load_b128 v[186:189], v2 offset:1696
	v_fma_f64 v[202:203], v[174:175], v[4:5], -v[194:195]
	v_fmac_f64_e32 v[198:199], v[176:177], v[4:5]
	ds_load_b128 v[4:7], v2 offset:1712
	s_wait_loadcnt_dscnt 0xb01
	v_mul_f64_e32 v[200:201], v[186:187], v[10:11]
	v_mul_f64_e32 v[10:11], v[188:189], v[10:11]
	scratch_load_b128 v[174:177], off, off offset:848
	ds_load_b128 v[194:197], v2 offset:1728
	s_wait_loadcnt_dscnt 0xb01
	v_mul_f64_e32 v[204:205], v[4:5], v[14:15]
	v_mul_f64_e32 v[14:15], v[6:7], v[14:15]
	v_add_f64_e32 v[198:199], 0, v[198:199]
	v_fmac_f64_e32 v[200:201], v[188:189], v[8:9]
	v_fma_f64 v[186:187], v[186:187], v[8:9], -v[10:11]
	v_add_f64_e32 v[188:189], 0, v[202:203]
	scratch_load_b128 v[8:11], off, off offset:864
	v_fmac_f64_e32 v[204:205], v[6:7], v[12:13]
	v_fma_f64 v[206:207], v[4:5], v[12:13], -v[14:15]
	ds_load_b128 v[4:7], v2 offset:1744
	s_wait_loadcnt_dscnt 0xb01
	v_mul_f64_e32 v[202:203], v[194:195], v[18:19]
	v_mul_f64_e32 v[18:19], v[196:197], v[18:19]
	scratch_load_b128 v[12:15], off, off offset:880
	v_add_f64_e32 v[198:199], v[198:199], v[200:201]
	v_add_f64_e32 v[208:209], v[188:189], v[186:187]
	ds_load_b128 v[186:189], v2 offset:1760
	s_wait_loadcnt_dscnt 0xb01
	v_mul_f64_e32 v[200:201], v[4:5], v[22:23]
	v_mul_f64_e32 v[22:23], v[6:7], v[22:23]
	v_fmac_f64_e32 v[202:203], v[196:197], v[16:17]
	v_fma_f64 v[194:195], v[194:195], v[16:17], -v[18:19]
	scratch_load_b128 v[16:19], off, off offset:896
	v_add_f64_e32 v[198:199], v[198:199], v[204:205]
	v_add_f64_e32 v[196:197], v[208:209], v[206:207]
	v_fmac_f64_e32 v[200:201], v[6:7], v[20:21]
	v_fma_f64 v[206:207], v[4:5], v[20:21], -v[22:23]
	ds_load_b128 v[4:7], v2 offset:1776
	s_wait_loadcnt_dscnt 0xb01
	v_mul_f64_e32 v[204:205], v[186:187], v[26:27]
	v_mul_f64_e32 v[26:27], v[188:189], v[26:27]
	scratch_load_b128 v[20:23], off, off offset:912
	v_add_f64_e32 v[198:199], v[198:199], v[202:203]
	s_wait_loadcnt_dscnt 0xb00
	v_mul_f64_e32 v[202:203], v[4:5], v[30:31]
	v_add_f64_e32 v[208:209], v[196:197], v[194:195]
	v_mul_f64_e32 v[30:31], v[6:7], v[30:31]
	ds_load_b128 v[194:197], v2 offset:1792
	v_fmac_f64_e32 v[204:205], v[188:189], v[24:25]
	v_fma_f64 v[186:187], v[186:187], v[24:25], -v[26:27]
	scratch_load_b128 v[24:27], off, off offset:928
	v_add_f64_e32 v[198:199], v[198:199], v[200:201]
	v_fmac_f64_e32 v[202:203], v[6:7], v[28:29]
	v_add_f64_e32 v[188:189], v[208:209], v[206:207]
	v_fma_f64 v[206:207], v[4:5], v[28:29], -v[30:31]
	ds_load_b128 v[4:7], v2 offset:1808
	s_wait_loadcnt_dscnt 0xb01
	v_mul_f64_e32 v[200:201], v[194:195], v[164:165]
	v_mul_f64_e32 v[164:165], v[196:197], v[164:165]
	scratch_load_b128 v[28:31], off, off offset:944
	v_add_f64_e32 v[198:199], v[198:199], v[204:205]
	s_wait_loadcnt_dscnt 0xb00
	v_mul_f64_e32 v[204:205], v[4:5], v[168:169]
	v_add_f64_e32 v[208:209], v[188:189], v[186:187]
	v_mul_f64_e32 v[168:169], v[6:7], v[168:169]
	ds_load_b128 v[186:189], v2 offset:1824
	v_fmac_f64_e32 v[200:201], v[196:197], v[162:163]
	v_fma_f64 v[194:195], v[194:195], v[162:163], -v[164:165]
	scratch_load_b128 v[162:165], off, off offset:960
	v_add_f64_e32 v[198:199], v[198:199], v[202:203]
	v_fmac_f64_e32 v[204:205], v[6:7], v[166:167]
	v_add_f64_e32 v[196:197], v[208:209], v[206:207]
	;; [unrolled: 18-line block ×3, first 2 shown]
	v_fma_f64 v[206:207], v[4:5], v[178:179], -v[180:181]
	ds_load_b128 v[4:7], v2 offset:1872
	s_wait_loadcnt_dscnt 0xa01
	v_mul_f64_e32 v[204:205], v[194:195], v[192:193]
	v_mul_f64_e32 v[192:193], v[196:197], v[192:193]
	scratch_load_b128 v[178:181], off, off offset:1008
	v_add_f64_e32 v[198:199], v[198:199], v[202:203]
	v_add_f64_e32 v[208:209], v[188:189], v[186:187]
	s_wait_loadcnt_dscnt 0xa00
	v_mul_f64_e32 v[202:203], v[4:5], v[176:177]
	v_mul_f64_e32 v[176:177], v[6:7], v[176:177]
	v_fmac_f64_e32 v[204:205], v[196:197], v[190:191]
	v_fma_f64 v[190:191], v[194:195], v[190:191], -v[192:193]
	ds_load_b128 v[186:189], v2 offset:1888
	v_add_f64_e32 v[194:195], v[198:199], v[200:201]
	v_add_f64_e32 v[192:193], v[208:209], v[206:207]
	s_wait_loadcnt_dscnt 0x900
	v_mul_f64_e32 v[196:197], v[186:187], v[10:11]
	v_mul_f64_e32 v[10:11], v[188:189], v[10:11]
	v_fmac_f64_e32 v[202:203], v[6:7], v[174:175]
	v_fma_f64 v[198:199], v[4:5], v[174:175], -v[176:177]
	ds_load_b128 v[4:7], v2 offset:1904
	ds_load_b128 v[174:177], v2 offset:1920
	v_add_f64_e32 v[190:191], v[192:193], v[190:191]
	v_add_f64_e32 v[192:193], v[194:195], v[204:205]
	s_wait_loadcnt_dscnt 0x801
	v_mul_f64_e32 v[194:195], v[4:5], v[14:15]
	v_mul_f64_e32 v[14:15], v[6:7], v[14:15]
	v_fmac_f64_e32 v[196:197], v[188:189], v[8:9]
	v_fma_f64 v[8:9], v[186:187], v[8:9], -v[10:11]
	s_wait_loadcnt_dscnt 0x700
	v_mul_f64_e32 v[188:189], v[174:175], v[18:19]
	v_mul_f64_e32 v[18:19], v[176:177], v[18:19]
	v_add_f64_e32 v[10:11], v[190:191], v[198:199]
	v_add_f64_e32 v[186:187], v[192:193], v[202:203]
	v_fmac_f64_e32 v[194:195], v[6:7], v[12:13]
	v_fma_f64 v[12:13], v[4:5], v[12:13], -v[14:15]
	v_fmac_f64_e32 v[188:189], v[176:177], v[16:17]
	v_fma_f64 v[16:17], v[174:175], v[16:17], -v[18:19]
	v_add_f64_e32 v[14:15], v[10:11], v[8:9]
	v_add_f64_e32 v[186:187], v[186:187], v[196:197]
	ds_load_b128 v[4:7], v2 offset:1936
	ds_load_b128 v[8:11], v2 offset:1952
	s_wait_loadcnt_dscnt 0x601
	v_mul_f64_e32 v[190:191], v[4:5], v[22:23]
	v_mul_f64_e32 v[22:23], v[6:7], v[22:23]
	s_wait_loadcnt_dscnt 0x500
	v_mul_f64_e32 v[18:19], v[8:9], v[26:27]
	v_mul_f64_e32 v[26:27], v[10:11], v[26:27]
	v_add_f64_e32 v[12:13], v[14:15], v[12:13]
	v_add_f64_e32 v[14:15], v[186:187], v[194:195]
	v_fmac_f64_e32 v[190:191], v[6:7], v[20:21]
	v_fma_f64 v[20:21], v[4:5], v[20:21], -v[22:23]
	v_fmac_f64_e32 v[18:19], v[10:11], v[24:25]
	v_fma_f64 v[8:9], v[8:9], v[24:25], -v[26:27]
	v_add_f64_e32 v[16:17], v[12:13], v[16:17]
	v_add_f64_e32 v[22:23], v[14:15], v[188:189]
	ds_load_b128 v[4:7], v2 offset:1968
	ds_load_b128 v[12:15], v2 offset:1984
	s_wait_loadcnt_dscnt 0x401
	v_mul_f64_e32 v[174:175], v[4:5], v[30:31]
	v_mul_f64_e32 v[30:31], v[6:7], v[30:31]
	v_add_f64_e32 v[10:11], v[16:17], v[20:21]
	v_add_f64_e32 v[16:17], v[22:23], v[190:191]
	s_wait_loadcnt_dscnt 0x300
	v_mul_f64_e32 v[20:21], v[12:13], v[164:165]
	v_mul_f64_e32 v[22:23], v[14:15], v[164:165]
	v_fmac_f64_e32 v[174:175], v[6:7], v[28:29]
	v_fma_f64 v[24:25], v[4:5], v[28:29], -v[30:31]
	v_add_f64_e32 v[26:27], v[10:11], v[8:9]
	v_add_f64_e32 v[16:17], v[16:17], v[18:19]
	ds_load_b128 v[4:7], v2 offset:2000
	ds_load_b128 v[8:11], v2 offset:2016
	v_fmac_f64_e32 v[20:21], v[14:15], v[162:163]
	v_fma_f64 v[12:13], v[12:13], v[162:163], -v[22:23]
	s_wait_loadcnt_dscnt 0x201
	v_mul_f64_e32 v[18:19], v[4:5], v[168:169]
	v_mul_f64_e32 v[28:29], v[6:7], v[168:169]
	s_wait_loadcnt_dscnt 0x100
	v_mul_f64_e32 v[22:23], v[8:9], v[172:173]
	v_add_f64_e32 v[14:15], v[26:27], v[24:25]
	v_add_f64_e32 v[16:17], v[16:17], v[174:175]
	v_mul_f64_e32 v[24:25], v[10:11], v[172:173]
	v_fmac_f64_e32 v[18:19], v[6:7], v[166:167]
	v_fma_f64 v[26:27], v[4:5], v[166:167], -v[28:29]
	ds_load_b128 v[4:7], v2 offset:2032
	v_fmac_f64_e32 v[22:23], v[10:11], v[170:171]
	v_add_f64_e32 v[12:13], v[14:15], v[12:13]
	v_add_f64_e32 v[14:15], v[16:17], v[20:21]
	v_fma_f64 v[8:9], v[8:9], v[170:171], -v[24:25]
	s_wait_loadcnt_dscnt 0x0
	v_mul_f64_e32 v[16:17], v[4:5], v[180:181]
	v_mul_f64_e32 v[20:21], v[6:7], v[180:181]
	v_add_f64_e32 v[10:11], v[12:13], v[26:27]
	v_add_f64_e32 v[12:13], v[14:15], v[18:19]
	s_delay_alu instid0(VALU_DEP_4) | instskip(NEXT) | instid1(VALU_DEP_4)
	v_fmac_f64_e32 v[16:17], v[6:7], v[178:179]
	v_fma_f64 v[4:5], v[4:5], v[178:179], -v[20:21]
	s_delay_alu instid0(VALU_DEP_4) | instskip(NEXT) | instid1(VALU_DEP_4)
	v_add_f64_e32 v[6:7], v[10:11], v[8:9]
	v_add_f64_e32 v[8:9], v[12:13], v[22:23]
	s_delay_alu instid0(VALU_DEP_2) | instskip(NEXT) | instid1(VALU_DEP_2)
	v_add_f64_e32 v[4:5], v[6:7], v[4:5]
	v_add_f64_e32 v[6:7], v[8:9], v[16:17]
	s_delay_alu instid0(VALU_DEP_2) | instskip(NEXT) | instid1(VALU_DEP_2)
	v_add_f64_e64 v[4:5], v[182:183], -v[4:5]
	v_add_f64_e64 v[6:7], v[184:185], -v[6:7]
	scratch_store_b128 off, v[4:7], off offset:640
	s_wait_xcnt 0x0
	v_cmpx_lt_u32_e32 39, v1
	s_cbranch_execz .LBB63_331
; %bb.330:
	scratch_load_b128 v[6:9], off, s37
	v_dual_mov_b32 v3, v2 :: v_dual_mov_b32 v4, v2
	v_mov_b32_e32 v5, v2
	scratch_store_b128 off, v[2:5], off offset:624
	s_wait_loadcnt 0x0
	ds_store_b128 v160, v[6:9]
.LBB63_331:
	s_wait_xcnt 0x0
	s_or_b32 exec_lo, exec_lo, s2
	s_wait_storecnt_dscnt 0x0
	s_barrier_signal -1
	s_barrier_wait -1
	s_clause 0x9
	scratch_load_b128 v[4:7], off, off offset:640
	scratch_load_b128 v[8:11], off, off offset:656
	;; [unrolled: 1-line block ×10, first 2 shown]
	ds_load_b128 v[174:177], v2 offset:1664
	ds_load_b128 v[182:185], v2 offset:1680
	s_clause 0x2
	scratch_load_b128 v[178:181], off, off offset:800
	scratch_load_b128 v[186:189], off, off offset:624
	;; [unrolled: 1-line block ×3, first 2 shown]
	s_mov_b32 s2, exec_lo
	s_wait_loadcnt_dscnt 0xc01
	v_mul_f64_e32 v[194:195], v[176:177], v[6:7]
	v_mul_f64_e32 v[198:199], v[174:175], v[6:7]
	s_wait_loadcnt_dscnt 0xb00
	v_mul_f64_e32 v[200:201], v[182:183], v[10:11]
	v_mul_f64_e32 v[10:11], v[184:185], v[10:11]
	s_delay_alu instid0(VALU_DEP_4) | instskip(NEXT) | instid1(VALU_DEP_4)
	v_fma_f64 v[202:203], v[174:175], v[4:5], -v[194:195]
	v_fmac_f64_e32 v[198:199], v[176:177], v[4:5]
	ds_load_b128 v[4:7], v2 offset:1696
	ds_load_b128 v[174:177], v2 offset:1712
	scratch_load_b128 v[194:197], off, off offset:832
	v_fmac_f64_e32 v[200:201], v[184:185], v[8:9]
	v_fma_f64 v[182:183], v[182:183], v[8:9], -v[10:11]
	scratch_load_b128 v[8:11], off, off offset:848
	s_wait_loadcnt_dscnt 0xc01
	v_mul_f64_e32 v[204:205], v[4:5], v[14:15]
	v_mul_f64_e32 v[14:15], v[6:7], v[14:15]
	v_add_f64_e32 v[184:185], 0, v[202:203]
	v_add_f64_e32 v[198:199], 0, v[198:199]
	s_wait_loadcnt_dscnt 0xb00
	v_mul_f64_e32 v[202:203], v[174:175], v[18:19]
	v_mul_f64_e32 v[18:19], v[176:177], v[18:19]
	v_fmac_f64_e32 v[204:205], v[6:7], v[12:13]
	v_fma_f64 v[206:207], v[4:5], v[12:13], -v[14:15]
	ds_load_b128 v[4:7], v2 offset:1728
	ds_load_b128 v[12:15], v2 offset:1744
	v_add_f64_e32 v[208:209], v[184:185], v[182:183]
	v_add_f64_e32 v[198:199], v[198:199], v[200:201]
	scratch_load_b128 v[182:185], off, off offset:864
	v_fmac_f64_e32 v[202:203], v[176:177], v[16:17]
	v_fma_f64 v[174:175], v[174:175], v[16:17], -v[18:19]
	scratch_load_b128 v[16:19], off, off offset:880
	s_wait_loadcnt_dscnt 0xc01
	v_mul_f64_e32 v[200:201], v[4:5], v[22:23]
	v_mul_f64_e32 v[22:23], v[6:7], v[22:23]
	v_add_f64_e32 v[176:177], v[208:209], v[206:207]
	v_add_f64_e32 v[198:199], v[198:199], v[204:205]
	s_wait_loadcnt_dscnt 0xb00
	v_mul_f64_e32 v[204:205], v[12:13], v[26:27]
	v_mul_f64_e32 v[26:27], v[14:15], v[26:27]
	v_fmac_f64_e32 v[200:201], v[6:7], v[20:21]
	v_fma_f64 v[206:207], v[4:5], v[20:21], -v[22:23]
	ds_load_b128 v[4:7], v2 offset:1760
	ds_load_b128 v[20:23], v2 offset:1776
	v_add_f64_e32 v[208:209], v[176:177], v[174:175]
	v_add_f64_e32 v[198:199], v[198:199], v[202:203]
	scratch_load_b128 v[174:177], off, off offset:896
	s_wait_loadcnt_dscnt 0xb01
	v_mul_f64_e32 v[202:203], v[4:5], v[30:31]
	v_mul_f64_e32 v[30:31], v[6:7], v[30:31]
	v_fmac_f64_e32 v[204:205], v[14:15], v[24:25]
	v_fma_f64 v[24:25], v[12:13], v[24:25], -v[26:27]
	scratch_load_b128 v[12:15], off, off offset:912
	v_add_f64_e32 v[26:27], v[208:209], v[206:207]
	v_add_f64_e32 v[198:199], v[198:199], v[200:201]
	s_wait_loadcnt_dscnt 0xb00
	v_mul_f64_e32 v[200:201], v[20:21], v[164:165]
	v_mul_f64_e32 v[164:165], v[22:23], v[164:165]
	v_fmac_f64_e32 v[202:203], v[6:7], v[28:29]
	v_fma_f64 v[206:207], v[4:5], v[28:29], -v[30:31]
	v_add_f64_e32 v[208:209], v[26:27], v[24:25]
	v_add_f64_e32 v[198:199], v[198:199], v[204:205]
	ds_load_b128 v[4:7], v2 offset:1792
	ds_load_b128 v[24:27], v2 offset:1808
	scratch_load_b128 v[28:31], off, off offset:928
	v_fmac_f64_e32 v[200:201], v[22:23], v[162:163]
	v_fma_f64 v[162:163], v[20:21], v[162:163], -v[164:165]
	scratch_load_b128 v[20:23], off, off offset:944
	s_wait_loadcnt_dscnt 0xc01
	v_mul_f64_e32 v[204:205], v[4:5], v[168:169]
	v_mul_f64_e32 v[168:169], v[6:7], v[168:169]
	v_add_f64_e32 v[164:165], v[208:209], v[206:207]
	v_add_f64_e32 v[198:199], v[198:199], v[202:203]
	s_wait_loadcnt_dscnt 0xb00
	v_mul_f64_e32 v[202:203], v[24:25], v[172:173]
	v_mul_f64_e32 v[172:173], v[26:27], v[172:173]
	v_fmac_f64_e32 v[204:205], v[6:7], v[166:167]
	v_fma_f64 v[206:207], v[4:5], v[166:167], -v[168:169]
	v_add_f64_e32 v[208:209], v[164:165], v[162:163]
	v_add_f64_e32 v[198:199], v[198:199], v[200:201]
	ds_load_b128 v[4:7], v2 offset:1824
	ds_load_b128 v[162:165], v2 offset:1840
	scratch_load_b128 v[166:169], off, off offset:960
	v_fmac_f64_e32 v[202:203], v[26:27], v[170:171]
	v_fma_f64 v[170:171], v[24:25], v[170:171], -v[172:173]
	scratch_load_b128 v[24:27], off, off offset:976
	s_wait_loadcnt_dscnt 0xc01
	v_mul_f64_e32 v[200:201], v[4:5], v[180:181]
	v_mul_f64_e32 v[180:181], v[6:7], v[180:181]
	;; [unrolled: 18-line block ×3, first 2 shown]
	v_add_f64_e32 v[192:193], v[208:209], v[206:207]
	v_add_f64_e32 v[198:199], v[198:199], v[200:201]
	s_wait_loadcnt_dscnt 0xa00
	v_mul_f64_e32 v[200:201], v[170:171], v[10:11]
	v_mul_f64_e32 v[10:11], v[172:173], v[10:11]
	v_fmac_f64_e32 v[202:203], v[6:7], v[194:195]
	v_fma_f64 v[194:195], v[4:5], v[194:195], -v[196:197]
	v_add_f64_e32 v[196:197], v[192:193], v[190:191]
	v_add_f64_e32 v[198:199], v[198:199], v[204:205]
	ds_load_b128 v[4:7], v2 offset:1888
	ds_load_b128 v[190:193], v2 offset:1904
	v_fmac_f64_e32 v[200:201], v[172:173], v[8:9]
	v_fma_f64 v[8:9], v[170:171], v[8:9], -v[10:11]
	s_wait_loadcnt_dscnt 0x901
	v_mul_f64_e32 v[204:205], v[4:5], v[184:185]
	v_mul_f64_e32 v[184:185], v[6:7], v[184:185]
	s_wait_loadcnt_dscnt 0x800
	v_mul_f64_e32 v[172:173], v[190:191], v[18:19]
	v_mul_f64_e32 v[18:19], v[192:193], v[18:19]
	v_add_f64_e32 v[10:11], v[196:197], v[194:195]
	v_add_f64_e32 v[170:171], v[198:199], v[202:203]
	v_fmac_f64_e32 v[204:205], v[6:7], v[182:183]
	v_fma_f64 v[182:183], v[4:5], v[182:183], -v[184:185]
	v_fmac_f64_e32 v[172:173], v[192:193], v[16:17]
	v_fma_f64 v[16:17], v[190:191], v[16:17], -v[18:19]
	v_add_f64_e32 v[184:185], v[10:11], v[8:9]
	v_add_f64_e32 v[170:171], v[170:171], v[200:201]
	ds_load_b128 v[4:7], v2 offset:1920
	ds_load_b128 v[8:11], v2 offset:1936
	s_wait_loadcnt_dscnt 0x701
	v_mul_f64_e32 v[194:195], v[4:5], v[176:177]
	v_mul_f64_e32 v[176:177], v[6:7], v[176:177]
	v_add_f64_e32 v[18:19], v[184:185], v[182:183]
	v_add_f64_e32 v[170:171], v[170:171], v[204:205]
	s_wait_loadcnt_dscnt 0x600
	v_mul_f64_e32 v[182:183], v[8:9], v[14:15]
	v_mul_f64_e32 v[184:185], v[10:11], v[14:15]
	v_fmac_f64_e32 v[194:195], v[6:7], v[174:175]
	v_fma_f64 v[174:175], v[4:5], v[174:175], -v[176:177]
	v_add_f64_e32 v[18:19], v[18:19], v[16:17]
	v_add_f64_e32 v[170:171], v[170:171], v[172:173]
	ds_load_b128 v[4:7], v2 offset:1952
	ds_load_b128 v[14:17], v2 offset:1968
	v_fmac_f64_e32 v[182:183], v[10:11], v[12:13]
	v_fma_f64 v[8:9], v[8:9], v[12:13], -v[184:185]
	s_wait_loadcnt_dscnt 0x501
	v_mul_f64_e32 v[172:173], v[4:5], v[30:31]
	v_mul_f64_e32 v[30:31], v[6:7], v[30:31]
	v_add_f64_e32 v[10:11], v[18:19], v[174:175]
	v_add_f64_e32 v[12:13], v[170:171], v[194:195]
	s_wait_loadcnt_dscnt 0x400
	v_mul_f64_e32 v[18:19], v[14:15], v[22:23]
	v_mul_f64_e32 v[22:23], v[16:17], v[22:23]
	v_fmac_f64_e32 v[172:173], v[6:7], v[28:29]
	v_fma_f64 v[28:29], v[4:5], v[28:29], -v[30:31]
	v_add_f64_e32 v[30:31], v[10:11], v[8:9]
	v_add_f64_e32 v[12:13], v[12:13], v[182:183]
	ds_load_b128 v[4:7], v2 offset:1984
	ds_load_b128 v[8:11], v2 offset:2000
	v_fmac_f64_e32 v[18:19], v[16:17], v[20:21]
	v_fma_f64 v[14:15], v[14:15], v[20:21], -v[22:23]
	s_wait_loadcnt_dscnt 0x301
	v_mul_f64_e32 v[170:171], v[4:5], v[168:169]
	v_mul_f64_e32 v[168:169], v[6:7], v[168:169]
	s_wait_loadcnt_dscnt 0x200
	v_mul_f64_e32 v[20:21], v[8:9], v[26:27]
	v_mul_f64_e32 v[22:23], v[10:11], v[26:27]
	v_add_f64_e32 v[16:17], v[30:31], v[28:29]
	v_add_f64_e32 v[12:13], v[12:13], v[172:173]
	v_fmac_f64_e32 v[170:171], v[6:7], v[166:167]
	v_fma_f64 v[26:27], v[4:5], v[166:167], -v[168:169]
	v_fmac_f64_e32 v[20:21], v[10:11], v[24:25]
	v_fma_f64 v[8:9], v[8:9], v[24:25], -v[22:23]
	v_add_f64_e32 v[16:17], v[16:17], v[14:15]
	v_add_f64_e32 v[18:19], v[12:13], v[18:19]
	ds_load_b128 v[4:7], v2 offset:2016
	ds_load_b128 v[12:15], v2 offset:2032
	s_wait_loadcnt_dscnt 0x101
	v_mul_f64_e32 v[2:3], v[4:5], v[180:181]
	v_mul_f64_e32 v[28:29], v[6:7], v[180:181]
	s_wait_loadcnt_dscnt 0x0
	v_mul_f64_e32 v[22:23], v[14:15], v[164:165]
	v_add_f64_e32 v[10:11], v[16:17], v[26:27]
	v_add_f64_e32 v[16:17], v[18:19], v[170:171]
	v_mul_f64_e32 v[18:19], v[12:13], v[164:165]
	v_fmac_f64_e32 v[2:3], v[6:7], v[178:179]
	v_fma_f64 v[4:5], v[4:5], v[178:179], -v[28:29]
	v_add_f64_e32 v[6:7], v[10:11], v[8:9]
	v_add_f64_e32 v[8:9], v[16:17], v[20:21]
	v_fmac_f64_e32 v[18:19], v[14:15], v[162:163]
	v_fma_f64 v[10:11], v[12:13], v[162:163], -v[22:23]
	s_delay_alu instid0(VALU_DEP_4) | instskip(NEXT) | instid1(VALU_DEP_4)
	v_add_f64_e32 v[4:5], v[6:7], v[4:5]
	v_add_f64_e32 v[2:3], v[8:9], v[2:3]
	s_delay_alu instid0(VALU_DEP_2) | instskip(NEXT) | instid1(VALU_DEP_2)
	v_add_f64_e32 v[4:5], v[4:5], v[10:11]
	v_add_f64_e32 v[6:7], v[2:3], v[18:19]
	s_delay_alu instid0(VALU_DEP_2) | instskip(NEXT) | instid1(VALU_DEP_2)
	v_add_f64_e64 v[2:3], v[186:187], -v[4:5]
	v_add_f64_e64 v[4:5], v[188:189], -v[6:7]
	scratch_store_b128 off, v[2:5], off offset:624
	s_wait_xcnt 0x0
	v_cmpx_lt_u32_e32 38, v1
	s_cbranch_execz .LBB63_333
; %bb.332:
	scratch_load_b128 v[2:5], off, s40
	v_mov_b32_e32 v6, 0
	s_delay_alu instid0(VALU_DEP_1)
	v_dual_mov_b32 v7, v6 :: v_dual_mov_b32 v8, v6
	v_mov_b32_e32 v9, v6
	scratch_store_b128 off, v[6:9], off offset:608
	s_wait_loadcnt 0x0
	ds_store_b128 v160, v[2:5]
.LBB63_333:
	s_wait_xcnt 0x0
	s_or_b32 exec_lo, exec_lo, s2
	s_wait_storecnt_dscnt 0x0
	s_barrier_signal -1
	s_barrier_wait -1
	s_clause 0x9
	scratch_load_b128 v[4:7], off, off offset:624
	scratch_load_b128 v[8:11], off, off offset:640
	;; [unrolled: 1-line block ×10, first 2 shown]
	v_mov_b32_e32 v2, 0
	s_mov_b32 s2, exec_lo
	ds_load_b128 v[174:177], v2 offset:1648
	s_clause 0x2
	scratch_load_b128 v[178:181], off, off offset:784
	scratch_load_b128 v[182:185], off, off offset:608
	;; [unrolled: 1-line block ×3, first 2 shown]
	s_wait_loadcnt_dscnt 0xc00
	v_mul_f64_e32 v[194:195], v[176:177], v[6:7]
	v_mul_f64_e32 v[198:199], v[174:175], v[6:7]
	ds_load_b128 v[186:189], v2 offset:1664
	v_fma_f64 v[202:203], v[174:175], v[4:5], -v[194:195]
	v_fmac_f64_e32 v[198:199], v[176:177], v[4:5]
	ds_load_b128 v[4:7], v2 offset:1680
	s_wait_loadcnt_dscnt 0xb01
	v_mul_f64_e32 v[200:201], v[186:187], v[10:11]
	v_mul_f64_e32 v[10:11], v[188:189], v[10:11]
	scratch_load_b128 v[174:177], off, off offset:816
	ds_load_b128 v[194:197], v2 offset:1696
	s_wait_loadcnt_dscnt 0xb01
	v_mul_f64_e32 v[204:205], v[4:5], v[14:15]
	v_mul_f64_e32 v[14:15], v[6:7], v[14:15]
	v_add_f64_e32 v[198:199], 0, v[198:199]
	v_fmac_f64_e32 v[200:201], v[188:189], v[8:9]
	v_fma_f64 v[186:187], v[186:187], v[8:9], -v[10:11]
	v_add_f64_e32 v[188:189], 0, v[202:203]
	scratch_load_b128 v[8:11], off, off offset:832
	v_fmac_f64_e32 v[204:205], v[6:7], v[12:13]
	v_fma_f64 v[206:207], v[4:5], v[12:13], -v[14:15]
	ds_load_b128 v[4:7], v2 offset:1712
	s_wait_loadcnt_dscnt 0xb01
	v_mul_f64_e32 v[202:203], v[194:195], v[18:19]
	v_mul_f64_e32 v[18:19], v[196:197], v[18:19]
	scratch_load_b128 v[12:15], off, off offset:848
	v_add_f64_e32 v[198:199], v[198:199], v[200:201]
	v_add_f64_e32 v[208:209], v[188:189], v[186:187]
	ds_load_b128 v[186:189], v2 offset:1728
	s_wait_loadcnt_dscnt 0xb01
	v_mul_f64_e32 v[200:201], v[4:5], v[22:23]
	v_mul_f64_e32 v[22:23], v[6:7], v[22:23]
	v_fmac_f64_e32 v[202:203], v[196:197], v[16:17]
	v_fma_f64 v[194:195], v[194:195], v[16:17], -v[18:19]
	scratch_load_b128 v[16:19], off, off offset:864
	v_add_f64_e32 v[198:199], v[198:199], v[204:205]
	v_add_f64_e32 v[196:197], v[208:209], v[206:207]
	v_fmac_f64_e32 v[200:201], v[6:7], v[20:21]
	v_fma_f64 v[206:207], v[4:5], v[20:21], -v[22:23]
	ds_load_b128 v[4:7], v2 offset:1744
	s_wait_loadcnt_dscnt 0xb01
	v_mul_f64_e32 v[204:205], v[186:187], v[26:27]
	v_mul_f64_e32 v[26:27], v[188:189], v[26:27]
	scratch_load_b128 v[20:23], off, off offset:880
	v_add_f64_e32 v[198:199], v[198:199], v[202:203]
	s_wait_loadcnt_dscnt 0xb00
	v_mul_f64_e32 v[202:203], v[4:5], v[30:31]
	v_add_f64_e32 v[208:209], v[196:197], v[194:195]
	v_mul_f64_e32 v[30:31], v[6:7], v[30:31]
	ds_load_b128 v[194:197], v2 offset:1760
	v_fmac_f64_e32 v[204:205], v[188:189], v[24:25]
	v_fma_f64 v[186:187], v[186:187], v[24:25], -v[26:27]
	scratch_load_b128 v[24:27], off, off offset:896
	v_add_f64_e32 v[198:199], v[198:199], v[200:201]
	v_fmac_f64_e32 v[202:203], v[6:7], v[28:29]
	v_add_f64_e32 v[188:189], v[208:209], v[206:207]
	v_fma_f64 v[206:207], v[4:5], v[28:29], -v[30:31]
	ds_load_b128 v[4:7], v2 offset:1776
	s_wait_loadcnt_dscnt 0xb01
	v_mul_f64_e32 v[200:201], v[194:195], v[164:165]
	v_mul_f64_e32 v[164:165], v[196:197], v[164:165]
	scratch_load_b128 v[28:31], off, off offset:912
	v_add_f64_e32 v[198:199], v[198:199], v[204:205]
	s_wait_loadcnt_dscnt 0xb00
	v_mul_f64_e32 v[204:205], v[4:5], v[168:169]
	v_add_f64_e32 v[208:209], v[188:189], v[186:187]
	v_mul_f64_e32 v[168:169], v[6:7], v[168:169]
	ds_load_b128 v[186:189], v2 offset:1792
	v_fmac_f64_e32 v[200:201], v[196:197], v[162:163]
	v_fma_f64 v[194:195], v[194:195], v[162:163], -v[164:165]
	scratch_load_b128 v[162:165], off, off offset:928
	v_add_f64_e32 v[198:199], v[198:199], v[202:203]
	v_fmac_f64_e32 v[204:205], v[6:7], v[166:167]
	v_add_f64_e32 v[196:197], v[208:209], v[206:207]
	;; [unrolled: 18-line block ×3, first 2 shown]
	v_fma_f64 v[206:207], v[4:5], v[178:179], -v[180:181]
	ds_load_b128 v[4:7], v2 offset:1840
	s_wait_loadcnt_dscnt 0xa01
	v_mul_f64_e32 v[204:205], v[194:195], v[192:193]
	v_mul_f64_e32 v[192:193], v[196:197], v[192:193]
	scratch_load_b128 v[178:181], off, off offset:976
	v_add_f64_e32 v[198:199], v[198:199], v[202:203]
	v_add_f64_e32 v[208:209], v[188:189], v[186:187]
	s_wait_loadcnt_dscnt 0xa00
	v_mul_f64_e32 v[202:203], v[4:5], v[176:177]
	v_mul_f64_e32 v[176:177], v[6:7], v[176:177]
	v_fmac_f64_e32 v[204:205], v[196:197], v[190:191]
	v_fma_f64 v[194:195], v[194:195], v[190:191], -v[192:193]
	ds_load_b128 v[186:189], v2 offset:1856
	scratch_load_b128 v[190:193], off, off offset:992
	v_add_f64_e32 v[198:199], v[198:199], v[200:201]
	v_add_f64_e32 v[196:197], v[208:209], v[206:207]
	v_fmac_f64_e32 v[202:203], v[6:7], v[174:175]
	v_fma_f64 v[206:207], v[4:5], v[174:175], -v[176:177]
	ds_load_b128 v[4:7], v2 offset:1872
	s_wait_loadcnt_dscnt 0xa01
	v_mul_f64_e32 v[200:201], v[186:187], v[10:11]
	v_mul_f64_e32 v[10:11], v[188:189], v[10:11]
	scratch_load_b128 v[174:177], off, off offset:1008
	v_add_f64_e32 v[198:199], v[198:199], v[204:205]
	s_wait_loadcnt_dscnt 0xa00
	v_mul_f64_e32 v[204:205], v[4:5], v[14:15]
	v_add_f64_e32 v[208:209], v[196:197], v[194:195]
	v_mul_f64_e32 v[14:15], v[6:7], v[14:15]
	ds_load_b128 v[194:197], v2 offset:1888
	v_fmac_f64_e32 v[200:201], v[188:189], v[8:9]
	v_fma_f64 v[8:9], v[186:187], v[8:9], -v[10:11]
	s_wait_loadcnt_dscnt 0x900
	v_mul_f64_e32 v[188:189], v[194:195], v[18:19]
	v_mul_f64_e32 v[18:19], v[196:197], v[18:19]
	v_add_f64_e32 v[186:187], v[198:199], v[202:203]
	v_fmac_f64_e32 v[204:205], v[6:7], v[12:13]
	v_add_f64_e32 v[10:11], v[208:209], v[206:207]
	v_fma_f64 v[12:13], v[4:5], v[12:13], -v[14:15]
	v_fmac_f64_e32 v[188:189], v[196:197], v[16:17]
	v_fma_f64 v[16:17], v[194:195], v[16:17], -v[18:19]
	v_add_f64_e32 v[186:187], v[186:187], v[200:201]
	v_add_f64_e32 v[14:15], v[10:11], v[8:9]
	ds_load_b128 v[4:7], v2 offset:1904
	ds_load_b128 v[8:11], v2 offset:1920
	s_wait_loadcnt_dscnt 0x801
	v_mul_f64_e32 v[198:199], v[4:5], v[22:23]
	v_mul_f64_e32 v[22:23], v[6:7], v[22:23]
	s_wait_loadcnt_dscnt 0x700
	v_mul_f64_e32 v[18:19], v[8:9], v[26:27]
	v_mul_f64_e32 v[26:27], v[10:11], v[26:27]
	v_add_f64_e32 v[12:13], v[14:15], v[12:13]
	v_add_f64_e32 v[14:15], v[186:187], v[204:205]
	v_fmac_f64_e32 v[198:199], v[6:7], v[20:21]
	v_fma_f64 v[20:21], v[4:5], v[20:21], -v[22:23]
	v_fmac_f64_e32 v[18:19], v[10:11], v[24:25]
	v_fma_f64 v[8:9], v[8:9], v[24:25], -v[26:27]
	v_add_f64_e32 v[16:17], v[12:13], v[16:17]
	v_add_f64_e32 v[22:23], v[14:15], v[188:189]
	ds_load_b128 v[4:7], v2 offset:1936
	ds_load_b128 v[12:15], v2 offset:1952
	s_wait_loadcnt_dscnt 0x601
	v_mul_f64_e32 v[186:187], v[4:5], v[30:31]
	v_mul_f64_e32 v[30:31], v[6:7], v[30:31]
	v_add_f64_e32 v[10:11], v[16:17], v[20:21]
	v_add_f64_e32 v[16:17], v[22:23], v[198:199]
	s_wait_loadcnt_dscnt 0x500
	v_mul_f64_e32 v[20:21], v[12:13], v[164:165]
	v_mul_f64_e32 v[22:23], v[14:15], v[164:165]
	v_fmac_f64_e32 v[186:187], v[6:7], v[28:29]
	v_fma_f64 v[24:25], v[4:5], v[28:29], -v[30:31]
	v_add_f64_e32 v[26:27], v[10:11], v[8:9]
	v_add_f64_e32 v[16:17], v[16:17], v[18:19]
	ds_load_b128 v[4:7], v2 offset:1968
	ds_load_b128 v[8:11], v2 offset:1984
	v_fmac_f64_e32 v[20:21], v[14:15], v[162:163]
	v_fma_f64 v[12:13], v[12:13], v[162:163], -v[22:23]
	s_wait_loadcnt_dscnt 0x401
	v_mul_f64_e32 v[18:19], v[4:5], v[168:169]
	v_mul_f64_e32 v[28:29], v[6:7], v[168:169]
	s_wait_loadcnt_dscnt 0x300
	v_mul_f64_e32 v[22:23], v[8:9], v[172:173]
	v_add_f64_e32 v[14:15], v[26:27], v[24:25]
	v_add_f64_e32 v[16:17], v[16:17], v[186:187]
	v_mul_f64_e32 v[24:25], v[10:11], v[172:173]
	v_fmac_f64_e32 v[18:19], v[6:7], v[166:167]
	v_fma_f64 v[26:27], v[4:5], v[166:167], -v[28:29]
	v_fmac_f64_e32 v[22:23], v[10:11], v[170:171]
	v_add_f64_e32 v[28:29], v[14:15], v[12:13]
	v_add_f64_e32 v[16:17], v[16:17], v[20:21]
	ds_load_b128 v[4:7], v2 offset:2000
	ds_load_b128 v[12:15], v2 offset:2016
	v_fma_f64 v[8:9], v[8:9], v[170:171], -v[24:25]
	s_wait_loadcnt_dscnt 0x201
	v_mul_f64_e32 v[20:21], v[4:5], v[180:181]
	v_mul_f64_e32 v[30:31], v[6:7], v[180:181]
	s_wait_loadcnt_dscnt 0x100
	v_mul_f64_e32 v[24:25], v[14:15], v[192:193]
	v_add_f64_e32 v[10:11], v[28:29], v[26:27]
	v_add_f64_e32 v[16:17], v[16:17], v[18:19]
	v_mul_f64_e32 v[18:19], v[12:13], v[192:193]
	v_fmac_f64_e32 v[20:21], v[6:7], v[178:179]
	v_fma_f64 v[26:27], v[4:5], v[178:179], -v[30:31]
	ds_load_b128 v[4:7], v2 offset:2032
	v_fma_f64 v[12:13], v[12:13], v[190:191], -v[24:25]
	v_add_f64_e32 v[8:9], v[10:11], v[8:9]
	v_add_f64_e32 v[10:11], v[16:17], v[22:23]
	v_fmac_f64_e32 v[18:19], v[14:15], v[190:191]
	s_wait_loadcnt_dscnt 0x0
	v_mul_f64_e32 v[16:17], v[4:5], v[176:177]
	v_mul_f64_e32 v[22:23], v[6:7], v[176:177]
	v_add_f64_e32 v[8:9], v[8:9], v[26:27]
	v_add_f64_e32 v[10:11], v[10:11], v[20:21]
	s_delay_alu instid0(VALU_DEP_4) | instskip(NEXT) | instid1(VALU_DEP_4)
	v_fmac_f64_e32 v[16:17], v[6:7], v[174:175]
	v_fma_f64 v[4:5], v[4:5], v[174:175], -v[22:23]
	s_delay_alu instid0(VALU_DEP_4) | instskip(NEXT) | instid1(VALU_DEP_4)
	v_add_f64_e32 v[6:7], v[8:9], v[12:13]
	v_add_f64_e32 v[8:9], v[10:11], v[18:19]
	s_delay_alu instid0(VALU_DEP_2) | instskip(NEXT) | instid1(VALU_DEP_2)
	v_add_f64_e32 v[4:5], v[6:7], v[4:5]
	v_add_f64_e32 v[6:7], v[8:9], v[16:17]
	s_delay_alu instid0(VALU_DEP_2) | instskip(NEXT) | instid1(VALU_DEP_2)
	v_add_f64_e64 v[4:5], v[182:183], -v[4:5]
	v_add_f64_e64 v[6:7], v[184:185], -v[6:7]
	scratch_store_b128 off, v[4:7], off offset:608
	s_wait_xcnt 0x0
	v_cmpx_lt_u32_e32 37, v1
	s_cbranch_execz .LBB63_335
; %bb.334:
	scratch_load_b128 v[6:9], off, s39
	v_dual_mov_b32 v3, v2 :: v_dual_mov_b32 v4, v2
	v_mov_b32_e32 v5, v2
	scratch_store_b128 off, v[2:5], off offset:592
	s_wait_loadcnt 0x0
	ds_store_b128 v160, v[6:9]
.LBB63_335:
	s_wait_xcnt 0x0
	s_or_b32 exec_lo, exec_lo, s2
	s_wait_storecnt_dscnt 0x0
	s_barrier_signal -1
	s_barrier_wait -1
	s_clause 0x9
	scratch_load_b128 v[4:7], off, off offset:608
	scratch_load_b128 v[8:11], off, off offset:624
	;; [unrolled: 1-line block ×10, first 2 shown]
	ds_load_b128 v[174:177], v2 offset:1632
	ds_load_b128 v[182:185], v2 offset:1648
	s_clause 0x2
	scratch_load_b128 v[178:181], off, off offset:768
	scratch_load_b128 v[186:189], off, off offset:592
	;; [unrolled: 1-line block ×3, first 2 shown]
	s_mov_b32 s2, exec_lo
	s_wait_loadcnt_dscnt 0xc01
	v_mul_f64_e32 v[194:195], v[176:177], v[6:7]
	v_mul_f64_e32 v[198:199], v[174:175], v[6:7]
	s_wait_loadcnt_dscnt 0xb00
	v_mul_f64_e32 v[200:201], v[182:183], v[10:11]
	v_mul_f64_e32 v[10:11], v[184:185], v[10:11]
	s_delay_alu instid0(VALU_DEP_4) | instskip(NEXT) | instid1(VALU_DEP_4)
	v_fma_f64 v[202:203], v[174:175], v[4:5], -v[194:195]
	v_fmac_f64_e32 v[198:199], v[176:177], v[4:5]
	ds_load_b128 v[4:7], v2 offset:1664
	ds_load_b128 v[174:177], v2 offset:1680
	scratch_load_b128 v[194:197], off, off offset:800
	v_fmac_f64_e32 v[200:201], v[184:185], v[8:9]
	v_fma_f64 v[182:183], v[182:183], v[8:9], -v[10:11]
	scratch_load_b128 v[8:11], off, off offset:816
	s_wait_loadcnt_dscnt 0xc01
	v_mul_f64_e32 v[204:205], v[4:5], v[14:15]
	v_mul_f64_e32 v[14:15], v[6:7], v[14:15]
	v_add_f64_e32 v[184:185], 0, v[202:203]
	v_add_f64_e32 v[198:199], 0, v[198:199]
	s_wait_loadcnt_dscnt 0xb00
	v_mul_f64_e32 v[202:203], v[174:175], v[18:19]
	v_mul_f64_e32 v[18:19], v[176:177], v[18:19]
	v_fmac_f64_e32 v[204:205], v[6:7], v[12:13]
	v_fma_f64 v[206:207], v[4:5], v[12:13], -v[14:15]
	ds_load_b128 v[4:7], v2 offset:1696
	ds_load_b128 v[12:15], v2 offset:1712
	v_add_f64_e32 v[208:209], v[184:185], v[182:183]
	v_add_f64_e32 v[198:199], v[198:199], v[200:201]
	scratch_load_b128 v[182:185], off, off offset:832
	v_fmac_f64_e32 v[202:203], v[176:177], v[16:17]
	v_fma_f64 v[174:175], v[174:175], v[16:17], -v[18:19]
	scratch_load_b128 v[16:19], off, off offset:848
	s_wait_loadcnt_dscnt 0xc01
	v_mul_f64_e32 v[200:201], v[4:5], v[22:23]
	v_mul_f64_e32 v[22:23], v[6:7], v[22:23]
	v_add_f64_e32 v[176:177], v[208:209], v[206:207]
	v_add_f64_e32 v[198:199], v[198:199], v[204:205]
	s_wait_loadcnt_dscnt 0xb00
	v_mul_f64_e32 v[204:205], v[12:13], v[26:27]
	v_mul_f64_e32 v[26:27], v[14:15], v[26:27]
	v_fmac_f64_e32 v[200:201], v[6:7], v[20:21]
	v_fma_f64 v[206:207], v[4:5], v[20:21], -v[22:23]
	ds_load_b128 v[4:7], v2 offset:1728
	ds_load_b128 v[20:23], v2 offset:1744
	v_add_f64_e32 v[208:209], v[176:177], v[174:175]
	v_add_f64_e32 v[198:199], v[198:199], v[202:203]
	scratch_load_b128 v[174:177], off, off offset:864
	s_wait_loadcnt_dscnt 0xb01
	v_mul_f64_e32 v[202:203], v[4:5], v[30:31]
	v_mul_f64_e32 v[30:31], v[6:7], v[30:31]
	v_fmac_f64_e32 v[204:205], v[14:15], v[24:25]
	v_fma_f64 v[24:25], v[12:13], v[24:25], -v[26:27]
	scratch_load_b128 v[12:15], off, off offset:880
	v_add_f64_e32 v[26:27], v[208:209], v[206:207]
	v_add_f64_e32 v[198:199], v[198:199], v[200:201]
	s_wait_loadcnt_dscnt 0xb00
	v_mul_f64_e32 v[200:201], v[20:21], v[164:165]
	v_mul_f64_e32 v[164:165], v[22:23], v[164:165]
	v_fmac_f64_e32 v[202:203], v[6:7], v[28:29]
	v_fma_f64 v[206:207], v[4:5], v[28:29], -v[30:31]
	v_add_f64_e32 v[208:209], v[26:27], v[24:25]
	v_add_f64_e32 v[198:199], v[198:199], v[204:205]
	ds_load_b128 v[4:7], v2 offset:1760
	ds_load_b128 v[24:27], v2 offset:1776
	scratch_load_b128 v[28:31], off, off offset:896
	v_fmac_f64_e32 v[200:201], v[22:23], v[162:163]
	v_fma_f64 v[162:163], v[20:21], v[162:163], -v[164:165]
	scratch_load_b128 v[20:23], off, off offset:912
	s_wait_loadcnt_dscnt 0xc01
	v_mul_f64_e32 v[204:205], v[4:5], v[168:169]
	v_mul_f64_e32 v[168:169], v[6:7], v[168:169]
	v_add_f64_e32 v[164:165], v[208:209], v[206:207]
	v_add_f64_e32 v[198:199], v[198:199], v[202:203]
	s_wait_loadcnt_dscnt 0xb00
	v_mul_f64_e32 v[202:203], v[24:25], v[172:173]
	v_mul_f64_e32 v[172:173], v[26:27], v[172:173]
	v_fmac_f64_e32 v[204:205], v[6:7], v[166:167]
	v_fma_f64 v[206:207], v[4:5], v[166:167], -v[168:169]
	v_add_f64_e32 v[208:209], v[164:165], v[162:163]
	v_add_f64_e32 v[198:199], v[198:199], v[200:201]
	ds_load_b128 v[4:7], v2 offset:1792
	ds_load_b128 v[162:165], v2 offset:1808
	scratch_load_b128 v[166:169], off, off offset:928
	v_fmac_f64_e32 v[202:203], v[26:27], v[170:171]
	v_fma_f64 v[170:171], v[24:25], v[170:171], -v[172:173]
	scratch_load_b128 v[24:27], off, off offset:944
	s_wait_loadcnt_dscnt 0xc01
	v_mul_f64_e32 v[200:201], v[4:5], v[180:181]
	v_mul_f64_e32 v[180:181], v[6:7], v[180:181]
	;; [unrolled: 18-line block ×4, first 2 shown]
	v_add_f64_e32 v[172:173], v[208:209], v[206:207]
	v_add_f64_e32 v[198:199], v[198:199], v[202:203]
	s_wait_loadcnt_dscnt 0xa00
	v_mul_f64_e32 v[202:203], v[190:191], v[18:19]
	v_mul_f64_e32 v[18:19], v[192:193], v[18:19]
	v_fmac_f64_e32 v[204:205], v[6:7], v[182:183]
	v_fma_f64 v[182:183], v[4:5], v[182:183], -v[184:185]
	v_add_f64_e32 v[184:185], v[172:173], v[170:171]
	v_add_f64_e32 v[198:199], v[198:199], v[200:201]
	ds_load_b128 v[4:7], v2 offset:1888
	ds_load_b128 v[170:173], v2 offset:1904
	v_fmac_f64_e32 v[202:203], v[192:193], v[16:17]
	v_fma_f64 v[16:17], v[190:191], v[16:17], -v[18:19]
	s_wait_loadcnt_dscnt 0x901
	v_mul_f64_e32 v[200:201], v[4:5], v[176:177]
	v_mul_f64_e32 v[176:177], v[6:7], v[176:177]
	s_wait_loadcnt_dscnt 0x800
	v_mul_f64_e32 v[190:191], v[172:173], v[14:15]
	v_add_f64_e32 v[18:19], v[184:185], v[182:183]
	v_add_f64_e32 v[182:183], v[198:199], v[204:205]
	v_mul_f64_e32 v[184:185], v[170:171], v[14:15]
	v_fmac_f64_e32 v[200:201], v[6:7], v[174:175]
	v_fma_f64 v[174:175], v[4:5], v[174:175], -v[176:177]
	v_add_f64_e32 v[18:19], v[18:19], v[16:17]
	v_add_f64_e32 v[176:177], v[182:183], v[202:203]
	ds_load_b128 v[4:7], v2 offset:1920
	ds_load_b128 v[14:17], v2 offset:1936
	v_fmac_f64_e32 v[184:185], v[172:173], v[12:13]
	v_fma_f64 v[12:13], v[170:171], v[12:13], -v[190:191]
	s_wait_loadcnt_dscnt 0x701
	v_mul_f64_e32 v[182:183], v[4:5], v[30:31]
	v_mul_f64_e32 v[30:31], v[6:7], v[30:31]
	s_wait_loadcnt_dscnt 0x600
	v_mul_f64_e32 v[172:173], v[14:15], v[22:23]
	v_mul_f64_e32 v[22:23], v[16:17], v[22:23]
	v_add_f64_e32 v[18:19], v[18:19], v[174:175]
	v_add_f64_e32 v[170:171], v[176:177], v[200:201]
	v_fmac_f64_e32 v[182:183], v[6:7], v[28:29]
	v_fma_f64 v[174:175], v[4:5], v[28:29], -v[30:31]
	ds_load_b128 v[4:7], v2 offset:1952
	ds_load_b128 v[28:31], v2 offset:1968
	v_fmac_f64_e32 v[172:173], v[16:17], v[20:21]
	v_fma_f64 v[14:15], v[14:15], v[20:21], -v[22:23]
	v_add_f64_e32 v[12:13], v[18:19], v[12:13]
	v_add_f64_e32 v[18:19], v[170:171], v[184:185]
	s_wait_loadcnt_dscnt 0x501
	v_mul_f64_e32 v[170:171], v[4:5], v[168:169]
	v_mul_f64_e32 v[168:169], v[6:7], v[168:169]
	s_wait_loadcnt_dscnt 0x400
	v_mul_f64_e32 v[20:21], v[30:31], v[26:27]
	v_add_f64_e32 v[12:13], v[12:13], v[174:175]
	v_add_f64_e32 v[16:17], v[18:19], v[182:183]
	v_mul_f64_e32 v[18:19], v[28:29], v[26:27]
	v_fmac_f64_e32 v[170:171], v[6:7], v[166:167]
	v_fma_f64 v[22:23], v[4:5], v[166:167], -v[168:169]
	v_fma_f64 v[20:21], v[28:29], v[24:25], -v[20:21]
	v_add_f64_e32 v[26:27], v[12:13], v[14:15]
	v_add_f64_e32 v[16:17], v[16:17], v[172:173]
	ds_load_b128 v[4:7], v2 offset:1984
	ds_load_b128 v[12:15], v2 offset:2000
	v_fmac_f64_e32 v[18:19], v[30:31], v[24:25]
	s_wait_loadcnt_dscnt 0x301
	v_mul_f64_e32 v[166:167], v[4:5], v[180:181]
	v_mul_f64_e32 v[168:169], v[6:7], v[180:181]
	s_wait_loadcnt_dscnt 0x200
	v_mul_f64_e32 v[24:25], v[12:13], v[164:165]
	v_add_f64_e32 v[22:23], v[26:27], v[22:23]
	v_add_f64_e32 v[16:17], v[16:17], v[170:171]
	v_mul_f64_e32 v[26:27], v[14:15], v[164:165]
	v_fmac_f64_e32 v[166:167], v[6:7], v[178:179]
	v_fma_f64 v[28:29], v[4:5], v[178:179], -v[168:169]
	v_fmac_f64_e32 v[24:25], v[14:15], v[162:163]
	v_add_f64_e32 v[20:21], v[22:23], v[20:21]
	v_add_f64_e32 v[22:23], v[16:17], v[18:19]
	ds_load_b128 v[4:7], v2 offset:2016
	ds_load_b128 v[16:19], v2 offset:2032
	v_fma_f64 v[12:13], v[12:13], v[162:163], -v[26:27]
	s_wait_loadcnt_dscnt 0x101
	v_mul_f64_e32 v[2:3], v[4:5], v[196:197]
	v_mul_f64_e32 v[30:31], v[6:7], v[196:197]
	v_add_f64_e32 v[14:15], v[20:21], v[28:29]
	v_add_f64_e32 v[20:21], v[22:23], v[166:167]
	s_wait_loadcnt_dscnt 0x0
	v_mul_f64_e32 v[22:23], v[16:17], v[10:11]
	v_mul_f64_e32 v[10:11], v[18:19], v[10:11]
	v_fmac_f64_e32 v[2:3], v[6:7], v[194:195]
	v_fma_f64 v[4:5], v[4:5], v[194:195], -v[30:31]
	v_add_f64_e32 v[6:7], v[14:15], v[12:13]
	v_add_f64_e32 v[12:13], v[20:21], v[24:25]
	v_fmac_f64_e32 v[22:23], v[18:19], v[8:9]
	v_fma_f64 v[8:9], v[16:17], v[8:9], -v[10:11]
	s_delay_alu instid0(VALU_DEP_4) | instskip(NEXT) | instid1(VALU_DEP_4)
	v_add_f64_e32 v[4:5], v[6:7], v[4:5]
	v_add_f64_e32 v[2:3], v[12:13], v[2:3]
	s_delay_alu instid0(VALU_DEP_2) | instskip(NEXT) | instid1(VALU_DEP_2)
	v_add_f64_e32 v[4:5], v[4:5], v[8:9]
	v_add_f64_e32 v[6:7], v[2:3], v[22:23]
	s_delay_alu instid0(VALU_DEP_2) | instskip(NEXT) | instid1(VALU_DEP_2)
	v_add_f64_e64 v[2:3], v[186:187], -v[4:5]
	v_add_f64_e64 v[4:5], v[188:189], -v[6:7]
	scratch_store_b128 off, v[2:5], off offset:592
	s_wait_xcnt 0x0
	v_cmpx_lt_u32_e32 36, v1
	s_cbranch_execz .LBB63_337
; %bb.336:
	scratch_load_b128 v[2:5], off, s42
	v_mov_b32_e32 v6, 0
	s_delay_alu instid0(VALU_DEP_1)
	v_dual_mov_b32 v7, v6 :: v_dual_mov_b32 v8, v6
	v_mov_b32_e32 v9, v6
	scratch_store_b128 off, v[6:9], off offset:576
	s_wait_loadcnt 0x0
	ds_store_b128 v160, v[2:5]
.LBB63_337:
	s_wait_xcnt 0x0
	s_or_b32 exec_lo, exec_lo, s2
	s_wait_storecnt_dscnt 0x0
	s_barrier_signal -1
	s_barrier_wait -1
	s_clause 0x9
	scratch_load_b128 v[4:7], off, off offset:592
	scratch_load_b128 v[8:11], off, off offset:608
	scratch_load_b128 v[12:15], off, off offset:624
	scratch_load_b128 v[16:19], off, off offset:640
	scratch_load_b128 v[20:23], off, off offset:656
	scratch_load_b128 v[24:27], off, off offset:672
	scratch_load_b128 v[28:31], off, off offset:688
	scratch_load_b128 v[162:165], off, off offset:704
	scratch_load_b128 v[166:169], off, off offset:720
	scratch_load_b128 v[170:173], off, off offset:736
	v_mov_b32_e32 v2, 0
	s_mov_b32 s2, exec_lo
	ds_load_b128 v[174:177], v2 offset:1616
	s_clause 0x2
	scratch_load_b128 v[178:181], off, off offset:752
	scratch_load_b128 v[182:185], off, off offset:576
	;; [unrolled: 1-line block ×3, first 2 shown]
	s_wait_loadcnt_dscnt 0xc00
	v_mul_f64_e32 v[194:195], v[176:177], v[6:7]
	v_mul_f64_e32 v[198:199], v[174:175], v[6:7]
	ds_load_b128 v[186:189], v2 offset:1632
	v_fma_f64 v[202:203], v[174:175], v[4:5], -v[194:195]
	v_fmac_f64_e32 v[198:199], v[176:177], v[4:5]
	ds_load_b128 v[4:7], v2 offset:1648
	s_wait_loadcnt_dscnt 0xb01
	v_mul_f64_e32 v[200:201], v[186:187], v[10:11]
	v_mul_f64_e32 v[10:11], v[188:189], v[10:11]
	scratch_load_b128 v[174:177], off, off offset:784
	ds_load_b128 v[194:197], v2 offset:1664
	s_wait_loadcnt_dscnt 0xb01
	v_mul_f64_e32 v[204:205], v[4:5], v[14:15]
	v_mul_f64_e32 v[14:15], v[6:7], v[14:15]
	v_add_f64_e32 v[198:199], 0, v[198:199]
	v_fmac_f64_e32 v[200:201], v[188:189], v[8:9]
	v_fma_f64 v[186:187], v[186:187], v[8:9], -v[10:11]
	v_add_f64_e32 v[188:189], 0, v[202:203]
	scratch_load_b128 v[8:11], off, off offset:800
	v_fmac_f64_e32 v[204:205], v[6:7], v[12:13]
	v_fma_f64 v[206:207], v[4:5], v[12:13], -v[14:15]
	ds_load_b128 v[4:7], v2 offset:1680
	s_wait_loadcnt_dscnt 0xb01
	v_mul_f64_e32 v[202:203], v[194:195], v[18:19]
	v_mul_f64_e32 v[18:19], v[196:197], v[18:19]
	scratch_load_b128 v[12:15], off, off offset:816
	v_add_f64_e32 v[198:199], v[198:199], v[200:201]
	v_add_f64_e32 v[208:209], v[188:189], v[186:187]
	ds_load_b128 v[186:189], v2 offset:1696
	s_wait_loadcnt_dscnt 0xb01
	v_mul_f64_e32 v[200:201], v[4:5], v[22:23]
	v_mul_f64_e32 v[22:23], v[6:7], v[22:23]
	v_fmac_f64_e32 v[202:203], v[196:197], v[16:17]
	v_fma_f64 v[194:195], v[194:195], v[16:17], -v[18:19]
	scratch_load_b128 v[16:19], off, off offset:832
	v_add_f64_e32 v[198:199], v[198:199], v[204:205]
	v_add_f64_e32 v[196:197], v[208:209], v[206:207]
	v_fmac_f64_e32 v[200:201], v[6:7], v[20:21]
	v_fma_f64 v[206:207], v[4:5], v[20:21], -v[22:23]
	ds_load_b128 v[4:7], v2 offset:1712
	s_wait_loadcnt_dscnt 0xb01
	v_mul_f64_e32 v[204:205], v[186:187], v[26:27]
	v_mul_f64_e32 v[26:27], v[188:189], v[26:27]
	scratch_load_b128 v[20:23], off, off offset:848
	v_add_f64_e32 v[198:199], v[198:199], v[202:203]
	s_wait_loadcnt_dscnt 0xb00
	v_mul_f64_e32 v[202:203], v[4:5], v[30:31]
	v_add_f64_e32 v[208:209], v[196:197], v[194:195]
	v_mul_f64_e32 v[30:31], v[6:7], v[30:31]
	ds_load_b128 v[194:197], v2 offset:1728
	v_fmac_f64_e32 v[204:205], v[188:189], v[24:25]
	v_fma_f64 v[186:187], v[186:187], v[24:25], -v[26:27]
	scratch_load_b128 v[24:27], off, off offset:864
	v_add_f64_e32 v[198:199], v[198:199], v[200:201]
	v_fmac_f64_e32 v[202:203], v[6:7], v[28:29]
	v_add_f64_e32 v[188:189], v[208:209], v[206:207]
	v_fma_f64 v[206:207], v[4:5], v[28:29], -v[30:31]
	ds_load_b128 v[4:7], v2 offset:1744
	s_wait_loadcnt_dscnt 0xb01
	v_mul_f64_e32 v[200:201], v[194:195], v[164:165]
	v_mul_f64_e32 v[164:165], v[196:197], v[164:165]
	scratch_load_b128 v[28:31], off, off offset:880
	v_add_f64_e32 v[198:199], v[198:199], v[204:205]
	s_wait_loadcnt_dscnt 0xb00
	v_mul_f64_e32 v[204:205], v[4:5], v[168:169]
	v_add_f64_e32 v[208:209], v[188:189], v[186:187]
	v_mul_f64_e32 v[168:169], v[6:7], v[168:169]
	ds_load_b128 v[186:189], v2 offset:1760
	v_fmac_f64_e32 v[200:201], v[196:197], v[162:163]
	v_fma_f64 v[194:195], v[194:195], v[162:163], -v[164:165]
	scratch_load_b128 v[162:165], off, off offset:896
	v_add_f64_e32 v[198:199], v[198:199], v[202:203]
	v_fmac_f64_e32 v[204:205], v[6:7], v[166:167]
	v_add_f64_e32 v[196:197], v[208:209], v[206:207]
	;; [unrolled: 18-line block ×3, first 2 shown]
	v_fma_f64 v[206:207], v[4:5], v[178:179], -v[180:181]
	ds_load_b128 v[4:7], v2 offset:1808
	s_wait_loadcnt_dscnt 0xa01
	v_mul_f64_e32 v[204:205], v[194:195], v[192:193]
	v_mul_f64_e32 v[192:193], v[196:197], v[192:193]
	scratch_load_b128 v[178:181], off, off offset:944
	v_add_f64_e32 v[198:199], v[198:199], v[202:203]
	v_add_f64_e32 v[208:209], v[188:189], v[186:187]
	s_wait_loadcnt_dscnt 0xa00
	v_mul_f64_e32 v[202:203], v[4:5], v[176:177]
	v_mul_f64_e32 v[176:177], v[6:7], v[176:177]
	v_fmac_f64_e32 v[204:205], v[196:197], v[190:191]
	v_fma_f64 v[194:195], v[194:195], v[190:191], -v[192:193]
	ds_load_b128 v[186:189], v2 offset:1824
	scratch_load_b128 v[190:193], off, off offset:960
	v_add_f64_e32 v[198:199], v[198:199], v[200:201]
	v_add_f64_e32 v[196:197], v[208:209], v[206:207]
	v_fmac_f64_e32 v[202:203], v[6:7], v[174:175]
	v_fma_f64 v[206:207], v[4:5], v[174:175], -v[176:177]
	ds_load_b128 v[4:7], v2 offset:1840
	s_wait_loadcnt_dscnt 0xa01
	v_mul_f64_e32 v[200:201], v[186:187], v[10:11]
	v_mul_f64_e32 v[10:11], v[188:189], v[10:11]
	scratch_load_b128 v[174:177], off, off offset:976
	v_add_f64_e32 v[198:199], v[198:199], v[204:205]
	s_wait_loadcnt_dscnt 0xa00
	v_mul_f64_e32 v[204:205], v[4:5], v[14:15]
	v_add_f64_e32 v[208:209], v[196:197], v[194:195]
	v_mul_f64_e32 v[14:15], v[6:7], v[14:15]
	ds_load_b128 v[194:197], v2 offset:1856
	v_fmac_f64_e32 v[200:201], v[188:189], v[8:9]
	v_fma_f64 v[186:187], v[186:187], v[8:9], -v[10:11]
	scratch_load_b128 v[8:11], off, off offset:992
	v_add_f64_e32 v[198:199], v[198:199], v[202:203]
	v_fmac_f64_e32 v[204:205], v[6:7], v[12:13]
	v_add_f64_e32 v[188:189], v[208:209], v[206:207]
	v_fma_f64 v[206:207], v[4:5], v[12:13], -v[14:15]
	ds_load_b128 v[4:7], v2 offset:1872
	s_wait_loadcnt_dscnt 0xa01
	v_mul_f64_e32 v[202:203], v[194:195], v[18:19]
	v_mul_f64_e32 v[18:19], v[196:197], v[18:19]
	scratch_load_b128 v[12:15], off, off offset:1008
	v_add_f64_e32 v[198:199], v[198:199], v[200:201]
	s_wait_loadcnt_dscnt 0xa00
	v_mul_f64_e32 v[200:201], v[4:5], v[22:23]
	v_add_f64_e32 v[208:209], v[188:189], v[186:187]
	v_mul_f64_e32 v[22:23], v[6:7], v[22:23]
	ds_load_b128 v[186:189], v2 offset:1888
	v_fmac_f64_e32 v[202:203], v[196:197], v[16:17]
	v_fma_f64 v[16:17], v[194:195], v[16:17], -v[18:19]
	s_wait_loadcnt_dscnt 0x900
	v_mul_f64_e32 v[196:197], v[186:187], v[26:27]
	v_mul_f64_e32 v[26:27], v[188:189], v[26:27]
	v_add_f64_e32 v[194:195], v[198:199], v[204:205]
	v_fmac_f64_e32 v[200:201], v[6:7], v[20:21]
	v_add_f64_e32 v[18:19], v[208:209], v[206:207]
	v_fma_f64 v[20:21], v[4:5], v[20:21], -v[22:23]
	v_fmac_f64_e32 v[196:197], v[188:189], v[24:25]
	v_fma_f64 v[24:25], v[186:187], v[24:25], -v[26:27]
	v_add_f64_e32 v[194:195], v[194:195], v[202:203]
	v_add_f64_e32 v[22:23], v[18:19], v[16:17]
	ds_load_b128 v[4:7], v2 offset:1904
	ds_load_b128 v[16:19], v2 offset:1920
	s_wait_loadcnt_dscnt 0x801
	v_mul_f64_e32 v[198:199], v[4:5], v[30:31]
	v_mul_f64_e32 v[30:31], v[6:7], v[30:31]
	s_wait_loadcnt_dscnt 0x700
	v_mul_f64_e32 v[26:27], v[16:17], v[164:165]
	v_mul_f64_e32 v[164:165], v[18:19], v[164:165]
	v_add_f64_e32 v[20:21], v[22:23], v[20:21]
	v_add_f64_e32 v[22:23], v[194:195], v[200:201]
	v_fmac_f64_e32 v[198:199], v[6:7], v[28:29]
	v_fma_f64 v[28:29], v[4:5], v[28:29], -v[30:31]
	v_fmac_f64_e32 v[26:27], v[18:19], v[162:163]
	v_fma_f64 v[16:17], v[16:17], v[162:163], -v[164:165]
	v_add_f64_e32 v[24:25], v[20:21], v[24:25]
	v_add_f64_e32 v[30:31], v[22:23], v[196:197]
	ds_load_b128 v[4:7], v2 offset:1936
	ds_load_b128 v[20:23], v2 offset:1952
	s_wait_loadcnt_dscnt 0x601
	v_mul_f64_e32 v[186:187], v[4:5], v[168:169]
	v_mul_f64_e32 v[168:169], v[6:7], v[168:169]
	v_add_f64_e32 v[18:19], v[24:25], v[28:29]
	v_add_f64_e32 v[24:25], v[30:31], v[198:199]
	s_wait_loadcnt_dscnt 0x500
	v_mul_f64_e32 v[28:29], v[20:21], v[172:173]
	v_mul_f64_e32 v[30:31], v[22:23], v[172:173]
	v_fmac_f64_e32 v[186:187], v[6:7], v[166:167]
	v_fma_f64 v[162:163], v[4:5], v[166:167], -v[168:169]
	v_add_f64_e32 v[164:165], v[18:19], v[16:17]
	v_add_f64_e32 v[24:25], v[24:25], v[26:27]
	ds_load_b128 v[4:7], v2 offset:1968
	ds_load_b128 v[16:19], v2 offset:1984
	v_fmac_f64_e32 v[28:29], v[22:23], v[170:171]
	v_fma_f64 v[20:21], v[20:21], v[170:171], -v[30:31]
	s_wait_loadcnt_dscnt 0x401
	v_mul_f64_e32 v[26:27], v[4:5], v[180:181]
	v_mul_f64_e32 v[166:167], v[6:7], v[180:181]
	s_wait_loadcnt_dscnt 0x300
	v_mul_f64_e32 v[30:31], v[16:17], v[192:193]
	v_add_f64_e32 v[22:23], v[164:165], v[162:163]
	v_add_f64_e32 v[24:25], v[24:25], v[186:187]
	v_mul_f64_e32 v[162:163], v[18:19], v[192:193]
	v_fmac_f64_e32 v[26:27], v[6:7], v[178:179]
	v_fma_f64 v[164:165], v[4:5], v[178:179], -v[166:167]
	v_fmac_f64_e32 v[30:31], v[18:19], v[190:191]
	v_add_f64_e32 v[166:167], v[22:23], v[20:21]
	v_add_f64_e32 v[24:25], v[24:25], v[28:29]
	ds_load_b128 v[4:7], v2 offset:2000
	ds_load_b128 v[20:23], v2 offset:2016
	v_fma_f64 v[16:17], v[16:17], v[190:191], -v[162:163]
	s_wait_loadcnt_dscnt 0x201
	v_mul_f64_e32 v[28:29], v[4:5], v[176:177]
	v_mul_f64_e32 v[168:169], v[6:7], v[176:177]
	v_add_f64_e32 v[18:19], v[166:167], v[164:165]
	v_add_f64_e32 v[24:25], v[24:25], v[26:27]
	s_wait_loadcnt_dscnt 0x100
	v_mul_f64_e32 v[26:27], v[20:21], v[10:11]
	v_mul_f64_e32 v[10:11], v[22:23], v[10:11]
	v_fmac_f64_e32 v[28:29], v[6:7], v[174:175]
	v_fma_f64 v[162:163], v[4:5], v[174:175], -v[168:169]
	ds_load_b128 v[4:7], v2 offset:2032
	v_add_f64_e32 v[16:17], v[18:19], v[16:17]
	v_add_f64_e32 v[18:19], v[24:25], v[30:31]
	v_fmac_f64_e32 v[26:27], v[22:23], v[8:9]
	v_fma_f64 v[8:9], v[20:21], v[8:9], -v[10:11]
	s_wait_loadcnt_dscnt 0x0
	v_mul_f64_e32 v[24:25], v[4:5], v[14:15]
	v_mul_f64_e32 v[14:15], v[6:7], v[14:15]
	v_add_f64_e32 v[10:11], v[16:17], v[162:163]
	v_add_f64_e32 v[16:17], v[18:19], v[28:29]
	s_delay_alu instid0(VALU_DEP_4) | instskip(NEXT) | instid1(VALU_DEP_4)
	v_fmac_f64_e32 v[24:25], v[6:7], v[12:13]
	v_fma_f64 v[4:5], v[4:5], v[12:13], -v[14:15]
	s_delay_alu instid0(VALU_DEP_4) | instskip(NEXT) | instid1(VALU_DEP_4)
	v_add_f64_e32 v[6:7], v[10:11], v[8:9]
	v_add_f64_e32 v[8:9], v[16:17], v[26:27]
	s_delay_alu instid0(VALU_DEP_2) | instskip(NEXT) | instid1(VALU_DEP_2)
	v_add_f64_e32 v[4:5], v[6:7], v[4:5]
	v_add_f64_e32 v[6:7], v[8:9], v[24:25]
	s_delay_alu instid0(VALU_DEP_2) | instskip(NEXT) | instid1(VALU_DEP_2)
	v_add_f64_e64 v[4:5], v[182:183], -v[4:5]
	v_add_f64_e64 v[6:7], v[184:185], -v[6:7]
	scratch_store_b128 off, v[4:7], off offset:576
	s_wait_xcnt 0x0
	v_cmpx_lt_u32_e32 35, v1
	s_cbranch_execz .LBB63_339
; %bb.338:
	scratch_load_b128 v[6:9], off, s41
	v_dual_mov_b32 v3, v2 :: v_dual_mov_b32 v4, v2
	v_mov_b32_e32 v5, v2
	scratch_store_b128 off, v[2:5], off offset:560
	s_wait_loadcnt 0x0
	ds_store_b128 v160, v[6:9]
.LBB63_339:
	s_wait_xcnt 0x0
	s_or_b32 exec_lo, exec_lo, s2
	s_wait_storecnt_dscnt 0x0
	s_barrier_signal -1
	s_barrier_wait -1
	s_clause 0x9
	scratch_load_b128 v[4:7], off, off offset:576
	scratch_load_b128 v[8:11], off, off offset:592
	scratch_load_b128 v[12:15], off, off offset:608
	scratch_load_b128 v[16:19], off, off offset:624
	scratch_load_b128 v[20:23], off, off offset:640
	scratch_load_b128 v[24:27], off, off offset:656
	scratch_load_b128 v[28:31], off, off offset:672
	scratch_load_b128 v[162:165], off, off offset:688
	scratch_load_b128 v[166:169], off, off offset:704
	scratch_load_b128 v[170:173], off, off offset:720
	ds_load_b128 v[174:177], v2 offset:1600
	ds_load_b128 v[182:185], v2 offset:1616
	s_clause 0x2
	scratch_load_b128 v[178:181], off, off offset:736
	scratch_load_b128 v[186:189], off, off offset:560
	;; [unrolled: 1-line block ×3, first 2 shown]
	s_mov_b32 s2, exec_lo
	s_wait_loadcnt_dscnt 0xc01
	v_mul_f64_e32 v[194:195], v[176:177], v[6:7]
	v_mul_f64_e32 v[198:199], v[174:175], v[6:7]
	s_wait_loadcnt_dscnt 0xb00
	v_mul_f64_e32 v[200:201], v[182:183], v[10:11]
	v_mul_f64_e32 v[10:11], v[184:185], v[10:11]
	s_delay_alu instid0(VALU_DEP_4) | instskip(NEXT) | instid1(VALU_DEP_4)
	v_fma_f64 v[202:203], v[174:175], v[4:5], -v[194:195]
	v_fmac_f64_e32 v[198:199], v[176:177], v[4:5]
	ds_load_b128 v[4:7], v2 offset:1632
	ds_load_b128 v[174:177], v2 offset:1648
	scratch_load_b128 v[194:197], off, off offset:768
	v_fmac_f64_e32 v[200:201], v[184:185], v[8:9]
	v_fma_f64 v[182:183], v[182:183], v[8:9], -v[10:11]
	scratch_load_b128 v[8:11], off, off offset:784
	s_wait_loadcnt_dscnt 0xc01
	v_mul_f64_e32 v[204:205], v[4:5], v[14:15]
	v_mul_f64_e32 v[14:15], v[6:7], v[14:15]
	v_add_f64_e32 v[184:185], 0, v[202:203]
	v_add_f64_e32 v[198:199], 0, v[198:199]
	s_wait_loadcnt_dscnt 0xb00
	v_mul_f64_e32 v[202:203], v[174:175], v[18:19]
	v_mul_f64_e32 v[18:19], v[176:177], v[18:19]
	v_fmac_f64_e32 v[204:205], v[6:7], v[12:13]
	v_fma_f64 v[206:207], v[4:5], v[12:13], -v[14:15]
	ds_load_b128 v[4:7], v2 offset:1664
	ds_load_b128 v[12:15], v2 offset:1680
	v_add_f64_e32 v[208:209], v[184:185], v[182:183]
	v_add_f64_e32 v[198:199], v[198:199], v[200:201]
	scratch_load_b128 v[182:185], off, off offset:800
	v_fmac_f64_e32 v[202:203], v[176:177], v[16:17]
	v_fma_f64 v[174:175], v[174:175], v[16:17], -v[18:19]
	scratch_load_b128 v[16:19], off, off offset:816
	s_wait_loadcnt_dscnt 0xc01
	v_mul_f64_e32 v[200:201], v[4:5], v[22:23]
	v_mul_f64_e32 v[22:23], v[6:7], v[22:23]
	v_add_f64_e32 v[176:177], v[208:209], v[206:207]
	v_add_f64_e32 v[198:199], v[198:199], v[204:205]
	s_wait_loadcnt_dscnt 0xb00
	v_mul_f64_e32 v[204:205], v[12:13], v[26:27]
	v_mul_f64_e32 v[26:27], v[14:15], v[26:27]
	v_fmac_f64_e32 v[200:201], v[6:7], v[20:21]
	v_fma_f64 v[206:207], v[4:5], v[20:21], -v[22:23]
	ds_load_b128 v[4:7], v2 offset:1696
	ds_load_b128 v[20:23], v2 offset:1712
	v_add_f64_e32 v[208:209], v[176:177], v[174:175]
	v_add_f64_e32 v[198:199], v[198:199], v[202:203]
	scratch_load_b128 v[174:177], off, off offset:832
	s_wait_loadcnt_dscnt 0xb01
	v_mul_f64_e32 v[202:203], v[4:5], v[30:31]
	v_mul_f64_e32 v[30:31], v[6:7], v[30:31]
	v_fmac_f64_e32 v[204:205], v[14:15], v[24:25]
	v_fma_f64 v[24:25], v[12:13], v[24:25], -v[26:27]
	scratch_load_b128 v[12:15], off, off offset:848
	v_add_f64_e32 v[26:27], v[208:209], v[206:207]
	v_add_f64_e32 v[198:199], v[198:199], v[200:201]
	s_wait_loadcnt_dscnt 0xb00
	v_mul_f64_e32 v[200:201], v[20:21], v[164:165]
	v_mul_f64_e32 v[164:165], v[22:23], v[164:165]
	v_fmac_f64_e32 v[202:203], v[6:7], v[28:29]
	v_fma_f64 v[206:207], v[4:5], v[28:29], -v[30:31]
	v_add_f64_e32 v[208:209], v[26:27], v[24:25]
	v_add_f64_e32 v[198:199], v[198:199], v[204:205]
	ds_load_b128 v[4:7], v2 offset:1728
	ds_load_b128 v[24:27], v2 offset:1744
	scratch_load_b128 v[28:31], off, off offset:864
	v_fmac_f64_e32 v[200:201], v[22:23], v[162:163]
	v_fma_f64 v[162:163], v[20:21], v[162:163], -v[164:165]
	scratch_load_b128 v[20:23], off, off offset:880
	s_wait_loadcnt_dscnt 0xc01
	v_mul_f64_e32 v[204:205], v[4:5], v[168:169]
	v_mul_f64_e32 v[168:169], v[6:7], v[168:169]
	v_add_f64_e32 v[164:165], v[208:209], v[206:207]
	v_add_f64_e32 v[198:199], v[198:199], v[202:203]
	s_wait_loadcnt_dscnt 0xb00
	v_mul_f64_e32 v[202:203], v[24:25], v[172:173]
	v_mul_f64_e32 v[172:173], v[26:27], v[172:173]
	v_fmac_f64_e32 v[204:205], v[6:7], v[166:167]
	v_fma_f64 v[206:207], v[4:5], v[166:167], -v[168:169]
	v_add_f64_e32 v[208:209], v[164:165], v[162:163]
	v_add_f64_e32 v[198:199], v[198:199], v[200:201]
	ds_load_b128 v[4:7], v2 offset:1760
	ds_load_b128 v[162:165], v2 offset:1776
	scratch_load_b128 v[166:169], off, off offset:896
	v_fmac_f64_e32 v[202:203], v[26:27], v[170:171]
	v_fma_f64 v[170:171], v[24:25], v[170:171], -v[172:173]
	scratch_load_b128 v[24:27], off, off offset:912
	s_wait_loadcnt_dscnt 0xc01
	v_mul_f64_e32 v[200:201], v[4:5], v[180:181]
	v_mul_f64_e32 v[180:181], v[6:7], v[180:181]
	;; [unrolled: 18-line block ×5, first 2 shown]
	v_add_f64_e32 v[192:193], v[208:209], v[206:207]
	v_add_f64_e32 v[198:199], v[198:199], v[204:205]
	s_wait_loadcnt_dscnt 0xa00
	v_mul_f64_e32 v[204:205], v[170:171], v[14:15]
	v_mul_f64_e32 v[14:15], v[172:173], v[14:15]
	v_fmac_f64_e32 v[200:201], v[6:7], v[174:175]
	v_fma_f64 v[206:207], v[4:5], v[174:175], -v[176:177]
	ds_load_b128 v[4:7], v2 offset:1888
	ds_load_b128 v[174:177], v2 offset:1904
	v_add_f64_e32 v[190:191], v[192:193], v[190:191]
	v_add_f64_e32 v[192:193], v[198:199], v[202:203]
	v_fmac_f64_e32 v[204:205], v[172:173], v[12:13]
	v_fma_f64 v[12:13], v[170:171], v[12:13], -v[14:15]
	s_wait_loadcnt_dscnt 0x901
	v_mul_f64_e32 v[198:199], v[4:5], v[30:31]
	v_mul_f64_e32 v[30:31], v[6:7], v[30:31]
	s_wait_loadcnt_dscnt 0x800
	v_mul_f64_e32 v[172:173], v[174:175], v[22:23]
	v_mul_f64_e32 v[22:23], v[176:177], v[22:23]
	v_add_f64_e32 v[14:15], v[190:191], v[206:207]
	v_add_f64_e32 v[170:171], v[192:193], v[200:201]
	v_fmac_f64_e32 v[198:199], v[6:7], v[28:29]
	v_fma_f64 v[28:29], v[4:5], v[28:29], -v[30:31]
	v_fmac_f64_e32 v[172:173], v[176:177], v[20:21]
	v_fma_f64 v[20:21], v[174:175], v[20:21], -v[22:23]
	v_add_f64_e32 v[30:31], v[14:15], v[12:13]
	v_add_f64_e32 v[170:171], v[170:171], v[204:205]
	ds_load_b128 v[4:7], v2 offset:1920
	ds_load_b128 v[12:15], v2 offset:1936
	s_wait_loadcnt_dscnt 0x701
	v_mul_f64_e32 v[190:191], v[4:5], v[168:169]
	v_mul_f64_e32 v[168:169], v[6:7], v[168:169]
	v_add_f64_e32 v[22:23], v[30:31], v[28:29]
	v_add_f64_e32 v[28:29], v[170:171], v[198:199]
	s_wait_loadcnt_dscnt 0x600
	v_mul_f64_e32 v[30:31], v[12:13], v[26:27]
	v_mul_f64_e32 v[26:27], v[14:15], v[26:27]
	v_fmac_f64_e32 v[190:191], v[6:7], v[166:167]
	v_fma_f64 v[166:167], v[4:5], v[166:167], -v[168:169]
	v_add_f64_e32 v[168:169], v[22:23], v[20:21]
	v_add_f64_e32 v[28:29], v[28:29], v[172:173]
	ds_load_b128 v[4:7], v2 offset:1952
	ds_load_b128 v[20:23], v2 offset:1968
	v_fmac_f64_e32 v[30:31], v[14:15], v[24:25]
	v_fma_f64 v[12:13], v[12:13], v[24:25], -v[26:27]
	s_wait_loadcnt_dscnt 0x501
	v_mul_f64_e32 v[170:171], v[4:5], v[180:181]
	v_mul_f64_e32 v[172:173], v[6:7], v[180:181]
	s_wait_loadcnt_dscnt 0x400
	v_mul_f64_e32 v[26:27], v[20:21], v[164:165]
	v_add_f64_e32 v[14:15], v[168:169], v[166:167]
	v_add_f64_e32 v[24:25], v[28:29], v[190:191]
	v_mul_f64_e32 v[28:29], v[22:23], v[164:165]
	v_fmac_f64_e32 v[170:171], v[6:7], v[178:179]
	v_fma_f64 v[164:165], v[4:5], v[178:179], -v[172:173]
	v_fmac_f64_e32 v[26:27], v[22:23], v[162:163]
	v_add_f64_e32 v[166:167], v[14:15], v[12:13]
	v_add_f64_e32 v[24:25], v[24:25], v[30:31]
	ds_load_b128 v[4:7], v2 offset:1984
	ds_load_b128 v[12:15], v2 offset:2000
	v_fma_f64 v[20:21], v[20:21], v[162:163], -v[28:29]
	s_wait_loadcnt_dscnt 0x301
	v_mul_f64_e32 v[30:31], v[4:5], v[196:197]
	v_mul_f64_e32 v[168:169], v[6:7], v[196:197]
	s_wait_loadcnt_dscnt 0x200
	v_mul_f64_e32 v[28:29], v[12:13], v[10:11]
	v_mul_f64_e32 v[10:11], v[14:15], v[10:11]
	v_add_f64_e32 v[22:23], v[166:167], v[164:165]
	v_add_f64_e32 v[24:25], v[24:25], v[170:171]
	v_fmac_f64_e32 v[30:31], v[6:7], v[194:195]
	v_fma_f64 v[162:163], v[4:5], v[194:195], -v[168:169]
	v_fmac_f64_e32 v[28:29], v[14:15], v[8:9]
	v_fma_f64 v[8:9], v[12:13], v[8:9], -v[10:11]
	v_add_f64_e32 v[164:165], v[22:23], v[20:21]
	v_add_f64_e32 v[24:25], v[24:25], v[26:27]
	ds_load_b128 v[4:7], v2 offset:2016
	ds_load_b128 v[20:23], v2 offset:2032
	s_wait_loadcnt_dscnt 0x101
	v_mul_f64_e32 v[2:3], v[4:5], v[184:185]
	v_mul_f64_e32 v[26:27], v[6:7], v[184:185]
	s_wait_loadcnt_dscnt 0x0
	v_mul_f64_e32 v[14:15], v[20:21], v[18:19]
	v_mul_f64_e32 v[18:19], v[22:23], v[18:19]
	v_add_f64_e32 v[10:11], v[164:165], v[162:163]
	v_add_f64_e32 v[12:13], v[24:25], v[30:31]
	v_fmac_f64_e32 v[2:3], v[6:7], v[182:183]
	v_fma_f64 v[4:5], v[4:5], v[182:183], -v[26:27]
	v_fmac_f64_e32 v[14:15], v[22:23], v[16:17]
	v_add_f64_e32 v[6:7], v[10:11], v[8:9]
	v_add_f64_e32 v[8:9], v[12:13], v[28:29]
	v_fma_f64 v[10:11], v[20:21], v[16:17], -v[18:19]
	s_delay_alu instid0(VALU_DEP_3) | instskip(NEXT) | instid1(VALU_DEP_3)
	v_add_f64_e32 v[4:5], v[6:7], v[4:5]
	v_add_f64_e32 v[2:3], v[8:9], v[2:3]
	s_delay_alu instid0(VALU_DEP_2) | instskip(NEXT) | instid1(VALU_DEP_2)
	v_add_f64_e32 v[4:5], v[4:5], v[10:11]
	v_add_f64_e32 v[6:7], v[2:3], v[14:15]
	s_delay_alu instid0(VALU_DEP_2) | instskip(NEXT) | instid1(VALU_DEP_2)
	v_add_f64_e64 v[2:3], v[186:187], -v[4:5]
	v_add_f64_e64 v[4:5], v[188:189], -v[6:7]
	scratch_store_b128 off, v[2:5], off offset:560
	s_wait_xcnt 0x0
	v_cmpx_lt_u32_e32 34, v1
	s_cbranch_execz .LBB63_341
; %bb.340:
	scratch_load_b128 v[2:5], off, s44
	v_mov_b32_e32 v6, 0
	s_delay_alu instid0(VALU_DEP_1)
	v_dual_mov_b32 v7, v6 :: v_dual_mov_b32 v8, v6
	v_mov_b32_e32 v9, v6
	scratch_store_b128 off, v[6:9], off offset:544
	s_wait_loadcnt 0x0
	ds_store_b128 v160, v[2:5]
.LBB63_341:
	s_wait_xcnt 0x0
	s_or_b32 exec_lo, exec_lo, s2
	s_wait_storecnt_dscnt 0x0
	s_barrier_signal -1
	s_barrier_wait -1
	s_clause 0x9
	scratch_load_b128 v[4:7], off, off offset:560
	scratch_load_b128 v[8:11], off, off offset:576
	;; [unrolled: 1-line block ×10, first 2 shown]
	v_mov_b32_e32 v2, 0
	s_mov_b32 s2, exec_lo
	ds_load_b128 v[174:177], v2 offset:1584
	s_clause 0x2
	scratch_load_b128 v[178:181], off, off offset:720
	scratch_load_b128 v[182:185], off, off offset:544
	scratch_load_b128 v[190:193], off, off offset:736
	s_wait_loadcnt_dscnt 0xc00
	v_mul_f64_e32 v[194:195], v[176:177], v[6:7]
	v_mul_f64_e32 v[198:199], v[174:175], v[6:7]
	ds_load_b128 v[186:189], v2 offset:1600
	v_fma_f64 v[202:203], v[174:175], v[4:5], -v[194:195]
	v_fmac_f64_e32 v[198:199], v[176:177], v[4:5]
	ds_load_b128 v[4:7], v2 offset:1616
	s_wait_loadcnt_dscnt 0xb01
	v_mul_f64_e32 v[200:201], v[186:187], v[10:11]
	v_mul_f64_e32 v[10:11], v[188:189], v[10:11]
	scratch_load_b128 v[174:177], off, off offset:752
	ds_load_b128 v[194:197], v2 offset:1632
	s_wait_loadcnt_dscnt 0xb01
	v_mul_f64_e32 v[204:205], v[4:5], v[14:15]
	v_mul_f64_e32 v[14:15], v[6:7], v[14:15]
	v_add_f64_e32 v[198:199], 0, v[198:199]
	v_fmac_f64_e32 v[200:201], v[188:189], v[8:9]
	v_fma_f64 v[186:187], v[186:187], v[8:9], -v[10:11]
	v_add_f64_e32 v[188:189], 0, v[202:203]
	scratch_load_b128 v[8:11], off, off offset:768
	v_fmac_f64_e32 v[204:205], v[6:7], v[12:13]
	v_fma_f64 v[206:207], v[4:5], v[12:13], -v[14:15]
	ds_load_b128 v[4:7], v2 offset:1648
	s_wait_loadcnt_dscnt 0xb01
	v_mul_f64_e32 v[202:203], v[194:195], v[18:19]
	v_mul_f64_e32 v[18:19], v[196:197], v[18:19]
	scratch_load_b128 v[12:15], off, off offset:784
	v_add_f64_e32 v[198:199], v[198:199], v[200:201]
	v_add_f64_e32 v[208:209], v[188:189], v[186:187]
	ds_load_b128 v[186:189], v2 offset:1664
	s_wait_loadcnt_dscnt 0xb01
	v_mul_f64_e32 v[200:201], v[4:5], v[22:23]
	v_mul_f64_e32 v[22:23], v[6:7], v[22:23]
	v_fmac_f64_e32 v[202:203], v[196:197], v[16:17]
	v_fma_f64 v[194:195], v[194:195], v[16:17], -v[18:19]
	scratch_load_b128 v[16:19], off, off offset:800
	v_add_f64_e32 v[198:199], v[198:199], v[204:205]
	v_add_f64_e32 v[196:197], v[208:209], v[206:207]
	v_fmac_f64_e32 v[200:201], v[6:7], v[20:21]
	v_fma_f64 v[206:207], v[4:5], v[20:21], -v[22:23]
	ds_load_b128 v[4:7], v2 offset:1680
	s_wait_loadcnt_dscnt 0xb01
	v_mul_f64_e32 v[204:205], v[186:187], v[26:27]
	v_mul_f64_e32 v[26:27], v[188:189], v[26:27]
	scratch_load_b128 v[20:23], off, off offset:816
	v_add_f64_e32 v[198:199], v[198:199], v[202:203]
	s_wait_loadcnt_dscnt 0xb00
	v_mul_f64_e32 v[202:203], v[4:5], v[30:31]
	v_add_f64_e32 v[208:209], v[196:197], v[194:195]
	v_mul_f64_e32 v[30:31], v[6:7], v[30:31]
	ds_load_b128 v[194:197], v2 offset:1696
	v_fmac_f64_e32 v[204:205], v[188:189], v[24:25]
	v_fma_f64 v[186:187], v[186:187], v[24:25], -v[26:27]
	scratch_load_b128 v[24:27], off, off offset:832
	v_add_f64_e32 v[198:199], v[198:199], v[200:201]
	v_fmac_f64_e32 v[202:203], v[6:7], v[28:29]
	v_add_f64_e32 v[188:189], v[208:209], v[206:207]
	v_fma_f64 v[206:207], v[4:5], v[28:29], -v[30:31]
	ds_load_b128 v[4:7], v2 offset:1712
	s_wait_loadcnt_dscnt 0xb01
	v_mul_f64_e32 v[200:201], v[194:195], v[164:165]
	v_mul_f64_e32 v[164:165], v[196:197], v[164:165]
	scratch_load_b128 v[28:31], off, off offset:848
	v_add_f64_e32 v[198:199], v[198:199], v[204:205]
	s_wait_loadcnt_dscnt 0xb00
	v_mul_f64_e32 v[204:205], v[4:5], v[168:169]
	v_add_f64_e32 v[208:209], v[188:189], v[186:187]
	v_mul_f64_e32 v[168:169], v[6:7], v[168:169]
	ds_load_b128 v[186:189], v2 offset:1728
	v_fmac_f64_e32 v[200:201], v[196:197], v[162:163]
	v_fma_f64 v[194:195], v[194:195], v[162:163], -v[164:165]
	scratch_load_b128 v[162:165], off, off offset:864
	v_add_f64_e32 v[198:199], v[198:199], v[202:203]
	v_fmac_f64_e32 v[204:205], v[6:7], v[166:167]
	v_add_f64_e32 v[196:197], v[208:209], v[206:207]
	;; [unrolled: 18-line block ×3, first 2 shown]
	v_fma_f64 v[206:207], v[4:5], v[178:179], -v[180:181]
	ds_load_b128 v[4:7], v2 offset:1776
	s_wait_loadcnt_dscnt 0xa01
	v_mul_f64_e32 v[204:205], v[194:195], v[192:193]
	v_mul_f64_e32 v[192:193], v[196:197], v[192:193]
	scratch_load_b128 v[178:181], off, off offset:912
	v_add_f64_e32 v[198:199], v[198:199], v[202:203]
	v_add_f64_e32 v[208:209], v[188:189], v[186:187]
	s_wait_loadcnt_dscnt 0xa00
	v_mul_f64_e32 v[202:203], v[4:5], v[176:177]
	v_mul_f64_e32 v[176:177], v[6:7], v[176:177]
	v_fmac_f64_e32 v[204:205], v[196:197], v[190:191]
	v_fma_f64 v[194:195], v[194:195], v[190:191], -v[192:193]
	ds_load_b128 v[186:189], v2 offset:1792
	scratch_load_b128 v[190:193], off, off offset:928
	v_add_f64_e32 v[198:199], v[198:199], v[200:201]
	v_add_f64_e32 v[196:197], v[208:209], v[206:207]
	v_fmac_f64_e32 v[202:203], v[6:7], v[174:175]
	v_fma_f64 v[206:207], v[4:5], v[174:175], -v[176:177]
	ds_load_b128 v[4:7], v2 offset:1808
	s_wait_loadcnt_dscnt 0xa01
	v_mul_f64_e32 v[200:201], v[186:187], v[10:11]
	v_mul_f64_e32 v[10:11], v[188:189], v[10:11]
	scratch_load_b128 v[174:177], off, off offset:944
	v_add_f64_e32 v[198:199], v[198:199], v[204:205]
	s_wait_loadcnt_dscnt 0xa00
	v_mul_f64_e32 v[204:205], v[4:5], v[14:15]
	v_add_f64_e32 v[208:209], v[196:197], v[194:195]
	v_mul_f64_e32 v[14:15], v[6:7], v[14:15]
	ds_load_b128 v[194:197], v2 offset:1824
	v_fmac_f64_e32 v[200:201], v[188:189], v[8:9]
	v_fma_f64 v[186:187], v[186:187], v[8:9], -v[10:11]
	scratch_load_b128 v[8:11], off, off offset:960
	v_add_f64_e32 v[198:199], v[198:199], v[202:203]
	v_fmac_f64_e32 v[204:205], v[6:7], v[12:13]
	v_add_f64_e32 v[188:189], v[208:209], v[206:207]
	v_fma_f64 v[206:207], v[4:5], v[12:13], -v[14:15]
	ds_load_b128 v[4:7], v2 offset:1840
	s_wait_loadcnt_dscnt 0xa01
	v_mul_f64_e32 v[202:203], v[194:195], v[18:19]
	v_mul_f64_e32 v[18:19], v[196:197], v[18:19]
	scratch_load_b128 v[12:15], off, off offset:976
	v_add_f64_e32 v[198:199], v[198:199], v[200:201]
	s_wait_loadcnt_dscnt 0xa00
	v_mul_f64_e32 v[200:201], v[4:5], v[22:23]
	v_add_f64_e32 v[208:209], v[188:189], v[186:187]
	v_mul_f64_e32 v[22:23], v[6:7], v[22:23]
	ds_load_b128 v[186:189], v2 offset:1856
	v_fmac_f64_e32 v[202:203], v[196:197], v[16:17]
	v_fma_f64 v[194:195], v[194:195], v[16:17], -v[18:19]
	scratch_load_b128 v[16:19], off, off offset:992
	v_add_f64_e32 v[198:199], v[198:199], v[204:205]
	v_fmac_f64_e32 v[200:201], v[6:7], v[20:21]
	v_add_f64_e32 v[196:197], v[208:209], v[206:207]
	v_fma_f64 v[206:207], v[4:5], v[20:21], -v[22:23]
	ds_load_b128 v[4:7], v2 offset:1872
	s_wait_loadcnt_dscnt 0xa01
	v_mul_f64_e32 v[204:205], v[186:187], v[26:27]
	v_mul_f64_e32 v[26:27], v[188:189], v[26:27]
	scratch_load_b128 v[20:23], off, off offset:1008
	v_add_f64_e32 v[198:199], v[198:199], v[202:203]
	s_wait_loadcnt_dscnt 0xa00
	v_mul_f64_e32 v[202:203], v[4:5], v[30:31]
	v_add_f64_e32 v[208:209], v[196:197], v[194:195]
	v_mul_f64_e32 v[30:31], v[6:7], v[30:31]
	ds_load_b128 v[194:197], v2 offset:1888
	v_fmac_f64_e32 v[204:205], v[188:189], v[24:25]
	v_fma_f64 v[24:25], v[186:187], v[24:25], -v[26:27]
	s_wait_loadcnt_dscnt 0x900
	v_mul_f64_e32 v[188:189], v[194:195], v[164:165]
	v_mul_f64_e32 v[164:165], v[196:197], v[164:165]
	v_add_f64_e32 v[186:187], v[198:199], v[200:201]
	v_fmac_f64_e32 v[202:203], v[6:7], v[28:29]
	v_add_f64_e32 v[26:27], v[208:209], v[206:207]
	v_fma_f64 v[28:29], v[4:5], v[28:29], -v[30:31]
	v_fmac_f64_e32 v[188:189], v[196:197], v[162:163]
	v_fma_f64 v[162:163], v[194:195], v[162:163], -v[164:165]
	v_add_f64_e32 v[186:187], v[186:187], v[204:205]
	v_add_f64_e32 v[30:31], v[26:27], v[24:25]
	ds_load_b128 v[4:7], v2 offset:1904
	ds_load_b128 v[24:27], v2 offset:1920
	s_wait_loadcnt_dscnt 0x801
	v_mul_f64_e32 v[198:199], v[4:5], v[168:169]
	v_mul_f64_e32 v[168:169], v[6:7], v[168:169]
	s_wait_loadcnt_dscnt 0x700
	v_mul_f64_e32 v[164:165], v[24:25], v[172:173]
	v_mul_f64_e32 v[172:173], v[26:27], v[172:173]
	v_add_f64_e32 v[28:29], v[30:31], v[28:29]
	v_add_f64_e32 v[30:31], v[186:187], v[202:203]
	v_fmac_f64_e32 v[198:199], v[6:7], v[166:167]
	v_fma_f64 v[166:167], v[4:5], v[166:167], -v[168:169]
	v_fmac_f64_e32 v[164:165], v[26:27], v[170:171]
	v_fma_f64 v[24:25], v[24:25], v[170:171], -v[172:173]
	v_add_f64_e32 v[162:163], v[28:29], v[162:163]
	v_add_f64_e32 v[168:169], v[30:31], v[188:189]
	ds_load_b128 v[4:7], v2 offset:1936
	ds_load_b128 v[28:31], v2 offset:1952
	s_wait_loadcnt_dscnt 0x601
	v_mul_f64_e32 v[186:187], v[4:5], v[180:181]
	v_mul_f64_e32 v[180:181], v[6:7], v[180:181]
	v_add_f64_e32 v[26:27], v[162:163], v[166:167]
	v_add_f64_e32 v[162:163], v[168:169], v[198:199]
	s_wait_loadcnt_dscnt 0x500
	v_mul_f64_e32 v[166:167], v[28:29], v[192:193]
	v_mul_f64_e32 v[168:169], v[30:31], v[192:193]
	v_fmac_f64_e32 v[186:187], v[6:7], v[178:179]
	v_fma_f64 v[170:171], v[4:5], v[178:179], -v[180:181]
	v_add_f64_e32 v[172:173], v[26:27], v[24:25]
	v_add_f64_e32 v[162:163], v[162:163], v[164:165]
	ds_load_b128 v[4:7], v2 offset:1968
	ds_load_b128 v[24:27], v2 offset:1984
	v_fmac_f64_e32 v[166:167], v[30:31], v[190:191]
	v_fma_f64 v[28:29], v[28:29], v[190:191], -v[168:169]
	s_wait_loadcnt_dscnt 0x401
	v_mul_f64_e32 v[164:165], v[4:5], v[176:177]
	v_mul_f64_e32 v[176:177], v[6:7], v[176:177]
	s_wait_loadcnt_dscnt 0x300
	v_mul_f64_e32 v[168:169], v[24:25], v[10:11]
	v_mul_f64_e32 v[10:11], v[26:27], v[10:11]
	v_add_f64_e32 v[30:31], v[172:173], v[170:171]
	v_add_f64_e32 v[162:163], v[162:163], v[186:187]
	v_fmac_f64_e32 v[164:165], v[6:7], v[174:175]
	v_fma_f64 v[170:171], v[4:5], v[174:175], -v[176:177]
	v_fmac_f64_e32 v[168:169], v[26:27], v[8:9]
	v_fma_f64 v[8:9], v[24:25], v[8:9], -v[10:11]
	v_add_f64_e32 v[172:173], v[30:31], v[28:29]
	v_add_f64_e32 v[162:163], v[162:163], v[166:167]
	ds_load_b128 v[4:7], v2 offset:2000
	ds_load_b128 v[28:31], v2 offset:2016
	s_wait_loadcnt_dscnt 0x201
	v_mul_f64_e32 v[166:167], v[4:5], v[14:15]
	v_mul_f64_e32 v[14:15], v[6:7], v[14:15]
	s_wait_loadcnt_dscnt 0x100
	v_mul_f64_e32 v[26:27], v[28:29], v[18:19]
	v_mul_f64_e32 v[18:19], v[30:31], v[18:19]
	v_add_f64_e32 v[10:11], v[172:173], v[170:171]
	v_add_f64_e32 v[24:25], v[162:163], v[164:165]
	v_fmac_f64_e32 v[166:167], v[6:7], v[12:13]
	v_fma_f64 v[12:13], v[4:5], v[12:13], -v[14:15]
	ds_load_b128 v[4:7], v2 offset:2032
	v_fmac_f64_e32 v[26:27], v[30:31], v[16:17]
	v_fma_f64 v[16:17], v[28:29], v[16:17], -v[18:19]
	v_add_f64_e32 v[8:9], v[10:11], v[8:9]
	v_add_f64_e32 v[10:11], v[24:25], v[168:169]
	s_wait_loadcnt_dscnt 0x0
	v_mul_f64_e32 v[14:15], v[4:5], v[22:23]
	v_mul_f64_e32 v[22:23], v[6:7], v[22:23]
	s_delay_alu instid0(VALU_DEP_4) | instskip(NEXT) | instid1(VALU_DEP_4)
	v_add_f64_e32 v[8:9], v[8:9], v[12:13]
	v_add_f64_e32 v[10:11], v[10:11], v[166:167]
	s_delay_alu instid0(VALU_DEP_4) | instskip(NEXT) | instid1(VALU_DEP_4)
	v_fmac_f64_e32 v[14:15], v[6:7], v[20:21]
	v_fma_f64 v[4:5], v[4:5], v[20:21], -v[22:23]
	s_delay_alu instid0(VALU_DEP_4) | instskip(NEXT) | instid1(VALU_DEP_4)
	v_add_f64_e32 v[6:7], v[8:9], v[16:17]
	v_add_f64_e32 v[8:9], v[10:11], v[26:27]
	s_delay_alu instid0(VALU_DEP_2) | instskip(NEXT) | instid1(VALU_DEP_2)
	v_add_f64_e32 v[4:5], v[6:7], v[4:5]
	v_add_f64_e32 v[6:7], v[8:9], v[14:15]
	s_delay_alu instid0(VALU_DEP_2) | instskip(NEXT) | instid1(VALU_DEP_2)
	v_add_f64_e64 v[4:5], v[182:183], -v[4:5]
	v_add_f64_e64 v[6:7], v[184:185], -v[6:7]
	scratch_store_b128 off, v[4:7], off offset:544
	s_wait_xcnt 0x0
	v_cmpx_lt_u32_e32 33, v1
	s_cbranch_execz .LBB63_343
; %bb.342:
	scratch_load_b128 v[6:9], off, s43
	v_dual_mov_b32 v3, v2 :: v_dual_mov_b32 v4, v2
	v_mov_b32_e32 v5, v2
	scratch_store_b128 off, v[2:5], off offset:528
	s_wait_loadcnt 0x0
	ds_store_b128 v160, v[6:9]
.LBB63_343:
	s_wait_xcnt 0x0
	s_or_b32 exec_lo, exec_lo, s2
	s_wait_storecnt_dscnt 0x0
	s_barrier_signal -1
	s_barrier_wait -1
	s_clause 0x9
	scratch_load_b128 v[4:7], off, off offset:544
	scratch_load_b128 v[8:11], off, off offset:560
	scratch_load_b128 v[12:15], off, off offset:576
	scratch_load_b128 v[16:19], off, off offset:592
	scratch_load_b128 v[20:23], off, off offset:608
	scratch_load_b128 v[24:27], off, off offset:624
	scratch_load_b128 v[28:31], off, off offset:640
	scratch_load_b128 v[162:165], off, off offset:656
	scratch_load_b128 v[166:169], off, off offset:672
	scratch_load_b128 v[170:173], off, off offset:688
	ds_load_b128 v[174:177], v2 offset:1568
	ds_load_b128 v[182:185], v2 offset:1584
	s_clause 0x2
	scratch_load_b128 v[178:181], off, off offset:704
	scratch_load_b128 v[186:189], off, off offset:528
	;; [unrolled: 1-line block ×3, first 2 shown]
	s_mov_b32 s2, exec_lo
	s_wait_loadcnt_dscnt 0xc01
	v_mul_f64_e32 v[194:195], v[176:177], v[6:7]
	v_mul_f64_e32 v[198:199], v[174:175], v[6:7]
	s_wait_loadcnt_dscnt 0xb00
	v_mul_f64_e32 v[200:201], v[182:183], v[10:11]
	v_mul_f64_e32 v[10:11], v[184:185], v[10:11]
	s_delay_alu instid0(VALU_DEP_4) | instskip(NEXT) | instid1(VALU_DEP_4)
	v_fma_f64 v[202:203], v[174:175], v[4:5], -v[194:195]
	v_fmac_f64_e32 v[198:199], v[176:177], v[4:5]
	ds_load_b128 v[4:7], v2 offset:1600
	ds_load_b128 v[174:177], v2 offset:1616
	scratch_load_b128 v[194:197], off, off offset:736
	v_fmac_f64_e32 v[200:201], v[184:185], v[8:9]
	v_fma_f64 v[182:183], v[182:183], v[8:9], -v[10:11]
	scratch_load_b128 v[8:11], off, off offset:752
	s_wait_loadcnt_dscnt 0xc01
	v_mul_f64_e32 v[204:205], v[4:5], v[14:15]
	v_mul_f64_e32 v[14:15], v[6:7], v[14:15]
	v_add_f64_e32 v[184:185], 0, v[202:203]
	v_add_f64_e32 v[198:199], 0, v[198:199]
	s_wait_loadcnt_dscnt 0xb00
	v_mul_f64_e32 v[202:203], v[174:175], v[18:19]
	v_mul_f64_e32 v[18:19], v[176:177], v[18:19]
	v_fmac_f64_e32 v[204:205], v[6:7], v[12:13]
	v_fma_f64 v[206:207], v[4:5], v[12:13], -v[14:15]
	ds_load_b128 v[4:7], v2 offset:1632
	ds_load_b128 v[12:15], v2 offset:1648
	v_add_f64_e32 v[208:209], v[184:185], v[182:183]
	v_add_f64_e32 v[198:199], v[198:199], v[200:201]
	scratch_load_b128 v[182:185], off, off offset:768
	v_fmac_f64_e32 v[202:203], v[176:177], v[16:17]
	v_fma_f64 v[174:175], v[174:175], v[16:17], -v[18:19]
	scratch_load_b128 v[16:19], off, off offset:784
	s_wait_loadcnt_dscnt 0xc01
	v_mul_f64_e32 v[200:201], v[4:5], v[22:23]
	v_mul_f64_e32 v[22:23], v[6:7], v[22:23]
	v_add_f64_e32 v[176:177], v[208:209], v[206:207]
	v_add_f64_e32 v[198:199], v[198:199], v[204:205]
	s_wait_loadcnt_dscnt 0xb00
	v_mul_f64_e32 v[204:205], v[12:13], v[26:27]
	v_mul_f64_e32 v[26:27], v[14:15], v[26:27]
	v_fmac_f64_e32 v[200:201], v[6:7], v[20:21]
	v_fma_f64 v[206:207], v[4:5], v[20:21], -v[22:23]
	ds_load_b128 v[4:7], v2 offset:1664
	ds_load_b128 v[20:23], v2 offset:1680
	v_add_f64_e32 v[208:209], v[176:177], v[174:175]
	v_add_f64_e32 v[198:199], v[198:199], v[202:203]
	scratch_load_b128 v[174:177], off, off offset:800
	s_wait_loadcnt_dscnt 0xb01
	v_mul_f64_e32 v[202:203], v[4:5], v[30:31]
	v_mul_f64_e32 v[30:31], v[6:7], v[30:31]
	v_fmac_f64_e32 v[204:205], v[14:15], v[24:25]
	v_fma_f64 v[24:25], v[12:13], v[24:25], -v[26:27]
	scratch_load_b128 v[12:15], off, off offset:816
	v_add_f64_e32 v[26:27], v[208:209], v[206:207]
	v_add_f64_e32 v[198:199], v[198:199], v[200:201]
	s_wait_loadcnt_dscnt 0xb00
	v_mul_f64_e32 v[200:201], v[20:21], v[164:165]
	v_mul_f64_e32 v[164:165], v[22:23], v[164:165]
	v_fmac_f64_e32 v[202:203], v[6:7], v[28:29]
	v_fma_f64 v[206:207], v[4:5], v[28:29], -v[30:31]
	v_add_f64_e32 v[208:209], v[26:27], v[24:25]
	v_add_f64_e32 v[198:199], v[198:199], v[204:205]
	ds_load_b128 v[4:7], v2 offset:1696
	ds_load_b128 v[24:27], v2 offset:1712
	scratch_load_b128 v[28:31], off, off offset:832
	v_fmac_f64_e32 v[200:201], v[22:23], v[162:163]
	v_fma_f64 v[162:163], v[20:21], v[162:163], -v[164:165]
	scratch_load_b128 v[20:23], off, off offset:848
	s_wait_loadcnt_dscnt 0xc01
	v_mul_f64_e32 v[204:205], v[4:5], v[168:169]
	v_mul_f64_e32 v[168:169], v[6:7], v[168:169]
	v_add_f64_e32 v[164:165], v[208:209], v[206:207]
	v_add_f64_e32 v[198:199], v[198:199], v[202:203]
	s_wait_loadcnt_dscnt 0xb00
	v_mul_f64_e32 v[202:203], v[24:25], v[172:173]
	v_mul_f64_e32 v[172:173], v[26:27], v[172:173]
	v_fmac_f64_e32 v[204:205], v[6:7], v[166:167]
	v_fma_f64 v[206:207], v[4:5], v[166:167], -v[168:169]
	v_add_f64_e32 v[208:209], v[164:165], v[162:163]
	v_add_f64_e32 v[198:199], v[198:199], v[200:201]
	ds_load_b128 v[4:7], v2 offset:1728
	ds_load_b128 v[162:165], v2 offset:1744
	scratch_load_b128 v[166:169], off, off offset:864
	v_fmac_f64_e32 v[202:203], v[26:27], v[170:171]
	v_fma_f64 v[170:171], v[24:25], v[170:171], -v[172:173]
	scratch_load_b128 v[24:27], off, off offset:880
	s_wait_loadcnt_dscnt 0xc01
	v_mul_f64_e32 v[200:201], v[4:5], v[180:181]
	v_mul_f64_e32 v[180:181], v[6:7], v[180:181]
	;; [unrolled: 18-line block ×5, first 2 shown]
	v_add_f64_e32 v[192:193], v[208:209], v[206:207]
	v_add_f64_e32 v[198:199], v[198:199], v[204:205]
	s_wait_loadcnt_dscnt 0xa00
	v_mul_f64_e32 v[204:205], v[170:171], v[14:15]
	v_mul_f64_e32 v[14:15], v[172:173], v[14:15]
	v_fmac_f64_e32 v[200:201], v[6:7], v[174:175]
	v_fma_f64 v[206:207], v[4:5], v[174:175], -v[176:177]
	ds_load_b128 v[4:7], v2 offset:1856
	ds_load_b128 v[174:177], v2 offset:1872
	v_add_f64_e32 v[208:209], v[192:193], v[190:191]
	v_add_f64_e32 v[198:199], v[198:199], v[202:203]
	scratch_load_b128 v[190:193], off, off offset:992
	v_fmac_f64_e32 v[204:205], v[172:173], v[12:13]
	v_fma_f64 v[170:171], v[170:171], v[12:13], -v[14:15]
	scratch_load_b128 v[12:15], off, off offset:1008
	s_wait_loadcnt_dscnt 0xb01
	v_mul_f64_e32 v[202:203], v[4:5], v[30:31]
	v_mul_f64_e32 v[30:31], v[6:7], v[30:31]
	v_add_f64_e32 v[172:173], v[208:209], v[206:207]
	v_add_f64_e32 v[198:199], v[198:199], v[200:201]
	s_wait_loadcnt_dscnt 0xa00
	v_mul_f64_e32 v[200:201], v[174:175], v[22:23]
	v_mul_f64_e32 v[22:23], v[176:177], v[22:23]
	v_fmac_f64_e32 v[202:203], v[6:7], v[28:29]
	v_fma_f64 v[206:207], v[4:5], v[28:29], -v[30:31]
	ds_load_b128 v[4:7], v2 offset:1888
	ds_load_b128 v[28:31], v2 offset:1904
	v_add_f64_e32 v[170:171], v[172:173], v[170:171]
	v_add_f64_e32 v[172:173], v[198:199], v[204:205]
	v_fmac_f64_e32 v[200:201], v[176:177], v[20:21]
	s_wait_loadcnt_dscnt 0x901
	v_mul_f64_e32 v[198:199], v[4:5], v[168:169]
	v_mul_f64_e32 v[168:169], v[6:7], v[168:169]
	v_fma_f64 v[20:21], v[174:175], v[20:21], -v[22:23]
	v_add_f64_e32 v[22:23], v[170:171], v[206:207]
	v_add_f64_e32 v[170:171], v[172:173], v[202:203]
	s_wait_loadcnt_dscnt 0x800
	v_mul_f64_e32 v[172:173], v[28:29], v[26:27]
	v_mul_f64_e32 v[26:27], v[30:31], v[26:27]
	v_fmac_f64_e32 v[198:199], v[6:7], v[166:167]
	v_fma_f64 v[166:167], v[4:5], v[166:167], -v[168:169]
	v_add_f64_e32 v[168:169], v[22:23], v[20:21]
	v_add_f64_e32 v[170:171], v[170:171], v[200:201]
	ds_load_b128 v[4:7], v2 offset:1920
	ds_load_b128 v[20:23], v2 offset:1936
	v_fmac_f64_e32 v[172:173], v[30:31], v[24:25]
	v_fma_f64 v[24:25], v[28:29], v[24:25], -v[26:27]
	s_wait_loadcnt_dscnt 0x701
	v_mul_f64_e32 v[174:175], v[4:5], v[180:181]
	v_mul_f64_e32 v[176:177], v[6:7], v[180:181]
	s_wait_loadcnt_dscnt 0x600
	v_mul_f64_e32 v[30:31], v[20:21], v[164:165]
	v_mul_f64_e32 v[164:165], v[22:23], v[164:165]
	v_add_f64_e32 v[26:27], v[168:169], v[166:167]
	v_add_f64_e32 v[28:29], v[170:171], v[198:199]
	v_fmac_f64_e32 v[174:175], v[6:7], v[178:179]
	v_fma_f64 v[166:167], v[4:5], v[178:179], -v[176:177]
	v_fmac_f64_e32 v[30:31], v[22:23], v[162:163]
	v_fma_f64 v[20:21], v[20:21], v[162:163], -v[164:165]
	v_add_f64_e32 v[168:169], v[26:27], v[24:25]
	v_add_f64_e32 v[28:29], v[28:29], v[172:173]
	ds_load_b128 v[4:7], v2 offset:1952
	ds_load_b128 v[24:27], v2 offset:1968
	s_wait_loadcnt_dscnt 0x501
	v_mul_f64_e32 v[170:171], v[4:5], v[196:197]
	v_mul_f64_e32 v[172:173], v[6:7], v[196:197]
	s_wait_loadcnt_dscnt 0x400
	v_mul_f64_e32 v[162:163], v[24:25], v[10:11]
	v_mul_f64_e32 v[10:11], v[26:27], v[10:11]
	v_add_f64_e32 v[22:23], v[168:169], v[166:167]
	v_add_f64_e32 v[28:29], v[28:29], v[174:175]
	v_fmac_f64_e32 v[170:171], v[6:7], v[194:195]
	v_fma_f64 v[164:165], v[4:5], v[194:195], -v[172:173]
	v_fmac_f64_e32 v[162:163], v[26:27], v[8:9]
	v_fma_f64 v[8:9], v[24:25], v[8:9], -v[10:11]
	v_add_f64_e32 v[166:167], v[22:23], v[20:21]
	v_add_f64_e32 v[28:29], v[28:29], v[30:31]
	ds_load_b128 v[4:7], v2 offset:1984
	ds_load_b128 v[20:23], v2 offset:2000
	;; [unrolled: 16-line block ×3, first 2 shown]
	s_wait_loadcnt_dscnt 0x101
	v_mul_f64_e32 v[2:3], v[4:5], v[192:193]
	v_mul_f64_e32 v[162:163], v[6:7], v[192:193]
	s_wait_loadcnt_dscnt 0x0
	v_mul_f64_e32 v[22:23], v[8:9], v[14:15]
	v_mul_f64_e32 v[14:15], v[10:11], v[14:15]
	v_add_f64_e32 v[18:19], v[164:165], v[28:29]
	v_add_f64_e32 v[20:21], v[24:25], v[30:31]
	v_fmac_f64_e32 v[2:3], v[6:7], v[190:191]
	v_fma_f64 v[4:5], v[4:5], v[190:191], -v[162:163]
	v_fmac_f64_e32 v[22:23], v[10:11], v[12:13]
	v_fma_f64 v[8:9], v[8:9], v[12:13], -v[14:15]
	v_add_f64_e32 v[6:7], v[18:19], v[16:17]
	v_add_f64_e32 v[16:17], v[20:21], v[26:27]
	s_delay_alu instid0(VALU_DEP_2) | instskip(NEXT) | instid1(VALU_DEP_2)
	v_add_f64_e32 v[4:5], v[6:7], v[4:5]
	v_add_f64_e32 v[2:3], v[16:17], v[2:3]
	s_delay_alu instid0(VALU_DEP_2) | instskip(NEXT) | instid1(VALU_DEP_2)
	;; [unrolled: 3-line block ×3, first 2 shown]
	v_add_f64_e64 v[2:3], v[186:187], -v[4:5]
	v_add_f64_e64 v[4:5], v[188:189], -v[6:7]
	scratch_store_b128 off, v[2:5], off offset:528
	s_wait_xcnt 0x0
	v_cmpx_lt_u32_e32 32, v1
	s_cbranch_execz .LBB63_345
; %bb.344:
	scratch_load_b128 v[2:5], off, s46
	v_mov_b32_e32 v6, 0
	s_delay_alu instid0(VALU_DEP_1)
	v_dual_mov_b32 v7, v6 :: v_dual_mov_b32 v8, v6
	v_mov_b32_e32 v9, v6
	scratch_store_b128 off, v[6:9], off offset:512
	s_wait_loadcnt 0x0
	ds_store_b128 v160, v[2:5]
.LBB63_345:
	s_wait_xcnt 0x0
	s_or_b32 exec_lo, exec_lo, s2
	s_wait_storecnt_dscnt 0x0
	s_barrier_signal -1
	s_barrier_wait -1
	s_clause 0x9
	scratch_load_b128 v[4:7], off, off offset:528
	scratch_load_b128 v[8:11], off, off offset:544
	;; [unrolled: 1-line block ×10, first 2 shown]
	v_mov_b32_e32 v2, 0
	s_mov_b32 s2, exec_lo
	ds_load_b128 v[174:177], v2 offset:1552
	s_clause 0x2
	scratch_load_b128 v[178:181], off, off offset:688
	scratch_load_b128 v[182:185], off, off offset:512
	;; [unrolled: 1-line block ×3, first 2 shown]
	s_wait_loadcnt_dscnt 0xc00
	v_mul_f64_e32 v[194:195], v[176:177], v[6:7]
	v_mul_f64_e32 v[198:199], v[174:175], v[6:7]
	ds_load_b128 v[186:189], v2 offset:1568
	v_fma_f64 v[202:203], v[174:175], v[4:5], -v[194:195]
	v_fmac_f64_e32 v[198:199], v[176:177], v[4:5]
	ds_load_b128 v[4:7], v2 offset:1584
	s_wait_loadcnt_dscnt 0xb01
	v_mul_f64_e32 v[200:201], v[186:187], v[10:11]
	v_mul_f64_e32 v[10:11], v[188:189], v[10:11]
	scratch_load_b128 v[174:177], off, off offset:720
	ds_load_b128 v[194:197], v2 offset:1600
	s_wait_loadcnt_dscnt 0xb01
	v_mul_f64_e32 v[204:205], v[4:5], v[14:15]
	v_mul_f64_e32 v[14:15], v[6:7], v[14:15]
	v_add_f64_e32 v[198:199], 0, v[198:199]
	v_fmac_f64_e32 v[200:201], v[188:189], v[8:9]
	v_fma_f64 v[186:187], v[186:187], v[8:9], -v[10:11]
	v_add_f64_e32 v[188:189], 0, v[202:203]
	scratch_load_b128 v[8:11], off, off offset:736
	v_fmac_f64_e32 v[204:205], v[6:7], v[12:13]
	v_fma_f64 v[206:207], v[4:5], v[12:13], -v[14:15]
	ds_load_b128 v[4:7], v2 offset:1616
	s_wait_loadcnt_dscnt 0xb01
	v_mul_f64_e32 v[202:203], v[194:195], v[18:19]
	v_mul_f64_e32 v[18:19], v[196:197], v[18:19]
	scratch_load_b128 v[12:15], off, off offset:752
	v_add_f64_e32 v[198:199], v[198:199], v[200:201]
	v_add_f64_e32 v[208:209], v[188:189], v[186:187]
	ds_load_b128 v[186:189], v2 offset:1632
	s_wait_loadcnt_dscnt 0xb01
	v_mul_f64_e32 v[200:201], v[4:5], v[22:23]
	v_mul_f64_e32 v[22:23], v[6:7], v[22:23]
	v_fmac_f64_e32 v[202:203], v[196:197], v[16:17]
	v_fma_f64 v[194:195], v[194:195], v[16:17], -v[18:19]
	scratch_load_b128 v[16:19], off, off offset:768
	v_add_f64_e32 v[198:199], v[198:199], v[204:205]
	v_add_f64_e32 v[196:197], v[208:209], v[206:207]
	v_fmac_f64_e32 v[200:201], v[6:7], v[20:21]
	v_fma_f64 v[206:207], v[4:5], v[20:21], -v[22:23]
	ds_load_b128 v[4:7], v2 offset:1648
	s_wait_loadcnt_dscnt 0xb01
	v_mul_f64_e32 v[204:205], v[186:187], v[26:27]
	v_mul_f64_e32 v[26:27], v[188:189], v[26:27]
	scratch_load_b128 v[20:23], off, off offset:784
	v_add_f64_e32 v[198:199], v[198:199], v[202:203]
	s_wait_loadcnt_dscnt 0xb00
	v_mul_f64_e32 v[202:203], v[4:5], v[30:31]
	v_add_f64_e32 v[208:209], v[196:197], v[194:195]
	v_mul_f64_e32 v[30:31], v[6:7], v[30:31]
	ds_load_b128 v[194:197], v2 offset:1664
	v_fmac_f64_e32 v[204:205], v[188:189], v[24:25]
	v_fma_f64 v[186:187], v[186:187], v[24:25], -v[26:27]
	scratch_load_b128 v[24:27], off, off offset:800
	v_add_f64_e32 v[198:199], v[198:199], v[200:201]
	v_fmac_f64_e32 v[202:203], v[6:7], v[28:29]
	v_add_f64_e32 v[188:189], v[208:209], v[206:207]
	v_fma_f64 v[206:207], v[4:5], v[28:29], -v[30:31]
	ds_load_b128 v[4:7], v2 offset:1680
	s_wait_loadcnt_dscnt 0xb01
	v_mul_f64_e32 v[200:201], v[194:195], v[164:165]
	v_mul_f64_e32 v[164:165], v[196:197], v[164:165]
	scratch_load_b128 v[28:31], off, off offset:816
	v_add_f64_e32 v[198:199], v[198:199], v[204:205]
	s_wait_loadcnt_dscnt 0xb00
	v_mul_f64_e32 v[204:205], v[4:5], v[168:169]
	v_add_f64_e32 v[208:209], v[188:189], v[186:187]
	v_mul_f64_e32 v[168:169], v[6:7], v[168:169]
	ds_load_b128 v[186:189], v2 offset:1696
	v_fmac_f64_e32 v[200:201], v[196:197], v[162:163]
	v_fma_f64 v[194:195], v[194:195], v[162:163], -v[164:165]
	scratch_load_b128 v[162:165], off, off offset:832
	v_add_f64_e32 v[198:199], v[198:199], v[202:203]
	v_fmac_f64_e32 v[204:205], v[6:7], v[166:167]
	v_add_f64_e32 v[196:197], v[208:209], v[206:207]
	;; [unrolled: 18-line block ×3, first 2 shown]
	v_fma_f64 v[206:207], v[4:5], v[178:179], -v[180:181]
	ds_load_b128 v[4:7], v2 offset:1744
	s_wait_loadcnt_dscnt 0xa01
	v_mul_f64_e32 v[204:205], v[194:195], v[192:193]
	v_mul_f64_e32 v[192:193], v[196:197], v[192:193]
	scratch_load_b128 v[178:181], off, off offset:880
	v_add_f64_e32 v[198:199], v[198:199], v[202:203]
	v_add_f64_e32 v[208:209], v[188:189], v[186:187]
	s_wait_loadcnt_dscnt 0xa00
	v_mul_f64_e32 v[202:203], v[4:5], v[176:177]
	v_mul_f64_e32 v[176:177], v[6:7], v[176:177]
	v_fmac_f64_e32 v[204:205], v[196:197], v[190:191]
	v_fma_f64 v[194:195], v[194:195], v[190:191], -v[192:193]
	ds_load_b128 v[186:189], v2 offset:1760
	scratch_load_b128 v[190:193], off, off offset:896
	v_add_f64_e32 v[198:199], v[198:199], v[200:201]
	v_add_f64_e32 v[196:197], v[208:209], v[206:207]
	v_fmac_f64_e32 v[202:203], v[6:7], v[174:175]
	v_fma_f64 v[206:207], v[4:5], v[174:175], -v[176:177]
	ds_load_b128 v[4:7], v2 offset:1776
	s_wait_loadcnt_dscnt 0xa01
	v_mul_f64_e32 v[200:201], v[186:187], v[10:11]
	v_mul_f64_e32 v[10:11], v[188:189], v[10:11]
	scratch_load_b128 v[174:177], off, off offset:912
	v_add_f64_e32 v[198:199], v[198:199], v[204:205]
	s_wait_loadcnt_dscnt 0xa00
	v_mul_f64_e32 v[204:205], v[4:5], v[14:15]
	v_add_f64_e32 v[208:209], v[196:197], v[194:195]
	v_mul_f64_e32 v[14:15], v[6:7], v[14:15]
	ds_load_b128 v[194:197], v2 offset:1792
	v_fmac_f64_e32 v[200:201], v[188:189], v[8:9]
	v_fma_f64 v[186:187], v[186:187], v[8:9], -v[10:11]
	scratch_load_b128 v[8:11], off, off offset:928
	v_add_f64_e32 v[198:199], v[198:199], v[202:203]
	v_fmac_f64_e32 v[204:205], v[6:7], v[12:13]
	v_add_f64_e32 v[188:189], v[208:209], v[206:207]
	v_fma_f64 v[206:207], v[4:5], v[12:13], -v[14:15]
	ds_load_b128 v[4:7], v2 offset:1808
	s_wait_loadcnt_dscnt 0xa01
	v_mul_f64_e32 v[202:203], v[194:195], v[18:19]
	v_mul_f64_e32 v[18:19], v[196:197], v[18:19]
	scratch_load_b128 v[12:15], off, off offset:944
	v_add_f64_e32 v[198:199], v[198:199], v[200:201]
	s_wait_loadcnt_dscnt 0xa00
	v_mul_f64_e32 v[200:201], v[4:5], v[22:23]
	v_add_f64_e32 v[208:209], v[188:189], v[186:187]
	v_mul_f64_e32 v[22:23], v[6:7], v[22:23]
	ds_load_b128 v[186:189], v2 offset:1824
	v_fmac_f64_e32 v[202:203], v[196:197], v[16:17]
	v_fma_f64 v[194:195], v[194:195], v[16:17], -v[18:19]
	scratch_load_b128 v[16:19], off, off offset:960
	v_add_f64_e32 v[198:199], v[198:199], v[204:205]
	v_fmac_f64_e32 v[200:201], v[6:7], v[20:21]
	v_add_f64_e32 v[196:197], v[208:209], v[206:207]
	;; [unrolled: 18-line block ×3, first 2 shown]
	v_fma_f64 v[206:207], v[4:5], v[28:29], -v[30:31]
	ds_load_b128 v[4:7], v2 offset:1872
	s_wait_loadcnt_dscnt 0xa01
	v_mul_f64_e32 v[200:201], v[194:195], v[164:165]
	v_mul_f64_e32 v[164:165], v[196:197], v[164:165]
	scratch_load_b128 v[28:31], off, off offset:1008
	v_add_f64_e32 v[198:199], v[198:199], v[204:205]
	s_wait_loadcnt_dscnt 0xa00
	v_mul_f64_e32 v[204:205], v[4:5], v[168:169]
	v_add_f64_e32 v[208:209], v[188:189], v[186:187]
	v_mul_f64_e32 v[168:169], v[6:7], v[168:169]
	ds_load_b128 v[186:189], v2 offset:1888
	v_fmac_f64_e32 v[200:201], v[196:197], v[162:163]
	v_fma_f64 v[162:163], v[194:195], v[162:163], -v[164:165]
	s_wait_loadcnt_dscnt 0x900
	v_mul_f64_e32 v[196:197], v[186:187], v[172:173]
	v_mul_f64_e32 v[172:173], v[188:189], v[172:173]
	v_add_f64_e32 v[194:195], v[198:199], v[202:203]
	v_fmac_f64_e32 v[204:205], v[6:7], v[166:167]
	v_add_f64_e32 v[164:165], v[208:209], v[206:207]
	v_fma_f64 v[166:167], v[4:5], v[166:167], -v[168:169]
	v_fmac_f64_e32 v[196:197], v[188:189], v[170:171]
	v_fma_f64 v[170:171], v[186:187], v[170:171], -v[172:173]
	v_add_f64_e32 v[194:195], v[194:195], v[200:201]
	v_add_f64_e32 v[168:169], v[164:165], v[162:163]
	ds_load_b128 v[4:7], v2 offset:1904
	ds_load_b128 v[162:165], v2 offset:1920
	s_wait_loadcnt_dscnt 0x801
	v_mul_f64_e32 v[198:199], v[4:5], v[180:181]
	v_mul_f64_e32 v[180:181], v[6:7], v[180:181]
	s_wait_loadcnt_dscnt 0x700
	v_mul_f64_e32 v[172:173], v[162:163], v[192:193]
	v_mul_f64_e32 v[186:187], v[164:165], v[192:193]
	v_add_f64_e32 v[166:167], v[168:169], v[166:167]
	v_add_f64_e32 v[168:169], v[194:195], v[204:205]
	v_fmac_f64_e32 v[198:199], v[6:7], v[178:179]
	v_fma_f64 v[178:179], v[4:5], v[178:179], -v[180:181]
	v_fmac_f64_e32 v[172:173], v[164:165], v[190:191]
	v_fma_f64 v[162:163], v[162:163], v[190:191], -v[186:187]
	v_add_f64_e32 v[170:171], v[166:167], v[170:171]
	v_add_f64_e32 v[180:181], v[168:169], v[196:197]
	ds_load_b128 v[4:7], v2 offset:1936
	ds_load_b128 v[166:169], v2 offset:1952
	s_wait_loadcnt_dscnt 0x601
	v_mul_f64_e32 v[188:189], v[4:5], v[176:177]
	v_mul_f64_e32 v[176:177], v[6:7], v[176:177]
	v_add_f64_e32 v[164:165], v[170:171], v[178:179]
	v_add_f64_e32 v[170:171], v[180:181], v[198:199]
	s_wait_loadcnt_dscnt 0x500
	v_mul_f64_e32 v[178:179], v[166:167], v[10:11]
	v_mul_f64_e32 v[10:11], v[168:169], v[10:11]
	v_fmac_f64_e32 v[188:189], v[6:7], v[174:175]
	v_fma_f64 v[174:175], v[4:5], v[174:175], -v[176:177]
	v_add_f64_e32 v[176:177], v[164:165], v[162:163]
	v_add_f64_e32 v[170:171], v[170:171], v[172:173]
	ds_load_b128 v[4:7], v2 offset:1968
	ds_load_b128 v[162:165], v2 offset:1984
	v_fmac_f64_e32 v[178:179], v[168:169], v[8:9]
	v_fma_f64 v[8:9], v[166:167], v[8:9], -v[10:11]
	s_wait_loadcnt_dscnt 0x401
	v_mul_f64_e32 v[172:173], v[4:5], v[14:15]
	v_mul_f64_e32 v[14:15], v[6:7], v[14:15]
	s_wait_loadcnt_dscnt 0x300
	v_mul_f64_e32 v[168:169], v[162:163], v[18:19]
	v_mul_f64_e32 v[18:19], v[164:165], v[18:19]
	v_add_f64_e32 v[10:11], v[176:177], v[174:175]
	v_add_f64_e32 v[166:167], v[170:171], v[188:189]
	v_fmac_f64_e32 v[172:173], v[6:7], v[12:13]
	v_fma_f64 v[12:13], v[4:5], v[12:13], -v[14:15]
	v_fmac_f64_e32 v[168:169], v[164:165], v[16:17]
	v_fma_f64 v[16:17], v[162:163], v[16:17], -v[18:19]
	v_add_f64_e32 v[14:15], v[10:11], v[8:9]
	v_add_f64_e32 v[166:167], v[166:167], v[178:179]
	ds_load_b128 v[4:7], v2 offset:2000
	ds_load_b128 v[8:11], v2 offset:2016
	s_wait_loadcnt_dscnt 0x201
	v_mul_f64_e32 v[170:171], v[4:5], v[22:23]
	v_mul_f64_e32 v[22:23], v[6:7], v[22:23]
	s_wait_loadcnt_dscnt 0x100
	v_mul_f64_e32 v[18:19], v[8:9], v[26:27]
	v_mul_f64_e32 v[26:27], v[10:11], v[26:27]
	v_add_f64_e32 v[12:13], v[14:15], v[12:13]
	v_add_f64_e32 v[14:15], v[166:167], v[172:173]
	v_fmac_f64_e32 v[170:171], v[6:7], v[20:21]
	v_fma_f64 v[20:21], v[4:5], v[20:21], -v[22:23]
	ds_load_b128 v[4:7], v2 offset:2032
	v_fmac_f64_e32 v[18:19], v[10:11], v[24:25]
	v_fma_f64 v[8:9], v[8:9], v[24:25], -v[26:27]
	v_add_f64_e32 v[12:13], v[12:13], v[16:17]
	v_add_f64_e32 v[14:15], v[14:15], v[168:169]
	s_wait_loadcnt_dscnt 0x0
	v_mul_f64_e32 v[16:17], v[4:5], v[30:31]
	v_mul_f64_e32 v[22:23], v[6:7], v[30:31]
	s_delay_alu instid0(VALU_DEP_4) | instskip(NEXT) | instid1(VALU_DEP_4)
	v_add_f64_e32 v[10:11], v[12:13], v[20:21]
	v_add_f64_e32 v[12:13], v[14:15], v[170:171]
	s_delay_alu instid0(VALU_DEP_4) | instskip(NEXT) | instid1(VALU_DEP_4)
	v_fmac_f64_e32 v[16:17], v[6:7], v[28:29]
	v_fma_f64 v[4:5], v[4:5], v[28:29], -v[22:23]
	s_delay_alu instid0(VALU_DEP_4) | instskip(NEXT) | instid1(VALU_DEP_4)
	v_add_f64_e32 v[6:7], v[10:11], v[8:9]
	v_add_f64_e32 v[8:9], v[12:13], v[18:19]
	s_delay_alu instid0(VALU_DEP_2) | instskip(NEXT) | instid1(VALU_DEP_2)
	v_add_f64_e32 v[4:5], v[6:7], v[4:5]
	v_add_f64_e32 v[6:7], v[8:9], v[16:17]
	s_delay_alu instid0(VALU_DEP_2) | instskip(NEXT) | instid1(VALU_DEP_2)
	v_add_f64_e64 v[4:5], v[182:183], -v[4:5]
	v_add_f64_e64 v[6:7], v[184:185], -v[6:7]
	scratch_store_b128 off, v[4:7], off offset:512
	s_wait_xcnt 0x0
	v_cmpx_lt_u32_e32 31, v1
	s_cbranch_execz .LBB63_347
; %bb.346:
	scratch_load_b128 v[6:9], off, s45
	v_dual_mov_b32 v3, v2 :: v_dual_mov_b32 v4, v2
	v_mov_b32_e32 v5, v2
	scratch_store_b128 off, v[2:5], off offset:496
	s_wait_loadcnt 0x0
	ds_store_b128 v160, v[6:9]
.LBB63_347:
	s_wait_xcnt 0x0
	s_or_b32 exec_lo, exec_lo, s2
	s_wait_storecnt_dscnt 0x0
	s_barrier_signal -1
	s_barrier_wait -1
	s_clause 0x9
	scratch_load_b128 v[4:7], off, off offset:512
	scratch_load_b128 v[8:11], off, off offset:528
	;; [unrolled: 1-line block ×10, first 2 shown]
	ds_load_b128 v[174:177], v2 offset:1536
	ds_load_b128 v[182:185], v2 offset:1552
	s_clause 0x2
	scratch_load_b128 v[178:181], off, off offset:672
	scratch_load_b128 v[186:189], off, off offset:496
	;; [unrolled: 1-line block ×3, first 2 shown]
	s_mov_b32 s2, exec_lo
	s_wait_loadcnt_dscnt 0xc01
	v_mul_f64_e32 v[194:195], v[176:177], v[6:7]
	v_mul_f64_e32 v[198:199], v[174:175], v[6:7]
	s_wait_loadcnt_dscnt 0xb00
	v_mul_f64_e32 v[200:201], v[182:183], v[10:11]
	v_mul_f64_e32 v[10:11], v[184:185], v[10:11]
	s_delay_alu instid0(VALU_DEP_4) | instskip(NEXT) | instid1(VALU_DEP_4)
	v_fma_f64 v[202:203], v[174:175], v[4:5], -v[194:195]
	v_fmac_f64_e32 v[198:199], v[176:177], v[4:5]
	ds_load_b128 v[4:7], v2 offset:1568
	ds_load_b128 v[174:177], v2 offset:1584
	scratch_load_b128 v[194:197], off, off offset:704
	v_fmac_f64_e32 v[200:201], v[184:185], v[8:9]
	v_fma_f64 v[182:183], v[182:183], v[8:9], -v[10:11]
	scratch_load_b128 v[8:11], off, off offset:720
	s_wait_loadcnt_dscnt 0xc01
	v_mul_f64_e32 v[204:205], v[4:5], v[14:15]
	v_mul_f64_e32 v[14:15], v[6:7], v[14:15]
	v_add_f64_e32 v[184:185], 0, v[202:203]
	v_add_f64_e32 v[198:199], 0, v[198:199]
	s_wait_loadcnt_dscnt 0xb00
	v_mul_f64_e32 v[202:203], v[174:175], v[18:19]
	v_mul_f64_e32 v[18:19], v[176:177], v[18:19]
	v_fmac_f64_e32 v[204:205], v[6:7], v[12:13]
	v_fma_f64 v[206:207], v[4:5], v[12:13], -v[14:15]
	ds_load_b128 v[4:7], v2 offset:1600
	ds_load_b128 v[12:15], v2 offset:1616
	v_add_f64_e32 v[208:209], v[184:185], v[182:183]
	v_add_f64_e32 v[198:199], v[198:199], v[200:201]
	scratch_load_b128 v[182:185], off, off offset:736
	v_fmac_f64_e32 v[202:203], v[176:177], v[16:17]
	v_fma_f64 v[174:175], v[174:175], v[16:17], -v[18:19]
	scratch_load_b128 v[16:19], off, off offset:752
	s_wait_loadcnt_dscnt 0xc01
	v_mul_f64_e32 v[200:201], v[4:5], v[22:23]
	v_mul_f64_e32 v[22:23], v[6:7], v[22:23]
	v_add_f64_e32 v[176:177], v[208:209], v[206:207]
	v_add_f64_e32 v[198:199], v[198:199], v[204:205]
	s_wait_loadcnt_dscnt 0xb00
	v_mul_f64_e32 v[204:205], v[12:13], v[26:27]
	v_mul_f64_e32 v[26:27], v[14:15], v[26:27]
	v_fmac_f64_e32 v[200:201], v[6:7], v[20:21]
	v_fma_f64 v[206:207], v[4:5], v[20:21], -v[22:23]
	ds_load_b128 v[4:7], v2 offset:1632
	ds_load_b128 v[20:23], v2 offset:1648
	v_add_f64_e32 v[208:209], v[176:177], v[174:175]
	v_add_f64_e32 v[198:199], v[198:199], v[202:203]
	scratch_load_b128 v[174:177], off, off offset:768
	s_wait_loadcnt_dscnt 0xb01
	v_mul_f64_e32 v[202:203], v[4:5], v[30:31]
	v_mul_f64_e32 v[30:31], v[6:7], v[30:31]
	v_fmac_f64_e32 v[204:205], v[14:15], v[24:25]
	v_fma_f64 v[24:25], v[12:13], v[24:25], -v[26:27]
	scratch_load_b128 v[12:15], off, off offset:784
	v_add_f64_e32 v[26:27], v[208:209], v[206:207]
	v_add_f64_e32 v[198:199], v[198:199], v[200:201]
	s_wait_loadcnt_dscnt 0xb00
	v_mul_f64_e32 v[200:201], v[20:21], v[164:165]
	v_mul_f64_e32 v[164:165], v[22:23], v[164:165]
	v_fmac_f64_e32 v[202:203], v[6:7], v[28:29]
	v_fma_f64 v[206:207], v[4:5], v[28:29], -v[30:31]
	v_add_f64_e32 v[208:209], v[26:27], v[24:25]
	v_add_f64_e32 v[198:199], v[198:199], v[204:205]
	ds_load_b128 v[4:7], v2 offset:1664
	ds_load_b128 v[24:27], v2 offset:1680
	scratch_load_b128 v[28:31], off, off offset:800
	v_fmac_f64_e32 v[200:201], v[22:23], v[162:163]
	v_fma_f64 v[162:163], v[20:21], v[162:163], -v[164:165]
	scratch_load_b128 v[20:23], off, off offset:816
	s_wait_loadcnt_dscnt 0xc01
	v_mul_f64_e32 v[204:205], v[4:5], v[168:169]
	v_mul_f64_e32 v[168:169], v[6:7], v[168:169]
	v_add_f64_e32 v[164:165], v[208:209], v[206:207]
	v_add_f64_e32 v[198:199], v[198:199], v[202:203]
	s_wait_loadcnt_dscnt 0xb00
	v_mul_f64_e32 v[202:203], v[24:25], v[172:173]
	v_mul_f64_e32 v[172:173], v[26:27], v[172:173]
	v_fmac_f64_e32 v[204:205], v[6:7], v[166:167]
	v_fma_f64 v[206:207], v[4:5], v[166:167], -v[168:169]
	v_add_f64_e32 v[208:209], v[164:165], v[162:163]
	v_add_f64_e32 v[198:199], v[198:199], v[200:201]
	ds_load_b128 v[4:7], v2 offset:1696
	ds_load_b128 v[162:165], v2 offset:1712
	scratch_load_b128 v[166:169], off, off offset:832
	v_fmac_f64_e32 v[202:203], v[26:27], v[170:171]
	v_fma_f64 v[170:171], v[24:25], v[170:171], -v[172:173]
	scratch_load_b128 v[24:27], off, off offset:848
	s_wait_loadcnt_dscnt 0xc01
	v_mul_f64_e32 v[200:201], v[4:5], v[180:181]
	v_mul_f64_e32 v[180:181], v[6:7], v[180:181]
	;; [unrolled: 18-line block ×5, first 2 shown]
	v_add_f64_e32 v[192:193], v[208:209], v[206:207]
	v_add_f64_e32 v[198:199], v[198:199], v[204:205]
	s_wait_loadcnt_dscnt 0xa00
	v_mul_f64_e32 v[204:205], v[170:171], v[14:15]
	v_mul_f64_e32 v[14:15], v[172:173], v[14:15]
	v_fmac_f64_e32 v[200:201], v[6:7], v[174:175]
	v_fma_f64 v[206:207], v[4:5], v[174:175], -v[176:177]
	ds_load_b128 v[4:7], v2 offset:1824
	ds_load_b128 v[174:177], v2 offset:1840
	v_add_f64_e32 v[208:209], v[192:193], v[190:191]
	v_add_f64_e32 v[198:199], v[198:199], v[202:203]
	scratch_load_b128 v[190:193], off, off offset:960
	v_fmac_f64_e32 v[204:205], v[172:173], v[12:13]
	v_fma_f64 v[170:171], v[170:171], v[12:13], -v[14:15]
	scratch_load_b128 v[12:15], off, off offset:976
	s_wait_loadcnt_dscnt 0xb01
	v_mul_f64_e32 v[202:203], v[4:5], v[30:31]
	v_mul_f64_e32 v[30:31], v[6:7], v[30:31]
	v_add_f64_e32 v[172:173], v[208:209], v[206:207]
	v_add_f64_e32 v[198:199], v[198:199], v[200:201]
	s_wait_loadcnt_dscnt 0xa00
	v_mul_f64_e32 v[200:201], v[174:175], v[22:23]
	v_mul_f64_e32 v[22:23], v[176:177], v[22:23]
	v_fmac_f64_e32 v[202:203], v[6:7], v[28:29]
	v_fma_f64 v[206:207], v[4:5], v[28:29], -v[30:31]
	ds_load_b128 v[4:7], v2 offset:1856
	ds_load_b128 v[28:31], v2 offset:1872
	v_add_f64_e32 v[208:209], v[172:173], v[170:171]
	v_add_f64_e32 v[198:199], v[198:199], v[204:205]
	scratch_load_b128 v[170:173], off, off offset:992
	s_wait_loadcnt_dscnt 0xa01
	v_mul_f64_e32 v[204:205], v[4:5], v[168:169]
	v_mul_f64_e32 v[168:169], v[6:7], v[168:169]
	v_fmac_f64_e32 v[200:201], v[176:177], v[20:21]
	v_fma_f64 v[174:175], v[174:175], v[20:21], -v[22:23]
	scratch_load_b128 v[20:23], off, off offset:1008
	v_add_f64_e32 v[176:177], v[208:209], v[206:207]
	v_add_f64_e32 v[198:199], v[198:199], v[202:203]
	s_wait_loadcnt_dscnt 0xa00
	v_mul_f64_e32 v[202:203], v[28:29], v[26:27]
	v_mul_f64_e32 v[26:27], v[30:31], v[26:27]
	v_fmac_f64_e32 v[204:205], v[6:7], v[166:167]
	v_fma_f64 v[206:207], v[4:5], v[166:167], -v[168:169]
	ds_load_b128 v[4:7], v2 offset:1888
	ds_load_b128 v[166:169], v2 offset:1904
	v_add_f64_e32 v[174:175], v[176:177], v[174:175]
	v_add_f64_e32 v[176:177], v[198:199], v[200:201]
	v_fmac_f64_e32 v[202:203], v[30:31], v[24:25]
	s_wait_loadcnt_dscnt 0x901
	v_mul_f64_e32 v[198:199], v[4:5], v[180:181]
	v_mul_f64_e32 v[180:181], v[6:7], v[180:181]
	v_fma_f64 v[24:25], v[28:29], v[24:25], -v[26:27]
	s_wait_loadcnt_dscnt 0x800
	v_mul_f64_e32 v[30:31], v[166:167], v[164:165]
	v_mul_f64_e32 v[164:165], v[168:169], v[164:165]
	v_add_f64_e32 v[26:27], v[174:175], v[206:207]
	v_add_f64_e32 v[28:29], v[176:177], v[204:205]
	v_fmac_f64_e32 v[198:199], v[6:7], v[178:179]
	v_fma_f64 v[174:175], v[4:5], v[178:179], -v[180:181]
	v_fmac_f64_e32 v[30:31], v[168:169], v[162:163]
	v_fma_f64 v[162:163], v[166:167], v[162:163], -v[164:165]
	v_add_f64_e32 v[176:177], v[26:27], v[24:25]
	v_add_f64_e32 v[28:29], v[28:29], v[202:203]
	ds_load_b128 v[4:7], v2 offset:1920
	ds_load_b128 v[24:27], v2 offset:1936
	s_wait_loadcnt_dscnt 0x701
	v_mul_f64_e32 v[178:179], v[4:5], v[196:197]
	v_mul_f64_e32 v[180:181], v[6:7], v[196:197]
	s_wait_loadcnt_dscnt 0x600
	v_mul_f64_e32 v[166:167], v[24:25], v[10:11]
	v_mul_f64_e32 v[10:11], v[26:27], v[10:11]
	v_add_f64_e32 v[164:165], v[176:177], v[174:175]
	v_add_f64_e32 v[28:29], v[28:29], v[198:199]
	v_fmac_f64_e32 v[178:179], v[6:7], v[194:195]
	v_fma_f64 v[168:169], v[4:5], v[194:195], -v[180:181]
	v_fmac_f64_e32 v[166:167], v[26:27], v[8:9]
	v_fma_f64 v[8:9], v[24:25], v[8:9], -v[10:11]
	v_add_f64_e32 v[162:163], v[164:165], v[162:163]
	v_add_f64_e32 v[164:165], v[28:29], v[30:31]
	ds_load_b128 v[4:7], v2 offset:1952
	ds_load_b128 v[28:31], v2 offset:1968
	s_wait_loadcnt_dscnt 0x501
	v_mul_f64_e32 v[174:175], v[4:5], v[184:185]
	v_mul_f64_e32 v[176:177], v[6:7], v[184:185]
	;; [unrolled: 16-line block ×4, first 2 shown]
	v_add_f64_e32 v[10:11], v[18:19], v[162:163]
	v_add_f64_e32 v[12:13], v[24:25], v[166:167]
	s_wait_loadcnt_dscnt 0x0
	v_mul_f64_e32 v[18:19], v[14:15], v[22:23]
	v_mul_f64_e32 v[22:23], v[16:17], v[22:23]
	v_fmac_f64_e32 v[2:3], v[6:7], v[170:171]
	v_fma_f64 v[4:5], v[4:5], v[170:171], -v[26:27]
	v_add_f64_e32 v[6:7], v[10:11], v[8:9]
	v_add_f64_e32 v[8:9], v[12:13], v[28:29]
	v_fmac_f64_e32 v[18:19], v[16:17], v[20:21]
	v_fma_f64 v[10:11], v[14:15], v[20:21], -v[22:23]
	s_delay_alu instid0(VALU_DEP_4) | instskip(NEXT) | instid1(VALU_DEP_4)
	v_add_f64_e32 v[4:5], v[6:7], v[4:5]
	v_add_f64_e32 v[2:3], v[8:9], v[2:3]
	s_delay_alu instid0(VALU_DEP_2) | instskip(NEXT) | instid1(VALU_DEP_2)
	v_add_f64_e32 v[4:5], v[4:5], v[10:11]
	v_add_f64_e32 v[6:7], v[2:3], v[18:19]
	s_delay_alu instid0(VALU_DEP_2) | instskip(NEXT) | instid1(VALU_DEP_2)
	v_add_f64_e64 v[2:3], v[186:187], -v[4:5]
	v_add_f64_e64 v[4:5], v[188:189], -v[6:7]
	scratch_store_b128 off, v[2:5], off offset:496
	s_wait_xcnt 0x0
	v_cmpx_lt_u32_e32 30, v1
	s_cbranch_execz .LBB63_349
; %bb.348:
	scratch_load_b128 v[2:5], off, s48
	v_mov_b32_e32 v6, 0
	s_delay_alu instid0(VALU_DEP_1)
	v_dual_mov_b32 v7, v6 :: v_dual_mov_b32 v8, v6
	v_mov_b32_e32 v9, v6
	scratch_store_b128 off, v[6:9], off offset:480
	s_wait_loadcnt 0x0
	ds_store_b128 v160, v[2:5]
.LBB63_349:
	s_wait_xcnt 0x0
	s_or_b32 exec_lo, exec_lo, s2
	s_wait_storecnt_dscnt 0x0
	s_barrier_signal -1
	s_barrier_wait -1
	s_clause 0x9
	scratch_load_b128 v[4:7], off, off offset:496
	scratch_load_b128 v[8:11], off, off offset:512
	;; [unrolled: 1-line block ×10, first 2 shown]
	v_mov_b32_e32 v2, 0
	s_mov_b32 s2, exec_lo
	ds_load_b128 v[174:177], v2 offset:1520
	s_clause 0x2
	scratch_load_b128 v[178:181], off, off offset:656
	scratch_load_b128 v[182:185], off, off offset:480
	;; [unrolled: 1-line block ×3, first 2 shown]
	s_wait_loadcnt_dscnt 0xc00
	v_mul_f64_e32 v[194:195], v[176:177], v[6:7]
	v_mul_f64_e32 v[198:199], v[174:175], v[6:7]
	ds_load_b128 v[186:189], v2 offset:1536
	v_fma_f64 v[202:203], v[174:175], v[4:5], -v[194:195]
	v_fmac_f64_e32 v[198:199], v[176:177], v[4:5]
	ds_load_b128 v[4:7], v2 offset:1552
	s_wait_loadcnt_dscnt 0xb01
	v_mul_f64_e32 v[200:201], v[186:187], v[10:11]
	v_mul_f64_e32 v[10:11], v[188:189], v[10:11]
	scratch_load_b128 v[174:177], off, off offset:688
	ds_load_b128 v[194:197], v2 offset:1568
	s_wait_loadcnt_dscnt 0xb01
	v_mul_f64_e32 v[204:205], v[4:5], v[14:15]
	v_mul_f64_e32 v[14:15], v[6:7], v[14:15]
	v_add_f64_e32 v[198:199], 0, v[198:199]
	v_fmac_f64_e32 v[200:201], v[188:189], v[8:9]
	v_fma_f64 v[186:187], v[186:187], v[8:9], -v[10:11]
	v_add_f64_e32 v[188:189], 0, v[202:203]
	scratch_load_b128 v[8:11], off, off offset:704
	v_fmac_f64_e32 v[204:205], v[6:7], v[12:13]
	v_fma_f64 v[206:207], v[4:5], v[12:13], -v[14:15]
	ds_load_b128 v[4:7], v2 offset:1584
	s_wait_loadcnt_dscnt 0xb01
	v_mul_f64_e32 v[202:203], v[194:195], v[18:19]
	v_mul_f64_e32 v[18:19], v[196:197], v[18:19]
	scratch_load_b128 v[12:15], off, off offset:720
	v_add_f64_e32 v[198:199], v[198:199], v[200:201]
	v_add_f64_e32 v[208:209], v[188:189], v[186:187]
	ds_load_b128 v[186:189], v2 offset:1600
	s_wait_loadcnt_dscnt 0xb01
	v_mul_f64_e32 v[200:201], v[4:5], v[22:23]
	v_mul_f64_e32 v[22:23], v[6:7], v[22:23]
	v_fmac_f64_e32 v[202:203], v[196:197], v[16:17]
	v_fma_f64 v[194:195], v[194:195], v[16:17], -v[18:19]
	scratch_load_b128 v[16:19], off, off offset:736
	v_add_f64_e32 v[198:199], v[198:199], v[204:205]
	v_add_f64_e32 v[196:197], v[208:209], v[206:207]
	v_fmac_f64_e32 v[200:201], v[6:7], v[20:21]
	v_fma_f64 v[206:207], v[4:5], v[20:21], -v[22:23]
	ds_load_b128 v[4:7], v2 offset:1616
	s_wait_loadcnt_dscnt 0xb01
	v_mul_f64_e32 v[204:205], v[186:187], v[26:27]
	v_mul_f64_e32 v[26:27], v[188:189], v[26:27]
	scratch_load_b128 v[20:23], off, off offset:752
	v_add_f64_e32 v[198:199], v[198:199], v[202:203]
	s_wait_loadcnt_dscnt 0xb00
	v_mul_f64_e32 v[202:203], v[4:5], v[30:31]
	v_add_f64_e32 v[208:209], v[196:197], v[194:195]
	v_mul_f64_e32 v[30:31], v[6:7], v[30:31]
	ds_load_b128 v[194:197], v2 offset:1632
	v_fmac_f64_e32 v[204:205], v[188:189], v[24:25]
	v_fma_f64 v[186:187], v[186:187], v[24:25], -v[26:27]
	scratch_load_b128 v[24:27], off, off offset:768
	v_add_f64_e32 v[198:199], v[198:199], v[200:201]
	v_fmac_f64_e32 v[202:203], v[6:7], v[28:29]
	v_add_f64_e32 v[188:189], v[208:209], v[206:207]
	v_fma_f64 v[206:207], v[4:5], v[28:29], -v[30:31]
	ds_load_b128 v[4:7], v2 offset:1648
	s_wait_loadcnt_dscnt 0xb01
	v_mul_f64_e32 v[200:201], v[194:195], v[164:165]
	v_mul_f64_e32 v[164:165], v[196:197], v[164:165]
	scratch_load_b128 v[28:31], off, off offset:784
	v_add_f64_e32 v[198:199], v[198:199], v[204:205]
	s_wait_loadcnt_dscnt 0xb00
	v_mul_f64_e32 v[204:205], v[4:5], v[168:169]
	v_add_f64_e32 v[208:209], v[188:189], v[186:187]
	v_mul_f64_e32 v[168:169], v[6:7], v[168:169]
	ds_load_b128 v[186:189], v2 offset:1664
	v_fmac_f64_e32 v[200:201], v[196:197], v[162:163]
	v_fma_f64 v[194:195], v[194:195], v[162:163], -v[164:165]
	scratch_load_b128 v[162:165], off, off offset:800
	v_add_f64_e32 v[198:199], v[198:199], v[202:203]
	v_fmac_f64_e32 v[204:205], v[6:7], v[166:167]
	v_add_f64_e32 v[196:197], v[208:209], v[206:207]
	;; [unrolled: 18-line block ×3, first 2 shown]
	v_fma_f64 v[206:207], v[4:5], v[178:179], -v[180:181]
	ds_load_b128 v[4:7], v2 offset:1712
	s_wait_loadcnt_dscnt 0xa01
	v_mul_f64_e32 v[204:205], v[194:195], v[192:193]
	v_mul_f64_e32 v[192:193], v[196:197], v[192:193]
	scratch_load_b128 v[178:181], off, off offset:848
	v_add_f64_e32 v[198:199], v[198:199], v[202:203]
	v_add_f64_e32 v[208:209], v[188:189], v[186:187]
	s_wait_loadcnt_dscnt 0xa00
	v_mul_f64_e32 v[202:203], v[4:5], v[176:177]
	v_mul_f64_e32 v[176:177], v[6:7], v[176:177]
	v_fmac_f64_e32 v[204:205], v[196:197], v[190:191]
	v_fma_f64 v[194:195], v[194:195], v[190:191], -v[192:193]
	ds_load_b128 v[186:189], v2 offset:1728
	scratch_load_b128 v[190:193], off, off offset:864
	v_add_f64_e32 v[198:199], v[198:199], v[200:201]
	v_add_f64_e32 v[196:197], v[208:209], v[206:207]
	v_fmac_f64_e32 v[202:203], v[6:7], v[174:175]
	v_fma_f64 v[206:207], v[4:5], v[174:175], -v[176:177]
	ds_load_b128 v[4:7], v2 offset:1744
	s_wait_loadcnt_dscnt 0xa01
	v_mul_f64_e32 v[200:201], v[186:187], v[10:11]
	v_mul_f64_e32 v[10:11], v[188:189], v[10:11]
	scratch_load_b128 v[174:177], off, off offset:880
	v_add_f64_e32 v[198:199], v[198:199], v[204:205]
	s_wait_loadcnt_dscnt 0xa00
	v_mul_f64_e32 v[204:205], v[4:5], v[14:15]
	v_add_f64_e32 v[208:209], v[196:197], v[194:195]
	v_mul_f64_e32 v[14:15], v[6:7], v[14:15]
	ds_load_b128 v[194:197], v2 offset:1760
	v_fmac_f64_e32 v[200:201], v[188:189], v[8:9]
	v_fma_f64 v[186:187], v[186:187], v[8:9], -v[10:11]
	scratch_load_b128 v[8:11], off, off offset:896
	v_add_f64_e32 v[198:199], v[198:199], v[202:203]
	v_fmac_f64_e32 v[204:205], v[6:7], v[12:13]
	v_add_f64_e32 v[188:189], v[208:209], v[206:207]
	v_fma_f64 v[206:207], v[4:5], v[12:13], -v[14:15]
	ds_load_b128 v[4:7], v2 offset:1776
	s_wait_loadcnt_dscnt 0xa01
	v_mul_f64_e32 v[202:203], v[194:195], v[18:19]
	v_mul_f64_e32 v[18:19], v[196:197], v[18:19]
	scratch_load_b128 v[12:15], off, off offset:912
	v_add_f64_e32 v[198:199], v[198:199], v[200:201]
	s_wait_loadcnt_dscnt 0xa00
	v_mul_f64_e32 v[200:201], v[4:5], v[22:23]
	v_add_f64_e32 v[208:209], v[188:189], v[186:187]
	v_mul_f64_e32 v[22:23], v[6:7], v[22:23]
	ds_load_b128 v[186:189], v2 offset:1792
	v_fmac_f64_e32 v[202:203], v[196:197], v[16:17]
	v_fma_f64 v[194:195], v[194:195], v[16:17], -v[18:19]
	scratch_load_b128 v[16:19], off, off offset:928
	v_add_f64_e32 v[198:199], v[198:199], v[204:205]
	v_fmac_f64_e32 v[200:201], v[6:7], v[20:21]
	v_add_f64_e32 v[196:197], v[208:209], v[206:207]
	v_fma_f64 v[206:207], v[4:5], v[20:21], -v[22:23]
	ds_load_b128 v[4:7], v2 offset:1808
	s_wait_loadcnt_dscnt 0xa01
	v_mul_f64_e32 v[204:205], v[186:187], v[26:27]
	v_mul_f64_e32 v[26:27], v[188:189], v[26:27]
	scratch_load_b128 v[20:23], off, off offset:944
	v_add_f64_e32 v[198:199], v[198:199], v[202:203]
	s_wait_loadcnt_dscnt 0xa00
	v_mul_f64_e32 v[202:203], v[4:5], v[30:31]
	v_add_f64_e32 v[208:209], v[196:197], v[194:195]
	v_mul_f64_e32 v[30:31], v[6:7], v[30:31]
	ds_load_b128 v[194:197], v2 offset:1824
	v_fmac_f64_e32 v[204:205], v[188:189], v[24:25]
	v_fma_f64 v[186:187], v[186:187], v[24:25], -v[26:27]
	scratch_load_b128 v[24:27], off, off offset:960
	v_add_f64_e32 v[198:199], v[198:199], v[200:201]
	v_fmac_f64_e32 v[202:203], v[6:7], v[28:29]
	v_add_f64_e32 v[188:189], v[208:209], v[206:207]
	v_fma_f64 v[206:207], v[4:5], v[28:29], -v[30:31]
	ds_load_b128 v[4:7], v2 offset:1840
	s_wait_loadcnt_dscnt 0xa01
	v_mul_f64_e32 v[200:201], v[194:195], v[164:165]
	v_mul_f64_e32 v[164:165], v[196:197], v[164:165]
	scratch_load_b128 v[28:31], off, off offset:976
	v_add_f64_e32 v[198:199], v[198:199], v[204:205]
	s_wait_loadcnt_dscnt 0xa00
	v_mul_f64_e32 v[204:205], v[4:5], v[168:169]
	v_add_f64_e32 v[208:209], v[188:189], v[186:187]
	v_mul_f64_e32 v[168:169], v[6:7], v[168:169]
	ds_load_b128 v[186:189], v2 offset:1856
	v_fmac_f64_e32 v[200:201], v[196:197], v[162:163]
	v_fma_f64 v[194:195], v[194:195], v[162:163], -v[164:165]
	scratch_load_b128 v[162:165], off, off offset:992
	v_add_f64_e32 v[198:199], v[198:199], v[202:203]
	v_fmac_f64_e32 v[204:205], v[6:7], v[166:167]
	v_add_f64_e32 v[196:197], v[208:209], v[206:207]
	v_fma_f64 v[206:207], v[4:5], v[166:167], -v[168:169]
	ds_load_b128 v[4:7], v2 offset:1872
	s_wait_loadcnt_dscnt 0xa01
	v_mul_f64_e32 v[202:203], v[186:187], v[172:173]
	v_mul_f64_e32 v[172:173], v[188:189], v[172:173]
	scratch_load_b128 v[166:169], off, off offset:1008
	v_add_f64_e32 v[198:199], v[198:199], v[200:201]
	s_wait_loadcnt_dscnt 0xa00
	v_mul_f64_e32 v[200:201], v[4:5], v[180:181]
	v_add_f64_e32 v[208:209], v[196:197], v[194:195]
	v_mul_f64_e32 v[180:181], v[6:7], v[180:181]
	ds_load_b128 v[194:197], v2 offset:1888
	v_fmac_f64_e32 v[202:203], v[188:189], v[170:171]
	v_fma_f64 v[170:171], v[186:187], v[170:171], -v[172:173]
	s_wait_loadcnt_dscnt 0x900
	v_mul_f64_e32 v[188:189], v[194:195], v[192:193]
	v_mul_f64_e32 v[192:193], v[196:197], v[192:193]
	v_add_f64_e32 v[186:187], v[198:199], v[204:205]
	v_fmac_f64_e32 v[200:201], v[6:7], v[178:179]
	v_add_f64_e32 v[172:173], v[208:209], v[206:207]
	v_fma_f64 v[178:179], v[4:5], v[178:179], -v[180:181]
	v_fmac_f64_e32 v[188:189], v[196:197], v[190:191]
	v_fma_f64 v[190:191], v[194:195], v[190:191], -v[192:193]
	v_add_f64_e32 v[186:187], v[186:187], v[202:203]
	v_add_f64_e32 v[180:181], v[172:173], v[170:171]
	ds_load_b128 v[4:7], v2 offset:1904
	ds_load_b128 v[170:173], v2 offset:1920
	s_wait_loadcnt_dscnt 0x801
	v_mul_f64_e32 v[198:199], v[4:5], v[176:177]
	v_mul_f64_e32 v[176:177], v[6:7], v[176:177]
	v_add_f64_e32 v[178:179], v[180:181], v[178:179]
	v_add_f64_e32 v[180:181], v[186:187], v[200:201]
	s_wait_loadcnt_dscnt 0x700
	v_mul_f64_e32 v[186:187], v[170:171], v[10:11]
	v_mul_f64_e32 v[10:11], v[172:173], v[10:11]
	v_fmac_f64_e32 v[198:199], v[6:7], v[174:175]
	v_fma_f64 v[192:193], v[4:5], v[174:175], -v[176:177]
	ds_load_b128 v[4:7], v2 offset:1936
	ds_load_b128 v[174:177], v2 offset:1952
	v_add_f64_e32 v[178:179], v[178:179], v[190:191]
	v_add_f64_e32 v[180:181], v[180:181], v[188:189]
	v_fmac_f64_e32 v[186:187], v[172:173], v[8:9]
	v_fma_f64 v[8:9], v[170:171], v[8:9], -v[10:11]
	s_wait_loadcnt_dscnt 0x601
	v_mul_f64_e32 v[188:189], v[4:5], v[14:15]
	v_mul_f64_e32 v[14:15], v[6:7], v[14:15]
	s_wait_loadcnt_dscnt 0x500
	v_mul_f64_e32 v[172:173], v[174:175], v[18:19]
	v_mul_f64_e32 v[18:19], v[176:177], v[18:19]
	v_add_f64_e32 v[10:11], v[178:179], v[192:193]
	v_add_f64_e32 v[170:171], v[180:181], v[198:199]
	v_fmac_f64_e32 v[188:189], v[6:7], v[12:13]
	v_fma_f64 v[12:13], v[4:5], v[12:13], -v[14:15]
	v_fmac_f64_e32 v[172:173], v[176:177], v[16:17]
	v_fma_f64 v[16:17], v[174:175], v[16:17], -v[18:19]
	v_add_f64_e32 v[14:15], v[10:11], v[8:9]
	v_add_f64_e32 v[170:171], v[170:171], v[186:187]
	ds_load_b128 v[4:7], v2 offset:1968
	ds_load_b128 v[8:11], v2 offset:1984
	s_wait_loadcnt_dscnt 0x401
	v_mul_f64_e32 v[178:179], v[4:5], v[22:23]
	v_mul_f64_e32 v[22:23], v[6:7], v[22:23]
	s_wait_loadcnt_dscnt 0x300
	v_mul_f64_e32 v[18:19], v[8:9], v[26:27]
	v_mul_f64_e32 v[26:27], v[10:11], v[26:27]
	v_add_f64_e32 v[12:13], v[14:15], v[12:13]
	v_add_f64_e32 v[14:15], v[170:171], v[188:189]
	v_fmac_f64_e32 v[178:179], v[6:7], v[20:21]
	v_fma_f64 v[20:21], v[4:5], v[20:21], -v[22:23]
	v_fmac_f64_e32 v[18:19], v[10:11], v[24:25]
	v_fma_f64 v[8:9], v[8:9], v[24:25], -v[26:27]
	v_add_f64_e32 v[16:17], v[12:13], v[16:17]
	v_add_f64_e32 v[22:23], v[14:15], v[172:173]
	ds_load_b128 v[4:7], v2 offset:2000
	ds_load_b128 v[12:15], v2 offset:2016
	s_wait_loadcnt_dscnt 0x201
	v_mul_f64_e32 v[170:171], v[4:5], v[30:31]
	v_mul_f64_e32 v[30:31], v[6:7], v[30:31]
	v_add_f64_e32 v[10:11], v[16:17], v[20:21]
	v_add_f64_e32 v[16:17], v[22:23], v[178:179]
	s_wait_loadcnt_dscnt 0x100
	v_mul_f64_e32 v[20:21], v[12:13], v[164:165]
	v_mul_f64_e32 v[22:23], v[14:15], v[164:165]
	v_fmac_f64_e32 v[170:171], v[6:7], v[28:29]
	v_fma_f64 v[24:25], v[4:5], v[28:29], -v[30:31]
	ds_load_b128 v[4:7], v2 offset:2032
	v_add_f64_e32 v[8:9], v[10:11], v[8:9]
	v_add_f64_e32 v[10:11], v[16:17], v[18:19]
	v_fmac_f64_e32 v[20:21], v[14:15], v[162:163]
	v_fma_f64 v[12:13], v[12:13], v[162:163], -v[22:23]
	s_wait_loadcnt_dscnt 0x0
	v_mul_f64_e32 v[16:17], v[4:5], v[168:169]
	v_mul_f64_e32 v[18:19], v[6:7], v[168:169]
	v_add_f64_e32 v[8:9], v[8:9], v[24:25]
	v_add_f64_e32 v[10:11], v[10:11], v[170:171]
	s_delay_alu instid0(VALU_DEP_4) | instskip(NEXT) | instid1(VALU_DEP_4)
	v_fmac_f64_e32 v[16:17], v[6:7], v[166:167]
	v_fma_f64 v[4:5], v[4:5], v[166:167], -v[18:19]
	s_delay_alu instid0(VALU_DEP_4) | instskip(NEXT) | instid1(VALU_DEP_4)
	v_add_f64_e32 v[6:7], v[8:9], v[12:13]
	v_add_f64_e32 v[8:9], v[10:11], v[20:21]
	s_delay_alu instid0(VALU_DEP_2) | instskip(NEXT) | instid1(VALU_DEP_2)
	v_add_f64_e32 v[4:5], v[6:7], v[4:5]
	v_add_f64_e32 v[6:7], v[8:9], v[16:17]
	s_delay_alu instid0(VALU_DEP_2) | instskip(NEXT) | instid1(VALU_DEP_2)
	v_add_f64_e64 v[4:5], v[182:183], -v[4:5]
	v_add_f64_e64 v[6:7], v[184:185], -v[6:7]
	scratch_store_b128 off, v[4:7], off offset:480
	s_wait_xcnt 0x0
	v_cmpx_lt_u32_e32 29, v1
	s_cbranch_execz .LBB63_351
; %bb.350:
	scratch_load_b128 v[6:9], off, s47
	v_dual_mov_b32 v3, v2 :: v_dual_mov_b32 v4, v2
	v_mov_b32_e32 v5, v2
	scratch_store_b128 off, v[2:5], off offset:464
	s_wait_loadcnt 0x0
	ds_store_b128 v160, v[6:9]
.LBB63_351:
	s_wait_xcnt 0x0
	s_or_b32 exec_lo, exec_lo, s2
	s_wait_storecnt_dscnt 0x0
	s_barrier_signal -1
	s_barrier_wait -1
	s_clause 0x9
	scratch_load_b128 v[4:7], off, off offset:480
	scratch_load_b128 v[8:11], off, off offset:496
	;; [unrolled: 1-line block ×10, first 2 shown]
	ds_load_b128 v[174:177], v2 offset:1504
	ds_load_b128 v[182:185], v2 offset:1520
	s_clause 0x2
	scratch_load_b128 v[178:181], off, off offset:640
	scratch_load_b128 v[186:189], off, off offset:464
	;; [unrolled: 1-line block ×3, first 2 shown]
	s_mov_b32 s2, exec_lo
	s_wait_loadcnt_dscnt 0xc01
	v_mul_f64_e32 v[194:195], v[176:177], v[6:7]
	v_mul_f64_e32 v[198:199], v[174:175], v[6:7]
	s_wait_loadcnt_dscnt 0xb00
	v_mul_f64_e32 v[200:201], v[182:183], v[10:11]
	v_mul_f64_e32 v[10:11], v[184:185], v[10:11]
	s_delay_alu instid0(VALU_DEP_4) | instskip(NEXT) | instid1(VALU_DEP_4)
	v_fma_f64 v[202:203], v[174:175], v[4:5], -v[194:195]
	v_fmac_f64_e32 v[198:199], v[176:177], v[4:5]
	ds_load_b128 v[4:7], v2 offset:1536
	ds_load_b128 v[174:177], v2 offset:1552
	scratch_load_b128 v[194:197], off, off offset:672
	v_fmac_f64_e32 v[200:201], v[184:185], v[8:9]
	v_fma_f64 v[182:183], v[182:183], v[8:9], -v[10:11]
	scratch_load_b128 v[8:11], off, off offset:688
	s_wait_loadcnt_dscnt 0xc01
	v_mul_f64_e32 v[204:205], v[4:5], v[14:15]
	v_mul_f64_e32 v[14:15], v[6:7], v[14:15]
	v_add_f64_e32 v[184:185], 0, v[202:203]
	v_add_f64_e32 v[198:199], 0, v[198:199]
	s_wait_loadcnt_dscnt 0xb00
	v_mul_f64_e32 v[202:203], v[174:175], v[18:19]
	v_mul_f64_e32 v[18:19], v[176:177], v[18:19]
	v_fmac_f64_e32 v[204:205], v[6:7], v[12:13]
	v_fma_f64 v[206:207], v[4:5], v[12:13], -v[14:15]
	ds_load_b128 v[4:7], v2 offset:1568
	ds_load_b128 v[12:15], v2 offset:1584
	v_add_f64_e32 v[208:209], v[184:185], v[182:183]
	v_add_f64_e32 v[198:199], v[198:199], v[200:201]
	scratch_load_b128 v[182:185], off, off offset:704
	v_fmac_f64_e32 v[202:203], v[176:177], v[16:17]
	v_fma_f64 v[174:175], v[174:175], v[16:17], -v[18:19]
	scratch_load_b128 v[16:19], off, off offset:720
	s_wait_loadcnt_dscnt 0xc01
	v_mul_f64_e32 v[200:201], v[4:5], v[22:23]
	v_mul_f64_e32 v[22:23], v[6:7], v[22:23]
	v_add_f64_e32 v[176:177], v[208:209], v[206:207]
	v_add_f64_e32 v[198:199], v[198:199], v[204:205]
	s_wait_loadcnt_dscnt 0xb00
	v_mul_f64_e32 v[204:205], v[12:13], v[26:27]
	v_mul_f64_e32 v[26:27], v[14:15], v[26:27]
	v_fmac_f64_e32 v[200:201], v[6:7], v[20:21]
	v_fma_f64 v[206:207], v[4:5], v[20:21], -v[22:23]
	ds_load_b128 v[4:7], v2 offset:1600
	ds_load_b128 v[20:23], v2 offset:1616
	v_add_f64_e32 v[208:209], v[176:177], v[174:175]
	v_add_f64_e32 v[198:199], v[198:199], v[202:203]
	scratch_load_b128 v[174:177], off, off offset:736
	s_wait_loadcnt_dscnt 0xb01
	v_mul_f64_e32 v[202:203], v[4:5], v[30:31]
	v_mul_f64_e32 v[30:31], v[6:7], v[30:31]
	v_fmac_f64_e32 v[204:205], v[14:15], v[24:25]
	v_fma_f64 v[24:25], v[12:13], v[24:25], -v[26:27]
	scratch_load_b128 v[12:15], off, off offset:752
	v_add_f64_e32 v[26:27], v[208:209], v[206:207]
	v_add_f64_e32 v[198:199], v[198:199], v[200:201]
	s_wait_loadcnt_dscnt 0xb00
	v_mul_f64_e32 v[200:201], v[20:21], v[164:165]
	v_mul_f64_e32 v[164:165], v[22:23], v[164:165]
	v_fmac_f64_e32 v[202:203], v[6:7], v[28:29]
	v_fma_f64 v[206:207], v[4:5], v[28:29], -v[30:31]
	v_add_f64_e32 v[208:209], v[26:27], v[24:25]
	v_add_f64_e32 v[198:199], v[198:199], v[204:205]
	ds_load_b128 v[4:7], v2 offset:1632
	ds_load_b128 v[24:27], v2 offset:1648
	scratch_load_b128 v[28:31], off, off offset:768
	v_fmac_f64_e32 v[200:201], v[22:23], v[162:163]
	v_fma_f64 v[162:163], v[20:21], v[162:163], -v[164:165]
	scratch_load_b128 v[20:23], off, off offset:784
	s_wait_loadcnt_dscnt 0xc01
	v_mul_f64_e32 v[204:205], v[4:5], v[168:169]
	v_mul_f64_e32 v[168:169], v[6:7], v[168:169]
	v_add_f64_e32 v[164:165], v[208:209], v[206:207]
	v_add_f64_e32 v[198:199], v[198:199], v[202:203]
	s_wait_loadcnt_dscnt 0xb00
	v_mul_f64_e32 v[202:203], v[24:25], v[172:173]
	v_mul_f64_e32 v[172:173], v[26:27], v[172:173]
	v_fmac_f64_e32 v[204:205], v[6:7], v[166:167]
	v_fma_f64 v[206:207], v[4:5], v[166:167], -v[168:169]
	v_add_f64_e32 v[208:209], v[164:165], v[162:163]
	v_add_f64_e32 v[198:199], v[198:199], v[200:201]
	ds_load_b128 v[4:7], v2 offset:1664
	ds_load_b128 v[162:165], v2 offset:1680
	scratch_load_b128 v[166:169], off, off offset:800
	v_fmac_f64_e32 v[202:203], v[26:27], v[170:171]
	v_fma_f64 v[170:171], v[24:25], v[170:171], -v[172:173]
	scratch_load_b128 v[24:27], off, off offset:816
	s_wait_loadcnt_dscnt 0xc01
	v_mul_f64_e32 v[200:201], v[4:5], v[180:181]
	v_mul_f64_e32 v[180:181], v[6:7], v[180:181]
	;; [unrolled: 18-line block ×5, first 2 shown]
	v_add_f64_e32 v[192:193], v[208:209], v[206:207]
	v_add_f64_e32 v[198:199], v[198:199], v[204:205]
	s_wait_loadcnt_dscnt 0xa00
	v_mul_f64_e32 v[204:205], v[170:171], v[14:15]
	v_mul_f64_e32 v[14:15], v[172:173], v[14:15]
	v_fmac_f64_e32 v[200:201], v[6:7], v[174:175]
	v_fma_f64 v[206:207], v[4:5], v[174:175], -v[176:177]
	ds_load_b128 v[4:7], v2 offset:1792
	ds_load_b128 v[174:177], v2 offset:1808
	v_add_f64_e32 v[208:209], v[192:193], v[190:191]
	v_add_f64_e32 v[198:199], v[198:199], v[202:203]
	scratch_load_b128 v[190:193], off, off offset:928
	v_fmac_f64_e32 v[204:205], v[172:173], v[12:13]
	v_fma_f64 v[170:171], v[170:171], v[12:13], -v[14:15]
	scratch_load_b128 v[12:15], off, off offset:944
	s_wait_loadcnt_dscnt 0xb01
	v_mul_f64_e32 v[202:203], v[4:5], v[30:31]
	v_mul_f64_e32 v[30:31], v[6:7], v[30:31]
	v_add_f64_e32 v[172:173], v[208:209], v[206:207]
	v_add_f64_e32 v[198:199], v[198:199], v[200:201]
	s_wait_loadcnt_dscnt 0xa00
	v_mul_f64_e32 v[200:201], v[174:175], v[22:23]
	v_mul_f64_e32 v[22:23], v[176:177], v[22:23]
	v_fmac_f64_e32 v[202:203], v[6:7], v[28:29]
	v_fma_f64 v[206:207], v[4:5], v[28:29], -v[30:31]
	ds_load_b128 v[4:7], v2 offset:1824
	ds_load_b128 v[28:31], v2 offset:1840
	v_add_f64_e32 v[208:209], v[172:173], v[170:171]
	v_add_f64_e32 v[198:199], v[198:199], v[204:205]
	scratch_load_b128 v[170:173], off, off offset:960
	s_wait_loadcnt_dscnt 0xa01
	v_mul_f64_e32 v[204:205], v[4:5], v[168:169]
	v_mul_f64_e32 v[168:169], v[6:7], v[168:169]
	v_fmac_f64_e32 v[200:201], v[176:177], v[20:21]
	v_fma_f64 v[174:175], v[174:175], v[20:21], -v[22:23]
	scratch_load_b128 v[20:23], off, off offset:976
	v_add_f64_e32 v[176:177], v[208:209], v[206:207]
	v_add_f64_e32 v[198:199], v[198:199], v[202:203]
	s_wait_loadcnt_dscnt 0xa00
	v_mul_f64_e32 v[202:203], v[28:29], v[26:27]
	v_mul_f64_e32 v[26:27], v[30:31], v[26:27]
	v_fmac_f64_e32 v[204:205], v[6:7], v[166:167]
	v_fma_f64 v[206:207], v[4:5], v[166:167], -v[168:169]
	ds_load_b128 v[4:7], v2 offset:1856
	ds_load_b128 v[166:169], v2 offset:1872
	v_add_f64_e32 v[208:209], v[176:177], v[174:175]
	v_add_f64_e32 v[198:199], v[198:199], v[200:201]
	scratch_load_b128 v[174:177], off, off offset:992
	s_wait_loadcnt_dscnt 0xa01
	v_mul_f64_e32 v[200:201], v[4:5], v[180:181]
	v_mul_f64_e32 v[180:181], v[6:7], v[180:181]
	v_fmac_f64_e32 v[202:203], v[30:31], v[24:25]
	v_fma_f64 v[28:29], v[28:29], v[24:25], -v[26:27]
	scratch_load_b128 v[24:27], off, off offset:1008
	v_add_f64_e32 v[30:31], v[208:209], v[206:207]
	v_add_f64_e32 v[198:199], v[198:199], v[204:205]
	s_wait_loadcnt_dscnt 0xa00
	v_mul_f64_e32 v[204:205], v[166:167], v[164:165]
	v_mul_f64_e32 v[164:165], v[168:169], v[164:165]
	v_fmac_f64_e32 v[200:201], v[6:7], v[178:179]
	v_fma_f64 v[178:179], v[4:5], v[178:179], -v[180:181]
	v_add_f64_e32 v[180:181], v[30:31], v[28:29]
	v_add_f64_e32 v[198:199], v[198:199], v[202:203]
	ds_load_b128 v[4:7], v2 offset:1888
	ds_load_b128 v[28:31], v2 offset:1904
	v_fmac_f64_e32 v[204:205], v[168:169], v[162:163]
	v_fma_f64 v[162:163], v[166:167], v[162:163], -v[164:165]
	s_wait_loadcnt_dscnt 0x901
	v_mul_f64_e32 v[202:203], v[4:5], v[196:197]
	v_mul_f64_e32 v[196:197], v[6:7], v[196:197]
	s_wait_loadcnt_dscnt 0x800
	v_mul_f64_e32 v[168:169], v[28:29], v[10:11]
	v_mul_f64_e32 v[10:11], v[30:31], v[10:11]
	v_add_f64_e32 v[164:165], v[180:181], v[178:179]
	v_add_f64_e32 v[166:167], v[198:199], v[200:201]
	v_fmac_f64_e32 v[202:203], v[6:7], v[194:195]
	v_fma_f64 v[178:179], v[4:5], v[194:195], -v[196:197]
	v_fmac_f64_e32 v[168:169], v[30:31], v[8:9]
	v_fma_f64 v[8:9], v[28:29], v[8:9], -v[10:11]
	v_add_f64_e32 v[180:181], v[164:165], v[162:163]
	v_add_f64_e32 v[166:167], v[166:167], v[204:205]
	ds_load_b128 v[4:7], v2 offset:1920
	ds_load_b128 v[162:165], v2 offset:1936
	s_wait_loadcnt_dscnt 0x701
	v_mul_f64_e32 v[194:195], v[4:5], v[184:185]
	v_mul_f64_e32 v[184:185], v[6:7], v[184:185]
	s_wait_loadcnt_dscnt 0x600
	v_mul_f64_e32 v[30:31], v[162:163], v[18:19]
	v_mul_f64_e32 v[18:19], v[164:165], v[18:19]
	v_add_f64_e32 v[10:11], v[180:181], v[178:179]
	v_add_f64_e32 v[28:29], v[166:167], v[202:203]
	v_fmac_f64_e32 v[194:195], v[6:7], v[182:183]
	v_fma_f64 v[166:167], v[4:5], v[182:183], -v[184:185]
	v_fmac_f64_e32 v[30:31], v[164:165], v[16:17]
	v_fma_f64 v[16:17], v[162:163], v[16:17], -v[18:19]
	v_add_f64_e32 v[178:179], v[10:11], v[8:9]
	v_add_f64_e32 v[28:29], v[28:29], v[168:169]
	ds_load_b128 v[4:7], v2 offset:1952
	ds_load_b128 v[8:11], v2 offset:1968
	;; [unrolled: 16-line block ×3, first 2 shown]
	s_wait_loadcnt_dscnt 0x301
	v_mul_f64_e32 v[30:31], v[4:5], v[172:173]
	v_mul_f64_e32 v[172:173], v[6:7], v[172:173]
	v_add_f64_e32 v[10:11], v[18:19], v[166:167]
	v_add_f64_e32 v[12:13], v[28:29], v[168:169]
	s_wait_loadcnt_dscnt 0x200
	v_mul_f64_e32 v[18:19], v[14:15], v[22:23]
	v_mul_f64_e32 v[22:23], v[16:17], v[22:23]
	v_fmac_f64_e32 v[30:31], v[6:7], v[170:171]
	v_fma_f64 v[28:29], v[4:5], v[170:171], -v[172:173]
	v_add_f64_e32 v[164:165], v[10:11], v[8:9]
	v_add_f64_e32 v[12:13], v[12:13], v[162:163]
	ds_load_b128 v[4:7], v2 offset:2016
	ds_load_b128 v[8:11], v2 offset:2032
	v_fmac_f64_e32 v[18:19], v[16:17], v[20:21]
	v_fma_f64 v[14:15], v[14:15], v[20:21], -v[22:23]
	s_wait_loadcnt_dscnt 0x101
	v_mul_f64_e32 v[2:3], v[4:5], v[176:177]
	v_mul_f64_e32 v[162:163], v[6:7], v[176:177]
	s_wait_loadcnt_dscnt 0x0
	v_mul_f64_e32 v[20:21], v[8:9], v[26:27]
	v_mul_f64_e32 v[22:23], v[10:11], v[26:27]
	v_add_f64_e32 v[16:17], v[164:165], v[28:29]
	v_add_f64_e32 v[12:13], v[12:13], v[30:31]
	v_fmac_f64_e32 v[2:3], v[6:7], v[174:175]
	v_fma_f64 v[4:5], v[4:5], v[174:175], -v[162:163]
	v_fmac_f64_e32 v[20:21], v[10:11], v[24:25]
	v_fma_f64 v[8:9], v[8:9], v[24:25], -v[22:23]
	v_add_f64_e32 v[6:7], v[16:17], v[14:15]
	v_add_f64_e32 v[12:13], v[12:13], v[18:19]
	s_delay_alu instid0(VALU_DEP_2) | instskip(NEXT) | instid1(VALU_DEP_2)
	v_add_f64_e32 v[4:5], v[6:7], v[4:5]
	v_add_f64_e32 v[2:3], v[12:13], v[2:3]
	s_delay_alu instid0(VALU_DEP_2) | instskip(NEXT) | instid1(VALU_DEP_2)
	;; [unrolled: 3-line block ×3, first 2 shown]
	v_add_f64_e64 v[2:3], v[186:187], -v[4:5]
	v_add_f64_e64 v[4:5], v[188:189], -v[6:7]
	scratch_store_b128 off, v[2:5], off offset:464
	s_wait_xcnt 0x0
	v_cmpx_lt_u32_e32 28, v1
	s_cbranch_execz .LBB63_353
; %bb.352:
	scratch_load_b128 v[2:5], off, s49
	v_mov_b32_e32 v6, 0
	s_delay_alu instid0(VALU_DEP_1)
	v_dual_mov_b32 v7, v6 :: v_dual_mov_b32 v8, v6
	v_mov_b32_e32 v9, v6
	scratch_store_b128 off, v[6:9], off offset:448
	s_wait_loadcnt 0x0
	ds_store_b128 v160, v[2:5]
.LBB63_353:
	s_wait_xcnt 0x0
	s_or_b32 exec_lo, exec_lo, s2
	s_wait_storecnt_dscnt 0x0
	s_barrier_signal -1
	s_barrier_wait -1
	s_clause 0x9
	scratch_load_b128 v[4:7], off, off offset:464
	scratch_load_b128 v[8:11], off, off offset:480
	;; [unrolled: 1-line block ×10, first 2 shown]
	v_mov_b32_e32 v2, 0
	s_mov_b32 s2, exec_lo
	ds_load_b128 v[174:177], v2 offset:1488
	s_clause 0x2
	scratch_load_b128 v[178:181], off, off offset:624
	scratch_load_b128 v[182:185], off, off offset:448
	;; [unrolled: 1-line block ×3, first 2 shown]
	s_wait_loadcnt_dscnt 0xc00
	v_mul_f64_e32 v[194:195], v[176:177], v[6:7]
	v_mul_f64_e32 v[198:199], v[174:175], v[6:7]
	ds_load_b128 v[186:189], v2 offset:1504
	v_fma_f64 v[202:203], v[174:175], v[4:5], -v[194:195]
	v_fmac_f64_e32 v[198:199], v[176:177], v[4:5]
	ds_load_b128 v[4:7], v2 offset:1520
	s_wait_loadcnt_dscnt 0xb01
	v_mul_f64_e32 v[200:201], v[186:187], v[10:11]
	v_mul_f64_e32 v[10:11], v[188:189], v[10:11]
	scratch_load_b128 v[174:177], off, off offset:656
	ds_load_b128 v[194:197], v2 offset:1536
	s_wait_loadcnt_dscnt 0xb01
	v_mul_f64_e32 v[204:205], v[4:5], v[14:15]
	v_mul_f64_e32 v[14:15], v[6:7], v[14:15]
	v_add_f64_e32 v[198:199], 0, v[198:199]
	v_fmac_f64_e32 v[200:201], v[188:189], v[8:9]
	v_fma_f64 v[186:187], v[186:187], v[8:9], -v[10:11]
	v_add_f64_e32 v[188:189], 0, v[202:203]
	scratch_load_b128 v[8:11], off, off offset:672
	v_fmac_f64_e32 v[204:205], v[6:7], v[12:13]
	v_fma_f64 v[206:207], v[4:5], v[12:13], -v[14:15]
	ds_load_b128 v[4:7], v2 offset:1552
	s_wait_loadcnt_dscnt 0xb01
	v_mul_f64_e32 v[202:203], v[194:195], v[18:19]
	v_mul_f64_e32 v[18:19], v[196:197], v[18:19]
	scratch_load_b128 v[12:15], off, off offset:688
	v_add_f64_e32 v[198:199], v[198:199], v[200:201]
	v_add_f64_e32 v[208:209], v[188:189], v[186:187]
	ds_load_b128 v[186:189], v2 offset:1568
	s_wait_loadcnt_dscnt 0xb01
	v_mul_f64_e32 v[200:201], v[4:5], v[22:23]
	v_mul_f64_e32 v[22:23], v[6:7], v[22:23]
	v_fmac_f64_e32 v[202:203], v[196:197], v[16:17]
	v_fma_f64 v[194:195], v[194:195], v[16:17], -v[18:19]
	scratch_load_b128 v[16:19], off, off offset:704
	v_add_f64_e32 v[198:199], v[198:199], v[204:205]
	v_add_f64_e32 v[196:197], v[208:209], v[206:207]
	v_fmac_f64_e32 v[200:201], v[6:7], v[20:21]
	v_fma_f64 v[206:207], v[4:5], v[20:21], -v[22:23]
	ds_load_b128 v[4:7], v2 offset:1584
	s_wait_loadcnt_dscnt 0xb01
	v_mul_f64_e32 v[204:205], v[186:187], v[26:27]
	v_mul_f64_e32 v[26:27], v[188:189], v[26:27]
	scratch_load_b128 v[20:23], off, off offset:720
	v_add_f64_e32 v[198:199], v[198:199], v[202:203]
	s_wait_loadcnt_dscnt 0xb00
	v_mul_f64_e32 v[202:203], v[4:5], v[30:31]
	v_add_f64_e32 v[208:209], v[196:197], v[194:195]
	v_mul_f64_e32 v[30:31], v[6:7], v[30:31]
	ds_load_b128 v[194:197], v2 offset:1600
	v_fmac_f64_e32 v[204:205], v[188:189], v[24:25]
	v_fma_f64 v[186:187], v[186:187], v[24:25], -v[26:27]
	scratch_load_b128 v[24:27], off, off offset:736
	v_add_f64_e32 v[198:199], v[198:199], v[200:201]
	v_fmac_f64_e32 v[202:203], v[6:7], v[28:29]
	v_add_f64_e32 v[188:189], v[208:209], v[206:207]
	v_fma_f64 v[206:207], v[4:5], v[28:29], -v[30:31]
	ds_load_b128 v[4:7], v2 offset:1616
	s_wait_loadcnt_dscnt 0xb01
	v_mul_f64_e32 v[200:201], v[194:195], v[164:165]
	v_mul_f64_e32 v[164:165], v[196:197], v[164:165]
	scratch_load_b128 v[28:31], off, off offset:752
	v_add_f64_e32 v[198:199], v[198:199], v[204:205]
	s_wait_loadcnt_dscnt 0xb00
	v_mul_f64_e32 v[204:205], v[4:5], v[168:169]
	v_add_f64_e32 v[208:209], v[188:189], v[186:187]
	v_mul_f64_e32 v[168:169], v[6:7], v[168:169]
	ds_load_b128 v[186:189], v2 offset:1632
	v_fmac_f64_e32 v[200:201], v[196:197], v[162:163]
	v_fma_f64 v[194:195], v[194:195], v[162:163], -v[164:165]
	scratch_load_b128 v[162:165], off, off offset:768
	v_add_f64_e32 v[198:199], v[198:199], v[202:203]
	v_fmac_f64_e32 v[204:205], v[6:7], v[166:167]
	v_add_f64_e32 v[196:197], v[208:209], v[206:207]
	;; [unrolled: 18-line block ×3, first 2 shown]
	v_fma_f64 v[206:207], v[4:5], v[178:179], -v[180:181]
	ds_load_b128 v[4:7], v2 offset:1680
	s_wait_loadcnt_dscnt 0xa01
	v_mul_f64_e32 v[204:205], v[194:195], v[192:193]
	v_mul_f64_e32 v[192:193], v[196:197], v[192:193]
	scratch_load_b128 v[178:181], off, off offset:816
	v_add_f64_e32 v[198:199], v[198:199], v[202:203]
	v_add_f64_e32 v[208:209], v[188:189], v[186:187]
	s_wait_loadcnt_dscnt 0xa00
	v_mul_f64_e32 v[202:203], v[4:5], v[176:177]
	v_mul_f64_e32 v[176:177], v[6:7], v[176:177]
	v_fmac_f64_e32 v[204:205], v[196:197], v[190:191]
	v_fma_f64 v[194:195], v[194:195], v[190:191], -v[192:193]
	ds_load_b128 v[186:189], v2 offset:1696
	scratch_load_b128 v[190:193], off, off offset:832
	v_add_f64_e32 v[198:199], v[198:199], v[200:201]
	v_add_f64_e32 v[196:197], v[208:209], v[206:207]
	v_fmac_f64_e32 v[202:203], v[6:7], v[174:175]
	v_fma_f64 v[206:207], v[4:5], v[174:175], -v[176:177]
	ds_load_b128 v[4:7], v2 offset:1712
	s_wait_loadcnt_dscnt 0xa01
	v_mul_f64_e32 v[200:201], v[186:187], v[10:11]
	v_mul_f64_e32 v[10:11], v[188:189], v[10:11]
	scratch_load_b128 v[174:177], off, off offset:848
	v_add_f64_e32 v[198:199], v[198:199], v[204:205]
	s_wait_loadcnt_dscnt 0xa00
	v_mul_f64_e32 v[204:205], v[4:5], v[14:15]
	v_add_f64_e32 v[208:209], v[196:197], v[194:195]
	v_mul_f64_e32 v[14:15], v[6:7], v[14:15]
	ds_load_b128 v[194:197], v2 offset:1728
	v_fmac_f64_e32 v[200:201], v[188:189], v[8:9]
	v_fma_f64 v[186:187], v[186:187], v[8:9], -v[10:11]
	scratch_load_b128 v[8:11], off, off offset:864
	v_add_f64_e32 v[198:199], v[198:199], v[202:203]
	v_fmac_f64_e32 v[204:205], v[6:7], v[12:13]
	v_add_f64_e32 v[188:189], v[208:209], v[206:207]
	v_fma_f64 v[206:207], v[4:5], v[12:13], -v[14:15]
	ds_load_b128 v[4:7], v2 offset:1744
	s_wait_loadcnt_dscnt 0xa01
	v_mul_f64_e32 v[202:203], v[194:195], v[18:19]
	v_mul_f64_e32 v[18:19], v[196:197], v[18:19]
	scratch_load_b128 v[12:15], off, off offset:880
	v_add_f64_e32 v[198:199], v[198:199], v[200:201]
	s_wait_loadcnt_dscnt 0xa00
	v_mul_f64_e32 v[200:201], v[4:5], v[22:23]
	v_add_f64_e32 v[208:209], v[188:189], v[186:187]
	v_mul_f64_e32 v[22:23], v[6:7], v[22:23]
	ds_load_b128 v[186:189], v2 offset:1760
	v_fmac_f64_e32 v[202:203], v[196:197], v[16:17]
	v_fma_f64 v[194:195], v[194:195], v[16:17], -v[18:19]
	scratch_load_b128 v[16:19], off, off offset:896
	v_add_f64_e32 v[198:199], v[198:199], v[204:205]
	v_fmac_f64_e32 v[200:201], v[6:7], v[20:21]
	v_add_f64_e32 v[196:197], v[208:209], v[206:207]
	;; [unrolled: 18-line block ×5, first 2 shown]
	v_fma_f64 v[206:207], v[4:5], v[178:179], -v[180:181]
	ds_load_b128 v[4:7], v2 offset:1872
	s_wait_loadcnt_dscnt 0xa01
	v_mul_f64_e32 v[204:205], v[194:195], v[192:193]
	v_mul_f64_e32 v[192:193], v[196:197], v[192:193]
	scratch_load_b128 v[178:181], off, off offset:1008
	v_add_f64_e32 v[198:199], v[198:199], v[202:203]
	s_wait_loadcnt_dscnt 0xa00
	v_mul_f64_e32 v[202:203], v[4:5], v[176:177]
	v_add_f64_e32 v[208:209], v[188:189], v[186:187]
	v_mul_f64_e32 v[176:177], v[6:7], v[176:177]
	ds_load_b128 v[186:189], v2 offset:1888
	v_fmac_f64_e32 v[204:205], v[196:197], v[190:191]
	v_fma_f64 v[190:191], v[194:195], v[190:191], -v[192:193]
	s_wait_loadcnt_dscnt 0x900
	v_mul_f64_e32 v[196:197], v[186:187], v[10:11]
	v_mul_f64_e32 v[10:11], v[188:189], v[10:11]
	v_add_f64_e32 v[194:195], v[198:199], v[200:201]
	v_fmac_f64_e32 v[202:203], v[6:7], v[174:175]
	v_add_f64_e32 v[192:193], v[208:209], v[206:207]
	v_fma_f64 v[198:199], v[4:5], v[174:175], -v[176:177]
	ds_load_b128 v[4:7], v2 offset:1904
	ds_load_b128 v[174:177], v2 offset:1920
	v_fmac_f64_e32 v[196:197], v[188:189], v[8:9]
	v_fma_f64 v[8:9], v[186:187], v[8:9], -v[10:11]
	v_add_f64_e32 v[190:191], v[192:193], v[190:191]
	v_add_f64_e32 v[192:193], v[194:195], v[204:205]
	s_wait_loadcnt_dscnt 0x801
	v_mul_f64_e32 v[194:195], v[4:5], v[14:15]
	v_mul_f64_e32 v[14:15], v[6:7], v[14:15]
	s_wait_loadcnt_dscnt 0x700
	v_mul_f64_e32 v[188:189], v[174:175], v[18:19]
	v_mul_f64_e32 v[18:19], v[176:177], v[18:19]
	v_add_f64_e32 v[10:11], v[190:191], v[198:199]
	v_add_f64_e32 v[186:187], v[192:193], v[202:203]
	v_fmac_f64_e32 v[194:195], v[6:7], v[12:13]
	v_fma_f64 v[12:13], v[4:5], v[12:13], -v[14:15]
	v_fmac_f64_e32 v[188:189], v[176:177], v[16:17]
	v_fma_f64 v[16:17], v[174:175], v[16:17], -v[18:19]
	v_add_f64_e32 v[14:15], v[10:11], v[8:9]
	v_add_f64_e32 v[186:187], v[186:187], v[196:197]
	ds_load_b128 v[4:7], v2 offset:1936
	ds_load_b128 v[8:11], v2 offset:1952
	s_wait_loadcnt_dscnt 0x601
	v_mul_f64_e32 v[190:191], v[4:5], v[22:23]
	v_mul_f64_e32 v[22:23], v[6:7], v[22:23]
	s_wait_loadcnt_dscnt 0x500
	v_mul_f64_e32 v[18:19], v[8:9], v[26:27]
	v_mul_f64_e32 v[26:27], v[10:11], v[26:27]
	v_add_f64_e32 v[12:13], v[14:15], v[12:13]
	v_add_f64_e32 v[14:15], v[186:187], v[194:195]
	v_fmac_f64_e32 v[190:191], v[6:7], v[20:21]
	v_fma_f64 v[20:21], v[4:5], v[20:21], -v[22:23]
	v_fmac_f64_e32 v[18:19], v[10:11], v[24:25]
	v_fma_f64 v[8:9], v[8:9], v[24:25], -v[26:27]
	v_add_f64_e32 v[16:17], v[12:13], v[16:17]
	v_add_f64_e32 v[22:23], v[14:15], v[188:189]
	ds_load_b128 v[4:7], v2 offset:1968
	ds_load_b128 v[12:15], v2 offset:1984
	s_wait_loadcnt_dscnt 0x401
	v_mul_f64_e32 v[174:175], v[4:5], v[30:31]
	v_mul_f64_e32 v[30:31], v[6:7], v[30:31]
	v_add_f64_e32 v[10:11], v[16:17], v[20:21]
	v_add_f64_e32 v[16:17], v[22:23], v[190:191]
	s_wait_loadcnt_dscnt 0x300
	v_mul_f64_e32 v[20:21], v[12:13], v[164:165]
	v_mul_f64_e32 v[22:23], v[14:15], v[164:165]
	v_fmac_f64_e32 v[174:175], v[6:7], v[28:29]
	v_fma_f64 v[24:25], v[4:5], v[28:29], -v[30:31]
	v_add_f64_e32 v[26:27], v[10:11], v[8:9]
	v_add_f64_e32 v[16:17], v[16:17], v[18:19]
	ds_load_b128 v[4:7], v2 offset:2000
	ds_load_b128 v[8:11], v2 offset:2016
	v_fmac_f64_e32 v[20:21], v[14:15], v[162:163]
	v_fma_f64 v[12:13], v[12:13], v[162:163], -v[22:23]
	s_wait_loadcnt_dscnt 0x201
	v_mul_f64_e32 v[18:19], v[4:5], v[168:169]
	v_mul_f64_e32 v[28:29], v[6:7], v[168:169]
	s_wait_loadcnt_dscnt 0x100
	v_mul_f64_e32 v[22:23], v[8:9], v[172:173]
	v_add_f64_e32 v[14:15], v[26:27], v[24:25]
	v_add_f64_e32 v[16:17], v[16:17], v[174:175]
	v_mul_f64_e32 v[24:25], v[10:11], v[172:173]
	v_fmac_f64_e32 v[18:19], v[6:7], v[166:167]
	v_fma_f64 v[26:27], v[4:5], v[166:167], -v[28:29]
	ds_load_b128 v[4:7], v2 offset:2032
	v_fmac_f64_e32 v[22:23], v[10:11], v[170:171]
	v_add_f64_e32 v[12:13], v[14:15], v[12:13]
	v_add_f64_e32 v[14:15], v[16:17], v[20:21]
	v_fma_f64 v[8:9], v[8:9], v[170:171], -v[24:25]
	s_wait_loadcnt_dscnt 0x0
	v_mul_f64_e32 v[16:17], v[4:5], v[180:181]
	v_mul_f64_e32 v[20:21], v[6:7], v[180:181]
	v_add_f64_e32 v[10:11], v[12:13], v[26:27]
	v_add_f64_e32 v[12:13], v[14:15], v[18:19]
	s_delay_alu instid0(VALU_DEP_4) | instskip(NEXT) | instid1(VALU_DEP_4)
	v_fmac_f64_e32 v[16:17], v[6:7], v[178:179]
	v_fma_f64 v[4:5], v[4:5], v[178:179], -v[20:21]
	s_delay_alu instid0(VALU_DEP_4) | instskip(NEXT) | instid1(VALU_DEP_4)
	v_add_f64_e32 v[6:7], v[10:11], v[8:9]
	v_add_f64_e32 v[8:9], v[12:13], v[22:23]
	s_delay_alu instid0(VALU_DEP_2) | instskip(NEXT) | instid1(VALU_DEP_2)
	v_add_f64_e32 v[4:5], v[6:7], v[4:5]
	v_add_f64_e32 v[6:7], v[8:9], v[16:17]
	s_delay_alu instid0(VALU_DEP_2) | instskip(NEXT) | instid1(VALU_DEP_2)
	v_add_f64_e64 v[4:5], v[182:183], -v[4:5]
	v_add_f64_e64 v[6:7], v[184:185], -v[6:7]
	scratch_store_b128 off, v[4:7], off offset:448
	s_wait_xcnt 0x0
	v_cmpx_lt_u32_e32 27, v1
	s_cbranch_execz .LBB63_355
; %bb.354:
	scratch_load_b128 v[6:9], off, s62
	v_dual_mov_b32 v3, v2 :: v_dual_mov_b32 v4, v2
	v_mov_b32_e32 v5, v2
	scratch_store_b128 off, v[2:5], off offset:432
	s_wait_loadcnt 0x0
	ds_store_b128 v160, v[6:9]
.LBB63_355:
	s_wait_xcnt 0x0
	s_or_b32 exec_lo, exec_lo, s2
	s_wait_storecnt_dscnt 0x0
	s_barrier_signal -1
	s_barrier_wait -1
	s_clause 0x9
	scratch_load_b128 v[4:7], off, off offset:448
	scratch_load_b128 v[8:11], off, off offset:464
	;; [unrolled: 1-line block ×10, first 2 shown]
	ds_load_b128 v[174:177], v2 offset:1472
	ds_load_b128 v[182:185], v2 offset:1488
	s_clause 0x2
	scratch_load_b128 v[178:181], off, off offset:608
	scratch_load_b128 v[186:189], off, off offset:432
	;; [unrolled: 1-line block ×3, first 2 shown]
	s_mov_b32 s2, exec_lo
	s_wait_loadcnt_dscnt 0xc01
	v_mul_f64_e32 v[194:195], v[176:177], v[6:7]
	v_mul_f64_e32 v[198:199], v[174:175], v[6:7]
	s_wait_loadcnt_dscnt 0xb00
	v_mul_f64_e32 v[200:201], v[182:183], v[10:11]
	v_mul_f64_e32 v[10:11], v[184:185], v[10:11]
	s_delay_alu instid0(VALU_DEP_4) | instskip(NEXT) | instid1(VALU_DEP_4)
	v_fma_f64 v[202:203], v[174:175], v[4:5], -v[194:195]
	v_fmac_f64_e32 v[198:199], v[176:177], v[4:5]
	ds_load_b128 v[4:7], v2 offset:1504
	ds_load_b128 v[174:177], v2 offset:1520
	scratch_load_b128 v[194:197], off, off offset:640
	v_fmac_f64_e32 v[200:201], v[184:185], v[8:9]
	v_fma_f64 v[182:183], v[182:183], v[8:9], -v[10:11]
	scratch_load_b128 v[8:11], off, off offset:656
	s_wait_loadcnt_dscnt 0xc01
	v_mul_f64_e32 v[204:205], v[4:5], v[14:15]
	v_mul_f64_e32 v[14:15], v[6:7], v[14:15]
	v_add_f64_e32 v[184:185], 0, v[202:203]
	v_add_f64_e32 v[198:199], 0, v[198:199]
	s_wait_loadcnt_dscnt 0xb00
	v_mul_f64_e32 v[202:203], v[174:175], v[18:19]
	v_mul_f64_e32 v[18:19], v[176:177], v[18:19]
	v_fmac_f64_e32 v[204:205], v[6:7], v[12:13]
	v_fma_f64 v[206:207], v[4:5], v[12:13], -v[14:15]
	ds_load_b128 v[4:7], v2 offset:1536
	ds_load_b128 v[12:15], v2 offset:1552
	v_add_f64_e32 v[208:209], v[184:185], v[182:183]
	v_add_f64_e32 v[198:199], v[198:199], v[200:201]
	scratch_load_b128 v[182:185], off, off offset:672
	v_fmac_f64_e32 v[202:203], v[176:177], v[16:17]
	v_fma_f64 v[174:175], v[174:175], v[16:17], -v[18:19]
	scratch_load_b128 v[16:19], off, off offset:688
	s_wait_loadcnt_dscnt 0xc01
	v_mul_f64_e32 v[200:201], v[4:5], v[22:23]
	v_mul_f64_e32 v[22:23], v[6:7], v[22:23]
	v_add_f64_e32 v[176:177], v[208:209], v[206:207]
	v_add_f64_e32 v[198:199], v[198:199], v[204:205]
	s_wait_loadcnt_dscnt 0xb00
	v_mul_f64_e32 v[204:205], v[12:13], v[26:27]
	v_mul_f64_e32 v[26:27], v[14:15], v[26:27]
	v_fmac_f64_e32 v[200:201], v[6:7], v[20:21]
	v_fma_f64 v[206:207], v[4:5], v[20:21], -v[22:23]
	ds_load_b128 v[4:7], v2 offset:1568
	ds_load_b128 v[20:23], v2 offset:1584
	v_add_f64_e32 v[208:209], v[176:177], v[174:175]
	v_add_f64_e32 v[198:199], v[198:199], v[202:203]
	scratch_load_b128 v[174:177], off, off offset:704
	s_wait_loadcnt_dscnt 0xb01
	v_mul_f64_e32 v[202:203], v[4:5], v[30:31]
	v_mul_f64_e32 v[30:31], v[6:7], v[30:31]
	v_fmac_f64_e32 v[204:205], v[14:15], v[24:25]
	v_fma_f64 v[24:25], v[12:13], v[24:25], -v[26:27]
	scratch_load_b128 v[12:15], off, off offset:720
	v_add_f64_e32 v[26:27], v[208:209], v[206:207]
	v_add_f64_e32 v[198:199], v[198:199], v[200:201]
	s_wait_loadcnt_dscnt 0xb00
	v_mul_f64_e32 v[200:201], v[20:21], v[164:165]
	v_mul_f64_e32 v[164:165], v[22:23], v[164:165]
	v_fmac_f64_e32 v[202:203], v[6:7], v[28:29]
	v_fma_f64 v[206:207], v[4:5], v[28:29], -v[30:31]
	v_add_f64_e32 v[208:209], v[26:27], v[24:25]
	v_add_f64_e32 v[198:199], v[198:199], v[204:205]
	ds_load_b128 v[4:7], v2 offset:1600
	ds_load_b128 v[24:27], v2 offset:1616
	scratch_load_b128 v[28:31], off, off offset:736
	v_fmac_f64_e32 v[200:201], v[22:23], v[162:163]
	v_fma_f64 v[162:163], v[20:21], v[162:163], -v[164:165]
	scratch_load_b128 v[20:23], off, off offset:752
	s_wait_loadcnt_dscnt 0xc01
	v_mul_f64_e32 v[204:205], v[4:5], v[168:169]
	v_mul_f64_e32 v[168:169], v[6:7], v[168:169]
	v_add_f64_e32 v[164:165], v[208:209], v[206:207]
	v_add_f64_e32 v[198:199], v[198:199], v[202:203]
	s_wait_loadcnt_dscnt 0xb00
	v_mul_f64_e32 v[202:203], v[24:25], v[172:173]
	v_mul_f64_e32 v[172:173], v[26:27], v[172:173]
	v_fmac_f64_e32 v[204:205], v[6:7], v[166:167]
	v_fma_f64 v[206:207], v[4:5], v[166:167], -v[168:169]
	v_add_f64_e32 v[208:209], v[164:165], v[162:163]
	v_add_f64_e32 v[198:199], v[198:199], v[200:201]
	ds_load_b128 v[4:7], v2 offset:1632
	ds_load_b128 v[162:165], v2 offset:1648
	scratch_load_b128 v[166:169], off, off offset:768
	v_fmac_f64_e32 v[202:203], v[26:27], v[170:171]
	v_fma_f64 v[170:171], v[24:25], v[170:171], -v[172:173]
	scratch_load_b128 v[24:27], off, off offset:784
	s_wait_loadcnt_dscnt 0xc01
	v_mul_f64_e32 v[200:201], v[4:5], v[180:181]
	v_mul_f64_e32 v[180:181], v[6:7], v[180:181]
	;; [unrolled: 18-line block ×5, first 2 shown]
	v_add_f64_e32 v[192:193], v[208:209], v[206:207]
	v_add_f64_e32 v[198:199], v[198:199], v[204:205]
	s_wait_loadcnt_dscnt 0xa00
	v_mul_f64_e32 v[204:205], v[170:171], v[14:15]
	v_mul_f64_e32 v[14:15], v[172:173], v[14:15]
	v_fmac_f64_e32 v[200:201], v[6:7], v[174:175]
	v_fma_f64 v[206:207], v[4:5], v[174:175], -v[176:177]
	ds_load_b128 v[4:7], v2 offset:1760
	ds_load_b128 v[174:177], v2 offset:1776
	v_add_f64_e32 v[208:209], v[192:193], v[190:191]
	v_add_f64_e32 v[198:199], v[198:199], v[202:203]
	scratch_load_b128 v[190:193], off, off offset:896
	v_fmac_f64_e32 v[204:205], v[172:173], v[12:13]
	v_fma_f64 v[170:171], v[170:171], v[12:13], -v[14:15]
	scratch_load_b128 v[12:15], off, off offset:912
	s_wait_loadcnt_dscnt 0xb01
	v_mul_f64_e32 v[202:203], v[4:5], v[30:31]
	v_mul_f64_e32 v[30:31], v[6:7], v[30:31]
	v_add_f64_e32 v[172:173], v[208:209], v[206:207]
	v_add_f64_e32 v[198:199], v[198:199], v[200:201]
	s_wait_loadcnt_dscnt 0xa00
	v_mul_f64_e32 v[200:201], v[174:175], v[22:23]
	v_mul_f64_e32 v[22:23], v[176:177], v[22:23]
	v_fmac_f64_e32 v[202:203], v[6:7], v[28:29]
	v_fma_f64 v[206:207], v[4:5], v[28:29], -v[30:31]
	ds_load_b128 v[4:7], v2 offset:1792
	ds_load_b128 v[28:31], v2 offset:1808
	v_add_f64_e32 v[208:209], v[172:173], v[170:171]
	v_add_f64_e32 v[198:199], v[198:199], v[204:205]
	scratch_load_b128 v[170:173], off, off offset:928
	s_wait_loadcnt_dscnt 0xa01
	v_mul_f64_e32 v[204:205], v[4:5], v[168:169]
	v_mul_f64_e32 v[168:169], v[6:7], v[168:169]
	v_fmac_f64_e32 v[200:201], v[176:177], v[20:21]
	v_fma_f64 v[174:175], v[174:175], v[20:21], -v[22:23]
	scratch_load_b128 v[20:23], off, off offset:944
	v_add_f64_e32 v[176:177], v[208:209], v[206:207]
	v_add_f64_e32 v[198:199], v[198:199], v[202:203]
	s_wait_loadcnt_dscnt 0xa00
	v_mul_f64_e32 v[202:203], v[28:29], v[26:27]
	v_mul_f64_e32 v[26:27], v[30:31], v[26:27]
	v_fmac_f64_e32 v[204:205], v[6:7], v[166:167]
	v_fma_f64 v[206:207], v[4:5], v[166:167], -v[168:169]
	ds_load_b128 v[4:7], v2 offset:1824
	ds_load_b128 v[166:169], v2 offset:1840
	v_add_f64_e32 v[208:209], v[176:177], v[174:175]
	v_add_f64_e32 v[198:199], v[198:199], v[200:201]
	scratch_load_b128 v[174:177], off, off offset:960
	s_wait_loadcnt_dscnt 0xa01
	v_mul_f64_e32 v[200:201], v[4:5], v[180:181]
	v_mul_f64_e32 v[180:181], v[6:7], v[180:181]
	v_fmac_f64_e32 v[202:203], v[30:31], v[24:25]
	v_fma_f64 v[28:29], v[28:29], v[24:25], -v[26:27]
	scratch_load_b128 v[24:27], off, off offset:976
	v_add_f64_e32 v[30:31], v[208:209], v[206:207]
	v_add_f64_e32 v[198:199], v[198:199], v[204:205]
	s_wait_loadcnt_dscnt 0xa00
	v_mul_f64_e32 v[204:205], v[166:167], v[164:165]
	v_mul_f64_e32 v[164:165], v[168:169], v[164:165]
	v_fmac_f64_e32 v[200:201], v[6:7], v[178:179]
	v_fma_f64 v[206:207], v[4:5], v[178:179], -v[180:181]
	v_add_f64_e32 v[208:209], v[30:31], v[28:29]
	v_add_f64_e32 v[198:199], v[198:199], v[202:203]
	ds_load_b128 v[4:7], v2 offset:1856
	ds_load_b128 v[28:31], v2 offset:1872
	scratch_load_b128 v[178:181], off, off offset:992
	v_fmac_f64_e32 v[204:205], v[168:169], v[162:163]
	v_fma_f64 v[166:167], v[166:167], v[162:163], -v[164:165]
	scratch_load_b128 v[162:165], off, off offset:1008
	s_wait_loadcnt_dscnt 0xb01
	v_mul_f64_e32 v[202:203], v[4:5], v[196:197]
	v_mul_f64_e32 v[196:197], v[6:7], v[196:197]
	v_add_f64_e32 v[168:169], v[208:209], v[206:207]
	v_add_f64_e32 v[198:199], v[198:199], v[200:201]
	s_wait_loadcnt_dscnt 0xa00
	v_mul_f64_e32 v[200:201], v[28:29], v[10:11]
	v_mul_f64_e32 v[10:11], v[30:31], v[10:11]
	v_fmac_f64_e32 v[202:203], v[6:7], v[194:195]
	v_fma_f64 v[194:195], v[4:5], v[194:195], -v[196:197]
	v_add_f64_e32 v[196:197], v[168:169], v[166:167]
	v_add_f64_e32 v[198:199], v[198:199], v[204:205]
	ds_load_b128 v[4:7], v2 offset:1888
	ds_load_b128 v[166:169], v2 offset:1904
	v_fmac_f64_e32 v[200:201], v[30:31], v[8:9]
	v_fma_f64 v[8:9], v[28:29], v[8:9], -v[10:11]
	s_wait_loadcnt_dscnt 0x901
	v_mul_f64_e32 v[204:205], v[4:5], v[184:185]
	v_mul_f64_e32 v[184:185], v[6:7], v[184:185]
	s_wait_loadcnt_dscnt 0x800
	v_mul_f64_e32 v[30:31], v[166:167], v[18:19]
	v_mul_f64_e32 v[18:19], v[168:169], v[18:19]
	v_add_f64_e32 v[10:11], v[196:197], v[194:195]
	v_add_f64_e32 v[28:29], v[198:199], v[202:203]
	v_fmac_f64_e32 v[204:205], v[6:7], v[182:183]
	v_fma_f64 v[182:183], v[4:5], v[182:183], -v[184:185]
	v_fmac_f64_e32 v[30:31], v[168:169], v[16:17]
	v_fma_f64 v[16:17], v[166:167], v[16:17], -v[18:19]
	v_add_f64_e32 v[184:185], v[10:11], v[8:9]
	v_add_f64_e32 v[28:29], v[28:29], v[200:201]
	ds_load_b128 v[4:7], v2 offset:1920
	ds_load_b128 v[8:11], v2 offset:1936
	s_wait_loadcnt_dscnt 0x701
	v_mul_f64_e32 v[194:195], v[4:5], v[192:193]
	v_mul_f64_e32 v[192:193], v[6:7], v[192:193]
	s_wait_loadcnt_dscnt 0x600
	v_mul_f64_e32 v[166:167], v[8:9], v[14:15]
	v_mul_f64_e32 v[168:169], v[10:11], v[14:15]
	v_add_f64_e32 v[18:19], v[184:185], v[182:183]
	v_add_f64_e32 v[28:29], v[28:29], v[204:205]
	v_fmac_f64_e32 v[194:195], v[6:7], v[190:191]
	v_fma_f64 v[182:183], v[4:5], v[190:191], -v[192:193]
	v_fmac_f64_e32 v[166:167], v[10:11], v[12:13]
	v_fma_f64 v[8:9], v[8:9], v[12:13], -v[168:169]
	v_add_f64_e32 v[18:19], v[18:19], v[16:17]
	v_add_f64_e32 v[28:29], v[28:29], v[30:31]
	ds_load_b128 v[4:7], v2 offset:1952
	ds_load_b128 v[14:17], v2 offset:1968
	s_wait_loadcnt_dscnt 0x501
	v_mul_f64_e32 v[30:31], v[4:5], v[172:173]
	v_mul_f64_e32 v[172:173], v[6:7], v[172:173]
	v_add_f64_e32 v[10:11], v[18:19], v[182:183]
	v_add_f64_e32 v[12:13], v[28:29], v[194:195]
	s_wait_loadcnt_dscnt 0x400
	v_mul_f64_e32 v[18:19], v[14:15], v[22:23]
	v_mul_f64_e32 v[22:23], v[16:17], v[22:23]
	v_fmac_f64_e32 v[30:31], v[6:7], v[170:171]
	v_fma_f64 v[28:29], v[4:5], v[170:171], -v[172:173]
	v_add_f64_e32 v[168:169], v[10:11], v[8:9]
	v_add_f64_e32 v[12:13], v[12:13], v[166:167]
	ds_load_b128 v[4:7], v2 offset:1984
	ds_load_b128 v[8:11], v2 offset:2000
	v_fmac_f64_e32 v[18:19], v[16:17], v[20:21]
	v_fma_f64 v[14:15], v[14:15], v[20:21], -v[22:23]
	s_wait_loadcnt_dscnt 0x301
	v_mul_f64_e32 v[166:167], v[4:5], v[176:177]
	v_mul_f64_e32 v[170:171], v[6:7], v[176:177]
	s_wait_loadcnt_dscnt 0x200
	v_mul_f64_e32 v[20:21], v[8:9], v[26:27]
	v_mul_f64_e32 v[22:23], v[10:11], v[26:27]
	v_add_f64_e32 v[16:17], v[168:169], v[28:29]
	v_add_f64_e32 v[12:13], v[12:13], v[30:31]
	v_fmac_f64_e32 v[166:167], v[6:7], v[174:175]
	v_fma_f64 v[26:27], v[4:5], v[174:175], -v[170:171]
	v_fmac_f64_e32 v[20:21], v[10:11], v[24:25]
	v_fma_f64 v[8:9], v[8:9], v[24:25], -v[22:23]
	v_add_f64_e32 v[16:17], v[16:17], v[14:15]
	v_add_f64_e32 v[18:19], v[12:13], v[18:19]
	ds_load_b128 v[4:7], v2 offset:2016
	ds_load_b128 v[12:15], v2 offset:2032
	s_wait_loadcnt_dscnt 0x101
	v_mul_f64_e32 v[2:3], v[4:5], v[180:181]
	v_mul_f64_e32 v[28:29], v[6:7], v[180:181]
	s_wait_loadcnt_dscnt 0x0
	v_mul_f64_e32 v[22:23], v[14:15], v[164:165]
	v_add_f64_e32 v[10:11], v[16:17], v[26:27]
	v_add_f64_e32 v[16:17], v[18:19], v[166:167]
	v_mul_f64_e32 v[18:19], v[12:13], v[164:165]
	v_fmac_f64_e32 v[2:3], v[6:7], v[178:179]
	v_fma_f64 v[4:5], v[4:5], v[178:179], -v[28:29]
	v_add_f64_e32 v[6:7], v[10:11], v[8:9]
	v_add_f64_e32 v[8:9], v[16:17], v[20:21]
	v_fmac_f64_e32 v[18:19], v[14:15], v[162:163]
	v_fma_f64 v[10:11], v[12:13], v[162:163], -v[22:23]
	s_delay_alu instid0(VALU_DEP_4) | instskip(NEXT) | instid1(VALU_DEP_4)
	v_add_f64_e32 v[4:5], v[6:7], v[4:5]
	v_add_f64_e32 v[2:3], v[8:9], v[2:3]
	s_delay_alu instid0(VALU_DEP_2) | instskip(NEXT) | instid1(VALU_DEP_2)
	v_add_f64_e32 v[4:5], v[4:5], v[10:11]
	v_add_f64_e32 v[6:7], v[2:3], v[18:19]
	s_delay_alu instid0(VALU_DEP_2) | instskip(NEXT) | instid1(VALU_DEP_2)
	v_add_f64_e64 v[2:3], v[186:187], -v[4:5]
	v_add_f64_e64 v[4:5], v[188:189], -v[6:7]
	scratch_store_b128 off, v[2:5], off offset:432
	s_wait_xcnt 0x0
	v_cmpx_lt_u32_e32 26, v1
	s_cbranch_execz .LBB63_357
; %bb.356:
	scratch_load_b128 v[2:5], off, s69
	v_mov_b32_e32 v6, 0
	s_delay_alu instid0(VALU_DEP_1)
	v_dual_mov_b32 v7, v6 :: v_dual_mov_b32 v8, v6
	v_mov_b32_e32 v9, v6
	scratch_store_b128 off, v[6:9], off offset:416
	s_wait_loadcnt 0x0
	ds_store_b128 v160, v[2:5]
.LBB63_357:
	s_wait_xcnt 0x0
	s_or_b32 exec_lo, exec_lo, s2
	s_wait_storecnt_dscnt 0x0
	s_barrier_signal -1
	s_barrier_wait -1
	s_clause 0x9
	scratch_load_b128 v[4:7], off, off offset:432
	scratch_load_b128 v[8:11], off, off offset:448
	scratch_load_b128 v[12:15], off, off offset:464
	scratch_load_b128 v[16:19], off, off offset:480
	scratch_load_b128 v[20:23], off, off offset:496
	scratch_load_b128 v[24:27], off, off offset:512
	scratch_load_b128 v[28:31], off, off offset:528
	scratch_load_b128 v[162:165], off, off offset:544
	scratch_load_b128 v[166:169], off, off offset:560
	scratch_load_b128 v[170:173], off, off offset:576
	v_mov_b32_e32 v2, 0
	s_mov_b32 s2, exec_lo
	ds_load_b128 v[174:177], v2 offset:1456
	s_clause 0x2
	scratch_load_b128 v[178:181], off, off offset:592
	scratch_load_b128 v[182:185], off, off offset:416
	;; [unrolled: 1-line block ×3, first 2 shown]
	s_wait_loadcnt_dscnt 0xc00
	v_mul_f64_e32 v[194:195], v[176:177], v[6:7]
	v_mul_f64_e32 v[198:199], v[174:175], v[6:7]
	ds_load_b128 v[186:189], v2 offset:1472
	v_fma_f64 v[202:203], v[174:175], v[4:5], -v[194:195]
	v_fmac_f64_e32 v[198:199], v[176:177], v[4:5]
	ds_load_b128 v[4:7], v2 offset:1488
	s_wait_loadcnt_dscnt 0xb01
	v_mul_f64_e32 v[200:201], v[186:187], v[10:11]
	v_mul_f64_e32 v[10:11], v[188:189], v[10:11]
	scratch_load_b128 v[174:177], off, off offset:624
	ds_load_b128 v[194:197], v2 offset:1504
	s_wait_loadcnt_dscnt 0xb01
	v_mul_f64_e32 v[204:205], v[4:5], v[14:15]
	v_mul_f64_e32 v[14:15], v[6:7], v[14:15]
	v_add_f64_e32 v[198:199], 0, v[198:199]
	v_fmac_f64_e32 v[200:201], v[188:189], v[8:9]
	v_fma_f64 v[186:187], v[186:187], v[8:9], -v[10:11]
	v_add_f64_e32 v[188:189], 0, v[202:203]
	scratch_load_b128 v[8:11], off, off offset:640
	v_fmac_f64_e32 v[204:205], v[6:7], v[12:13]
	v_fma_f64 v[206:207], v[4:5], v[12:13], -v[14:15]
	ds_load_b128 v[4:7], v2 offset:1520
	s_wait_loadcnt_dscnt 0xb01
	v_mul_f64_e32 v[202:203], v[194:195], v[18:19]
	v_mul_f64_e32 v[18:19], v[196:197], v[18:19]
	scratch_load_b128 v[12:15], off, off offset:656
	v_add_f64_e32 v[198:199], v[198:199], v[200:201]
	v_add_f64_e32 v[208:209], v[188:189], v[186:187]
	ds_load_b128 v[186:189], v2 offset:1536
	s_wait_loadcnt_dscnt 0xb01
	v_mul_f64_e32 v[200:201], v[4:5], v[22:23]
	v_mul_f64_e32 v[22:23], v[6:7], v[22:23]
	v_fmac_f64_e32 v[202:203], v[196:197], v[16:17]
	v_fma_f64 v[194:195], v[194:195], v[16:17], -v[18:19]
	scratch_load_b128 v[16:19], off, off offset:672
	v_add_f64_e32 v[198:199], v[198:199], v[204:205]
	v_add_f64_e32 v[196:197], v[208:209], v[206:207]
	v_fmac_f64_e32 v[200:201], v[6:7], v[20:21]
	v_fma_f64 v[206:207], v[4:5], v[20:21], -v[22:23]
	ds_load_b128 v[4:7], v2 offset:1552
	s_wait_loadcnt_dscnt 0xb01
	v_mul_f64_e32 v[204:205], v[186:187], v[26:27]
	v_mul_f64_e32 v[26:27], v[188:189], v[26:27]
	scratch_load_b128 v[20:23], off, off offset:688
	v_add_f64_e32 v[198:199], v[198:199], v[202:203]
	s_wait_loadcnt_dscnt 0xb00
	v_mul_f64_e32 v[202:203], v[4:5], v[30:31]
	v_add_f64_e32 v[208:209], v[196:197], v[194:195]
	v_mul_f64_e32 v[30:31], v[6:7], v[30:31]
	ds_load_b128 v[194:197], v2 offset:1568
	v_fmac_f64_e32 v[204:205], v[188:189], v[24:25]
	v_fma_f64 v[186:187], v[186:187], v[24:25], -v[26:27]
	scratch_load_b128 v[24:27], off, off offset:704
	v_add_f64_e32 v[198:199], v[198:199], v[200:201]
	v_fmac_f64_e32 v[202:203], v[6:7], v[28:29]
	v_add_f64_e32 v[188:189], v[208:209], v[206:207]
	v_fma_f64 v[206:207], v[4:5], v[28:29], -v[30:31]
	ds_load_b128 v[4:7], v2 offset:1584
	s_wait_loadcnt_dscnt 0xb01
	v_mul_f64_e32 v[200:201], v[194:195], v[164:165]
	v_mul_f64_e32 v[164:165], v[196:197], v[164:165]
	scratch_load_b128 v[28:31], off, off offset:720
	v_add_f64_e32 v[198:199], v[198:199], v[204:205]
	s_wait_loadcnt_dscnt 0xb00
	v_mul_f64_e32 v[204:205], v[4:5], v[168:169]
	v_add_f64_e32 v[208:209], v[188:189], v[186:187]
	v_mul_f64_e32 v[168:169], v[6:7], v[168:169]
	ds_load_b128 v[186:189], v2 offset:1600
	v_fmac_f64_e32 v[200:201], v[196:197], v[162:163]
	v_fma_f64 v[194:195], v[194:195], v[162:163], -v[164:165]
	scratch_load_b128 v[162:165], off, off offset:736
	v_add_f64_e32 v[198:199], v[198:199], v[202:203]
	v_fmac_f64_e32 v[204:205], v[6:7], v[166:167]
	v_add_f64_e32 v[196:197], v[208:209], v[206:207]
	;; [unrolled: 18-line block ×3, first 2 shown]
	v_fma_f64 v[206:207], v[4:5], v[178:179], -v[180:181]
	ds_load_b128 v[4:7], v2 offset:1648
	s_wait_loadcnt_dscnt 0xa01
	v_mul_f64_e32 v[204:205], v[194:195], v[192:193]
	v_mul_f64_e32 v[192:193], v[196:197], v[192:193]
	scratch_load_b128 v[178:181], off, off offset:784
	v_add_f64_e32 v[198:199], v[198:199], v[202:203]
	v_add_f64_e32 v[208:209], v[188:189], v[186:187]
	s_wait_loadcnt_dscnt 0xa00
	v_mul_f64_e32 v[202:203], v[4:5], v[176:177]
	v_mul_f64_e32 v[176:177], v[6:7], v[176:177]
	v_fmac_f64_e32 v[204:205], v[196:197], v[190:191]
	v_fma_f64 v[194:195], v[194:195], v[190:191], -v[192:193]
	ds_load_b128 v[186:189], v2 offset:1664
	scratch_load_b128 v[190:193], off, off offset:800
	v_add_f64_e32 v[198:199], v[198:199], v[200:201]
	v_add_f64_e32 v[196:197], v[208:209], v[206:207]
	v_fmac_f64_e32 v[202:203], v[6:7], v[174:175]
	v_fma_f64 v[206:207], v[4:5], v[174:175], -v[176:177]
	ds_load_b128 v[4:7], v2 offset:1680
	s_wait_loadcnt_dscnt 0xa01
	v_mul_f64_e32 v[200:201], v[186:187], v[10:11]
	v_mul_f64_e32 v[10:11], v[188:189], v[10:11]
	scratch_load_b128 v[174:177], off, off offset:816
	v_add_f64_e32 v[198:199], v[198:199], v[204:205]
	s_wait_loadcnt_dscnt 0xa00
	v_mul_f64_e32 v[204:205], v[4:5], v[14:15]
	v_add_f64_e32 v[208:209], v[196:197], v[194:195]
	v_mul_f64_e32 v[14:15], v[6:7], v[14:15]
	ds_load_b128 v[194:197], v2 offset:1696
	v_fmac_f64_e32 v[200:201], v[188:189], v[8:9]
	v_fma_f64 v[186:187], v[186:187], v[8:9], -v[10:11]
	scratch_load_b128 v[8:11], off, off offset:832
	v_add_f64_e32 v[198:199], v[198:199], v[202:203]
	v_fmac_f64_e32 v[204:205], v[6:7], v[12:13]
	v_add_f64_e32 v[188:189], v[208:209], v[206:207]
	v_fma_f64 v[206:207], v[4:5], v[12:13], -v[14:15]
	ds_load_b128 v[4:7], v2 offset:1712
	s_wait_loadcnt_dscnt 0xa01
	v_mul_f64_e32 v[202:203], v[194:195], v[18:19]
	v_mul_f64_e32 v[18:19], v[196:197], v[18:19]
	scratch_load_b128 v[12:15], off, off offset:848
	v_add_f64_e32 v[198:199], v[198:199], v[200:201]
	s_wait_loadcnt_dscnt 0xa00
	v_mul_f64_e32 v[200:201], v[4:5], v[22:23]
	v_add_f64_e32 v[208:209], v[188:189], v[186:187]
	v_mul_f64_e32 v[22:23], v[6:7], v[22:23]
	ds_load_b128 v[186:189], v2 offset:1728
	v_fmac_f64_e32 v[202:203], v[196:197], v[16:17]
	v_fma_f64 v[194:195], v[194:195], v[16:17], -v[18:19]
	scratch_load_b128 v[16:19], off, off offset:864
	v_add_f64_e32 v[198:199], v[198:199], v[204:205]
	v_fmac_f64_e32 v[200:201], v[6:7], v[20:21]
	v_add_f64_e32 v[196:197], v[208:209], v[206:207]
	;; [unrolled: 18-line block ×6, first 2 shown]
	v_fma_f64 v[206:207], v[4:5], v[174:175], -v[176:177]
	ds_load_b128 v[4:7], v2 offset:1872
	s_wait_loadcnt_dscnt 0xa01
	v_mul_f64_e32 v[200:201], v[186:187], v[10:11]
	v_mul_f64_e32 v[10:11], v[188:189], v[10:11]
	scratch_load_b128 v[174:177], off, off offset:1008
	v_add_f64_e32 v[198:199], v[198:199], v[204:205]
	s_wait_loadcnt_dscnt 0xa00
	v_mul_f64_e32 v[204:205], v[4:5], v[14:15]
	v_add_f64_e32 v[208:209], v[196:197], v[194:195]
	v_mul_f64_e32 v[14:15], v[6:7], v[14:15]
	ds_load_b128 v[194:197], v2 offset:1888
	v_fmac_f64_e32 v[200:201], v[188:189], v[8:9]
	v_fma_f64 v[8:9], v[186:187], v[8:9], -v[10:11]
	s_wait_loadcnt_dscnt 0x900
	v_mul_f64_e32 v[188:189], v[194:195], v[18:19]
	v_mul_f64_e32 v[18:19], v[196:197], v[18:19]
	v_add_f64_e32 v[186:187], v[198:199], v[202:203]
	v_fmac_f64_e32 v[204:205], v[6:7], v[12:13]
	v_add_f64_e32 v[10:11], v[208:209], v[206:207]
	v_fma_f64 v[12:13], v[4:5], v[12:13], -v[14:15]
	v_fmac_f64_e32 v[188:189], v[196:197], v[16:17]
	v_fma_f64 v[16:17], v[194:195], v[16:17], -v[18:19]
	v_add_f64_e32 v[186:187], v[186:187], v[200:201]
	v_add_f64_e32 v[14:15], v[10:11], v[8:9]
	ds_load_b128 v[4:7], v2 offset:1904
	ds_load_b128 v[8:11], v2 offset:1920
	s_wait_loadcnt_dscnt 0x801
	v_mul_f64_e32 v[198:199], v[4:5], v[22:23]
	v_mul_f64_e32 v[22:23], v[6:7], v[22:23]
	s_wait_loadcnt_dscnt 0x700
	v_mul_f64_e32 v[18:19], v[8:9], v[26:27]
	v_mul_f64_e32 v[26:27], v[10:11], v[26:27]
	v_add_f64_e32 v[12:13], v[14:15], v[12:13]
	v_add_f64_e32 v[14:15], v[186:187], v[204:205]
	v_fmac_f64_e32 v[198:199], v[6:7], v[20:21]
	v_fma_f64 v[20:21], v[4:5], v[20:21], -v[22:23]
	v_fmac_f64_e32 v[18:19], v[10:11], v[24:25]
	v_fma_f64 v[8:9], v[8:9], v[24:25], -v[26:27]
	v_add_f64_e32 v[16:17], v[12:13], v[16:17]
	v_add_f64_e32 v[22:23], v[14:15], v[188:189]
	ds_load_b128 v[4:7], v2 offset:1936
	ds_load_b128 v[12:15], v2 offset:1952
	s_wait_loadcnt_dscnt 0x601
	v_mul_f64_e32 v[186:187], v[4:5], v[30:31]
	v_mul_f64_e32 v[30:31], v[6:7], v[30:31]
	v_add_f64_e32 v[10:11], v[16:17], v[20:21]
	v_add_f64_e32 v[16:17], v[22:23], v[198:199]
	s_wait_loadcnt_dscnt 0x500
	v_mul_f64_e32 v[20:21], v[12:13], v[164:165]
	v_mul_f64_e32 v[22:23], v[14:15], v[164:165]
	v_fmac_f64_e32 v[186:187], v[6:7], v[28:29]
	v_fma_f64 v[24:25], v[4:5], v[28:29], -v[30:31]
	v_add_f64_e32 v[26:27], v[10:11], v[8:9]
	v_add_f64_e32 v[16:17], v[16:17], v[18:19]
	ds_load_b128 v[4:7], v2 offset:1968
	ds_load_b128 v[8:11], v2 offset:1984
	v_fmac_f64_e32 v[20:21], v[14:15], v[162:163]
	v_fma_f64 v[12:13], v[12:13], v[162:163], -v[22:23]
	s_wait_loadcnt_dscnt 0x401
	v_mul_f64_e32 v[18:19], v[4:5], v[168:169]
	v_mul_f64_e32 v[28:29], v[6:7], v[168:169]
	s_wait_loadcnt_dscnt 0x300
	v_mul_f64_e32 v[22:23], v[8:9], v[172:173]
	v_add_f64_e32 v[14:15], v[26:27], v[24:25]
	v_add_f64_e32 v[16:17], v[16:17], v[186:187]
	v_mul_f64_e32 v[24:25], v[10:11], v[172:173]
	v_fmac_f64_e32 v[18:19], v[6:7], v[166:167]
	v_fma_f64 v[26:27], v[4:5], v[166:167], -v[28:29]
	v_fmac_f64_e32 v[22:23], v[10:11], v[170:171]
	v_add_f64_e32 v[28:29], v[14:15], v[12:13]
	v_add_f64_e32 v[16:17], v[16:17], v[20:21]
	ds_load_b128 v[4:7], v2 offset:2000
	ds_load_b128 v[12:15], v2 offset:2016
	v_fma_f64 v[8:9], v[8:9], v[170:171], -v[24:25]
	s_wait_loadcnt_dscnt 0x201
	v_mul_f64_e32 v[20:21], v[4:5], v[180:181]
	v_mul_f64_e32 v[30:31], v[6:7], v[180:181]
	s_wait_loadcnt_dscnt 0x100
	v_mul_f64_e32 v[24:25], v[14:15], v[192:193]
	v_add_f64_e32 v[10:11], v[28:29], v[26:27]
	v_add_f64_e32 v[16:17], v[16:17], v[18:19]
	v_mul_f64_e32 v[18:19], v[12:13], v[192:193]
	v_fmac_f64_e32 v[20:21], v[6:7], v[178:179]
	v_fma_f64 v[26:27], v[4:5], v[178:179], -v[30:31]
	ds_load_b128 v[4:7], v2 offset:2032
	v_fma_f64 v[12:13], v[12:13], v[190:191], -v[24:25]
	v_add_f64_e32 v[8:9], v[10:11], v[8:9]
	v_add_f64_e32 v[10:11], v[16:17], v[22:23]
	v_fmac_f64_e32 v[18:19], v[14:15], v[190:191]
	s_wait_loadcnt_dscnt 0x0
	v_mul_f64_e32 v[16:17], v[4:5], v[176:177]
	v_mul_f64_e32 v[22:23], v[6:7], v[176:177]
	v_add_f64_e32 v[8:9], v[8:9], v[26:27]
	v_add_f64_e32 v[10:11], v[10:11], v[20:21]
	s_delay_alu instid0(VALU_DEP_4) | instskip(NEXT) | instid1(VALU_DEP_4)
	v_fmac_f64_e32 v[16:17], v[6:7], v[174:175]
	v_fma_f64 v[4:5], v[4:5], v[174:175], -v[22:23]
	s_delay_alu instid0(VALU_DEP_4) | instskip(NEXT) | instid1(VALU_DEP_4)
	v_add_f64_e32 v[6:7], v[8:9], v[12:13]
	v_add_f64_e32 v[8:9], v[10:11], v[18:19]
	s_delay_alu instid0(VALU_DEP_2) | instskip(NEXT) | instid1(VALU_DEP_2)
	v_add_f64_e32 v[4:5], v[6:7], v[4:5]
	v_add_f64_e32 v[6:7], v[8:9], v[16:17]
	s_delay_alu instid0(VALU_DEP_2) | instskip(NEXT) | instid1(VALU_DEP_2)
	v_add_f64_e64 v[4:5], v[182:183], -v[4:5]
	v_add_f64_e64 v[6:7], v[184:185], -v[6:7]
	scratch_store_b128 off, v[4:7], off offset:416
	s_wait_xcnt 0x0
	v_cmpx_lt_u32_e32 25, v1
	s_cbranch_execz .LBB63_359
; %bb.358:
	scratch_load_b128 v[6:9], off, s68
	v_dual_mov_b32 v3, v2 :: v_dual_mov_b32 v4, v2
	v_mov_b32_e32 v5, v2
	scratch_store_b128 off, v[2:5], off offset:400
	s_wait_loadcnt 0x0
	ds_store_b128 v160, v[6:9]
.LBB63_359:
	s_wait_xcnt 0x0
	s_or_b32 exec_lo, exec_lo, s2
	s_wait_storecnt_dscnt 0x0
	s_barrier_signal -1
	s_barrier_wait -1
	s_clause 0x9
	scratch_load_b128 v[4:7], off, off offset:416
	scratch_load_b128 v[8:11], off, off offset:432
	;; [unrolled: 1-line block ×10, first 2 shown]
	ds_load_b128 v[174:177], v2 offset:1440
	ds_load_b128 v[182:185], v2 offset:1456
	s_clause 0x2
	scratch_load_b128 v[178:181], off, off offset:576
	scratch_load_b128 v[186:189], off, off offset:400
	;; [unrolled: 1-line block ×3, first 2 shown]
	s_mov_b32 s2, exec_lo
	s_wait_loadcnt_dscnt 0xc01
	v_mul_f64_e32 v[194:195], v[176:177], v[6:7]
	v_mul_f64_e32 v[198:199], v[174:175], v[6:7]
	s_wait_loadcnt_dscnt 0xb00
	v_mul_f64_e32 v[200:201], v[182:183], v[10:11]
	v_mul_f64_e32 v[10:11], v[184:185], v[10:11]
	s_delay_alu instid0(VALU_DEP_4) | instskip(NEXT) | instid1(VALU_DEP_4)
	v_fma_f64 v[202:203], v[174:175], v[4:5], -v[194:195]
	v_fmac_f64_e32 v[198:199], v[176:177], v[4:5]
	ds_load_b128 v[4:7], v2 offset:1472
	ds_load_b128 v[174:177], v2 offset:1488
	scratch_load_b128 v[194:197], off, off offset:608
	v_fmac_f64_e32 v[200:201], v[184:185], v[8:9]
	v_fma_f64 v[182:183], v[182:183], v[8:9], -v[10:11]
	scratch_load_b128 v[8:11], off, off offset:624
	s_wait_loadcnt_dscnt 0xc01
	v_mul_f64_e32 v[204:205], v[4:5], v[14:15]
	v_mul_f64_e32 v[14:15], v[6:7], v[14:15]
	v_add_f64_e32 v[184:185], 0, v[202:203]
	v_add_f64_e32 v[198:199], 0, v[198:199]
	s_wait_loadcnt_dscnt 0xb00
	v_mul_f64_e32 v[202:203], v[174:175], v[18:19]
	v_mul_f64_e32 v[18:19], v[176:177], v[18:19]
	v_fmac_f64_e32 v[204:205], v[6:7], v[12:13]
	v_fma_f64 v[206:207], v[4:5], v[12:13], -v[14:15]
	ds_load_b128 v[4:7], v2 offset:1504
	ds_load_b128 v[12:15], v2 offset:1520
	v_add_f64_e32 v[208:209], v[184:185], v[182:183]
	v_add_f64_e32 v[198:199], v[198:199], v[200:201]
	scratch_load_b128 v[182:185], off, off offset:640
	v_fmac_f64_e32 v[202:203], v[176:177], v[16:17]
	v_fma_f64 v[174:175], v[174:175], v[16:17], -v[18:19]
	scratch_load_b128 v[16:19], off, off offset:656
	s_wait_loadcnt_dscnt 0xc01
	v_mul_f64_e32 v[200:201], v[4:5], v[22:23]
	v_mul_f64_e32 v[22:23], v[6:7], v[22:23]
	v_add_f64_e32 v[176:177], v[208:209], v[206:207]
	v_add_f64_e32 v[198:199], v[198:199], v[204:205]
	s_wait_loadcnt_dscnt 0xb00
	v_mul_f64_e32 v[204:205], v[12:13], v[26:27]
	v_mul_f64_e32 v[26:27], v[14:15], v[26:27]
	v_fmac_f64_e32 v[200:201], v[6:7], v[20:21]
	v_fma_f64 v[206:207], v[4:5], v[20:21], -v[22:23]
	ds_load_b128 v[4:7], v2 offset:1536
	ds_load_b128 v[20:23], v2 offset:1552
	v_add_f64_e32 v[208:209], v[176:177], v[174:175]
	v_add_f64_e32 v[198:199], v[198:199], v[202:203]
	scratch_load_b128 v[174:177], off, off offset:672
	s_wait_loadcnt_dscnt 0xb01
	v_mul_f64_e32 v[202:203], v[4:5], v[30:31]
	v_mul_f64_e32 v[30:31], v[6:7], v[30:31]
	v_fmac_f64_e32 v[204:205], v[14:15], v[24:25]
	v_fma_f64 v[24:25], v[12:13], v[24:25], -v[26:27]
	scratch_load_b128 v[12:15], off, off offset:688
	v_add_f64_e32 v[26:27], v[208:209], v[206:207]
	v_add_f64_e32 v[198:199], v[198:199], v[200:201]
	s_wait_loadcnt_dscnt 0xb00
	v_mul_f64_e32 v[200:201], v[20:21], v[164:165]
	v_mul_f64_e32 v[164:165], v[22:23], v[164:165]
	v_fmac_f64_e32 v[202:203], v[6:7], v[28:29]
	v_fma_f64 v[206:207], v[4:5], v[28:29], -v[30:31]
	v_add_f64_e32 v[208:209], v[26:27], v[24:25]
	v_add_f64_e32 v[198:199], v[198:199], v[204:205]
	ds_load_b128 v[4:7], v2 offset:1568
	ds_load_b128 v[24:27], v2 offset:1584
	scratch_load_b128 v[28:31], off, off offset:704
	v_fmac_f64_e32 v[200:201], v[22:23], v[162:163]
	v_fma_f64 v[162:163], v[20:21], v[162:163], -v[164:165]
	scratch_load_b128 v[20:23], off, off offset:720
	s_wait_loadcnt_dscnt 0xc01
	v_mul_f64_e32 v[204:205], v[4:5], v[168:169]
	v_mul_f64_e32 v[168:169], v[6:7], v[168:169]
	v_add_f64_e32 v[164:165], v[208:209], v[206:207]
	v_add_f64_e32 v[198:199], v[198:199], v[202:203]
	s_wait_loadcnt_dscnt 0xb00
	v_mul_f64_e32 v[202:203], v[24:25], v[172:173]
	v_mul_f64_e32 v[172:173], v[26:27], v[172:173]
	v_fmac_f64_e32 v[204:205], v[6:7], v[166:167]
	v_fma_f64 v[206:207], v[4:5], v[166:167], -v[168:169]
	v_add_f64_e32 v[208:209], v[164:165], v[162:163]
	v_add_f64_e32 v[198:199], v[198:199], v[200:201]
	ds_load_b128 v[4:7], v2 offset:1600
	ds_load_b128 v[162:165], v2 offset:1616
	scratch_load_b128 v[166:169], off, off offset:736
	v_fmac_f64_e32 v[202:203], v[26:27], v[170:171]
	v_fma_f64 v[170:171], v[24:25], v[170:171], -v[172:173]
	scratch_load_b128 v[24:27], off, off offset:752
	s_wait_loadcnt_dscnt 0xc01
	v_mul_f64_e32 v[200:201], v[4:5], v[180:181]
	v_mul_f64_e32 v[180:181], v[6:7], v[180:181]
	v_add_f64_e32 v[172:173], v[208:209], v[206:207]
	v_add_f64_e32 v[198:199], v[198:199], v[204:205]
	s_wait_loadcnt_dscnt 0xa00
	v_mul_f64_e32 v[204:205], v[162:163], v[192:193]
	v_mul_f64_e32 v[192:193], v[164:165], v[192:193]
	v_fmac_f64_e32 v[200:201], v[6:7], v[178:179]
	v_fma_f64 v[206:207], v[4:5], v[178:179], -v[180:181]
	v_add_f64_e32 v[208:209], v[172:173], v[170:171]
	v_add_f64_e32 v[198:199], v[198:199], v[202:203]
	ds_load_b128 v[4:7], v2 offset:1632
	ds_load_b128 v[170:173], v2 offset:1648
	scratch_load_b128 v[178:181], off, off offset:768
	v_fmac_f64_e32 v[204:205], v[164:165], v[190:191]
	v_fma_f64 v[190:191], v[162:163], v[190:191], -v[192:193]
	scratch_load_b128 v[162:165], off, off offset:784
	s_wait_loadcnt_dscnt 0xb01
	v_mul_f64_e32 v[202:203], v[4:5], v[196:197]
	v_mul_f64_e32 v[196:197], v[6:7], v[196:197]
	v_add_f64_e32 v[192:193], v[208:209], v[206:207]
	v_add_f64_e32 v[198:199], v[198:199], v[200:201]
	s_wait_loadcnt_dscnt 0xa00
	v_mul_f64_e32 v[200:201], v[170:171], v[10:11]
	v_mul_f64_e32 v[10:11], v[172:173], v[10:11]
	v_fmac_f64_e32 v[202:203], v[6:7], v[194:195]
	v_fma_f64 v[206:207], v[4:5], v[194:195], -v[196:197]
	v_add_f64_e32 v[208:209], v[192:193], v[190:191]
	v_add_f64_e32 v[198:199], v[198:199], v[204:205]
	ds_load_b128 v[4:7], v2 offset:1664
	ds_load_b128 v[190:193], v2 offset:1680
	scratch_load_b128 v[194:197], off, off offset:800
	v_fmac_f64_e32 v[200:201], v[172:173], v[8:9]
	v_fma_f64 v[170:171], v[170:171], v[8:9], -v[10:11]
	scratch_load_b128 v[8:11], off, off offset:816
	s_wait_loadcnt_dscnt 0xb01
	v_mul_f64_e32 v[204:205], v[4:5], v[184:185]
	v_mul_f64_e32 v[184:185], v[6:7], v[184:185]
	v_add_f64_e32 v[172:173], v[208:209], v[206:207]
	v_add_f64_e32 v[198:199], v[198:199], v[202:203]
	s_wait_loadcnt_dscnt 0xa00
	v_mul_f64_e32 v[202:203], v[190:191], v[18:19]
	v_mul_f64_e32 v[18:19], v[192:193], v[18:19]
	v_fmac_f64_e32 v[204:205], v[6:7], v[182:183]
	v_fma_f64 v[206:207], v[4:5], v[182:183], -v[184:185]
	v_add_f64_e32 v[208:209], v[172:173], v[170:171]
	v_add_f64_e32 v[198:199], v[198:199], v[200:201]
	ds_load_b128 v[4:7], v2 offset:1696
	ds_load_b128 v[170:173], v2 offset:1712
	scratch_load_b128 v[182:185], off, off offset:832
	v_fmac_f64_e32 v[202:203], v[192:193], v[16:17]
	v_fma_f64 v[190:191], v[190:191], v[16:17], -v[18:19]
	scratch_load_b128 v[16:19], off, off offset:848
	s_wait_loadcnt_dscnt 0xb01
	v_mul_f64_e32 v[200:201], v[4:5], v[176:177]
	v_mul_f64_e32 v[176:177], v[6:7], v[176:177]
	v_add_f64_e32 v[192:193], v[208:209], v[206:207]
	v_add_f64_e32 v[198:199], v[198:199], v[204:205]
	s_wait_loadcnt_dscnt 0xa00
	v_mul_f64_e32 v[204:205], v[170:171], v[14:15]
	v_mul_f64_e32 v[14:15], v[172:173], v[14:15]
	v_fmac_f64_e32 v[200:201], v[6:7], v[174:175]
	v_fma_f64 v[206:207], v[4:5], v[174:175], -v[176:177]
	ds_load_b128 v[4:7], v2 offset:1728
	ds_load_b128 v[174:177], v2 offset:1744
	v_add_f64_e32 v[208:209], v[192:193], v[190:191]
	v_add_f64_e32 v[198:199], v[198:199], v[202:203]
	scratch_load_b128 v[190:193], off, off offset:864
	v_fmac_f64_e32 v[204:205], v[172:173], v[12:13]
	v_fma_f64 v[170:171], v[170:171], v[12:13], -v[14:15]
	scratch_load_b128 v[12:15], off, off offset:880
	s_wait_loadcnt_dscnt 0xb01
	v_mul_f64_e32 v[202:203], v[4:5], v[30:31]
	v_mul_f64_e32 v[30:31], v[6:7], v[30:31]
	v_add_f64_e32 v[172:173], v[208:209], v[206:207]
	v_add_f64_e32 v[198:199], v[198:199], v[200:201]
	s_wait_loadcnt_dscnt 0xa00
	v_mul_f64_e32 v[200:201], v[174:175], v[22:23]
	v_mul_f64_e32 v[22:23], v[176:177], v[22:23]
	v_fmac_f64_e32 v[202:203], v[6:7], v[28:29]
	v_fma_f64 v[206:207], v[4:5], v[28:29], -v[30:31]
	ds_load_b128 v[4:7], v2 offset:1760
	ds_load_b128 v[28:31], v2 offset:1776
	v_add_f64_e32 v[208:209], v[172:173], v[170:171]
	v_add_f64_e32 v[198:199], v[198:199], v[204:205]
	scratch_load_b128 v[170:173], off, off offset:896
	s_wait_loadcnt_dscnt 0xa01
	v_mul_f64_e32 v[204:205], v[4:5], v[168:169]
	v_mul_f64_e32 v[168:169], v[6:7], v[168:169]
	v_fmac_f64_e32 v[200:201], v[176:177], v[20:21]
	v_fma_f64 v[174:175], v[174:175], v[20:21], -v[22:23]
	scratch_load_b128 v[20:23], off, off offset:912
	v_add_f64_e32 v[176:177], v[208:209], v[206:207]
	v_add_f64_e32 v[198:199], v[198:199], v[202:203]
	s_wait_loadcnt_dscnt 0xa00
	v_mul_f64_e32 v[202:203], v[28:29], v[26:27]
	v_mul_f64_e32 v[26:27], v[30:31], v[26:27]
	v_fmac_f64_e32 v[204:205], v[6:7], v[166:167]
	v_fma_f64 v[206:207], v[4:5], v[166:167], -v[168:169]
	ds_load_b128 v[4:7], v2 offset:1792
	ds_load_b128 v[166:169], v2 offset:1808
	v_add_f64_e32 v[208:209], v[176:177], v[174:175]
	v_add_f64_e32 v[198:199], v[198:199], v[200:201]
	scratch_load_b128 v[174:177], off, off offset:928
	s_wait_loadcnt_dscnt 0xa01
	v_mul_f64_e32 v[200:201], v[4:5], v[180:181]
	v_mul_f64_e32 v[180:181], v[6:7], v[180:181]
	v_fmac_f64_e32 v[202:203], v[30:31], v[24:25]
	v_fma_f64 v[28:29], v[28:29], v[24:25], -v[26:27]
	scratch_load_b128 v[24:27], off, off offset:944
	v_add_f64_e32 v[30:31], v[208:209], v[206:207]
	v_add_f64_e32 v[198:199], v[198:199], v[204:205]
	s_wait_loadcnt_dscnt 0xa00
	v_mul_f64_e32 v[204:205], v[166:167], v[164:165]
	v_mul_f64_e32 v[164:165], v[168:169], v[164:165]
	v_fmac_f64_e32 v[200:201], v[6:7], v[178:179]
	v_fma_f64 v[206:207], v[4:5], v[178:179], -v[180:181]
	v_add_f64_e32 v[208:209], v[30:31], v[28:29]
	v_add_f64_e32 v[198:199], v[198:199], v[202:203]
	ds_load_b128 v[4:7], v2 offset:1824
	ds_load_b128 v[28:31], v2 offset:1840
	scratch_load_b128 v[178:181], off, off offset:960
	v_fmac_f64_e32 v[204:205], v[168:169], v[162:163]
	v_fma_f64 v[166:167], v[166:167], v[162:163], -v[164:165]
	scratch_load_b128 v[162:165], off, off offset:976
	s_wait_loadcnt_dscnt 0xb01
	v_mul_f64_e32 v[202:203], v[4:5], v[196:197]
	v_mul_f64_e32 v[196:197], v[6:7], v[196:197]
	v_add_f64_e32 v[168:169], v[208:209], v[206:207]
	v_add_f64_e32 v[198:199], v[198:199], v[200:201]
	s_wait_loadcnt_dscnt 0xa00
	v_mul_f64_e32 v[200:201], v[28:29], v[10:11]
	v_mul_f64_e32 v[10:11], v[30:31], v[10:11]
	v_fmac_f64_e32 v[202:203], v[6:7], v[194:195]
	v_fma_f64 v[206:207], v[4:5], v[194:195], -v[196:197]
	v_add_f64_e32 v[208:209], v[168:169], v[166:167]
	v_add_f64_e32 v[198:199], v[198:199], v[204:205]
	ds_load_b128 v[4:7], v2 offset:1856
	ds_load_b128 v[166:169], v2 offset:1872
	scratch_load_b128 v[194:197], off, off offset:992
	v_fmac_f64_e32 v[200:201], v[30:31], v[8:9]
	v_fma_f64 v[28:29], v[28:29], v[8:9], -v[10:11]
	scratch_load_b128 v[8:11], off, off offset:1008
	s_wait_loadcnt_dscnt 0xb01
	v_mul_f64_e32 v[204:205], v[4:5], v[184:185]
	v_mul_f64_e32 v[184:185], v[6:7], v[184:185]
	v_add_f64_e32 v[30:31], v[208:209], v[206:207]
	v_add_f64_e32 v[198:199], v[198:199], v[202:203]
	s_wait_loadcnt_dscnt 0xa00
	v_mul_f64_e32 v[202:203], v[166:167], v[18:19]
	v_mul_f64_e32 v[18:19], v[168:169], v[18:19]
	v_fmac_f64_e32 v[204:205], v[6:7], v[182:183]
	v_fma_f64 v[182:183], v[4:5], v[182:183], -v[184:185]
	v_add_f64_e32 v[184:185], v[30:31], v[28:29]
	v_add_f64_e32 v[198:199], v[198:199], v[200:201]
	ds_load_b128 v[4:7], v2 offset:1888
	ds_load_b128 v[28:31], v2 offset:1904
	v_fmac_f64_e32 v[202:203], v[168:169], v[16:17]
	v_fma_f64 v[16:17], v[166:167], v[16:17], -v[18:19]
	s_wait_loadcnt_dscnt 0x901
	v_mul_f64_e32 v[200:201], v[4:5], v[192:193]
	v_mul_f64_e32 v[192:193], v[6:7], v[192:193]
	s_wait_loadcnt_dscnt 0x800
	v_mul_f64_e32 v[168:169], v[28:29], v[14:15]
	v_add_f64_e32 v[18:19], v[184:185], v[182:183]
	v_add_f64_e32 v[166:167], v[198:199], v[204:205]
	v_mul_f64_e32 v[182:183], v[30:31], v[14:15]
	v_fmac_f64_e32 v[200:201], v[6:7], v[190:191]
	v_fma_f64 v[184:185], v[4:5], v[190:191], -v[192:193]
	v_fmac_f64_e32 v[168:169], v[30:31], v[12:13]
	v_add_f64_e32 v[18:19], v[18:19], v[16:17]
	v_add_f64_e32 v[166:167], v[166:167], v[202:203]
	ds_load_b128 v[4:7], v2 offset:1920
	ds_load_b128 v[14:17], v2 offset:1936
	v_fma_f64 v[12:13], v[28:29], v[12:13], -v[182:183]
	s_wait_loadcnt_dscnt 0x701
	v_mul_f64_e32 v[190:191], v[4:5], v[172:173]
	v_mul_f64_e32 v[172:173], v[6:7], v[172:173]
	v_add_f64_e32 v[18:19], v[18:19], v[184:185]
	v_add_f64_e32 v[28:29], v[166:167], v[200:201]
	s_wait_loadcnt_dscnt 0x600
	v_mul_f64_e32 v[166:167], v[14:15], v[22:23]
	v_mul_f64_e32 v[22:23], v[16:17], v[22:23]
	v_fmac_f64_e32 v[190:191], v[6:7], v[170:171]
	v_fma_f64 v[170:171], v[4:5], v[170:171], -v[172:173]
	v_add_f64_e32 v[12:13], v[18:19], v[12:13]
	v_add_f64_e32 v[18:19], v[28:29], v[168:169]
	ds_load_b128 v[4:7], v2 offset:1952
	ds_load_b128 v[28:31], v2 offset:1968
	v_fmac_f64_e32 v[166:167], v[16:17], v[20:21]
	v_fma_f64 v[14:15], v[14:15], v[20:21], -v[22:23]
	s_wait_loadcnt_dscnt 0x501
	v_mul_f64_e32 v[168:169], v[4:5], v[176:177]
	v_mul_f64_e32 v[172:173], v[6:7], v[176:177]
	s_wait_loadcnt_dscnt 0x400
	v_mul_f64_e32 v[20:21], v[30:31], v[26:27]
	v_add_f64_e32 v[12:13], v[12:13], v[170:171]
	v_add_f64_e32 v[16:17], v[18:19], v[190:191]
	v_mul_f64_e32 v[18:19], v[28:29], v[26:27]
	v_fmac_f64_e32 v[168:169], v[6:7], v[174:175]
	v_fma_f64 v[22:23], v[4:5], v[174:175], -v[172:173]
	v_fma_f64 v[20:21], v[28:29], v[24:25], -v[20:21]
	v_add_f64_e32 v[26:27], v[12:13], v[14:15]
	v_add_f64_e32 v[16:17], v[16:17], v[166:167]
	ds_load_b128 v[4:7], v2 offset:1984
	ds_load_b128 v[12:15], v2 offset:2000
	v_fmac_f64_e32 v[18:19], v[30:31], v[24:25]
	s_wait_loadcnt_dscnt 0x301
	v_mul_f64_e32 v[166:167], v[4:5], v[180:181]
	v_mul_f64_e32 v[170:171], v[6:7], v[180:181]
	s_wait_loadcnt_dscnt 0x200
	v_mul_f64_e32 v[24:25], v[12:13], v[164:165]
	v_add_f64_e32 v[22:23], v[26:27], v[22:23]
	v_add_f64_e32 v[16:17], v[16:17], v[168:169]
	v_mul_f64_e32 v[26:27], v[14:15], v[164:165]
	v_fmac_f64_e32 v[166:167], v[6:7], v[178:179]
	v_fma_f64 v[28:29], v[4:5], v[178:179], -v[170:171]
	v_fmac_f64_e32 v[24:25], v[14:15], v[162:163]
	v_add_f64_e32 v[20:21], v[22:23], v[20:21]
	v_add_f64_e32 v[22:23], v[16:17], v[18:19]
	ds_load_b128 v[4:7], v2 offset:2016
	ds_load_b128 v[16:19], v2 offset:2032
	v_fma_f64 v[12:13], v[12:13], v[162:163], -v[26:27]
	s_wait_loadcnt_dscnt 0x101
	v_mul_f64_e32 v[2:3], v[4:5], v[196:197]
	v_mul_f64_e32 v[30:31], v[6:7], v[196:197]
	v_add_f64_e32 v[14:15], v[20:21], v[28:29]
	v_add_f64_e32 v[20:21], v[22:23], v[166:167]
	s_wait_loadcnt_dscnt 0x0
	v_mul_f64_e32 v[22:23], v[16:17], v[10:11]
	v_mul_f64_e32 v[10:11], v[18:19], v[10:11]
	v_fmac_f64_e32 v[2:3], v[6:7], v[194:195]
	v_fma_f64 v[4:5], v[4:5], v[194:195], -v[30:31]
	v_add_f64_e32 v[6:7], v[14:15], v[12:13]
	v_add_f64_e32 v[12:13], v[20:21], v[24:25]
	v_fmac_f64_e32 v[22:23], v[18:19], v[8:9]
	v_fma_f64 v[8:9], v[16:17], v[8:9], -v[10:11]
	s_delay_alu instid0(VALU_DEP_4) | instskip(NEXT) | instid1(VALU_DEP_4)
	v_add_f64_e32 v[4:5], v[6:7], v[4:5]
	v_add_f64_e32 v[2:3], v[12:13], v[2:3]
	s_delay_alu instid0(VALU_DEP_2) | instskip(NEXT) | instid1(VALU_DEP_2)
	v_add_f64_e32 v[4:5], v[4:5], v[8:9]
	v_add_f64_e32 v[6:7], v[2:3], v[22:23]
	s_delay_alu instid0(VALU_DEP_2) | instskip(NEXT) | instid1(VALU_DEP_2)
	v_add_f64_e64 v[2:3], v[186:187], -v[4:5]
	v_add_f64_e64 v[4:5], v[188:189], -v[6:7]
	scratch_store_b128 off, v[2:5], off offset:400
	s_wait_xcnt 0x0
	v_cmpx_lt_u32_e32 24, v1
	s_cbranch_execz .LBB63_361
; %bb.360:
	scratch_load_b128 v[2:5], off, s66
	v_mov_b32_e32 v6, 0
	s_delay_alu instid0(VALU_DEP_1)
	v_dual_mov_b32 v7, v6 :: v_dual_mov_b32 v8, v6
	v_mov_b32_e32 v9, v6
	scratch_store_b128 off, v[6:9], off offset:384
	s_wait_loadcnt 0x0
	ds_store_b128 v160, v[2:5]
.LBB63_361:
	s_wait_xcnt 0x0
	s_or_b32 exec_lo, exec_lo, s2
	s_wait_storecnt_dscnt 0x0
	s_barrier_signal -1
	s_barrier_wait -1
	s_clause 0x9
	scratch_load_b128 v[4:7], off, off offset:400
	scratch_load_b128 v[8:11], off, off offset:416
	;; [unrolled: 1-line block ×10, first 2 shown]
	v_mov_b32_e32 v2, 0
	s_mov_b32 s2, exec_lo
	ds_load_b128 v[174:177], v2 offset:1424
	s_clause 0x2
	scratch_load_b128 v[178:181], off, off offset:560
	scratch_load_b128 v[182:185], off, off offset:384
	;; [unrolled: 1-line block ×3, first 2 shown]
	s_wait_loadcnt_dscnt 0xc00
	v_mul_f64_e32 v[194:195], v[176:177], v[6:7]
	v_mul_f64_e32 v[198:199], v[174:175], v[6:7]
	ds_load_b128 v[186:189], v2 offset:1440
	v_fma_f64 v[202:203], v[174:175], v[4:5], -v[194:195]
	v_fmac_f64_e32 v[198:199], v[176:177], v[4:5]
	ds_load_b128 v[4:7], v2 offset:1456
	s_wait_loadcnt_dscnt 0xb01
	v_mul_f64_e32 v[200:201], v[186:187], v[10:11]
	v_mul_f64_e32 v[10:11], v[188:189], v[10:11]
	scratch_load_b128 v[174:177], off, off offset:592
	ds_load_b128 v[194:197], v2 offset:1472
	s_wait_loadcnt_dscnt 0xb01
	v_mul_f64_e32 v[204:205], v[4:5], v[14:15]
	v_mul_f64_e32 v[14:15], v[6:7], v[14:15]
	v_add_f64_e32 v[198:199], 0, v[198:199]
	v_fmac_f64_e32 v[200:201], v[188:189], v[8:9]
	v_fma_f64 v[186:187], v[186:187], v[8:9], -v[10:11]
	v_add_f64_e32 v[188:189], 0, v[202:203]
	scratch_load_b128 v[8:11], off, off offset:608
	v_fmac_f64_e32 v[204:205], v[6:7], v[12:13]
	v_fma_f64 v[206:207], v[4:5], v[12:13], -v[14:15]
	ds_load_b128 v[4:7], v2 offset:1488
	s_wait_loadcnt_dscnt 0xb01
	v_mul_f64_e32 v[202:203], v[194:195], v[18:19]
	v_mul_f64_e32 v[18:19], v[196:197], v[18:19]
	scratch_load_b128 v[12:15], off, off offset:624
	v_add_f64_e32 v[198:199], v[198:199], v[200:201]
	v_add_f64_e32 v[208:209], v[188:189], v[186:187]
	ds_load_b128 v[186:189], v2 offset:1504
	s_wait_loadcnt_dscnt 0xb01
	v_mul_f64_e32 v[200:201], v[4:5], v[22:23]
	v_mul_f64_e32 v[22:23], v[6:7], v[22:23]
	v_fmac_f64_e32 v[202:203], v[196:197], v[16:17]
	v_fma_f64 v[194:195], v[194:195], v[16:17], -v[18:19]
	scratch_load_b128 v[16:19], off, off offset:640
	v_add_f64_e32 v[198:199], v[198:199], v[204:205]
	v_add_f64_e32 v[196:197], v[208:209], v[206:207]
	v_fmac_f64_e32 v[200:201], v[6:7], v[20:21]
	v_fma_f64 v[206:207], v[4:5], v[20:21], -v[22:23]
	ds_load_b128 v[4:7], v2 offset:1520
	s_wait_loadcnt_dscnt 0xb01
	v_mul_f64_e32 v[204:205], v[186:187], v[26:27]
	v_mul_f64_e32 v[26:27], v[188:189], v[26:27]
	scratch_load_b128 v[20:23], off, off offset:656
	v_add_f64_e32 v[198:199], v[198:199], v[202:203]
	s_wait_loadcnt_dscnt 0xb00
	v_mul_f64_e32 v[202:203], v[4:5], v[30:31]
	v_add_f64_e32 v[208:209], v[196:197], v[194:195]
	v_mul_f64_e32 v[30:31], v[6:7], v[30:31]
	ds_load_b128 v[194:197], v2 offset:1536
	v_fmac_f64_e32 v[204:205], v[188:189], v[24:25]
	v_fma_f64 v[186:187], v[186:187], v[24:25], -v[26:27]
	scratch_load_b128 v[24:27], off, off offset:672
	v_add_f64_e32 v[198:199], v[198:199], v[200:201]
	v_fmac_f64_e32 v[202:203], v[6:7], v[28:29]
	v_add_f64_e32 v[188:189], v[208:209], v[206:207]
	v_fma_f64 v[206:207], v[4:5], v[28:29], -v[30:31]
	ds_load_b128 v[4:7], v2 offset:1552
	s_wait_loadcnt_dscnt 0xb01
	v_mul_f64_e32 v[200:201], v[194:195], v[164:165]
	v_mul_f64_e32 v[164:165], v[196:197], v[164:165]
	scratch_load_b128 v[28:31], off, off offset:688
	v_add_f64_e32 v[198:199], v[198:199], v[204:205]
	s_wait_loadcnt_dscnt 0xb00
	v_mul_f64_e32 v[204:205], v[4:5], v[168:169]
	v_add_f64_e32 v[208:209], v[188:189], v[186:187]
	v_mul_f64_e32 v[168:169], v[6:7], v[168:169]
	ds_load_b128 v[186:189], v2 offset:1568
	v_fmac_f64_e32 v[200:201], v[196:197], v[162:163]
	v_fma_f64 v[194:195], v[194:195], v[162:163], -v[164:165]
	scratch_load_b128 v[162:165], off, off offset:704
	v_add_f64_e32 v[198:199], v[198:199], v[202:203]
	v_fmac_f64_e32 v[204:205], v[6:7], v[166:167]
	v_add_f64_e32 v[196:197], v[208:209], v[206:207]
	;; [unrolled: 18-line block ×3, first 2 shown]
	v_fma_f64 v[206:207], v[4:5], v[178:179], -v[180:181]
	ds_load_b128 v[4:7], v2 offset:1616
	s_wait_loadcnt_dscnt 0xa01
	v_mul_f64_e32 v[204:205], v[194:195], v[192:193]
	v_mul_f64_e32 v[192:193], v[196:197], v[192:193]
	scratch_load_b128 v[178:181], off, off offset:752
	v_add_f64_e32 v[198:199], v[198:199], v[202:203]
	v_add_f64_e32 v[208:209], v[188:189], v[186:187]
	s_wait_loadcnt_dscnt 0xa00
	v_mul_f64_e32 v[202:203], v[4:5], v[176:177]
	v_mul_f64_e32 v[176:177], v[6:7], v[176:177]
	v_fmac_f64_e32 v[204:205], v[196:197], v[190:191]
	v_fma_f64 v[194:195], v[194:195], v[190:191], -v[192:193]
	ds_load_b128 v[186:189], v2 offset:1632
	scratch_load_b128 v[190:193], off, off offset:768
	v_add_f64_e32 v[198:199], v[198:199], v[200:201]
	v_add_f64_e32 v[196:197], v[208:209], v[206:207]
	v_fmac_f64_e32 v[202:203], v[6:7], v[174:175]
	v_fma_f64 v[206:207], v[4:5], v[174:175], -v[176:177]
	ds_load_b128 v[4:7], v2 offset:1648
	s_wait_loadcnt_dscnt 0xa01
	v_mul_f64_e32 v[200:201], v[186:187], v[10:11]
	v_mul_f64_e32 v[10:11], v[188:189], v[10:11]
	scratch_load_b128 v[174:177], off, off offset:784
	v_add_f64_e32 v[198:199], v[198:199], v[204:205]
	s_wait_loadcnt_dscnt 0xa00
	v_mul_f64_e32 v[204:205], v[4:5], v[14:15]
	v_add_f64_e32 v[208:209], v[196:197], v[194:195]
	v_mul_f64_e32 v[14:15], v[6:7], v[14:15]
	ds_load_b128 v[194:197], v2 offset:1664
	v_fmac_f64_e32 v[200:201], v[188:189], v[8:9]
	v_fma_f64 v[186:187], v[186:187], v[8:9], -v[10:11]
	scratch_load_b128 v[8:11], off, off offset:800
	v_add_f64_e32 v[198:199], v[198:199], v[202:203]
	v_fmac_f64_e32 v[204:205], v[6:7], v[12:13]
	v_add_f64_e32 v[188:189], v[208:209], v[206:207]
	v_fma_f64 v[206:207], v[4:5], v[12:13], -v[14:15]
	ds_load_b128 v[4:7], v2 offset:1680
	s_wait_loadcnt_dscnt 0xa01
	v_mul_f64_e32 v[202:203], v[194:195], v[18:19]
	v_mul_f64_e32 v[18:19], v[196:197], v[18:19]
	scratch_load_b128 v[12:15], off, off offset:816
	v_add_f64_e32 v[198:199], v[198:199], v[200:201]
	s_wait_loadcnt_dscnt 0xa00
	v_mul_f64_e32 v[200:201], v[4:5], v[22:23]
	v_add_f64_e32 v[208:209], v[188:189], v[186:187]
	v_mul_f64_e32 v[22:23], v[6:7], v[22:23]
	ds_load_b128 v[186:189], v2 offset:1696
	v_fmac_f64_e32 v[202:203], v[196:197], v[16:17]
	v_fma_f64 v[194:195], v[194:195], v[16:17], -v[18:19]
	scratch_load_b128 v[16:19], off, off offset:832
	v_add_f64_e32 v[198:199], v[198:199], v[204:205]
	v_fmac_f64_e32 v[200:201], v[6:7], v[20:21]
	v_add_f64_e32 v[196:197], v[208:209], v[206:207]
	v_fma_f64 v[206:207], v[4:5], v[20:21], -v[22:23]
	ds_load_b128 v[4:7], v2 offset:1712
	s_wait_loadcnt_dscnt 0xa01
	v_mul_f64_e32 v[204:205], v[186:187], v[26:27]
	v_mul_f64_e32 v[26:27], v[188:189], v[26:27]
	scratch_load_b128 v[20:23], off, off offset:848
	v_add_f64_e32 v[198:199], v[198:199], v[202:203]
	s_wait_loadcnt_dscnt 0xa00
	v_mul_f64_e32 v[202:203], v[4:5], v[30:31]
	v_add_f64_e32 v[208:209], v[196:197], v[194:195]
	v_mul_f64_e32 v[30:31], v[6:7], v[30:31]
	ds_load_b128 v[194:197], v2 offset:1728
	v_fmac_f64_e32 v[204:205], v[188:189], v[24:25]
	v_fma_f64 v[186:187], v[186:187], v[24:25], -v[26:27]
	scratch_load_b128 v[24:27], off, off offset:864
	v_add_f64_e32 v[198:199], v[198:199], v[200:201]
	v_fmac_f64_e32 v[202:203], v[6:7], v[28:29]
	v_add_f64_e32 v[188:189], v[208:209], v[206:207]
	v_fma_f64 v[206:207], v[4:5], v[28:29], -v[30:31]
	ds_load_b128 v[4:7], v2 offset:1744
	s_wait_loadcnt_dscnt 0xa01
	v_mul_f64_e32 v[200:201], v[194:195], v[164:165]
	v_mul_f64_e32 v[164:165], v[196:197], v[164:165]
	scratch_load_b128 v[28:31], off, off offset:880
	v_add_f64_e32 v[198:199], v[198:199], v[204:205]
	s_wait_loadcnt_dscnt 0xa00
	v_mul_f64_e32 v[204:205], v[4:5], v[168:169]
	v_add_f64_e32 v[208:209], v[188:189], v[186:187]
	v_mul_f64_e32 v[168:169], v[6:7], v[168:169]
	ds_load_b128 v[186:189], v2 offset:1760
	v_fmac_f64_e32 v[200:201], v[196:197], v[162:163]
	v_fma_f64 v[194:195], v[194:195], v[162:163], -v[164:165]
	scratch_load_b128 v[162:165], off, off offset:896
	v_add_f64_e32 v[198:199], v[198:199], v[202:203]
	v_fmac_f64_e32 v[204:205], v[6:7], v[166:167]
	v_add_f64_e32 v[196:197], v[208:209], v[206:207]
	v_fma_f64 v[206:207], v[4:5], v[166:167], -v[168:169]
	ds_load_b128 v[4:7], v2 offset:1776
	s_wait_loadcnt_dscnt 0xa01
	v_mul_f64_e32 v[202:203], v[186:187], v[172:173]
	v_mul_f64_e32 v[172:173], v[188:189], v[172:173]
	scratch_load_b128 v[166:169], off, off offset:912
	v_add_f64_e32 v[198:199], v[198:199], v[200:201]
	s_wait_loadcnt_dscnt 0xa00
	v_mul_f64_e32 v[200:201], v[4:5], v[180:181]
	v_add_f64_e32 v[208:209], v[196:197], v[194:195]
	v_mul_f64_e32 v[180:181], v[6:7], v[180:181]
	ds_load_b128 v[194:197], v2 offset:1792
	v_fmac_f64_e32 v[202:203], v[188:189], v[170:171]
	v_fma_f64 v[186:187], v[186:187], v[170:171], -v[172:173]
	scratch_load_b128 v[170:173], off, off offset:928
	v_add_f64_e32 v[198:199], v[198:199], v[204:205]
	v_fmac_f64_e32 v[200:201], v[6:7], v[178:179]
	v_add_f64_e32 v[188:189], v[208:209], v[206:207]
	v_fma_f64 v[206:207], v[4:5], v[178:179], -v[180:181]
	ds_load_b128 v[4:7], v2 offset:1808
	s_wait_loadcnt_dscnt 0xa01
	v_mul_f64_e32 v[204:205], v[194:195], v[192:193]
	v_mul_f64_e32 v[192:193], v[196:197], v[192:193]
	scratch_load_b128 v[178:181], off, off offset:944
	v_add_f64_e32 v[198:199], v[198:199], v[202:203]
	s_wait_loadcnt_dscnt 0xa00
	v_mul_f64_e32 v[202:203], v[4:5], v[176:177]
	v_add_f64_e32 v[208:209], v[188:189], v[186:187]
	v_mul_f64_e32 v[176:177], v[6:7], v[176:177]
	ds_load_b128 v[186:189], v2 offset:1824
	v_fmac_f64_e32 v[204:205], v[196:197], v[190:191]
	v_fma_f64 v[194:195], v[194:195], v[190:191], -v[192:193]
	scratch_load_b128 v[190:193], off, off offset:960
	v_add_f64_e32 v[198:199], v[198:199], v[200:201]
	v_fmac_f64_e32 v[202:203], v[6:7], v[174:175]
	v_add_f64_e32 v[196:197], v[208:209], v[206:207]
	v_fma_f64 v[206:207], v[4:5], v[174:175], -v[176:177]
	ds_load_b128 v[4:7], v2 offset:1840
	s_wait_loadcnt_dscnt 0xa01
	v_mul_f64_e32 v[200:201], v[186:187], v[10:11]
	v_mul_f64_e32 v[10:11], v[188:189], v[10:11]
	scratch_load_b128 v[174:177], off, off offset:976
	v_add_f64_e32 v[198:199], v[198:199], v[204:205]
	s_wait_loadcnt_dscnt 0xa00
	v_mul_f64_e32 v[204:205], v[4:5], v[14:15]
	v_add_f64_e32 v[208:209], v[196:197], v[194:195]
	v_mul_f64_e32 v[14:15], v[6:7], v[14:15]
	ds_load_b128 v[194:197], v2 offset:1856
	v_fmac_f64_e32 v[200:201], v[188:189], v[8:9]
	v_fma_f64 v[186:187], v[186:187], v[8:9], -v[10:11]
	scratch_load_b128 v[8:11], off, off offset:992
	v_add_f64_e32 v[198:199], v[198:199], v[202:203]
	v_fmac_f64_e32 v[204:205], v[6:7], v[12:13]
	v_add_f64_e32 v[188:189], v[208:209], v[206:207]
	v_fma_f64 v[206:207], v[4:5], v[12:13], -v[14:15]
	ds_load_b128 v[4:7], v2 offset:1872
	s_wait_loadcnt_dscnt 0xa01
	v_mul_f64_e32 v[202:203], v[194:195], v[18:19]
	v_mul_f64_e32 v[18:19], v[196:197], v[18:19]
	scratch_load_b128 v[12:15], off, off offset:1008
	v_add_f64_e32 v[198:199], v[198:199], v[200:201]
	s_wait_loadcnt_dscnt 0xa00
	v_mul_f64_e32 v[200:201], v[4:5], v[22:23]
	v_add_f64_e32 v[208:209], v[188:189], v[186:187]
	v_mul_f64_e32 v[22:23], v[6:7], v[22:23]
	ds_load_b128 v[186:189], v2 offset:1888
	v_fmac_f64_e32 v[202:203], v[196:197], v[16:17]
	v_fma_f64 v[16:17], v[194:195], v[16:17], -v[18:19]
	s_wait_loadcnt_dscnt 0x900
	v_mul_f64_e32 v[196:197], v[186:187], v[26:27]
	v_mul_f64_e32 v[26:27], v[188:189], v[26:27]
	v_add_f64_e32 v[194:195], v[198:199], v[204:205]
	v_fmac_f64_e32 v[200:201], v[6:7], v[20:21]
	v_add_f64_e32 v[18:19], v[208:209], v[206:207]
	v_fma_f64 v[20:21], v[4:5], v[20:21], -v[22:23]
	v_fmac_f64_e32 v[196:197], v[188:189], v[24:25]
	v_fma_f64 v[24:25], v[186:187], v[24:25], -v[26:27]
	v_add_f64_e32 v[194:195], v[194:195], v[202:203]
	v_add_f64_e32 v[22:23], v[18:19], v[16:17]
	ds_load_b128 v[4:7], v2 offset:1904
	ds_load_b128 v[16:19], v2 offset:1920
	s_wait_loadcnt_dscnt 0x801
	v_mul_f64_e32 v[198:199], v[4:5], v[30:31]
	v_mul_f64_e32 v[30:31], v[6:7], v[30:31]
	s_wait_loadcnt_dscnt 0x700
	v_mul_f64_e32 v[26:27], v[16:17], v[164:165]
	v_mul_f64_e32 v[164:165], v[18:19], v[164:165]
	v_add_f64_e32 v[20:21], v[22:23], v[20:21]
	v_add_f64_e32 v[22:23], v[194:195], v[200:201]
	v_fmac_f64_e32 v[198:199], v[6:7], v[28:29]
	v_fma_f64 v[28:29], v[4:5], v[28:29], -v[30:31]
	v_fmac_f64_e32 v[26:27], v[18:19], v[162:163]
	v_fma_f64 v[16:17], v[16:17], v[162:163], -v[164:165]
	v_add_f64_e32 v[24:25], v[20:21], v[24:25]
	v_add_f64_e32 v[30:31], v[22:23], v[196:197]
	ds_load_b128 v[4:7], v2 offset:1936
	ds_load_b128 v[20:23], v2 offset:1952
	s_wait_loadcnt_dscnt 0x601
	v_mul_f64_e32 v[186:187], v[4:5], v[168:169]
	v_mul_f64_e32 v[168:169], v[6:7], v[168:169]
	v_add_f64_e32 v[18:19], v[24:25], v[28:29]
	v_add_f64_e32 v[24:25], v[30:31], v[198:199]
	s_wait_loadcnt_dscnt 0x500
	v_mul_f64_e32 v[28:29], v[20:21], v[172:173]
	v_mul_f64_e32 v[30:31], v[22:23], v[172:173]
	v_fmac_f64_e32 v[186:187], v[6:7], v[166:167]
	v_fma_f64 v[162:163], v[4:5], v[166:167], -v[168:169]
	v_add_f64_e32 v[164:165], v[18:19], v[16:17]
	v_add_f64_e32 v[24:25], v[24:25], v[26:27]
	ds_load_b128 v[4:7], v2 offset:1968
	ds_load_b128 v[16:19], v2 offset:1984
	v_fmac_f64_e32 v[28:29], v[22:23], v[170:171]
	v_fma_f64 v[20:21], v[20:21], v[170:171], -v[30:31]
	s_wait_loadcnt_dscnt 0x401
	v_mul_f64_e32 v[26:27], v[4:5], v[180:181]
	v_mul_f64_e32 v[166:167], v[6:7], v[180:181]
	s_wait_loadcnt_dscnt 0x300
	v_mul_f64_e32 v[30:31], v[16:17], v[192:193]
	v_add_f64_e32 v[22:23], v[164:165], v[162:163]
	v_add_f64_e32 v[24:25], v[24:25], v[186:187]
	v_mul_f64_e32 v[162:163], v[18:19], v[192:193]
	v_fmac_f64_e32 v[26:27], v[6:7], v[178:179]
	v_fma_f64 v[164:165], v[4:5], v[178:179], -v[166:167]
	v_fmac_f64_e32 v[30:31], v[18:19], v[190:191]
	v_add_f64_e32 v[166:167], v[22:23], v[20:21]
	v_add_f64_e32 v[24:25], v[24:25], v[28:29]
	ds_load_b128 v[4:7], v2 offset:2000
	ds_load_b128 v[20:23], v2 offset:2016
	v_fma_f64 v[16:17], v[16:17], v[190:191], -v[162:163]
	s_wait_loadcnt_dscnt 0x201
	v_mul_f64_e32 v[28:29], v[4:5], v[176:177]
	v_mul_f64_e32 v[168:169], v[6:7], v[176:177]
	v_add_f64_e32 v[18:19], v[166:167], v[164:165]
	v_add_f64_e32 v[24:25], v[24:25], v[26:27]
	s_wait_loadcnt_dscnt 0x100
	v_mul_f64_e32 v[26:27], v[20:21], v[10:11]
	v_mul_f64_e32 v[10:11], v[22:23], v[10:11]
	v_fmac_f64_e32 v[28:29], v[6:7], v[174:175]
	v_fma_f64 v[162:163], v[4:5], v[174:175], -v[168:169]
	ds_load_b128 v[4:7], v2 offset:2032
	v_add_f64_e32 v[16:17], v[18:19], v[16:17]
	v_add_f64_e32 v[18:19], v[24:25], v[30:31]
	v_fmac_f64_e32 v[26:27], v[22:23], v[8:9]
	v_fma_f64 v[8:9], v[20:21], v[8:9], -v[10:11]
	s_wait_loadcnt_dscnt 0x0
	v_mul_f64_e32 v[24:25], v[4:5], v[14:15]
	v_mul_f64_e32 v[14:15], v[6:7], v[14:15]
	v_add_f64_e32 v[10:11], v[16:17], v[162:163]
	v_add_f64_e32 v[16:17], v[18:19], v[28:29]
	s_delay_alu instid0(VALU_DEP_4) | instskip(NEXT) | instid1(VALU_DEP_4)
	v_fmac_f64_e32 v[24:25], v[6:7], v[12:13]
	v_fma_f64 v[4:5], v[4:5], v[12:13], -v[14:15]
	s_delay_alu instid0(VALU_DEP_4) | instskip(NEXT) | instid1(VALU_DEP_4)
	v_add_f64_e32 v[6:7], v[10:11], v[8:9]
	v_add_f64_e32 v[8:9], v[16:17], v[26:27]
	s_delay_alu instid0(VALU_DEP_2) | instskip(NEXT) | instid1(VALU_DEP_2)
	v_add_f64_e32 v[4:5], v[6:7], v[4:5]
	v_add_f64_e32 v[6:7], v[8:9], v[24:25]
	s_delay_alu instid0(VALU_DEP_2) | instskip(NEXT) | instid1(VALU_DEP_2)
	v_add_f64_e64 v[4:5], v[182:183], -v[4:5]
	v_add_f64_e64 v[6:7], v[184:185], -v[6:7]
	scratch_store_b128 off, v[4:7], off offset:384
	s_wait_xcnt 0x0
	v_cmpx_lt_u32_e32 23, v1
	s_cbranch_execz .LBB63_363
; %bb.362:
	scratch_load_b128 v[6:9], off, s64
	v_dual_mov_b32 v3, v2 :: v_dual_mov_b32 v4, v2
	v_mov_b32_e32 v5, v2
	scratch_store_b128 off, v[2:5], off offset:368
	s_wait_loadcnt 0x0
	ds_store_b128 v160, v[6:9]
.LBB63_363:
	s_wait_xcnt 0x0
	s_or_b32 exec_lo, exec_lo, s2
	s_wait_storecnt_dscnt 0x0
	s_barrier_signal -1
	s_barrier_wait -1
	s_clause 0x9
	scratch_load_b128 v[4:7], off, off offset:384
	scratch_load_b128 v[8:11], off, off offset:400
	;; [unrolled: 1-line block ×10, first 2 shown]
	ds_load_b128 v[174:177], v2 offset:1408
	ds_load_b128 v[182:185], v2 offset:1424
	s_clause 0x2
	scratch_load_b128 v[178:181], off, off offset:544
	scratch_load_b128 v[186:189], off, off offset:368
	scratch_load_b128 v[190:193], off, off offset:560
	s_mov_b32 s2, exec_lo
	s_wait_loadcnt_dscnt 0xc01
	v_mul_f64_e32 v[194:195], v[176:177], v[6:7]
	v_mul_f64_e32 v[198:199], v[174:175], v[6:7]
	s_wait_loadcnt_dscnt 0xb00
	v_mul_f64_e32 v[200:201], v[182:183], v[10:11]
	v_mul_f64_e32 v[10:11], v[184:185], v[10:11]
	s_delay_alu instid0(VALU_DEP_4) | instskip(NEXT) | instid1(VALU_DEP_4)
	v_fma_f64 v[202:203], v[174:175], v[4:5], -v[194:195]
	v_fmac_f64_e32 v[198:199], v[176:177], v[4:5]
	ds_load_b128 v[4:7], v2 offset:1440
	ds_load_b128 v[174:177], v2 offset:1456
	scratch_load_b128 v[194:197], off, off offset:576
	v_fmac_f64_e32 v[200:201], v[184:185], v[8:9]
	v_fma_f64 v[182:183], v[182:183], v[8:9], -v[10:11]
	scratch_load_b128 v[8:11], off, off offset:592
	s_wait_loadcnt_dscnt 0xc01
	v_mul_f64_e32 v[204:205], v[4:5], v[14:15]
	v_mul_f64_e32 v[14:15], v[6:7], v[14:15]
	v_add_f64_e32 v[184:185], 0, v[202:203]
	v_add_f64_e32 v[198:199], 0, v[198:199]
	s_wait_loadcnt_dscnt 0xb00
	v_mul_f64_e32 v[202:203], v[174:175], v[18:19]
	v_mul_f64_e32 v[18:19], v[176:177], v[18:19]
	v_fmac_f64_e32 v[204:205], v[6:7], v[12:13]
	v_fma_f64 v[206:207], v[4:5], v[12:13], -v[14:15]
	ds_load_b128 v[4:7], v2 offset:1472
	ds_load_b128 v[12:15], v2 offset:1488
	v_add_f64_e32 v[208:209], v[184:185], v[182:183]
	v_add_f64_e32 v[198:199], v[198:199], v[200:201]
	scratch_load_b128 v[182:185], off, off offset:608
	v_fmac_f64_e32 v[202:203], v[176:177], v[16:17]
	v_fma_f64 v[174:175], v[174:175], v[16:17], -v[18:19]
	scratch_load_b128 v[16:19], off, off offset:624
	s_wait_loadcnt_dscnt 0xc01
	v_mul_f64_e32 v[200:201], v[4:5], v[22:23]
	v_mul_f64_e32 v[22:23], v[6:7], v[22:23]
	v_add_f64_e32 v[176:177], v[208:209], v[206:207]
	v_add_f64_e32 v[198:199], v[198:199], v[204:205]
	s_wait_loadcnt_dscnt 0xb00
	v_mul_f64_e32 v[204:205], v[12:13], v[26:27]
	v_mul_f64_e32 v[26:27], v[14:15], v[26:27]
	v_fmac_f64_e32 v[200:201], v[6:7], v[20:21]
	v_fma_f64 v[206:207], v[4:5], v[20:21], -v[22:23]
	ds_load_b128 v[4:7], v2 offset:1504
	ds_load_b128 v[20:23], v2 offset:1520
	v_add_f64_e32 v[208:209], v[176:177], v[174:175]
	v_add_f64_e32 v[198:199], v[198:199], v[202:203]
	scratch_load_b128 v[174:177], off, off offset:640
	s_wait_loadcnt_dscnt 0xb01
	v_mul_f64_e32 v[202:203], v[4:5], v[30:31]
	v_mul_f64_e32 v[30:31], v[6:7], v[30:31]
	v_fmac_f64_e32 v[204:205], v[14:15], v[24:25]
	v_fma_f64 v[24:25], v[12:13], v[24:25], -v[26:27]
	scratch_load_b128 v[12:15], off, off offset:656
	v_add_f64_e32 v[26:27], v[208:209], v[206:207]
	v_add_f64_e32 v[198:199], v[198:199], v[200:201]
	s_wait_loadcnt_dscnt 0xb00
	v_mul_f64_e32 v[200:201], v[20:21], v[164:165]
	v_mul_f64_e32 v[164:165], v[22:23], v[164:165]
	v_fmac_f64_e32 v[202:203], v[6:7], v[28:29]
	v_fma_f64 v[206:207], v[4:5], v[28:29], -v[30:31]
	v_add_f64_e32 v[208:209], v[26:27], v[24:25]
	v_add_f64_e32 v[198:199], v[198:199], v[204:205]
	ds_load_b128 v[4:7], v2 offset:1536
	ds_load_b128 v[24:27], v2 offset:1552
	scratch_load_b128 v[28:31], off, off offset:672
	v_fmac_f64_e32 v[200:201], v[22:23], v[162:163]
	v_fma_f64 v[162:163], v[20:21], v[162:163], -v[164:165]
	scratch_load_b128 v[20:23], off, off offset:688
	s_wait_loadcnt_dscnt 0xc01
	v_mul_f64_e32 v[204:205], v[4:5], v[168:169]
	v_mul_f64_e32 v[168:169], v[6:7], v[168:169]
	v_add_f64_e32 v[164:165], v[208:209], v[206:207]
	v_add_f64_e32 v[198:199], v[198:199], v[202:203]
	s_wait_loadcnt_dscnt 0xb00
	v_mul_f64_e32 v[202:203], v[24:25], v[172:173]
	v_mul_f64_e32 v[172:173], v[26:27], v[172:173]
	v_fmac_f64_e32 v[204:205], v[6:7], v[166:167]
	v_fma_f64 v[206:207], v[4:5], v[166:167], -v[168:169]
	v_add_f64_e32 v[208:209], v[164:165], v[162:163]
	v_add_f64_e32 v[198:199], v[198:199], v[200:201]
	ds_load_b128 v[4:7], v2 offset:1568
	ds_load_b128 v[162:165], v2 offset:1584
	scratch_load_b128 v[166:169], off, off offset:704
	v_fmac_f64_e32 v[202:203], v[26:27], v[170:171]
	v_fma_f64 v[170:171], v[24:25], v[170:171], -v[172:173]
	scratch_load_b128 v[24:27], off, off offset:720
	s_wait_loadcnt_dscnt 0xc01
	v_mul_f64_e32 v[200:201], v[4:5], v[180:181]
	v_mul_f64_e32 v[180:181], v[6:7], v[180:181]
	;; [unrolled: 18-line block ×5, first 2 shown]
	v_add_f64_e32 v[192:193], v[208:209], v[206:207]
	v_add_f64_e32 v[198:199], v[198:199], v[204:205]
	s_wait_loadcnt_dscnt 0xa00
	v_mul_f64_e32 v[204:205], v[170:171], v[14:15]
	v_mul_f64_e32 v[14:15], v[172:173], v[14:15]
	v_fmac_f64_e32 v[200:201], v[6:7], v[174:175]
	v_fma_f64 v[206:207], v[4:5], v[174:175], -v[176:177]
	ds_load_b128 v[4:7], v2 offset:1696
	ds_load_b128 v[174:177], v2 offset:1712
	v_add_f64_e32 v[208:209], v[192:193], v[190:191]
	v_add_f64_e32 v[198:199], v[198:199], v[202:203]
	scratch_load_b128 v[190:193], off, off offset:832
	v_fmac_f64_e32 v[204:205], v[172:173], v[12:13]
	v_fma_f64 v[170:171], v[170:171], v[12:13], -v[14:15]
	scratch_load_b128 v[12:15], off, off offset:848
	s_wait_loadcnt_dscnt 0xb01
	v_mul_f64_e32 v[202:203], v[4:5], v[30:31]
	v_mul_f64_e32 v[30:31], v[6:7], v[30:31]
	v_add_f64_e32 v[172:173], v[208:209], v[206:207]
	v_add_f64_e32 v[198:199], v[198:199], v[200:201]
	s_wait_loadcnt_dscnt 0xa00
	v_mul_f64_e32 v[200:201], v[174:175], v[22:23]
	v_mul_f64_e32 v[22:23], v[176:177], v[22:23]
	v_fmac_f64_e32 v[202:203], v[6:7], v[28:29]
	v_fma_f64 v[206:207], v[4:5], v[28:29], -v[30:31]
	ds_load_b128 v[4:7], v2 offset:1728
	ds_load_b128 v[28:31], v2 offset:1744
	v_add_f64_e32 v[208:209], v[172:173], v[170:171]
	v_add_f64_e32 v[198:199], v[198:199], v[204:205]
	scratch_load_b128 v[170:173], off, off offset:864
	s_wait_loadcnt_dscnt 0xa01
	v_mul_f64_e32 v[204:205], v[4:5], v[168:169]
	v_mul_f64_e32 v[168:169], v[6:7], v[168:169]
	v_fmac_f64_e32 v[200:201], v[176:177], v[20:21]
	v_fma_f64 v[174:175], v[174:175], v[20:21], -v[22:23]
	scratch_load_b128 v[20:23], off, off offset:880
	v_add_f64_e32 v[176:177], v[208:209], v[206:207]
	v_add_f64_e32 v[198:199], v[198:199], v[202:203]
	s_wait_loadcnt_dscnt 0xa00
	v_mul_f64_e32 v[202:203], v[28:29], v[26:27]
	v_mul_f64_e32 v[26:27], v[30:31], v[26:27]
	v_fmac_f64_e32 v[204:205], v[6:7], v[166:167]
	v_fma_f64 v[206:207], v[4:5], v[166:167], -v[168:169]
	ds_load_b128 v[4:7], v2 offset:1760
	ds_load_b128 v[166:169], v2 offset:1776
	v_add_f64_e32 v[208:209], v[176:177], v[174:175]
	v_add_f64_e32 v[198:199], v[198:199], v[200:201]
	scratch_load_b128 v[174:177], off, off offset:896
	s_wait_loadcnt_dscnt 0xa01
	v_mul_f64_e32 v[200:201], v[4:5], v[180:181]
	v_mul_f64_e32 v[180:181], v[6:7], v[180:181]
	v_fmac_f64_e32 v[202:203], v[30:31], v[24:25]
	v_fma_f64 v[28:29], v[28:29], v[24:25], -v[26:27]
	scratch_load_b128 v[24:27], off, off offset:912
	v_add_f64_e32 v[30:31], v[208:209], v[206:207]
	v_add_f64_e32 v[198:199], v[198:199], v[204:205]
	s_wait_loadcnt_dscnt 0xa00
	v_mul_f64_e32 v[204:205], v[166:167], v[164:165]
	v_mul_f64_e32 v[164:165], v[168:169], v[164:165]
	v_fmac_f64_e32 v[200:201], v[6:7], v[178:179]
	v_fma_f64 v[206:207], v[4:5], v[178:179], -v[180:181]
	v_add_f64_e32 v[208:209], v[30:31], v[28:29]
	v_add_f64_e32 v[198:199], v[198:199], v[202:203]
	ds_load_b128 v[4:7], v2 offset:1792
	ds_load_b128 v[28:31], v2 offset:1808
	scratch_load_b128 v[178:181], off, off offset:928
	v_fmac_f64_e32 v[204:205], v[168:169], v[162:163]
	v_fma_f64 v[166:167], v[166:167], v[162:163], -v[164:165]
	scratch_load_b128 v[162:165], off, off offset:944
	s_wait_loadcnt_dscnt 0xb01
	v_mul_f64_e32 v[202:203], v[4:5], v[196:197]
	v_mul_f64_e32 v[196:197], v[6:7], v[196:197]
	v_add_f64_e32 v[168:169], v[208:209], v[206:207]
	v_add_f64_e32 v[198:199], v[198:199], v[200:201]
	s_wait_loadcnt_dscnt 0xa00
	v_mul_f64_e32 v[200:201], v[28:29], v[10:11]
	v_mul_f64_e32 v[10:11], v[30:31], v[10:11]
	v_fmac_f64_e32 v[202:203], v[6:7], v[194:195]
	v_fma_f64 v[206:207], v[4:5], v[194:195], -v[196:197]
	v_add_f64_e32 v[208:209], v[168:169], v[166:167]
	v_add_f64_e32 v[198:199], v[198:199], v[204:205]
	ds_load_b128 v[4:7], v2 offset:1824
	ds_load_b128 v[166:169], v2 offset:1840
	scratch_load_b128 v[194:197], off, off offset:960
	v_fmac_f64_e32 v[200:201], v[30:31], v[8:9]
	v_fma_f64 v[28:29], v[28:29], v[8:9], -v[10:11]
	scratch_load_b128 v[8:11], off, off offset:976
	s_wait_loadcnt_dscnt 0xb01
	v_mul_f64_e32 v[204:205], v[4:5], v[184:185]
	v_mul_f64_e32 v[184:185], v[6:7], v[184:185]
	;; [unrolled: 18-line block ×3, first 2 shown]
	v_add_f64_e32 v[168:169], v[208:209], v[206:207]
	v_add_f64_e32 v[198:199], v[198:199], v[204:205]
	s_wait_loadcnt_dscnt 0xa00
	v_mul_f64_e32 v[204:205], v[28:29], v[14:15]
	v_mul_f64_e32 v[14:15], v[30:31], v[14:15]
	v_fmac_f64_e32 v[200:201], v[6:7], v[190:191]
	v_fma_f64 v[190:191], v[4:5], v[190:191], -v[192:193]
	v_add_f64_e32 v[192:193], v[168:169], v[166:167]
	v_add_f64_e32 v[198:199], v[198:199], v[202:203]
	ds_load_b128 v[4:7], v2 offset:1888
	ds_load_b128 v[166:169], v2 offset:1904
	v_fmac_f64_e32 v[204:205], v[30:31], v[12:13]
	v_fma_f64 v[12:13], v[28:29], v[12:13], -v[14:15]
	s_wait_loadcnt_dscnt 0x901
	v_mul_f64_e32 v[202:203], v[4:5], v[172:173]
	v_mul_f64_e32 v[172:173], v[6:7], v[172:173]
	s_wait_loadcnt_dscnt 0x800
	v_mul_f64_e32 v[30:31], v[166:167], v[22:23]
	v_mul_f64_e32 v[22:23], v[168:169], v[22:23]
	v_add_f64_e32 v[14:15], v[192:193], v[190:191]
	v_add_f64_e32 v[28:29], v[198:199], v[200:201]
	v_fmac_f64_e32 v[202:203], v[6:7], v[170:171]
	v_fma_f64 v[170:171], v[4:5], v[170:171], -v[172:173]
	v_fmac_f64_e32 v[30:31], v[168:169], v[20:21]
	v_fma_f64 v[20:21], v[166:167], v[20:21], -v[22:23]
	v_add_f64_e32 v[172:173], v[14:15], v[12:13]
	v_add_f64_e32 v[28:29], v[28:29], v[204:205]
	ds_load_b128 v[4:7], v2 offset:1920
	ds_load_b128 v[12:15], v2 offset:1936
	s_wait_loadcnt_dscnt 0x701
	v_mul_f64_e32 v[190:191], v[4:5], v[176:177]
	v_mul_f64_e32 v[176:177], v[6:7], v[176:177]
	s_wait_loadcnt_dscnt 0x600
	v_mul_f64_e32 v[166:167], v[12:13], v[26:27]
	v_mul_f64_e32 v[26:27], v[14:15], v[26:27]
	v_add_f64_e32 v[22:23], v[172:173], v[170:171]
	v_add_f64_e32 v[28:29], v[28:29], v[202:203]
	v_fmac_f64_e32 v[190:191], v[6:7], v[174:175]
	v_fma_f64 v[168:169], v[4:5], v[174:175], -v[176:177]
	v_fmac_f64_e32 v[166:167], v[14:15], v[24:25]
	v_fma_f64 v[12:13], v[12:13], v[24:25], -v[26:27]
	v_add_f64_e32 v[170:171], v[22:23], v[20:21]
	v_add_f64_e32 v[28:29], v[28:29], v[30:31]
	ds_load_b128 v[4:7], v2 offset:1952
	ds_load_b128 v[20:23], v2 offset:1968
	s_wait_loadcnt_dscnt 0x501
	v_mul_f64_e32 v[30:31], v[4:5], v[180:181]
	v_mul_f64_e32 v[172:173], v[6:7], v[180:181]
	s_wait_loadcnt_dscnt 0x400
	v_mul_f64_e32 v[26:27], v[20:21], v[164:165]
	v_add_f64_e32 v[14:15], v[170:171], v[168:169]
	v_add_f64_e32 v[24:25], v[28:29], v[190:191]
	v_mul_f64_e32 v[28:29], v[22:23], v[164:165]
	v_fmac_f64_e32 v[30:31], v[6:7], v[178:179]
	v_fma_f64 v[164:165], v[4:5], v[178:179], -v[172:173]
	v_fmac_f64_e32 v[26:27], v[22:23], v[162:163]
	v_add_f64_e32 v[168:169], v[14:15], v[12:13]
	v_add_f64_e32 v[24:25], v[24:25], v[166:167]
	ds_load_b128 v[4:7], v2 offset:1984
	ds_load_b128 v[12:15], v2 offset:2000
	v_fma_f64 v[20:21], v[20:21], v[162:163], -v[28:29]
	s_wait_loadcnt_dscnt 0x301
	v_mul_f64_e32 v[166:167], v[4:5], v[196:197]
	v_mul_f64_e32 v[170:171], v[6:7], v[196:197]
	s_wait_loadcnt_dscnt 0x200
	v_mul_f64_e32 v[28:29], v[12:13], v[10:11]
	v_mul_f64_e32 v[10:11], v[14:15], v[10:11]
	v_add_f64_e32 v[22:23], v[168:169], v[164:165]
	v_add_f64_e32 v[24:25], v[24:25], v[30:31]
	v_fmac_f64_e32 v[166:167], v[6:7], v[194:195]
	v_fma_f64 v[30:31], v[4:5], v[194:195], -v[170:171]
	v_fmac_f64_e32 v[28:29], v[14:15], v[8:9]
	v_fma_f64 v[8:9], v[12:13], v[8:9], -v[10:11]
	v_add_f64_e32 v[162:163], v[22:23], v[20:21]
	v_add_f64_e32 v[24:25], v[24:25], v[26:27]
	ds_load_b128 v[4:7], v2 offset:2016
	ds_load_b128 v[20:23], v2 offset:2032
	s_wait_loadcnt_dscnt 0x101
	v_mul_f64_e32 v[2:3], v[4:5], v[184:185]
	v_mul_f64_e32 v[26:27], v[6:7], v[184:185]
	s_wait_loadcnt_dscnt 0x0
	v_mul_f64_e32 v[14:15], v[20:21], v[18:19]
	v_mul_f64_e32 v[18:19], v[22:23], v[18:19]
	v_add_f64_e32 v[10:11], v[162:163], v[30:31]
	v_add_f64_e32 v[12:13], v[24:25], v[166:167]
	v_fmac_f64_e32 v[2:3], v[6:7], v[182:183]
	v_fma_f64 v[4:5], v[4:5], v[182:183], -v[26:27]
	v_fmac_f64_e32 v[14:15], v[22:23], v[16:17]
	v_add_f64_e32 v[6:7], v[10:11], v[8:9]
	v_add_f64_e32 v[8:9], v[12:13], v[28:29]
	v_fma_f64 v[10:11], v[20:21], v[16:17], -v[18:19]
	s_delay_alu instid0(VALU_DEP_3) | instskip(NEXT) | instid1(VALU_DEP_3)
	v_add_f64_e32 v[4:5], v[6:7], v[4:5]
	v_add_f64_e32 v[2:3], v[8:9], v[2:3]
	s_delay_alu instid0(VALU_DEP_2) | instskip(NEXT) | instid1(VALU_DEP_2)
	v_add_f64_e32 v[4:5], v[4:5], v[10:11]
	v_add_f64_e32 v[6:7], v[2:3], v[14:15]
	s_delay_alu instid0(VALU_DEP_2) | instskip(NEXT) | instid1(VALU_DEP_2)
	v_add_f64_e64 v[2:3], v[186:187], -v[4:5]
	v_add_f64_e64 v[4:5], v[188:189], -v[6:7]
	scratch_store_b128 off, v[2:5], off offset:368
	s_wait_xcnt 0x0
	v_cmpx_lt_u32_e32 22, v1
	s_cbranch_execz .LBB63_365
; %bb.364:
	scratch_load_b128 v[2:5], off, s60
	v_mov_b32_e32 v6, 0
	s_delay_alu instid0(VALU_DEP_1)
	v_dual_mov_b32 v7, v6 :: v_dual_mov_b32 v8, v6
	v_mov_b32_e32 v9, v6
	scratch_store_b128 off, v[6:9], off offset:352
	s_wait_loadcnt 0x0
	ds_store_b128 v160, v[2:5]
.LBB63_365:
	s_wait_xcnt 0x0
	s_or_b32 exec_lo, exec_lo, s2
	s_wait_storecnt_dscnt 0x0
	s_barrier_signal -1
	s_barrier_wait -1
	s_clause 0x9
	scratch_load_b128 v[4:7], off, off offset:368
	scratch_load_b128 v[8:11], off, off offset:384
	scratch_load_b128 v[12:15], off, off offset:400
	scratch_load_b128 v[16:19], off, off offset:416
	scratch_load_b128 v[20:23], off, off offset:432
	scratch_load_b128 v[24:27], off, off offset:448
	scratch_load_b128 v[28:31], off, off offset:464
	scratch_load_b128 v[162:165], off, off offset:480
	scratch_load_b128 v[166:169], off, off offset:496
	scratch_load_b128 v[170:173], off, off offset:512
	v_mov_b32_e32 v2, 0
	s_mov_b32 s2, exec_lo
	ds_load_b128 v[174:177], v2 offset:1392
	s_clause 0x2
	scratch_load_b128 v[178:181], off, off offset:528
	scratch_load_b128 v[182:185], off, off offset:352
	;; [unrolled: 1-line block ×3, first 2 shown]
	s_wait_loadcnt_dscnt 0xc00
	v_mul_f64_e32 v[194:195], v[176:177], v[6:7]
	v_mul_f64_e32 v[198:199], v[174:175], v[6:7]
	ds_load_b128 v[186:189], v2 offset:1408
	v_fma_f64 v[202:203], v[174:175], v[4:5], -v[194:195]
	v_fmac_f64_e32 v[198:199], v[176:177], v[4:5]
	ds_load_b128 v[4:7], v2 offset:1424
	s_wait_loadcnt_dscnt 0xb01
	v_mul_f64_e32 v[200:201], v[186:187], v[10:11]
	v_mul_f64_e32 v[10:11], v[188:189], v[10:11]
	scratch_load_b128 v[174:177], off, off offset:560
	ds_load_b128 v[194:197], v2 offset:1440
	s_wait_loadcnt_dscnt 0xb01
	v_mul_f64_e32 v[204:205], v[4:5], v[14:15]
	v_mul_f64_e32 v[14:15], v[6:7], v[14:15]
	v_add_f64_e32 v[198:199], 0, v[198:199]
	v_fmac_f64_e32 v[200:201], v[188:189], v[8:9]
	v_fma_f64 v[186:187], v[186:187], v[8:9], -v[10:11]
	v_add_f64_e32 v[188:189], 0, v[202:203]
	scratch_load_b128 v[8:11], off, off offset:576
	v_fmac_f64_e32 v[204:205], v[6:7], v[12:13]
	v_fma_f64 v[206:207], v[4:5], v[12:13], -v[14:15]
	ds_load_b128 v[4:7], v2 offset:1456
	s_wait_loadcnt_dscnt 0xb01
	v_mul_f64_e32 v[202:203], v[194:195], v[18:19]
	v_mul_f64_e32 v[18:19], v[196:197], v[18:19]
	scratch_load_b128 v[12:15], off, off offset:592
	v_add_f64_e32 v[198:199], v[198:199], v[200:201]
	v_add_f64_e32 v[208:209], v[188:189], v[186:187]
	ds_load_b128 v[186:189], v2 offset:1472
	s_wait_loadcnt_dscnt 0xb01
	v_mul_f64_e32 v[200:201], v[4:5], v[22:23]
	v_mul_f64_e32 v[22:23], v[6:7], v[22:23]
	v_fmac_f64_e32 v[202:203], v[196:197], v[16:17]
	v_fma_f64 v[194:195], v[194:195], v[16:17], -v[18:19]
	scratch_load_b128 v[16:19], off, off offset:608
	v_add_f64_e32 v[198:199], v[198:199], v[204:205]
	v_add_f64_e32 v[196:197], v[208:209], v[206:207]
	v_fmac_f64_e32 v[200:201], v[6:7], v[20:21]
	v_fma_f64 v[206:207], v[4:5], v[20:21], -v[22:23]
	ds_load_b128 v[4:7], v2 offset:1488
	s_wait_loadcnt_dscnt 0xb01
	v_mul_f64_e32 v[204:205], v[186:187], v[26:27]
	v_mul_f64_e32 v[26:27], v[188:189], v[26:27]
	scratch_load_b128 v[20:23], off, off offset:624
	v_add_f64_e32 v[198:199], v[198:199], v[202:203]
	s_wait_loadcnt_dscnt 0xb00
	v_mul_f64_e32 v[202:203], v[4:5], v[30:31]
	v_add_f64_e32 v[208:209], v[196:197], v[194:195]
	v_mul_f64_e32 v[30:31], v[6:7], v[30:31]
	ds_load_b128 v[194:197], v2 offset:1504
	v_fmac_f64_e32 v[204:205], v[188:189], v[24:25]
	v_fma_f64 v[186:187], v[186:187], v[24:25], -v[26:27]
	scratch_load_b128 v[24:27], off, off offset:640
	v_add_f64_e32 v[198:199], v[198:199], v[200:201]
	v_fmac_f64_e32 v[202:203], v[6:7], v[28:29]
	v_add_f64_e32 v[188:189], v[208:209], v[206:207]
	v_fma_f64 v[206:207], v[4:5], v[28:29], -v[30:31]
	ds_load_b128 v[4:7], v2 offset:1520
	s_wait_loadcnt_dscnt 0xb01
	v_mul_f64_e32 v[200:201], v[194:195], v[164:165]
	v_mul_f64_e32 v[164:165], v[196:197], v[164:165]
	scratch_load_b128 v[28:31], off, off offset:656
	v_add_f64_e32 v[198:199], v[198:199], v[204:205]
	s_wait_loadcnt_dscnt 0xb00
	v_mul_f64_e32 v[204:205], v[4:5], v[168:169]
	v_add_f64_e32 v[208:209], v[188:189], v[186:187]
	v_mul_f64_e32 v[168:169], v[6:7], v[168:169]
	ds_load_b128 v[186:189], v2 offset:1536
	v_fmac_f64_e32 v[200:201], v[196:197], v[162:163]
	v_fma_f64 v[194:195], v[194:195], v[162:163], -v[164:165]
	scratch_load_b128 v[162:165], off, off offset:672
	v_add_f64_e32 v[198:199], v[198:199], v[202:203]
	v_fmac_f64_e32 v[204:205], v[6:7], v[166:167]
	v_add_f64_e32 v[196:197], v[208:209], v[206:207]
	;; [unrolled: 18-line block ×3, first 2 shown]
	v_fma_f64 v[206:207], v[4:5], v[178:179], -v[180:181]
	ds_load_b128 v[4:7], v2 offset:1584
	s_wait_loadcnt_dscnt 0xa01
	v_mul_f64_e32 v[204:205], v[194:195], v[192:193]
	v_mul_f64_e32 v[192:193], v[196:197], v[192:193]
	scratch_load_b128 v[178:181], off, off offset:720
	v_add_f64_e32 v[198:199], v[198:199], v[202:203]
	v_add_f64_e32 v[208:209], v[188:189], v[186:187]
	s_wait_loadcnt_dscnt 0xa00
	v_mul_f64_e32 v[202:203], v[4:5], v[176:177]
	v_mul_f64_e32 v[176:177], v[6:7], v[176:177]
	v_fmac_f64_e32 v[204:205], v[196:197], v[190:191]
	v_fma_f64 v[194:195], v[194:195], v[190:191], -v[192:193]
	ds_load_b128 v[186:189], v2 offset:1600
	scratch_load_b128 v[190:193], off, off offset:736
	v_add_f64_e32 v[198:199], v[198:199], v[200:201]
	v_add_f64_e32 v[196:197], v[208:209], v[206:207]
	v_fmac_f64_e32 v[202:203], v[6:7], v[174:175]
	v_fma_f64 v[206:207], v[4:5], v[174:175], -v[176:177]
	ds_load_b128 v[4:7], v2 offset:1616
	s_wait_loadcnt_dscnt 0xa01
	v_mul_f64_e32 v[200:201], v[186:187], v[10:11]
	v_mul_f64_e32 v[10:11], v[188:189], v[10:11]
	scratch_load_b128 v[174:177], off, off offset:752
	v_add_f64_e32 v[198:199], v[198:199], v[204:205]
	s_wait_loadcnt_dscnt 0xa00
	v_mul_f64_e32 v[204:205], v[4:5], v[14:15]
	v_add_f64_e32 v[208:209], v[196:197], v[194:195]
	v_mul_f64_e32 v[14:15], v[6:7], v[14:15]
	ds_load_b128 v[194:197], v2 offset:1632
	v_fmac_f64_e32 v[200:201], v[188:189], v[8:9]
	v_fma_f64 v[186:187], v[186:187], v[8:9], -v[10:11]
	scratch_load_b128 v[8:11], off, off offset:768
	v_add_f64_e32 v[198:199], v[198:199], v[202:203]
	v_fmac_f64_e32 v[204:205], v[6:7], v[12:13]
	v_add_f64_e32 v[188:189], v[208:209], v[206:207]
	v_fma_f64 v[206:207], v[4:5], v[12:13], -v[14:15]
	ds_load_b128 v[4:7], v2 offset:1648
	s_wait_loadcnt_dscnt 0xa01
	v_mul_f64_e32 v[202:203], v[194:195], v[18:19]
	v_mul_f64_e32 v[18:19], v[196:197], v[18:19]
	scratch_load_b128 v[12:15], off, off offset:784
	v_add_f64_e32 v[198:199], v[198:199], v[200:201]
	s_wait_loadcnt_dscnt 0xa00
	v_mul_f64_e32 v[200:201], v[4:5], v[22:23]
	v_add_f64_e32 v[208:209], v[188:189], v[186:187]
	v_mul_f64_e32 v[22:23], v[6:7], v[22:23]
	ds_load_b128 v[186:189], v2 offset:1664
	v_fmac_f64_e32 v[202:203], v[196:197], v[16:17]
	v_fma_f64 v[194:195], v[194:195], v[16:17], -v[18:19]
	scratch_load_b128 v[16:19], off, off offset:800
	v_add_f64_e32 v[198:199], v[198:199], v[204:205]
	v_fmac_f64_e32 v[200:201], v[6:7], v[20:21]
	v_add_f64_e32 v[196:197], v[208:209], v[206:207]
	;; [unrolled: 18-line block ×8, first 2 shown]
	v_fma_f64 v[206:207], v[4:5], v[20:21], -v[22:23]
	ds_load_b128 v[4:7], v2 offset:1872
	s_wait_loadcnt_dscnt 0xa01
	v_mul_f64_e32 v[204:205], v[186:187], v[26:27]
	v_mul_f64_e32 v[26:27], v[188:189], v[26:27]
	scratch_load_b128 v[20:23], off, off offset:1008
	v_add_f64_e32 v[198:199], v[198:199], v[202:203]
	s_wait_loadcnt_dscnt 0xa00
	v_mul_f64_e32 v[202:203], v[4:5], v[30:31]
	v_add_f64_e32 v[208:209], v[196:197], v[194:195]
	v_mul_f64_e32 v[30:31], v[6:7], v[30:31]
	ds_load_b128 v[194:197], v2 offset:1888
	v_fmac_f64_e32 v[204:205], v[188:189], v[24:25]
	v_fma_f64 v[24:25], v[186:187], v[24:25], -v[26:27]
	s_wait_loadcnt_dscnt 0x900
	v_mul_f64_e32 v[188:189], v[194:195], v[164:165]
	v_mul_f64_e32 v[164:165], v[196:197], v[164:165]
	v_add_f64_e32 v[186:187], v[198:199], v[200:201]
	v_fmac_f64_e32 v[202:203], v[6:7], v[28:29]
	v_add_f64_e32 v[26:27], v[208:209], v[206:207]
	v_fma_f64 v[28:29], v[4:5], v[28:29], -v[30:31]
	v_fmac_f64_e32 v[188:189], v[196:197], v[162:163]
	v_fma_f64 v[162:163], v[194:195], v[162:163], -v[164:165]
	v_add_f64_e32 v[186:187], v[186:187], v[204:205]
	v_add_f64_e32 v[30:31], v[26:27], v[24:25]
	ds_load_b128 v[4:7], v2 offset:1904
	ds_load_b128 v[24:27], v2 offset:1920
	s_wait_loadcnt_dscnt 0x801
	v_mul_f64_e32 v[198:199], v[4:5], v[168:169]
	v_mul_f64_e32 v[168:169], v[6:7], v[168:169]
	s_wait_loadcnt_dscnt 0x700
	v_mul_f64_e32 v[164:165], v[24:25], v[172:173]
	v_mul_f64_e32 v[172:173], v[26:27], v[172:173]
	v_add_f64_e32 v[28:29], v[30:31], v[28:29]
	v_add_f64_e32 v[30:31], v[186:187], v[202:203]
	v_fmac_f64_e32 v[198:199], v[6:7], v[166:167]
	v_fma_f64 v[166:167], v[4:5], v[166:167], -v[168:169]
	v_fmac_f64_e32 v[164:165], v[26:27], v[170:171]
	v_fma_f64 v[24:25], v[24:25], v[170:171], -v[172:173]
	v_add_f64_e32 v[162:163], v[28:29], v[162:163]
	v_add_f64_e32 v[168:169], v[30:31], v[188:189]
	ds_load_b128 v[4:7], v2 offset:1936
	ds_load_b128 v[28:31], v2 offset:1952
	s_wait_loadcnt_dscnt 0x601
	v_mul_f64_e32 v[186:187], v[4:5], v[180:181]
	v_mul_f64_e32 v[180:181], v[6:7], v[180:181]
	v_add_f64_e32 v[26:27], v[162:163], v[166:167]
	v_add_f64_e32 v[162:163], v[168:169], v[198:199]
	s_wait_loadcnt_dscnt 0x500
	v_mul_f64_e32 v[166:167], v[28:29], v[192:193]
	v_mul_f64_e32 v[168:169], v[30:31], v[192:193]
	v_fmac_f64_e32 v[186:187], v[6:7], v[178:179]
	v_fma_f64 v[170:171], v[4:5], v[178:179], -v[180:181]
	v_add_f64_e32 v[172:173], v[26:27], v[24:25]
	v_add_f64_e32 v[162:163], v[162:163], v[164:165]
	ds_load_b128 v[4:7], v2 offset:1968
	ds_load_b128 v[24:27], v2 offset:1984
	v_fmac_f64_e32 v[166:167], v[30:31], v[190:191]
	v_fma_f64 v[28:29], v[28:29], v[190:191], -v[168:169]
	s_wait_loadcnt_dscnt 0x401
	v_mul_f64_e32 v[164:165], v[4:5], v[176:177]
	v_mul_f64_e32 v[176:177], v[6:7], v[176:177]
	s_wait_loadcnt_dscnt 0x300
	v_mul_f64_e32 v[168:169], v[24:25], v[10:11]
	v_mul_f64_e32 v[10:11], v[26:27], v[10:11]
	v_add_f64_e32 v[30:31], v[172:173], v[170:171]
	v_add_f64_e32 v[162:163], v[162:163], v[186:187]
	v_fmac_f64_e32 v[164:165], v[6:7], v[174:175]
	v_fma_f64 v[170:171], v[4:5], v[174:175], -v[176:177]
	v_fmac_f64_e32 v[168:169], v[26:27], v[8:9]
	v_fma_f64 v[8:9], v[24:25], v[8:9], -v[10:11]
	v_add_f64_e32 v[172:173], v[30:31], v[28:29]
	v_add_f64_e32 v[162:163], v[162:163], v[166:167]
	ds_load_b128 v[4:7], v2 offset:2000
	ds_load_b128 v[28:31], v2 offset:2016
	s_wait_loadcnt_dscnt 0x201
	v_mul_f64_e32 v[166:167], v[4:5], v[14:15]
	v_mul_f64_e32 v[14:15], v[6:7], v[14:15]
	s_wait_loadcnt_dscnt 0x100
	v_mul_f64_e32 v[26:27], v[28:29], v[18:19]
	v_mul_f64_e32 v[18:19], v[30:31], v[18:19]
	v_add_f64_e32 v[10:11], v[172:173], v[170:171]
	v_add_f64_e32 v[24:25], v[162:163], v[164:165]
	v_fmac_f64_e32 v[166:167], v[6:7], v[12:13]
	v_fma_f64 v[12:13], v[4:5], v[12:13], -v[14:15]
	ds_load_b128 v[4:7], v2 offset:2032
	v_fmac_f64_e32 v[26:27], v[30:31], v[16:17]
	v_fma_f64 v[16:17], v[28:29], v[16:17], -v[18:19]
	v_add_f64_e32 v[8:9], v[10:11], v[8:9]
	v_add_f64_e32 v[10:11], v[24:25], v[168:169]
	s_wait_loadcnt_dscnt 0x0
	v_mul_f64_e32 v[14:15], v[4:5], v[22:23]
	v_mul_f64_e32 v[22:23], v[6:7], v[22:23]
	s_delay_alu instid0(VALU_DEP_4) | instskip(NEXT) | instid1(VALU_DEP_4)
	v_add_f64_e32 v[8:9], v[8:9], v[12:13]
	v_add_f64_e32 v[10:11], v[10:11], v[166:167]
	s_delay_alu instid0(VALU_DEP_4) | instskip(NEXT) | instid1(VALU_DEP_4)
	v_fmac_f64_e32 v[14:15], v[6:7], v[20:21]
	v_fma_f64 v[4:5], v[4:5], v[20:21], -v[22:23]
	s_delay_alu instid0(VALU_DEP_4) | instskip(NEXT) | instid1(VALU_DEP_4)
	v_add_f64_e32 v[6:7], v[8:9], v[16:17]
	v_add_f64_e32 v[8:9], v[10:11], v[26:27]
	s_delay_alu instid0(VALU_DEP_2) | instskip(NEXT) | instid1(VALU_DEP_2)
	v_add_f64_e32 v[4:5], v[6:7], v[4:5]
	v_add_f64_e32 v[6:7], v[8:9], v[14:15]
	s_delay_alu instid0(VALU_DEP_2) | instskip(NEXT) | instid1(VALU_DEP_2)
	v_add_f64_e64 v[4:5], v[182:183], -v[4:5]
	v_add_f64_e64 v[6:7], v[184:185], -v[6:7]
	scratch_store_b128 off, v[4:7], off offset:352
	s_wait_xcnt 0x0
	v_cmpx_lt_u32_e32 21, v1
	s_cbranch_execz .LBB63_367
; %bb.366:
	scratch_load_b128 v[6:9], off, s57
	v_dual_mov_b32 v3, v2 :: v_dual_mov_b32 v4, v2
	v_mov_b32_e32 v5, v2
	scratch_store_b128 off, v[2:5], off offset:336
	s_wait_loadcnt 0x0
	ds_store_b128 v160, v[6:9]
.LBB63_367:
	s_wait_xcnt 0x0
	s_or_b32 exec_lo, exec_lo, s2
	s_wait_storecnt_dscnt 0x0
	s_barrier_signal -1
	s_barrier_wait -1
	s_clause 0x9
	scratch_load_b128 v[4:7], off, off offset:352
	scratch_load_b128 v[8:11], off, off offset:368
	;; [unrolled: 1-line block ×10, first 2 shown]
	ds_load_b128 v[174:177], v2 offset:1376
	ds_load_b128 v[182:185], v2 offset:1392
	s_clause 0x2
	scratch_load_b128 v[178:181], off, off offset:512
	scratch_load_b128 v[186:189], off, off offset:336
	;; [unrolled: 1-line block ×3, first 2 shown]
	s_mov_b32 s2, exec_lo
	s_wait_loadcnt_dscnt 0xc01
	v_mul_f64_e32 v[194:195], v[176:177], v[6:7]
	v_mul_f64_e32 v[198:199], v[174:175], v[6:7]
	s_wait_loadcnt_dscnt 0xb00
	v_mul_f64_e32 v[200:201], v[182:183], v[10:11]
	v_mul_f64_e32 v[10:11], v[184:185], v[10:11]
	s_delay_alu instid0(VALU_DEP_4) | instskip(NEXT) | instid1(VALU_DEP_4)
	v_fma_f64 v[202:203], v[174:175], v[4:5], -v[194:195]
	v_fmac_f64_e32 v[198:199], v[176:177], v[4:5]
	ds_load_b128 v[4:7], v2 offset:1408
	ds_load_b128 v[174:177], v2 offset:1424
	scratch_load_b128 v[194:197], off, off offset:544
	v_fmac_f64_e32 v[200:201], v[184:185], v[8:9]
	v_fma_f64 v[182:183], v[182:183], v[8:9], -v[10:11]
	scratch_load_b128 v[8:11], off, off offset:560
	s_wait_loadcnt_dscnt 0xc01
	v_mul_f64_e32 v[204:205], v[4:5], v[14:15]
	v_mul_f64_e32 v[14:15], v[6:7], v[14:15]
	v_add_f64_e32 v[184:185], 0, v[202:203]
	v_add_f64_e32 v[198:199], 0, v[198:199]
	s_wait_loadcnt_dscnt 0xb00
	v_mul_f64_e32 v[202:203], v[174:175], v[18:19]
	v_mul_f64_e32 v[18:19], v[176:177], v[18:19]
	v_fmac_f64_e32 v[204:205], v[6:7], v[12:13]
	v_fma_f64 v[206:207], v[4:5], v[12:13], -v[14:15]
	ds_load_b128 v[4:7], v2 offset:1440
	ds_load_b128 v[12:15], v2 offset:1456
	v_add_f64_e32 v[208:209], v[184:185], v[182:183]
	v_add_f64_e32 v[198:199], v[198:199], v[200:201]
	scratch_load_b128 v[182:185], off, off offset:576
	v_fmac_f64_e32 v[202:203], v[176:177], v[16:17]
	v_fma_f64 v[174:175], v[174:175], v[16:17], -v[18:19]
	scratch_load_b128 v[16:19], off, off offset:592
	s_wait_loadcnt_dscnt 0xc01
	v_mul_f64_e32 v[200:201], v[4:5], v[22:23]
	v_mul_f64_e32 v[22:23], v[6:7], v[22:23]
	v_add_f64_e32 v[176:177], v[208:209], v[206:207]
	v_add_f64_e32 v[198:199], v[198:199], v[204:205]
	s_wait_loadcnt_dscnt 0xb00
	v_mul_f64_e32 v[204:205], v[12:13], v[26:27]
	v_mul_f64_e32 v[26:27], v[14:15], v[26:27]
	v_fmac_f64_e32 v[200:201], v[6:7], v[20:21]
	v_fma_f64 v[206:207], v[4:5], v[20:21], -v[22:23]
	ds_load_b128 v[4:7], v2 offset:1472
	ds_load_b128 v[20:23], v2 offset:1488
	v_add_f64_e32 v[208:209], v[176:177], v[174:175]
	v_add_f64_e32 v[198:199], v[198:199], v[202:203]
	scratch_load_b128 v[174:177], off, off offset:608
	s_wait_loadcnt_dscnt 0xb01
	v_mul_f64_e32 v[202:203], v[4:5], v[30:31]
	v_mul_f64_e32 v[30:31], v[6:7], v[30:31]
	v_fmac_f64_e32 v[204:205], v[14:15], v[24:25]
	v_fma_f64 v[24:25], v[12:13], v[24:25], -v[26:27]
	scratch_load_b128 v[12:15], off, off offset:624
	v_add_f64_e32 v[26:27], v[208:209], v[206:207]
	v_add_f64_e32 v[198:199], v[198:199], v[200:201]
	s_wait_loadcnt_dscnt 0xb00
	v_mul_f64_e32 v[200:201], v[20:21], v[164:165]
	v_mul_f64_e32 v[164:165], v[22:23], v[164:165]
	v_fmac_f64_e32 v[202:203], v[6:7], v[28:29]
	v_fma_f64 v[206:207], v[4:5], v[28:29], -v[30:31]
	v_add_f64_e32 v[208:209], v[26:27], v[24:25]
	v_add_f64_e32 v[198:199], v[198:199], v[204:205]
	ds_load_b128 v[4:7], v2 offset:1504
	ds_load_b128 v[24:27], v2 offset:1520
	scratch_load_b128 v[28:31], off, off offset:640
	v_fmac_f64_e32 v[200:201], v[22:23], v[162:163]
	v_fma_f64 v[162:163], v[20:21], v[162:163], -v[164:165]
	scratch_load_b128 v[20:23], off, off offset:656
	s_wait_loadcnt_dscnt 0xc01
	v_mul_f64_e32 v[204:205], v[4:5], v[168:169]
	v_mul_f64_e32 v[168:169], v[6:7], v[168:169]
	v_add_f64_e32 v[164:165], v[208:209], v[206:207]
	v_add_f64_e32 v[198:199], v[198:199], v[202:203]
	s_wait_loadcnt_dscnt 0xb00
	v_mul_f64_e32 v[202:203], v[24:25], v[172:173]
	v_mul_f64_e32 v[172:173], v[26:27], v[172:173]
	v_fmac_f64_e32 v[204:205], v[6:7], v[166:167]
	v_fma_f64 v[206:207], v[4:5], v[166:167], -v[168:169]
	v_add_f64_e32 v[208:209], v[164:165], v[162:163]
	v_add_f64_e32 v[198:199], v[198:199], v[200:201]
	ds_load_b128 v[4:7], v2 offset:1536
	ds_load_b128 v[162:165], v2 offset:1552
	scratch_load_b128 v[166:169], off, off offset:672
	v_fmac_f64_e32 v[202:203], v[26:27], v[170:171]
	v_fma_f64 v[170:171], v[24:25], v[170:171], -v[172:173]
	scratch_load_b128 v[24:27], off, off offset:688
	s_wait_loadcnt_dscnt 0xc01
	v_mul_f64_e32 v[200:201], v[4:5], v[180:181]
	v_mul_f64_e32 v[180:181], v[6:7], v[180:181]
	;; [unrolled: 18-line block ×5, first 2 shown]
	v_add_f64_e32 v[192:193], v[208:209], v[206:207]
	v_add_f64_e32 v[198:199], v[198:199], v[204:205]
	s_wait_loadcnt_dscnt 0xa00
	v_mul_f64_e32 v[204:205], v[170:171], v[14:15]
	v_mul_f64_e32 v[14:15], v[172:173], v[14:15]
	v_fmac_f64_e32 v[200:201], v[6:7], v[174:175]
	v_fma_f64 v[206:207], v[4:5], v[174:175], -v[176:177]
	ds_load_b128 v[4:7], v2 offset:1664
	ds_load_b128 v[174:177], v2 offset:1680
	v_add_f64_e32 v[208:209], v[192:193], v[190:191]
	v_add_f64_e32 v[198:199], v[198:199], v[202:203]
	scratch_load_b128 v[190:193], off, off offset:800
	v_fmac_f64_e32 v[204:205], v[172:173], v[12:13]
	v_fma_f64 v[170:171], v[170:171], v[12:13], -v[14:15]
	scratch_load_b128 v[12:15], off, off offset:816
	s_wait_loadcnt_dscnt 0xb01
	v_mul_f64_e32 v[202:203], v[4:5], v[30:31]
	v_mul_f64_e32 v[30:31], v[6:7], v[30:31]
	v_add_f64_e32 v[172:173], v[208:209], v[206:207]
	v_add_f64_e32 v[198:199], v[198:199], v[200:201]
	s_wait_loadcnt_dscnt 0xa00
	v_mul_f64_e32 v[200:201], v[174:175], v[22:23]
	v_mul_f64_e32 v[22:23], v[176:177], v[22:23]
	v_fmac_f64_e32 v[202:203], v[6:7], v[28:29]
	v_fma_f64 v[206:207], v[4:5], v[28:29], -v[30:31]
	ds_load_b128 v[4:7], v2 offset:1696
	ds_load_b128 v[28:31], v2 offset:1712
	v_add_f64_e32 v[208:209], v[172:173], v[170:171]
	v_add_f64_e32 v[198:199], v[198:199], v[204:205]
	scratch_load_b128 v[170:173], off, off offset:832
	s_wait_loadcnt_dscnt 0xa01
	v_mul_f64_e32 v[204:205], v[4:5], v[168:169]
	v_mul_f64_e32 v[168:169], v[6:7], v[168:169]
	v_fmac_f64_e32 v[200:201], v[176:177], v[20:21]
	v_fma_f64 v[174:175], v[174:175], v[20:21], -v[22:23]
	scratch_load_b128 v[20:23], off, off offset:848
	v_add_f64_e32 v[176:177], v[208:209], v[206:207]
	v_add_f64_e32 v[198:199], v[198:199], v[202:203]
	s_wait_loadcnt_dscnt 0xa00
	v_mul_f64_e32 v[202:203], v[28:29], v[26:27]
	v_mul_f64_e32 v[26:27], v[30:31], v[26:27]
	v_fmac_f64_e32 v[204:205], v[6:7], v[166:167]
	v_fma_f64 v[206:207], v[4:5], v[166:167], -v[168:169]
	ds_load_b128 v[4:7], v2 offset:1728
	ds_load_b128 v[166:169], v2 offset:1744
	v_add_f64_e32 v[208:209], v[176:177], v[174:175]
	v_add_f64_e32 v[198:199], v[198:199], v[200:201]
	scratch_load_b128 v[174:177], off, off offset:864
	s_wait_loadcnt_dscnt 0xa01
	v_mul_f64_e32 v[200:201], v[4:5], v[180:181]
	v_mul_f64_e32 v[180:181], v[6:7], v[180:181]
	v_fmac_f64_e32 v[202:203], v[30:31], v[24:25]
	v_fma_f64 v[28:29], v[28:29], v[24:25], -v[26:27]
	scratch_load_b128 v[24:27], off, off offset:880
	v_add_f64_e32 v[30:31], v[208:209], v[206:207]
	v_add_f64_e32 v[198:199], v[198:199], v[204:205]
	s_wait_loadcnt_dscnt 0xa00
	v_mul_f64_e32 v[204:205], v[166:167], v[164:165]
	v_mul_f64_e32 v[164:165], v[168:169], v[164:165]
	v_fmac_f64_e32 v[200:201], v[6:7], v[178:179]
	v_fma_f64 v[206:207], v[4:5], v[178:179], -v[180:181]
	v_add_f64_e32 v[208:209], v[30:31], v[28:29]
	v_add_f64_e32 v[198:199], v[198:199], v[202:203]
	ds_load_b128 v[4:7], v2 offset:1760
	ds_load_b128 v[28:31], v2 offset:1776
	scratch_load_b128 v[178:181], off, off offset:896
	v_fmac_f64_e32 v[204:205], v[168:169], v[162:163]
	v_fma_f64 v[166:167], v[166:167], v[162:163], -v[164:165]
	scratch_load_b128 v[162:165], off, off offset:912
	s_wait_loadcnt_dscnt 0xb01
	v_mul_f64_e32 v[202:203], v[4:5], v[196:197]
	v_mul_f64_e32 v[196:197], v[6:7], v[196:197]
	v_add_f64_e32 v[168:169], v[208:209], v[206:207]
	v_add_f64_e32 v[198:199], v[198:199], v[200:201]
	s_wait_loadcnt_dscnt 0xa00
	v_mul_f64_e32 v[200:201], v[28:29], v[10:11]
	v_mul_f64_e32 v[10:11], v[30:31], v[10:11]
	v_fmac_f64_e32 v[202:203], v[6:7], v[194:195]
	v_fma_f64 v[206:207], v[4:5], v[194:195], -v[196:197]
	v_add_f64_e32 v[208:209], v[168:169], v[166:167]
	v_add_f64_e32 v[198:199], v[198:199], v[204:205]
	ds_load_b128 v[4:7], v2 offset:1792
	ds_load_b128 v[166:169], v2 offset:1808
	scratch_load_b128 v[194:197], off, off offset:928
	v_fmac_f64_e32 v[200:201], v[30:31], v[8:9]
	v_fma_f64 v[28:29], v[28:29], v[8:9], -v[10:11]
	scratch_load_b128 v[8:11], off, off offset:944
	s_wait_loadcnt_dscnt 0xb01
	v_mul_f64_e32 v[204:205], v[4:5], v[184:185]
	v_mul_f64_e32 v[184:185], v[6:7], v[184:185]
	;; [unrolled: 18-line block ×4, first 2 shown]
	v_add_f64_e32 v[30:31], v[208:209], v[206:207]
	v_add_f64_e32 v[198:199], v[198:199], v[200:201]
	s_wait_loadcnt_dscnt 0xa00
	v_mul_f64_e32 v[200:201], v[166:167], v[22:23]
	v_mul_f64_e32 v[22:23], v[168:169], v[22:23]
	v_fmac_f64_e32 v[202:203], v[6:7], v[170:171]
	v_fma_f64 v[170:171], v[4:5], v[170:171], -v[172:173]
	v_add_f64_e32 v[172:173], v[30:31], v[28:29]
	v_add_f64_e32 v[198:199], v[198:199], v[204:205]
	ds_load_b128 v[4:7], v2 offset:1888
	ds_load_b128 v[28:31], v2 offset:1904
	v_fmac_f64_e32 v[200:201], v[168:169], v[20:21]
	v_fma_f64 v[20:21], v[166:167], v[20:21], -v[22:23]
	s_wait_loadcnt_dscnt 0x901
	v_mul_f64_e32 v[204:205], v[4:5], v[176:177]
	v_mul_f64_e32 v[176:177], v[6:7], v[176:177]
	s_wait_loadcnt_dscnt 0x800
	v_mul_f64_e32 v[168:169], v[28:29], v[26:27]
	v_mul_f64_e32 v[26:27], v[30:31], v[26:27]
	v_add_f64_e32 v[22:23], v[172:173], v[170:171]
	v_add_f64_e32 v[166:167], v[198:199], v[202:203]
	v_fmac_f64_e32 v[204:205], v[6:7], v[174:175]
	v_fma_f64 v[170:171], v[4:5], v[174:175], -v[176:177]
	v_fmac_f64_e32 v[168:169], v[30:31], v[24:25]
	v_fma_f64 v[24:25], v[28:29], v[24:25], -v[26:27]
	v_add_f64_e32 v[172:173], v[22:23], v[20:21]
	v_add_f64_e32 v[166:167], v[166:167], v[200:201]
	ds_load_b128 v[4:7], v2 offset:1920
	ds_load_b128 v[20:23], v2 offset:1936
	s_wait_loadcnt_dscnt 0x701
	v_mul_f64_e32 v[174:175], v[4:5], v[180:181]
	v_mul_f64_e32 v[176:177], v[6:7], v[180:181]
	s_wait_loadcnt_dscnt 0x600
	v_mul_f64_e32 v[30:31], v[20:21], v[164:165]
	v_mul_f64_e32 v[164:165], v[22:23], v[164:165]
	v_add_f64_e32 v[26:27], v[172:173], v[170:171]
	v_add_f64_e32 v[28:29], v[166:167], v[204:205]
	v_fmac_f64_e32 v[174:175], v[6:7], v[178:179]
	v_fma_f64 v[166:167], v[4:5], v[178:179], -v[176:177]
	v_fmac_f64_e32 v[30:31], v[22:23], v[162:163]
	v_fma_f64 v[20:21], v[20:21], v[162:163], -v[164:165]
	v_add_f64_e32 v[170:171], v[26:27], v[24:25]
	v_add_f64_e32 v[28:29], v[28:29], v[168:169]
	ds_load_b128 v[4:7], v2 offset:1952
	ds_load_b128 v[24:27], v2 offset:1968
	;; [unrolled: 16-line block ×4, first 2 shown]
	s_wait_loadcnt_dscnt 0x101
	v_mul_f64_e32 v[2:3], v[4:5], v[192:193]
	v_mul_f64_e32 v[162:163], v[6:7], v[192:193]
	s_wait_loadcnt_dscnt 0x0
	v_mul_f64_e32 v[22:23], v[8:9], v[14:15]
	v_mul_f64_e32 v[14:15], v[10:11], v[14:15]
	v_add_f64_e32 v[18:19], v[164:165], v[28:29]
	v_add_f64_e32 v[20:21], v[24:25], v[30:31]
	v_fmac_f64_e32 v[2:3], v[6:7], v[190:191]
	v_fma_f64 v[4:5], v[4:5], v[190:191], -v[162:163]
	v_fmac_f64_e32 v[22:23], v[10:11], v[12:13]
	v_fma_f64 v[8:9], v[8:9], v[12:13], -v[14:15]
	v_add_f64_e32 v[6:7], v[18:19], v[16:17]
	v_add_f64_e32 v[16:17], v[20:21], v[26:27]
	s_delay_alu instid0(VALU_DEP_2) | instskip(NEXT) | instid1(VALU_DEP_2)
	v_add_f64_e32 v[4:5], v[6:7], v[4:5]
	v_add_f64_e32 v[2:3], v[16:17], v[2:3]
	s_delay_alu instid0(VALU_DEP_2) | instskip(NEXT) | instid1(VALU_DEP_2)
	;; [unrolled: 3-line block ×3, first 2 shown]
	v_add_f64_e64 v[2:3], v[186:187], -v[4:5]
	v_add_f64_e64 v[4:5], v[188:189], -v[6:7]
	scratch_store_b128 off, v[2:5], off offset:336
	s_wait_xcnt 0x0
	v_cmpx_lt_u32_e32 20, v1
	s_cbranch_execz .LBB63_369
; %bb.368:
	scratch_load_b128 v[2:5], off, s67
	v_mov_b32_e32 v6, 0
	s_delay_alu instid0(VALU_DEP_1)
	v_dual_mov_b32 v7, v6 :: v_dual_mov_b32 v8, v6
	v_mov_b32_e32 v9, v6
	scratch_store_b128 off, v[6:9], off offset:320
	s_wait_loadcnt 0x0
	ds_store_b128 v160, v[2:5]
.LBB63_369:
	s_wait_xcnt 0x0
	s_or_b32 exec_lo, exec_lo, s2
	s_wait_storecnt_dscnt 0x0
	s_barrier_signal -1
	s_barrier_wait -1
	s_clause 0x9
	scratch_load_b128 v[4:7], off, off offset:336
	scratch_load_b128 v[8:11], off, off offset:352
	;; [unrolled: 1-line block ×10, first 2 shown]
	v_mov_b32_e32 v2, 0
	s_mov_b32 s2, exec_lo
	ds_load_b128 v[174:177], v2 offset:1360
	s_clause 0x2
	scratch_load_b128 v[178:181], off, off offset:496
	scratch_load_b128 v[182:185], off, off offset:320
	;; [unrolled: 1-line block ×3, first 2 shown]
	s_wait_loadcnt_dscnt 0xc00
	v_mul_f64_e32 v[194:195], v[176:177], v[6:7]
	v_mul_f64_e32 v[198:199], v[174:175], v[6:7]
	ds_load_b128 v[186:189], v2 offset:1376
	v_fma_f64 v[202:203], v[174:175], v[4:5], -v[194:195]
	v_fmac_f64_e32 v[198:199], v[176:177], v[4:5]
	ds_load_b128 v[4:7], v2 offset:1392
	s_wait_loadcnt_dscnt 0xb01
	v_mul_f64_e32 v[200:201], v[186:187], v[10:11]
	v_mul_f64_e32 v[10:11], v[188:189], v[10:11]
	scratch_load_b128 v[174:177], off, off offset:528
	ds_load_b128 v[194:197], v2 offset:1408
	s_wait_loadcnt_dscnt 0xb01
	v_mul_f64_e32 v[204:205], v[4:5], v[14:15]
	v_mul_f64_e32 v[14:15], v[6:7], v[14:15]
	v_add_f64_e32 v[198:199], 0, v[198:199]
	v_fmac_f64_e32 v[200:201], v[188:189], v[8:9]
	v_fma_f64 v[186:187], v[186:187], v[8:9], -v[10:11]
	v_add_f64_e32 v[188:189], 0, v[202:203]
	scratch_load_b128 v[8:11], off, off offset:544
	v_fmac_f64_e32 v[204:205], v[6:7], v[12:13]
	v_fma_f64 v[206:207], v[4:5], v[12:13], -v[14:15]
	ds_load_b128 v[4:7], v2 offset:1424
	s_wait_loadcnt_dscnt 0xb01
	v_mul_f64_e32 v[202:203], v[194:195], v[18:19]
	v_mul_f64_e32 v[18:19], v[196:197], v[18:19]
	scratch_load_b128 v[12:15], off, off offset:560
	v_add_f64_e32 v[198:199], v[198:199], v[200:201]
	v_add_f64_e32 v[208:209], v[188:189], v[186:187]
	ds_load_b128 v[186:189], v2 offset:1440
	s_wait_loadcnt_dscnt 0xb01
	v_mul_f64_e32 v[200:201], v[4:5], v[22:23]
	v_mul_f64_e32 v[22:23], v[6:7], v[22:23]
	v_fmac_f64_e32 v[202:203], v[196:197], v[16:17]
	v_fma_f64 v[194:195], v[194:195], v[16:17], -v[18:19]
	scratch_load_b128 v[16:19], off, off offset:576
	v_add_f64_e32 v[198:199], v[198:199], v[204:205]
	v_add_f64_e32 v[196:197], v[208:209], v[206:207]
	v_fmac_f64_e32 v[200:201], v[6:7], v[20:21]
	v_fma_f64 v[206:207], v[4:5], v[20:21], -v[22:23]
	ds_load_b128 v[4:7], v2 offset:1456
	s_wait_loadcnt_dscnt 0xb01
	v_mul_f64_e32 v[204:205], v[186:187], v[26:27]
	v_mul_f64_e32 v[26:27], v[188:189], v[26:27]
	scratch_load_b128 v[20:23], off, off offset:592
	v_add_f64_e32 v[198:199], v[198:199], v[202:203]
	s_wait_loadcnt_dscnt 0xb00
	v_mul_f64_e32 v[202:203], v[4:5], v[30:31]
	v_add_f64_e32 v[208:209], v[196:197], v[194:195]
	v_mul_f64_e32 v[30:31], v[6:7], v[30:31]
	ds_load_b128 v[194:197], v2 offset:1472
	v_fmac_f64_e32 v[204:205], v[188:189], v[24:25]
	v_fma_f64 v[186:187], v[186:187], v[24:25], -v[26:27]
	scratch_load_b128 v[24:27], off, off offset:608
	v_add_f64_e32 v[198:199], v[198:199], v[200:201]
	v_fmac_f64_e32 v[202:203], v[6:7], v[28:29]
	v_add_f64_e32 v[188:189], v[208:209], v[206:207]
	v_fma_f64 v[206:207], v[4:5], v[28:29], -v[30:31]
	ds_load_b128 v[4:7], v2 offset:1488
	s_wait_loadcnt_dscnt 0xb01
	v_mul_f64_e32 v[200:201], v[194:195], v[164:165]
	v_mul_f64_e32 v[164:165], v[196:197], v[164:165]
	scratch_load_b128 v[28:31], off, off offset:624
	v_add_f64_e32 v[198:199], v[198:199], v[204:205]
	s_wait_loadcnt_dscnt 0xb00
	v_mul_f64_e32 v[204:205], v[4:5], v[168:169]
	v_add_f64_e32 v[208:209], v[188:189], v[186:187]
	v_mul_f64_e32 v[168:169], v[6:7], v[168:169]
	ds_load_b128 v[186:189], v2 offset:1504
	v_fmac_f64_e32 v[200:201], v[196:197], v[162:163]
	v_fma_f64 v[194:195], v[194:195], v[162:163], -v[164:165]
	scratch_load_b128 v[162:165], off, off offset:640
	v_add_f64_e32 v[198:199], v[198:199], v[202:203]
	v_fmac_f64_e32 v[204:205], v[6:7], v[166:167]
	v_add_f64_e32 v[196:197], v[208:209], v[206:207]
	;; [unrolled: 18-line block ×3, first 2 shown]
	v_fma_f64 v[206:207], v[4:5], v[178:179], -v[180:181]
	ds_load_b128 v[4:7], v2 offset:1552
	s_wait_loadcnt_dscnt 0xa01
	v_mul_f64_e32 v[204:205], v[194:195], v[192:193]
	v_mul_f64_e32 v[192:193], v[196:197], v[192:193]
	scratch_load_b128 v[178:181], off, off offset:688
	v_add_f64_e32 v[198:199], v[198:199], v[202:203]
	v_add_f64_e32 v[208:209], v[188:189], v[186:187]
	s_wait_loadcnt_dscnt 0xa00
	v_mul_f64_e32 v[202:203], v[4:5], v[176:177]
	v_mul_f64_e32 v[176:177], v[6:7], v[176:177]
	v_fmac_f64_e32 v[204:205], v[196:197], v[190:191]
	v_fma_f64 v[194:195], v[194:195], v[190:191], -v[192:193]
	ds_load_b128 v[186:189], v2 offset:1568
	scratch_load_b128 v[190:193], off, off offset:704
	v_add_f64_e32 v[198:199], v[198:199], v[200:201]
	v_add_f64_e32 v[196:197], v[208:209], v[206:207]
	v_fmac_f64_e32 v[202:203], v[6:7], v[174:175]
	v_fma_f64 v[206:207], v[4:5], v[174:175], -v[176:177]
	ds_load_b128 v[4:7], v2 offset:1584
	s_wait_loadcnt_dscnt 0xa01
	v_mul_f64_e32 v[200:201], v[186:187], v[10:11]
	v_mul_f64_e32 v[10:11], v[188:189], v[10:11]
	scratch_load_b128 v[174:177], off, off offset:720
	v_add_f64_e32 v[198:199], v[198:199], v[204:205]
	s_wait_loadcnt_dscnt 0xa00
	v_mul_f64_e32 v[204:205], v[4:5], v[14:15]
	v_add_f64_e32 v[208:209], v[196:197], v[194:195]
	v_mul_f64_e32 v[14:15], v[6:7], v[14:15]
	ds_load_b128 v[194:197], v2 offset:1600
	v_fmac_f64_e32 v[200:201], v[188:189], v[8:9]
	v_fma_f64 v[186:187], v[186:187], v[8:9], -v[10:11]
	scratch_load_b128 v[8:11], off, off offset:736
	v_add_f64_e32 v[198:199], v[198:199], v[202:203]
	v_fmac_f64_e32 v[204:205], v[6:7], v[12:13]
	v_add_f64_e32 v[188:189], v[208:209], v[206:207]
	v_fma_f64 v[206:207], v[4:5], v[12:13], -v[14:15]
	ds_load_b128 v[4:7], v2 offset:1616
	s_wait_loadcnt_dscnt 0xa01
	v_mul_f64_e32 v[202:203], v[194:195], v[18:19]
	v_mul_f64_e32 v[18:19], v[196:197], v[18:19]
	scratch_load_b128 v[12:15], off, off offset:752
	v_add_f64_e32 v[198:199], v[198:199], v[200:201]
	s_wait_loadcnt_dscnt 0xa00
	v_mul_f64_e32 v[200:201], v[4:5], v[22:23]
	v_add_f64_e32 v[208:209], v[188:189], v[186:187]
	v_mul_f64_e32 v[22:23], v[6:7], v[22:23]
	ds_load_b128 v[186:189], v2 offset:1632
	v_fmac_f64_e32 v[202:203], v[196:197], v[16:17]
	v_fma_f64 v[194:195], v[194:195], v[16:17], -v[18:19]
	scratch_load_b128 v[16:19], off, off offset:768
	v_add_f64_e32 v[198:199], v[198:199], v[204:205]
	v_fmac_f64_e32 v[200:201], v[6:7], v[20:21]
	v_add_f64_e32 v[196:197], v[208:209], v[206:207]
	;; [unrolled: 18-line block ×9, first 2 shown]
	v_fma_f64 v[206:207], v[4:5], v[28:29], -v[30:31]
	ds_load_b128 v[4:7], v2 offset:1872
	s_wait_loadcnt_dscnt 0xa01
	v_mul_f64_e32 v[200:201], v[194:195], v[164:165]
	v_mul_f64_e32 v[164:165], v[196:197], v[164:165]
	scratch_load_b128 v[28:31], off, off offset:1008
	v_add_f64_e32 v[198:199], v[198:199], v[204:205]
	s_wait_loadcnt_dscnt 0xa00
	v_mul_f64_e32 v[204:205], v[4:5], v[168:169]
	v_add_f64_e32 v[208:209], v[188:189], v[186:187]
	v_mul_f64_e32 v[168:169], v[6:7], v[168:169]
	ds_load_b128 v[186:189], v2 offset:1888
	v_fmac_f64_e32 v[200:201], v[196:197], v[162:163]
	v_fma_f64 v[162:163], v[194:195], v[162:163], -v[164:165]
	s_wait_loadcnt_dscnt 0x900
	v_mul_f64_e32 v[196:197], v[186:187], v[172:173]
	v_mul_f64_e32 v[172:173], v[188:189], v[172:173]
	v_add_f64_e32 v[194:195], v[198:199], v[202:203]
	v_fmac_f64_e32 v[204:205], v[6:7], v[166:167]
	v_add_f64_e32 v[164:165], v[208:209], v[206:207]
	v_fma_f64 v[166:167], v[4:5], v[166:167], -v[168:169]
	v_fmac_f64_e32 v[196:197], v[188:189], v[170:171]
	v_fma_f64 v[170:171], v[186:187], v[170:171], -v[172:173]
	v_add_f64_e32 v[194:195], v[194:195], v[200:201]
	v_add_f64_e32 v[168:169], v[164:165], v[162:163]
	ds_load_b128 v[4:7], v2 offset:1904
	ds_load_b128 v[162:165], v2 offset:1920
	s_wait_loadcnt_dscnt 0x801
	v_mul_f64_e32 v[198:199], v[4:5], v[180:181]
	v_mul_f64_e32 v[180:181], v[6:7], v[180:181]
	s_wait_loadcnt_dscnt 0x700
	v_mul_f64_e32 v[172:173], v[162:163], v[192:193]
	v_mul_f64_e32 v[186:187], v[164:165], v[192:193]
	v_add_f64_e32 v[166:167], v[168:169], v[166:167]
	v_add_f64_e32 v[168:169], v[194:195], v[204:205]
	v_fmac_f64_e32 v[198:199], v[6:7], v[178:179]
	v_fma_f64 v[178:179], v[4:5], v[178:179], -v[180:181]
	v_fmac_f64_e32 v[172:173], v[164:165], v[190:191]
	v_fma_f64 v[162:163], v[162:163], v[190:191], -v[186:187]
	v_add_f64_e32 v[170:171], v[166:167], v[170:171]
	v_add_f64_e32 v[180:181], v[168:169], v[196:197]
	ds_load_b128 v[4:7], v2 offset:1936
	ds_load_b128 v[166:169], v2 offset:1952
	s_wait_loadcnt_dscnt 0x601
	v_mul_f64_e32 v[188:189], v[4:5], v[176:177]
	v_mul_f64_e32 v[176:177], v[6:7], v[176:177]
	v_add_f64_e32 v[164:165], v[170:171], v[178:179]
	v_add_f64_e32 v[170:171], v[180:181], v[198:199]
	s_wait_loadcnt_dscnt 0x500
	v_mul_f64_e32 v[178:179], v[166:167], v[10:11]
	v_mul_f64_e32 v[10:11], v[168:169], v[10:11]
	v_fmac_f64_e32 v[188:189], v[6:7], v[174:175]
	v_fma_f64 v[174:175], v[4:5], v[174:175], -v[176:177]
	v_add_f64_e32 v[176:177], v[164:165], v[162:163]
	v_add_f64_e32 v[170:171], v[170:171], v[172:173]
	ds_load_b128 v[4:7], v2 offset:1968
	ds_load_b128 v[162:165], v2 offset:1984
	v_fmac_f64_e32 v[178:179], v[168:169], v[8:9]
	v_fma_f64 v[8:9], v[166:167], v[8:9], -v[10:11]
	s_wait_loadcnt_dscnt 0x401
	v_mul_f64_e32 v[172:173], v[4:5], v[14:15]
	v_mul_f64_e32 v[14:15], v[6:7], v[14:15]
	s_wait_loadcnt_dscnt 0x300
	v_mul_f64_e32 v[168:169], v[162:163], v[18:19]
	v_mul_f64_e32 v[18:19], v[164:165], v[18:19]
	v_add_f64_e32 v[10:11], v[176:177], v[174:175]
	v_add_f64_e32 v[166:167], v[170:171], v[188:189]
	v_fmac_f64_e32 v[172:173], v[6:7], v[12:13]
	v_fma_f64 v[12:13], v[4:5], v[12:13], -v[14:15]
	v_fmac_f64_e32 v[168:169], v[164:165], v[16:17]
	v_fma_f64 v[16:17], v[162:163], v[16:17], -v[18:19]
	v_add_f64_e32 v[14:15], v[10:11], v[8:9]
	v_add_f64_e32 v[166:167], v[166:167], v[178:179]
	ds_load_b128 v[4:7], v2 offset:2000
	ds_load_b128 v[8:11], v2 offset:2016
	s_wait_loadcnt_dscnt 0x201
	v_mul_f64_e32 v[170:171], v[4:5], v[22:23]
	v_mul_f64_e32 v[22:23], v[6:7], v[22:23]
	s_wait_loadcnt_dscnt 0x100
	v_mul_f64_e32 v[18:19], v[8:9], v[26:27]
	v_mul_f64_e32 v[26:27], v[10:11], v[26:27]
	v_add_f64_e32 v[12:13], v[14:15], v[12:13]
	v_add_f64_e32 v[14:15], v[166:167], v[172:173]
	v_fmac_f64_e32 v[170:171], v[6:7], v[20:21]
	v_fma_f64 v[20:21], v[4:5], v[20:21], -v[22:23]
	ds_load_b128 v[4:7], v2 offset:2032
	v_fmac_f64_e32 v[18:19], v[10:11], v[24:25]
	v_fma_f64 v[8:9], v[8:9], v[24:25], -v[26:27]
	v_add_f64_e32 v[12:13], v[12:13], v[16:17]
	v_add_f64_e32 v[14:15], v[14:15], v[168:169]
	s_wait_loadcnt_dscnt 0x0
	v_mul_f64_e32 v[16:17], v[4:5], v[30:31]
	v_mul_f64_e32 v[22:23], v[6:7], v[30:31]
	s_delay_alu instid0(VALU_DEP_4) | instskip(NEXT) | instid1(VALU_DEP_4)
	v_add_f64_e32 v[10:11], v[12:13], v[20:21]
	v_add_f64_e32 v[12:13], v[14:15], v[170:171]
	s_delay_alu instid0(VALU_DEP_4) | instskip(NEXT) | instid1(VALU_DEP_4)
	v_fmac_f64_e32 v[16:17], v[6:7], v[28:29]
	v_fma_f64 v[4:5], v[4:5], v[28:29], -v[22:23]
	s_delay_alu instid0(VALU_DEP_4) | instskip(NEXT) | instid1(VALU_DEP_4)
	v_add_f64_e32 v[6:7], v[10:11], v[8:9]
	v_add_f64_e32 v[8:9], v[12:13], v[18:19]
	s_delay_alu instid0(VALU_DEP_2) | instskip(NEXT) | instid1(VALU_DEP_2)
	v_add_f64_e32 v[4:5], v[6:7], v[4:5]
	v_add_f64_e32 v[6:7], v[8:9], v[16:17]
	s_delay_alu instid0(VALU_DEP_2) | instskip(NEXT) | instid1(VALU_DEP_2)
	v_add_f64_e64 v[4:5], v[182:183], -v[4:5]
	v_add_f64_e64 v[6:7], v[184:185], -v[6:7]
	scratch_store_b128 off, v[4:7], off offset:320
	s_wait_xcnt 0x0
	v_cmpx_lt_u32_e32 19, v1
	s_cbranch_execz .LBB63_371
; %bb.370:
	scratch_load_b128 v[6:9], off, s65
	v_dual_mov_b32 v3, v2 :: v_dual_mov_b32 v4, v2
	v_mov_b32_e32 v5, v2
	scratch_store_b128 off, v[2:5], off offset:304
	s_wait_loadcnt 0x0
	ds_store_b128 v160, v[6:9]
.LBB63_371:
	s_wait_xcnt 0x0
	s_or_b32 exec_lo, exec_lo, s2
	s_wait_storecnt_dscnt 0x0
	s_barrier_signal -1
	s_barrier_wait -1
	s_clause 0x9
	scratch_load_b128 v[4:7], off, off offset:320
	scratch_load_b128 v[8:11], off, off offset:336
	;; [unrolled: 1-line block ×10, first 2 shown]
	ds_load_b128 v[174:177], v2 offset:1344
	ds_load_b128 v[182:185], v2 offset:1360
	s_clause 0x2
	scratch_load_b128 v[178:181], off, off offset:480
	scratch_load_b128 v[186:189], off, off offset:304
	;; [unrolled: 1-line block ×3, first 2 shown]
	s_mov_b32 s2, exec_lo
	s_wait_loadcnt_dscnt 0xc01
	v_mul_f64_e32 v[194:195], v[176:177], v[6:7]
	v_mul_f64_e32 v[198:199], v[174:175], v[6:7]
	s_wait_loadcnt_dscnt 0xb00
	v_mul_f64_e32 v[200:201], v[182:183], v[10:11]
	v_mul_f64_e32 v[10:11], v[184:185], v[10:11]
	s_delay_alu instid0(VALU_DEP_4) | instskip(NEXT) | instid1(VALU_DEP_4)
	v_fma_f64 v[202:203], v[174:175], v[4:5], -v[194:195]
	v_fmac_f64_e32 v[198:199], v[176:177], v[4:5]
	ds_load_b128 v[4:7], v2 offset:1376
	ds_load_b128 v[174:177], v2 offset:1392
	scratch_load_b128 v[194:197], off, off offset:512
	v_fmac_f64_e32 v[200:201], v[184:185], v[8:9]
	v_fma_f64 v[182:183], v[182:183], v[8:9], -v[10:11]
	scratch_load_b128 v[8:11], off, off offset:528
	s_wait_loadcnt_dscnt 0xc01
	v_mul_f64_e32 v[204:205], v[4:5], v[14:15]
	v_mul_f64_e32 v[14:15], v[6:7], v[14:15]
	v_add_f64_e32 v[184:185], 0, v[202:203]
	v_add_f64_e32 v[198:199], 0, v[198:199]
	s_wait_loadcnt_dscnt 0xb00
	v_mul_f64_e32 v[202:203], v[174:175], v[18:19]
	v_mul_f64_e32 v[18:19], v[176:177], v[18:19]
	v_fmac_f64_e32 v[204:205], v[6:7], v[12:13]
	v_fma_f64 v[206:207], v[4:5], v[12:13], -v[14:15]
	ds_load_b128 v[4:7], v2 offset:1408
	ds_load_b128 v[12:15], v2 offset:1424
	v_add_f64_e32 v[208:209], v[184:185], v[182:183]
	v_add_f64_e32 v[198:199], v[198:199], v[200:201]
	scratch_load_b128 v[182:185], off, off offset:544
	v_fmac_f64_e32 v[202:203], v[176:177], v[16:17]
	v_fma_f64 v[174:175], v[174:175], v[16:17], -v[18:19]
	scratch_load_b128 v[16:19], off, off offset:560
	s_wait_loadcnt_dscnt 0xc01
	v_mul_f64_e32 v[200:201], v[4:5], v[22:23]
	v_mul_f64_e32 v[22:23], v[6:7], v[22:23]
	v_add_f64_e32 v[176:177], v[208:209], v[206:207]
	v_add_f64_e32 v[198:199], v[198:199], v[204:205]
	s_wait_loadcnt_dscnt 0xb00
	v_mul_f64_e32 v[204:205], v[12:13], v[26:27]
	v_mul_f64_e32 v[26:27], v[14:15], v[26:27]
	v_fmac_f64_e32 v[200:201], v[6:7], v[20:21]
	v_fma_f64 v[206:207], v[4:5], v[20:21], -v[22:23]
	ds_load_b128 v[4:7], v2 offset:1440
	ds_load_b128 v[20:23], v2 offset:1456
	v_add_f64_e32 v[208:209], v[176:177], v[174:175]
	v_add_f64_e32 v[198:199], v[198:199], v[202:203]
	scratch_load_b128 v[174:177], off, off offset:576
	s_wait_loadcnt_dscnt 0xb01
	v_mul_f64_e32 v[202:203], v[4:5], v[30:31]
	v_mul_f64_e32 v[30:31], v[6:7], v[30:31]
	v_fmac_f64_e32 v[204:205], v[14:15], v[24:25]
	v_fma_f64 v[24:25], v[12:13], v[24:25], -v[26:27]
	scratch_load_b128 v[12:15], off, off offset:592
	v_add_f64_e32 v[26:27], v[208:209], v[206:207]
	v_add_f64_e32 v[198:199], v[198:199], v[200:201]
	s_wait_loadcnt_dscnt 0xb00
	v_mul_f64_e32 v[200:201], v[20:21], v[164:165]
	v_mul_f64_e32 v[164:165], v[22:23], v[164:165]
	v_fmac_f64_e32 v[202:203], v[6:7], v[28:29]
	v_fma_f64 v[206:207], v[4:5], v[28:29], -v[30:31]
	v_add_f64_e32 v[208:209], v[26:27], v[24:25]
	v_add_f64_e32 v[198:199], v[198:199], v[204:205]
	ds_load_b128 v[4:7], v2 offset:1472
	ds_load_b128 v[24:27], v2 offset:1488
	scratch_load_b128 v[28:31], off, off offset:608
	v_fmac_f64_e32 v[200:201], v[22:23], v[162:163]
	v_fma_f64 v[162:163], v[20:21], v[162:163], -v[164:165]
	scratch_load_b128 v[20:23], off, off offset:624
	s_wait_loadcnt_dscnt 0xc01
	v_mul_f64_e32 v[204:205], v[4:5], v[168:169]
	v_mul_f64_e32 v[168:169], v[6:7], v[168:169]
	v_add_f64_e32 v[164:165], v[208:209], v[206:207]
	v_add_f64_e32 v[198:199], v[198:199], v[202:203]
	s_wait_loadcnt_dscnt 0xb00
	v_mul_f64_e32 v[202:203], v[24:25], v[172:173]
	v_mul_f64_e32 v[172:173], v[26:27], v[172:173]
	v_fmac_f64_e32 v[204:205], v[6:7], v[166:167]
	v_fma_f64 v[206:207], v[4:5], v[166:167], -v[168:169]
	v_add_f64_e32 v[208:209], v[164:165], v[162:163]
	v_add_f64_e32 v[198:199], v[198:199], v[200:201]
	ds_load_b128 v[4:7], v2 offset:1504
	ds_load_b128 v[162:165], v2 offset:1520
	scratch_load_b128 v[166:169], off, off offset:640
	v_fmac_f64_e32 v[202:203], v[26:27], v[170:171]
	v_fma_f64 v[170:171], v[24:25], v[170:171], -v[172:173]
	scratch_load_b128 v[24:27], off, off offset:656
	s_wait_loadcnt_dscnt 0xc01
	v_mul_f64_e32 v[200:201], v[4:5], v[180:181]
	v_mul_f64_e32 v[180:181], v[6:7], v[180:181]
	;; [unrolled: 18-line block ×5, first 2 shown]
	v_add_f64_e32 v[192:193], v[208:209], v[206:207]
	v_add_f64_e32 v[198:199], v[198:199], v[204:205]
	s_wait_loadcnt_dscnt 0xa00
	v_mul_f64_e32 v[204:205], v[170:171], v[14:15]
	v_mul_f64_e32 v[14:15], v[172:173], v[14:15]
	v_fmac_f64_e32 v[200:201], v[6:7], v[174:175]
	v_fma_f64 v[206:207], v[4:5], v[174:175], -v[176:177]
	ds_load_b128 v[4:7], v2 offset:1632
	ds_load_b128 v[174:177], v2 offset:1648
	v_add_f64_e32 v[208:209], v[192:193], v[190:191]
	v_add_f64_e32 v[198:199], v[198:199], v[202:203]
	scratch_load_b128 v[190:193], off, off offset:768
	v_fmac_f64_e32 v[204:205], v[172:173], v[12:13]
	v_fma_f64 v[170:171], v[170:171], v[12:13], -v[14:15]
	scratch_load_b128 v[12:15], off, off offset:784
	s_wait_loadcnt_dscnt 0xb01
	v_mul_f64_e32 v[202:203], v[4:5], v[30:31]
	v_mul_f64_e32 v[30:31], v[6:7], v[30:31]
	v_add_f64_e32 v[172:173], v[208:209], v[206:207]
	v_add_f64_e32 v[198:199], v[198:199], v[200:201]
	s_wait_loadcnt_dscnt 0xa00
	v_mul_f64_e32 v[200:201], v[174:175], v[22:23]
	v_mul_f64_e32 v[22:23], v[176:177], v[22:23]
	v_fmac_f64_e32 v[202:203], v[6:7], v[28:29]
	v_fma_f64 v[206:207], v[4:5], v[28:29], -v[30:31]
	ds_load_b128 v[4:7], v2 offset:1664
	ds_load_b128 v[28:31], v2 offset:1680
	v_add_f64_e32 v[208:209], v[172:173], v[170:171]
	v_add_f64_e32 v[198:199], v[198:199], v[204:205]
	scratch_load_b128 v[170:173], off, off offset:800
	s_wait_loadcnt_dscnt 0xa01
	v_mul_f64_e32 v[204:205], v[4:5], v[168:169]
	v_mul_f64_e32 v[168:169], v[6:7], v[168:169]
	v_fmac_f64_e32 v[200:201], v[176:177], v[20:21]
	v_fma_f64 v[174:175], v[174:175], v[20:21], -v[22:23]
	scratch_load_b128 v[20:23], off, off offset:816
	v_add_f64_e32 v[176:177], v[208:209], v[206:207]
	v_add_f64_e32 v[198:199], v[198:199], v[202:203]
	s_wait_loadcnt_dscnt 0xa00
	v_mul_f64_e32 v[202:203], v[28:29], v[26:27]
	v_mul_f64_e32 v[26:27], v[30:31], v[26:27]
	v_fmac_f64_e32 v[204:205], v[6:7], v[166:167]
	v_fma_f64 v[206:207], v[4:5], v[166:167], -v[168:169]
	ds_load_b128 v[4:7], v2 offset:1696
	ds_load_b128 v[166:169], v2 offset:1712
	v_add_f64_e32 v[208:209], v[176:177], v[174:175]
	v_add_f64_e32 v[198:199], v[198:199], v[200:201]
	scratch_load_b128 v[174:177], off, off offset:832
	s_wait_loadcnt_dscnt 0xa01
	v_mul_f64_e32 v[200:201], v[4:5], v[180:181]
	v_mul_f64_e32 v[180:181], v[6:7], v[180:181]
	v_fmac_f64_e32 v[202:203], v[30:31], v[24:25]
	v_fma_f64 v[28:29], v[28:29], v[24:25], -v[26:27]
	scratch_load_b128 v[24:27], off, off offset:848
	v_add_f64_e32 v[30:31], v[208:209], v[206:207]
	v_add_f64_e32 v[198:199], v[198:199], v[204:205]
	s_wait_loadcnt_dscnt 0xa00
	v_mul_f64_e32 v[204:205], v[166:167], v[164:165]
	v_mul_f64_e32 v[164:165], v[168:169], v[164:165]
	v_fmac_f64_e32 v[200:201], v[6:7], v[178:179]
	v_fma_f64 v[206:207], v[4:5], v[178:179], -v[180:181]
	v_add_f64_e32 v[208:209], v[30:31], v[28:29]
	v_add_f64_e32 v[198:199], v[198:199], v[202:203]
	ds_load_b128 v[4:7], v2 offset:1728
	ds_load_b128 v[28:31], v2 offset:1744
	scratch_load_b128 v[178:181], off, off offset:864
	v_fmac_f64_e32 v[204:205], v[168:169], v[162:163]
	v_fma_f64 v[166:167], v[166:167], v[162:163], -v[164:165]
	scratch_load_b128 v[162:165], off, off offset:880
	s_wait_loadcnt_dscnt 0xb01
	v_mul_f64_e32 v[202:203], v[4:5], v[196:197]
	v_mul_f64_e32 v[196:197], v[6:7], v[196:197]
	v_add_f64_e32 v[168:169], v[208:209], v[206:207]
	v_add_f64_e32 v[198:199], v[198:199], v[200:201]
	s_wait_loadcnt_dscnt 0xa00
	v_mul_f64_e32 v[200:201], v[28:29], v[10:11]
	v_mul_f64_e32 v[10:11], v[30:31], v[10:11]
	v_fmac_f64_e32 v[202:203], v[6:7], v[194:195]
	v_fma_f64 v[206:207], v[4:5], v[194:195], -v[196:197]
	v_add_f64_e32 v[208:209], v[168:169], v[166:167]
	v_add_f64_e32 v[198:199], v[198:199], v[204:205]
	ds_load_b128 v[4:7], v2 offset:1760
	ds_load_b128 v[166:169], v2 offset:1776
	scratch_load_b128 v[194:197], off, off offset:896
	v_fmac_f64_e32 v[200:201], v[30:31], v[8:9]
	v_fma_f64 v[28:29], v[28:29], v[8:9], -v[10:11]
	scratch_load_b128 v[8:11], off, off offset:912
	s_wait_loadcnt_dscnt 0xb01
	v_mul_f64_e32 v[204:205], v[4:5], v[184:185]
	v_mul_f64_e32 v[184:185], v[6:7], v[184:185]
	;; [unrolled: 18-line block ×5, first 2 shown]
	v_add_f64_e32 v[168:169], v[208:209], v[206:207]
	v_add_f64_e32 v[198:199], v[198:199], v[202:203]
	s_wait_loadcnt_dscnt 0xa00
	v_mul_f64_e32 v[202:203], v[28:29], v[26:27]
	v_mul_f64_e32 v[26:27], v[30:31], v[26:27]
	v_fmac_f64_e32 v[204:205], v[6:7], v[174:175]
	v_fma_f64 v[174:175], v[4:5], v[174:175], -v[176:177]
	v_add_f64_e32 v[176:177], v[168:169], v[166:167]
	v_add_f64_e32 v[198:199], v[198:199], v[200:201]
	ds_load_b128 v[4:7], v2 offset:1888
	ds_load_b128 v[166:169], v2 offset:1904
	v_fmac_f64_e32 v[202:203], v[30:31], v[24:25]
	v_fma_f64 v[24:25], v[28:29], v[24:25], -v[26:27]
	s_wait_loadcnt_dscnt 0x901
	v_mul_f64_e32 v[200:201], v[4:5], v[180:181]
	v_mul_f64_e32 v[180:181], v[6:7], v[180:181]
	s_wait_loadcnt_dscnt 0x800
	v_mul_f64_e32 v[30:31], v[166:167], v[164:165]
	v_mul_f64_e32 v[164:165], v[168:169], v[164:165]
	v_add_f64_e32 v[26:27], v[176:177], v[174:175]
	v_add_f64_e32 v[28:29], v[198:199], v[204:205]
	v_fmac_f64_e32 v[200:201], v[6:7], v[178:179]
	v_fma_f64 v[174:175], v[4:5], v[178:179], -v[180:181]
	v_fmac_f64_e32 v[30:31], v[168:169], v[162:163]
	v_fma_f64 v[162:163], v[166:167], v[162:163], -v[164:165]
	v_add_f64_e32 v[176:177], v[26:27], v[24:25]
	v_add_f64_e32 v[28:29], v[28:29], v[202:203]
	ds_load_b128 v[4:7], v2 offset:1920
	ds_load_b128 v[24:27], v2 offset:1936
	s_wait_loadcnt_dscnt 0x701
	v_mul_f64_e32 v[178:179], v[4:5], v[196:197]
	v_mul_f64_e32 v[180:181], v[6:7], v[196:197]
	s_wait_loadcnt_dscnt 0x600
	v_mul_f64_e32 v[166:167], v[24:25], v[10:11]
	v_mul_f64_e32 v[10:11], v[26:27], v[10:11]
	v_add_f64_e32 v[164:165], v[176:177], v[174:175]
	v_add_f64_e32 v[28:29], v[28:29], v[200:201]
	v_fmac_f64_e32 v[178:179], v[6:7], v[194:195]
	v_fma_f64 v[168:169], v[4:5], v[194:195], -v[180:181]
	v_fmac_f64_e32 v[166:167], v[26:27], v[8:9]
	v_fma_f64 v[8:9], v[24:25], v[8:9], -v[10:11]
	v_add_f64_e32 v[162:163], v[164:165], v[162:163]
	v_add_f64_e32 v[164:165], v[28:29], v[30:31]
	ds_load_b128 v[4:7], v2 offset:1952
	ds_load_b128 v[28:31], v2 offset:1968
	;; [unrolled: 16-line block ×4, first 2 shown]
	s_wait_loadcnt_dscnt 0x101
	v_mul_f64_e32 v[2:3], v[4:5], v[172:173]
	v_mul_f64_e32 v[26:27], v[6:7], v[172:173]
	v_add_f64_e32 v[10:11], v[18:19], v[162:163]
	v_add_f64_e32 v[12:13], v[24:25], v[166:167]
	s_wait_loadcnt_dscnt 0x0
	v_mul_f64_e32 v[18:19], v[14:15], v[22:23]
	v_mul_f64_e32 v[22:23], v[16:17], v[22:23]
	v_fmac_f64_e32 v[2:3], v[6:7], v[170:171]
	v_fma_f64 v[4:5], v[4:5], v[170:171], -v[26:27]
	v_add_f64_e32 v[6:7], v[10:11], v[8:9]
	v_add_f64_e32 v[8:9], v[12:13], v[28:29]
	v_fmac_f64_e32 v[18:19], v[16:17], v[20:21]
	v_fma_f64 v[10:11], v[14:15], v[20:21], -v[22:23]
	s_delay_alu instid0(VALU_DEP_4) | instskip(NEXT) | instid1(VALU_DEP_4)
	v_add_f64_e32 v[4:5], v[6:7], v[4:5]
	v_add_f64_e32 v[2:3], v[8:9], v[2:3]
	s_delay_alu instid0(VALU_DEP_2) | instskip(NEXT) | instid1(VALU_DEP_2)
	v_add_f64_e32 v[4:5], v[4:5], v[10:11]
	v_add_f64_e32 v[6:7], v[2:3], v[18:19]
	s_delay_alu instid0(VALU_DEP_2) | instskip(NEXT) | instid1(VALU_DEP_2)
	v_add_f64_e64 v[2:3], v[186:187], -v[4:5]
	v_add_f64_e64 v[4:5], v[188:189], -v[6:7]
	scratch_store_b128 off, v[2:5], off offset:304
	s_wait_xcnt 0x0
	v_cmpx_lt_u32_e32 18, v1
	s_cbranch_execz .LBB63_373
; %bb.372:
	scratch_load_b128 v[2:5], off, s61
	v_mov_b32_e32 v6, 0
	s_delay_alu instid0(VALU_DEP_1)
	v_dual_mov_b32 v7, v6 :: v_dual_mov_b32 v8, v6
	v_mov_b32_e32 v9, v6
	scratch_store_b128 off, v[6:9], off offset:288
	s_wait_loadcnt 0x0
	ds_store_b128 v160, v[2:5]
.LBB63_373:
	s_wait_xcnt 0x0
	s_or_b32 exec_lo, exec_lo, s2
	s_wait_storecnt_dscnt 0x0
	s_barrier_signal -1
	s_barrier_wait -1
	s_clause 0x9
	scratch_load_b128 v[4:7], off, off offset:304
	scratch_load_b128 v[8:11], off, off offset:320
	;; [unrolled: 1-line block ×10, first 2 shown]
	v_mov_b32_e32 v2, 0
	s_mov_b32 s2, exec_lo
	ds_load_b128 v[174:177], v2 offset:1328
	s_clause 0x2
	scratch_load_b128 v[178:181], off, off offset:464
	scratch_load_b128 v[182:185], off, off offset:288
	scratch_load_b128 v[190:193], off, off offset:480
	s_wait_loadcnt_dscnt 0xc00
	v_mul_f64_e32 v[194:195], v[176:177], v[6:7]
	v_mul_f64_e32 v[198:199], v[174:175], v[6:7]
	ds_load_b128 v[186:189], v2 offset:1344
	v_fma_f64 v[202:203], v[174:175], v[4:5], -v[194:195]
	v_fmac_f64_e32 v[198:199], v[176:177], v[4:5]
	ds_load_b128 v[4:7], v2 offset:1360
	s_wait_loadcnt_dscnt 0xb01
	v_mul_f64_e32 v[200:201], v[186:187], v[10:11]
	v_mul_f64_e32 v[10:11], v[188:189], v[10:11]
	scratch_load_b128 v[174:177], off, off offset:496
	ds_load_b128 v[194:197], v2 offset:1376
	s_wait_loadcnt_dscnt 0xb01
	v_mul_f64_e32 v[204:205], v[4:5], v[14:15]
	v_mul_f64_e32 v[14:15], v[6:7], v[14:15]
	v_add_f64_e32 v[198:199], 0, v[198:199]
	v_fmac_f64_e32 v[200:201], v[188:189], v[8:9]
	v_fma_f64 v[186:187], v[186:187], v[8:9], -v[10:11]
	v_add_f64_e32 v[188:189], 0, v[202:203]
	scratch_load_b128 v[8:11], off, off offset:512
	v_fmac_f64_e32 v[204:205], v[6:7], v[12:13]
	v_fma_f64 v[206:207], v[4:5], v[12:13], -v[14:15]
	ds_load_b128 v[4:7], v2 offset:1392
	s_wait_loadcnt_dscnt 0xb01
	v_mul_f64_e32 v[202:203], v[194:195], v[18:19]
	v_mul_f64_e32 v[18:19], v[196:197], v[18:19]
	scratch_load_b128 v[12:15], off, off offset:528
	v_add_f64_e32 v[198:199], v[198:199], v[200:201]
	v_add_f64_e32 v[208:209], v[188:189], v[186:187]
	ds_load_b128 v[186:189], v2 offset:1408
	s_wait_loadcnt_dscnt 0xb01
	v_mul_f64_e32 v[200:201], v[4:5], v[22:23]
	v_mul_f64_e32 v[22:23], v[6:7], v[22:23]
	v_fmac_f64_e32 v[202:203], v[196:197], v[16:17]
	v_fma_f64 v[194:195], v[194:195], v[16:17], -v[18:19]
	scratch_load_b128 v[16:19], off, off offset:544
	v_add_f64_e32 v[198:199], v[198:199], v[204:205]
	v_add_f64_e32 v[196:197], v[208:209], v[206:207]
	v_fmac_f64_e32 v[200:201], v[6:7], v[20:21]
	v_fma_f64 v[206:207], v[4:5], v[20:21], -v[22:23]
	ds_load_b128 v[4:7], v2 offset:1424
	s_wait_loadcnt_dscnt 0xb01
	v_mul_f64_e32 v[204:205], v[186:187], v[26:27]
	v_mul_f64_e32 v[26:27], v[188:189], v[26:27]
	scratch_load_b128 v[20:23], off, off offset:560
	v_add_f64_e32 v[198:199], v[198:199], v[202:203]
	s_wait_loadcnt_dscnt 0xb00
	v_mul_f64_e32 v[202:203], v[4:5], v[30:31]
	v_add_f64_e32 v[208:209], v[196:197], v[194:195]
	v_mul_f64_e32 v[30:31], v[6:7], v[30:31]
	ds_load_b128 v[194:197], v2 offset:1440
	v_fmac_f64_e32 v[204:205], v[188:189], v[24:25]
	v_fma_f64 v[186:187], v[186:187], v[24:25], -v[26:27]
	scratch_load_b128 v[24:27], off, off offset:576
	v_add_f64_e32 v[198:199], v[198:199], v[200:201]
	v_fmac_f64_e32 v[202:203], v[6:7], v[28:29]
	v_add_f64_e32 v[188:189], v[208:209], v[206:207]
	v_fma_f64 v[206:207], v[4:5], v[28:29], -v[30:31]
	ds_load_b128 v[4:7], v2 offset:1456
	s_wait_loadcnt_dscnt 0xb01
	v_mul_f64_e32 v[200:201], v[194:195], v[164:165]
	v_mul_f64_e32 v[164:165], v[196:197], v[164:165]
	scratch_load_b128 v[28:31], off, off offset:592
	v_add_f64_e32 v[198:199], v[198:199], v[204:205]
	s_wait_loadcnt_dscnt 0xb00
	v_mul_f64_e32 v[204:205], v[4:5], v[168:169]
	v_add_f64_e32 v[208:209], v[188:189], v[186:187]
	v_mul_f64_e32 v[168:169], v[6:7], v[168:169]
	ds_load_b128 v[186:189], v2 offset:1472
	v_fmac_f64_e32 v[200:201], v[196:197], v[162:163]
	v_fma_f64 v[194:195], v[194:195], v[162:163], -v[164:165]
	scratch_load_b128 v[162:165], off, off offset:608
	v_add_f64_e32 v[198:199], v[198:199], v[202:203]
	v_fmac_f64_e32 v[204:205], v[6:7], v[166:167]
	v_add_f64_e32 v[196:197], v[208:209], v[206:207]
	;; [unrolled: 18-line block ×3, first 2 shown]
	v_fma_f64 v[206:207], v[4:5], v[178:179], -v[180:181]
	ds_load_b128 v[4:7], v2 offset:1520
	s_wait_loadcnt_dscnt 0xa01
	v_mul_f64_e32 v[204:205], v[194:195], v[192:193]
	v_mul_f64_e32 v[192:193], v[196:197], v[192:193]
	scratch_load_b128 v[178:181], off, off offset:656
	v_add_f64_e32 v[198:199], v[198:199], v[202:203]
	v_add_f64_e32 v[208:209], v[188:189], v[186:187]
	s_wait_loadcnt_dscnt 0xa00
	v_mul_f64_e32 v[202:203], v[4:5], v[176:177]
	v_mul_f64_e32 v[176:177], v[6:7], v[176:177]
	v_fmac_f64_e32 v[204:205], v[196:197], v[190:191]
	v_fma_f64 v[194:195], v[194:195], v[190:191], -v[192:193]
	ds_load_b128 v[186:189], v2 offset:1536
	scratch_load_b128 v[190:193], off, off offset:672
	v_add_f64_e32 v[198:199], v[198:199], v[200:201]
	v_add_f64_e32 v[196:197], v[208:209], v[206:207]
	v_fmac_f64_e32 v[202:203], v[6:7], v[174:175]
	v_fma_f64 v[206:207], v[4:5], v[174:175], -v[176:177]
	ds_load_b128 v[4:7], v2 offset:1552
	s_wait_loadcnt_dscnt 0xa01
	v_mul_f64_e32 v[200:201], v[186:187], v[10:11]
	v_mul_f64_e32 v[10:11], v[188:189], v[10:11]
	scratch_load_b128 v[174:177], off, off offset:688
	v_add_f64_e32 v[198:199], v[198:199], v[204:205]
	s_wait_loadcnt_dscnt 0xa00
	v_mul_f64_e32 v[204:205], v[4:5], v[14:15]
	v_add_f64_e32 v[208:209], v[196:197], v[194:195]
	v_mul_f64_e32 v[14:15], v[6:7], v[14:15]
	ds_load_b128 v[194:197], v2 offset:1568
	v_fmac_f64_e32 v[200:201], v[188:189], v[8:9]
	v_fma_f64 v[186:187], v[186:187], v[8:9], -v[10:11]
	scratch_load_b128 v[8:11], off, off offset:704
	v_add_f64_e32 v[198:199], v[198:199], v[202:203]
	v_fmac_f64_e32 v[204:205], v[6:7], v[12:13]
	v_add_f64_e32 v[188:189], v[208:209], v[206:207]
	v_fma_f64 v[206:207], v[4:5], v[12:13], -v[14:15]
	ds_load_b128 v[4:7], v2 offset:1584
	s_wait_loadcnt_dscnt 0xa01
	v_mul_f64_e32 v[202:203], v[194:195], v[18:19]
	v_mul_f64_e32 v[18:19], v[196:197], v[18:19]
	scratch_load_b128 v[12:15], off, off offset:720
	v_add_f64_e32 v[198:199], v[198:199], v[200:201]
	s_wait_loadcnt_dscnt 0xa00
	v_mul_f64_e32 v[200:201], v[4:5], v[22:23]
	v_add_f64_e32 v[208:209], v[188:189], v[186:187]
	v_mul_f64_e32 v[22:23], v[6:7], v[22:23]
	ds_load_b128 v[186:189], v2 offset:1600
	v_fmac_f64_e32 v[202:203], v[196:197], v[16:17]
	v_fma_f64 v[194:195], v[194:195], v[16:17], -v[18:19]
	scratch_load_b128 v[16:19], off, off offset:736
	v_add_f64_e32 v[198:199], v[198:199], v[204:205]
	v_fmac_f64_e32 v[200:201], v[6:7], v[20:21]
	v_add_f64_e32 v[196:197], v[208:209], v[206:207]
	;; [unrolled: 18-line block ×10, first 2 shown]
	v_fma_f64 v[206:207], v[4:5], v[166:167], -v[168:169]
	ds_load_b128 v[4:7], v2 offset:1872
	s_wait_loadcnt_dscnt 0xa01
	v_mul_f64_e32 v[202:203], v[186:187], v[172:173]
	v_mul_f64_e32 v[172:173], v[188:189], v[172:173]
	scratch_load_b128 v[166:169], off, off offset:1008
	v_add_f64_e32 v[198:199], v[198:199], v[200:201]
	s_wait_loadcnt_dscnt 0xa00
	v_mul_f64_e32 v[200:201], v[4:5], v[180:181]
	v_add_f64_e32 v[208:209], v[196:197], v[194:195]
	v_mul_f64_e32 v[180:181], v[6:7], v[180:181]
	ds_load_b128 v[194:197], v2 offset:1888
	v_fmac_f64_e32 v[202:203], v[188:189], v[170:171]
	v_fma_f64 v[170:171], v[186:187], v[170:171], -v[172:173]
	s_wait_loadcnt_dscnt 0x900
	v_mul_f64_e32 v[188:189], v[194:195], v[192:193]
	v_mul_f64_e32 v[192:193], v[196:197], v[192:193]
	v_add_f64_e32 v[186:187], v[198:199], v[204:205]
	v_fmac_f64_e32 v[200:201], v[6:7], v[178:179]
	v_add_f64_e32 v[172:173], v[208:209], v[206:207]
	v_fma_f64 v[178:179], v[4:5], v[178:179], -v[180:181]
	v_fmac_f64_e32 v[188:189], v[196:197], v[190:191]
	v_fma_f64 v[190:191], v[194:195], v[190:191], -v[192:193]
	v_add_f64_e32 v[186:187], v[186:187], v[202:203]
	v_add_f64_e32 v[180:181], v[172:173], v[170:171]
	ds_load_b128 v[4:7], v2 offset:1904
	ds_load_b128 v[170:173], v2 offset:1920
	s_wait_loadcnt_dscnt 0x801
	v_mul_f64_e32 v[198:199], v[4:5], v[176:177]
	v_mul_f64_e32 v[176:177], v[6:7], v[176:177]
	v_add_f64_e32 v[178:179], v[180:181], v[178:179]
	v_add_f64_e32 v[180:181], v[186:187], v[200:201]
	s_wait_loadcnt_dscnt 0x700
	v_mul_f64_e32 v[186:187], v[170:171], v[10:11]
	v_mul_f64_e32 v[10:11], v[172:173], v[10:11]
	v_fmac_f64_e32 v[198:199], v[6:7], v[174:175]
	v_fma_f64 v[192:193], v[4:5], v[174:175], -v[176:177]
	ds_load_b128 v[4:7], v2 offset:1936
	ds_load_b128 v[174:177], v2 offset:1952
	v_add_f64_e32 v[178:179], v[178:179], v[190:191]
	v_add_f64_e32 v[180:181], v[180:181], v[188:189]
	v_fmac_f64_e32 v[186:187], v[172:173], v[8:9]
	v_fma_f64 v[8:9], v[170:171], v[8:9], -v[10:11]
	s_wait_loadcnt_dscnt 0x601
	v_mul_f64_e32 v[188:189], v[4:5], v[14:15]
	v_mul_f64_e32 v[14:15], v[6:7], v[14:15]
	s_wait_loadcnt_dscnt 0x500
	v_mul_f64_e32 v[172:173], v[174:175], v[18:19]
	v_mul_f64_e32 v[18:19], v[176:177], v[18:19]
	v_add_f64_e32 v[10:11], v[178:179], v[192:193]
	v_add_f64_e32 v[170:171], v[180:181], v[198:199]
	v_fmac_f64_e32 v[188:189], v[6:7], v[12:13]
	v_fma_f64 v[12:13], v[4:5], v[12:13], -v[14:15]
	v_fmac_f64_e32 v[172:173], v[176:177], v[16:17]
	v_fma_f64 v[16:17], v[174:175], v[16:17], -v[18:19]
	v_add_f64_e32 v[14:15], v[10:11], v[8:9]
	v_add_f64_e32 v[170:171], v[170:171], v[186:187]
	ds_load_b128 v[4:7], v2 offset:1968
	ds_load_b128 v[8:11], v2 offset:1984
	s_wait_loadcnt_dscnt 0x401
	v_mul_f64_e32 v[178:179], v[4:5], v[22:23]
	v_mul_f64_e32 v[22:23], v[6:7], v[22:23]
	s_wait_loadcnt_dscnt 0x300
	v_mul_f64_e32 v[18:19], v[8:9], v[26:27]
	v_mul_f64_e32 v[26:27], v[10:11], v[26:27]
	v_add_f64_e32 v[12:13], v[14:15], v[12:13]
	v_add_f64_e32 v[14:15], v[170:171], v[188:189]
	v_fmac_f64_e32 v[178:179], v[6:7], v[20:21]
	v_fma_f64 v[20:21], v[4:5], v[20:21], -v[22:23]
	v_fmac_f64_e32 v[18:19], v[10:11], v[24:25]
	v_fma_f64 v[8:9], v[8:9], v[24:25], -v[26:27]
	v_add_f64_e32 v[16:17], v[12:13], v[16:17]
	v_add_f64_e32 v[22:23], v[14:15], v[172:173]
	ds_load_b128 v[4:7], v2 offset:2000
	ds_load_b128 v[12:15], v2 offset:2016
	s_wait_loadcnt_dscnt 0x201
	v_mul_f64_e32 v[170:171], v[4:5], v[30:31]
	v_mul_f64_e32 v[30:31], v[6:7], v[30:31]
	v_add_f64_e32 v[10:11], v[16:17], v[20:21]
	v_add_f64_e32 v[16:17], v[22:23], v[178:179]
	s_wait_loadcnt_dscnt 0x100
	v_mul_f64_e32 v[20:21], v[12:13], v[164:165]
	v_mul_f64_e32 v[22:23], v[14:15], v[164:165]
	v_fmac_f64_e32 v[170:171], v[6:7], v[28:29]
	v_fma_f64 v[24:25], v[4:5], v[28:29], -v[30:31]
	ds_load_b128 v[4:7], v2 offset:2032
	v_add_f64_e32 v[8:9], v[10:11], v[8:9]
	v_add_f64_e32 v[10:11], v[16:17], v[18:19]
	v_fmac_f64_e32 v[20:21], v[14:15], v[162:163]
	v_fma_f64 v[12:13], v[12:13], v[162:163], -v[22:23]
	s_wait_loadcnt_dscnt 0x0
	v_mul_f64_e32 v[16:17], v[4:5], v[168:169]
	v_mul_f64_e32 v[18:19], v[6:7], v[168:169]
	v_add_f64_e32 v[8:9], v[8:9], v[24:25]
	v_add_f64_e32 v[10:11], v[10:11], v[170:171]
	s_delay_alu instid0(VALU_DEP_4) | instskip(NEXT) | instid1(VALU_DEP_4)
	v_fmac_f64_e32 v[16:17], v[6:7], v[166:167]
	v_fma_f64 v[4:5], v[4:5], v[166:167], -v[18:19]
	s_delay_alu instid0(VALU_DEP_4) | instskip(NEXT) | instid1(VALU_DEP_4)
	v_add_f64_e32 v[6:7], v[8:9], v[12:13]
	v_add_f64_e32 v[8:9], v[10:11], v[20:21]
	s_delay_alu instid0(VALU_DEP_2) | instskip(NEXT) | instid1(VALU_DEP_2)
	v_add_f64_e32 v[4:5], v[6:7], v[4:5]
	v_add_f64_e32 v[6:7], v[8:9], v[16:17]
	s_delay_alu instid0(VALU_DEP_2) | instskip(NEXT) | instid1(VALU_DEP_2)
	v_add_f64_e64 v[4:5], v[182:183], -v[4:5]
	v_add_f64_e64 v[6:7], v[184:185], -v[6:7]
	scratch_store_b128 off, v[4:7], off offset:288
	s_wait_xcnt 0x0
	v_cmpx_lt_u32_e32 17, v1
	s_cbranch_execz .LBB63_375
; %bb.374:
	scratch_load_b128 v[6:9], off, s58
	v_dual_mov_b32 v3, v2 :: v_dual_mov_b32 v4, v2
	v_mov_b32_e32 v5, v2
	scratch_store_b128 off, v[2:5], off offset:272
	s_wait_loadcnt 0x0
	ds_store_b128 v160, v[6:9]
.LBB63_375:
	s_wait_xcnt 0x0
	s_or_b32 exec_lo, exec_lo, s2
	s_wait_storecnt_dscnt 0x0
	s_barrier_signal -1
	s_barrier_wait -1
	s_clause 0x9
	scratch_load_b128 v[4:7], off, off offset:288
	scratch_load_b128 v[8:11], off, off offset:304
	scratch_load_b128 v[12:15], off, off offset:320
	scratch_load_b128 v[16:19], off, off offset:336
	scratch_load_b128 v[20:23], off, off offset:352
	scratch_load_b128 v[24:27], off, off offset:368
	scratch_load_b128 v[28:31], off, off offset:384
	scratch_load_b128 v[162:165], off, off offset:400
	scratch_load_b128 v[166:169], off, off offset:416
	scratch_load_b128 v[170:173], off, off offset:432
	ds_load_b128 v[174:177], v2 offset:1312
	ds_load_b128 v[182:185], v2 offset:1328
	s_clause 0x2
	scratch_load_b128 v[178:181], off, off offset:448
	scratch_load_b128 v[186:189], off, off offset:272
	;; [unrolled: 1-line block ×3, first 2 shown]
	s_mov_b32 s2, exec_lo
	s_wait_loadcnt_dscnt 0xc01
	v_mul_f64_e32 v[194:195], v[176:177], v[6:7]
	v_mul_f64_e32 v[198:199], v[174:175], v[6:7]
	s_wait_loadcnt_dscnt 0xb00
	v_mul_f64_e32 v[200:201], v[182:183], v[10:11]
	v_mul_f64_e32 v[10:11], v[184:185], v[10:11]
	s_delay_alu instid0(VALU_DEP_4) | instskip(NEXT) | instid1(VALU_DEP_4)
	v_fma_f64 v[202:203], v[174:175], v[4:5], -v[194:195]
	v_fmac_f64_e32 v[198:199], v[176:177], v[4:5]
	ds_load_b128 v[4:7], v2 offset:1344
	ds_load_b128 v[174:177], v2 offset:1360
	scratch_load_b128 v[194:197], off, off offset:480
	v_fmac_f64_e32 v[200:201], v[184:185], v[8:9]
	v_fma_f64 v[182:183], v[182:183], v[8:9], -v[10:11]
	scratch_load_b128 v[8:11], off, off offset:496
	s_wait_loadcnt_dscnt 0xc01
	v_mul_f64_e32 v[204:205], v[4:5], v[14:15]
	v_mul_f64_e32 v[14:15], v[6:7], v[14:15]
	v_add_f64_e32 v[184:185], 0, v[202:203]
	v_add_f64_e32 v[198:199], 0, v[198:199]
	s_wait_loadcnt_dscnt 0xb00
	v_mul_f64_e32 v[202:203], v[174:175], v[18:19]
	v_mul_f64_e32 v[18:19], v[176:177], v[18:19]
	v_fmac_f64_e32 v[204:205], v[6:7], v[12:13]
	v_fma_f64 v[206:207], v[4:5], v[12:13], -v[14:15]
	ds_load_b128 v[4:7], v2 offset:1376
	ds_load_b128 v[12:15], v2 offset:1392
	v_add_f64_e32 v[208:209], v[184:185], v[182:183]
	v_add_f64_e32 v[198:199], v[198:199], v[200:201]
	scratch_load_b128 v[182:185], off, off offset:512
	v_fmac_f64_e32 v[202:203], v[176:177], v[16:17]
	v_fma_f64 v[174:175], v[174:175], v[16:17], -v[18:19]
	scratch_load_b128 v[16:19], off, off offset:528
	s_wait_loadcnt_dscnt 0xc01
	v_mul_f64_e32 v[200:201], v[4:5], v[22:23]
	v_mul_f64_e32 v[22:23], v[6:7], v[22:23]
	v_add_f64_e32 v[176:177], v[208:209], v[206:207]
	v_add_f64_e32 v[198:199], v[198:199], v[204:205]
	s_wait_loadcnt_dscnt 0xb00
	v_mul_f64_e32 v[204:205], v[12:13], v[26:27]
	v_mul_f64_e32 v[26:27], v[14:15], v[26:27]
	v_fmac_f64_e32 v[200:201], v[6:7], v[20:21]
	v_fma_f64 v[206:207], v[4:5], v[20:21], -v[22:23]
	ds_load_b128 v[4:7], v2 offset:1408
	ds_load_b128 v[20:23], v2 offset:1424
	v_add_f64_e32 v[208:209], v[176:177], v[174:175]
	v_add_f64_e32 v[198:199], v[198:199], v[202:203]
	scratch_load_b128 v[174:177], off, off offset:544
	s_wait_loadcnt_dscnt 0xb01
	v_mul_f64_e32 v[202:203], v[4:5], v[30:31]
	v_mul_f64_e32 v[30:31], v[6:7], v[30:31]
	v_fmac_f64_e32 v[204:205], v[14:15], v[24:25]
	v_fma_f64 v[24:25], v[12:13], v[24:25], -v[26:27]
	scratch_load_b128 v[12:15], off, off offset:560
	v_add_f64_e32 v[26:27], v[208:209], v[206:207]
	v_add_f64_e32 v[198:199], v[198:199], v[200:201]
	s_wait_loadcnt_dscnt 0xb00
	v_mul_f64_e32 v[200:201], v[20:21], v[164:165]
	v_mul_f64_e32 v[164:165], v[22:23], v[164:165]
	v_fmac_f64_e32 v[202:203], v[6:7], v[28:29]
	v_fma_f64 v[206:207], v[4:5], v[28:29], -v[30:31]
	v_add_f64_e32 v[208:209], v[26:27], v[24:25]
	v_add_f64_e32 v[198:199], v[198:199], v[204:205]
	ds_load_b128 v[4:7], v2 offset:1440
	ds_load_b128 v[24:27], v2 offset:1456
	scratch_load_b128 v[28:31], off, off offset:576
	v_fmac_f64_e32 v[200:201], v[22:23], v[162:163]
	v_fma_f64 v[162:163], v[20:21], v[162:163], -v[164:165]
	scratch_load_b128 v[20:23], off, off offset:592
	s_wait_loadcnt_dscnt 0xc01
	v_mul_f64_e32 v[204:205], v[4:5], v[168:169]
	v_mul_f64_e32 v[168:169], v[6:7], v[168:169]
	v_add_f64_e32 v[164:165], v[208:209], v[206:207]
	v_add_f64_e32 v[198:199], v[198:199], v[202:203]
	s_wait_loadcnt_dscnt 0xb00
	v_mul_f64_e32 v[202:203], v[24:25], v[172:173]
	v_mul_f64_e32 v[172:173], v[26:27], v[172:173]
	v_fmac_f64_e32 v[204:205], v[6:7], v[166:167]
	v_fma_f64 v[206:207], v[4:5], v[166:167], -v[168:169]
	v_add_f64_e32 v[208:209], v[164:165], v[162:163]
	v_add_f64_e32 v[198:199], v[198:199], v[200:201]
	ds_load_b128 v[4:7], v2 offset:1472
	ds_load_b128 v[162:165], v2 offset:1488
	scratch_load_b128 v[166:169], off, off offset:608
	v_fmac_f64_e32 v[202:203], v[26:27], v[170:171]
	v_fma_f64 v[170:171], v[24:25], v[170:171], -v[172:173]
	scratch_load_b128 v[24:27], off, off offset:624
	s_wait_loadcnt_dscnt 0xc01
	v_mul_f64_e32 v[200:201], v[4:5], v[180:181]
	v_mul_f64_e32 v[180:181], v[6:7], v[180:181]
	;; [unrolled: 18-line block ×5, first 2 shown]
	v_add_f64_e32 v[192:193], v[208:209], v[206:207]
	v_add_f64_e32 v[198:199], v[198:199], v[204:205]
	s_wait_loadcnt_dscnt 0xa00
	v_mul_f64_e32 v[204:205], v[170:171], v[14:15]
	v_mul_f64_e32 v[14:15], v[172:173], v[14:15]
	v_fmac_f64_e32 v[200:201], v[6:7], v[174:175]
	v_fma_f64 v[206:207], v[4:5], v[174:175], -v[176:177]
	ds_load_b128 v[4:7], v2 offset:1600
	ds_load_b128 v[174:177], v2 offset:1616
	v_add_f64_e32 v[208:209], v[192:193], v[190:191]
	v_add_f64_e32 v[198:199], v[198:199], v[202:203]
	scratch_load_b128 v[190:193], off, off offset:736
	v_fmac_f64_e32 v[204:205], v[172:173], v[12:13]
	v_fma_f64 v[170:171], v[170:171], v[12:13], -v[14:15]
	scratch_load_b128 v[12:15], off, off offset:752
	s_wait_loadcnt_dscnt 0xb01
	v_mul_f64_e32 v[202:203], v[4:5], v[30:31]
	v_mul_f64_e32 v[30:31], v[6:7], v[30:31]
	v_add_f64_e32 v[172:173], v[208:209], v[206:207]
	v_add_f64_e32 v[198:199], v[198:199], v[200:201]
	s_wait_loadcnt_dscnt 0xa00
	v_mul_f64_e32 v[200:201], v[174:175], v[22:23]
	v_mul_f64_e32 v[22:23], v[176:177], v[22:23]
	v_fmac_f64_e32 v[202:203], v[6:7], v[28:29]
	v_fma_f64 v[206:207], v[4:5], v[28:29], -v[30:31]
	ds_load_b128 v[4:7], v2 offset:1632
	ds_load_b128 v[28:31], v2 offset:1648
	v_add_f64_e32 v[208:209], v[172:173], v[170:171]
	v_add_f64_e32 v[198:199], v[198:199], v[204:205]
	scratch_load_b128 v[170:173], off, off offset:768
	s_wait_loadcnt_dscnt 0xa01
	v_mul_f64_e32 v[204:205], v[4:5], v[168:169]
	v_mul_f64_e32 v[168:169], v[6:7], v[168:169]
	v_fmac_f64_e32 v[200:201], v[176:177], v[20:21]
	v_fma_f64 v[174:175], v[174:175], v[20:21], -v[22:23]
	scratch_load_b128 v[20:23], off, off offset:784
	v_add_f64_e32 v[176:177], v[208:209], v[206:207]
	v_add_f64_e32 v[198:199], v[198:199], v[202:203]
	s_wait_loadcnt_dscnt 0xa00
	v_mul_f64_e32 v[202:203], v[28:29], v[26:27]
	v_mul_f64_e32 v[26:27], v[30:31], v[26:27]
	v_fmac_f64_e32 v[204:205], v[6:7], v[166:167]
	v_fma_f64 v[206:207], v[4:5], v[166:167], -v[168:169]
	ds_load_b128 v[4:7], v2 offset:1664
	ds_load_b128 v[166:169], v2 offset:1680
	v_add_f64_e32 v[208:209], v[176:177], v[174:175]
	v_add_f64_e32 v[198:199], v[198:199], v[200:201]
	scratch_load_b128 v[174:177], off, off offset:800
	s_wait_loadcnt_dscnt 0xa01
	v_mul_f64_e32 v[200:201], v[4:5], v[180:181]
	v_mul_f64_e32 v[180:181], v[6:7], v[180:181]
	v_fmac_f64_e32 v[202:203], v[30:31], v[24:25]
	v_fma_f64 v[28:29], v[28:29], v[24:25], -v[26:27]
	scratch_load_b128 v[24:27], off, off offset:816
	v_add_f64_e32 v[30:31], v[208:209], v[206:207]
	v_add_f64_e32 v[198:199], v[198:199], v[204:205]
	s_wait_loadcnt_dscnt 0xa00
	v_mul_f64_e32 v[204:205], v[166:167], v[164:165]
	v_mul_f64_e32 v[164:165], v[168:169], v[164:165]
	v_fmac_f64_e32 v[200:201], v[6:7], v[178:179]
	v_fma_f64 v[206:207], v[4:5], v[178:179], -v[180:181]
	v_add_f64_e32 v[208:209], v[30:31], v[28:29]
	v_add_f64_e32 v[198:199], v[198:199], v[202:203]
	ds_load_b128 v[4:7], v2 offset:1696
	ds_load_b128 v[28:31], v2 offset:1712
	scratch_load_b128 v[178:181], off, off offset:832
	v_fmac_f64_e32 v[204:205], v[168:169], v[162:163]
	v_fma_f64 v[166:167], v[166:167], v[162:163], -v[164:165]
	scratch_load_b128 v[162:165], off, off offset:848
	s_wait_loadcnt_dscnt 0xb01
	v_mul_f64_e32 v[202:203], v[4:5], v[196:197]
	v_mul_f64_e32 v[196:197], v[6:7], v[196:197]
	v_add_f64_e32 v[168:169], v[208:209], v[206:207]
	v_add_f64_e32 v[198:199], v[198:199], v[200:201]
	s_wait_loadcnt_dscnt 0xa00
	v_mul_f64_e32 v[200:201], v[28:29], v[10:11]
	v_mul_f64_e32 v[10:11], v[30:31], v[10:11]
	v_fmac_f64_e32 v[202:203], v[6:7], v[194:195]
	v_fma_f64 v[206:207], v[4:5], v[194:195], -v[196:197]
	v_add_f64_e32 v[208:209], v[168:169], v[166:167]
	v_add_f64_e32 v[198:199], v[198:199], v[204:205]
	ds_load_b128 v[4:7], v2 offset:1728
	ds_load_b128 v[166:169], v2 offset:1744
	scratch_load_b128 v[194:197], off, off offset:864
	v_fmac_f64_e32 v[200:201], v[30:31], v[8:9]
	v_fma_f64 v[28:29], v[28:29], v[8:9], -v[10:11]
	scratch_load_b128 v[8:11], off, off offset:880
	s_wait_loadcnt_dscnt 0xb01
	v_mul_f64_e32 v[204:205], v[4:5], v[184:185]
	v_mul_f64_e32 v[184:185], v[6:7], v[184:185]
	;; [unrolled: 18-line block ×6, first 2 shown]
	v_add_f64_e32 v[30:31], v[208:209], v[206:207]
	v_add_f64_e32 v[198:199], v[198:199], v[204:205]
	s_wait_loadcnt_dscnt 0xa00
	v_mul_f64_e32 v[204:205], v[166:167], v[164:165]
	v_mul_f64_e32 v[164:165], v[168:169], v[164:165]
	v_fmac_f64_e32 v[200:201], v[6:7], v[178:179]
	v_fma_f64 v[178:179], v[4:5], v[178:179], -v[180:181]
	v_add_f64_e32 v[180:181], v[30:31], v[28:29]
	v_add_f64_e32 v[198:199], v[198:199], v[202:203]
	ds_load_b128 v[4:7], v2 offset:1888
	ds_load_b128 v[28:31], v2 offset:1904
	v_fmac_f64_e32 v[204:205], v[168:169], v[162:163]
	v_fma_f64 v[162:163], v[166:167], v[162:163], -v[164:165]
	s_wait_loadcnt_dscnt 0x901
	v_mul_f64_e32 v[202:203], v[4:5], v[196:197]
	v_mul_f64_e32 v[196:197], v[6:7], v[196:197]
	s_wait_loadcnt_dscnt 0x800
	v_mul_f64_e32 v[168:169], v[28:29], v[10:11]
	v_mul_f64_e32 v[10:11], v[30:31], v[10:11]
	v_add_f64_e32 v[164:165], v[180:181], v[178:179]
	v_add_f64_e32 v[166:167], v[198:199], v[200:201]
	v_fmac_f64_e32 v[202:203], v[6:7], v[194:195]
	v_fma_f64 v[178:179], v[4:5], v[194:195], -v[196:197]
	v_fmac_f64_e32 v[168:169], v[30:31], v[8:9]
	v_fma_f64 v[8:9], v[28:29], v[8:9], -v[10:11]
	v_add_f64_e32 v[180:181], v[164:165], v[162:163]
	v_add_f64_e32 v[166:167], v[166:167], v[204:205]
	ds_load_b128 v[4:7], v2 offset:1920
	ds_load_b128 v[162:165], v2 offset:1936
	s_wait_loadcnt_dscnt 0x701
	v_mul_f64_e32 v[194:195], v[4:5], v[184:185]
	v_mul_f64_e32 v[184:185], v[6:7], v[184:185]
	s_wait_loadcnt_dscnt 0x600
	v_mul_f64_e32 v[30:31], v[162:163], v[18:19]
	v_mul_f64_e32 v[18:19], v[164:165], v[18:19]
	v_add_f64_e32 v[10:11], v[180:181], v[178:179]
	v_add_f64_e32 v[28:29], v[166:167], v[202:203]
	v_fmac_f64_e32 v[194:195], v[6:7], v[182:183]
	v_fma_f64 v[166:167], v[4:5], v[182:183], -v[184:185]
	v_fmac_f64_e32 v[30:31], v[164:165], v[16:17]
	v_fma_f64 v[16:17], v[162:163], v[16:17], -v[18:19]
	v_add_f64_e32 v[178:179], v[10:11], v[8:9]
	v_add_f64_e32 v[28:29], v[28:29], v[168:169]
	ds_load_b128 v[4:7], v2 offset:1952
	ds_load_b128 v[8:11], v2 offset:1968
	s_wait_loadcnt_dscnt 0x501
	v_mul_f64_e32 v[168:169], v[4:5], v[192:193]
	v_mul_f64_e32 v[180:181], v[6:7], v[192:193]
	s_wait_loadcnt_dscnt 0x400
	v_mul_f64_e32 v[162:163], v[8:9], v[14:15]
	v_mul_f64_e32 v[164:165], v[10:11], v[14:15]
	v_add_f64_e32 v[18:19], v[178:179], v[166:167]
	v_add_f64_e32 v[28:29], v[28:29], v[194:195]
	v_fmac_f64_e32 v[168:169], v[6:7], v[190:191]
	v_fma_f64 v[166:167], v[4:5], v[190:191], -v[180:181]
	v_fmac_f64_e32 v[162:163], v[10:11], v[12:13]
	v_fma_f64 v[8:9], v[8:9], v[12:13], -v[164:165]
	v_add_f64_e32 v[18:19], v[18:19], v[16:17]
	v_add_f64_e32 v[28:29], v[28:29], v[30:31]
	ds_load_b128 v[4:7], v2 offset:1984
	ds_load_b128 v[14:17], v2 offset:2000
	s_wait_loadcnt_dscnt 0x301
	v_mul_f64_e32 v[30:31], v[4:5], v[172:173]
	v_mul_f64_e32 v[172:173], v[6:7], v[172:173]
	v_add_f64_e32 v[10:11], v[18:19], v[166:167]
	v_add_f64_e32 v[12:13], v[28:29], v[168:169]
	s_wait_loadcnt_dscnt 0x200
	v_mul_f64_e32 v[18:19], v[14:15], v[22:23]
	v_mul_f64_e32 v[22:23], v[16:17], v[22:23]
	v_fmac_f64_e32 v[30:31], v[6:7], v[170:171]
	v_fma_f64 v[28:29], v[4:5], v[170:171], -v[172:173]
	v_add_f64_e32 v[164:165], v[10:11], v[8:9]
	v_add_f64_e32 v[12:13], v[12:13], v[162:163]
	ds_load_b128 v[4:7], v2 offset:2016
	ds_load_b128 v[8:11], v2 offset:2032
	v_fmac_f64_e32 v[18:19], v[16:17], v[20:21]
	v_fma_f64 v[14:15], v[14:15], v[20:21], -v[22:23]
	s_wait_loadcnt_dscnt 0x101
	v_mul_f64_e32 v[2:3], v[4:5], v[176:177]
	v_mul_f64_e32 v[162:163], v[6:7], v[176:177]
	s_wait_loadcnt_dscnt 0x0
	v_mul_f64_e32 v[20:21], v[8:9], v[26:27]
	v_mul_f64_e32 v[22:23], v[10:11], v[26:27]
	v_add_f64_e32 v[16:17], v[164:165], v[28:29]
	v_add_f64_e32 v[12:13], v[12:13], v[30:31]
	v_fmac_f64_e32 v[2:3], v[6:7], v[174:175]
	v_fma_f64 v[4:5], v[4:5], v[174:175], -v[162:163]
	v_fmac_f64_e32 v[20:21], v[10:11], v[24:25]
	v_fma_f64 v[8:9], v[8:9], v[24:25], -v[22:23]
	v_add_f64_e32 v[6:7], v[16:17], v[14:15]
	v_add_f64_e32 v[12:13], v[12:13], v[18:19]
	s_delay_alu instid0(VALU_DEP_2) | instskip(NEXT) | instid1(VALU_DEP_2)
	v_add_f64_e32 v[4:5], v[6:7], v[4:5]
	v_add_f64_e32 v[2:3], v[12:13], v[2:3]
	s_delay_alu instid0(VALU_DEP_2) | instskip(NEXT) | instid1(VALU_DEP_2)
	;; [unrolled: 3-line block ×3, first 2 shown]
	v_add_f64_e64 v[2:3], v[186:187], -v[4:5]
	v_add_f64_e64 v[4:5], v[188:189], -v[6:7]
	scratch_store_b128 off, v[2:5], off offset:272
	s_wait_xcnt 0x0
	v_cmpx_lt_u32_e32 16, v1
	s_cbranch_execz .LBB63_377
; %bb.376:
	scratch_load_b128 v[2:5], off, s56
	v_mov_b32_e32 v6, 0
	s_delay_alu instid0(VALU_DEP_1)
	v_dual_mov_b32 v7, v6 :: v_dual_mov_b32 v8, v6
	v_mov_b32_e32 v9, v6
	scratch_store_b128 off, v[6:9], off offset:256
	s_wait_loadcnt 0x0
	ds_store_b128 v160, v[2:5]
.LBB63_377:
	s_wait_xcnt 0x0
	s_or_b32 exec_lo, exec_lo, s2
	s_wait_storecnt_dscnt 0x0
	s_barrier_signal -1
	s_barrier_wait -1
	s_clause 0x9
	scratch_load_b128 v[4:7], off, off offset:272
	scratch_load_b128 v[8:11], off, off offset:288
	;; [unrolled: 1-line block ×10, first 2 shown]
	v_mov_b32_e32 v2, 0
	s_mov_b32 s2, exec_lo
	ds_load_b128 v[174:177], v2 offset:1296
	s_clause 0x2
	scratch_load_b128 v[178:181], off, off offset:432
	scratch_load_b128 v[182:185], off, off offset:256
	;; [unrolled: 1-line block ×3, first 2 shown]
	s_wait_loadcnt_dscnt 0xc00
	v_mul_f64_e32 v[194:195], v[176:177], v[6:7]
	v_mul_f64_e32 v[198:199], v[174:175], v[6:7]
	ds_load_b128 v[186:189], v2 offset:1312
	v_fma_f64 v[202:203], v[174:175], v[4:5], -v[194:195]
	v_fmac_f64_e32 v[198:199], v[176:177], v[4:5]
	ds_load_b128 v[4:7], v2 offset:1328
	s_wait_loadcnt_dscnt 0xb01
	v_mul_f64_e32 v[200:201], v[186:187], v[10:11]
	v_mul_f64_e32 v[10:11], v[188:189], v[10:11]
	scratch_load_b128 v[174:177], off, off offset:464
	ds_load_b128 v[194:197], v2 offset:1344
	s_wait_loadcnt_dscnt 0xb01
	v_mul_f64_e32 v[204:205], v[4:5], v[14:15]
	v_mul_f64_e32 v[14:15], v[6:7], v[14:15]
	v_add_f64_e32 v[198:199], 0, v[198:199]
	v_fmac_f64_e32 v[200:201], v[188:189], v[8:9]
	v_fma_f64 v[186:187], v[186:187], v[8:9], -v[10:11]
	v_add_f64_e32 v[188:189], 0, v[202:203]
	scratch_load_b128 v[8:11], off, off offset:480
	v_fmac_f64_e32 v[204:205], v[6:7], v[12:13]
	v_fma_f64 v[206:207], v[4:5], v[12:13], -v[14:15]
	ds_load_b128 v[4:7], v2 offset:1360
	s_wait_loadcnt_dscnt 0xb01
	v_mul_f64_e32 v[202:203], v[194:195], v[18:19]
	v_mul_f64_e32 v[18:19], v[196:197], v[18:19]
	scratch_load_b128 v[12:15], off, off offset:496
	v_add_f64_e32 v[198:199], v[198:199], v[200:201]
	v_add_f64_e32 v[208:209], v[188:189], v[186:187]
	ds_load_b128 v[186:189], v2 offset:1376
	s_wait_loadcnt_dscnt 0xb01
	v_mul_f64_e32 v[200:201], v[4:5], v[22:23]
	v_mul_f64_e32 v[22:23], v[6:7], v[22:23]
	v_fmac_f64_e32 v[202:203], v[196:197], v[16:17]
	v_fma_f64 v[194:195], v[194:195], v[16:17], -v[18:19]
	scratch_load_b128 v[16:19], off, off offset:512
	v_add_f64_e32 v[198:199], v[198:199], v[204:205]
	v_add_f64_e32 v[196:197], v[208:209], v[206:207]
	v_fmac_f64_e32 v[200:201], v[6:7], v[20:21]
	v_fma_f64 v[206:207], v[4:5], v[20:21], -v[22:23]
	ds_load_b128 v[4:7], v2 offset:1392
	s_wait_loadcnt_dscnt 0xb01
	v_mul_f64_e32 v[204:205], v[186:187], v[26:27]
	v_mul_f64_e32 v[26:27], v[188:189], v[26:27]
	scratch_load_b128 v[20:23], off, off offset:528
	v_add_f64_e32 v[198:199], v[198:199], v[202:203]
	s_wait_loadcnt_dscnt 0xb00
	v_mul_f64_e32 v[202:203], v[4:5], v[30:31]
	v_add_f64_e32 v[208:209], v[196:197], v[194:195]
	v_mul_f64_e32 v[30:31], v[6:7], v[30:31]
	ds_load_b128 v[194:197], v2 offset:1408
	v_fmac_f64_e32 v[204:205], v[188:189], v[24:25]
	v_fma_f64 v[186:187], v[186:187], v[24:25], -v[26:27]
	scratch_load_b128 v[24:27], off, off offset:544
	v_add_f64_e32 v[198:199], v[198:199], v[200:201]
	v_fmac_f64_e32 v[202:203], v[6:7], v[28:29]
	v_add_f64_e32 v[188:189], v[208:209], v[206:207]
	v_fma_f64 v[206:207], v[4:5], v[28:29], -v[30:31]
	ds_load_b128 v[4:7], v2 offset:1424
	s_wait_loadcnt_dscnt 0xb01
	v_mul_f64_e32 v[200:201], v[194:195], v[164:165]
	v_mul_f64_e32 v[164:165], v[196:197], v[164:165]
	scratch_load_b128 v[28:31], off, off offset:560
	v_add_f64_e32 v[198:199], v[198:199], v[204:205]
	s_wait_loadcnt_dscnt 0xb00
	v_mul_f64_e32 v[204:205], v[4:5], v[168:169]
	v_add_f64_e32 v[208:209], v[188:189], v[186:187]
	v_mul_f64_e32 v[168:169], v[6:7], v[168:169]
	ds_load_b128 v[186:189], v2 offset:1440
	v_fmac_f64_e32 v[200:201], v[196:197], v[162:163]
	v_fma_f64 v[194:195], v[194:195], v[162:163], -v[164:165]
	scratch_load_b128 v[162:165], off, off offset:576
	v_add_f64_e32 v[198:199], v[198:199], v[202:203]
	v_fmac_f64_e32 v[204:205], v[6:7], v[166:167]
	v_add_f64_e32 v[196:197], v[208:209], v[206:207]
	;; [unrolled: 18-line block ×3, first 2 shown]
	v_fma_f64 v[206:207], v[4:5], v[178:179], -v[180:181]
	ds_load_b128 v[4:7], v2 offset:1488
	s_wait_loadcnt_dscnt 0xa01
	v_mul_f64_e32 v[204:205], v[194:195], v[192:193]
	v_mul_f64_e32 v[192:193], v[196:197], v[192:193]
	scratch_load_b128 v[178:181], off, off offset:624
	v_add_f64_e32 v[198:199], v[198:199], v[202:203]
	v_add_f64_e32 v[208:209], v[188:189], v[186:187]
	s_wait_loadcnt_dscnt 0xa00
	v_mul_f64_e32 v[202:203], v[4:5], v[176:177]
	v_mul_f64_e32 v[176:177], v[6:7], v[176:177]
	v_fmac_f64_e32 v[204:205], v[196:197], v[190:191]
	v_fma_f64 v[194:195], v[194:195], v[190:191], -v[192:193]
	ds_load_b128 v[186:189], v2 offset:1504
	scratch_load_b128 v[190:193], off, off offset:640
	v_add_f64_e32 v[198:199], v[198:199], v[200:201]
	v_add_f64_e32 v[196:197], v[208:209], v[206:207]
	v_fmac_f64_e32 v[202:203], v[6:7], v[174:175]
	v_fma_f64 v[206:207], v[4:5], v[174:175], -v[176:177]
	ds_load_b128 v[4:7], v2 offset:1520
	s_wait_loadcnt_dscnt 0xa01
	v_mul_f64_e32 v[200:201], v[186:187], v[10:11]
	v_mul_f64_e32 v[10:11], v[188:189], v[10:11]
	scratch_load_b128 v[174:177], off, off offset:656
	v_add_f64_e32 v[198:199], v[198:199], v[204:205]
	s_wait_loadcnt_dscnt 0xa00
	v_mul_f64_e32 v[204:205], v[4:5], v[14:15]
	v_add_f64_e32 v[208:209], v[196:197], v[194:195]
	v_mul_f64_e32 v[14:15], v[6:7], v[14:15]
	ds_load_b128 v[194:197], v2 offset:1536
	v_fmac_f64_e32 v[200:201], v[188:189], v[8:9]
	v_fma_f64 v[186:187], v[186:187], v[8:9], -v[10:11]
	scratch_load_b128 v[8:11], off, off offset:672
	v_add_f64_e32 v[198:199], v[198:199], v[202:203]
	v_fmac_f64_e32 v[204:205], v[6:7], v[12:13]
	v_add_f64_e32 v[188:189], v[208:209], v[206:207]
	v_fma_f64 v[206:207], v[4:5], v[12:13], -v[14:15]
	ds_load_b128 v[4:7], v2 offset:1552
	s_wait_loadcnt_dscnt 0xa01
	v_mul_f64_e32 v[202:203], v[194:195], v[18:19]
	v_mul_f64_e32 v[18:19], v[196:197], v[18:19]
	scratch_load_b128 v[12:15], off, off offset:688
	v_add_f64_e32 v[198:199], v[198:199], v[200:201]
	s_wait_loadcnt_dscnt 0xa00
	v_mul_f64_e32 v[200:201], v[4:5], v[22:23]
	v_add_f64_e32 v[208:209], v[188:189], v[186:187]
	v_mul_f64_e32 v[22:23], v[6:7], v[22:23]
	ds_load_b128 v[186:189], v2 offset:1568
	v_fmac_f64_e32 v[202:203], v[196:197], v[16:17]
	v_fma_f64 v[194:195], v[194:195], v[16:17], -v[18:19]
	scratch_load_b128 v[16:19], off, off offset:704
	v_add_f64_e32 v[198:199], v[198:199], v[204:205]
	v_fmac_f64_e32 v[200:201], v[6:7], v[20:21]
	v_add_f64_e32 v[196:197], v[208:209], v[206:207]
	v_fma_f64 v[206:207], v[4:5], v[20:21], -v[22:23]
	ds_load_b128 v[4:7], v2 offset:1584
	s_wait_loadcnt_dscnt 0xa01
	v_mul_f64_e32 v[204:205], v[186:187], v[26:27]
	v_mul_f64_e32 v[26:27], v[188:189], v[26:27]
	scratch_load_b128 v[20:23], off, off offset:720
	v_add_f64_e32 v[198:199], v[198:199], v[202:203]
	s_wait_loadcnt_dscnt 0xa00
	v_mul_f64_e32 v[202:203], v[4:5], v[30:31]
	v_add_f64_e32 v[208:209], v[196:197], v[194:195]
	v_mul_f64_e32 v[30:31], v[6:7], v[30:31]
	ds_load_b128 v[194:197], v2 offset:1600
	v_fmac_f64_e32 v[204:205], v[188:189], v[24:25]
	v_fma_f64 v[186:187], v[186:187], v[24:25], -v[26:27]
	scratch_load_b128 v[24:27], off, off offset:736
	v_add_f64_e32 v[198:199], v[198:199], v[200:201]
	v_fmac_f64_e32 v[202:203], v[6:7], v[28:29]
	v_add_f64_e32 v[188:189], v[208:209], v[206:207]
	v_fma_f64 v[206:207], v[4:5], v[28:29], -v[30:31]
	ds_load_b128 v[4:7], v2 offset:1616
	s_wait_loadcnt_dscnt 0xa01
	v_mul_f64_e32 v[200:201], v[194:195], v[164:165]
	v_mul_f64_e32 v[164:165], v[196:197], v[164:165]
	scratch_load_b128 v[28:31], off, off offset:752
	v_add_f64_e32 v[198:199], v[198:199], v[204:205]
	s_wait_loadcnt_dscnt 0xa00
	v_mul_f64_e32 v[204:205], v[4:5], v[168:169]
	v_add_f64_e32 v[208:209], v[188:189], v[186:187]
	v_mul_f64_e32 v[168:169], v[6:7], v[168:169]
	ds_load_b128 v[186:189], v2 offset:1632
	v_fmac_f64_e32 v[200:201], v[196:197], v[162:163]
	v_fma_f64 v[194:195], v[194:195], v[162:163], -v[164:165]
	scratch_load_b128 v[162:165], off, off offset:768
	v_add_f64_e32 v[198:199], v[198:199], v[202:203]
	v_fmac_f64_e32 v[204:205], v[6:7], v[166:167]
	v_add_f64_e32 v[196:197], v[208:209], v[206:207]
	v_fma_f64 v[206:207], v[4:5], v[166:167], -v[168:169]
	ds_load_b128 v[4:7], v2 offset:1648
	s_wait_loadcnt_dscnt 0xa01
	v_mul_f64_e32 v[202:203], v[186:187], v[172:173]
	v_mul_f64_e32 v[172:173], v[188:189], v[172:173]
	scratch_load_b128 v[166:169], off, off offset:784
	v_add_f64_e32 v[198:199], v[198:199], v[200:201]
	s_wait_loadcnt_dscnt 0xa00
	v_mul_f64_e32 v[200:201], v[4:5], v[180:181]
	v_add_f64_e32 v[208:209], v[196:197], v[194:195]
	v_mul_f64_e32 v[180:181], v[6:7], v[180:181]
	ds_load_b128 v[194:197], v2 offset:1664
	v_fmac_f64_e32 v[202:203], v[188:189], v[170:171]
	v_fma_f64 v[186:187], v[186:187], v[170:171], -v[172:173]
	scratch_load_b128 v[170:173], off, off offset:800
	v_add_f64_e32 v[198:199], v[198:199], v[204:205]
	v_fmac_f64_e32 v[200:201], v[6:7], v[178:179]
	v_add_f64_e32 v[188:189], v[208:209], v[206:207]
	v_fma_f64 v[206:207], v[4:5], v[178:179], -v[180:181]
	ds_load_b128 v[4:7], v2 offset:1680
	s_wait_loadcnt_dscnt 0xa01
	v_mul_f64_e32 v[204:205], v[194:195], v[192:193]
	v_mul_f64_e32 v[192:193], v[196:197], v[192:193]
	scratch_load_b128 v[178:181], off, off offset:816
	v_add_f64_e32 v[198:199], v[198:199], v[202:203]
	s_wait_loadcnt_dscnt 0xa00
	v_mul_f64_e32 v[202:203], v[4:5], v[176:177]
	v_add_f64_e32 v[208:209], v[188:189], v[186:187]
	v_mul_f64_e32 v[176:177], v[6:7], v[176:177]
	ds_load_b128 v[186:189], v2 offset:1696
	v_fmac_f64_e32 v[204:205], v[196:197], v[190:191]
	v_fma_f64 v[194:195], v[194:195], v[190:191], -v[192:193]
	scratch_load_b128 v[190:193], off, off offset:832
	v_add_f64_e32 v[198:199], v[198:199], v[200:201]
	v_fmac_f64_e32 v[202:203], v[6:7], v[174:175]
	v_add_f64_e32 v[196:197], v[208:209], v[206:207]
	v_fma_f64 v[206:207], v[4:5], v[174:175], -v[176:177]
	ds_load_b128 v[4:7], v2 offset:1712
	s_wait_loadcnt_dscnt 0xa01
	v_mul_f64_e32 v[200:201], v[186:187], v[10:11]
	v_mul_f64_e32 v[10:11], v[188:189], v[10:11]
	scratch_load_b128 v[174:177], off, off offset:848
	v_add_f64_e32 v[198:199], v[198:199], v[204:205]
	s_wait_loadcnt_dscnt 0xa00
	v_mul_f64_e32 v[204:205], v[4:5], v[14:15]
	v_add_f64_e32 v[208:209], v[196:197], v[194:195]
	v_mul_f64_e32 v[14:15], v[6:7], v[14:15]
	ds_load_b128 v[194:197], v2 offset:1728
	v_fmac_f64_e32 v[200:201], v[188:189], v[8:9]
	v_fma_f64 v[186:187], v[186:187], v[8:9], -v[10:11]
	scratch_load_b128 v[8:11], off, off offset:864
	v_add_f64_e32 v[198:199], v[198:199], v[202:203]
	v_fmac_f64_e32 v[204:205], v[6:7], v[12:13]
	v_add_f64_e32 v[188:189], v[208:209], v[206:207]
	v_fma_f64 v[206:207], v[4:5], v[12:13], -v[14:15]
	ds_load_b128 v[4:7], v2 offset:1744
	s_wait_loadcnt_dscnt 0xa01
	v_mul_f64_e32 v[202:203], v[194:195], v[18:19]
	v_mul_f64_e32 v[18:19], v[196:197], v[18:19]
	scratch_load_b128 v[12:15], off, off offset:880
	v_add_f64_e32 v[198:199], v[198:199], v[200:201]
	s_wait_loadcnt_dscnt 0xa00
	v_mul_f64_e32 v[200:201], v[4:5], v[22:23]
	v_add_f64_e32 v[208:209], v[188:189], v[186:187]
	v_mul_f64_e32 v[22:23], v[6:7], v[22:23]
	ds_load_b128 v[186:189], v2 offset:1760
	v_fmac_f64_e32 v[202:203], v[196:197], v[16:17]
	v_fma_f64 v[194:195], v[194:195], v[16:17], -v[18:19]
	scratch_load_b128 v[16:19], off, off offset:896
	v_add_f64_e32 v[198:199], v[198:199], v[204:205]
	v_fmac_f64_e32 v[200:201], v[6:7], v[20:21]
	v_add_f64_e32 v[196:197], v[208:209], v[206:207]
	v_fma_f64 v[206:207], v[4:5], v[20:21], -v[22:23]
	ds_load_b128 v[4:7], v2 offset:1776
	s_wait_loadcnt_dscnt 0xa01
	v_mul_f64_e32 v[204:205], v[186:187], v[26:27]
	v_mul_f64_e32 v[26:27], v[188:189], v[26:27]
	scratch_load_b128 v[20:23], off, off offset:912
	v_add_f64_e32 v[198:199], v[198:199], v[202:203]
	s_wait_loadcnt_dscnt 0xa00
	v_mul_f64_e32 v[202:203], v[4:5], v[30:31]
	v_add_f64_e32 v[208:209], v[196:197], v[194:195]
	v_mul_f64_e32 v[30:31], v[6:7], v[30:31]
	ds_load_b128 v[194:197], v2 offset:1792
	v_fmac_f64_e32 v[204:205], v[188:189], v[24:25]
	v_fma_f64 v[186:187], v[186:187], v[24:25], -v[26:27]
	scratch_load_b128 v[24:27], off, off offset:928
	v_add_f64_e32 v[198:199], v[198:199], v[200:201]
	v_fmac_f64_e32 v[202:203], v[6:7], v[28:29]
	v_add_f64_e32 v[188:189], v[208:209], v[206:207]
	v_fma_f64 v[206:207], v[4:5], v[28:29], -v[30:31]
	ds_load_b128 v[4:7], v2 offset:1808
	s_wait_loadcnt_dscnt 0xa01
	v_mul_f64_e32 v[200:201], v[194:195], v[164:165]
	v_mul_f64_e32 v[164:165], v[196:197], v[164:165]
	scratch_load_b128 v[28:31], off, off offset:944
	v_add_f64_e32 v[198:199], v[198:199], v[204:205]
	s_wait_loadcnt_dscnt 0xa00
	v_mul_f64_e32 v[204:205], v[4:5], v[168:169]
	v_add_f64_e32 v[208:209], v[188:189], v[186:187]
	v_mul_f64_e32 v[168:169], v[6:7], v[168:169]
	ds_load_b128 v[186:189], v2 offset:1824
	v_fmac_f64_e32 v[200:201], v[196:197], v[162:163]
	v_fma_f64 v[194:195], v[194:195], v[162:163], -v[164:165]
	scratch_load_b128 v[162:165], off, off offset:960
	v_add_f64_e32 v[198:199], v[198:199], v[202:203]
	v_fmac_f64_e32 v[204:205], v[6:7], v[166:167]
	v_add_f64_e32 v[196:197], v[208:209], v[206:207]
	v_fma_f64 v[206:207], v[4:5], v[166:167], -v[168:169]
	ds_load_b128 v[4:7], v2 offset:1840
	s_wait_loadcnt_dscnt 0xa01
	v_mul_f64_e32 v[202:203], v[186:187], v[172:173]
	v_mul_f64_e32 v[172:173], v[188:189], v[172:173]
	scratch_load_b128 v[166:169], off, off offset:976
	v_add_f64_e32 v[198:199], v[198:199], v[200:201]
	s_wait_loadcnt_dscnt 0xa00
	v_mul_f64_e32 v[200:201], v[4:5], v[180:181]
	v_add_f64_e32 v[208:209], v[196:197], v[194:195]
	v_mul_f64_e32 v[180:181], v[6:7], v[180:181]
	ds_load_b128 v[194:197], v2 offset:1856
	v_fmac_f64_e32 v[202:203], v[188:189], v[170:171]
	v_fma_f64 v[186:187], v[186:187], v[170:171], -v[172:173]
	scratch_load_b128 v[170:173], off, off offset:992
	v_add_f64_e32 v[198:199], v[198:199], v[204:205]
	v_fmac_f64_e32 v[200:201], v[6:7], v[178:179]
	v_add_f64_e32 v[188:189], v[208:209], v[206:207]
	v_fma_f64 v[206:207], v[4:5], v[178:179], -v[180:181]
	ds_load_b128 v[4:7], v2 offset:1872
	s_wait_loadcnt_dscnt 0xa01
	v_mul_f64_e32 v[204:205], v[194:195], v[192:193]
	v_mul_f64_e32 v[192:193], v[196:197], v[192:193]
	scratch_load_b128 v[178:181], off, off offset:1008
	v_add_f64_e32 v[198:199], v[198:199], v[202:203]
	s_wait_loadcnt_dscnt 0xa00
	v_mul_f64_e32 v[202:203], v[4:5], v[176:177]
	v_add_f64_e32 v[208:209], v[188:189], v[186:187]
	v_mul_f64_e32 v[176:177], v[6:7], v[176:177]
	ds_load_b128 v[186:189], v2 offset:1888
	v_fmac_f64_e32 v[204:205], v[196:197], v[190:191]
	v_fma_f64 v[190:191], v[194:195], v[190:191], -v[192:193]
	s_wait_loadcnt_dscnt 0x900
	v_mul_f64_e32 v[196:197], v[186:187], v[10:11]
	v_mul_f64_e32 v[10:11], v[188:189], v[10:11]
	v_add_f64_e32 v[194:195], v[198:199], v[200:201]
	v_fmac_f64_e32 v[202:203], v[6:7], v[174:175]
	v_add_f64_e32 v[192:193], v[208:209], v[206:207]
	v_fma_f64 v[198:199], v[4:5], v[174:175], -v[176:177]
	ds_load_b128 v[4:7], v2 offset:1904
	ds_load_b128 v[174:177], v2 offset:1920
	v_fmac_f64_e32 v[196:197], v[188:189], v[8:9]
	v_fma_f64 v[8:9], v[186:187], v[8:9], -v[10:11]
	v_add_f64_e32 v[190:191], v[192:193], v[190:191]
	v_add_f64_e32 v[192:193], v[194:195], v[204:205]
	s_wait_loadcnt_dscnt 0x801
	v_mul_f64_e32 v[194:195], v[4:5], v[14:15]
	v_mul_f64_e32 v[14:15], v[6:7], v[14:15]
	s_wait_loadcnt_dscnt 0x700
	v_mul_f64_e32 v[188:189], v[174:175], v[18:19]
	v_mul_f64_e32 v[18:19], v[176:177], v[18:19]
	v_add_f64_e32 v[10:11], v[190:191], v[198:199]
	v_add_f64_e32 v[186:187], v[192:193], v[202:203]
	v_fmac_f64_e32 v[194:195], v[6:7], v[12:13]
	v_fma_f64 v[12:13], v[4:5], v[12:13], -v[14:15]
	v_fmac_f64_e32 v[188:189], v[176:177], v[16:17]
	v_fma_f64 v[16:17], v[174:175], v[16:17], -v[18:19]
	v_add_f64_e32 v[14:15], v[10:11], v[8:9]
	v_add_f64_e32 v[186:187], v[186:187], v[196:197]
	ds_load_b128 v[4:7], v2 offset:1936
	ds_load_b128 v[8:11], v2 offset:1952
	s_wait_loadcnt_dscnt 0x601
	v_mul_f64_e32 v[190:191], v[4:5], v[22:23]
	v_mul_f64_e32 v[22:23], v[6:7], v[22:23]
	s_wait_loadcnt_dscnt 0x500
	v_mul_f64_e32 v[18:19], v[8:9], v[26:27]
	v_mul_f64_e32 v[26:27], v[10:11], v[26:27]
	v_add_f64_e32 v[12:13], v[14:15], v[12:13]
	v_add_f64_e32 v[14:15], v[186:187], v[194:195]
	v_fmac_f64_e32 v[190:191], v[6:7], v[20:21]
	v_fma_f64 v[20:21], v[4:5], v[20:21], -v[22:23]
	v_fmac_f64_e32 v[18:19], v[10:11], v[24:25]
	v_fma_f64 v[8:9], v[8:9], v[24:25], -v[26:27]
	v_add_f64_e32 v[16:17], v[12:13], v[16:17]
	v_add_f64_e32 v[22:23], v[14:15], v[188:189]
	ds_load_b128 v[4:7], v2 offset:1968
	ds_load_b128 v[12:15], v2 offset:1984
	s_wait_loadcnt_dscnt 0x401
	v_mul_f64_e32 v[174:175], v[4:5], v[30:31]
	v_mul_f64_e32 v[30:31], v[6:7], v[30:31]
	v_add_f64_e32 v[10:11], v[16:17], v[20:21]
	v_add_f64_e32 v[16:17], v[22:23], v[190:191]
	s_wait_loadcnt_dscnt 0x300
	v_mul_f64_e32 v[20:21], v[12:13], v[164:165]
	v_mul_f64_e32 v[22:23], v[14:15], v[164:165]
	v_fmac_f64_e32 v[174:175], v[6:7], v[28:29]
	v_fma_f64 v[24:25], v[4:5], v[28:29], -v[30:31]
	v_add_f64_e32 v[26:27], v[10:11], v[8:9]
	v_add_f64_e32 v[16:17], v[16:17], v[18:19]
	ds_load_b128 v[4:7], v2 offset:2000
	ds_load_b128 v[8:11], v2 offset:2016
	v_fmac_f64_e32 v[20:21], v[14:15], v[162:163]
	v_fma_f64 v[12:13], v[12:13], v[162:163], -v[22:23]
	s_wait_loadcnt_dscnt 0x201
	v_mul_f64_e32 v[18:19], v[4:5], v[168:169]
	v_mul_f64_e32 v[28:29], v[6:7], v[168:169]
	s_wait_loadcnt_dscnt 0x100
	v_mul_f64_e32 v[22:23], v[8:9], v[172:173]
	v_add_f64_e32 v[14:15], v[26:27], v[24:25]
	v_add_f64_e32 v[16:17], v[16:17], v[174:175]
	v_mul_f64_e32 v[24:25], v[10:11], v[172:173]
	v_fmac_f64_e32 v[18:19], v[6:7], v[166:167]
	v_fma_f64 v[26:27], v[4:5], v[166:167], -v[28:29]
	ds_load_b128 v[4:7], v2 offset:2032
	v_fmac_f64_e32 v[22:23], v[10:11], v[170:171]
	v_add_f64_e32 v[12:13], v[14:15], v[12:13]
	v_add_f64_e32 v[14:15], v[16:17], v[20:21]
	v_fma_f64 v[8:9], v[8:9], v[170:171], -v[24:25]
	s_wait_loadcnt_dscnt 0x0
	v_mul_f64_e32 v[16:17], v[4:5], v[180:181]
	v_mul_f64_e32 v[20:21], v[6:7], v[180:181]
	v_add_f64_e32 v[10:11], v[12:13], v[26:27]
	v_add_f64_e32 v[12:13], v[14:15], v[18:19]
	s_delay_alu instid0(VALU_DEP_4) | instskip(NEXT) | instid1(VALU_DEP_4)
	v_fmac_f64_e32 v[16:17], v[6:7], v[178:179]
	v_fma_f64 v[4:5], v[4:5], v[178:179], -v[20:21]
	s_delay_alu instid0(VALU_DEP_4) | instskip(NEXT) | instid1(VALU_DEP_4)
	v_add_f64_e32 v[6:7], v[10:11], v[8:9]
	v_add_f64_e32 v[8:9], v[12:13], v[22:23]
	s_delay_alu instid0(VALU_DEP_2) | instskip(NEXT) | instid1(VALU_DEP_2)
	v_add_f64_e32 v[4:5], v[6:7], v[4:5]
	v_add_f64_e32 v[6:7], v[8:9], v[16:17]
	s_delay_alu instid0(VALU_DEP_2) | instskip(NEXT) | instid1(VALU_DEP_2)
	v_add_f64_e64 v[4:5], v[182:183], -v[4:5]
	v_add_f64_e64 v[6:7], v[184:185], -v[6:7]
	scratch_store_b128 off, v[4:7], off offset:256
	s_wait_xcnt 0x0
	v_cmpx_lt_u32_e32 15, v1
	s_cbranch_execz .LBB63_379
; %bb.378:
	scratch_load_b128 v[6:9], off, s55
	v_dual_mov_b32 v3, v2 :: v_dual_mov_b32 v4, v2
	v_mov_b32_e32 v5, v2
	scratch_store_b128 off, v[2:5], off offset:240
	s_wait_loadcnt 0x0
	ds_store_b128 v160, v[6:9]
.LBB63_379:
	s_wait_xcnt 0x0
	s_or_b32 exec_lo, exec_lo, s2
	s_wait_storecnt_dscnt 0x0
	s_barrier_signal -1
	s_barrier_wait -1
	s_clause 0x9
	scratch_load_b128 v[4:7], off, off offset:256
	scratch_load_b128 v[8:11], off, off offset:272
	;; [unrolled: 1-line block ×10, first 2 shown]
	ds_load_b128 v[174:177], v2 offset:1280
	ds_load_b128 v[182:185], v2 offset:1296
	s_clause 0x2
	scratch_load_b128 v[178:181], off, off offset:416
	scratch_load_b128 v[186:189], off, off offset:240
	;; [unrolled: 1-line block ×3, first 2 shown]
	s_mov_b32 s2, exec_lo
	s_wait_loadcnt_dscnt 0xc01
	v_mul_f64_e32 v[194:195], v[176:177], v[6:7]
	v_mul_f64_e32 v[198:199], v[174:175], v[6:7]
	s_wait_loadcnt_dscnt 0xb00
	v_mul_f64_e32 v[200:201], v[182:183], v[10:11]
	v_mul_f64_e32 v[10:11], v[184:185], v[10:11]
	s_delay_alu instid0(VALU_DEP_4) | instskip(NEXT) | instid1(VALU_DEP_4)
	v_fma_f64 v[202:203], v[174:175], v[4:5], -v[194:195]
	v_fmac_f64_e32 v[198:199], v[176:177], v[4:5]
	ds_load_b128 v[4:7], v2 offset:1312
	ds_load_b128 v[174:177], v2 offset:1328
	scratch_load_b128 v[194:197], off, off offset:448
	v_fmac_f64_e32 v[200:201], v[184:185], v[8:9]
	v_fma_f64 v[182:183], v[182:183], v[8:9], -v[10:11]
	scratch_load_b128 v[8:11], off, off offset:464
	s_wait_loadcnt_dscnt 0xc01
	v_mul_f64_e32 v[204:205], v[4:5], v[14:15]
	v_mul_f64_e32 v[14:15], v[6:7], v[14:15]
	v_add_f64_e32 v[184:185], 0, v[202:203]
	v_add_f64_e32 v[198:199], 0, v[198:199]
	s_wait_loadcnt_dscnt 0xb00
	v_mul_f64_e32 v[202:203], v[174:175], v[18:19]
	v_mul_f64_e32 v[18:19], v[176:177], v[18:19]
	v_fmac_f64_e32 v[204:205], v[6:7], v[12:13]
	v_fma_f64 v[206:207], v[4:5], v[12:13], -v[14:15]
	ds_load_b128 v[4:7], v2 offset:1344
	ds_load_b128 v[12:15], v2 offset:1360
	v_add_f64_e32 v[208:209], v[184:185], v[182:183]
	v_add_f64_e32 v[198:199], v[198:199], v[200:201]
	scratch_load_b128 v[182:185], off, off offset:480
	v_fmac_f64_e32 v[202:203], v[176:177], v[16:17]
	v_fma_f64 v[174:175], v[174:175], v[16:17], -v[18:19]
	scratch_load_b128 v[16:19], off, off offset:496
	s_wait_loadcnt_dscnt 0xc01
	v_mul_f64_e32 v[200:201], v[4:5], v[22:23]
	v_mul_f64_e32 v[22:23], v[6:7], v[22:23]
	v_add_f64_e32 v[176:177], v[208:209], v[206:207]
	v_add_f64_e32 v[198:199], v[198:199], v[204:205]
	s_wait_loadcnt_dscnt 0xb00
	v_mul_f64_e32 v[204:205], v[12:13], v[26:27]
	v_mul_f64_e32 v[26:27], v[14:15], v[26:27]
	v_fmac_f64_e32 v[200:201], v[6:7], v[20:21]
	v_fma_f64 v[206:207], v[4:5], v[20:21], -v[22:23]
	ds_load_b128 v[4:7], v2 offset:1376
	ds_load_b128 v[20:23], v2 offset:1392
	v_add_f64_e32 v[208:209], v[176:177], v[174:175]
	v_add_f64_e32 v[198:199], v[198:199], v[202:203]
	scratch_load_b128 v[174:177], off, off offset:512
	s_wait_loadcnt_dscnt 0xb01
	v_mul_f64_e32 v[202:203], v[4:5], v[30:31]
	v_mul_f64_e32 v[30:31], v[6:7], v[30:31]
	v_fmac_f64_e32 v[204:205], v[14:15], v[24:25]
	v_fma_f64 v[24:25], v[12:13], v[24:25], -v[26:27]
	scratch_load_b128 v[12:15], off, off offset:528
	v_add_f64_e32 v[26:27], v[208:209], v[206:207]
	v_add_f64_e32 v[198:199], v[198:199], v[200:201]
	s_wait_loadcnt_dscnt 0xb00
	v_mul_f64_e32 v[200:201], v[20:21], v[164:165]
	v_mul_f64_e32 v[164:165], v[22:23], v[164:165]
	v_fmac_f64_e32 v[202:203], v[6:7], v[28:29]
	v_fma_f64 v[206:207], v[4:5], v[28:29], -v[30:31]
	v_add_f64_e32 v[208:209], v[26:27], v[24:25]
	v_add_f64_e32 v[198:199], v[198:199], v[204:205]
	ds_load_b128 v[4:7], v2 offset:1408
	ds_load_b128 v[24:27], v2 offset:1424
	scratch_load_b128 v[28:31], off, off offset:544
	v_fmac_f64_e32 v[200:201], v[22:23], v[162:163]
	v_fma_f64 v[162:163], v[20:21], v[162:163], -v[164:165]
	scratch_load_b128 v[20:23], off, off offset:560
	s_wait_loadcnt_dscnt 0xc01
	v_mul_f64_e32 v[204:205], v[4:5], v[168:169]
	v_mul_f64_e32 v[168:169], v[6:7], v[168:169]
	v_add_f64_e32 v[164:165], v[208:209], v[206:207]
	v_add_f64_e32 v[198:199], v[198:199], v[202:203]
	s_wait_loadcnt_dscnt 0xb00
	v_mul_f64_e32 v[202:203], v[24:25], v[172:173]
	v_mul_f64_e32 v[172:173], v[26:27], v[172:173]
	v_fmac_f64_e32 v[204:205], v[6:7], v[166:167]
	v_fma_f64 v[206:207], v[4:5], v[166:167], -v[168:169]
	v_add_f64_e32 v[208:209], v[164:165], v[162:163]
	v_add_f64_e32 v[198:199], v[198:199], v[200:201]
	ds_load_b128 v[4:7], v2 offset:1440
	ds_load_b128 v[162:165], v2 offset:1456
	scratch_load_b128 v[166:169], off, off offset:576
	v_fmac_f64_e32 v[202:203], v[26:27], v[170:171]
	v_fma_f64 v[170:171], v[24:25], v[170:171], -v[172:173]
	scratch_load_b128 v[24:27], off, off offset:592
	s_wait_loadcnt_dscnt 0xc01
	v_mul_f64_e32 v[200:201], v[4:5], v[180:181]
	v_mul_f64_e32 v[180:181], v[6:7], v[180:181]
	;; [unrolled: 18-line block ×5, first 2 shown]
	v_add_f64_e32 v[192:193], v[208:209], v[206:207]
	v_add_f64_e32 v[198:199], v[198:199], v[204:205]
	s_wait_loadcnt_dscnt 0xa00
	v_mul_f64_e32 v[204:205], v[170:171], v[14:15]
	v_mul_f64_e32 v[14:15], v[172:173], v[14:15]
	v_fmac_f64_e32 v[200:201], v[6:7], v[174:175]
	v_fma_f64 v[206:207], v[4:5], v[174:175], -v[176:177]
	ds_load_b128 v[4:7], v2 offset:1568
	ds_load_b128 v[174:177], v2 offset:1584
	v_add_f64_e32 v[208:209], v[192:193], v[190:191]
	v_add_f64_e32 v[198:199], v[198:199], v[202:203]
	scratch_load_b128 v[190:193], off, off offset:704
	v_fmac_f64_e32 v[204:205], v[172:173], v[12:13]
	v_fma_f64 v[170:171], v[170:171], v[12:13], -v[14:15]
	scratch_load_b128 v[12:15], off, off offset:720
	s_wait_loadcnt_dscnt 0xb01
	v_mul_f64_e32 v[202:203], v[4:5], v[30:31]
	v_mul_f64_e32 v[30:31], v[6:7], v[30:31]
	v_add_f64_e32 v[172:173], v[208:209], v[206:207]
	v_add_f64_e32 v[198:199], v[198:199], v[200:201]
	s_wait_loadcnt_dscnt 0xa00
	v_mul_f64_e32 v[200:201], v[174:175], v[22:23]
	v_mul_f64_e32 v[22:23], v[176:177], v[22:23]
	v_fmac_f64_e32 v[202:203], v[6:7], v[28:29]
	v_fma_f64 v[206:207], v[4:5], v[28:29], -v[30:31]
	ds_load_b128 v[4:7], v2 offset:1600
	ds_load_b128 v[28:31], v2 offset:1616
	v_add_f64_e32 v[208:209], v[172:173], v[170:171]
	v_add_f64_e32 v[198:199], v[198:199], v[204:205]
	scratch_load_b128 v[170:173], off, off offset:736
	s_wait_loadcnt_dscnt 0xa01
	v_mul_f64_e32 v[204:205], v[4:5], v[168:169]
	v_mul_f64_e32 v[168:169], v[6:7], v[168:169]
	v_fmac_f64_e32 v[200:201], v[176:177], v[20:21]
	v_fma_f64 v[174:175], v[174:175], v[20:21], -v[22:23]
	scratch_load_b128 v[20:23], off, off offset:752
	v_add_f64_e32 v[176:177], v[208:209], v[206:207]
	v_add_f64_e32 v[198:199], v[198:199], v[202:203]
	s_wait_loadcnt_dscnt 0xa00
	v_mul_f64_e32 v[202:203], v[28:29], v[26:27]
	v_mul_f64_e32 v[26:27], v[30:31], v[26:27]
	v_fmac_f64_e32 v[204:205], v[6:7], v[166:167]
	v_fma_f64 v[206:207], v[4:5], v[166:167], -v[168:169]
	ds_load_b128 v[4:7], v2 offset:1632
	ds_load_b128 v[166:169], v2 offset:1648
	v_add_f64_e32 v[208:209], v[176:177], v[174:175]
	v_add_f64_e32 v[198:199], v[198:199], v[200:201]
	scratch_load_b128 v[174:177], off, off offset:768
	s_wait_loadcnt_dscnt 0xa01
	v_mul_f64_e32 v[200:201], v[4:5], v[180:181]
	v_mul_f64_e32 v[180:181], v[6:7], v[180:181]
	v_fmac_f64_e32 v[202:203], v[30:31], v[24:25]
	v_fma_f64 v[28:29], v[28:29], v[24:25], -v[26:27]
	scratch_load_b128 v[24:27], off, off offset:784
	v_add_f64_e32 v[30:31], v[208:209], v[206:207]
	v_add_f64_e32 v[198:199], v[198:199], v[204:205]
	s_wait_loadcnt_dscnt 0xa00
	v_mul_f64_e32 v[204:205], v[166:167], v[164:165]
	v_mul_f64_e32 v[164:165], v[168:169], v[164:165]
	v_fmac_f64_e32 v[200:201], v[6:7], v[178:179]
	v_fma_f64 v[206:207], v[4:5], v[178:179], -v[180:181]
	v_add_f64_e32 v[208:209], v[30:31], v[28:29]
	v_add_f64_e32 v[198:199], v[198:199], v[202:203]
	ds_load_b128 v[4:7], v2 offset:1664
	ds_load_b128 v[28:31], v2 offset:1680
	scratch_load_b128 v[178:181], off, off offset:800
	v_fmac_f64_e32 v[204:205], v[168:169], v[162:163]
	v_fma_f64 v[166:167], v[166:167], v[162:163], -v[164:165]
	scratch_load_b128 v[162:165], off, off offset:816
	s_wait_loadcnt_dscnt 0xb01
	v_mul_f64_e32 v[202:203], v[4:5], v[196:197]
	v_mul_f64_e32 v[196:197], v[6:7], v[196:197]
	v_add_f64_e32 v[168:169], v[208:209], v[206:207]
	v_add_f64_e32 v[198:199], v[198:199], v[200:201]
	s_wait_loadcnt_dscnt 0xa00
	v_mul_f64_e32 v[200:201], v[28:29], v[10:11]
	v_mul_f64_e32 v[10:11], v[30:31], v[10:11]
	v_fmac_f64_e32 v[202:203], v[6:7], v[194:195]
	v_fma_f64 v[206:207], v[4:5], v[194:195], -v[196:197]
	v_add_f64_e32 v[208:209], v[168:169], v[166:167]
	v_add_f64_e32 v[198:199], v[198:199], v[204:205]
	ds_load_b128 v[4:7], v2 offset:1696
	ds_load_b128 v[166:169], v2 offset:1712
	scratch_load_b128 v[194:197], off, off offset:832
	v_fmac_f64_e32 v[200:201], v[30:31], v[8:9]
	v_fma_f64 v[28:29], v[28:29], v[8:9], -v[10:11]
	scratch_load_b128 v[8:11], off, off offset:848
	s_wait_loadcnt_dscnt 0xb01
	v_mul_f64_e32 v[204:205], v[4:5], v[184:185]
	v_mul_f64_e32 v[184:185], v[6:7], v[184:185]
	;; [unrolled: 18-line block ×7, first 2 shown]
	v_add_f64_e32 v[168:169], v[208:209], v[206:207]
	v_add_f64_e32 v[198:199], v[198:199], v[200:201]
	s_wait_loadcnt_dscnt 0xa00
	v_mul_f64_e32 v[200:201], v[28:29], v[10:11]
	v_mul_f64_e32 v[10:11], v[30:31], v[10:11]
	v_fmac_f64_e32 v[202:203], v[6:7], v[194:195]
	v_fma_f64 v[194:195], v[4:5], v[194:195], -v[196:197]
	v_add_f64_e32 v[196:197], v[168:169], v[166:167]
	v_add_f64_e32 v[198:199], v[198:199], v[204:205]
	ds_load_b128 v[4:7], v2 offset:1888
	ds_load_b128 v[166:169], v2 offset:1904
	v_fmac_f64_e32 v[200:201], v[30:31], v[8:9]
	v_fma_f64 v[8:9], v[28:29], v[8:9], -v[10:11]
	s_wait_loadcnt_dscnt 0x901
	v_mul_f64_e32 v[204:205], v[4:5], v[184:185]
	v_mul_f64_e32 v[184:185], v[6:7], v[184:185]
	s_wait_loadcnt_dscnt 0x800
	v_mul_f64_e32 v[30:31], v[166:167], v[18:19]
	v_mul_f64_e32 v[18:19], v[168:169], v[18:19]
	v_add_f64_e32 v[10:11], v[196:197], v[194:195]
	v_add_f64_e32 v[28:29], v[198:199], v[202:203]
	v_fmac_f64_e32 v[204:205], v[6:7], v[182:183]
	v_fma_f64 v[182:183], v[4:5], v[182:183], -v[184:185]
	v_fmac_f64_e32 v[30:31], v[168:169], v[16:17]
	v_fma_f64 v[16:17], v[166:167], v[16:17], -v[18:19]
	v_add_f64_e32 v[184:185], v[10:11], v[8:9]
	v_add_f64_e32 v[28:29], v[28:29], v[200:201]
	ds_load_b128 v[4:7], v2 offset:1920
	ds_load_b128 v[8:11], v2 offset:1936
	s_wait_loadcnt_dscnt 0x701
	v_mul_f64_e32 v[194:195], v[4:5], v[192:193]
	v_mul_f64_e32 v[192:193], v[6:7], v[192:193]
	s_wait_loadcnt_dscnt 0x600
	v_mul_f64_e32 v[166:167], v[8:9], v[14:15]
	v_mul_f64_e32 v[168:169], v[10:11], v[14:15]
	v_add_f64_e32 v[18:19], v[184:185], v[182:183]
	v_add_f64_e32 v[28:29], v[28:29], v[204:205]
	v_fmac_f64_e32 v[194:195], v[6:7], v[190:191]
	v_fma_f64 v[182:183], v[4:5], v[190:191], -v[192:193]
	v_fmac_f64_e32 v[166:167], v[10:11], v[12:13]
	v_fma_f64 v[8:9], v[8:9], v[12:13], -v[168:169]
	v_add_f64_e32 v[18:19], v[18:19], v[16:17]
	v_add_f64_e32 v[28:29], v[28:29], v[30:31]
	ds_load_b128 v[4:7], v2 offset:1952
	ds_load_b128 v[14:17], v2 offset:1968
	s_wait_loadcnt_dscnt 0x501
	v_mul_f64_e32 v[30:31], v[4:5], v[172:173]
	v_mul_f64_e32 v[172:173], v[6:7], v[172:173]
	v_add_f64_e32 v[10:11], v[18:19], v[182:183]
	v_add_f64_e32 v[12:13], v[28:29], v[194:195]
	s_wait_loadcnt_dscnt 0x400
	v_mul_f64_e32 v[18:19], v[14:15], v[22:23]
	v_mul_f64_e32 v[22:23], v[16:17], v[22:23]
	v_fmac_f64_e32 v[30:31], v[6:7], v[170:171]
	v_fma_f64 v[28:29], v[4:5], v[170:171], -v[172:173]
	v_add_f64_e32 v[168:169], v[10:11], v[8:9]
	v_add_f64_e32 v[12:13], v[12:13], v[166:167]
	ds_load_b128 v[4:7], v2 offset:1984
	ds_load_b128 v[8:11], v2 offset:2000
	v_fmac_f64_e32 v[18:19], v[16:17], v[20:21]
	v_fma_f64 v[14:15], v[14:15], v[20:21], -v[22:23]
	s_wait_loadcnt_dscnt 0x301
	v_mul_f64_e32 v[166:167], v[4:5], v[176:177]
	v_mul_f64_e32 v[170:171], v[6:7], v[176:177]
	s_wait_loadcnt_dscnt 0x200
	v_mul_f64_e32 v[20:21], v[8:9], v[26:27]
	v_mul_f64_e32 v[22:23], v[10:11], v[26:27]
	v_add_f64_e32 v[16:17], v[168:169], v[28:29]
	v_add_f64_e32 v[12:13], v[12:13], v[30:31]
	v_fmac_f64_e32 v[166:167], v[6:7], v[174:175]
	v_fma_f64 v[26:27], v[4:5], v[174:175], -v[170:171]
	v_fmac_f64_e32 v[20:21], v[10:11], v[24:25]
	v_fma_f64 v[8:9], v[8:9], v[24:25], -v[22:23]
	v_add_f64_e32 v[16:17], v[16:17], v[14:15]
	v_add_f64_e32 v[18:19], v[12:13], v[18:19]
	ds_load_b128 v[4:7], v2 offset:2016
	ds_load_b128 v[12:15], v2 offset:2032
	s_wait_loadcnt_dscnt 0x101
	v_mul_f64_e32 v[2:3], v[4:5], v[180:181]
	v_mul_f64_e32 v[28:29], v[6:7], v[180:181]
	s_wait_loadcnt_dscnt 0x0
	v_mul_f64_e32 v[22:23], v[14:15], v[164:165]
	v_add_f64_e32 v[10:11], v[16:17], v[26:27]
	v_add_f64_e32 v[16:17], v[18:19], v[166:167]
	v_mul_f64_e32 v[18:19], v[12:13], v[164:165]
	v_fmac_f64_e32 v[2:3], v[6:7], v[178:179]
	v_fma_f64 v[4:5], v[4:5], v[178:179], -v[28:29]
	v_add_f64_e32 v[6:7], v[10:11], v[8:9]
	v_add_f64_e32 v[8:9], v[16:17], v[20:21]
	v_fmac_f64_e32 v[18:19], v[14:15], v[162:163]
	v_fma_f64 v[10:11], v[12:13], v[162:163], -v[22:23]
	s_delay_alu instid0(VALU_DEP_4) | instskip(NEXT) | instid1(VALU_DEP_4)
	v_add_f64_e32 v[4:5], v[6:7], v[4:5]
	v_add_f64_e32 v[2:3], v[8:9], v[2:3]
	s_delay_alu instid0(VALU_DEP_2) | instskip(NEXT) | instid1(VALU_DEP_2)
	v_add_f64_e32 v[4:5], v[4:5], v[10:11]
	v_add_f64_e32 v[6:7], v[2:3], v[18:19]
	s_delay_alu instid0(VALU_DEP_2) | instskip(NEXT) | instid1(VALU_DEP_2)
	v_add_f64_e64 v[2:3], v[186:187], -v[4:5]
	v_add_f64_e64 v[4:5], v[188:189], -v[6:7]
	scratch_store_b128 off, v[2:5], off offset:240
	s_wait_xcnt 0x0
	v_cmpx_lt_u32_e32 14, v1
	s_cbranch_execz .LBB63_381
; %bb.380:
	scratch_load_b128 v[2:5], off, s63
	v_mov_b32_e32 v6, 0
	s_delay_alu instid0(VALU_DEP_1)
	v_dual_mov_b32 v7, v6 :: v_dual_mov_b32 v8, v6
	v_mov_b32_e32 v9, v6
	scratch_store_b128 off, v[6:9], off offset:224
	s_wait_loadcnt 0x0
	ds_store_b128 v160, v[2:5]
.LBB63_381:
	s_wait_xcnt 0x0
	s_or_b32 exec_lo, exec_lo, s2
	s_wait_storecnt_dscnt 0x0
	s_barrier_signal -1
	s_barrier_wait -1
	s_clause 0x9
	scratch_load_b128 v[4:7], off, off offset:240
	scratch_load_b128 v[8:11], off, off offset:256
	;; [unrolled: 1-line block ×10, first 2 shown]
	v_mov_b32_e32 v2, 0
	s_mov_b32 s2, exec_lo
	ds_load_b128 v[174:177], v2 offset:1264
	s_clause 0x2
	scratch_load_b128 v[178:181], off, off offset:400
	scratch_load_b128 v[182:185], off, off offset:224
	;; [unrolled: 1-line block ×3, first 2 shown]
	s_wait_loadcnt_dscnt 0xc00
	v_mul_f64_e32 v[194:195], v[176:177], v[6:7]
	v_mul_f64_e32 v[198:199], v[174:175], v[6:7]
	ds_load_b128 v[186:189], v2 offset:1280
	v_fma_f64 v[202:203], v[174:175], v[4:5], -v[194:195]
	v_fmac_f64_e32 v[198:199], v[176:177], v[4:5]
	ds_load_b128 v[4:7], v2 offset:1296
	s_wait_loadcnt_dscnt 0xb01
	v_mul_f64_e32 v[200:201], v[186:187], v[10:11]
	v_mul_f64_e32 v[10:11], v[188:189], v[10:11]
	scratch_load_b128 v[174:177], off, off offset:432
	ds_load_b128 v[194:197], v2 offset:1312
	s_wait_loadcnt_dscnt 0xb01
	v_mul_f64_e32 v[204:205], v[4:5], v[14:15]
	v_mul_f64_e32 v[14:15], v[6:7], v[14:15]
	v_add_f64_e32 v[198:199], 0, v[198:199]
	v_fmac_f64_e32 v[200:201], v[188:189], v[8:9]
	v_fma_f64 v[186:187], v[186:187], v[8:9], -v[10:11]
	v_add_f64_e32 v[188:189], 0, v[202:203]
	scratch_load_b128 v[8:11], off, off offset:448
	v_fmac_f64_e32 v[204:205], v[6:7], v[12:13]
	v_fma_f64 v[206:207], v[4:5], v[12:13], -v[14:15]
	ds_load_b128 v[4:7], v2 offset:1328
	s_wait_loadcnt_dscnt 0xb01
	v_mul_f64_e32 v[202:203], v[194:195], v[18:19]
	v_mul_f64_e32 v[18:19], v[196:197], v[18:19]
	scratch_load_b128 v[12:15], off, off offset:464
	v_add_f64_e32 v[198:199], v[198:199], v[200:201]
	v_add_f64_e32 v[208:209], v[188:189], v[186:187]
	ds_load_b128 v[186:189], v2 offset:1344
	s_wait_loadcnt_dscnt 0xb01
	v_mul_f64_e32 v[200:201], v[4:5], v[22:23]
	v_mul_f64_e32 v[22:23], v[6:7], v[22:23]
	v_fmac_f64_e32 v[202:203], v[196:197], v[16:17]
	v_fma_f64 v[194:195], v[194:195], v[16:17], -v[18:19]
	scratch_load_b128 v[16:19], off, off offset:480
	v_add_f64_e32 v[198:199], v[198:199], v[204:205]
	v_add_f64_e32 v[196:197], v[208:209], v[206:207]
	v_fmac_f64_e32 v[200:201], v[6:7], v[20:21]
	v_fma_f64 v[206:207], v[4:5], v[20:21], -v[22:23]
	ds_load_b128 v[4:7], v2 offset:1360
	s_wait_loadcnt_dscnt 0xb01
	v_mul_f64_e32 v[204:205], v[186:187], v[26:27]
	v_mul_f64_e32 v[26:27], v[188:189], v[26:27]
	scratch_load_b128 v[20:23], off, off offset:496
	v_add_f64_e32 v[198:199], v[198:199], v[202:203]
	s_wait_loadcnt_dscnt 0xb00
	v_mul_f64_e32 v[202:203], v[4:5], v[30:31]
	v_add_f64_e32 v[208:209], v[196:197], v[194:195]
	v_mul_f64_e32 v[30:31], v[6:7], v[30:31]
	ds_load_b128 v[194:197], v2 offset:1376
	v_fmac_f64_e32 v[204:205], v[188:189], v[24:25]
	v_fma_f64 v[186:187], v[186:187], v[24:25], -v[26:27]
	scratch_load_b128 v[24:27], off, off offset:512
	v_add_f64_e32 v[198:199], v[198:199], v[200:201]
	v_fmac_f64_e32 v[202:203], v[6:7], v[28:29]
	v_add_f64_e32 v[188:189], v[208:209], v[206:207]
	v_fma_f64 v[206:207], v[4:5], v[28:29], -v[30:31]
	ds_load_b128 v[4:7], v2 offset:1392
	s_wait_loadcnt_dscnt 0xb01
	v_mul_f64_e32 v[200:201], v[194:195], v[164:165]
	v_mul_f64_e32 v[164:165], v[196:197], v[164:165]
	scratch_load_b128 v[28:31], off, off offset:528
	v_add_f64_e32 v[198:199], v[198:199], v[204:205]
	s_wait_loadcnt_dscnt 0xb00
	v_mul_f64_e32 v[204:205], v[4:5], v[168:169]
	v_add_f64_e32 v[208:209], v[188:189], v[186:187]
	v_mul_f64_e32 v[168:169], v[6:7], v[168:169]
	ds_load_b128 v[186:189], v2 offset:1408
	v_fmac_f64_e32 v[200:201], v[196:197], v[162:163]
	v_fma_f64 v[194:195], v[194:195], v[162:163], -v[164:165]
	scratch_load_b128 v[162:165], off, off offset:544
	v_add_f64_e32 v[198:199], v[198:199], v[202:203]
	v_fmac_f64_e32 v[204:205], v[6:7], v[166:167]
	v_add_f64_e32 v[196:197], v[208:209], v[206:207]
	;; [unrolled: 18-line block ×3, first 2 shown]
	v_fma_f64 v[206:207], v[4:5], v[178:179], -v[180:181]
	ds_load_b128 v[4:7], v2 offset:1456
	s_wait_loadcnt_dscnt 0xa01
	v_mul_f64_e32 v[204:205], v[194:195], v[192:193]
	v_mul_f64_e32 v[192:193], v[196:197], v[192:193]
	scratch_load_b128 v[178:181], off, off offset:592
	v_add_f64_e32 v[198:199], v[198:199], v[202:203]
	v_add_f64_e32 v[208:209], v[188:189], v[186:187]
	s_wait_loadcnt_dscnt 0xa00
	v_mul_f64_e32 v[202:203], v[4:5], v[176:177]
	v_mul_f64_e32 v[176:177], v[6:7], v[176:177]
	v_fmac_f64_e32 v[204:205], v[196:197], v[190:191]
	v_fma_f64 v[194:195], v[194:195], v[190:191], -v[192:193]
	ds_load_b128 v[186:189], v2 offset:1472
	scratch_load_b128 v[190:193], off, off offset:608
	v_add_f64_e32 v[198:199], v[198:199], v[200:201]
	v_add_f64_e32 v[196:197], v[208:209], v[206:207]
	v_fmac_f64_e32 v[202:203], v[6:7], v[174:175]
	v_fma_f64 v[206:207], v[4:5], v[174:175], -v[176:177]
	ds_load_b128 v[4:7], v2 offset:1488
	s_wait_loadcnt_dscnt 0xa01
	v_mul_f64_e32 v[200:201], v[186:187], v[10:11]
	v_mul_f64_e32 v[10:11], v[188:189], v[10:11]
	scratch_load_b128 v[174:177], off, off offset:624
	v_add_f64_e32 v[198:199], v[198:199], v[204:205]
	s_wait_loadcnt_dscnt 0xa00
	v_mul_f64_e32 v[204:205], v[4:5], v[14:15]
	v_add_f64_e32 v[208:209], v[196:197], v[194:195]
	v_mul_f64_e32 v[14:15], v[6:7], v[14:15]
	ds_load_b128 v[194:197], v2 offset:1504
	v_fmac_f64_e32 v[200:201], v[188:189], v[8:9]
	v_fma_f64 v[186:187], v[186:187], v[8:9], -v[10:11]
	scratch_load_b128 v[8:11], off, off offset:640
	v_add_f64_e32 v[198:199], v[198:199], v[202:203]
	v_fmac_f64_e32 v[204:205], v[6:7], v[12:13]
	v_add_f64_e32 v[188:189], v[208:209], v[206:207]
	v_fma_f64 v[206:207], v[4:5], v[12:13], -v[14:15]
	ds_load_b128 v[4:7], v2 offset:1520
	s_wait_loadcnt_dscnt 0xa01
	v_mul_f64_e32 v[202:203], v[194:195], v[18:19]
	v_mul_f64_e32 v[18:19], v[196:197], v[18:19]
	scratch_load_b128 v[12:15], off, off offset:656
	v_add_f64_e32 v[198:199], v[198:199], v[200:201]
	s_wait_loadcnt_dscnt 0xa00
	v_mul_f64_e32 v[200:201], v[4:5], v[22:23]
	v_add_f64_e32 v[208:209], v[188:189], v[186:187]
	v_mul_f64_e32 v[22:23], v[6:7], v[22:23]
	ds_load_b128 v[186:189], v2 offset:1536
	v_fmac_f64_e32 v[202:203], v[196:197], v[16:17]
	v_fma_f64 v[194:195], v[194:195], v[16:17], -v[18:19]
	scratch_load_b128 v[16:19], off, off offset:672
	v_add_f64_e32 v[198:199], v[198:199], v[204:205]
	v_fmac_f64_e32 v[200:201], v[6:7], v[20:21]
	v_add_f64_e32 v[196:197], v[208:209], v[206:207]
	;; [unrolled: 18-line block ×12, first 2 shown]
	v_fma_f64 v[206:207], v[4:5], v[174:175], -v[176:177]
	ds_load_b128 v[4:7], v2 offset:1872
	s_wait_loadcnt_dscnt 0xa01
	v_mul_f64_e32 v[200:201], v[186:187], v[10:11]
	v_mul_f64_e32 v[10:11], v[188:189], v[10:11]
	scratch_load_b128 v[174:177], off, off offset:1008
	v_add_f64_e32 v[198:199], v[198:199], v[204:205]
	s_wait_loadcnt_dscnt 0xa00
	v_mul_f64_e32 v[204:205], v[4:5], v[14:15]
	v_add_f64_e32 v[208:209], v[196:197], v[194:195]
	v_mul_f64_e32 v[14:15], v[6:7], v[14:15]
	ds_load_b128 v[194:197], v2 offset:1888
	v_fmac_f64_e32 v[200:201], v[188:189], v[8:9]
	v_fma_f64 v[8:9], v[186:187], v[8:9], -v[10:11]
	s_wait_loadcnt_dscnt 0x900
	v_mul_f64_e32 v[188:189], v[194:195], v[18:19]
	v_mul_f64_e32 v[18:19], v[196:197], v[18:19]
	v_add_f64_e32 v[186:187], v[198:199], v[202:203]
	v_fmac_f64_e32 v[204:205], v[6:7], v[12:13]
	v_add_f64_e32 v[10:11], v[208:209], v[206:207]
	v_fma_f64 v[12:13], v[4:5], v[12:13], -v[14:15]
	v_fmac_f64_e32 v[188:189], v[196:197], v[16:17]
	v_fma_f64 v[16:17], v[194:195], v[16:17], -v[18:19]
	v_add_f64_e32 v[186:187], v[186:187], v[200:201]
	v_add_f64_e32 v[14:15], v[10:11], v[8:9]
	ds_load_b128 v[4:7], v2 offset:1904
	ds_load_b128 v[8:11], v2 offset:1920
	s_wait_loadcnt_dscnt 0x801
	v_mul_f64_e32 v[198:199], v[4:5], v[22:23]
	v_mul_f64_e32 v[22:23], v[6:7], v[22:23]
	s_wait_loadcnt_dscnt 0x700
	v_mul_f64_e32 v[18:19], v[8:9], v[26:27]
	v_mul_f64_e32 v[26:27], v[10:11], v[26:27]
	v_add_f64_e32 v[12:13], v[14:15], v[12:13]
	v_add_f64_e32 v[14:15], v[186:187], v[204:205]
	v_fmac_f64_e32 v[198:199], v[6:7], v[20:21]
	v_fma_f64 v[20:21], v[4:5], v[20:21], -v[22:23]
	v_fmac_f64_e32 v[18:19], v[10:11], v[24:25]
	v_fma_f64 v[8:9], v[8:9], v[24:25], -v[26:27]
	v_add_f64_e32 v[16:17], v[12:13], v[16:17]
	v_add_f64_e32 v[22:23], v[14:15], v[188:189]
	ds_load_b128 v[4:7], v2 offset:1936
	ds_load_b128 v[12:15], v2 offset:1952
	s_wait_loadcnt_dscnt 0x601
	v_mul_f64_e32 v[186:187], v[4:5], v[30:31]
	v_mul_f64_e32 v[30:31], v[6:7], v[30:31]
	v_add_f64_e32 v[10:11], v[16:17], v[20:21]
	v_add_f64_e32 v[16:17], v[22:23], v[198:199]
	s_wait_loadcnt_dscnt 0x500
	v_mul_f64_e32 v[20:21], v[12:13], v[164:165]
	v_mul_f64_e32 v[22:23], v[14:15], v[164:165]
	v_fmac_f64_e32 v[186:187], v[6:7], v[28:29]
	v_fma_f64 v[24:25], v[4:5], v[28:29], -v[30:31]
	v_add_f64_e32 v[26:27], v[10:11], v[8:9]
	v_add_f64_e32 v[16:17], v[16:17], v[18:19]
	ds_load_b128 v[4:7], v2 offset:1968
	ds_load_b128 v[8:11], v2 offset:1984
	v_fmac_f64_e32 v[20:21], v[14:15], v[162:163]
	v_fma_f64 v[12:13], v[12:13], v[162:163], -v[22:23]
	s_wait_loadcnt_dscnt 0x401
	v_mul_f64_e32 v[18:19], v[4:5], v[168:169]
	v_mul_f64_e32 v[28:29], v[6:7], v[168:169]
	s_wait_loadcnt_dscnt 0x300
	v_mul_f64_e32 v[22:23], v[8:9], v[172:173]
	v_add_f64_e32 v[14:15], v[26:27], v[24:25]
	v_add_f64_e32 v[16:17], v[16:17], v[186:187]
	v_mul_f64_e32 v[24:25], v[10:11], v[172:173]
	v_fmac_f64_e32 v[18:19], v[6:7], v[166:167]
	v_fma_f64 v[26:27], v[4:5], v[166:167], -v[28:29]
	v_fmac_f64_e32 v[22:23], v[10:11], v[170:171]
	v_add_f64_e32 v[28:29], v[14:15], v[12:13]
	v_add_f64_e32 v[16:17], v[16:17], v[20:21]
	ds_load_b128 v[4:7], v2 offset:2000
	ds_load_b128 v[12:15], v2 offset:2016
	v_fma_f64 v[8:9], v[8:9], v[170:171], -v[24:25]
	s_wait_loadcnt_dscnt 0x201
	v_mul_f64_e32 v[20:21], v[4:5], v[180:181]
	v_mul_f64_e32 v[30:31], v[6:7], v[180:181]
	s_wait_loadcnt_dscnt 0x100
	v_mul_f64_e32 v[24:25], v[14:15], v[192:193]
	v_add_f64_e32 v[10:11], v[28:29], v[26:27]
	v_add_f64_e32 v[16:17], v[16:17], v[18:19]
	v_mul_f64_e32 v[18:19], v[12:13], v[192:193]
	v_fmac_f64_e32 v[20:21], v[6:7], v[178:179]
	v_fma_f64 v[26:27], v[4:5], v[178:179], -v[30:31]
	ds_load_b128 v[4:7], v2 offset:2032
	v_fma_f64 v[12:13], v[12:13], v[190:191], -v[24:25]
	v_add_f64_e32 v[8:9], v[10:11], v[8:9]
	v_add_f64_e32 v[10:11], v[16:17], v[22:23]
	v_fmac_f64_e32 v[18:19], v[14:15], v[190:191]
	s_wait_loadcnt_dscnt 0x0
	v_mul_f64_e32 v[16:17], v[4:5], v[176:177]
	v_mul_f64_e32 v[22:23], v[6:7], v[176:177]
	v_add_f64_e32 v[8:9], v[8:9], v[26:27]
	v_add_f64_e32 v[10:11], v[10:11], v[20:21]
	s_delay_alu instid0(VALU_DEP_4) | instskip(NEXT) | instid1(VALU_DEP_4)
	v_fmac_f64_e32 v[16:17], v[6:7], v[174:175]
	v_fma_f64 v[4:5], v[4:5], v[174:175], -v[22:23]
	s_delay_alu instid0(VALU_DEP_4) | instskip(NEXT) | instid1(VALU_DEP_4)
	v_add_f64_e32 v[6:7], v[8:9], v[12:13]
	v_add_f64_e32 v[8:9], v[10:11], v[18:19]
	s_delay_alu instid0(VALU_DEP_2) | instskip(NEXT) | instid1(VALU_DEP_2)
	v_add_f64_e32 v[4:5], v[6:7], v[4:5]
	v_add_f64_e32 v[6:7], v[8:9], v[16:17]
	s_delay_alu instid0(VALU_DEP_2) | instskip(NEXT) | instid1(VALU_DEP_2)
	v_add_f64_e64 v[4:5], v[182:183], -v[4:5]
	v_add_f64_e64 v[6:7], v[184:185], -v[6:7]
	scratch_store_b128 off, v[4:7], off offset:224
	s_wait_xcnt 0x0
	v_cmpx_lt_u32_e32 13, v1
	s_cbranch_execz .LBB63_383
; %bb.382:
	scratch_load_b128 v[6:9], off, s59
	v_dual_mov_b32 v3, v2 :: v_dual_mov_b32 v4, v2
	v_mov_b32_e32 v5, v2
	scratch_store_b128 off, v[2:5], off offset:208
	s_wait_loadcnt 0x0
	ds_store_b128 v160, v[6:9]
.LBB63_383:
	s_wait_xcnt 0x0
	s_or_b32 exec_lo, exec_lo, s2
	s_wait_storecnt_dscnt 0x0
	s_barrier_signal -1
	s_barrier_wait -1
	s_clause 0x9
	scratch_load_b128 v[4:7], off, off offset:224
	scratch_load_b128 v[8:11], off, off offset:240
	;; [unrolled: 1-line block ×10, first 2 shown]
	ds_load_b128 v[174:177], v2 offset:1248
	ds_load_b128 v[182:185], v2 offset:1264
	s_clause 0x2
	scratch_load_b128 v[178:181], off, off offset:384
	scratch_load_b128 v[186:189], off, off offset:208
	;; [unrolled: 1-line block ×3, first 2 shown]
	s_mov_b32 s2, exec_lo
	s_wait_loadcnt_dscnt 0xc01
	v_mul_f64_e32 v[194:195], v[176:177], v[6:7]
	v_mul_f64_e32 v[198:199], v[174:175], v[6:7]
	s_wait_loadcnt_dscnt 0xb00
	v_mul_f64_e32 v[200:201], v[182:183], v[10:11]
	v_mul_f64_e32 v[10:11], v[184:185], v[10:11]
	s_delay_alu instid0(VALU_DEP_4) | instskip(NEXT) | instid1(VALU_DEP_4)
	v_fma_f64 v[202:203], v[174:175], v[4:5], -v[194:195]
	v_fmac_f64_e32 v[198:199], v[176:177], v[4:5]
	ds_load_b128 v[4:7], v2 offset:1280
	ds_load_b128 v[174:177], v2 offset:1296
	scratch_load_b128 v[194:197], off, off offset:416
	v_fmac_f64_e32 v[200:201], v[184:185], v[8:9]
	v_fma_f64 v[182:183], v[182:183], v[8:9], -v[10:11]
	scratch_load_b128 v[8:11], off, off offset:432
	s_wait_loadcnt_dscnt 0xc01
	v_mul_f64_e32 v[204:205], v[4:5], v[14:15]
	v_mul_f64_e32 v[14:15], v[6:7], v[14:15]
	v_add_f64_e32 v[184:185], 0, v[202:203]
	v_add_f64_e32 v[198:199], 0, v[198:199]
	s_wait_loadcnt_dscnt 0xb00
	v_mul_f64_e32 v[202:203], v[174:175], v[18:19]
	v_mul_f64_e32 v[18:19], v[176:177], v[18:19]
	v_fmac_f64_e32 v[204:205], v[6:7], v[12:13]
	v_fma_f64 v[206:207], v[4:5], v[12:13], -v[14:15]
	ds_load_b128 v[4:7], v2 offset:1312
	ds_load_b128 v[12:15], v2 offset:1328
	v_add_f64_e32 v[208:209], v[184:185], v[182:183]
	v_add_f64_e32 v[198:199], v[198:199], v[200:201]
	scratch_load_b128 v[182:185], off, off offset:448
	v_fmac_f64_e32 v[202:203], v[176:177], v[16:17]
	v_fma_f64 v[174:175], v[174:175], v[16:17], -v[18:19]
	scratch_load_b128 v[16:19], off, off offset:464
	s_wait_loadcnt_dscnt 0xc01
	v_mul_f64_e32 v[200:201], v[4:5], v[22:23]
	v_mul_f64_e32 v[22:23], v[6:7], v[22:23]
	v_add_f64_e32 v[176:177], v[208:209], v[206:207]
	v_add_f64_e32 v[198:199], v[198:199], v[204:205]
	s_wait_loadcnt_dscnt 0xb00
	v_mul_f64_e32 v[204:205], v[12:13], v[26:27]
	v_mul_f64_e32 v[26:27], v[14:15], v[26:27]
	v_fmac_f64_e32 v[200:201], v[6:7], v[20:21]
	v_fma_f64 v[206:207], v[4:5], v[20:21], -v[22:23]
	ds_load_b128 v[4:7], v2 offset:1344
	ds_load_b128 v[20:23], v2 offset:1360
	v_add_f64_e32 v[208:209], v[176:177], v[174:175]
	v_add_f64_e32 v[198:199], v[198:199], v[202:203]
	scratch_load_b128 v[174:177], off, off offset:480
	s_wait_loadcnt_dscnt 0xb01
	v_mul_f64_e32 v[202:203], v[4:5], v[30:31]
	v_mul_f64_e32 v[30:31], v[6:7], v[30:31]
	v_fmac_f64_e32 v[204:205], v[14:15], v[24:25]
	v_fma_f64 v[24:25], v[12:13], v[24:25], -v[26:27]
	scratch_load_b128 v[12:15], off, off offset:496
	v_add_f64_e32 v[26:27], v[208:209], v[206:207]
	v_add_f64_e32 v[198:199], v[198:199], v[200:201]
	s_wait_loadcnt_dscnt 0xb00
	v_mul_f64_e32 v[200:201], v[20:21], v[164:165]
	v_mul_f64_e32 v[164:165], v[22:23], v[164:165]
	v_fmac_f64_e32 v[202:203], v[6:7], v[28:29]
	v_fma_f64 v[206:207], v[4:5], v[28:29], -v[30:31]
	v_add_f64_e32 v[208:209], v[26:27], v[24:25]
	v_add_f64_e32 v[198:199], v[198:199], v[204:205]
	ds_load_b128 v[4:7], v2 offset:1376
	ds_load_b128 v[24:27], v2 offset:1392
	scratch_load_b128 v[28:31], off, off offset:512
	v_fmac_f64_e32 v[200:201], v[22:23], v[162:163]
	v_fma_f64 v[162:163], v[20:21], v[162:163], -v[164:165]
	scratch_load_b128 v[20:23], off, off offset:528
	s_wait_loadcnt_dscnt 0xc01
	v_mul_f64_e32 v[204:205], v[4:5], v[168:169]
	v_mul_f64_e32 v[168:169], v[6:7], v[168:169]
	v_add_f64_e32 v[164:165], v[208:209], v[206:207]
	v_add_f64_e32 v[198:199], v[198:199], v[202:203]
	s_wait_loadcnt_dscnt 0xb00
	v_mul_f64_e32 v[202:203], v[24:25], v[172:173]
	v_mul_f64_e32 v[172:173], v[26:27], v[172:173]
	v_fmac_f64_e32 v[204:205], v[6:7], v[166:167]
	v_fma_f64 v[206:207], v[4:5], v[166:167], -v[168:169]
	v_add_f64_e32 v[208:209], v[164:165], v[162:163]
	v_add_f64_e32 v[198:199], v[198:199], v[200:201]
	ds_load_b128 v[4:7], v2 offset:1408
	ds_load_b128 v[162:165], v2 offset:1424
	scratch_load_b128 v[166:169], off, off offset:544
	v_fmac_f64_e32 v[202:203], v[26:27], v[170:171]
	v_fma_f64 v[170:171], v[24:25], v[170:171], -v[172:173]
	scratch_load_b128 v[24:27], off, off offset:560
	s_wait_loadcnt_dscnt 0xc01
	v_mul_f64_e32 v[200:201], v[4:5], v[180:181]
	v_mul_f64_e32 v[180:181], v[6:7], v[180:181]
	;; [unrolled: 18-line block ×5, first 2 shown]
	v_add_f64_e32 v[192:193], v[208:209], v[206:207]
	v_add_f64_e32 v[198:199], v[198:199], v[204:205]
	s_wait_loadcnt_dscnt 0xa00
	v_mul_f64_e32 v[204:205], v[170:171], v[14:15]
	v_mul_f64_e32 v[14:15], v[172:173], v[14:15]
	v_fmac_f64_e32 v[200:201], v[6:7], v[174:175]
	v_fma_f64 v[206:207], v[4:5], v[174:175], -v[176:177]
	ds_load_b128 v[4:7], v2 offset:1536
	ds_load_b128 v[174:177], v2 offset:1552
	v_add_f64_e32 v[208:209], v[192:193], v[190:191]
	v_add_f64_e32 v[198:199], v[198:199], v[202:203]
	scratch_load_b128 v[190:193], off, off offset:672
	v_fmac_f64_e32 v[204:205], v[172:173], v[12:13]
	v_fma_f64 v[170:171], v[170:171], v[12:13], -v[14:15]
	scratch_load_b128 v[12:15], off, off offset:688
	s_wait_loadcnt_dscnt 0xb01
	v_mul_f64_e32 v[202:203], v[4:5], v[30:31]
	v_mul_f64_e32 v[30:31], v[6:7], v[30:31]
	v_add_f64_e32 v[172:173], v[208:209], v[206:207]
	v_add_f64_e32 v[198:199], v[198:199], v[200:201]
	s_wait_loadcnt_dscnt 0xa00
	v_mul_f64_e32 v[200:201], v[174:175], v[22:23]
	v_mul_f64_e32 v[22:23], v[176:177], v[22:23]
	v_fmac_f64_e32 v[202:203], v[6:7], v[28:29]
	v_fma_f64 v[206:207], v[4:5], v[28:29], -v[30:31]
	ds_load_b128 v[4:7], v2 offset:1568
	ds_load_b128 v[28:31], v2 offset:1584
	v_add_f64_e32 v[208:209], v[172:173], v[170:171]
	v_add_f64_e32 v[198:199], v[198:199], v[204:205]
	scratch_load_b128 v[170:173], off, off offset:704
	s_wait_loadcnt_dscnt 0xa01
	v_mul_f64_e32 v[204:205], v[4:5], v[168:169]
	v_mul_f64_e32 v[168:169], v[6:7], v[168:169]
	v_fmac_f64_e32 v[200:201], v[176:177], v[20:21]
	v_fma_f64 v[174:175], v[174:175], v[20:21], -v[22:23]
	scratch_load_b128 v[20:23], off, off offset:720
	v_add_f64_e32 v[176:177], v[208:209], v[206:207]
	v_add_f64_e32 v[198:199], v[198:199], v[202:203]
	s_wait_loadcnt_dscnt 0xa00
	v_mul_f64_e32 v[202:203], v[28:29], v[26:27]
	v_mul_f64_e32 v[26:27], v[30:31], v[26:27]
	v_fmac_f64_e32 v[204:205], v[6:7], v[166:167]
	v_fma_f64 v[206:207], v[4:5], v[166:167], -v[168:169]
	ds_load_b128 v[4:7], v2 offset:1600
	ds_load_b128 v[166:169], v2 offset:1616
	v_add_f64_e32 v[208:209], v[176:177], v[174:175]
	v_add_f64_e32 v[198:199], v[198:199], v[200:201]
	scratch_load_b128 v[174:177], off, off offset:736
	s_wait_loadcnt_dscnt 0xa01
	v_mul_f64_e32 v[200:201], v[4:5], v[180:181]
	v_mul_f64_e32 v[180:181], v[6:7], v[180:181]
	v_fmac_f64_e32 v[202:203], v[30:31], v[24:25]
	v_fma_f64 v[28:29], v[28:29], v[24:25], -v[26:27]
	scratch_load_b128 v[24:27], off, off offset:752
	v_add_f64_e32 v[30:31], v[208:209], v[206:207]
	v_add_f64_e32 v[198:199], v[198:199], v[204:205]
	s_wait_loadcnt_dscnt 0xa00
	v_mul_f64_e32 v[204:205], v[166:167], v[164:165]
	v_mul_f64_e32 v[164:165], v[168:169], v[164:165]
	v_fmac_f64_e32 v[200:201], v[6:7], v[178:179]
	v_fma_f64 v[206:207], v[4:5], v[178:179], -v[180:181]
	v_add_f64_e32 v[208:209], v[30:31], v[28:29]
	v_add_f64_e32 v[198:199], v[198:199], v[202:203]
	ds_load_b128 v[4:7], v2 offset:1632
	ds_load_b128 v[28:31], v2 offset:1648
	scratch_load_b128 v[178:181], off, off offset:768
	v_fmac_f64_e32 v[204:205], v[168:169], v[162:163]
	v_fma_f64 v[166:167], v[166:167], v[162:163], -v[164:165]
	scratch_load_b128 v[162:165], off, off offset:784
	s_wait_loadcnt_dscnt 0xb01
	v_mul_f64_e32 v[202:203], v[4:5], v[196:197]
	v_mul_f64_e32 v[196:197], v[6:7], v[196:197]
	v_add_f64_e32 v[168:169], v[208:209], v[206:207]
	v_add_f64_e32 v[198:199], v[198:199], v[200:201]
	s_wait_loadcnt_dscnt 0xa00
	v_mul_f64_e32 v[200:201], v[28:29], v[10:11]
	v_mul_f64_e32 v[10:11], v[30:31], v[10:11]
	v_fmac_f64_e32 v[202:203], v[6:7], v[194:195]
	v_fma_f64 v[206:207], v[4:5], v[194:195], -v[196:197]
	v_add_f64_e32 v[208:209], v[168:169], v[166:167]
	v_add_f64_e32 v[198:199], v[198:199], v[204:205]
	ds_load_b128 v[4:7], v2 offset:1664
	ds_load_b128 v[166:169], v2 offset:1680
	scratch_load_b128 v[194:197], off, off offset:800
	v_fmac_f64_e32 v[200:201], v[30:31], v[8:9]
	v_fma_f64 v[28:29], v[28:29], v[8:9], -v[10:11]
	scratch_load_b128 v[8:11], off, off offset:816
	s_wait_loadcnt_dscnt 0xb01
	v_mul_f64_e32 v[204:205], v[4:5], v[184:185]
	v_mul_f64_e32 v[184:185], v[6:7], v[184:185]
	;; [unrolled: 18-line block ×8, first 2 shown]
	v_add_f64_e32 v[30:31], v[208:209], v[206:207]
	v_add_f64_e32 v[198:199], v[198:199], v[202:203]
	s_wait_loadcnt_dscnt 0xa00
	v_mul_f64_e32 v[202:203], v[166:167], v[18:19]
	v_mul_f64_e32 v[18:19], v[168:169], v[18:19]
	v_fmac_f64_e32 v[204:205], v[6:7], v[182:183]
	v_fma_f64 v[182:183], v[4:5], v[182:183], -v[184:185]
	v_add_f64_e32 v[184:185], v[30:31], v[28:29]
	v_add_f64_e32 v[198:199], v[198:199], v[200:201]
	ds_load_b128 v[4:7], v2 offset:1888
	ds_load_b128 v[28:31], v2 offset:1904
	v_fmac_f64_e32 v[202:203], v[168:169], v[16:17]
	v_fma_f64 v[16:17], v[166:167], v[16:17], -v[18:19]
	s_wait_loadcnt_dscnt 0x901
	v_mul_f64_e32 v[200:201], v[4:5], v[192:193]
	v_mul_f64_e32 v[192:193], v[6:7], v[192:193]
	s_wait_loadcnt_dscnt 0x800
	v_mul_f64_e32 v[168:169], v[28:29], v[14:15]
	v_add_f64_e32 v[18:19], v[184:185], v[182:183]
	v_add_f64_e32 v[166:167], v[198:199], v[204:205]
	v_mul_f64_e32 v[182:183], v[30:31], v[14:15]
	v_fmac_f64_e32 v[200:201], v[6:7], v[190:191]
	v_fma_f64 v[184:185], v[4:5], v[190:191], -v[192:193]
	v_fmac_f64_e32 v[168:169], v[30:31], v[12:13]
	v_add_f64_e32 v[18:19], v[18:19], v[16:17]
	v_add_f64_e32 v[166:167], v[166:167], v[202:203]
	ds_load_b128 v[4:7], v2 offset:1920
	ds_load_b128 v[14:17], v2 offset:1936
	v_fma_f64 v[12:13], v[28:29], v[12:13], -v[182:183]
	s_wait_loadcnt_dscnt 0x701
	v_mul_f64_e32 v[190:191], v[4:5], v[172:173]
	v_mul_f64_e32 v[172:173], v[6:7], v[172:173]
	v_add_f64_e32 v[18:19], v[18:19], v[184:185]
	v_add_f64_e32 v[28:29], v[166:167], v[200:201]
	s_wait_loadcnt_dscnt 0x600
	v_mul_f64_e32 v[166:167], v[14:15], v[22:23]
	v_mul_f64_e32 v[22:23], v[16:17], v[22:23]
	v_fmac_f64_e32 v[190:191], v[6:7], v[170:171]
	v_fma_f64 v[170:171], v[4:5], v[170:171], -v[172:173]
	v_add_f64_e32 v[12:13], v[18:19], v[12:13]
	v_add_f64_e32 v[18:19], v[28:29], v[168:169]
	ds_load_b128 v[4:7], v2 offset:1952
	ds_load_b128 v[28:31], v2 offset:1968
	v_fmac_f64_e32 v[166:167], v[16:17], v[20:21]
	v_fma_f64 v[14:15], v[14:15], v[20:21], -v[22:23]
	s_wait_loadcnt_dscnt 0x501
	v_mul_f64_e32 v[168:169], v[4:5], v[176:177]
	v_mul_f64_e32 v[172:173], v[6:7], v[176:177]
	s_wait_loadcnt_dscnt 0x400
	v_mul_f64_e32 v[20:21], v[30:31], v[26:27]
	v_add_f64_e32 v[12:13], v[12:13], v[170:171]
	v_add_f64_e32 v[16:17], v[18:19], v[190:191]
	v_mul_f64_e32 v[18:19], v[28:29], v[26:27]
	v_fmac_f64_e32 v[168:169], v[6:7], v[174:175]
	v_fma_f64 v[22:23], v[4:5], v[174:175], -v[172:173]
	v_fma_f64 v[20:21], v[28:29], v[24:25], -v[20:21]
	v_add_f64_e32 v[26:27], v[12:13], v[14:15]
	v_add_f64_e32 v[16:17], v[16:17], v[166:167]
	ds_load_b128 v[4:7], v2 offset:1984
	ds_load_b128 v[12:15], v2 offset:2000
	v_fmac_f64_e32 v[18:19], v[30:31], v[24:25]
	s_wait_loadcnt_dscnt 0x301
	v_mul_f64_e32 v[166:167], v[4:5], v[180:181]
	v_mul_f64_e32 v[170:171], v[6:7], v[180:181]
	s_wait_loadcnt_dscnt 0x200
	v_mul_f64_e32 v[24:25], v[12:13], v[164:165]
	v_add_f64_e32 v[22:23], v[26:27], v[22:23]
	v_add_f64_e32 v[16:17], v[16:17], v[168:169]
	v_mul_f64_e32 v[26:27], v[14:15], v[164:165]
	v_fmac_f64_e32 v[166:167], v[6:7], v[178:179]
	v_fma_f64 v[28:29], v[4:5], v[178:179], -v[170:171]
	v_fmac_f64_e32 v[24:25], v[14:15], v[162:163]
	v_add_f64_e32 v[20:21], v[22:23], v[20:21]
	v_add_f64_e32 v[22:23], v[16:17], v[18:19]
	ds_load_b128 v[4:7], v2 offset:2016
	ds_load_b128 v[16:19], v2 offset:2032
	v_fma_f64 v[12:13], v[12:13], v[162:163], -v[26:27]
	s_wait_loadcnt_dscnt 0x101
	v_mul_f64_e32 v[2:3], v[4:5], v[196:197]
	v_mul_f64_e32 v[30:31], v[6:7], v[196:197]
	v_add_f64_e32 v[14:15], v[20:21], v[28:29]
	v_add_f64_e32 v[20:21], v[22:23], v[166:167]
	s_wait_loadcnt_dscnt 0x0
	v_mul_f64_e32 v[22:23], v[16:17], v[10:11]
	v_mul_f64_e32 v[10:11], v[18:19], v[10:11]
	v_fmac_f64_e32 v[2:3], v[6:7], v[194:195]
	v_fma_f64 v[4:5], v[4:5], v[194:195], -v[30:31]
	v_add_f64_e32 v[6:7], v[14:15], v[12:13]
	v_add_f64_e32 v[12:13], v[20:21], v[24:25]
	v_fmac_f64_e32 v[22:23], v[18:19], v[8:9]
	v_fma_f64 v[8:9], v[16:17], v[8:9], -v[10:11]
	s_delay_alu instid0(VALU_DEP_4) | instskip(NEXT) | instid1(VALU_DEP_4)
	v_add_f64_e32 v[4:5], v[6:7], v[4:5]
	v_add_f64_e32 v[2:3], v[12:13], v[2:3]
	s_delay_alu instid0(VALU_DEP_2) | instskip(NEXT) | instid1(VALU_DEP_2)
	v_add_f64_e32 v[4:5], v[4:5], v[8:9]
	v_add_f64_e32 v[6:7], v[2:3], v[22:23]
	s_delay_alu instid0(VALU_DEP_2) | instskip(NEXT) | instid1(VALU_DEP_2)
	v_add_f64_e64 v[2:3], v[186:187], -v[4:5]
	v_add_f64_e64 v[4:5], v[188:189], -v[6:7]
	scratch_store_b128 off, v[2:5], off offset:208
	s_wait_xcnt 0x0
	v_cmpx_lt_u32_e32 12, v1
	s_cbranch_execz .LBB63_385
; %bb.384:
	scratch_load_b128 v[2:5], off, s70
	v_mov_b32_e32 v6, 0
	s_delay_alu instid0(VALU_DEP_1)
	v_dual_mov_b32 v7, v6 :: v_dual_mov_b32 v8, v6
	v_mov_b32_e32 v9, v6
	scratch_store_b128 off, v[6:9], off offset:192
	s_wait_loadcnt 0x0
	ds_store_b128 v160, v[2:5]
.LBB63_385:
	s_wait_xcnt 0x0
	s_or_b32 exec_lo, exec_lo, s2
	s_wait_storecnt_dscnt 0x0
	s_barrier_signal -1
	s_barrier_wait -1
	s_clause 0x9
	scratch_load_b128 v[4:7], off, off offset:208
	scratch_load_b128 v[8:11], off, off offset:224
	;; [unrolled: 1-line block ×10, first 2 shown]
	v_mov_b32_e32 v2, 0
	s_mov_b32 s2, exec_lo
	ds_load_b128 v[174:177], v2 offset:1232
	s_clause 0x2
	scratch_load_b128 v[178:181], off, off offset:368
	scratch_load_b128 v[182:185], off, off offset:192
	;; [unrolled: 1-line block ×3, first 2 shown]
	s_wait_loadcnt_dscnt 0xc00
	v_mul_f64_e32 v[194:195], v[176:177], v[6:7]
	v_mul_f64_e32 v[198:199], v[174:175], v[6:7]
	ds_load_b128 v[186:189], v2 offset:1248
	v_fma_f64 v[202:203], v[174:175], v[4:5], -v[194:195]
	v_fmac_f64_e32 v[198:199], v[176:177], v[4:5]
	ds_load_b128 v[4:7], v2 offset:1264
	s_wait_loadcnt_dscnt 0xb01
	v_mul_f64_e32 v[200:201], v[186:187], v[10:11]
	v_mul_f64_e32 v[10:11], v[188:189], v[10:11]
	scratch_load_b128 v[174:177], off, off offset:400
	ds_load_b128 v[194:197], v2 offset:1280
	s_wait_loadcnt_dscnt 0xb01
	v_mul_f64_e32 v[204:205], v[4:5], v[14:15]
	v_mul_f64_e32 v[14:15], v[6:7], v[14:15]
	v_add_f64_e32 v[198:199], 0, v[198:199]
	v_fmac_f64_e32 v[200:201], v[188:189], v[8:9]
	v_fma_f64 v[186:187], v[186:187], v[8:9], -v[10:11]
	v_add_f64_e32 v[188:189], 0, v[202:203]
	scratch_load_b128 v[8:11], off, off offset:416
	v_fmac_f64_e32 v[204:205], v[6:7], v[12:13]
	v_fma_f64 v[206:207], v[4:5], v[12:13], -v[14:15]
	ds_load_b128 v[4:7], v2 offset:1296
	s_wait_loadcnt_dscnt 0xb01
	v_mul_f64_e32 v[202:203], v[194:195], v[18:19]
	v_mul_f64_e32 v[18:19], v[196:197], v[18:19]
	scratch_load_b128 v[12:15], off, off offset:432
	v_add_f64_e32 v[198:199], v[198:199], v[200:201]
	v_add_f64_e32 v[208:209], v[188:189], v[186:187]
	ds_load_b128 v[186:189], v2 offset:1312
	s_wait_loadcnt_dscnt 0xb01
	v_mul_f64_e32 v[200:201], v[4:5], v[22:23]
	v_mul_f64_e32 v[22:23], v[6:7], v[22:23]
	v_fmac_f64_e32 v[202:203], v[196:197], v[16:17]
	v_fma_f64 v[194:195], v[194:195], v[16:17], -v[18:19]
	scratch_load_b128 v[16:19], off, off offset:448
	v_add_f64_e32 v[198:199], v[198:199], v[204:205]
	v_add_f64_e32 v[196:197], v[208:209], v[206:207]
	v_fmac_f64_e32 v[200:201], v[6:7], v[20:21]
	v_fma_f64 v[206:207], v[4:5], v[20:21], -v[22:23]
	ds_load_b128 v[4:7], v2 offset:1328
	s_wait_loadcnt_dscnt 0xb01
	v_mul_f64_e32 v[204:205], v[186:187], v[26:27]
	v_mul_f64_e32 v[26:27], v[188:189], v[26:27]
	scratch_load_b128 v[20:23], off, off offset:464
	v_add_f64_e32 v[198:199], v[198:199], v[202:203]
	s_wait_loadcnt_dscnt 0xb00
	v_mul_f64_e32 v[202:203], v[4:5], v[30:31]
	v_add_f64_e32 v[208:209], v[196:197], v[194:195]
	v_mul_f64_e32 v[30:31], v[6:7], v[30:31]
	ds_load_b128 v[194:197], v2 offset:1344
	v_fmac_f64_e32 v[204:205], v[188:189], v[24:25]
	v_fma_f64 v[186:187], v[186:187], v[24:25], -v[26:27]
	scratch_load_b128 v[24:27], off, off offset:480
	v_add_f64_e32 v[198:199], v[198:199], v[200:201]
	v_fmac_f64_e32 v[202:203], v[6:7], v[28:29]
	v_add_f64_e32 v[188:189], v[208:209], v[206:207]
	v_fma_f64 v[206:207], v[4:5], v[28:29], -v[30:31]
	ds_load_b128 v[4:7], v2 offset:1360
	s_wait_loadcnt_dscnt 0xb01
	v_mul_f64_e32 v[200:201], v[194:195], v[164:165]
	v_mul_f64_e32 v[164:165], v[196:197], v[164:165]
	scratch_load_b128 v[28:31], off, off offset:496
	v_add_f64_e32 v[198:199], v[198:199], v[204:205]
	s_wait_loadcnt_dscnt 0xb00
	v_mul_f64_e32 v[204:205], v[4:5], v[168:169]
	v_add_f64_e32 v[208:209], v[188:189], v[186:187]
	v_mul_f64_e32 v[168:169], v[6:7], v[168:169]
	ds_load_b128 v[186:189], v2 offset:1376
	v_fmac_f64_e32 v[200:201], v[196:197], v[162:163]
	v_fma_f64 v[194:195], v[194:195], v[162:163], -v[164:165]
	scratch_load_b128 v[162:165], off, off offset:512
	v_add_f64_e32 v[198:199], v[198:199], v[202:203]
	v_fmac_f64_e32 v[204:205], v[6:7], v[166:167]
	v_add_f64_e32 v[196:197], v[208:209], v[206:207]
	;; [unrolled: 18-line block ×3, first 2 shown]
	v_fma_f64 v[206:207], v[4:5], v[178:179], -v[180:181]
	ds_load_b128 v[4:7], v2 offset:1424
	s_wait_loadcnt_dscnt 0xa01
	v_mul_f64_e32 v[204:205], v[194:195], v[192:193]
	v_mul_f64_e32 v[192:193], v[196:197], v[192:193]
	scratch_load_b128 v[178:181], off, off offset:560
	v_add_f64_e32 v[198:199], v[198:199], v[202:203]
	v_add_f64_e32 v[208:209], v[188:189], v[186:187]
	s_wait_loadcnt_dscnt 0xa00
	v_mul_f64_e32 v[202:203], v[4:5], v[176:177]
	v_mul_f64_e32 v[176:177], v[6:7], v[176:177]
	v_fmac_f64_e32 v[204:205], v[196:197], v[190:191]
	v_fma_f64 v[194:195], v[194:195], v[190:191], -v[192:193]
	ds_load_b128 v[186:189], v2 offset:1440
	scratch_load_b128 v[190:193], off, off offset:576
	v_add_f64_e32 v[198:199], v[198:199], v[200:201]
	v_add_f64_e32 v[196:197], v[208:209], v[206:207]
	v_fmac_f64_e32 v[202:203], v[6:7], v[174:175]
	v_fma_f64 v[206:207], v[4:5], v[174:175], -v[176:177]
	ds_load_b128 v[4:7], v2 offset:1456
	s_wait_loadcnt_dscnt 0xa01
	v_mul_f64_e32 v[200:201], v[186:187], v[10:11]
	v_mul_f64_e32 v[10:11], v[188:189], v[10:11]
	scratch_load_b128 v[174:177], off, off offset:592
	v_add_f64_e32 v[198:199], v[198:199], v[204:205]
	s_wait_loadcnt_dscnt 0xa00
	v_mul_f64_e32 v[204:205], v[4:5], v[14:15]
	v_add_f64_e32 v[208:209], v[196:197], v[194:195]
	v_mul_f64_e32 v[14:15], v[6:7], v[14:15]
	ds_load_b128 v[194:197], v2 offset:1472
	v_fmac_f64_e32 v[200:201], v[188:189], v[8:9]
	v_fma_f64 v[186:187], v[186:187], v[8:9], -v[10:11]
	scratch_load_b128 v[8:11], off, off offset:608
	v_add_f64_e32 v[198:199], v[198:199], v[202:203]
	v_fmac_f64_e32 v[204:205], v[6:7], v[12:13]
	v_add_f64_e32 v[188:189], v[208:209], v[206:207]
	v_fma_f64 v[206:207], v[4:5], v[12:13], -v[14:15]
	ds_load_b128 v[4:7], v2 offset:1488
	s_wait_loadcnt_dscnt 0xa01
	v_mul_f64_e32 v[202:203], v[194:195], v[18:19]
	v_mul_f64_e32 v[18:19], v[196:197], v[18:19]
	scratch_load_b128 v[12:15], off, off offset:624
	v_add_f64_e32 v[198:199], v[198:199], v[200:201]
	s_wait_loadcnt_dscnt 0xa00
	v_mul_f64_e32 v[200:201], v[4:5], v[22:23]
	v_add_f64_e32 v[208:209], v[188:189], v[186:187]
	v_mul_f64_e32 v[22:23], v[6:7], v[22:23]
	ds_load_b128 v[186:189], v2 offset:1504
	v_fmac_f64_e32 v[202:203], v[196:197], v[16:17]
	v_fma_f64 v[194:195], v[194:195], v[16:17], -v[18:19]
	scratch_load_b128 v[16:19], off, off offset:640
	v_add_f64_e32 v[198:199], v[198:199], v[204:205]
	v_fmac_f64_e32 v[200:201], v[6:7], v[20:21]
	v_add_f64_e32 v[196:197], v[208:209], v[206:207]
	;; [unrolled: 18-line block ×13, first 2 shown]
	v_fma_f64 v[206:207], v[4:5], v[12:13], -v[14:15]
	ds_load_b128 v[4:7], v2 offset:1872
	s_wait_loadcnt_dscnt 0xa01
	v_mul_f64_e32 v[202:203], v[194:195], v[18:19]
	v_mul_f64_e32 v[18:19], v[196:197], v[18:19]
	scratch_load_b128 v[12:15], off, off offset:1008
	v_add_f64_e32 v[198:199], v[198:199], v[200:201]
	s_wait_loadcnt_dscnt 0xa00
	v_mul_f64_e32 v[200:201], v[4:5], v[22:23]
	v_add_f64_e32 v[208:209], v[188:189], v[186:187]
	v_mul_f64_e32 v[22:23], v[6:7], v[22:23]
	ds_load_b128 v[186:189], v2 offset:1888
	v_fmac_f64_e32 v[202:203], v[196:197], v[16:17]
	v_fma_f64 v[16:17], v[194:195], v[16:17], -v[18:19]
	s_wait_loadcnt_dscnt 0x900
	v_mul_f64_e32 v[196:197], v[186:187], v[26:27]
	v_mul_f64_e32 v[26:27], v[188:189], v[26:27]
	v_add_f64_e32 v[194:195], v[198:199], v[204:205]
	v_fmac_f64_e32 v[200:201], v[6:7], v[20:21]
	v_add_f64_e32 v[18:19], v[208:209], v[206:207]
	v_fma_f64 v[20:21], v[4:5], v[20:21], -v[22:23]
	v_fmac_f64_e32 v[196:197], v[188:189], v[24:25]
	v_fma_f64 v[24:25], v[186:187], v[24:25], -v[26:27]
	v_add_f64_e32 v[194:195], v[194:195], v[202:203]
	v_add_f64_e32 v[22:23], v[18:19], v[16:17]
	ds_load_b128 v[4:7], v2 offset:1904
	ds_load_b128 v[16:19], v2 offset:1920
	s_wait_loadcnt_dscnt 0x801
	v_mul_f64_e32 v[198:199], v[4:5], v[30:31]
	v_mul_f64_e32 v[30:31], v[6:7], v[30:31]
	s_wait_loadcnt_dscnt 0x700
	v_mul_f64_e32 v[26:27], v[16:17], v[164:165]
	v_mul_f64_e32 v[164:165], v[18:19], v[164:165]
	v_add_f64_e32 v[20:21], v[22:23], v[20:21]
	v_add_f64_e32 v[22:23], v[194:195], v[200:201]
	v_fmac_f64_e32 v[198:199], v[6:7], v[28:29]
	v_fma_f64 v[28:29], v[4:5], v[28:29], -v[30:31]
	v_fmac_f64_e32 v[26:27], v[18:19], v[162:163]
	v_fma_f64 v[16:17], v[16:17], v[162:163], -v[164:165]
	v_add_f64_e32 v[24:25], v[20:21], v[24:25]
	v_add_f64_e32 v[30:31], v[22:23], v[196:197]
	ds_load_b128 v[4:7], v2 offset:1936
	ds_load_b128 v[20:23], v2 offset:1952
	s_wait_loadcnt_dscnt 0x601
	v_mul_f64_e32 v[186:187], v[4:5], v[168:169]
	v_mul_f64_e32 v[168:169], v[6:7], v[168:169]
	v_add_f64_e32 v[18:19], v[24:25], v[28:29]
	v_add_f64_e32 v[24:25], v[30:31], v[198:199]
	s_wait_loadcnt_dscnt 0x500
	v_mul_f64_e32 v[28:29], v[20:21], v[172:173]
	v_mul_f64_e32 v[30:31], v[22:23], v[172:173]
	v_fmac_f64_e32 v[186:187], v[6:7], v[166:167]
	v_fma_f64 v[162:163], v[4:5], v[166:167], -v[168:169]
	v_add_f64_e32 v[164:165], v[18:19], v[16:17]
	v_add_f64_e32 v[24:25], v[24:25], v[26:27]
	ds_load_b128 v[4:7], v2 offset:1968
	ds_load_b128 v[16:19], v2 offset:1984
	v_fmac_f64_e32 v[28:29], v[22:23], v[170:171]
	v_fma_f64 v[20:21], v[20:21], v[170:171], -v[30:31]
	s_wait_loadcnt_dscnt 0x401
	v_mul_f64_e32 v[26:27], v[4:5], v[180:181]
	v_mul_f64_e32 v[166:167], v[6:7], v[180:181]
	s_wait_loadcnt_dscnt 0x300
	v_mul_f64_e32 v[30:31], v[16:17], v[192:193]
	v_add_f64_e32 v[22:23], v[164:165], v[162:163]
	v_add_f64_e32 v[24:25], v[24:25], v[186:187]
	v_mul_f64_e32 v[162:163], v[18:19], v[192:193]
	v_fmac_f64_e32 v[26:27], v[6:7], v[178:179]
	v_fma_f64 v[164:165], v[4:5], v[178:179], -v[166:167]
	v_fmac_f64_e32 v[30:31], v[18:19], v[190:191]
	v_add_f64_e32 v[166:167], v[22:23], v[20:21]
	v_add_f64_e32 v[24:25], v[24:25], v[28:29]
	ds_load_b128 v[4:7], v2 offset:2000
	ds_load_b128 v[20:23], v2 offset:2016
	v_fma_f64 v[16:17], v[16:17], v[190:191], -v[162:163]
	s_wait_loadcnt_dscnt 0x201
	v_mul_f64_e32 v[28:29], v[4:5], v[176:177]
	v_mul_f64_e32 v[168:169], v[6:7], v[176:177]
	v_add_f64_e32 v[18:19], v[166:167], v[164:165]
	v_add_f64_e32 v[24:25], v[24:25], v[26:27]
	s_wait_loadcnt_dscnt 0x100
	v_mul_f64_e32 v[26:27], v[20:21], v[10:11]
	v_mul_f64_e32 v[10:11], v[22:23], v[10:11]
	v_fmac_f64_e32 v[28:29], v[6:7], v[174:175]
	v_fma_f64 v[162:163], v[4:5], v[174:175], -v[168:169]
	ds_load_b128 v[4:7], v2 offset:2032
	v_add_f64_e32 v[16:17], v[18:19], v[16:17]
	v_add_f64_e32 v[18:19], v[24:25], v[30:31]
	v_fmac_f64_e32 v[26:27], v[22:23], v[8:9]
	v_fma_f64 v[8:9], v[20:21], v[8:9], -v[10:11]
	s_wait_loadcnt_dscnt 0x0
	v_mul_f64_e32 v[24:25], v[4:5], v[14:15]
	v_mul_f64_e32 v[14:15], v[6:7], v[14:15]
	v_add_f64_e32 v[10:11], v[16:17], v[162:163]
	v_add_f64_e32 v[16:17], v[18:19], v[28:29]
	s_delay_alu instid0(VALU_DEP_4) | instskip(NEXT) | instid1(VALU_DEP_4)
	v_fmac_f64_e32 v[24:25], v[6:7], v[12:13]
	v_fma_f64 v[4:5], v[4:5], v[12:13], -v[14:15]
	s_delay_alu instid0(VALU_DEP_4) | instskip(NEXT) | instid1(VALU_DEP_4)
	v_add_f64_e32 v[6:7], v[10:11], v[8:9]
	v_add_f64_e32 v[8:9], v[16:17], v[26:27]
	s_delay_alu instid0(VALU_DEP_2) | instskip(NEXT) | instid1(VALU_DEP_2)
	v_add_f64_e32 v[4:5], v[6:7], v[4:5]
	v_add_f64_e32 v[6:7], v[8:9], v[24:25]
	s_delay_alu instid0(VALU_DEP_2) | instskip(NEXT) | instid1(VALU_DEP_2)
	v_add_f64_e64 v[4:5], v[182:183], -v[4:5]
	v_add_f64_e64 v[6:7], v[184:185], -v[6:7]
	scratch_store_b128 off, v[4:7], off offset:192
	s_wait_xcnt 0x0
	v_cmpx_lt_u32_e32 11, v1
	s_cbranch_execz .LBB63_387
; %bb.386:
	scratch_load_b128 v[6:9], off, s71
	v_dual_mov_b32 v3, v2 :: v_dual_mov_b32 v4, v2
	v_mov_b32_e32 v5, v2
	scratch_store_b128 off, v[2:5], off offset:176
	s_wait_loadcnt 0x0
	ds_store_b128 v160, v[6:9]
.LBB63_387:
	s_wait_xcnt 0x0
	s_or_b32 exec_lo, exec_lo, s2
	s_wait_storecnt_dscnt 0x0
	s_barrier_signal -1
	s_barrier_wait -1
	s_clause 0x9
	scratch_load_b128 v[4:7], off, off offset:192
	scratch_load_b128 v[8:11], off, off offset:208
	;; [unrolled: 1-line block ×10, first 2 shown]
	ds_load_b128 v[174:177], v2 offset:1216
	ds_load_b128 v[182:185], v2 offset:1232
	s_clause 0x2
	scratch_load_b128 v[178:181], off, off offset:352
	scratch_load_b128 v[186:189], off, off offset:176
	;; [unrolled: 1-line block ×3, first 2 shown]
	s_mov_b32 s2, exec_lo
	s_wait_loadcnt_dscnt 0xc01
	v_mul_f64_e32 v[194:195], v[176:177], v[6:7]
	v_mul_f64_e32 v[198:199], v[174:175], v[6:7]
	s_wait_loadcnt_dscnt 0xb00
	v_mul_f64_e32 v[200:201], v[182:183], v[10:11]
	v_mul_f64_e32 v[10:11], v[184:185], v[10:11]
	s_delay_alu instid0(VALU_DEP_4) | instskip(NEXT) | instid1(VALU_DEP_4)
	v_fma_f64 v[202:203], v[174:175], v[4:5], -v[194:195]
	v_fmac_f64_e32 v[198:199], v[176:177], v[4:5]
	ds_load_b128 v[4:7], v2 offset:1248
	ds_load_b128 v[174:177], v2 offset:1264
	scratch_load_b128 v[194:197], off, off offset:384
	v_fmac_f64_e32 v[200:201], v[184:185], v[8:9]
	v_fma_f64 v[182:183], v[182:183], v[8:9], -v[10:11]
	scratch_load_b128 v[8:11], off, off offset:400
	s_wait_loadcnt_dscnt 0xc01
	v_mul_f64_e32 v[204:205], v[4:5], v[14:15]
	v_mul_f64_e32 v[14:15], v[6:7], v[14:15]
	v_add_f64_e32 v[184:185], 0, v[202:203]
	v_add_f64_e32 v[198:199], 0, v[198:199]
	s_wait_loadcnt_dscnt 0xb00
	v_mul_f64_e32 v[202:203], v[174:175], v[18:19]
	v_mul_f64_e32 v[18:19], v[176:177], v[18:19]
	v_fmac_f64_e32 v[204:205], v[6:7], v[12:13]
	v_fma_f64 v[206:207], v[4:5], v[12:13], -v[14:15]
	ds_load_b128 v[4:7], v2 offset:1280
	ds_load_b128 v[12:15], v2 offset:1296
	v_add_f64_e32 v[208:209], v[184:185], v[182:183]
	v_add_f64_e32 v[198:199], v[198:199], v[200:201]
	scratch_load_b128 v[182:185], off, off offset:416
	v_fmac_f64_e32 v[202:203], v[176:177], v[16:17]
	v_fma_f64 v[174:175], v[174:175], v[16:17], -v[18:19]
	scratch_load_b128 v[16:19], off, off offset:432
	s_wait_loadcnt_dscnt 0xc01
	v_mul_f64_e32 v[200:201], v[4:5], v[22:23]
	v_mul_f64_e32 v[22:23], v[6:7], v[22:23]
	v_add_f64_e32 v[176:177], v[208:209], v[206:207]
	v_add_f64_e32 v[198:199], v[198:199], v[204:205]
	s_wait_loadcnt_dscnt 0xb00
	v_mul_f64_e32 v[204:205], v[12:13], v[26:27]
	v_mul_f64_e32 v[26:27], v[14:15], v[26:27]
	v_fmac_f64_e32 v[200:201], v[6:7], v[20:21]
	v_fma_f64 v[206:207], v[4:5], v[20:21], -v[22:23]
	ds_load_b128 v[4:7], v2 offset:1312
	ds_load_b128 v[20:23], v2 offset:1328
	v_add_f64_e32 v[208:209], v[176:177], v[174:175]
	v_add_f64_e32 v[198:199], v[198:199], v[202:203]
	scratch_load_b128 v[174:177], off, off offset:448
	s_wait_loadcnt_dscnt 0xb01
	v_mul_f64_e32 v[202:203], v[4:5], v[30:31]
	v_mul_f64_e32 v[30:31], v[6:7], v[30:31]
	v_fmac_f64_e32 v[204:205], v[14:15], v[24:25]
	v_fma_f64 v[24:25], v[12:13], v[24:25], -v[26:27]
	scratch_load_b128 v[12:15], off, off offset:464
	v_add_f64_e32 v[26:27], v[208:209], v[206:207]
	v_add_f64_e32 v[198:199], v[198:199], v[200:201]
	s_wait_loadcnt_dscnt 0xb00
	v_mul_f64_e32 v[200:201], v[20:21], v[164:165]
	v_mul_f64_e32 v[164:165], v[22:23], v[164:165]
	v_fmac_f64_e32 v[202:203], v[6:7], v[28:29]
	v_fma_f64 v[206:207], v[4:5], v[28:29], -v[30:31]
	v_add_f64_e32 v[208:209], v[26:27], v[24:25]
	v_add_f64_e32 v[198:199], v[198:199], v[204:205]
	ds_load_b128 v[4:7], v2 offset:1344
	ds_load_b128 v[24:27], v2 offset:1360
	scratch_load_b128 v[28:31], off, off offset:480
	v_fmac_f64_e32 v[200:201], v[22:23], v[162:163]
	v_fma_f64 v[162:163], v[20:21], v[162:163], -v[164:165]
	scratch_load_b128 v[20:23], off, off offset:496
	s_wait_loadcnt_dscnt 0xc01
	v_mul_f64_e32 v[204:205], v[4:5], v[168:169]
	v_mul_f64_e32 v[168:169], v[6:7], v[168:169]
	v_add_f64_e32 v[164:165], v[208:209], v[206:207]
	v_add_f64_e32 v[198:199], v[198:199], v[202:203]
	s_wait_loadcnt_dscnt 0xb00
	v_mul_f64_e32 v[202:203], v[24:25], v[172:173]
	v_mul_f64_e32 v[172:173], v[26:27], v[172:173]
	v_fmac_f64_e32 v[204:205], v[6:7], v[166:167]
	v_fma_f64 v[206:207], v[4:5], v[166:167], -v[168:169]
	v_add_f64_e32 v[208:209], v[164:165], v[162:163]
	v_add_f64_e32 v[198:199], v[198:199], v[200:201]
	ds_load_b128 v[4:7], v2 offset:1376
	ds_load_b128 v[162:165], v2 offset:1392
	scratch_load_b128 v[166:169], off, off offset:512
	v_fmac_f64_e32 v[202:203], v[26:27], v[170:171]
	v_fma_f64 v[170:171], v[24:25], v[170:171], -v[172:173]
	scratch_load_b128 v[24:27], off, off offset:528
	s_wait_loadcnt_dscnt 0xc01
	v_mul_f64_e32 v[200:201], v[4:5], v[180:181]
	v_mul_f64_e32 v[180:181], v[6:7], v[180:181]
	;; [unrolled: 18-line block ×5, first 2 shown]
	v_add_f64_e32 v[192:193], v[208:209], v[206:207]
	v_add_f64_e32 v[198:199], v[198:199], v[204:205]
	s_wait_loadcnt_dscnt 0xa00
	v_mul_f64_e32 v[204:205], v[170:171], v[14:15]
	v_mul_f64_e32 v[14:15], v[172:173], v[14:15]
	v_fmac_f64_e32 v[200:201], v[6:7], v[174:175]
	v_fma_f64 v[206:207], v[4:5], v[174:175], -v[176:177]
	ds_load_b128 v[4:7], v2 offset:1504
	ds_load_b128 v[174:177], v2 offset:1520
	v_add_f64_e32 v[208:209], v[192:193], v[190:191]
	v_add_f64_e32 v[198:199], v[198:199], v[202:203]
	scratch_load_b128 v[190:193], off, off offset:640
	v_fmac_f64_e32 v[204:205], v[172:173], v[12:13]
	v_fma_f64 v[170:171], v[170:171], v[12:13], -v[14:15]
	scratch_load_b128 v[12:15], off, off offset:656
	s_wait_loadcnt_dscnt 0xb01
	v_mul_f64_e32 v[202:203], v[4:5], v[30:31]
	v_mul_f64_e32 v[30:31], v[6:7], v[30:31]
	v_add_f64_e32 v[172:173], v[208:209], v[206:207]
	v_add_f64_e32 v[198:199], v[198:199], v[200:201]
	s_wait_loadcnt_dscnt 0xa00
	v_mul_f64_e32 v[200:201], v[174:175], v[22:23]
	v_mul_f64_e32 v[22:23], v[176:177], v[22:23]
	v_fmac_f64_e32 v[202:203], v[6:7], v[28:29]
	v_fma_f64 v[206:207], v[4:5], v[28:29], -v[30:31]
	ds_load_b128 v[4:7], v2 offset:1536
	ds_load_b128 v[28:31], v2 offset:1552
	v_add_f64_e32 v[208:209], v[172:173], v[170:171]
	v_add_f64_e32 v[198:199], v[198:199], v[204:205]
	scratch_load_b128 v[170:173], off, off offset:672
	s_wait_loadcnt_dscnt 0xa01
	v_mul_f64_e32 v[204:205], v[4:5], v[168:169]
	v_mul_f64_e32 v[168:169], v[6:7], v[168:169]
	v_fmac_f64_e32 v[200:201], v[176:177], v[20:21]
	v_fma_f64 v[174:175], v[174:175], v[20:21], -v[22:23]
	scratch_load_b128 v[20:23], off, off offset:688
	v_add_f64_e32 v[176:177], v[208:209], v[206:207]
	v_add_f64_e32 v[198:199], v[198:199], v[202:203]
	s_wait_loadcnt_dscnt 0xa00
	v_mul_f64_e32 v[202:203], v[28:29], v[26:27]
	v_mul_f64_e32 v[26:27], v[30:31], v[26:27]
	v_fmac_f64_e32 v[204:205], v[6:7], v[166:167]
	v_fma_f64 v[206:207], v[4:5], v[166:167], -v[168:169]
	ds_load_b128 v[4:7], v2 offset:1568
	ds_load_b128 v[166:169], v2 offset:1584
	v_add_f64_e32 v[208:209], v[176:177], v[174:175]
	v_add_f64_e32 v[198:199], v[198:199], v[200:201]
	scratch_load_b128 v[174:177], off, off offset:704
	s_wait_loadcnt_dscnt 0xa01
	v_mul_f64_e32 v[200:201], v[4:5], v[180:181]
	v_mul_f64_e32 v[180:181], v[6:7], v[180:181]
	v_fmac_f64_e32 v[202:203], v[30:31], v[24:25]
	v_fma_f64 v[28:29], v[28:29], v[24:25], -v[26:27]
	scratch_load_b128 v[24:27], off, off offset:720
	v_add_f64_e32 v[30:31], v[208:209], v[206:207]
	v_add_f64_e32 v[198:199], v[198:199], v[204:205]
	s_wait_loadcnt_dscnt 0xa00
	v_mul_f64_e32 v[204:205], v[166:167], v[164:165]
	v_mul_f64_e32 v[164:165], v[168:169], v[164:165]
	v_fmac_f64_e32 v[200:201], v[6:7], v[178:179]
	v_fma_f64 v[206:207], v[4:5], v[178:179], -v[180:181]
	v_add_f64_e32 v[208:209], v[30:31], v[28:29]
	v_add_f64_e32 v[198:199], v[198:199], v[202:203]
	ds_load_b128 v[4:7], v2 offset:1600
	ds_load_b128 v[28:31], v2 offset:1616
	scratch_load_b128 v[178:181], off, off offset:736
	v_fmac_f64_e32 v[204:205], v[168:169], v[162:163]
	v_fma_f64 v[166:167], v[166:167], v[162:163], -v[164:165]
	scratch_load_b128 v[162:165], off, off offset:752
	s_wait_loadcnt_dscnt 0xb01
	v_mul_f64_e32 v[202:203], v[4:5], v[196:197]
	v_mul_f64_e32 v[196:197], v[6:7], v[196:197]
	v_add_f64_e32 v[168:169], v[208:209], v[206:207]
	v_add_f64_e32 v[198:199], v[198:199], v[200:201]
	s_wait_loadcnt_dscnt 0xa00
	v_mul_f64_e32 v[200:201], v[28:29], v[10:11]
	v_mul_f64_e32 v[10:11], v[30:31], v[10:11]
	v_fmac_f64_e32 v[202:203], v[6:7], v[194:195]
	v_fma_f64 v[206:207], v[4:5], v[194:195], -v[196:197]
	v_add_f64_e32 v[208:209], v[168:169], v[166:167]
	v_add_f64_e32 v[198:199], v[198:199], v[204:205]
	ds_load_b128 v[4:7], v2 offset:1632
	ds_load_b128 v[166:169], v2 offset:1648
	scratch_load_b128 v[194:197], off, off offset:768
	v_fmac_f64_e32 v[200:201], v[30:31], v[8:9]
	v_fma_f64 v[28:29], v[28:29], v[8:9], -v[10:11]
	scratch_load_b128 v[8:11], off, off offset:784
	s_wait_loadcnt_dscnt 0xb01
	v_mul_f64_e32 v[204:205], v[4:5], v[184:185]
	v_mul_f64_e32 v[184:185], v[6:7], v[184:185]
	v_add_f64_e32 v[30:31], v[208:209], v[206:207]
	v_add_f64_e32 v[198:199], v[198:199], v[202:203]
	s_wait_loadcnt_dscnt 0xa00
	v_mul_f64_e32 v[202:203], v[166:167], v[18:19]
	v_mul_f64_e32 v[18:19], v[168:169], v[18:19]
	v_fmac_f64_e32 v[204:205], v[6:7], v[182:183]
	v_fma_f64 v[206:207], v[4:5], v[182:183], -v[184:185]
	v_add_f64_e32 v[208:209], v[30:31], v[28:29]
	v_add_f64_e32 v[198:199], v[198:199], v[200:201]
	ds_load_b128 v[4:7], v2 offset:1664
	ds_load_b128 v[28:31], v2 offset:1680
	scratch_load_b128 v[182:185], off, off offset:800
	v_fmac_f64_e32 v[202:203], v[168:169], v[16:17]
	v_fma_f64 v[166:167], v[166:167], v[16:17], -v[18:19]
	scratch_load_b128 v[16:19], off, off offset:816
	s_wait_loadcnt_dscnt 0xb01
	v_mul_f64_e32 v[200:201], v[4:5], v[192:193]
	v_mul_f64_e32 v[192:193], v[6:7], v[192:193]
	v_add_f64_e32 v[168:169], v[208:209], v[206:207]
	v_add_f64_e32 v[198:199], v[198:199], v[204:205]
	s_wait_loadcnt_dscnt 0xa00
	v_mul_f64_e32 v[204:205], v[28:29], v[14:15]
	v_mul_f64_e32 v[14:15], v[30:31], v[14:15]
	v_fmac_f64_e32 v[200:201], v[6:7], v[190:191]
	v_fma_f64 v[206:207], v[4:5], v[190:191], -v[192:193]
	v_add_f64_e32 v[208:209], v[168:169], v[166:167]
	v_add_f64_e32 v[198:199], v[198:199], v[202:203]
	ds_load_b128 v[4:7], v2 offset:1696
	ds_load_b128 v[166:169], v2 offset:1712
	scratch_load_b128 v[190:193], off, off offset:832
	v_fmac_f64_e32 v[204:205], v[30:31], v[12:13]
	v_fma_f64 v[28:29], v[28:29], v[12:13], -v[14:15]
	scratch_load_b128 v[12:15], off, off offset:848
	s_wait_loadcnt_dscnt 0xb01
	v_mul_f64_e32 v[202:203], v[4:5], v[172:173]
	v_mul_f64_e32 v[172:173], v[6:7], v[172:173]
	v_add_f64_e32 v[30:31], v[208:209], v[206:207]
	v_add_f64_e32 v[198:199], v[198:199], v[200:201]
	s_wait_loadcnt_dscnt 0xa00
	v_mul_f64_e32 v[200:201], v[166:167], v[22:23]
	v_mul_f64_e32 v[22:23], v[168:169], v[22:23]
	v_fmac_f64_e32 v[202:203], v[6:7], v[170:171]
	v_fma_f64 v[206:207], v[4:5], v[170:171], -v[172:173]
	v_add_f64_e32 v[208:209], v[30:31], v[28:29]
	v_add_f64_e32 v[198:199], v[198:199], v[204:205]
	ds_load_b128 v[4:7], v2 offset:1728
	ds_load_b128 v[28:31], v2 offset:1744
	scratch_load_b128 v[170:173], off, off offset:864
	v_fmac_f64_e32 v[200:201], v[168:169], v[20:21]
	v_fma_f64 v[166:167], v[166:167], v[20:21], -v[22:23]
	scratch_load_b128 v[20:23], off, off offset:880
	s_wait_loadcnt_dscnt 0xb01
	v_mul_f64_e32 v[204:205], v[4:5], v[176:177]
	v_mul_f64_e32 v[176:177], v[6:7], v[176:177]
	v_add_f64_e32 v[168:169], v[208:209], v[206:207]
	v_add_f64_e32 v[198:199], v[198:199], v[202:203]
	s_wait_loadcnt_dscnt 0xa00
	v_mul_f64_e32 v[202:203], v[28:29], v[26:27]
	v_mul_f64_e32 v[26:27], v[30:31], v[26:27]
	v_fmac_f64_e32 v[204:205], v[6:7], v[174:175]
	v_fma_f64 v[206:207], v[4:5], v[174:175], -v[176:177]
	v_add_f64_e32 v[208:209], v[168:169], v[166:167]
	v_add_f64_e32 v[198:199], v[198:199], v[200:201]
	ds_load_b128 v[4:7], v2 offset:1760
	ds_load_b128 v[166:169], v2 offset:1776
	scratch_load_b128 v[174:177], off, off offset:896
	v_fmac_f64_e32 v[202:203], v[30:31], v[24:25]
	v_fma_f64 v[28:29], v[28:29], v[24:25], -v[26:27]
	scratch_load_b128 v[24:27], off, off offset:912
	s_wait_loadcnt_dscnt 0xb01
	v_mul_f64_e32 v[200:201], v[4:5], v[180:181]
	v_mul_f64_e32 v[180:181], v[6:7], v[180:181]
	v_add_f64_e32 v[30:31], v[208:209], v[206:207]
	v_add_f64_e32 v[198:199], v[198:199], v[204:205]
	s_wait_loadcnt_dscnt 0xa00
	v_mul_f64_e32 v[204:205], v[166:167], v[164:165]
	v_mul_f64_e32 v[164:165], v[168:169], v[164:165]
	v_fmac_f64_e32 v[200:201], v[6:7], v[178:179]
	v_fma_f64 v[206:207], v[4:5], v[178:179], -v[180:181]
	v_add_f64_e32 v[208:209], v[30:31], v[28:29]
	v_add_f64_e32 v[198:199], v[198:199], v[202:203]
	ds_load_b128 v[4:7], v2 offset:1792
	ds_load_b128 v[28:31], v2 offset:1808
	scratch_load_b128 v[178:181], off, off offset:928
	v_fmac_f64_e32 v[204:205], v[168:169], v[162:163]
	v_fma_f64 v[166:167], v[166:167], v[162:163], -v[164:165]
	scratch_load_b128 v[162:165], off, off offset:944
	s_wait_loadcnt_dscnt 0xb01
	v_mul_f64_e32 v[202:203], v[4:5], v[196:197]
	v_mul_f64_e32 v[196:197], v[6:7], v[196:197]
	v_add_f64_e32 v[168:169], v[208:209], v[206:207]
	v_add_f64_e32 v[198:199], v[198:199], v[200:201]
	s_wait_loadcnt_dscnt 0xa00
	v_mul_f64_e32 v[200:201], v[28:29], v[10:11]
	v_mul_f64_e32 v[10:11], v[30:31], v[10:11]
	v_fmac_f64_e32 v[202:203], v[6:7], v[194:195]
	v_fma_f64 v[206:207], v[4:5], v[194:195], -v[196:197]
	v_add_f64_e32 v[208:209], v[168:169], v[166:167]
	v_add_f64_e32 v[198:199], v[198:199], v[204:205]
	ds_load_b128 v[4:7], v2 offset:1824
	ds_load_b128 v[166:169], v2 offset:1840
	scratch_load_b128 v[194:197], off, off offset:960
	v_fmac_f64_e32 v[200:201], v[30:31], v[8:9]
	v_fma_f64 v[28:29], v[28:29], v[8:9], -v[10:11]
	scratch_load_b128 v[8:11], off, off offset:976
	s_wait_loadcnt_dscnt 0xb01
	v_mul_f64_e32 v[204:205], v[4:5], v[184:185]
	v_mul_f64_e32 v[184:185], v[6:7], v[184:185]
	v_add_f64_e32 v[30:31], v[208:209], v[206:207]
	v_add_f64_e32 v[198:199], v[198:199], v[202:203]
	s_wait_loadcnt_dscnt 0xa00
	v_mul_f64_e32 v[202:203], v[166:167], v[18:19]
	v_mul_f64_e32 v[18:19], v[168:169], v[18:19]
	v_fmac_f64_e32 v[204:205], v[6:7], v[182:183]
	v_fma_f64 v[206:207], v[4:5], v[182:183], -v[184:185]
	v_add_f64_e32 v[208:209], v[30:31], v[28:29]
	v_add_f64_e32 v[198:199], v[198:199], v[200:201]
	ds_load_b128 v[4:7], v2 offset:1856
	ds_load_b128 v[28:31], v2 offset:1872
	scratch_load_b128 v[182:185], off, off offset:992
	v_fmac_f64_e32 v[202:203], v[168:169], v[16:17]
	v_fma_f64 v[166:167], v[166:167], v[16:17], -v[18:19]
	scratch_load_b128 v[16:19], off, off offset:1008
	s_wait_loadcnt_dscnt 0xb01
	v_mul_f64_e32 v[200:201], v[4:5], v[192:193]
	v_mul_f64_e32 v[192:193], v[6:7], v[192:193]
	v_add_f64_e32 v[168:169], v[208:209], v[206:207]
	v_add_f64_e32 v[198:199], v[198:199], v[204:205]
	s_wait_loadcnt_dscnt 0xa00
	v_mul_f64_e32 v[204:205], v[28:29], v[14:15]
	v_mul_f64_e32 v[14:15], v[30:31], v[14:15]
	v_fmac_f64_e32 v[200:201], v[6:7], v[190:191]
	v_fma_f64 v[190:191], v[4:5], v[190:191], -v[192:193]
	v_add_f64_e32 v[192:193], v[168:169], v[166:167]
	v_add_f64_e32 v[198:199], v[198:199], v[202:203]
	ds_load_b128 v[4:7], v2 offset:1888
	ds_load_b128 v[166:169], v2 offset:1904
	v_fmac_f64_e32 v[204:205], v[30:31], v[12:13]
	v_fma_f64 v[12:13], v[28:29], v[12:13], -v[14:15]
	s_wait_loadcnt_dscnt 0x901
	v_mul_f64_e32 v[202:203], v[4:5], v[172:173]
	v_mul_f64_e32 v[172:173], v[6:7], v[172:173]
	s_wait_loadcnt_dscnt 0x800
	v_mul_f64_e32 v[30:31], v[166:167], v[22:23]
	v_mul_f64_e32 v[22:23], v[168:169], v[22:23]
	v_add_f64_e32 v[14:15], v[192:193], v[190:191]
	v_add_f64_e32 v[28:29], v[198:199], v[200:201]
	v_fmac_f64_e32 v[202:203], v[6:7], v[170:171]
	v_fma_f64 v[170:171], v[4:5], v[170:171], -v[172:173]
	v_fmac_f64_e32 v[30:31], v[168:169], v[20:21]
	v_fma_f64 v[20:21], v[166:167], v[20:21], -v[22:23]
	v_add_f64_e32 v[172:173], v[14:15], v[12:13]
	v_add_f64_e32 v[28:29], v[28:29], v[204:205]
	ds_load_b128 v[4:7], v2 offset:1920
	ds_load_b128 v[12:15], v2 offset:1936
	s_wait_loadcnt_dscnt 0x701
	v_mul_f64_e32 v[190:191], v[4:5], v[176:177]
	v_mul_f64_e32 v[176:177], v[6:7], v[176:177]
	s_wait_loadcnt_dscnt 0x600
	v_mul_f64_e32 v[166:167], v[12:13], v[26:27]
	v_mul_f64_e32 v[26:27], v[14:15], v[26:27]
	v_add_f64_e32 v[22:23], v[172:173], v[170:171]
	v_add_f64_e32 v[28:29], v[28:29], v[202:203]
	v_fmac_f64_e32 v[190:191], v[6:7], v[174:175]
	v_fma_f64 v[168:169], v[4:5], v[174:175], -v[176:177]
	v_fmac_f64_e32 v[166:167], v[14:15], v[24:25]
	v_fma_f64 v[12:13], v[12:13], v[24:25], -v[26:27]
	v_add_f64_e32 v[170:171], v[22:23], v[20:21]
	v_add_f64_e32 v[28:29], v[28:29], v[30:31]
	ds_load_b128 v[4:7], v2 offset:1952
	ds_load_b128 v[20:23], v2 offset:1968
	s_wait_loadcnt_dscnt 0x501
	v_mul_f64_e32 v[30:31], v[4:5], v[180:181]
	v_mul_f64_e32 v[172:173], v[6:7], v[180:181]
	s_wait_loadcnt_dscnt 0x400
	v_mul_f64_e32 v[26:27], v[20:21], v[164:165]
	v_add_f64_e32 v[14:15], v[170:171], v[168:169]
	v_add_f64_e32 v[24:25], v[28:29], v[190:191]
	v_mul_f64_e32 v[28:29], v[22:23], v[164:165]
	v_fmac_f64_e32 v[30:31], v[6:7], v[178:179]
	v_fma_f64 v[164:165], v[4:5], v[178:179], -v[172:173]
	v_fmac_f64_e32 v[26:27], v[22:23], v[162:163]
	v_add_f64_e32 v[168:169], v[14:15], v[12:13]
	v_add_f64_e32 v[24:25], v[24:25], v[166:167]
	ds_load_b128 v[4:7], v2 offset:1984
	ds_load_b128 v[12:15], v2 offset:2000
	v_fma_f64 v[20:21], v[20:21], v[162:163], -v[28:29]
	s_wait_loadcnt_dscnt 0x301
	v_mul_f64_e32 v[166:167], v[4:5], v[196:197]
	v_mul_f64_e32 v[170:171], v[6:7], v[196:197]
	s_wait_loadcnt_dscnt 0x200
	v_mul_f64_e32 v[28:29], v[12:13], v[10:11]
	v_mul_f64_e32 v[10:11], v[14:15], v[10:11]
	v_add_f64_e32 v[22:23], v[168:169], v[164:165]
	v_add_f64_e32 v[24:25], v[24:25], v[30:31]
	v_fmac_f64_e32 v[166:167], v[6:7], v[194:195]
	v_fma_f64 v[30:31], v[4:5], v[194:195], -v[170:171]
	v_fmac_f64_e32 v[28:29], v[14:15], v[8:9]
	v_fma_f64 v[8:9], v[12:13], v[8:9], -v[10:11]
	v_add_f64_e32 v[162:163], v[22:23], v[20:21]
	v_add_f64_e32 v[24:25], v[24:25], v[26:27]
	ds_load_b128 v[4:7], v2 offset:2016
	ds_load_b128 v[20:23], v2 offset:2032
	s_wait_loadcnt_dscnt 0x101
	v_mul_f64_e32 v[2:3], v[4:5], v[184:185]
	v_mul_f64_e32 v[26:27], v[6:7], v[184:185]
	s_wait_loadcnt_dscnt 0x0
	v_mul_f64_e32 v[14:15], v[20:21], v[18:19]
	v_mul_f64_e32 v[18:19], v[22:23], v[18:19]
	v_add_f64_e32 v[10:11], v[162:163], v[30:31]
	v_add_f64_e32 v[12:13], v[24:25], v[166:167]
	v_fmac_f64_e32 v[2:3], v[6:7], v[182:183]
	v_fma_f64 v[4:5], v[4:5], v[182:183], -v[26:27]
	v_fmac_f64_e32 v[14:15], v[22:23], v[16:17]
	v_add_f64_e32 v[6:7], v[10:11], v[8:9]
	v_add_f64_e32 v[8:9], v[12:13], v[28:29]
	v_fma_f64 v[10:11], v[20:21], v[16:17], -v[18:19]
	s_delay_alu instid0(VALU_DEP_3) | instskip(NEXT) | instid1(VALU_DEP_3)
	v_add_f64_e32 v[4:5], v[6:7], v[4:5]
	v_add_f64_e32 v[2:3], v[8:9], v[2:3]
	s_delay_alu instid0(VALU_DEP_2) | instskip(NEXT) | instid1(VALU_DEP_2)
	v_add_f64_e32 v[4:5], v[4:5], v[10:11]
	v_add_f64_e32 v[6:7], v[2:3], v[14:15]
	s_delay_alu instid0(VALU_DEP_2) | instskip(NEXT) | instid1(VALU_DEP_2)
	v_add_f64_e64 v[2:3], v[186:187], -v[4:5]
	v_add_f64_e64 v[4:5], v[188:189], -v[6:7]
	scratch_store_b128 off, v[2:5], off offset:176
	s_wait_xcnt 0x0
	v_cmpx_lt_u32_e32 10, v1
	s_cbranch_execz .LBB63_389
; %bb.388:
	scratch_load_b128 v[2:5], off, s72
	v_mov_b32_e32 v6, 0
	s_delay_alu instid0(VALU_DEP_1)
	v_dual_mov_b32 v7, v6 :: v_dual_mov_b32 v8, v6
	v_mov_b32_e32 v9, v6
	scratch_store_b128 off, v[6:9], off offset:160
	s_wait_loadcnt 0x0
	ds_store_b128 v160, v[2:5]
.LBB63_389:
	s_wait_xcnt 0x0
	s_or_b32 exec_lo, exec_lo, s2
	s_wait_storecnt_dscnt 0x0
	s_barrier_signal -1
	s_barrier_wait -1
	s_clause 0x9
	scratch_load_b128 v[4:7], off, off offset:176
	scratch_load_b128 v[8:11], off, off offset:192
	;; [unrolled: 1-line block ×10, first 2 shown]
	v_mov_b32_e32 v2, 0
	s_mov_b32 s2, exec_lo
	ds_load_b128 v[174:177], v2 offset:1200
	s_clause 0x2
	scratch_load_b128 v[178:181], off, off offset:336
	scratch_load_b128 v[182:185], off, off offset:160
	;; [unrolled: 1-line block ×3, first 2 shown]
	s_wait_loadcnt_dscnt 0xc00
	v_mul_f64_e32 v[194:195], v[176:177], v[6:7]
	v_mul_f64_e32 v[198:199], v[174:175], v[6:7]
	ds_load_b128 v[186:189], v2 offset:1216
	v_fma_f64 v[202:203], v[174:175], v[4:5], -v[194:195]
	v_fmac_f64_e32 v[198:199], v[176:177], v[4:5]
	ds_load_b128 v[4:7], v2 offset:1232
	s_wait_loadcnt_dscnt 0xb01
	v_mul_f64_e32 v[200:201], v[186:187], v[10:11]
	v_mul_f64_e32 v[10:11], v[188:189], v[10:11]
	scratch_load_b128 v[174:177], off, off offset:368
	ds_load_b128 v[194:197], v2 offset:1248
	s_wait_loadcnt_dscnt 0xb01
	v_mul_f64_e32 v[204:205], v[4:5], v[14:15]
	v_mul_f64_e32 v[14:15], v[6:7], v[14:15]
	v_add_f64_e32 v[198:199], 0, v[198:199]
	v_fmac_f64_e32 v[200:201], v[188:189], v[8:9]
	v_fma_f64 v[186:187], v[186:187], v[8:9], -v[10:11]
	v_add_f64_e32 v[188:189], 0, v[202:203]
	scratch_load_b128 v[8:11], off, off offset:384
	v_fmac_f64_e32 v[204:205], v[6:7], v[12:13]
	v_fma_f64 v[206:207], v[4:5], v[12:13], -v[14:15]
	ds_load_b128 v[4:7], v2 offset:1264
	s_wait_loadcnt_dscnt 0xb01
	v_mul_f64_e32 v[202:203], v[194:195], v[18:19]
	v_mul_f64_e32 v[18:19], v[196:197], v[18:19]
	scratch_load_b128 v[12:15], off, off offset:400
	v_add_f64_e32 v[198:199], v[198:199], v[200:201]
	v_add_f64_e32 v[208:209], v[188:189], v[186:187]
	ds_load_b128 v[186:189], v2 offset:1280
	s_wait_loadcnt_dscnt 0xb01
	v_mul_f64_e32 v[200:201], v[4:5], v[22:23]
	v_mul_f64_e32 v[22:23], v[6:7], v[22:23]
	v_fmac_f64_e32 v[202:203], v[196:197], v[16:17]
	v_fma_f64 v[194:195], v[194:195], v[16:17], -v[18:19]
	scratch_load_b128 v[16:19], off, off offset:416
	v_add_f64_e32 v[198:199], v[198:199], v[204:205]
	v_add_f64_e32 v[196:197], v[208:209], v[206:207]
	v_fmac_f64_e32 v[200:201], v[6:7], v[20:21]
	v_fma_f64 v[206:207], v[4:5], v[20:21], -v[22:23]
	ds_load_b128 v[4:7], v2 offset:1296
	s_wait_loadcnt_dscnt 0xb01
	v_mul_f64_e32 v[204:205], v[186:187], v[26:27]
	v_mul_f64_e32 v[26:27], v[188:189], v[26:27]
	scratch_load_b128 v[20:23], off, off offset:432
	v_add_f64_e32 v[198:199], v[198:199], v[202:203]
	s_wait_loadcnt_dscnt 0xb00
	v_mul_f64_e32 v[202:203], v[4:5], v[30:31]
	v_add_f64_e32 v[208:209], v[196:197], v[194:195]
	v_mul_f64_e32 v[30:31], v[6:7], v[30:31]
	ds_load_b128 v[194:197], v2 offset:1312
	v_fmac_f64_e32 v[204:205], v[188:189], v[24:25]
	v_fma_f64 v[186:187], v[186:187], v[24:25], -v[26:27]
	scratch_load_b128 v[24:27], off, off offset:448
	v_add_f64_e32 v[198:199], v[198:199], v[200:201]
	v_fmac_f64_e32 v[202:203], v[6:7], v[28:29]
	v_add_f64_e32 v[188:189], v[208:209], v[206:207]
	v_fma_f64 v[206:207], v[4:5], v[28:29], -v[30:31]
	ds_load_b128 v[4:7], v2 offset:1328
	s_wait_loadcnt_dscnt 0xb01
	v_mul_f64_e32 v[200:201], v[194:195], v[164:165]
	v_mul_f64_e32 v[164:165], v[196:197], v[164:165]
	scratch_load_b128 v[28:31], off, off offset:464
	v_add_f64_e32 v[198:199], v[198:199], v[204:205]
	s_wait_loadcnt_dscnt 0xb00
	v_mul_f64_e32 v[204:205], v[4:5], v[168:169]
	v_add_f64_e32 v[208:209], v[188:189], v[186:187]
	v_mul_f64_e32 v[168:169], v[6:7], v[168:169]
	ds_load_b128 v[186:189], v2 offset:1344
	v_fmac_f64_e32 v[200:201], v[196:197], v[162:163]
	v_fma_f64 v[194:195], v[194:195], v[162:163], -v[164:165]
	scratch_load_b128 v[162:165], off, off offset:480
	v_add_f64_e32 v[198:199], v[198:199], v[202:203]
	v_fmac_f64_e32 v[204:205], v[6:7], v[166:167]
	v_add_f64_e32 v[196:197], v[208:209], v[206:207]
	;; [unrolled: 18-line block ×3, first 2 shown]
	v_fma_f64 v[206:207], v[4:5], v[178:179], -v[180:181]
	ds_load_b128 v[4:7], v2 offset:1392
	s_wait_loadcnt_dscnt 0xa01
	v_mul_f64_e32 v[204:205], v[194:195], v[192:193]
	v_mul_f64_e32 v[192:193], v[196:197], v[192:193]
	scratch_load_b128 v[178:181], off, off offset:528
	v_add_f64_e32 v[198:199], v[198:199], v[202:203]
	v_add_f64_e32 v[208:209], v[188:189], v[186:187]
	s_wait_loadcnt_dscnt 0xa00
	v_mul_f64_e32 v[202:203], v[4:5], v[176:177]
	v_mul_f64_e32 v[176:177], v[6:7], v[176:177]
	v_fmac_f64_e32 v[204:205], v[196:197], v[190:191]
	v_fma_f64 v[194:195], v[194:195], v[190:191], -v[192:193]
	ds_load_b128 v[186:189], v2 offset:1408
	scratch_load_b128 v[190:193], off, off offset:544
	v_add_f64_e32 v[198:199], v[198:199], v[200:201]
	v_add_f64_e32 v[196:197], v[208:209], v[206:207]
	v_fmac_f64_e32 v[202:203], v[6:7], v[174:175]
	v_fma_f64 v[206:207], v[4:5], v[174:175], -v[176:177]
	ds_load_b128 v[4:7], v2 offset:1424
	s_wait_loadcnt_dscnt 0xa01
	v_mul_f64_e32 v[200:201], v[186:187], v[10:11]
	v_mul_f64_e32 v[10:11], v[188:189], v[10:11]
	scratch_load_b128 v[174:177], off, off offset:560
	v_add_f64_e32 v[198:199], v[198:199], v[204:205]
	s_wait_loadcnt_dscnt 0xa00
	v_mul_f64_e32 v[204:205], v[4:5], v[14:15]
	v_add_f64_e32 v[208:209], v[196:197], v[194:195]
	v_mul_f64_e32 v[14:15], v[6:7], v[14:15]
	ds_load_b128 v[194:197], v2 offset:1440
	v_fmac_f64_e32 v[200:201], v[188:189], v[8:9]
	v_fma_f64 v[186:187], v[186:187], v[8:9], -v[10:11]
	scratch_load_b128 v[8:11], off, off offset:576
	v_add_f64_e32 v[198:199], v[198:199], v[202:203]
	v_fmac_f64_e32 v[204:205], v[6:7], v[12:13]
	v_add_f64_e32 v[188:189], v[208:209], v[206:207]
	v_fma_f64 v[206:207], v[4:5], v[12:13], -v[14:15]
	ds_load_b128 v[4:7], v2 offset:1456
	s_wait_loadcnt_dscnt 0xa01
	v_mul_f64_e32 v[202:203], v[194:195], v[18:19]
	v_mul_f64_e32 v[18:19], v[196:197], v[18:19]
	scratch_load_b128 v[12:15], off, off offset:592
	v_add_f64_e32 v[198:199], v[198:199], v[200:201]
	s_wait_loadcnt_dscnt 0xa00
	v_mul_f64_e32 v[200:201], v[4:5], v[22:23]
	v_add_f64_e32 v[208:209], v[188:189], v[186:187]
	v_mul_f64_e32 v[22:23], v[6:7], v[22:23]
	ds_load_b128 v[186:189], v2 offset:1472
	v_fmac_f64_e32 v[202:203], v[196:197], v[16:17]
	v_fma_f64 v[194:195], v[194:195], v[16:17], -v[18:19]
	scratch_load_b128 v[16:19], off, off offset:608
	v_add_f64_e32 v[198:199], v[198:199], v[204:205]
	v_fmac_f64_e32 v[200:201], v[6:7], v[20:21]
	v_add_f64_e32 v[196:197], v[208:209], v[206:207]
	;; [unrolled: 18-line block ×14, first 2 shown]
	v_fma_f64 v[206:207], v[4:5], v[20:21], -v[22:23]
	ds_load_b128 v[4:7], v2 offset:1872
	s_wait_loadcnt_dscnt 0xa01
	v_mul_f64_e32 v[204:205], v[186:187], v[26:27]
	v_mul_f64_e32 v[26:27], v[188:189], v[26:27]
	scratch_load_b128 v[20:23], off, off offset:1008
	v_add_f64_e32 v[198:199], v[198:199], v[202:203]
	s_wait_loadcnt_dscnt 0xa00
	v_mul_f64_e32 v[202:203], v[4:5], v[30:31]
	v_add_f64_e32 v[208:209], v[196:197], v[194:195]
	v_mul_f64_e32 v[30:31], v[6:7], v[30:31]
	ds_load_b128 v[194:197], v2 offset:1888
	v_fmac_f64_e32 v[204:205], v[188:189], v[24:25]
	v_fma_f64 v[24:25], v[186:187], v[24:25], -v[26:27]
	s_wait_loadcnt_dscnt 0x900
	v_mul_f64_e32 v[188:189], v[194:195], v[164:165]
	v_mul_f64_e32 v[164:165], v[196:197], v[164:165]
	v_add_f64_e32 v[186:187], v[198:199], v[200:201]
	v_fmac_f64_e32 v[202:203], v[6:7], v[28:29]
	v_add_f64_e32 v[26:27], v[208:209], v[206:207]
	v_fma_f64 v[28:29], v[4:5], v[28:29], -v[30:31]
	v_fmac_f64_e32 v[188:189], v[196:197], v[162:163]
	v_fma_f64 v[162:163], v[194:195], v[162:163], -v[164:165]
	v_add_f64_e32 v[186:187], v[186:187], v[204:205]
	v_add_f64_e32 v[30:31], v[26:27], v[24:25]
	ds_load_b128 v[4:7], v2 offset:1904
	ds_load_b128 v[24:27], v2 offset:1920
	s_wait_loadcnt_dscnt 0x801
	v_mul_f64_e32 v[198:199], v[4:5], v[168:169]
	v_mul_f64_e32 v[168:169], v[6:7], v[168:169]
	s_wait_loadcnt_dscnt 0x700
	v_mul_f64_e32 v[164:165], v[24:25], v[172:173]
	v_mul_f64_e32 v[172:173], v[26:27], v[172:173]
	v_add_f64_e32 v[28:29], v[30:31], v[28:29]
	v_add_f64_e32 v[30:31], v[186:187], v[202:203]
	v_fmac_f64_e32 v[198:199], v[6:7], v[166:167]
	v_fma_f64 v[166:167], v[4:5], v[166:167], -v[168:169]
	v_fmac_f64_e32 v[164:165], v[26:27], v[170:171]
	v_fma_f64 v[24:25], v[24:25], v[170:171], -v[172:173]
	v_add_f64_e32 v[162:163], v[28:29], v[162:163]
	v_add_f64_e32 v[168:169], v[30:31], v[188:189]
	ds_load_b128 v[4:7], v2 offset:1936
	ds_load_b128 v[28:31], v2 offset:1952
	s_wait_loadcnt_dscnt 0x601
	v_mul_f64_e32 v[186:187], v[4:5], v[180:181]
	v_mul_f64_e32 v[180:181], v[6:7], v[180:181]
	v_add_f64_e32 v[26:27], v[162:163], v[166:167]
	v_add_f64_e32 v[162:163], v[168:169], v[198:199]
	s_wait_loadcnt_dscnt 0x500
	v_mul_f64_e32 v[166:167], v[28:29], v[192:193]
	v_mul_f64_e32 v[168:169], v[30:31], v[192:193]
	v_fmac_f64_e32 v[186:187], v[6:7], v[178:179]
	v_fma_f64 v[170:171], v[4:5], v[178:179], -v[180:181]
	v_add_f64_e32 v[172:173], v[26:27], v[24:25]
	v_add_f64_e32 v[162:163], v[162:163], v[164:165]
	ds_load_b128 v[4:7], v2 offset:1968
	ds_load_b128 v[24:27], v2 offset:1984
	v_fmac_f64_e32 v[166:167], v[30:31], v[190:191]
	v_fma_f64 v[28:29], v[28:29], v[190:191], -v[168:169]
	s_wait_loadcnt_dscnt 0x401
	v_mul_f64_e32 v[164:165], v[4:5], v[176:177]
	v_mul_f64_e32 v[176:177], v[6:7], v[176:177]
	s_wait_loadcnt_dscnt 0x300
	v_mul_f64_e32 v[168:169], v[24:25], v[10:11]
	v_mul_f64_e32 v[10:11], v[26:27], v[10:11]
	v_add_f64_e32 v[30:31], v[172:173], v[170:171]
	v_add_f64_e32 v[162:163], v[162:163], v[186:187]
	v_fmac_f64_e32 v[164:165], v[6:7], v[174:175]
	v_fma_f64 v[170:171], v[4:5], v[174:175], -v[176:177]
	v_fmac_f64_e32 v[168:169], v[26:27], v[8:9]
	v_fma_f64 v[8:9], v[24:25], v[8:9], -v[10:11]
	v_add_f64_e32 v[172:173], v[30:31], v[28:29]
	v_add_f64_e32 v[162:163], v[162:163], v[166:167]
	ds_load_b128 v[4:7], v2 offset:2000
	ds_load_b128 v[28:31], v2 offset:2016
	s_wait_loadcnt_dscnt 0x201
	v_mul_f64_e32 v[166:167], v[4:5], v[14:15]
	v_mul_f64_e32 v[14:15], v[6:7], v[14:15]
	s_wait_loadcnt_dscnt 0x100
	v_mul_f64_e32 v[26:27], v[28:29], v[18:19]
	v_mul_f64_e32 v[18:19], v[30:31], v[18:19]
	v_add_f64_e32 v[10:11], v[172:173], v[170:171]
	v_add_f64_e32 v[24:25], v[162:163], v[164:165]
	v_fmac_f64_e32 v[166:167], v[6:7], v[12:13]
	v_fma_f64 v[12:13], v[4:5], v[12:13], -v[14:15]
	ds_load_b128 v[4:7], v2 offset:2032
	v_fmac_f64_e32 v[26:27], v[30:31], v[16:17]
	v_fma_f64 v[16:17], v[28:29], v[16:17], -v[18:19]
	v_add_f64_e32 v[8:9], v[10:11], v[8:9]
	v_add_f64_e32 v[10:11], v[24:25], v[168:169]
	s_wait_loadcnt_dscnt 0x0
	v_mul_f64_e32 v[14:15], v[4:5], v[22:23]
	v_mul_f64_e32 v[22:23], v[6:7], v[22:23]
	s_delay_alu instid0(VALU_DEP_4) | instskip(NEXT) | instid1(VALU_DEP_4)
	v_add_f64_e32 v[8:9], v[8:9], v[12:13]
	v_add_f64_e32 v[10:11], v[10:11], v[166:167]
	s_delay_alu instid0(VALU_DEP_4) | instskip(NEXT) | instid1(VALU_DEP_4)
	v_fmac_f64_e32 v[14:15], v[6:7], v[20:21]
	v_fma_f64 v[4:5], v[4:5], v[20:21], -v[22:23]
	s_delay_alu instid0(VALU_DEP_4) | instskip(NEXT) | instid1(VALU_DEP_4)
	v_add_f64_e32 v[6:7], v[8:9], v[16:17]
	v_add_f64_e32 v[8:9], v[10:11], v[26:27]
	s_delay_alu instid0(VALU_DEP_2) | instskip(NEXT) | instid1(VALU_DEP_2)
	v_add_f64_e32 v[4:5], v[6:7], v[4:5]
	v_add_f64_e32 v[6:7], v[8:9], v[14:15]
	s_delay_alu instid0(VALU_DEP_2) | instskip(NEXT) | instid1(VALU_DEP_2)
	v_add_f64_e64 v[4:5], v[182:183], -v[4:5]
	v_add_f64_e64 v[6:7], v[184:185], -v[6:7]
	scratch_store_b128 off, v[4:7], off offset:160
	s_wait_xcnt 0x0
	v_cmpx_lt_u32_e32 9, v1
	s_cbranch_execz .LBB63_391
; %bb.390:
	scratch_load_b128 v[6:9], off, s73
	v_dual_mov_b32 v3, v2 :: v_dual_mov_b32 v4, v2
	v_mov_b32_e32 v5, v2
	scratch_store_b128 off, v[2:5], off offset:144
	s_wait_loadcnt 0x0
	ds_store_b128 v160, v[6:9]
.LBB63_391:
	s_wait_xcnt 0x0
	s_or_b32 exec_lo, exec_lo, s2
	s_wait_storecnt_dscnt 0x0
	s_barrier_signal -1
	s_barrier_wait -1
	s_clause 0x9
	scratch_load_b128 v[4:7], off, off offset:160
	scratch_load_b128 v[8:11], off, off offset:176
	;; [unrolled: 1-line block ×10, first 2 shown]
	ds_load_b128 v[174:177], v2 offset:1184
	ds_load_b128 v[182:185], v2 offset:1200
	s_clause 0x2
	scratch_load_b128 v[178:181], off, off offset:320
	scratch_load_b128 v[186:189], off, off offset:144
	;; [unrolled: 1-line block ×3, first 2 shown]
	s_mov_b32 s2, exec_lo
	s_wait_loadcnt_dscnt 0xc01
	v_mul_f64_e32 v[194:195], v[176:177], v[6:7]
	v_mul_f64_e32 v[198:199], v[174:175], v[6:7]
	s_wait_loadcnt_dscnt 0xb00
	v_mul_f64_e32 v[200:201], v[182:183], v[10:11]
	v_mul_f64_e32 v[10:11], v[184:185], v[10:11]
	s_delay_alu instid0(VALU_DEP_4) | instskip(NEXT) | instid1(VALU_DEP_4)
	v_fma_f64 v[202:203], v[174:175], v[4:5], -v[194:195]
	v_fmac_f64_e32 v[198:199], v[176:177], v[4:5]
	ds_load_b128 v[4:7], v2 offset:1216
	ds_load_b128 v[174:177], v2 offset:1232
	scratch_load_b128 v[194:197], off, off offset:352
	v_fmac_f64_e32 v[200:201], v[184:185], v[8:9]
	v_fma_f64 v[182:183], v[182:183], v[8:9], -v[10:11]
	scratch_load_b128 v[8:11], off, off offset:368
	s_wait_loadcnt_dscnt 0xc01
	v_mul_f64_e32 v[204:205], v[4:5], v[14:15]
	v_mul_f64_e32 v[14:15], v[6:7], v[14:15]
	v_add_f64_e32 v[184:185], 0, v[202:203]
	v_add_f64_e32 v[198:199], 0, v[198:199]
	s_wait_loadcnt_dscnt 0xb00
	v_mul_f64_e32 v[202:203], v[174:175], v[18:19]
	v_mul_f64_e32 v[18:19], v[176:177], v[18:19]
	v_fmac_f64_e32 v[204:205], v[6:7], v[12:13]
	v_fma_f64 v[206:207], v[4:5], v[12:13], -v[14:15]
	ds_load_b128 v[4:7], v2 offset:1248
	ds_load_b128 v[12:15], v2 offset:1264
	v_add_f64_e32 v[208:209], v[184:185], v[182:183]
	v_add_f64_e32 v[198:199], v[198:199], v[200:201]
	scratch_load_b128 v[182:185], off, off offset:384
	v_fmac_f64_e32 v[202:203], v[176:177], v[16:17]
	v_fma_f64 v[174:175], v[174:175], v[16:17], -v[18:19]
	scratch_load_b128 v[16:19], off, off offset:400
	s_wait_loadcnt_dscnt 0xc01
	v_mul_f64_e32 v[200:201], v[4:5], v[22:23]
	v_mul_f64_e32 v[22:23], v[6:7], v[22:23]
	v_add_f64_e32 v[176:177], v[208:209], v[206:207]
	v_add_f64_e32 v[198:199], v[198:199], v[204:205]
	s_wait_loadcnt_dscnt 0xb00
	v_mul_f64_e32 v[204:205], v[12:13], v[26:27]
	v_mul_f64_e32 v[26:27], v[14:15], v[26:27]
	v_fmac_f64_e32 v[200:201], v[6:7], v[20:21]
	v_fma_f64 v[206:207], v[4:5], v[20:21], -v[22:23]
	ds_load_b128 v[4:7], v2 offset:1280
	ds_load_b128 v[20:23], v2 offset:1296
	v_add_f64_e32 v[208:209], v[176:177], v[174:175]
	v_add_f64_e32 v[198:199], v[198:199], v[202:203]
	scratch_load_b128 v[174:177], off, off offset:416
	s_wait_loadcnt_dscnt 0xb01
	v_mul_f64_e32 v[202:203], v[4:5], v[30:31]
	v_mul_f64_e32 v[30:31], v[6:7], v[30:31]
	v_fmac_f64_e32 v[204:205], v[14:15], v[24:25]
	v_fma_f64 v[24:25], v[12:13], v[24:25], -v[26:27]
	scratch_load_b128 v[12:15], off, off offset:432
	v_add_f64_e32 v[26:27], v[208:209], v[206:207]
	v_add_f64_e32 v[198:199], v[198:199], v[200:201]
	s_wait_loadcnt_dscnt 0xb00
	v_mul_f64_e32 v[200:201], v[20:21], v[164:165]
	v_mul_f64_e32 v[164:165], v[22:23], v[164:165]
	v_fmac_f64_e32 v[202:203], v[6:7], v[28:29]
	v_fma_f64 v[206:207], v[4:5], v[28:29], -v[30:31]
	v_add_f64_e32 v[208:209], v[26:27], v[24:25]
	v_add_f64_e32 v[198:199], v[198:199], v[204:205]
	ds_load_b128 v[4:7], v2 offset:1312
	ds_load_b128 v[24:27], v2 offset:1328
	scratch_load_b128 v[28:31], off, off offset:448
	v_fmac_f64_e32 v[200:201], v[22:23], v[162:163]
	v_fma_f64 v[162:163], v[20:21], v[162:163], -v[164:165]
	scratch_load_b128 v[20:23], off, off offset:464
	s_wait_loadcnt_dscnt 0xc01
	v_mul_f64_e32 v[204:205], v[4:5], v[168:169]
	v_mul_f64_e32 v[168:169], v[6:7], v[168:169]
	v_add_f64_e32 v[164:165], v[208:209], v[206:207]
	v_add_f64_e32 v[198:199], v[198:199], v[202:203]
	s_wait_loadcnt_dscnt 0xb00
	v_mul_f64_e32 v[202:203], v[24:25], v[172:173]
	v_mul_f64_e32 v[172:173], v[26:27], v[172:173]
	v_fmac_f64_e32 v[204:205], v[6:7], v[166:167]
	v_fma_f64 v[206:207], v[4:5], v[166:167], -v[168:169]
	v_add_f64_e32 v[208:209], v[164:165], v[162:163]
	v_add_f64_e32 v[198:199], v[198:199], v[200:201]
	ds_load_b128 v[4:7], v2 offset:1344
	ds_load_b128 v[162:165], v2 offset:1360
	scratch_load_b128 v[166:169], off, off offset:480
	v_fmac_f64_e32 v[202:203], v[26:27], v[170:171]
	v_fma_f64 v[170:171], v[24:25], v[170:171], -v[172:173]
	scratch_load_b128 v[24:27], off, off offset:496
	s_wait_loadcnt_dscnt 0xc01
	v_mul_f64_e32 v[200:201], v[4:5], v[180:181]
	v_mul_f64_e32 v[180:181], v[6:7], v[180:181]
	;; [unrolled: 18-line block ×5, first 2 shown]
	v_add_f64_e32 v[192:193], v[208:209], v[206:207]
	v_add_f64_e32 v[198:199], v[198:199], v[204:205]
	s_wait_loadcnt_dscnt 0xa00
	v_mul_f64_e32 v[204:205], v[170:171], v[14:15]
	v_mul_f64_e32 v[14:15], v[172:173], v[14:15]
	v_fmac_f64_e32 v[200:201], v[6:7], v[174:175]
	v_fma_f64 v[206:207], v[4:5], v[174:175], -v[176:177]
	ds_load_b128 v[4:7], v2 offset:1472
	ds_load_b128 v[174:177], v2 offset:1488
	v_add_f64_e32 v[208:209], v[192:193], v[190:191]
	v_add_f64_e32 v[198:199], v[198:199], v[202:203]
	scratch_load_b128 v[190:193], off, off offset:608
	v_fmac_f64_e32 v[204:205], v[172:173], v[12:13]
	v_fma_f64 v[170:171], v[170:171], v[12:13], -v[14:15]
	scratch_load_b128 v[12:15], off, off offset:624
	s_wait_loadcnt_dscnt 0xb01
	v_mul_f64_e32 v[202:203], v[4:5], v[30:31]
	v_mul_f64_e32 v[30:31], v[6:7], v[30:31]
	v_add_f64_e32 v[172:173], v[208:209], v[206:207]
	v_add_f64_e32 v[198:199], v[198:199], v[200:201]
	s_wait_loadcnt_dscnt 0xa00
	v_mul_f64_e32 v[200:201], v[174:175], v[22:23]
	v_mul_f64_e32 v[22:23], v[176:177], v[22:23]
	v_fmac_f64_e32 v[202:203], v[6:7], v[28:29]
	v_fma_f64 v[206:207], v[4:5], v[28:29], -v[30:31]
	ds_load_b128 v[4:7], v2 offset:1504
	ds_load_b128 v[28:31], v2 offset:1520
	v_add_f64_e32 v[208:209], v[172:173], v[170:171]
	v_add_f64_e32 v[198:199], v[198:199], v[204:205]
	scratch_load_b128 v[170:173], off, off offset:640
	s_wait_loadcnt_dscnt 0xa01
	v_mul_f64_e32 v[204:205], v[4:5], v[168:169]
	v_mul_f64_e32 v[168:169], v[6:7], v[168:169]
	v_fmac_f64_e32 v[200:201], v[176:177], v[20:21]
	v_fma_f64 v[174:175], v[174:175], v[20:21], -v[22:23]
	scratch_load_b128 v[20:23], off, off offset:656
	v_add_f64_e32 v[176:177], v[208:209], v[206:207]
	v_add_f64_e32 v[198:199], v[198:199], v[202:203]
	s_wait_loadcnt_dscnt 0xa00
	v_mul_f64_e32 v[202:203], v[28:29], v[26:27]
	v_mul_f64_e32 v[26:27], v[30:31], v[26:27]
	v_fmac_f64_e32 v[204:205], v[6:7], v[166:167]
	v_fma_f64 v[206:207], v[4:5], v[166:167], -v[168:169]
	ds_load_b128 v[4:7], v2 offset:1536
	ds_load_b128 v[166:169], v2 offset:1552
	v_add_f64_e32 v[208:209], v[176:177], v[174:175]
	v_add_f64_e32 v[198:199], v[198:199], v[200:201]
	scratch_load_b128 v[174:177], off, off offset:672
	s_wait_loadcnt_dscnt 0xa01
	v_mul_f64_e32 v[200:201], v[4:5], v[180:181]
	v_mul_f64_e32 v[180:181], v[6:7], v[180:181]
	v_fmac_f64_e32 v[202:203], v[30:31], v[24:25]
	v_fma_f64 v[28:29], v[28:29], v[24:25], -v[26:27]
	scratch_load_b128 v[24:27], off, off offset:688
	v_add_f64_e32 v[30:31], v[208:209], v[206:207]
	v_add_f64_e32 v[198:199], v[198:199], v[204:205]
	s_wait_loadcnt_dscnt 0xa00
	v_mul_f64_e32 v[204:205], v[166:167], v[164:165]
	v_mul_f64_e32 v[164:165], v[168:169], v[164:165]
	v_fmac_f64_e32 v[200:201], v[6:7], v[178:179]
	v_fma_f64 v[206:207], v[4:5], v[178:179], -v[180:181]
	v_add_f64_e32 v[208:209], v[30:31], v[28:29]
	v_add_f64_e32 v[198:199], v[198:199], v[202:203]
	ds_load_b128 v[4:7], v2 offset:1568
	ds_load_b128 v[28:31], v2 offset:1584
	scratch_load_b128 v[178:181], off, off offset:704
	v_fmac_f64_e32 v[204:205], v[168:169], v[162:163]
	v_fma_f64 v[166:167], v[166:167], v[162:163], -v[164:165]
	scratch_load_b128 v[162:165], off, off offset:720
	s_wait_loadcnt_dscnt 0xb01
	v_mul_f64_e32 v[202:203], v[4:5], v[196:197]
	v_mul_f64_e32 v[196:197], v[6:7], v[196:197]
	v_add_f64_e32 v[168:169], v[208:209], v[206:207]
	v_add_f64_e32 v[198:199], v[198:199], v[200:201]
	s_wait_loadcnt_dscnt 0xa00
	v_mul_f64_e32 v[200:201], v[28:29], v[10:11]
	v_mul_f64_e32 v[10:11], v[30:31], v[10:11]
	v_fmac_f64_e32 v[202:203], v[6:7], v[194:195]
	v_fma_f64 v[206:207], v[4:5], v[194:195], -v[196:197]
	v_add_f64_e32 v[208:209], v[168:169], v[166:167]
	v_add_f64_e32 v[198:199], v[198:199], v[204:205]
	ds_load_b128 v[4:7], v2 offset:1600
	ds_load_b128 v[166:169], v2 offset:1616
	scratch_load_b128 v[194:197], off, off offset:736
	v_fmac_f64_e32 v[200:201], v[30:31], v[8:9]
	v_fma_f64 v[28:29], v[28:29], v[8:9], -v[10:11]
	scratch_load_b128 v[8:11], off, off offset:752
	s_wait_loadcnt_dscnt 0xb01
	v_mul_f64_e32 v[204:205], v[4:5], v[184:185]
	v_mul_f64_e32 v[184:185], v[6:7], v[184:185]
	;; [unrolled: 18-line block ×10, first 2 shown]
	v_add_f64_e32 v[30:31], v[208:209], v[206:207]
	v_add_f64_e32 v[198:199], v[198:199], v[200:201]
	s_wait_loadcnt_dscnt 0xa00
	v_mul_f64_e32 v[200:201], v[166:167], v[22:23]
	v_mul_f64_e32 v[22:23], v[168:169], v[22:23]
	v_fmac_f64_e32 v[202:203], v[6:7], v[170:171]
	v_fma_f64 v[170:171], v[4:5], v[170:171], -v[172:173]
	v_add_f64_e32 v[172:173], v[30:31], v[28:29]
	v_add_f64_e32 v[198:199], v[198:199], v[204:205]
	ds_load_b128 v[4:7], v2 offset:1888
	ds_load_b128 v[28:31], v2 offset:1904
	v_fmac_f64_e32 v[200:201], v[168:169], v[20:21]
	v_fma_f64 v[20:21], v[166:167], v[20:21], -v[22:23]
	s_wait_loadcnt_dscnt 0x901
	v_mul_f64_e32 v[204:205], v[4:5], v[176:177]
	v_mul_f64_e32 v[176:177], v[6:7], v[176:177]
	s_wait_loadcnt_dscnt 0x800
	v_mul_f64_e32 v[168:169], v[28:29], v[26:27]
	v_mul_f64_e32 v[26:27], v[30:31], v[26:27]
	v_add_f64_e32 v[22:23], v[172:173], v[170:171]
	v_add_f64_e32 v[166:167], v[198:199], v[202:203]
	v_fmac_f64_e32 v[204:205], v[6:7], v[174:175]
	v_fma_f64 v[170:171], v[4:5], v[174:175], -v[176:177]
	v_fmac_f64_e32 v[168:169], v[30:31], v[24:25]
	v_fma_f64 v[24:25], v[28:29], v[24:25], -v[26:27]
	v_add_f64_e32 v[172:173], v[22:23], v[20:21]
	v_add_f64_e32 v[166:167], v[166:167], v[200:201]
	ds_load_b128 v[4:7], v2 offset:1920
	ds_load_b128 v[20:23], v2 offset:1936
	s_wait_loadcnt_dscnt 0x701
	v_mul_f64_e32 v[174:175], v[4:5], v[180:181]
	v_mul_f64_e32 v[176:177], v[6:7], v[180:181]
	s_wait_loadcnt_dscnt 0x600
	v_mul_f64_e32 v[30:31], v[20:21], v[164:165]
	v_mul_f64_e32 v[164:165], v[22:23], v[164:165]
	v_add_f64_e32 v[26:27], v[172:173], v[170:171]
	v_add_f64_e32 v[28:29], v[166:167], v[204:205]
	v_fmac_f64_e32 v[174:175], v[6:7], v[178:179]
	v_fma_f64 v[166:167], v[4:5], v[178:179], -v[176:177]
	v_fmac_f64_e32 v[30:31], v[22:23], v[162:163]
	v_fma_f64 v[20:21], v[20:21], v[162:163], -v[164:165]
	v_add_f64_e32 v[170:171], v[26:27], v[24:25]
	v_add_f64_e32 v[28:29], v[28:29], v[168:169]
	ds_load_b128 v[4:7], v2 offset:1952
	ds_load_b128 v[24:27], v2 offset:1968
	;; [unrolled: 16-line block ×4, first 2 shown]
	s_wait_loadcnt_dscnt 0x101
	v_mul_f64_e32 v[2:3], v[4:5], v[192:193]
	v_mul_f64_e32 v[162:163], v[6:7], v[192:193]
	s_wait_loadcnt_dscnt 0x0
	v_mul_f64_e32 v[22:23], v[8:9], v[14:15]
	v_mul_f64_e32 v[14:15], v[10:11], v[14:15]
	v_add_f64_e32 v[18:19], v[164:165], v[28:29]
	v_add_f64_e32 v[20:21], v[24:25], v[30:31]
	v_fmac_f64_e32 v[2:3], v[6:7], v[190:191]
	v_fma_f64 v[4:5], v[4:5], v[190:191], -v[162:163]
	v_fmac_f64_e32 v[22:23], v[10:11], v[12:13]
	v_fma_f64 v[8:9], v[8:9], v[12:13], -v[14:15]
	v_add_f64_e32 v[6:7], v[18:19], v[16:17]
	v_add_f64_e32 v[16:17], v[20:21], v[26:27]
	s_delay_alu instid0(VALU_DEP_2) | instskip(NEXT) | instid1(VALU_DEP_2)
	v_add_f64_e32 v[4:5], v[6:7], v[4:5]
	v_add_f64_e32 v[2:3], v[16:17], v[2:3]
	s_delay_alu instid0(VALU_DEP_2) | instskip(NEXT) | instid1(VALU_DEP_2)
	;; [unrolled: 3-line block ×3, first 2 shown]
	v_add_f64_e64 v[2:3], v[186:187], -v[4:5]
	v_add_f64_e64 v[4:5], v[188:189], -v[6:7]
	scratch_store_b128 off, v[2:5], off offset:144
	s_wait_xcnt 0x0
	v_cmpx_lt_u32_e32 8, v1
	s_cbranch_execz .LBB63_393
; %bb.392:
	scratch_load_b128 v[2:5], off, s74
	v_mov_b32_e32 v6, 0
	s_delay_alu instid0(VALU_DEP_1)
	v_dual_mov_b32 v7, v6 :: v_dual_mov_b32 v8, v6
	v_mov_b32_e32 v9, v6
	scratch_store_b128 off, v[6:9], off offset:128
	s_wait_loadcnt 0x0
	ds_store_b128 v160, v[2:5]
.LBB63_393:
	s_wait_xcnt 0x0
	s_or_b32 exec_lo, exec_lo, s2
	s_wait_storecnt_dscnt 0x0
	s_barrier_signal -1
	s_barrier_wait -1
	s_clause 0x9
	scratch_load_b128 v[4:7], off, off offset:144
	scratch_load_b128 v[8:11], off, off offset:160
	;; [unrolled: 1-line block ×10, first 2 shown]
	v_mov_b32_e32 v2, 0
	s_mov_b32 s2, exec_lo
	ds_load_b128 v[174:177], v2 offset:1168
	s_clause 0x2
	scratch_load_b128 v[178:181], off, off offset:304
	scratch_load_b128 v[182:185], off, off offset:128
	;; [unrolled: 1-line block ×3, first 2 shown]
	s_wait_loadcnt_dscnt 0xc00
	v_mul_f64_e32 v[194:195], v[176:177], v[6:7]
	v_mul_f64_e32 v[198:199], v[174:175], v[6:7]
	ds_load_b128 v[186:189], v2 offset:1184
	v_fma_f64 v[202:203], v[174:175], v[4:5], -v[194:195]
	v_fmac_f64_e32 v[198:199], v[176:177], v[4:5]
	ds_load_b128 v[4:7], v2 offset:1200
	s_wait_loadcnt_dscnt 0xb01
	v_mul_f64_e32 v[200:201], v[186:187], v[10:11]
	v_mul_f64_e32 v[10:11], v[188:189], v[10:11]
	scratch_load_b128 v[174:177], off, off offset:336
	ds_load_b128 v[194:197], v2 offset:1216
	s_wait_loadcnt_dscnt 0xb01
	v_mul_f64_e32 v[204:205], v[4:5], v[14:15]
	v_mul_f64_e32 v[14:15], v[6:7], v[14:15]
	v_add_f64_e32 v[198:199], 0, v[198:199]
	v_fmac_f64_e32 v[200:201], v[188:189], v[8:9]
	v_fma_f64 v[186:187], v[186:187], v[8:9], -v[10:11]
	v_add_f64_e32 v[188:189], 0, v[202:203]
	scratch_load_b128 v[8:11], off, off offset:352
	v_fmac_f64_e32 v[204:205], v[6:7], v[12:13]
	v_fma_f64 v[206:207], v[4:5], v[12:13], -v[14:15]
	ds_load_b128 v[4:7], v2 offset:1232
	s_wait_loadcnt_dscnt 0xb01
	v_mul_f64_e32 v[202:203], v[194:195], v[18:19]
	v_mul_f64_e32 v[18:19], v[196:197], v[18:19]
	scratch_load_b128 v[12:15], off, off offset:368
	v_add_f64_e32 v[198:199], v[198:199], v[200:201]
	v_add_f64_e32 v[208:209], v[188:189], v[186:187]
	ds_load_b128 v[186:189], v2 offset:1248
	s_wait_loadcnt_dscnt 0xb01
	v_mul_f64_e32 v[200:201], v[4:5], v[22:23]
	v_mul_f64_e32 v[22:23], v[6:7], v[22:23]
	v_fmac_f64_e32 v[202:203], v[196:197], v[16:17]
	v_fma_f64 v[194:195], v[194:195], v[16:17], -v[18:19]
	scratch_load_b128 v[16:19], off, off offset:384
	v_add_f64_e32 v[198:199], v[198:199], v[204:205]
	v_add_f64_e32 v[196:197], v[208:209], v[206:207]
	v_fmac_f64_e32 v[200:201], v[6:7], v[20:21]
	v_fma_f64 v[206:207], v[4:5], v[20:21], -v[22:23]
	ds_load_b128 v[4:7], v2 offset:1264
	s_wait_loadcnt_dscnt 0xb01
	v_mul_f64_e32 v[204:205], v[186:187], v[26:27]
	v_mul_f64_e32 v[26:27], v[188:189], v[26:27]
	scratch_load_b128 v[20:23], off, off offset:400
	v_add_f64_e32 v[198:199], v[198:199], v[202:203]
	s_wait_loadcnt_dscnt 0xb00
	v_mul_f64_e32 v[202:203], v[4:5], v[30:31]
	v_add_f64_e32 v[208:209], v[196:197], v[194:195]
	v_mul_f64_e32 v[30:31], v[6:7], v[30:31]
	ds_load_b128 v[194:197], v2 offset:1280
	v_fmac_f64_e32 v[204:205], v[188:189], v[24:25]
	v_fma_f64 v[186:187], v[186:187], v[24:25], -v[26:27]
	scratch_load_b128 v[24:27], off, off offset:416
	v_add_f64_e32 v[198:199], v[198:199], v[200:201]
	v_fmac_f64_e32 v[202:203], v[6:7], v[28:29]
	v_add_f64_e32 v[188:189], v[208:209], v[206:207]
	v_fma_f64 v[206:207], v[4:5], v[28:29], -v[30:31]
	ds_load_b128 v[4:7], v2 offset:1296
	s_wait_loadcnt_dscnt 0xb01
	v_mul_f64_e32 v[200:201], v[194:195], v[164:165]
	v_mul_f64_e32 v[164:165], v[196:197], v[164:165]
	scratch_load_b128 v[28:31], off, off offset:432
	v_add_f64_e32 v[198:199], v[198:199], v[204:205]
	s_wait_loadcnt_dscnt 0xb00
	v_mul_f64_e32 v[204:205], v[4:5], v[168:169]
	v_add_f64_e32 v[208:209], v[188:189], v[186:187]
	v_mul_f64_e32 v[168:169], v[6:7], v[168:169]
	ds_load_b128 v[186:189], v2 offset:1312
	v_fmac_f64_e32 v[200:201], v[196:197], v[162:163]
	v_fma_f64 v[194:195], v[194:195], v[162:163], -v[164:165]
	scratch_load_b128 v[162:165], off, off offset:448
	v_add_f64_e32 v[198:199], v[198:199], v[202:203]
	v_fmac_f64_e32 v[204:205], v[6:7], v[166:167]
	v_add_f64_e32 v[196:197], v[208:209], v[206:207]
	;; [unrolled: 18-line block ×3, first 2 shown]
	v_fma_f64 v[206:207], v[4:5], v[178:179], -v[180:181]
	ds_load_b128 v[4:7], v2 offset:1360
	s_wait_loadcnt_dscnt 0xa01
	v_mul_f64_e32 v[204:205], v[194:195], v[192:193]
	v_mul_f64_e32 v[192:193], v[196:197], v[192:193]
	scratch_load_b128 v[178:181], off, off offset:496
	v_add_f64_e32 v[198:199], v[198:199], v[202:203]
	v_add_f64_e32 v[208:209], v[188:189], v[186:187]
	s_wait_loadcnt_dscnt 0xa00
	v_mul_f64_e32 v[202:203], v[4:5], v[176:177]
	v_mul_f64_e32 v[176:177], v[6:7], v[176:177]
	v_fmac_f64_e32 v[204:205], v[196:197], v[190:191]
	v_fma_f64 v[194:195], v[194:195], v[190:191], -v[192:193]
	ds_load_b128 v[186:189], v2 offset:1376
	scratch_load_b128 v[190:193], off, off offset:512
	v_add_f64_e32 v[198:199], v[198:199], v[200:201]
	v_add_f64_e32 v[196:197], v[208:209], v[206:207]
	v_fmac_f64_e32 v[202:203], v[6:7], v[174:175]
	v_fma_f64 v[206:207], v[4:5], v[174:175], -v[176:177]
	ds_load_b128 v[4:7], v2 offset:1392
	s_wait_loadcnt_dscnt 0xa01
	v_mul_f64_e32 v[200:201], v[186:187], v[10:11]
	v_mul_f64_e32 v[10:11], v[188:189], v[10:11]
	scratch_load_b128 v[174:177], off, off offset:528
	v_add_f64_e32 v[198:199], v[198:199], v[204:205]
	s_wait_loadcnt_dscnt 0xa00
	v_mul_f64_e32 v[204:205], v[4:5], v[14:15]
	v_add_f64_e32 v[208:209], v[196:197], v[194:195]
	v_mul_f64_e32 v[14:15], v[6:7], v[14:15]
	ds_load_b128 v[194:197], v2 offset:1408
	v_fmac_f64_e32 v[200:201], v[188:189], v[8:9]
	v_fma_f64 v[186:187], v[186:187], v[8:9], -v[10:11]
	scratch_load_b128 v[8:11], off, off offset:544
	v_add_f64_e32 v[198:199], v[198:199], v[202:203]
	v_fmac_f64_e32 v[204:205], v[6:7], v[12:13]
	v_add_f64_e32 v[188:189], v[208:209], v[206:207]
	v_fma_f64 v[206:207], v[4:5], v[12:13], -v[14:15]
	ds_load_b128 v[4:7], v2 offset:1424
	s_wait_loadcnt_dscnt 0xa01
	v_mul_f64_e32 v[202:203], v[194:195], v[18:19]
	v_mul_f64_e32 v[18:19], v[196:197], v[18:19]
	scratch_load_b128 v[12:15], off, off offset:560
	v_add_f64_e32 v[198:199], v[198:199], v[200:201]
	s_wait_loadcnt_dscnt 0xa00
	v_mul_f64_e32 v[200:201], v[4:5], v[22:23]
	v_add_f64_e32 v[208:209], v[188:189], v[186:187]
	v_mul_f64_e32 v[22:23], v[6:7], v[22:23]
	ds_load_b128 v[186:189], v2 offset:1440
	v_fmac_f64_e32 v[202:203], v[196:197], v[16:17]
	v_fma_f64 v[194:195], v[194:195], v[16:17], -v[18:19]
	scratch_load_b128 v[16:19], off, off offset:576
	v_add_f64_e32 v[198:199], v[198:199], v[204:205]
	v_fmac_f64_e32 v[200:201], v[6:7], v[20:21]
	v_add_f64_e32 v[196:197], v[208:209], v[206:207]
	;; [unrolled: 18-line block ×15, first 2 shown]
	v_fma_f64 v[206:207], v[4:5], v[28:29], -v[30:31]
	ds_load_b128 v[4:7], v2 offset:1872
	s_wait_loadcnt_dscnt 0xa01
	v_mul_f64_e32 v[200:201], v[194:195], v[164:165]
	v_mul_f64_e32 v[164:165], v[196:197], v[164:165]
	scratch_load_b128 v[28:31], off, off offset:1008
	v_add_f64_e32 v[198:199], v[198:199], v[204:205]
	s_wait_loadcnt_dscnt 0xa00
	v_mul_f64_e32 v[204:205], v[4:5], v[168:169]
	v_add_f64_e32 v[208:209], v[188:189], v[186:187]
	v_mul_f64_e32 v[168:169], v[6:7], v[168:169]
	ds_load_b128 v[186:189], v2 offset:1888
	v_fmac_f64_e32 v[200:201], v[196:197], v[162:163]
	v_fma_f64 v[162:163], v[194:195], v[162:163], -v[164:165]
	s_wait_loadcnt_dscnt 0x900
	v_mul_f64_e32 v[196:197], v[186:187], v[172:173]
	v_mul_f64_e32 v[172:173], v[188:189], v[172:173]
	v_add_f64_e32 v[194:195], v[198:199], v[202:203]
	v_fmac_f64_e32 v[204:205], v[6:7], v[166:167]
	v_add_f64_e32 v[164:165], v[208:209], v[206:207]
	v_fma_f64 v[166:167], v[4:5], v[166:167], -v[168:169]
	v_fmac_f64_e32 v[196:197], v[188:189], v[170:171]
	v_fma_f64 v[170:171], v[186:187], v[170:171], -v[172:173]
	v_add_f64_e32 v[194:195], v[194:195], v[200:201]
	v_add_f64_e32 v[168:169], v[164:165], v[162:163]
	ds_load_b128 v[4:7], v2 offset:1904
	ds_load_b128 v[162:165], v2 offset:1920
	s_wait_loadcnt_dscnt 0x801
	v_mul_f64_e32 v[198:199], v[4:5], v[180:181]
	v_mul_f64_e32 v[180:181], v[6:7], v[180:181]
	s_wait_loadcnt_dscnt 0x700
	v_mul_f64_e32 v[172:173], v[162:163], v[192:193]
	v_mul_f64_e32 v[186:187], v[164:165], v[192:193]
	v_add_f64_e32 v[166:167], v[168:169], v[166:167]
	v_add_f64_e32 v[168:169], v[194:195], v[204:205]
	v_fmac_f64_e32 v[198:199], v[6:7], v[178:179]
	v_fma_f64 v[178:179], v[4:5], v[178:179], -v[180:181]
	v_fmac_f64_e32 v[172:173], v[164:165], v[190:191]
	v_fma_f64 v[162:163], v[162:163], v[190:191], -v[186:187]
	v_add_f64_e32 v[170:171], v[166:167], v[170:171]
	v_add_f64_e32 v[180:181], v[168:169], v[196:197]
	ds_load_b128 v[4:7], v2 offset:1936
	ds_load_b128 v[166:169], v2 offset:1952
	s_wait_loadcnt_dscnt 0x601
	v_mul_f64_e32 v[188:189], v[4:5], v[176:177]
	v_mul_f64_e32 v[176:177], v[6:7], v[176:177]
	v_add_f64_e32 v[164:165], v[170:171], v[178:179]
	v_add_f64_e32 v[170:171], v[180:181], v[198:199]
	s_wait_loadcnt_dscnt 0x500
	v_mul_f64_e32 v[178:179], v[166:167], v[10:11]
	v_mul_f64_e32 v[10:11], v[168:169], v[10:11]
	v_fmac_f64_e32 v[188:189], v[6:7], v[174:175]
	v_fma_f64 v[174:175], v[4:5], v[174:175], -v[176:177]
	v_add_f64_e32 v[176:177], v[164:165], v[162:163]
	v_add_f64_e32 v[170:171], v[170:171], v[172:173]
	ds_load_b128 v[4:7], v2 offset:1968
	ds_load_b128 v[162:165], v2 offset:1984
	v_fmac_f64_e32 v[178:179], v[168:169], v[8:9]
	v_fma_f64 v[8:9], v[166:167], v[8:9], -v[10:11]
	s_wait_loadcnt_dscnt 0x401
	v_mul_f64_e32 v[172:173], v[4:5], v[14:15]
	v_mul_f64_e32 v[14:15], v[6:7], v[14:15]
	s_wait_loadcnt_dscnt 0x300
	v_mul_f64_e32 v[168:169], v[162:163], v[18:19]
	v_mul_f64_e32 v[18:19], v[164:165], v[18:19]
	v_add_f64_e32 v[10:11], v[176:177], v[174:175]
	v_add_f64_e32 v[166:167], v[170:171], v[188:189]
	v_fmac_f64_e32 v[172:173], v[6:7], v[12:13]
	v_fma_f64 v[12:13], v[4:5], v[12:13], -v[14:15]
	v_fmac_f64_e32 v[168:169], v[164:165], v[16:17]
	v_fma_f64 v[16:17], v[162:163], v[16:17], -v[18:19]
	v_add_f64_e32 v[14:15], v[10:11], v[8:9]
	v_add_f64_e32 v[166:167], v[166:167], v[178:179]
	ds_load_b128 v[4:7], v2 offset:2000
	ds_load_b128 v[8:11], v2 offset:2016
	s_wait_loadcnt_dscnt 0x201
	v_mul_f64_e32 v[170:171], v[4:5], v[22:23]
	v_mul_f64_e32 v[22:23], v[6:7], v[22:23]
	s_wait_loadcnt_dscnt 0x100
	v_mul_f64_e32 v[18:19], v[8:9], v[26:27]
	v_mul_f64_e32 v[26:27], v[10:11], v[26:27]
	v_add_f64_e32 v[12:13], v[14:15], v[12:13]
	v_add_f64_e32 v[14:15], v[166:167], v[172:173]
	v_fmac_f64_e32 v[170:171], v[6:7], v[20:21]
	v_fma_f64 v[20:21], v[4:5], v[20:21], -v[22:23]
	ds_load_b128 v[4:7], v2 offset:2032
	v_fmac_f64_e32 v[18:19], v[10:11], v[24:25]
	v_fma_f64 v[8:9], v[8:9], v[24:25], -v[26:27]
	v_add_f64_e32 v[12:13], v[12:13], v[16:17]
	v_add_f64_e32 v[14:15], v[14:15], v[168:169]
	s_wait_loadcnt_dscnt 0x0
	v_mul_f64_e32 v[16:17], v[4:5], v[30:31]
	v_mul_f64_e32 v[22:23], v[6:7], v[30:31]
	s_delay_alu instid0(VALU_DEP_4) | instskip(NEXT) | instid1(VALU_DEP_4)
	v_add_f64_e32 v[10:11], v[12:13], v[20:21]
	v_add_f64_e32 v[12:13], v[14:15], v[170:171]
	s_delay_alu instid0(VALU_DEP_4) | instskip(NEXT) | instid1(VALU_DEP_4)
	v_fmac_f64_e32 v[16:17], v[6:7], v[28:29]
	v_fma_f64 v[4:5], v[4:5], v[28:29], -v[22:23]
	s_delay_alu instid0(VALU_DEP_4) | instskip(NEXT) | instid1(VALU_DEP_4)
	v_add_f64_e32 v[6:7], v[10:11], v[8:9]
	v_add_f64_e32 v[8:9], v[12:13], v[18:19]
	s_delay_alu instid0(VALU_DEP_2) | instskip(NEXT) | instid1(VALU_DEP_2)
	v_add_f64_e32 v[4:5], v[6:7], v[4:5]
	v_add_f64_e32 v[6:7], v[8:9], v[16:17]
	s_delay_alu instid0(VALU_DEP_2) | instskip(NEXT) | instid1(VALU_DEP_2)
	v_add_f64_e64 v[4:5], v[182:183], -v[4:5]
	v_add_f64_e64 v[6:7], v[184:185], -v[6:7]
	scratch_store_b128 off, v[4:7], off offset:128
	s_wait_xcnt 0x0
	v_cmpx_lt_u32_e32 7, v1
	s_cbranch_execz .LBB63_395
; %bb.394:
	scratch_load_b128 v[6:9], off, s75
	v_dual_mov_b32 v3, v2 :: v_dual_mov_b32 v4, v2
	v_mov_b32_e32 v5, v2
	scratch_store_b128 off, v[2:5], off offset:112
	s_wait_loadcnt 0x0
	ds_store_b128 v160, v[6:9]
.LBB63_395:
	s_wait_xcnt 0x0
	s_or_b32 exec_lo, exec_lo, s2
	s_wait_storecnt_dscnt 0x0
	s_barrier_signal -1
	s_barrier_wait -1
	s_clause 0x9
	scratch_load_b128 v[4:7], off, off offset:128
	scratch_load_b128 v[8:11], off, off offset:144
	;; [unrolled: 1-line block ×10, first 2 shown]
	ds_load_b128 v[174:177], v2 offset:1152
	ds_load_b128 v[182:185], v2 offset:1168
	s_clause 0x2
	scratch_load_b128 v[178:181], off, off offset:288
	scratch_load_b128 v[186:189], off, off offset:112
	;; [unrolled: 1-line block ×3, first 2 shown]
	s_mov_b32 s2, exec_lo
	s_wait_loadcnt_dscnt 0xc01
	v_mul_f64_e32 v[194:195], v[176:177], v[6:7]
	v_mul_f64_e32 v[198:199], v[174:175], v[6:7]
	s_wait_loadcnt_dscnt 0xb00
	v_mul_f64_e32 v[200:201], v[182:183], v[10:11]
	v_mul_f64_e32 v[10:11], v[184:185], v[10:11]
	s_delay_alu instid0(VALU_DEP_4) | instskip(NEXT) | instid1(VALU_DEP_4)
	v_fma_f64 v[202:203], v[174:175], v[4:5], -v[194:195]
	v_fmac_f64_e32 v[198:199], v[176:177], v[4:5]
	ds_load_b128 v[4:7], v2 offset:1184
	ds_load_b128 v[174:177], v2 offset:1200
	scratch_load_b128 v[194:197], off, off offset:320
	v_fmac_f64_e32 v[200:201], v[184:185], v[8:9]
	v_fma_f64 v[182:183], v[182:183], v[8:9], -v[10:11]
	scratch_load_b128 v[8:11], off, off offset:336
	s_wait_loadcnt_dscnt 0xc01
	v_mul_f64_e32 v[204:205], v[4:5], v[14:15]
	v_mul_f64_e32 v[14:15], v[6:7], v[14:15]
	v_add_f64_e32 v[184:185], 0, v[202:203]
	v_add_f64_e32 v[198:199], 0, v[198:199]
	s_wait_loadcnt_dscnt 0xb00
	v_mul_f64_e32 v[202:203], v[174:175], v[18:19]
	v_mul_f64_e32 v[18:19], v[176:177], v[18:19]
	v_fmac_f64_e32 v[204:205], v[6:7], v[12:13]
	v_fma_f64 v[206:207], v[4:5], v[12:13], -v[14:15]
	ds_load_b128 v[4:7], v2 offset:1216
	ds_load_b128 v[12:15], v2 offset:1232
	v_add_f64_e32 v[208:209], v[184:185], v[182:183]
	v_add_f64_e32 v[198:199], v[198:199], v[200:201]
	scratch_load_b128 v[182:185], off, off offset:352
	v_fmac_f64_e32 v[202:203], v[176:177], v[16:17]
	v_fma_f64 v[174:175], v[174:175], v[16:17], -v[18:19]
	scratch_load_b128 v[16:19], off, off offset:368
	s_wait_loadcnt_dscnt 0xc01
	v_mul_f64_e32 v[200:201], v[4:5], v[22:23]
	v_mul_f64_e32 v[22:23], v[6:7], v[22:23]
	v_add_f64_e32 v[176:177], v[208:209], v[206:207]
	v_add_f64_e32 v[198:199], v[198:199], v[204:205]
	s_wait_loadcnt_dscnt 0xb00
	v_mul_f64_e32 v[204:205], v[12:13], v[26:27]
	v_mul_f64_e32 v[26:27], v[14:15], v[26:27]
	v_fmac_f64_e32 v[200:201], v[6:7], v[20:21]
	v_fma_f64 v[206:207], v[4:5], v[20:21], -v[22:23]
	ds_load_b128 v[4:7], v2 offset:1248
	ds_load_b128 v[20:23], v2 offset:1264
	v_add_f64_e32 v[208:209], v[176:177], v[174:175]
	v_add_f64_e32 v[198:199], v[198:199], v[202:203]
	scratch_load_b128 v[174:177], off, off offset:384
	s_wait_loadcnt_dscnt 0xb01
	v_mul_f64_e32 v[202:203], v[4:5], v[30:31]
	v_mul_f64_e32 v[30:31], v[6:7], v[30:31]
	v_fmac_f64_e32 v[204:205], v[14:15], v[24:25]
	v_fma_f64 v[24:25], v[12:13], v[24:25], -v[26:27]
	scratch_load_b128 v[12:15], off, off offset:400
	v_add_f64_e32 v[26:27], v[208:209], v[206:207]
	v_add_f64_e32 v[198:199], v[198:199], v[200:201]
	s_wait_loadcnt_dscnt 0xb00
	v_mul_f64_e32 v[200:201], v[20:21], v[164:165]
	v_mul_f64_e32 v[164:165], v[22:23], v[164:165]
	v_fmac_f64_e32 v[202:203], v[6:7], v[28:29]
	v_fma_f64 v[206:207], v[4:5], v[28:29], -v[30:31]
	v_add_f64_e32 v[208:209], v[26:27], v[24:25]
	v_add_f64_e32 v[198:199], v[198:199], v[204:205]
	ds_load_b128 v[4:7], v2 offset:1280
	ds_load_b128 v[24:27], v2 offset:1296
	scratch_load_b128 v[28:31], off, off offset:416
	v_fmac_f64_e32 v[200:201], v[22:23], v[162:163]
	v_fma_f64 v[162:163], v[20:21], v[162:163], -v[164:165]
	scratch_load_b128 v[20:23], off, off offset:432
	s_wait_loadcnt_dscnt 0xc01
	v_mul_f64_e32 v[204:205], v[4:5], v[168:169]
	v_mul_f64_e32 v[168:169], v[6:7], v[168:169]
	v_add_f64_e32 v[164:165], v[208:209], v[206:207]
	v_add_f64_e32 v[198:199], v[198:199], v[202:203]
	s_wait_loadcnt_dscnt 0xb00
	v_mul_f64_e32 v[202:203], v[24:25], v[172:173]
	v_mul_f64_e32 v[172:173], v[26:27], v[172:173]
	v_fmac_f64_e32 v[204:205], v[6:7], v[166:167]
	v_fma_f64 v[206:207], v[4:5], v[166:167], -v[168:169]
	v_add_f64_e32 v[208:209], v[164:165], v[162:163]
	v_add_f64_e32 v[198:199], v[198:199], v[200:201]
	ds_load_b128 v[4:7], v2 offset:1312
	ds_load_b128 v[162:165], v2 offset:1328
	scratch_load_b128 v[166:169], off, off offset:448
	v_fmac_f64_e32 v[202:203], v[26:27], v[170:171]
	v_fma_f64 v[170:171], v[24:25], v[170:171], -v[172:173]
	scratch_load_b128 v[24:27], off, off offset:464
	s_wait_loadcnt_dscnt 0xc01
	v_mul_f64_e32 v[200:201], v[4:5], v[180:181]
	v_mul_f64_e32 v[180:181], v[6:7], v[180:181]
	;; [unrolled: 18-line block ×5, first 2 shown]
	v_add_f64_e32 v[192:193], v[208:209], v[206:207]
	v_add_f64_e32 v[198:199], v[198:199], v[204:205]
	s_wait_loadcnt_dscnt 0xa00
	v_mul_f64_e32 v[204:205], v[170:171], v[14:15]
	v_mul_f64_e32 v[14:15], v[172:173], v[14:15]
	v_fmac_f64_e32 v[200:201], v[6:7], v[174:175]
	v_fma_f64 v[206:207], v[4:5], v[174:175], -v[176:177]
	ds_load_b128 v[4:7], v2 offset:1440
	ds_load_b128 v[174:177], v2 offset:1456
	v_add_f64_e32 v[208:209], v[192:193], v[190:191]
	v_add_f64_e32 v[198:199], v[198:199], v[202:203]
	scratch_load_b128 v[190:193], off, off offset:576
	v_fmac_f64_e32 v[204:205], v[172:173], v[12:13]
	v_fma_f64 v[170:171], v[170:171], v[12:13], -v[14:15]
	scratch_load_b128 v[12:15], off, off offset:592
	s_wait_loadcnt_dscnt 0xb01
	v_mul_f64_e32 v[202:203], v[4:5], v[30:31]
	v_mul_f64_e32 v[30:31], v[6:7], v[30:31]
	v_add_f64_e32 v[172:173], v[208:209], v[206:207]
	v_add_f64_e32 v[198:199], v[198:199], v[200:201]
	s_wait_loadcnt_dscnt 0xa00
	v_mul_f64_e32 v[200:201], v[174:175], v[22:23]
	v_mul_f64_e32 v[22:23], v[176:177], v[22:23]
	v_fmac_f64_e32 v[202:203], v[6:7], v[28:29]
	v_fma_f64 v[206:207], v[4:5], v[28:29], -v[30:31]
	ds_load_b128 v[4:7], v2 offset:1472
	ds_load_b128 v[28:31], v2 offset:1488
	v_add_f64_e32 v[208:209], v[172:173], v[170:171]
	v_add_f64_e32 v[198:199], v[198:199], v[204:205]
	scratch_load_b128 v[170:173], off, off offset:608
	s_wait_loadcnt_dscnt 0xa01
	v_mul_f64_e32 v[204:205], v[4:5], v[168:169]
	v_mul_f64_e32 v[168:169], v[6:7], v[168:169]
	v_fmac_f64_e32 v[200:201], v[176:177], v[20:21]
	v_fma_f64 v[174:175], v[174:175], v[20:21], -v[22:23]
	scratch_load_b128 v[20:23], off, off offset:624
	v_add_f64_e32 v[176:177], v[208:209], v[206:207]
	v_add_f64_e32 v[198:199], v[198:199], v[202:203]
	s_wait_loadcnt_dscnt 0xa00
	v_mul_f64_e32 v[202:203], v[28:29], v[26:27]
	v_mul_f64_e32 v[26:27], v[30:31], v[26:27]
	v_fmac_f64_e32 v[204:205], v[6:7], v[166:167]
	v_fma_f64 v[206:207], v[4:5], v[166:167], -v[168:169]
	ds_load_b128 v[4:7], v2 offset:1504
	ds_load_b128 v[166:169], v2 offset:1520
	v_add_f64_e32 v[208:209], v[176:177], v[174:175]
	v_add_f64_e32 v[198:199], v[198:199], v[200:201]
	scratch_load_b128 v[174:177], off, off offset:640
	s_wait_loadcnt_dscnt 0xa01
	v_mul_f64_e32 v[200:201], v[4:5], v[180:181]
	v_mul_f64_e32 v[180:181], v[6:7], v[180:181]
	v_fmac_f64_e32 v[202:203], v[30:31], v[24:25]
	v_fma_f64 v[28:29], v[28:29], v[24:25], -v[26:27]
	scratch_load_b128 v[24:27], off, off offset:656
	v_add_f64_e32 v[30:31], v[208:209], v[206:207]
	v_add_f64_e32 v[198:199], v[198:199], v[204:205]
	s_wait_loadcnt_dscnt 0xa00
	v_mul_f64_e32 v[204:205], v[166:167], v[164:165]
	v_mul_f64_e32 v[164:165], v[168:169], v[164:165]
	v_fmac_f64_e32 v[200:201], v[6:7], v[178:179]
	v_fma_f64 v[206:207], v[4:5], v[178:179], -v[180:181]
	v_add_f64_e32 v[208:209], v[30:31], v[28:29]
	v_add_f64_e32 v[198:199], v[198:199], v[202:203]
	ds_load_b128 v[4:7], v2 offset:1536
	ds_load_b128 v[28:31], v2 offset:1552
	scratch_load_b128 v[178:181], off, off offset:672
	v_fmac_f64_e32 v[204:205], v[168:169], v[162:163]
	v_fma_f64 v[166:167], v[166:167], v[162:163], -v[164:165]
	scratch_load_b128 v[162:165], off, off offset:688
	s_wait_loadcnt_dscnt 0xb01
	v_mul_f64_e32 v[202:203], v[4:5], v[196:197]
	v_mul_f64_e32 v[196:197], v[6:7], v[196:197]
	v_add_f64_e32 v[168:169], v[208:209], v[206:207]
	v_add_f64_e32 v[198:199], v[198:199], v[200:201]
	s_wait_loadcnt_dscnt 0xa00
	v_mul_f64_e32 v[200:201], v[28:29], v[10:11]
	v_mul_f64_e32 v[10:11], v[30:31], v[10:11]
	v_fmac_f64_e32 v[202:203], v[6:7], v[194:195]
	v_fma_f64 v[206:207], v[4:5], v[194:195], -v[196:197]
	v_add_f64_e32 v[208:209], v[168:169], v[166:167]
	v_add_f64_e32 v[198:199], v[198:199], v[204:205]
	ds_load_b128 v[4:7], v2 offset:1568
	ds_load_b128 v[166:169], v2 offset:1584
	scratch_load_b128 v[194:197], off, off offset:704
	v_fmac_f64_e32 v[200:201], v[30:31], v[8:9]
	v_fma_f64 v[28:29], v[28:29], v[8:9], -v[10:11]
	scratch_load_b128 v[8:11], off, off offset:720
	s_wait_loadcnt_dscnt 0xb01
	v_mul_f64_e32 v[204:205], v[4:5], v[184:185]
	v_mul_f64_e32 v[184:185], v[6:7], v[184:185]
	;; [unrolled: 18-line block ×11, first 2 shown]
	v_add_f64_e32 v[168:169], v[208:209], v[206:207]
	v_add_f64_e32 v[198:199], v[198:199], v[202:203]
	s_wait_loadcnt_dscnt 0xa00
	v_mul_f64_e32 v[202:203], v[28:29], v[26:27]
	v_mul_f64_e32 v[26:27], v[30:31], v[26:27]
	v_fmac_f64_e32 v[204:205], v[6:7], v[174:175]
	v_fma_f64 v[174:175], v[4:5], v[174:175], -v[176:177]
	v_add_f64_e32 v[176:177], v[168:169], v[166:167]
	v_add_f64_e32 v[198:199], v[198:199], v[200:201]
	ds_load_b128 v[4:7], v2 offset:1888
	ds_load_b128 v[166:169], v2 offset:1904
	v_fmac_f64_e32 v[202:203], v[30:31], v[24:25]
	v_fma_f64 v[24:25], v[28:29], v[24:25], -v[26:27]
	s_wait_loadcnt_dscnt 0x901
	v_mul_f64_e32 v[200:201], v[4:5], v[180:181]
	v_mul_f64_e32 v[180:181], v[6:7], v[180:181]
	s_wait_loadcnt_dscnt 0x800
	v_mul_f64_e32 v[30:31], v[166:167], v[164:165]
	v_mul_f64_e32 v[164:165], v[168:169], v[164:165]
	v_add_f64_e32 v[26:27], v[176:177], v[174:175]
	v_add_f64_e32 v[28:29], v[198:199], v[204:205]
	v_fmac_f64_e32 v[200:201], v[6:7], v[178:179]
	v_fma_f64 v[174:175], v[4:5], v[178:179], -v[180:181]
	v_fmac_f64_e32 v[30:31], v[168:169], v[162:163]
	v_fma_f64 v[162:163], v[166:167], v[162:163], -v[164:165]
	v_add_f64_e32 v[176:177], v[26:27], v[24:25]
	v_add_f64_e32 v[28:29], v[28:29], v[202:203]
	ds_load_b128 v[4:7], v2 offset:1920
	ds_load_b128 v[24:27], v2 offset:1936
	s_wait_loadcnt_dscnt 0x701
	v_mul_f64_e32 v[178:179], v[4:5], v[196:197]
	v_mul_f64_e32 v[180:181], v[6:7], v[196:197]
	s_wait_loadcnt_dscnt 0x600
	v_mul_f64_e32 v[166:167], v[24:25], v[10:11]
	v_mul_f64_e32 v[10:11], v[26:27], v[10:11]
	v_add_f64_e32 v[164:165], v[176:177], v[174:175]
	v_add_f64_e32 v[28:29], v[28:29], v[200:201]
	v_fmac_f64_e32 v[178:179], v[6:7], v[194:195]
	v_fma_f64 v[168:169], v[4:5], v[194:195], -v[180:181]
	v_fmac_f64_e32 v[166:167], v[26:27], v[8:9]
	v_fma_f64 v[8:9], v[24:25], v[8:9], -v[10:11]
	v_add_f64_e32 v[162:163], v[164:165], v[162:163]
	v_add_f64_e32 v[164:165], v[28:29], v[30:31]
	ds_load_b128 v[4:7], v2 offset:1952
	ds_load_b128 v[28:31], v2 offset:1968
	;; [unrolled: 16-line block ×4, first 2 shown]
	s_wait_loadcnt_dscnt 0x101
	v_mul_f64_e32 v[2:3], v[4:5], v[172:173]
	v_mul_f64_e32 v[26:27], v[6:7], v[172:173]
	v_add_f64_e32 v[10:11], v[18:19], v[162:163]
	v_add_f64_e32 v[12:13], v[24:25], v[166:167]
	s_wait_loadcnt_dscnt 0x0
	v_mul_f64_e32 v[18:19], v[14:15], v[22:23]
	v_mul_f64_e32 v[22:23], v[16:17], v[22:23]
	v_fmac_f64_e32 v[2:3], v[6:7], v[170:171]
	v_fma_f64 v[4:5], v[4:5], v[170:171], -v[26:27]
	v_add_f64_e32 v[6:7], v[10:11], v[8:9]
	v_add_f64_e32 v[8:9], v[12:13], v[28:29]
	v_fmac_f64_e32 v[18:19], v[16:17], v[20:21]
	v_fma_f64 v[10:11], v[14:15], v[20:21], -v[22:23]
	s_delay_alu instid0(VALU_DEP_4) | instskip(NEXT) | instid1(VALU_DEP_4)
	v_add_f64_e32 v[4:5], v[6:7], v[4:5]
	v_add_f64_e32 v[2:3], v[8:9], v[2:3]
	s_delay_alu instid0(VALU_DEP_2) | instskip(NEXT) | instid1(VALU_DEP_2)
	v_add_f64_e32 v[4:5], v[4:5], v[10:11]
	v_add_f64_e32 v[6:7], v[2:3], v[18:19]
	s_delay_alu instid0(VALU_DEP_2) | instskip(NEXT) | instid1(VALU_DEP_2)
	v_add_f64_e64 v[2:3], v[186:187], -v[4:5]
	v_add_f64_e64 v[4:5], v[188:189], -v[6:7]
	scratch_store_b128 off, v[2:5], off offset:112
	s_wait_xcnt 0x0
	v_cmpx_lt_u32_e32 6, v1
	s_cbranch_execz .LBB63_397
; %bb.396:
	scratch_load_b128 v[2:5], off, s76
	v_mov_b32_e32 v6, 0
	s_delay_alu instid0(VALU_DEP_1)
	v_dual_mov_b32 v7, v6 :: v_dual_mov_b32 v8, v6
	v_mov_b32_e32 v9, v6
	scratch_store_b128 off, v[6:9], off offset:96
	s_wait_loadcnt 0x0
	ds_store_b128 v160, v[2:5]
.LBB63_397:
	s_wait_xcnt 0x0
	s_or_b32 exec_lo, exec_lo, s2
	s_wait_storecnt_dscnt 0x0
	s_barrier_signal -1
	s_barrier_wait -1
	s_clause 0x9
	scratch_load_b128 v[4:7], off, off offset:112
	scratch_load_b128 v[8:11], off, off offset:128
	;; [unrolled: 1-line block ×10, first 2 shown]
	v_mov_b32_e32 v2, 0
	s_mov_b32 s2, exec_lo
	ds_load_b128 v[174:177], v2 offset:1136
	s_clause 0x2
	scratch_load_b128 v[178:181], off, off offset:272
	scratch_load_b128 v[182:185], off, off offset:96
	;; [unrolled: 1-line block ×3, first 2 shown]
	s_wait_loadcnt_dscnt 0xc00
	v_mul_f64_e32 v[194:195], v[176:177], v[6:7]
	v_mul_f64_e32 v[198:199], v[174:175], v[6:7]
	ds_load_b128 v[186:189], v2 offset:1152
	v_fma_f64 v[202:203], v[174:175], v[4:5], -v[194:195]
	v_fmac_f64_e32 v[198:199], v[176:177], v[4:5]
	ds_load_b128 v[4:7], v2 offset:1168
	s_wait_loadcnt_dscnt 0xb01
	v_mul_f64_e32 v[200:201], v[186:187], v[10:11]
	v_mul_f64_e32 v[10:11], v[188:189], v[10:11]
	scratch_load_b128 v[174:177], off, off offset:304
	ds_load_b128 v[194:197], v2 offset:1184
	s_wait_loadcnt_dscnt 0xb01
	v_mul_f64_e32 v[204:205], v[4:5], v[14:15]
	v_mul_f64_e32 v[14:15], v[6:7], v[14:15]
	v_add_f64_e32 v[198:199], 0, v[198:199]
	v_fmac_f64_e32 v[200:201], v[188:189], v[8:9]
	v_fma_f64 v[186:187], v[186:187], v[8:9], -v[10:11]
	v_add_f64_e32 v[188:189], 0, v[202:203]
	scratch_load_b128 v[8:11], off, off offset:320
	v_fmac_f64_e32 v[204:205], v[6:7], v[12:13]
	v_fma_f64 v[206:207], v[4:5], v[12:13], -v[14:15]
	ds_load_b128 v[4:7], v2 offset:1200
	s_wait_loadcnt_dscnt 0xb01
	v_mul_f64_e32 v[202:203], v[194:195], v[18:19]
	v_mul_f64_e32 v[18:19], v[196:197], v[18:19]
	scratch_load_b128 v[12:15], off, off offset:336
	v_add_f64_e32 v[198:199], v[198:199], v[200:201]
	v_add_f64_e32 v[208:209], v[188:189], v[186:187]
	ds_load_b128 v[186:189], v2 offset:1216
	s_wait_loadcnt_dscnt 0xb01
	v_mul_f64_e32 v[200:201], v[4:5], v[22:23]
	v_mul_f64_e32 v[22:23], v[6:7], v[22:23]
	v_fmac_f64_e32 v[202:203], v[196:197], v[16:17]
	v_fma_f64 v[194:195], v[194:195], v[16:17], -v[18:19]
	scratch_load_b128 v[16:19], off, off offset:352
	v_add_f64_e32 v[198:199], v[198:199], v[204:205]
	v_add_f64_e32 v[196:197], v[208:209], v[206:207]
	v_fmac_f64_e32 v[200:201], v[6:7], v[20:21]
	v_fma_f64 v[206:207], v[4:5], v[20:21], -v[22:23]
	ds_load_b128 v[4:7], v2 offset:1232
	s_wait_loadcnt_dscnt 0xb01
	v_mul_f64_e32 v[204:205], v[186:187], v[26:27]
	v_mul_f64_e32 v[26:27], v[188:189], v[26:27]
	scratch_load_b128 v[20:23], off, off offset:368
	v_add_f64_e32 v[198:199], v[198:199], v[202:203]
	s_wait_loadcnt_dscnt 0xb00
	v_mul_f64_e32 v[202:203], v[4:5], v[30:31]
	v_add_f64_e32 v[208:209], v[196:197], v[194:195]
	v_mul_f64_e32 v[30:31], v[6:7], v[30:31]
	ds_load_b128 v[194:197], v2 offset:1248
	v_fmac_f64_e32 v[204:205], v[188:189], v[24:25]
	v_fma_f64 v[186:187], v[186:187], v[24:25], -v[26:27]
	scratch_load_b128 v[24:27], off, off offset:384
	v_add_f64_e32 v[198:199], v[198:199], v[200:201]
	v_fmac_f64_e32 v[202:203], v[6:7], v[28:29]
	v_add_f64_e32 v[188:189], v[208:209], v[206:207]
	v_fma_f64 v[206:207], v[4:5], v[28:29], -v[30:31]
	ds_load_b128 v[4:7], v2 offset:1264
	s_wait_loadcnt_dscnt 0xb01
	v_mul_f64_e32 v[200:201], v[194:195], v[164:165]
	v_mul_f64_e32 v[164:165], v[196:197], v[164:165]
	scratch_load_b128 v[28:31], off, off offset:400
	v_add_f64_e32 v[198:199], v[198:199], v[204:205]
	s_wait_loadcnt_dscnt 0xb00
	v_mul_f64_e32 v[204:205], v[4:5], v[168:169]
	v_add_f64_e32 v[208:209], v[188:189], v[186:187]
	v_mul_f64_e32 v[168:169], v[6:7], v[168:169]
	ds_load_b128 v[186:189], v2 offset:1280
	v_fmac_f64_e32 v[200:201], v[196:197], v[162:163]
	v_fma_f64 v[194:195], v[194:195], v[162:163], -v[164:165]
	scratch_load_b128 v[162:165], off, off offset:416
	v_add_f64_e32 v[198:199], v[198:199], v[202:203]
	v_fmac_f64_e32 v[204:205], v[6:7], v[166:167]
	v_add_f64_e32 v[196:197], v[208:209], v[206:207]
	;; [unrolled: 18-line block ×3, first 2 shown]
	v_fma_f64 v[206:207], v[4:5], v[178:179], -v[180:181]
	ds_load_b128 v[4:7], v2 offset:1328
	s_wait_loadcnt_dscnt 0xa01
	v_mul_f64_e32 v[204:205], v[194:195], v[192:193]
	v_mul_f64_e32 v[192:193], v[196:197], v[192:193]
	scratch_load_b128 v[178:181], off, off offset:464
	v_add_f64_e32 v[198:199], v[198:199], v[202:203]
	v_add_f64_e32 v[208:209], v[188:189], v[186:187]
	s_wait_loadcnt_dscnt 0xa00
	v_mul_f64_e32 v[202:203], v[4:5], v[176:177]
	v_mul_f64_e32 v[176:177], v[6:7], v[176:177]
	v_fmac_f64_e32 v[204:205], v[196:197], v[190:191]
	v_fma_f64 v[194:195], v[194:195], v[190:191], -v[192:193]
	ds_load_b128 v[186:189], v2 offset:1344
	scratch_load_b128 v[190:193], off, off offset:480
	v_add_f64_e32 v[198:199], v[198:199], v[200:201]
	v_add_f64_e32 v[196:197], v[208:209], v[206:207]
	v_fmac_f64_e32 v[202:203], v[6:7], v[174:175]
	v_fma_f64 v[206:207], v[4:5], v[174:175], -v[176:177]
	ds_load_b128 v[4:7], v2 offset:1360
	s_wait_loadcnt_dscnt 0xa01
	v_mul_f64_e32 v[200:201], v[186:187], v[10:11]
	v_mul_f64_e32 v[10:11], v[188:189], v[10:11]
	scratch_load_b128 v[174:177], off, off offset:496
	v_add_f64_e32 v[198:199], v[198:199], v[204:205]
	s_wait_loadcnt_dscnt 0xa00
	v_mul_f64_e32 v[204:205], v[4:5], v[14:15]
	v_add_f64_e32 v[208:209], v[196:197], v[194:195]
	v_mul_f64_e32 v[14:15], v[6:7], v[14:15]
	ds_load_b128 v[194:197], v2 offset:1376
	v_fmac_f64_e32 v[200:201], v[188:189], v[8:9]
	v_fma_f64 v[186:187], v[186:187], v[8:9], -v[10:11]
	scratch_load_b128 v[8:11], off, off offset:512
	v_add_f64_e32 v[198:199], v[198:199], v[202:203]
	v_fmac_f64_e32 v[204:205], v[6:7], v[12:13]
	v_add_f64_e32 v[188:189], v[208:209], v[206:207]
	v_fma_f64 v[206:207], v[4:5], v[12:13], -v[14:15]
	ds_load_b128 v[4:7], v2 offset:1392
	s_wait_loadcnt_dscnt 0xa01
	v_mul_f64_e32 v[202:203], v[194:195], v[18:19]
	v_mul_f64_e32 v[18:19], v[196:197], v[18:19]
	scratch_load_b128 v[12:15], off, off offset:528
	v_add_f64_e32 v[198:199], v[198:199], v[200:201]
	s_wait_loadcnt_dscnt 0xa00
	v_mul_f64_e32 v[200:201], v[4:5], v[22:23]
	v_add_f64_e32 v[208:209], v[188:189], v[186:187]
	v_mul_f64_e32 v[22:23], v[6:7], v[22:23]
	ds_load_b128 v[186:189], v2 offset:1408
	v_fmac_f64_e32 v[202:203], v[196:197], v[16:17]
	v_fma_f64 v[194:195], v[194:195], v[16:17], -v[18:19]
	scratch_load_b128 v[16:19], off, off offset:544
	v_add_f64_e32 v[198:199], v[198:199], v[204:205]
	v_fmac_f64_e32 v[200:201], v[6:7], v[20:21]
	v_add_f64_e32 v[196:197], v[208:209], v[206:207]
	;; [unrolled: 18-line block ×16, first 2 shown]
	v_fma_f64 v[206:207], v[4:5], v[166:167], -v[168:169]
	ds_load_b128 v[4:7], v2 offset:1872
	s_wait_loadcnt_dscnt 0xa01
	v_mul_f64_e32 v[202:203], v[186:187], v[172:173]
	v_mul_f64_e32 v[172:173], v[188:189], v[172:173]
	scratch_load_b128 v[166:169], off, off offset:1008
	v_add_f64_e32 v[198:199], v[198:199], v[200:201]
	s_wait_loadcnt_dscnt 0xa00
	v_mul_f64_e32 v[200:201], v[4:5], v[180:181]
	v_add_f64_e32 v[208:209], v[196:197], v[194:195]
	v_mul_f64_e32 v[180:181], v[6:7], v[180:181]
	ds_load_b128 v[194:197], v2 offset:1888
	v_fmac_f64_e32 v[202:203], v[188:189], v[170:171]
	v_fma_f64 v[170:171], v[186:187], v[170:171], -v[172:173]
	s_wait_loadcnt_dscnt 0x900
	v_mul_f64_e32 v[188:189], v[194:195], v[192:193]
	v_mul_f64_e32 v[192:193], v[196:197], v[192:193]
	v_add_f64_e32 v[186:187], v[198:199], v[204:205]
	v_fmac_f64_e32 v[200:201], v[6:7], v[178:179]
	v_add_f64_e32 v[172:173], v[208:209], v[206:207]
	v_fma_f64 v[178:179], v[4:5], v[178:179], -v[180:181]
	v_fmac_f64_e32 v[188:189], v[196:197], v[190:191]
	v_fma_f64 v[190:191], v[194:195], v[190:191], -v[192:193]
	v_add_f64_e32 v[186:187], v[186:187], v[202:203]
	v_add_f64_e32 v[180:181], v[172:173], v[170:171]
	ds_load_b128 v[4:7], v2 offset:1904
	ds_load_b128 v[170:173], v2 offset:1920
	s_wait_loadcnt_dscnt 0x801
	v_mul_f64_e32 v[198:199], v[4:5], v[176:177]
	v_mul_f64_e32 v[176:177], v[6:7], v[176:177]
	v_add_f64_e32 v[178:179], v[180:181], v[178:179]
	v_add_f64_e32 v[180:181], v[186:187], v[200:201]
	s_wait_loadcnt_dscnt 0x700
	v_mul_f64_e32 v[186:187], v[170:171], v[10:11]
	v_mul_f64_e32 v[10:11], v[172:173], v[10:11]
	v_fmac_f64_e32 v[198:199], v[6:7], v[174:175]
	v_fma_f64 v[192:193], v[4:5], v[174:175], -v[176:177]
	ds_load_b128 v[4:7], v2 offset:1936
	ds_load_b128 v[174:177], v2 offset:1952
	v_add_f64_e32 v[178:179], v[178:179], v[190:191]
	v_add_f64_e32 v[180:181], v[180:181], v[188:189]
	v_fmac_f64_e32 v[186:187], v[172:173], v[8:9]
	v_fma_f64 v[8:9], v[170:171], v[8:9], -v[10:11]
	s_wait_loadcnt_dscnt 0x601
	v_mul_f64_e32 v[188:189], v[4:5], v[14:15]
	v_mul_f64_e32 v[14:15], v[6:7], v[14:15]
	s_wait_loadcnt_dscnt 0x500
	v_mul_f64_e32 v[172:173], v[174:175], v[18:19]
	v_mul_f64_e32 v[18:19], v[176:177], v[18:19]
	v_add_f64_e32 v[10:11], v[178:179], v[192:193]
	v_add_f64_e32 v[170:171], v[180:181], v[198:199]
	v_fmac_f64_e32 v[188:189], v[6:7], v[12:13]
	v_fma_f64 v[12:13], v[4:5], v[12:13], -v[14:15]
	v_fmac_f64_e32 v[172:173], v[176:177], v[16:17]
	v_fma_f64 v[16:17], v[174:175], v[16:17], -v[18:19]
	v_add_f64_e32 v[14:15], v[10:11], v[8:9]
	v_add_f64_e32 v[170:171], v[170:171], v[186:187]
	ds_load_b128 v[4:7], v2 offset:1968
	ds_load_b128 v[8:11], v2 offset:1984
	s_wait_loadcnt_dscnt 0x401
	v_mul_f64_e32 v[178:179], v[4:5], v[22:23]
	v_mul_f64_e32 v[22:23], v[6:7], v[22:23]
	s_wait_loadcnt_dscnt 0x300
	v_mul_f64_e32 v[18:19], v[8:9], v[26:27]
	v_mul_f64_e32 v[26:27], v[10:11], v[26:27]
	v_add_f64_e32 v[12:13], v[14:15], v[12:13]
	v_add_f64_e32 v[14:15], v[170:171], v[188:189]
	v_fmac_f64_e32 v[178:179], v[6:7], v[20:21]
	v_fma_f64 v[20:21], v[4:5], v[20:21], -v[22:23]
	v_fmac_f64_e32 v[18:19], v[10:11], v[24:25]
	v_fma_f64 v[8:9], v[8:9], v[24:25], -v[26:27]
	v_add_f64_e32 v[16:17], v[12:13], v[16:17]
	v_add_f64_e32 v[22:23], v[14:15], v[172:173]
	ds_load_b128 v[4:7], v2 offset:2000
	ds_load_b128 v[12:15], v2 offset:2016
	s_wait_loadcnt_dscnt 0x201
	v_mul_f64_e32 v[170:171], v[4:5], v[30:31]
	v_mul_f64_e32 v[30:31], v[6:7], v[30:31]
	v_add_f64_e32 v[10:11], v[16:17], v[20:21]
	v_add_f64_e32 v[16:17], v[22:23], v[178:179]
	s_wait_loadcnt_dscnt 0x100
	v_mul_f64_e32 v[20:21], v[12:13], v[164:165]
	v_mul_f64_e32 v[22:23], v[14:15], v[164:165]
	v_fmac_f64_e32 v[170:171], v[6:7], v[28:29]
	v_fma_f64 v[24:25], v[4:5], v[28:29], -v[30:31]
	ds_load_b128 v[4:7], v2 offset:2032
	v_add_f64_e32 v[8:9], v[10:11], v[8:9]
	v_add_f64_e32 v[10:11], v[16:17], v[18:19]
	v_fmac_f64_e32 v[20:21], v[14:15], v[162:163]
	v_fma_f64 v[12:13], v[12:13], v[162:163], -v[22:23]
	s_wait_loadcnt_dscnt 0x0
	v_mul_f64_e32 v[16:17], v[4:5], v[168:169]
	v_mul_f64_e32 v[18:19], v[6:7], v[168:169]
	v_add_f64_e32 v[8:9], v[8:9], v[24:25]
	v_add_f64_e32 v[10:11], v[10:11], v[170:171]
	s_delay_alu instid0(VALU_DEP_4) | instskip(NEXT) | instid1(VALU_DEP_4)
	v_fmac_f64_e32 v[16:17], v[6:7], v[166:167]
	v_fma_f64 v[4:5], v[4:5], v[166:167], -v[18:19]
	s_delay_alu instid0(VALU_DEP_4) | instskip(NEXT) | instid1(VALU_DEP_4)
	v_add_f64_e32 v[6:7], v[8:9], v[12:13]
	v_add_f64_e32 v[8:9], v[10:11], v[20:21]
	s_delay_alu instid0(VALU_DEP_2) | instskip(NEXT) | instid1(VALU_DEP_2)
	v_add_f64_e32 v[4:5], v[6:7], v[4:5]
	v_add_f64_e32 v[6:7], v[8:9], v[16:17]
	s_delay_alu instid0(VALU_DEP_2) | instskip(NEXT) | instid1(VALU_DEP_2)
	v_add_f64_e64 v[4:5], v[182:183], -v[4:5]
	v_add_f64_e64 v[6:7], v[184:185], -v[6:7]
	scratch_store_b128 off, v[4:7], off offset:96
	s_wait_xcnt 0x0
	v_cmpx_lt_u32_e32 5, v1
	s_cbranch_execz .LBB63_399
; %bb.398:
	scratch_load_b128 v[6:9], off, s77
	v_dual_mov_b32 v3, v2 :: v_dual_mov_b32 v4, v2
	v_mov_b32_e32 v5, v2
	scratch_store_b128 off, v[2:5], off offset:80
	s_wait_loadcnt 0x0
	ds_store_b128 v160, v[6:9]
.LBB63_399:
	s_wait_xcnt 0x0
	s_or_b32 exec_lo, exec_lo, s2
	s_wait_storecnt_dscnt 0x0
	s_barrier_signal -1
	s_barrier_wait -1
	s_clause 0x9
	scratch_load_b128 v[4:7], off, off offset:96
	scratch_load_b128 v[8:11], off, off offset:112
	;; [unrolled: 1-line block ×10, first 2 shown]
	ds_load_b128 v[174:177], v2 offset:1120
	ds_load_b128 v[182:185], v2 offset:1136
	s_clause 0x2
	scratch_load_b128 v[178:181], off, off offset:256
	scratch_load_b128 v[186:189], off, off offset:80
	;; [unrolled: 1-line block ×3, first 2 shown]
	s_mov_b32 s2, exec_lo
	s_wait_loadcnt_dscnt 0xc01
	v_mul_f64_e32 v[194:195], v[176:177], v[6:7]
	v_mul_f64_e32 v[198:199], v[174:175], v[6:7]
	s_wait_loadcnt_dscnt 0xb00
	v_mul_f64_e32 v[200:201], v[182:183], v[10:11]
	v_mul_f64_e32 v[10:11], v[184:185], v[10:11]
	s_delay_alu instid0(VALU_DEP_4) | instskip(NEXT) | instid1(VALU_DEP_4)
	v_fma_f64 v[202:203], v[174:175], v[4:5], -v[194:195]
	v_fmac_f64_e32 v[198:199], v[176:177], v[4:5]
	ds_load_b128 v[4:7], v2 offset:1152
	ds_load_b128 v[174:177], v2 offset:1168
	scratch_load_b128 v[194:197], off, off offset:288
	v_fmac_f64_e32 v[200:201], v[184:185], v[8:9]
	v_fma_f64 v[182:183], v[182:183], v[8:9], -v[10:11]
	scratch_load_b128 v[8:11], off, off offset:304
	s_wait_loadcnt_dscnt 0xc01
	v_mul_f64_e32 v[204:205], v[4:5], v[14:15]
	v_mul_f64_e32 v[14:15], v[6:7], v[14:15]
	v_add_f64_e32 v[184:185], 0, v[202:203]
	v_add_f64_e32 v[198:199], 0, v[198:199]
	s_wait_loadcnt_dscnt 0xb00
	v_mul_f64_e32 v[202:203], v[174:175], v[18:19]
	v_mul_f64_e32 v[18:19], v[176:177], v[18:19]
	v_fmac_f64_e32 v[204:205], v[6:7], v[12:13]
	v_fma_f64 v[206:207], v[4:5], v[12:13], -v[14:15]
	ds_load_b128 v[4:7], v2 offset:1184
	ds_load_b128 v[12:15], v2 offset:1200
	v_add_f64_e32 v[208:209], v[184:185], v[182:183]
	v_add_f64_e32 v[198:199], v[198:199], v[200:201]
	scratch_load_b128 v[182:185], off, off offset:320
	v_fmac_f64_e32 v[202:203], v[176:177], v[16:17]
	v_fma_f64 v[174:175], v[174:175], v[16:17], -v[18:19]
	scratch_load_b128 v[16:19], off, off offset:336
	s_wait_loadcnt_dscnt 0xc01
	v_mul_f64_e32 v[200:201], v[4:5], v[22:23]
	v_mul_f64_e32 v[22:23], v[6:7], v[22:23]
	v_add_f64_e32 v[176:177], v[208:209], v[206:207]
	v_add_f64_e32 v[198:199], v[198:199], v[204:205]
	s_wait_loadcnt_dscnt 0xb00
	v_mul_f64_e32 v[204:205], v[12:13], v[26:27]
	v_mul_f64_e32 v[26:27], v[14:15], v[26:27]
	v_fmac_f64_e32 v[200:201], v[6:7], v[20:21]
	v_fma_f64 v[206:207], v[4:5], v[20:21], -v[22:23]
	ds_load_b128 v[4:7], v2 offset:1216
	ds_load_b128 v[20:23], v2 offset:1232
	v_add_f64_e32 v[208:209], v[176:177], v[174:175]
	v_add_f64_e32 v[198:199], v[198:199], v[202:203]
	scratch_load_b128 v[174:177], off, off offset:352
	s_wait_loadcnt_dscnt 0xb01
	v_mul_f64_e32 v[202:203], v[4:5], v[30:31]
	v_mul_f64_e32 v[30:31], v[6:7], v[30:31]
	v_fmac_f64_e32 v[204:205], v[14:15], v[24:25]
	v_fma_f64 v[24:25], v[12:13], v[24:25], -v[26:27]
	scratch_load_b128 v[12:15], off, off offset:368
	v_add_f64_e32 v[26:27], v[208:209], v[206:207]
	v_add_f64_e32 v[198:199], v[198:199], v[200:201]
	s_wait_loadcnt_dscnt 0xb00
	v_mul_f64_e32 v[200:201], v[20:21], v[164:165]
	v_mul_f64_e32 v[164:165], v[22:23], v[164:165]
	v_fmac_f64_e32 v[202:203], v[6:7], v[28:29]
	v_fma_f64 v[206:207], v[4:5], v[28:29], -v[30:31]
	v_add_f64_e32 v[208:209], v[26:27], v[24:25]
	v_add_f64_e32 v[198:199], v[198:199], v[204:205]
	ds_load_b128 v[4:7], v2 offset:1248
	ds_load_b128 v[24:27], v2 offset:1264
	scratch_load_b128 v[28:31], off, off offset:384
	v_fmac_f64_e32 v[200:201], v[22:23], v[162:163]
	v_fma_f64 v[162:163], v[20:21], v[162:163], -v[164:165]
	scratch_load_b128 v[20:23], off, off offset:400
	s_wait_loadcnt_dscnt 0xc01
	v_mul_f64_e32 v[204:205], v[4:5], v[168:169]
	v_mul_f64_e32 v[168:169], v[6:7], v[168:169]
	v_add_f64_e32 v[164:165], v[208:209], v[206:207]
	v_add_f64_e32 v[198:199], v[198:199], v[202:203]
	s_wait_loadcnt_dscnt 0xb00
	v_mul_f64_e32 v[202:203], v[24:25], v[172:173]
	v_mul_f64_e32 v[172:173], v[26:27], v[172:173]
	v_fmac_f64_e32 v[204:205], v[6:7], v[166:167]
	v_fma_f64 v[206:207], v[4:5], v[166:167], -v[168:169]
	v_add_f64_e32 v[208:209], v[164:165], v[162:163]
	v_add_f64_e32 v[198:199], v[198:199], v[200:201]
	ds_load_b128 v[4:7], v2 offset:1280
	ds_load_b128 v[162:165], v2 offset:1296
	scratch_load_b128 v[166:169], off, off offset:416
	v_fmac_f64_e32 v[202:203], v[26:27], v[170:171]
	v_fma_f64 v[170:171], v[24:25], v[170:171], -v[172:173]
	scratch_load_b128 v[24:27], off, off offset:432
	s_wait_loadcnt_dscnt 0xc01
	v_mul_f64_e32 v[200:201], v[4:5], v[180:181]
	v_mul_f64_e32 v[180:181], v[6:7], v[180:181]
	;; [unrolled: 18-line block ×5, first 2 shown]
	v_add_f64_e32 v[192:193], v[208:209], v[206:207]
	v_add_f64_e32 v[198:199], v[198:199], v[204:205]
	s_wait_loadcnt_dscnt 0xa00
	v_mul_f64_e32 v[204:205], v[170:171], v[14:15]
	v_mul_f64_e32 v[14:15], v[172:173], v[14:15]
	v_fmac_f64_e32 v[200:201], v[6:7], v[174:175]
	v_fma_f64 v[206:207], v[4:5], v[174:175], -v[176:177]
	ds_load_b128 v[4:7], v2 offset:1408
	ds_load_b128 v[174:177], v2 offset:1424
	v_add_f64_e32 v[208:209], v[192:193], v[190:191]
	v_add_f64_e32 v[198:199], v[198:199], v[202:203]
	scratch_load_b128 v[190:193], off, off offset:544
	v_fmac_f64_e32 v[204:205], v[172:173], v[12:13]
	v_fma_f64 v[170:171], v[170:171], v[12:13], -v[14:15]
	scratch_load_b128 v[12:15], off, off offset:560
	s_wait_loadcnt_dscnt 0xb01
	v_mul_f64_e32 v[202:203], v[4:5], v[30:31]
	v_mul_f64_e32 v[30:31], v[6:7], v[30:31]
	v_add_f64_e32 v[172:173], v[208:209], v[206:207]
	v_add_f64_e32 v[198:199], v[198:199], v[200:201]
	s_wait_loadcnt_dscnt 0xa00
	v_mul_f64_e32 v[200:201], v[174:175], v[22:23]
	v_mul_f64_e32 v[22:23], v[176:177], v[22:23]
	v_fmac_f64_e32 v[202:203], v[6:7], v[28:29]
	v_fma_f64 v[206:207], v[4:5], v[28:29], -v[30:31]
	ds_load_b128 v[4:7], v2 offset:1440
	ds_load_b128 v[28:31], v2 offset:1456
	v_add_f64_e32 v[208:209], v[172:173], v[170:171]
	v_add_f64_e32 v[198:199], v[198:199], v[204:205]
	scratch_load_b128 v[170:173], off, off offset:576
	s_wait_loadcnt_dscnt 0xa01
	v_mul_f64_e32 v[204:205], v[4:5], v[168:169]
	v_mul_f64_e32 v[168:169], v[6:7], v[168:169]
	v_fmac_f64_e32 v[200:201], v[176:177], v[20:21]
	v_fma_f64 v[174:175], v[174:175], v[20:21], -v[22:23]
	scratch_load_b128 v[20:23], off, off offset:592
	v_add_f64_e32 v[176:177], v[208:209], v[206:207]
	v_add_f64_e32 v[198:199], v[198:199], v[202:203]
	s_wait_loadcnt_dscnt 0xa00
	v_mul_f64_e32 v[202:203], v[28:29], v[26:27]
	v_mul_f64_e32 v[26:27], v[30:31], v[26:27]
	v_fmac_f64_e32 v[204:205], v[6:7], v[166:167]
	v_fma_f64 v[206:207], v[4:5], v[166:167], -v[168:169]
	ds_load_b128 v[4:7], v2 offset:1472
	ds_load_b128 v[166:169], v2 offset:1488
	v_add_f64_e32 v[208:209], v[176:177], v[174:175]
	v_add_f64_e32 v[198:199], v[198:199], v[200:201]
	scratch_load_b128 v[174:177], off, off offset:608
	s_wait_loadcnt_dscnt 0xa01
	v_mul_f64_e32 v[200:201], v[4:5], v[180:181]
	v_mul_f64_e32 v[180:181], v[6:7], v[180:181]
	v_fmac_f64_e32 v[202:203], v[30:31], v[24:25]
	v_fma_f64 v[28:29], v[28:29], v[24:25], -v[26:27]
	scratch_load_b128 v[24:27], off, off offset:624
	v_add_f64_e32 v[30:31], v[208:209], v[206:207]
	v_add_f64_e32 v[198:199], v[198:199], v[204:205]
	s_wait_loadcnt_dscnt 0xa00
	v_mul_f64_e32 v[204:205], v[166:167], v[164:165]
	v_mul_f64_e32 v[164:165], v[168:169], v[164:165]
	v_fmac_f64_e32 v[200:201], v[6:7], v[178:179]
	v_fma_f64 v[206:207], v[4:5], v[178:179], -v[180:181]
	v_add_f64_e32 v[208:209], v[30:31], v[28:29]
	v_add_f64_e32 v[198:199], v[198:199], v[202:203]
	ds_load_b128 v[4:7], v2 offset:1504
	ds_load_b128 v[28:31], v2 offset:1520
	scratch_load_b128 v[178:181], off, off offset:640
	v_fmac_f64_e32 v[204:205], v[168:169], v[162:163]
	v_fma_f64 v[166:167], v[166:167], v[162:163], -v[164:165]
	scratch_load_b128 v[162:165], off, off offset:656
	s_wait_loadcnt_dscnt 0xb01
	v_mul_f64_e32 v[202:203], v[4:5], v[196:197]
	v_mul_f64_e32 v[196:197], v[6:7], v[196:197]
	v_add_f64_e32 v[168:169], v[208:209], v[206:207]
	v_add_f64_e32 v[198:199], v[198:199], v[200:201]
	s_wait_loadcnt_dscnt 0xa00
	v_mul_f64_e32 v[200:201], v[28:29], v[10:11]
	v_mul_f64_e32 v[10:11], v[30:31], v[10:11]
	v_fmac_f64_e32 v[202:203], v[6:7], v[194:195]
	v_fma_f64 v[206:207], v[4:5], v[194:195], -v[196:197]
	v_add_f64_e32 v[208:209], v[168:169], v[166:167]
	v_add_f64_e32 v[198:199], v[198:199], v[204:205]
	ds_load_b128 v[4:7], v2 offset:1536
	ds_load_b128 v[166:169], v2 offset:1552
	scratch_load_b128 v[194:197], off, off offset:672
	v_fmac_f64_e32 v[200:201], v[30:31], v[8:9]
	v_fma_f64 v[28:29], v[28:29], v[8:9], -v[10:11]
	scratch_load_b128 v[8:11], off, off offset:688
	s_wait_loadcnt_dscnt 0xb01
	v_mul_f64_e32 v[204:205], v[4:5], v[184:185]
	v_mul_f64_e32 v[184:185], v[6:7], v[184:185]
	;; [unrolled: 18-line block ×12, first 2 shown]
	v_add_f64_e32 v[30:31], v[208:209], v[206:207]
	v_add_f64_e32 v[198:199], v[198:199], v[204:205]
	s_wait_loadcnt_dscnt 0xa00
	v_mul_f64_e32 v[204:205], v[166:167], v[164:165]
	v_mul_f64_e32 v[164:165], v[168:169], v[164:165]
	v_fmac_f64_e32 v[200:201], v[6:7], v[178:179]
	v_fma_f64 v[178:179], v[4:5], v[178:179], -v[180:181]
	v_add_f64_e32 v[180:181], v[30:31], v[28:29]
	v_add_f64_e32 v[198:199], v[198:199], v[202:203]
	ds_load_b128 v[4:7], v2 offset:1888
	ds_load_b128 v[28:31], v2 offset:1904
	v_fmac_f64_e32 v[204:205], v[168:169], v[162:163]
	v_fma_f64 v[162:163], v[166:167], v[162:163], -v[164:165]
	s_wait_loadcnt_dscnt 0x901
	v_mul_f64_e32 v[202:203], v[4:5], v[196:197]
	v_mul_f64_e32 v[196:197], v[6:7], v[196:197]
	s_wait_loadcnt_dscnt 0x800
	v_mul_f64_e32 v[168:169], v[28:29], v[10:11]
	v_mul_f64_e32 v[10:11], v[30:31], v[10:11]
	v_add_f64_e32 v[164:165], v[180:181], v[178:179]
	v_add_f64_e32 v[166:167], v[198:199], v[200:201]
	v_fmac_f64_e32 v[202:203], v[6:7], v[194:195]
	v_fma_f64 v[178:179], v[4:5], v[194:195], -v[196:197]
	v_fmac_f64_e32 v[168:169], v[30:31], v[8:9]
	v_fma_f64 v[8:9], v[28:29], v[8:9], -v[10:11]
	v_add_f64_e32 v[180:181], v[164:165], v[162:163]
	v_add_f64_e32 v[166:167], v[166:167], v[204:205]
	ds_load_b128 v[4:7], v2 offset:1920
	ds_load_b128 v[162:165], v2 offset:1936
	s_wait_loadcnt_dscnt 0x701
	v_mul_f64_e32 v[194:195], v[4:5], v[184:185]
	v_mul_f64_e32 v[184:185], v[6:7], v[184:185]
	s_wait_loadcnt_dscnt 0x600
	v_mul_f64_e32 v[30:31], v[162:163], v[18:19]
	v_mul_f64_e32 v[18:19], v[164:165], v[18:19]
	v_add_f64_e32 v[10:11], v[180:181], v[178:179]
	v_add_f64_e32 v[28:29], v[166:167], v[202:203]
	v_fmac_f64_e32 v[194:195], v[6:7], v[182:183]
	v_fma_f64 v[166:167], v[4:5], v[182:183], -v[184:185]
	v_fmac_f64_e32 v[30:31], v[164:165], v[16:17]
	v_fma_f64 v[16:17], v[162:163], v[16:17], -v[18:19]
	v_add_f64_e32 v[178:179], v[10:11], v[8:9]
	v_add_f64_e32 v[28:29], v[28:29], v[168:169]
	ds_load_b128 v[4:7], v2 offset:1952
	ds_load_b128 v[8:11], v2 offset:1968
	s_wait_loadcnt_dscnt 0x501
	v_mul_f64_e32 v[168:169], v[4:5], v[192:193]
	v_mul_f64_e32 v[180:181], v[6:7], v[192:193]
	s_wait_loadcnt_dscnt 0x400
	v_mul_f64_e32 v[162:163], v[8:9], v[14:15]
	v_mul_f64_e32 v[164:165], v[10:11], v[14:15]
	v_add_f64_e32 v[18:19], v[178:179], v[166:167]
	v_add_f64_e32 v[28:29], v[28:29], v[194:195]
	v_fmac_f64_e32 v[168:169], v[6:7], v[190:191]
	v_fma_f64 v[166:167], v[4:5], v[190:191], -v[180:181]
	v_fmac_f64_e32 v[162:163], v[10:11], v[12:13]
	v_fma_f64 v[8:9], v[8:9], v[12:13], -v[164:165]
	v_add_f64_e32 v[18:19], v[18:19], v[16:17]
	v_add_f64_e32 v[28:29], v[28:29], v[30:31]
	ds_load_b128 v[4:7], v2 offset:1984
	ds_load_b128 v[14:17], v2 offset:2000
	s_wait_loadcnt_dscnt 0x301
	v_mul_f64_e32 v[30:31], v[4:5], v[172:173]
	v_mul_f64_e32 v[172:173], v[6:7], v[172:173]
	v_add_f64_e32 v[10:11], v[18:19], v[166:167]
	v_add_f64_e32 v[12:13], v[28:29], v[168:169]
	s_wait_loadcnt_dscnt 0x200
	v_mul_f64_e32 v[18:19], v[14:15], v[22:23]
	v_mul_f64_e32 v[22:23], v[16:17], v[22:23]
	v_fmac_f64_e32 v[30:31], v[6:7], v[170:171]
	v_fma_f64 v[28:29], v[4:5], v[170:171], -v[172:173]
	v_add_f64_e32 v[164:165], v[10:11], v[8:9]
	v_add_f64_e32 v[12:13], v[12:13], v[162:163]
	ds_load_b128 v[4:7], v2 offset:2016
	ds_load_b128 v[8:11], v2 offset:2032
	v_fmac_f64_e32 v[18:19], v[16:17], v[20:21]
	v_fma_f64 v[14:15], v[14:15], v[20:21], -v[22:23]
	s_wait_loadcnt_dscnt 0x101
	v_mul_f64_e32 v[2:3], v[4:5], v[176:177]
	v_mul_f64_e32 v[162:163], v[6:7], v[176:177]
	s_wait_loadcnt_dscnt 0x0
	v_mul_f64_e32 v[20:21], v[8:9], v[26:27]
	v_mul_f64_e32 v[22:23], v[10:11], v[26:27]
	v_add_f64_e32 v[16:17], v[164:165], v[28:29]
	v_add_f64_e32 v[12:13], v[12:13], v[30:31]
	v_fmac_f64_e32 v[2:3], v[6:7], v[174:175]
	v_fma_f64 v[4:5], v[4:5], v[174:175], -v[162:163]
	v_fmac_f64_e32 v[20:21], v[10:11], v[24:25]
	v_fma_f64 v[8:9], v[8:9], v[24:25], -v[22:23]
	v_add_f64_e32 v[6:7], v[16:17], v[14:15]
	v_add_f64_e32 v[12:13], v[12:13], v[18:19]
	s_delay_alu instid0(VALU_DEP_2) | instskip(NEXT) | instid1(VALU_DEP_2)
	v_add_f64_e32 v[4:5], v[6:7], v[4:5]
	v_add_f64_e32 v[2:3], v[12:13], v[2:3]
	s_delay_alu instid0(VALU_DEP_2) | instskip(NEXT) | instid1(VALU_DEP_2)
	;; [unrolled: 3-line block ×3, first 2 shown]
	v_add_f64_e64 v[2:3], v[186:187], -v[4:5]
	v_add_f64_e64 v[4:5], v[188:189], -v[6:7]
	scratch_store_b128 off, v[2:5], off offset:80
	s_wait_xcnt 0x0
	v_cmpx_lt_u32_e32 4, v1
	s_cbranch_execz .LBB63_401
; %bb.400:
	scratch_load_b128 v[2:5], off, s51
	v_mov_b32_e32 v6, 0
	s_delay_alu instid0(VALU_DEP_1)
	v_dual_mov_b32 v7, v6 :: v_dual_mov_b32 v8, v6
	v_mov_b32_e32 v9, v6
	scratch_store_b128 off, v[6:9], off offset:64
	s_wait_loadcnt 0x0
	ds_store_b128 v160, v[2:5]
.LBB63_401:
	s_wait_xcnt 0x0
	s_or_b32 exec_lo, exec_lo, s2
	s_wait_storecnt_dscnt 0x0
	s_barrier_signal -1
	s_barrier_wait -1
	s_clause 0x9
	scratch_load_b128 v[4:7], off, off offset:80
	scratch_load_b128 v[8:11], off, off offset:96
	scratch_load_b128 v[12:15], off, off offset:112
	scratch_load_b128 v[16:19], off, off offset:128
	scratch_load_b128 v[20:23], off, off offset:144
	scratch_load_b128 v[24:27], off, off offset:160
	scratch_load_b128 v[28:31], off, off offset:176
	scratch_load_b128 v[162:165], off, off offset:192
	scratch_load_b128 v[166:169], off, off offset:208
	scratch_load_b128 v[170:173], off, off offset:224
	v_mov_b32_e32 v2, 0
	s_mov_b32 s2, exec_lo
	ds_load_b128 v[174:177], v2 offset:1104
	s_clause 0x2
	scratch_load_b128 v[178:181], off, off offset:240
	scratch_load_b128 v[182:185], off, off offset:64
	;; [unrolled: 1-line block ×3, first 2 shown]
	s_wait_loadcnt_dscnt 0xc00
	v_mul_f64_e32 v[194:195], v[176:177], v[6:7]
	v_mul_f64_e32 v[198:199], v[174:175], v[6:7]
	ds_load_b128 v[186:189], v2 offset:1120
	v_fma_f64 v[202:203], v[174:175], v[4:5], -v[194:195]
	v_fmac_f64_e32 v[198:199], v[176:177], v[4:5]
	ds_load_b128 v[4:7], v2 offset:1136
	s_wait_loadcnt_dscnt 0xb01
	v_mul_f64_e32 v[200:201], v[186:187], v[10:11]
	v_mul_f64_e32 v[10:11], v[188:189], v[10:11]
	scratch_load_b128 v[174:177], off, off offset:272
	ds_load_b128 v[194:197], v2 offset:1152
	s_wait_loadcnt_dscnt 0xb01
	v_mul_f64_e32 v[204:205], v[4:5], v[14:15]
	v_mul_f64_e32 v[14:15], v[6:7], v[14:15]
	v_add_f64_e32 v[198:199], 0, v[198:199]
	v_fmac_f64_e32 v[200:201], v[188:189], v[8:9]
	v_fma_f64 v[186:187], v[186:187], v[8:9], -v[10:11]
	v_add_f64_e32 v[188:189], 0, v[202:203]
	scratch_load_b128 v[8:11], off, off offset:288
	v_fmac_f64_e32 v[204:205], v[6:7], v[12:13]
	v_fma_f64 v[206:207], v[4:5], v[12:13], -v[14:15]
	ds_load_b128 v[4:7], v2 offset:1168
	s_wait_loadcnt_dscnt 0xb01
	v_mul_f64_e32 v[202:203], v[194:195], v[18:19]
	v_mul_f64_e32 v[18:19], v[196:197], v[18:19]
	scratch_load_b128 v[12:15], off, off offset:304
	v_add_f64_e32 v[198:199], v[198:199], v[200:201]
	v_add_f64_e32 v[208:209], v[188:189], v[186:187]
	ds_load_b128 v[186:189], v2 offset:1184
	s_wait_loadcnt_dscnt 0xb01
	v_mul_f64_e32 v[200:201], v[4:5], v[22:23]
	v_mul_f64_e32 v[22:23], v[6:7], v[22:23]
	v_fmac_f64_e32 v[202:203], v[196:197], v[16:17]
	v_fma_f64 v[194:195], v[194:195], v[16:17], -v[18:19]
	scratch_load_b128 v[16:19], off, off offset:320
	v_add_f64_e32 v[198:199], v[198:199], v[204:205]
	v_add_f64_e32 v[196:197], v[208:209], v[206:207]
	v_fmac_f64_e32 v[200:201], v[6:7], v[20:21]
	v_fma_f64 v[206:207], v[4:5], v[20:21], -v[22:23]
	ds_load_b128 v[4:7], v2 offset:1200
	s_wait_loadcnt_dscnt 0xb01
	v_mul_f64_e32 v[204:205], v[186:187], v[26:27]
	v_mul_f64_e32 v[26:27], v[188:189], v[26:27]
	scratch_load_b128 v[20:23], off, off offset:336
	v_add_f64_e32 v[198:199], v[198:199], v[202:203]
	s_wait_loadcnt_dscnt 0xb00
	v_mul_f64_e32 v[202:203], v[4:5], v[30:31]
	v_add_f64_e32 v[208:209], v[196:197], v[194:195]
	v_mul_f64_e32 v[30:31], v[6:7], v[30:31]
	ds_load_b128 v[194:197], v2 offset:1216
	v_fmac_f64_e32 v[204:205], v[188:189], v[24:25]
	v_fma_f64 v[186:187], v[186:187], v[24:25], -v[26:27]
	scratch_load_b128 v[24:27], off, off offset:352
	v_add_f64_e32 v[198:199], v[198:199], v[200:201]
	v_fmac_f64_e32 v[202:203], v[6:7], v[28:29]
	v_add_f64_e32 v[188:189], v[208:209], v[206:207]
	v_fma_f64 v[206:207], v[4:5], v[28:29], -v[30:31]
	ds_load_b128 v[4:7], v2 offset:1232
	s_wait_loadcnt_dscnt 0xb01
	v_mul_f64_e32 v[200:201], v[194:195], v[164:165]
	v_mul_f64_e32 v[164:165], v[196:197], v[164:165]
	scratch_load_b128 v[28:31], off, off offset:368
	v_add_f64_e32 v[198:199], v[198:199], v[204:205]
	s_wait_loadcnt_dscnt 0xb00
	v_mul_f64_e32 v[204:205], v[4:5], v[168:169]
	v_add_f64_e32 v[208:209], v[188:189], v[186:187]
	v_mul_f64_e32 v[168:169], v[6:7], v[168:169]
	ds_load_b128 v[186:189], v2 offset:1248
	v_fmac_f64_e32 v[200:201], v[196:197], v[162:163]
	v_fma_f64 v[194:195], v[194:195], v[162:163], -v[164:165]
	scratch_load_b128 v[162:165], off, off offset:384
	v_add_f64_e32 v[198:199], v[198:199], v[202:203]
	v_fmac_f64_e32 v[204:205], v[6:7], v[166:167]
	v_add_f64_e32 v[196:197], v[208:209], v[206:207]
	;; [unrolled: 18-line block ×3, first 2 shown]
	v_fma_f64 v[206:207], v[4:5], v[178:179], -v[180:181]
	ds_load_b128 v[4:7], v2 offset:1296
	s_wait_loadcnt_dscnt 0xa01
	v_mul_f64_e32 v[204:205], v[194:195], v[192:193]
	v_mul_f64_e32 v[192:193], v[196:197], v[192:193]
	scratch_load_b128 v[178:181], off, off offset:432
	v_add_f64_e32 v[198:199], v[198:199], v[202:203]
	v_add_f64_e32 v[208:209], v[188:189], v[186:187]
	s_wait_loadcnt_dscnt 0xa00
	v_mul_f64_e32 v[202:203], v[4:5], v[176:177]
	v_mul_f64_e32 v[176:177], v[6:7], v[176:177]
	v_fmac_f64_e32 v[204:205], v[196:197], v[190:191]
	v_fma_f64 v[194:195], v[194:195], v[190:191], -v[192:193]
	ds_load_b128 v[186:189], v2 offset:1312
	scratch_load_b128 v[190:193], off, off offset:448
	v_add_f64_e32 v[198:199], v[198:199], v[200:201]
	v_add_f64_e32 v[196:197], v[208:209], v[206:207]
	v_fmac_f64_e32 v[202:203], v[6:7], v[174:175]
	v_fma_f64 v[206:207], v[4:5], v[174:175], -v[176:177]
	ds_load_b128 v[4:7], v2 offset:1328
	s_wait_loadcnt_dscnt 0xa01
	v_mul_f64_e32 v[200:201], v[186:187], v[10:11]
	v_mul_f64_e32 v[10:11], v[188:189], v[10:11]
	scratch_load_b128 v[174:177], off, off offset:464
	v_add_f64_e32 v[198:199], v[198:199], v[204:205]
	s_wait_loadcnt_dscnt 0xa00
	v_mul_f64_e32 v[204:205], v[4:5], v[14:15]
	v_add_f64_e32 v[208:209], v[196:197], v[194:195]
	v_mul_f64_e32 v[14:15], v[6:7], v[14:15]
	ds_load_b128 v[194:197], v2 offset:1344
	v_fmac_f64_e32 v[200:201], v[188:189], v[8:9]
	v_fma_f64 v[186:187], v[186:187], v[8:9], -v[10:11]
	scratch_load_b128 v[8:11], off, off offset:480
	v_add_f64_e32 v[198:199], v[198:199], v[202:203]
	v_fmac_f64_e32 v[204:205], v[6:7], v[12:13]
	v_add_f64_e32 v[188:189], v[208:209], v[206:207]
	v_fma_f64 v[206:207], v[4:5], v[12:13], -v[14:15]
	ds_load_b128 v[4:7], v2 offset:1360
	s_wait_loadcnt_dscnt 0xa01
	v_mul_f64_e32 v[202:203], v[194:195], v[18:19]
	v_mul_f64_e32 v[18:19], v[196:197], v[18:19]
	scratch_load_b128 v[12:15], off, off offset:496
	v_add_f64_e32 v[198:199], v[198:199], v[200:201]
	s_wait_loadcnt_dscnt 0xa00
	v_mul_f64_e32 v[200:201], v[4:5], v[22:23]
	v_add_f64_e32 v[208:209], v[188:189], v[186:187]
	v_mul_f64_e32 v[22:23], v[6:7], v[22:23]
	ds_load_b128 v[186:189], v2 offset:1376
	v_fmac_f64_e32 v[202:203], v[196:197], v[16:17]
	v_fma_f64 v[194:195], v[194:195], v[16:17], -v[18:19]
	scratch_load_b128 v[16:19], off, off offset:512
	v_add_f64_e32 v[198:199], v[198:199], v[204:205]
	v_fmac_f64_e32 v[200:201], v[6:7], v[20:21]
	v_add_f64_e32 v[196:197], v[208:209], v[206:207]
	;; [unrolled: 18-line block ×17, first 2 shown]
	v_fma_f64 v[206:207], v[4:5], v[178:179], -v[180:181]
	ds_load_b128 v[4:7], v2 offset:1872
	s_wait_loadcnt_dscnt 0xa01
	v_mul_f64_e32 v[204:205], v[194:195], v[192:193]
	v_mul_f64_e32 v[192:193], v[196:197], v[192:193]
	scratch_load_b128 v[178:181], off, off offset:1008
	v_add_f64_e32 v[198:199], v[198:199], v[202:203]
	s_wait_loadcnt_dscnt 0xa00
	v_mul_f64_e32 v[202:203], v[4:5], v[176:177]
	v_add_f64_e32 v[208:209], v[188:189], v[186:187]
	v_mul_f64_e32 v[176:177], v[6:7], v[176:177]
	ds_load_b128 v[186:189], v2 offset:1888
	v_fmac_f64_e32 v[204:205], v[196:197], v[190:191]
	v_fma_f64 v[190:191], v[194:195], v[190:191], -v[192:193]
	s_wait_loadcnt_dscnt 0x900
	v_mul_f64_e32 v[196:197], v[186:187], v[10:11]
	v_mul_f64_e32 v[10:11], v[188:189], v[10:11]
	v_add_f64_e32 v[194:195], v[198:199], v[200:201]
	v_fmac_f64_e32 v[202:203], v[6:7], v[174:175]
	v_add_f64_e32 v[192:193], v[208:209], v[206:207]
	v_fma_f64 v[198:199], v[4:5], v[174:175], -v[176:177]
	ds_load_b128 v[4:7], v2 offset:1904
	ds_load_b128 v[174:177], v2 offset:1920
	v_fmac_f64_e32 v[196:197], v[188:189], v[8:9]
	v_fma_f64 v[8:9], v[186:187], v[8:9], -v[10:11]
	v_add_f64_e32 v[190:191], v[192:193], v[190:191]
	v_add_f64_e32 v[192:193], v[194:195], v[204:205]
	s_wait_loadcnt_dscnt 0x801
	v_mul_f64_e32 v[194:195], v[4:5], v[14:15]
	v_mul_f64_e32 v[14:15], v[6:7], v[14:15]
	s_wait_loadcnt_dscnt 0x700
	v_mul_f64_e32 v[188:189], v[174:175], v[18:19]
	v_mul_f64_e32 v[18:19], v[176:177], v[18:19]
	v_add_f64_e32 v[10:11], v[190:191], v[198:199]
	v_add_f64_e32 v[186:187], v[192:193], v[202:203]
	v_fmac_f64_e32 v[194:195], v[6:7], v[12:13]
	v_fma_f64 v[12:13], v[4:5], v[12:13], -v[14:15]
	v_fmac_f64_e32 v[188:189], v[176:177], v[16:17]
	v_fma_f64 v[16:17], v[174:175], v[16:17], -v[18:19]
	v_add_f64_e32 v[14:15], v[10:11], v[8:9]
	v_add_f64_e32 v[186:187], v[186:187], v[196:197]
	ds_load_b128 v[4:7], v2 offset:1936
	ds_load_b128 v[8:11], v2 offset:1952
	s_wait_loadcnt_dscnt 0x601
	v_mul_f64_e32 v[190:191], v[4:5], v[22:23]
	v_mul_f64_e32 v[22:23], v[6:7], v[22:23]
	s_wait_loadcnt_dscnt 0x500
	v_mul_f64_e32 v[18:19], v[8:9], v[26:27]
	v_mul_f64_e32 v[26:27], v[10:11], v[26:27]
	v_add_f64_e32 v[12:13], v[14:15], v[12:13]
	v_add_f64_e32 v[14:15], v[186:187], v[194:195]
	v_fmac_f64_e32 v[190:191], v[6:7], v[20:21]
	v_fma_f64 v[20:21], v[4:5], v[20:21], -v[22:23]
	v_fmac_f64_e32 v[18:19], v[10:11], v[24:25]
	v_fma_f64 v[8:9], v[8:9], v[24:25], -v[26:27]
	v_add_f64_e32 v[16:17], v[12:13], v[16:17]
	v_add_f64_e32 v[22:23], v[14:15], v[188:189]
	ds_load_b128 v[4:7], v2 offset:1968
	ds_load_b128 v[12:15], v2 offset:1984
	s_wait_loadcnt_dscnt 0x401
	v_mul_f64_e32 v[174:175], v[4:5], v[30:31]
	v_mul_f64_e32 v[30:31], v[6:7], v[30:31]
	v_add_f64_e32 v[10:11], v[16:17], v[20:21]
	v_add_f64_e32 v[16:17], v[22:23], v[190:191]
	s_wait_loadcnt_dscnt 0x300
	v_mul_f64_e32 v[20:21], v[12:13], v[164:165]
	v_mul_f64_e32 v[22:23], v[14:15], v[164:165]
	v_fmac_f64_e32 v[174:175], v[6:7], v[28:29]
	v_fma_f64 v[24:25], v[4:5], v[28:29], -v[30:31]
	v_add_f64_e32 v[26:27], v[10:11], v[8:9]
	v_add_f64_e32 v[16:17], v[16:17], v[18:19]
	ds_load_b128 v[4:7], v2 offset:2000
	ds_load_b128 v[8:11], v2 offset:2016
	v_fmac_f64_e32 v[20:21], v[14:15], v[162:163]
	v_fma_f64 v[12:13], v[12:13], v[162:163], -v[22:23]
	s_wait_loadcnt_dscnt 0x201
	v_mul_f64_e32 v[18:19], v[4:5], v[168:169]
	v_mul_f64_e32 v[28:29], v[6:7], v[168:169]
	s_wait_loadcnt_dscnt 0x100
	v_mul_f64_e32 v[22:23], v[8:9], v[172:173]
	v_add_f64_e32 v[14:15], v[26:27], v[24:25]
	v_add_f64_e32 v[16:17], v[16:17], v[174:175]
	v_mul_f64_e32 v[24:25], v[10:11], v[172:173]
	v_fmac_f64_e32 v[18:19], v[6:7], v[166:167]
	v_fma_f64 v[26:27], v[4:5], v[166:167], -v[28:29]
	ds_load_b128 v[4:7], v2 offset:2032
	v_fmac_f64_e32 v[22:23], v[10:11], v[170:171]
	v_add_f64_e32 v[12:13], v[14:15], v[12:13]
	v_add_f64_e32 v[14:15], v[16:17], v[20:21]
	v_fma_f64 v[8:9], v[8:9], v[170:171], -v[24:25]
	s_wait_loadcnt_dscnt 0x0
	v_mul_f64_e32 v[16:17], v[4:5], v[180:181]
	v_mul_f64_e32 v[20:21], v[6:7], v[180:181]
	v_add_f64_e32 v[10:11], v[12:13], v[26:27]
	v_add_f64_e32 v[12:13], v[14:15], v[18:19]
	s_delay_alu instid0(VALU_DEP_4) | instskip(NEXT) | instid1(VALU_DEP_4)
	v_fmac_f64_e32 v[16:17], v[6:7], v[178:179]
	v_fma_f64 v[4:5], v[4:5], v[178:179], -v[20:21]
	s_delay_alu instid0(VALU_DEP_4) | instskip(NEXT) | instid1(VALU_DEP_4)
	v_add_f64_e32 v[6:7], v[10:11], v[8:9]
	v_add_f64_e32 v[8:9], v[12:13], v[22:23]
	s_delay_alu instid0(VALU_DEP_2) | instskip(NEXT) | instid1(VALU_DEP_2)
	v_add_f64_e32 v[4:5], v[6:7], v[4:5]
	v_add_f64_e32 v[6:7], v[8:9], v[16:17]
	s_delay_alu instid0(VALU_DEP_2) | instskip(NEXT) | instid1(VALU_DEP_2)
	v_add_f64_e64 v[4:5], v[182:183], -v[4:5]
	v_add_f64_e64 v[6:7], v[184:185], -v[6:7]
	scratch_store_b128 off, v[4:7], off offset:64
	s_wait_xcnt 0x0
	v_cmpx_lt_u32_e32 3, v1
	s_cbranch_execz .LBB63_403
; %bb.402:
	scratch_load_b128 v[6:9], off, s52
	v_dual_mov_b32 v3, v2 :: v_dual_mov_b32 v4, v2
	v_mov_b32_e32 v5, v2
	scratch_store_b128 off, v[2:5], off offset:48
	s_wait_loadcnt 0x0
	ds_store_b128 v160, v[6:9]
.LBB63_403:
	s_wait_xcnt 0x0
	s_or_b32 exec_lo, exec_lo, s2
	s_wait_storecnt_dscnt 0x0
	s_barrier_signal -1
	s_barrier_wait -1
	s_clause 0x9
	scratch_load_b128 v[4:7], off, off offset:64
	scratch_load_b128 v[8:11], off, off offset:80
	scratch_load_b128 v[12:15], off, off offset:96
	scratch_load_b128 v[16:19], off, off offset:112
	scratch_load_b128 v[20:23], off, off offset:128
	scratch_load_b128 v[24:27], off, off offset:144
	scratch_load_b128 v[28:31], off, off offset:160
	scratch_load_b128 v[162:165], off, off offset:176
	scratch_load_b128 v[166:169], off, off offset:192
	scratch_load_b128 v[170:173], off, off offset:208
	ds_load_b128 v[174:177], v2 offset:1088
	ds_load_b128 v[182:185], v2 offset:1104
	s_clause 0x2
	scratch_load_b128 v[178:181], off, off offset:224
	scratch_load_b128 v[186:189], off, off offset:48
	;; [unrolled: 1-line block ×3, first 2 shown]
	s_mov_b32 s2, exec_lo
	s_wait_loadcnt_dscnt 0xc01
	v_mul_f64_e32 v[194:195], v[176:177], v[6:7]
	v_mul_f64_e32 v[198:199], v[174:175], v[6:7]
	s_wait_loadcnt_dscnt 0xb00
	v_mul_f64_e32 v[200:201], v[182:183], v[10:11]
	v_mul_f64_e32 v[10:11], v[184:185], v[10:11]
	s_delay_alu instid0(VALU_DEP_4) | instskip(NEXT) | instid1(VALU_DEP_4)
	v_fma_f64 v[202:203], v[174:175], v[4:5], -v[194:195]
	v_fmac_f64_e32 v[198:199], v[176:177], v[4:5]
	ds_load_b128 v[4:7], v2 offset:1120
	ds_load_b128 v[174:177], v2 offset:1136
	scratch_load_b128 v[194:197], off, off offset:256
	v_fmac_f64_e32 v[200:201], v[184:185], v[8:9]
	v_fma_f64 v[182:183], v[182:183], v[8:9], -v[10:11]
	scratch_load_b128 v[8:11], off, off offset:272
	s_wait_loadcnt_dscnt 0xc01
	v_mul_f64_e32 v[204:205], v[4:5], v[14:15]
	v_mul_f64_e32 v[14:15], v[6:7], v[14:15]
	v_add_f64_e32 v[184:185], 0, v[202:203]
	v_add_f64_e32 v[198:199], 0, v[198:199]
	s_wait_loadcnt_dscnt 0xb00
	v_mul_f64_e32 v[202:203], v[174:175], v[18:19]
	v_mul_f64_e32 v[18:19], v[176:177], v[18:19]
	v_fmac_f64_e32 v[204:205], v[6:7], v[12:13]
	v_fma_f64 v[206:207], v[4:5], v[12:13], -v[14:15]
	ds_load_b128 v[4:7], v2 offset:1152
	ds_load_b128 v[12:15], v2 offset:1168
	v_add_f64_e32 v[208:209], v[184:185], v[182:183]
	v_add_f64_e32 v[198:199], v[198:199], v[200:201]
	scratch_load_b128 v[182:185], off, off offset:288
	v_fmac_f64_e32 v[202:203], v[176:177], v[16:17]
	v_fma_f64 v[174:175], v[174:175], v[16:17], -v[18:19]
	scratch_load_b128 v[16:19], off, off offset:304
	s_wait_loadcnt_dscnt 0xc01
	v_mul_f64_e32 v[200:201], v[4:5], v[22:23]
	v_mul_f64_e32 v[22:23], v[6:7], v[22:23]
	v_add_f64_e32 v[176:177], v[208:209], v[206:207]
	v_add_f64_e32 v[198:199], v[198:199], v[204:205]
	s_wait_loadcnt_dscnt 0xb00
	v_mul_f64_e32 v[204:205], v[12:13], v[26:27]
	v_mul_f64_e32 v[26:27], v[14:15], v[26:27]
	v_fmac_f64_e32 v[200:201], v[6:7], v[20:21]
	v_fma_f64 v[206:207], v[4:5], v[20:21], -v[22:23]
	ds_load_b128 v[4:7], v2 offset:1184
	ds_load_b128 v[20:23], v2 offset:1200
	v_add_f64_e32 v[208:209], v[176:177], v[174:175]
	v_add_f64_e32 v[198:199], v[198:199], v[202:203]
	scratch_load_b128 v[174:177], off, off offset:320
	s_wait_loadcnt_dscnt 0xb01
	v_mul_f64_e32 v[202:203], v[4:5], v[30:31]
	v_mul_f64_e32 v[30:31], v[6:7], v[30:31]
	v_fmac_f64_e32 v[204:205], v[14:15], v[24:25]
	v_fma_f64 v[24:25], v[12:13], v[24:25], -v[26:27]
	scratch_load_b128 v[12:15], off, off offset:336
	v_add_f64_e32 v[26:27], v[208:209], v[206:207]
	v_add_f64_e32 v[198:199], v[198:199], v[200:201]
	s_wait_loadcnt_dscnt 0xb00
	v_mul_f64_e32 v[200:201], v[20:21], v[164:165]
	v_mul_f64_e32 v[164:165], v[22:23], v[164:165]
	v_fmac_f64_e32 v[202:203], v[6:7], v[28:29]
	v_fma_f64 v[206:207], v[4:5], v[28:29], -v[30:31]
	v_add_f64_e32 v[208:209], v[26:27], v[24:25]
	v_add_f64_e32 v[198:199], v[198:199], v[204:205]
	ds_load_b128 v[4:7], v2 offset:1216
	ds_load_b128 v[24:27], v2 offset:1232
	scratch_load_b128 v[28:31], off, off offset:352
	v_fmac_f64_e32 v[200:201], v[22:23], v[162:163]
	v_fma_f64 v[162:163], v[20:21], v[162:163], -v[164:165]
	scratch_load_b128 v[20:23], off, off offset:368
	s_wait_loadcnt_dscnt 0xc01
	v_mul_f64_e32 v[204:205], v[4:5], v[168:169]
	v_mul_f64_e32 v[168:169], v[6:7], v[168:169]
	v_add_f64_e32 v[164:165], v[208:209], v[206:207]
	v_add_f64_e32 v[198:199], v[198:199], v[202:203]
	s_wait_loadcnt_dscnt 0xb00
	v_mul_f64_e32 v[202:203], v[24:25], v[172:173]
	v_mul_f64_e32 v[172:173], v[26:27], v[172:173]
	v_fmac_f64_e32 v[204:205], v[6:7], v[166:167]
	v_fma_f64 v[206:207], v[4:5], v[166:167], -v[168:169]
	v_add_f64_e32 v[208:209], v[164:165], v[162:163]
	v_add_f64_e32 v[198:199], v[198:199], v[200:201]
	ds_load_b128 v[4:7], v2 offset:1248
	ds_load_b128 v[162:165], v2 offset:1264
	scratch_load_b128 v[166:169], off, off offset:384
	v_fmac_f64_e32 v[202:203], v[26:27], v[170:171]
	v_fma_f64 v[170:171], v[24:25], v[170:171], -v[172:173]
	scratch_load_b128 v[24:27], off, off offset:400
	s_wait_loadcnt_dscnt 0xc01
	v_mul_f64_e32 v[200:201], v[4:5], v[180:181]
	v_mul_f64_e32 v[180:181], v[6:7], v[180:181]
	;; [unrolled: 18-line block ×5, first 2 shown]
	v_add_f64_e32 v[192:193], v[208:209], v[206:207]
	v_add_f64_e32 v[198:199], v[198:199], v[204:205]
	s_wait_loadcnt_dscnt 0xa00
	v_mul_f64_e32 v[204:205], v[170:171], v[14:15]
	v_mul_f64_e32 v[14:15], v[172:173], v[14:15]
	v_fmac_f64_e32 v[200:201], v[6:7], v[174:175]
	v_fma_f64 v[206:207], v[4:5], v[174:175], -v[176:177]
	ds_load_b128 v[4:7], v2 offset:1376
	ds_load_b128 v[174:177], v2 offset:1392
	v_add_f64_e32 v[208:209], v[192:193], v[190:191]
	v_add_f64_e32 v[198:199], v[198:199], v[202:203]
	scratch_load_b128 v[190:193], off, off offset:512
	v_fmac_f64_e32 v[204:205], v[172:173], v[12:13]
	v_fma_f64 v[170:171], v[170:171], v[12:13], -v[14:15]
	scratch_load_b128 v[12:15], off, off offset:528
	s_wait_loadcnt_dscnt 0xb01
	v_mul_f64_e32 v[202:203], v[4:5], v[30:31]
	v_mul_f64_e32 v[30:31], v[6:7], v[30:31]
	v_add_f64_e32 v[172:173], v[208:209], v[206:207]
	v_add_f64_e32 v[198:199], v[198:199], v[200:201]
	s_wait_loadcnt_dscnt 0xa00
	v_mul_f64_e32 v[200:201], v[174:175], v[22:23]
	v_mul_f64_e32 v[22:23], v[176:177], v[22:23]
	v_fmac_f64_e32 v[202:203], v[6:7], v[28:29]
	v_fma_f64 v[206:207], v[4:5], v[28:29], -v[30:31]
	ds_load_b128 v[4:7], v2 offset:1408
	ds_load_b128 v[28:31], v2 offset:1424
	v_add_f64_e32 v[208:209], v[172:173], v[170:171]
	v_add_f64_e32 v[198:199], v[198:199], v[204:205]
	scratch_load_b128 v[170:173], off, off offset:544
	s_wait_loadcnt_dscnt 0xa01
	v_mul_f64_e32 v[204:205], v[4:5], v[168:169]
	v_mul_f64_e32 v[168:169], v[6:7], v[168:169]
	v_fmac_f64_e32 v[200:201], v[176:177], v[20:21]
	v_fma_f64 v[174:175], v[174:175], v[20:21], -v[22:23]
	scratch_load_b128 v[20:23], off, off offset:560
	v_add_f64_e32 v[176:177], v[208:209], v[206:207]
	v_add_f64_e32 v[198:199], v[198:199], v[202:203]
	s_wait_loadcnt_dscnt 0xa00
	v_mul_f64_e32 v[202:203], v[28:29], v[26:27]
	v_mul_f64_e32 v[26:27], v[30:31], v[26:27]
	v_fmac_f64_e32 v[204:205], v[6:7], v[166:167]
	v_fma_f64 v[206:207], v[4:5], v[166:167], -v[168:169]
	ds_load_b128 v[4:7], v2 offset:1440
	ds_load_b128 v[166:169], v2 offset:1456
	v_add_f64_e32 v[208:209], v[176:177], v[174:175]
	v_add_f64_e32 v[198:199], v[198:199], v[200:201]
	scratch_load_b128 v[174:177], off, off offset:576
	s_wait_loadcnt_dscnt 0xa01
	v_mul_f64_e32 v[200:201], v[4:5], v[180:181]
	v_mul_f64_e32 v[180:181], v[6:7], v[180:181]
	v_fmac_f64_e32 v[202:203], v[30:31], v[24:25]
	v_fma_f64 v[28:29], v[28:29], v[24:25], -v[26:27]
	scratch_load_b128 v[24:27], off, off offset:592
	v_add_f64_e32 v[30:31], v[208:209], v[206:207]
	v_add_f64_e32 v[198:199], v[198:199], v[204:205]
	s_wait_loadcnt_dscnt 0xa00
	v_mul_f64_e32 v[204:205], v[166:167], v[164:165]
	v_mul_f64_e32 v[164:165], v[168:169], v[164:165]
	v_fmac_f64_e32 v[200:201], v[6:7], v[178:179]
	v_fma_f64 v[206:207], v[4:5], v[178:179], -v[180:181]
	v_add_f64_e32 v[208:209], v[30:31], v[28:29]
	v_add_f64_e32 v[198:199], v[198:199], v[202:203]
	ds_load_b128 v[4:7], v2 offset:1472
	ds_load_b128 v[28:31], v2 offset:1488
	scratch_load_b128 v[178:181], off, off offset:608
	v_fmac_f64_e32 v[204:205], v[168:169], v[162:163]
	v_fma_f64 v[166:167], v[166:167], v[162:163], -v[164:165]
	scratch_load_b128 v[162:165], off, off offset:624
	s_wait_loadcnt_dscnt 0xb01
	v_mul_f64_e32 v[202:203], v[4:5], v[196:197]
	v_mul_f64_e32 v[196:197], v[6:7], v[196:197]
	v_add_f64_e32 v[168:169], v[208:209], v[206:207]
	v_add_f64_e32 v[198:199], v[198:199], v[200:201]
	s_wait_loadcnt_dscnt 0xa00
	v_mul_f64_e32 v[200:201], v[28:29], v[10:11]
	v_mul_f64_e32 v[10:11], v[30:31], v[10:11]
	v_fmac_f64_e32 v[202:203], v[6:7], v[194:195]
	v_fma_f64 v[206:207], v[4:5], v[194:195], -v[196:197]
	v_add_f64_e32 v[208:209], v[168:169], v[166:167]
	v_add_f64_e32 v[198:199], v[198:199], v[204:205]
	ds_load_b128 v[4:7], v2 offset:1504
	ds_load_b128 v[166:169], v2 offset:1520
	scratch_load_b128 v[194:197], off, off offset:640
	v_fmac_f64_e32 v[200:201], v[30:31], v[8:9]
	v_fma_f64 v[28:29], v[28:29], v[8:9], -v[10:11]
	scratch_load_b128 v[8:11], off, off offset:656
	s_wait_loadcnt_dscnt 0xb01
	v_mul_f64_e32 v[204:205], v[4:5], v[184:185]
	v_mul_f64_e32 v[184:185], v[6:7], v[184:185]
	;; [unrolled: 18-line block ×13, first 2 shown]
	v_add_f64_e32 v[168:169], v[208:209], v[206:207]
	v_add_f64_e32 v[198:199], v[198:199], v[200:201]
	s_wait_loadcnt_dscnt 0xa00
	v_mul_f64_e32 v[200:201], v[28:29], v[10:11]
	v_mul_f64_e32 v[10:11], v[30:31], v[10:11]
	v_fmac_f64_e32 v[202:203], v[6:7], v[194:195]
	v_fma_f64 v[194:195], v[4:5], v[194:195], -v[196:197]
	v_add_f64_e32 v[196:197], v[168:169], v[166:167]
	v_add_f64_e32 v[198:199], v[198:199], v[204:205]
	ds_load_b128 v[4:7], v2 offset:1888
	ds_load_b128 v[166:169], v2 offset:1904
	v_fmac_f64_e32 v[200:201], v[30:31], v[8:9]
	v_fma_f64 v[8:9], v[28:29], v[8:9], -v[10:11]
	s_wait_loadcnt_dscnt 0x901
	v_mul_f64_e32 v[204:205], v[4:5], v[184:185]
	v_mul_f64_e32 v[184:185], v[6:7], v[184:185]
	s_wait_loadcnt_dscnt 0x800
	v_mul_f64_e32 v[30:31], v[166:167], v[18:19]
	v_mul_f64_e32 v[18:19], v[168:169], v[18:19]
	v_add_f64_e32 v[10:11], v[196:197], v[194:195]
	v_add_f64_e32 v[28:29], v[198:199], v[202:203]
	v_fmac_f64_e32 v[204:205], v[6:7], v[182:183]
	v_fma_f64 v[182:183], v[4:5], v[182:183], -v[184:185]
	v_fmac_f64_e32 v[30:31], v[168:169], v[16:17]
	v_fma_f64 v[16:17], v[166:167], v[16:17], -v[18:19]
	v_add_f64_e32 v[184:185], v[10:11], v[8:9]
	v_add_f64_e32 v[28:29], v[28:29], v[200:201]
	ds_load_b128 v[4:7], v2 offset:1920
	ds_load_b128 v[8:11], v2 offset:1936
	s_wait_loadcnt_dscnt 0x701
	v_mul_f64_e32 v[194:195], v[4:5], v[192:193]
	v_mul_f64_e32 v[192:193], v[6:7], v[192:193]
	s_wait_loadcnt_dscnt 0x600
	v_mul_f64_e32 v[166:167], v[8:9], v[14:15]
	v_mul_f64_e32 v[168:169], v[10:11], v[14:15]
	v_add_f64_e32 v[18:19], v[184:185], v[182:183]
	v_add_f64_e32 v[28:29], v[28:29], v[204:205]
	v_fmac_f64_e32 v[194:195], v[6:7], v[190:191]
	v_fma_f64 v[182:183], v[4:5], v[190:191], -v[192:193]
	v_fmac_f64_e32 v[166:167], v[10:11], v[12:13]
	v_fma_f64 v[8:9], v[8:9], v[12:13], -v[168:169]
	v_add_f64_e32 v[18:19], v[18:19], v[16:17]
	v_add_f64_e32 v[28:29], v[28:29], v[30:31]
	ds_load_b128 v[4:7], v2 offset:1952
	ds_load_b128 v[14:17], v2 offset:1968
	s_wait_loadcnt_dscnt 0x501
	v_mul_f64_e32 v[30:31], v[4:5], v[172:173]
	v_mul_f64_e32 v[172:173], v[6:7], v[172:173]
	v_add_f64_e32 v[10:11], v[18:19], v[182:183]
	v_add_f64_e32 v[12:13], v[28:29], v[194:195]
	s_wait_loadcnt_dscnt 0x400
	v_mul_f64_e32 v[18:19], v[14:15], v[22:23]
	v_mul_f64_e32 v[22:23], v[16:17], v[22:23]
	v_fmac_f64_e32 v[30:31], v[6:7], v[170:171]
	v_fma_f64 v[28:29], v[4:5], v[170:171], -v[172:173]
	v_add_f64_e32 v[168:169], v[10:11], v[8:9]
	v_add_f64_e32 v[12:13], v[12:13], v[166:167]
	ds_load_b128 v[4:7], v2 offset:1984
	ds_load_b128 v[8:11], v2 offset:2000
	v_fmac_f64_e32 v[18:19], v[16:17], v[20:21]
	v_fma_f64 v[14:15], v[14:15], v[20:21], -v[22:23]
	s_wait_loadcnt_dscnt 0x301
	v_mul_f64_e32 v[166:167], v[4:5], v[176:177]
	v_mul_f64_e32 v[170:171], v[6:7], v[176:177]
	s_wait_loadcnt_dscnt 0x200
	v_mul_f64_e32 v[20:21], v[8:9], v[26:27]
	v_mul_f64_e32 v[22:23], v[10:11], v[26:27]
	v_add_f64_e32 v[16:17], v[168:169], v[28:29]
	v_add_f64_e32 v[12:13], v[12:13], v[30:31]
	v_fmac_f64_e32 v[166:167], v[6:7], v[174:175]
	v_fma_f64 v[26:27], v[4:5], v[174:175], -v[170:171]
	v_fmac_f64_e32 v[20:21], v[10:11], v[24:25]
	v_fma_f64 v[8:9], v[8:9], v[24:25], -v[22:23]
	v_add_f64_e32 v[16:17], v[16:17], v[14:15]
	v_add_f64_e32 v[18:19], v[12:13], v[18:19]
	ds_load_b128 v[4:7], v2 offset:2016
	ds_load_b128 v[12:15], v2 offset:2032
	s_wait_loadcnt_dscnt 0x101
	v_mul_f64_e32 v[2:3], v[4:5], v[180:181]
	v_mul_f64_e32 v[28:29], v[6:7], v[180:181]
	s_wait_loadcnt_dscnt 0x0
	v_mul_f64_e32 v[22:23], v[14:15], v[164:165]
	v_add_f64_e32 v[10:11], v[16:17], v[26:27]
	v_add_f64_e32 v[16:17], v[18:19], v[166:167]
	v_mul_f64_e32 v[18:19], v[12:13], v[164:165]
	v_fmac_f64_e32 v[2:3], v[6:7], v[178:179]
	v_fma_f64 v[4:5], v[4:5], v[178:179], -v[28:29]
	v_add_f64_e32 v[6:7], v[10:11], v[8:9]
	v_add_f64_e32 v[8:9], v[16:17], v[20:21]
	v_fmac_f64_e32 v[18:19], v[14:15], v[162:163]
	v_fma_f64 v[10:11], v[12:13], v[162:163], -v[22:23]
	s_delay_alu instid0(VALU_DEP_4) | instskip(NEXT) | instid1(VALU_DEP_4)
	v_add_f64_e32 v[4:5], v[6:7], v[4:5]
	v_add_f64_e32 v[2:3], v[8:9], v[2:3]
	s_delay_alu instid0(VALU_DEP_2) | instskip(NEXT) | instid1(VALU_DEP_2)
	v_add_f64_e32 v[4:5], v[4:5], v[10:11]
	v_add_f64_e32 v[6:7], v[2:3], v[18:19]
	s_delay_alu instid0(VALU_DEP_2) | instskip(NEXT) | instid1(VALU_DEP_2)
	v_add_f64_e64 v[2:3], v[186:187], -v[4:5]
	v_add_f64_e64 v[4:5], v[188:189], -v[6:7]
	scratch_store_b128 off, v[2:5], off offset:48
	s_wait_xcnt 0x0
	v_cmpx_lt_u32_e32 2, v1
	s_cbranch_execz .LBB63_405
; %bb.404:
	scratch_load_b128 v[2:5], off, s53
	v_mov_b32_e32 v6, 0
	s_delay_alu instid0(VALU_DEP_1)
	v_dual_mov_b32 v7, v6 :: v_dual_mov_b32 v8, v6
	v_mov_b32_e32 v9, v6
	scratch_store_b128 off, v[6:9], off offset:32
	s_wait_loadcnt 0x0
	ds_store_b128 v160, v[2:5]
.LBB63_405:
	s_wait_xcnt 0x0
	s_or_b32 exec_lo, exec_lo, s2
	s_wait_storecnt_dscnt 0x0
	s_barrier_signal -1
	s_barrier_wait -1
	s_clause 0x9
	scratch_load_b128 v[4:7], off, off offset:48
	scratch_load_b128 v[8:11], off, off offset:64
	;; [unrolled: 1-line block ×10, first 2 shown]
	v_mov_b32_e32 v2, 0
	s_mov_b32 s2, exec_lo
	v_dual_ashrrev_i32 v37, 31, v36 :: v_dual_ashrrev_i32 v39, 31, v38
	v_ashrrev_i32_e32 v41, 31, v40
	ds_load_b128 v[174:177], v2 offset:1072
	s_clause 0x2
	scratch_load_b128 v[178:181], off, off offset:208
	scratch_load_b128 v[182:185], off, off offset:32
	;; [unrolled: 1-line block ×3, first 2 shown]
	v_ashrrev_i32_e32 v45, 31, v44
	v_ashrrev_i32_e32 v49, 31, v48
	v_dual_ashrrev_i32 v53, 31, v52 :: v_dual_ashrrev_i32 v43, 31, v42
	v_ashrrev_i32_e32 v57, 31, v56
	v_dual_ashrrev_i32 v61, 31, v60 :: v_dual_ashrrev_i32 v47, 31, v46
	;; [unrolled: 2-line block ×3, first 2 shown]
	v_ashrrev_i32_e32 v73, 31, v72
	v_ashrrev_i32_e32 v77, 31, v76
	v_dual_ashrrev_i32 v81, 31, v80 :: v_dual_ashrrev_i32 v55, 31, v54
	v_dual_ashrrev_i32 v59, 31, v58 :: v_dual_ashrrev_i32 v85, 31, v84
	;; [unrolled: 1-line block ×3, first 2 shown]
	v_ashrrev_i32_e32 v93, 31, v92
	v_ashrrev_i32_e32 v97, 31, v96
	;; [unrolled: 1-line block ×4, first 2 shown]
	v_dual_ashrrev_i32 v109, 31, v108 :: v_dual_ashrrev_i32 v67, 31, v66
	v_dual_ashrrev_i32 v71, 31, v70 :: v_dual_ashrrev_i32 v113, 31, v112
	v_ashrrev_i32_e32 v75, 31, v74
	v_ashrrev_i32_e32 v79, 31, v78
	;; [unrolled: 1-line block ×3, first 2 shown]
	v_dual_ashrrev_i32 v87, 31, v86 :: v_dual_ashrrev_i32 v117, 31, v116
	v_ashrrev_i32_e32 v91, 31, v90
	v_dual_ashrrev_i32 v95, 31, v94 :: v_dual_ashrrev_i32 v121, 31, v120
	v_ashrrev_i32_e32 v125, 31, v124
	v_dual_ashrrev_i32 v129, 31, v128 :: v_dual_ashrrev_i32 v99, 31, v98
	v_dual_ashrrev_i32 v103, 31, v102 :: v_dual_ashrrev_i32 v133, 31, v132
	;; [unrolled: 1-line block ×3, first 2 shown]
	v_ashrrev_i32_e32 v111, 31, v110
	v_dual_ashrrev_i32 v115, 31, v114 :: v_dual_ashrrev_i32 v141, 31, v140
	v_dual_ashrrev_i32 v119, 31, v118 :: v_dual_ashrrev_i32 v145, 31, v144
	v_ashrrev_i32_e32 v123, 31, v122
	v_dual_ashrrev_i32 v127, 31, v126 :: v_dual_ashrrev_i32 v149, 31, v148
	v_ashrrev_i32_e32 v153, 31, v152
	;; [unrolled: 2-line block ×3, first 2 shown]
	v_ashrrev_i32_e32 v139, 31, v138
	v_ashrrev_i32_e32 v143, 31, v142
	;; [unrolled: 1-line block ×6, first 2 shown]
	s_wait_loadcnt_dscnt 0xc00
	v_mul_f64_e32 v[194:195], v[176:177], v[6:7]
	v_mul_f64_e32 v[198:199], v[174:175], v[6:7]
	ds_load_b128 v[186:189], v2 offset:1088
	v_fma_f64 v[202:203], v[174:175], v[4:5], -v[194:195]
	v_fmac_f64_e32 v[198:199], v[176:177], v[4:5]
	ds_load_b128 v[4:7], v2 offset:1104
	s_wait_loadcnt_dscnt 0xb01
	v_mul_f64_e32 v[200:201], v[186:187], v[10:11]
	v_mul_f64_e32 v[10:11], v[188:189], v[10:11]
	scratch_load_b128 v[174:177], off, off offset:240
	ds_load_b128 v[194:197], v2 offset:1120
	s_wait_loadcnt_dscnt 0xb01
	v_mul_f64_e32 v[204:205], v[4:5], v[14:15]
	v_mul_f64_e32 v[14:15], v[6:7], v[14:15]
	v_add_f64_e32 v[198:199], 0, v[198:199]
	v_fmac_f64_e32 v[200:201], v[188:189], v[8:9]
	v_fma_f64 v[186:187], v[186:187], v[8:9], -v[10:11]
	v_add_f64_e32 v[188:189], 0, v[202:203]
	scratch_load_b128 v[8:11], off, off offset:256
	v_fmac_f64_e32 v[204:205], v[6:7], v[12:13]
	v_fma_f64 v[206:207], v[4:5], v[12:13], -v[14:15]
	ds_load_b128 v[4:7], v2 offset:1136
	s_wait_loadcnt_dscnt 0xb01
	v_mul_f64_e32 v[202:203], v[194:195], v[18:19]
	v_mul_f64_e32 v[18:19], v[196:197], v[18:19]
	scratch_load_b128 v[12:15], off, off offset:272
	v_add_f64_e32 v[198:199], v[198:199], v[200:201]
	v_add_f64_e32 v[208:209], v[188:189], v[186:187]
	ds_load_b128 v[186:189], v2 offset:1152
	s_wait_loadcnt_dscnt 0xb01
	v_mul_f64_e32 v[200:201], v[4:5], v[22:23]
	v_mul_f64_e32 v[22:23], v[6:7], v[22:23]
	v_fmac_f64_e32 v[202:203], v[196:197], v[16:17]
	v_fma_f64 v[194:195], v[194:195], v[16:17], -v[18:19]
	scratch_load_b128 v[16:19], off, off offset:288
	v_add_f64_e32 v[198:199], v[198:199], v[204:205]
	v_add_f64_e32 v[196:197], v[208:209], v[206:207]
	v_fmac_f64_e32 v[200:201], v[6:7], v[20:21]
	v_fma_f64 v[206:207], v[4:5], v[20:21], -v[22:23]
	ds_load_b128 v[4:7], v2 offset:1168
	s_wait_loadcnt_dscnt 0xb01
	v_mul_f64_e32 v[204:205], v[186:187], v[26:27]
	v_mul_f64_e32 v[26:27], v[188:189], v[26:27]
	scratch_load_b128 v[20:23], off, off offset:304
	v_add_f64_e32 v[198:199], v[198:199], v[202:203]
	s_wait_loadcnt_dscnt 0xb00
	v_mul_f64_e32 v[202:203], v[4:5], v[30:31]
	v_add_f64_e32 v[208:209], v[196:197], v[194:195]
	v_mul_f64_e32 v[30:31], v[6:7], v[30:31]
	ds_load_b128 v[194:197], v2 offset:1184
	v_fmac_f64_e32 v[204:205], v[188:189], v[24:25]
	v_fma_f64 v[186:187], v[186:187], v[24:25], -v[26:27]
	scratch_load_b128 v[24:27], off, off offset:320
	v_add_f64_e32 v[198:199], v[198:199], v[200:201]
	v_fmac_f64_e32 v[202:203], v[6:7], v[28:29]
	v_add_f64_e32 v[188:189], v[208:209], v[206:207]
	v_fma_f64 v[206:207], v[4:5], v[28:29], -v[30:31]
	ds_load_b128 v[4:7], v2 offset:1200
	s_wait_loadcnt_dscnt 0xb01
	v_mul_f64_e32 v[200:201], v[194:195], v[164:165]
	v_mul_f64_e32 v[164:165], v[196:197], v[164:165]
	scratch_load_b128 v[28:31], off, off offset:336
	v_add_f64_e32 v[198:199], v[198:199], v[204:205]
	s_wait_loadcnt_dscnt 0xb00
	v_mul_f64_e32 v[204:205], v[4:5], v[168:169]
	v_add_f64_e32 v[208:209], v[188:189], v[186:187]
	v_mul_f64_e32 v[168:169], v[6:7], v[168:169]
	ds_load_b128 v[186:189], v2 offset:1216
	v_fmac_f64_e32 v[200:201], v[196:197], v[162:163]
	v_fma_f64 v[194:195], v[194:195], v[162:163], -v[164:165]
	scratch_load_b128 v[162:165], off, off offset:352
	v_add_f64_e32 v[198:199], v[198:199], v[202:203]
	v_fmac_f64_e32 v[204:205], v[6:7], v[166:167]
	v_add_f64_e32 v[196:197], v[208:209], v[206:207]
	;; [unrolled: 18-line block ×3, first 2 shown]
	v_fma_f64 v[206:207], v[4:5], v[178:179], -v[180:181]
	ds_load_b128 v[4:7], v2 offset:1264
	s_wait_loadcnt_dscnt 0xa01
	v_mul_f64_e32 v[204:205], v[194:195], v[192:193]
	v_mul_f64_e32 v[192:193], v[196:197], v[192:193]
	scratch_load_b128 v[178:181], off, off offset:400
	v_add_f64_e32 v[198:199], v[198:199], v[202:203]
	v_add_f64_e32 v[208:209], v[188:189], v[186:187]
	s_wait_loadcnt_dscnt 0xa00
	v_mul_f64_e32 v[202:203], v[4:5], v[176:177]
	v_mul_f64_e32 v[176:177], v[6:7], v[176:177]
	v_fmac_f64_e32 v[204:205], v[196:197], v[190:191]
	v_fma_f64 v[194:195], v[194:195], v[190:191], -v[192:193]
	ds_load_b128 v[186:189], v2 offset:1280
	scratch_load_b128 v[190:193], off, off offset:416
	v_add_f64_e32 v[198:199], v[198:199], v[200:201]
	v_add_f64_e32 v[196:197], v[208:209], v[206:207]
	v_fmac_f64_e32 v[202:203], v[6:7], v[174:175]
	v_fma_f64 v[206:207], v[4:5], v[174:175], -v[176:177]
	ds_load_b128 v[4:7], v2 offset:1296
	s_wait_loadcnt_dscnt 0xa01
	v_mul_f64_e32 v[200:201], v[186:187], v[10:11]
	v_mul_f64_e32 v[10:11], v[188:189], v[10:11]
	scratch_load_b128 v[174:177], off, off offset:432
	v_add_f64_e32 v[198:199], v[198:199], v[204:205]
	s_wait_loadcnt_dscnt 0xa00
	v_mul_f64_e32 v[204:205], v[4:5], v[14:15]
	v_add_f64_e32 v[208:209], v[196:197], v[194:195]
	v_mul_f64_e32 v[14:15], v[6:7], v[14:15]
	ds_load_b128 v[194:197], v2 offset:1312
	v_fmac_f64_e32 v[200:201], v[188:189], v[8:9]
	v_fma_f64 v[186:187], v[186:187], v[8:9], -v[10:11]
	scratch_load_b128 v[8:11], off, off offset:448
	v_add_f64_e32 v[198:199], v[198:199], v[202:203]
	v_fmac_f64_e32 v[204:205], v[6:7], v[12:13]
	v_add_f64_e32 v[188:189], v[208:209], v[206:207]
	v_fma_f64 v[206:207], v[4:5], v[12:13], -v[14:15]
	ds_load_b128 v[4:7], v2 offset:1328
	s_wait_loadcnt_dscnt 0xa01
	v_mul_f64_e32 v[202:203], v[194:195], v[18:19]
	v_mul_f64_e32 v[18:19], v[196:197], v[18:19]
	scratch_load_b128 v[12:15], off, off offset:464
	v_add_f64_e32 v[198:199], v[198:199], v[200:201]
	s_wait_loadcnt_dscnt 0xa00
	v_mul_f64_e32 v[200:201], v[4:5], v[22:23]
	v_add_f64_e32 v[208:209], v[188:189], v[186:187]
	v_mul_f64_e32 v[22:23], v[6:7], v[22:23]
	ds_load_b128 v[186:189], v2 offset:1344
	v_fmac_f64_e32 v[202:203], v[196:197], v[16:17]
	v_fma_f64 v[194:195], v[194:195], v[16:17], -v[18:19]
	scratch_load_b128 v[16:19], off, off offset:480
	v_add_f64_e32 v[198:199], v[198:199], v[204:205]
	v_fmac_f64_e32 v[200:201], v[6:7], v[20:21]
	v_add_f64_e32 v[196:197], v[208:209], v[206:207]
	;; [unrolled: 18-line block ×18, first 2 shown]
	v_fma_f64 v[206:207], v[4:5], v[174:175], -v[176:177]
	ds_load_b128 v[4:7], v2 offset:1872
	s_wait_loadcnt_dscnt 0xa01
	v_mul_f64_e32 v[200:201], v[186:187], v[10:11]
	v_mul_f64_e32 v[10:11], v[188:189], v[10:11]
	scratch_load_b128 v[174:177], off, off offset:1008
	v_add_f64_e32 v[198:199], v[198:199], v[204:205]
	s_wait_loadcnt_dscnt 0xa00
	v_mul_f64_e32 v[204:205], v[4:5], v[14:15]
	v_add_f64_e32 v[208:209], v[196:197], v[194:195]
	v_mul_f64_e32 v[14:15], v[6:7], v[14:15]
	ds_load_b128 v[194:197], v2 offset:1888
	v_fmac_f64_e32 v[200:201], v[188:189], v[8:9]
	v_fma_f64 v[8:9], v[186:187], v[8:9], -v[10:11]
	s_wait_loadcnt_dscnt 0x900
	v_mul_f64_e32 v[188:189], v[194:195], v[18:19]
	v_mul_f64_e32 v[18:19], v[196:197], v[18:19]
	v_add_f64_e32 v[186:187], v[198:199], v[202:203]
	v_fmac_f64_e32 v[204:205], v[6:7], v[12:13]
	v_add_f64_e32 v[10:11], v[208:209], v[206:207]
	v_fma_f64 v[12:13], v[4:5], v[12:13], -v[14:15]
	v_fmac_f64_e32 v[188:189], v[196:197], v[16:17]
	v_fma_f64 v[16:17], v[194:195], v[16:17], -v[18:19]
	v_add_f64_e32 v[186:187], v[186:187], v[200:201]
	v_add_f64_e32 v[14:15], v[10:11], v[8:9]
	ds_load_b128 v[4:7], v2 offset:1904
	ds_load_b128 v[8:11], v2 offset:1920
	s_wait_loadcnt_dscnt 0x801
	v_mul_f64_e32 v[198:199], v[4:5], v[22:23]
	v_mul_f64_e32 v[22:23], v[6:7], v[22:23]
	s_wait_loadcnt_dscnt 0x700
	v_mul_f64_e32 v[18:19], v[8:9], v[26:27]
	v_mul_f64_e32 v[26:27], v[10:11], v[26:27]
	v_add_f64_e32 v[12:13], v[14:15], v[12:13]
	v_add_f64_e32 v[14:15], v[186:187], v[204:205]
	v_fmac_f64_e32 v[198:199], v[6:7], v[20:21]
	v_fma_f64 v[20:21], v[4:5], v[20:21], -v[22:23]
	v_fmac_f64_e32 v[18:19], v[10:11], v[24:25]
	v_fma_f64 v[8:9], v[8:9], v[24:25], -v[26:27]
	v_add_f64_e32 v[16:17], v[12:13], v[16:17]
	v_add_f64_e32 v[22:23], v[14:15], v[188:189]
	ds_load_b128 v[4:7], v2 offset:1936
	ds_load_b128 v[12:15], v2 offset:1952
	s_wait_loadcnt_dscnt 0x601
	v_mul_f64_e32 v[186:187], v[4:5], v[30:31]
	v_mul_f64_e32 v[30:31], v[6:7], v[30:31]
	v_add_f64_e32 v[10:11], v[16:17], v[20:21]
	v_add_f64_e32 v[16:17], v[22:23], v[198:199]
	s_wait_loadcnt_dscnt 0x500
	v_mul_f64_e32 v[20:21], v[12:13], v[164:165]
	v_mul_f64_e32 v[22:23], v[14:15], v[164:165]
	v_fmac_f64_e32 v[186:187], v[6:7], v[28:29]
	v_fma_f64 v[24:25], v[4:5], v[28:29], -v[30:31]
	v_add_f64_e32 v[26:27], v[10:11], v[8:9]
	v_add_f64_e32 v[16:17], v[16:17], v[18:19]
	ds_load_b128 v[4:7], v2 offset:1968
	ds_load_b128 v[8:11], v2 offset:1984
	v_fmac_f64_e32 v[20:21], v[14:15], v[162:163]
	v_fma_f64 v[12:13], v[12:13], v[162:163], -v[22:23]
	s_wait_loadcnt_dscnt 0x401
	v_mul_f64_e32 v[18:19], v[4:5], v[168:169]
	v_mul_f64_e32 v[28:29], v[6:7], v[168:169]
	s_wait_loadcnt_dscnt 0x300
	v_mul_f64_e32 v[22:23], v[8:9], v[172:173]
	v_add_f64_e32 v[14:15], v[26:27], v[24:25]
	v_add_f64_e32 v[16:17], v[16:17], v[186:187]
	v_mul_f64_e32 v[24:25], v[10:11], v[172:173]
	v_fmac_f64_e32 v[18:19], v[6:7], v[166:167]
	v_fma_f64 v[26:27], v[4:5], v[166:167], -v[28:29]
	v_fmac_f64_e32 v[22:23], v[10:11], v[170:171]
	v_add_f64_e32 v[28:29], v[14:15], v[12:13]
	v_add_f64_e32 v[16:17], v[16:17], v[20:21]
	ds_load_b128 v[4:7], v2 offset:2000
	ds_load_b128 v[12:15], v2 offset:2016
	v_fma_f64 v[8:9], v[8:9], v[170:171], -v[24:25]
	s_wait_loadcnt_dscnt 0x201
	v_mul_f64_e32 v[20:21], v[4:5], v[180:181]
	v_mul_f64_e32 v[30:31], v[6:7], v[180:181]
	s_wait_loadcnt_dscnt 0x100
	v_mul_f64_e32 v[24:25], v[14:15], v[192:193]
	v_add_f64_e32 v[10:11], v[28:29], v[26:27]
	v_add_f64_e32 v[16:17], v[16:17], v[18:19]
	v_mul_f64_e32 v[18:19], v[12:13], v[192:193]
	v_fmac_f64_e32 v[20:21], v[6:7], v[178:179]
	v_fma_f64 v[26:27], v[4:5], v[178:179], -v[30:31]
	ds_load_b128 v[4:7], v2 offset:2032
	v_fma_f64 v[12:13], v[12:13], v[190:191], -v[24:25]
	v_add_f64_e32 v[8:9], v[10:11], v[8:9]
	v_add_f64_e32 v[10:11], v[16:17], v[22:23]
	v_fmac_f64_e32 v[18:19], v[14:15], v[190:191]
	s_wait_loadcnt_dscnt 0x0
	v_mul_f64_e32 v[16:17], v[4:5], v[176:177]
	v_mul_f64_e32 v[22:23], v[6:7], v[176:177]
	v_add_f64_e32 v[8:9], v[8:9], v[26:27]
	v_add_f64_e32 v[10:11], v[10:11], v[20:21]
	s_delay_alu instid0(VALU_DEP_4) | instskip(NEXT) | instid1(VALU_DEP_4)
	v_fmac_f64_e32 v[16:17], v[6:7], v[174:175]
	v_fma_f64 v[4:5], v[4:5], v[174:175], -v[22:23]
	s_delay_alu instid0(VALU_DEP_4) | instskip(NEXT) | instid1(VALU_DEP_4)
	v_add_f64_e32 v[6:7], v[8:9], v[12:13]
	v_add_f64_e32 v[8:9], v[10:11], v[18:19]
	s_delay_alu instid0(VALU_DEP_2) | instskip(NEXT) | instid1(VALU_DEP_2)
	v_add_f64_e32 v[4:5], v[6:7], v[4:5]
	v_add_f64_e32 v[6:7], v[8:9], v[16:17]
	s_delay_alu instid0(VALU_DEP_2) | instskip(NEXT) | instid1(VALU_DEP_2)
	v_add_f64_e64 v[4:5], v[182:183], -v[4:5]
	v_add_f64_e64 v[6:7], v[184:185], -v[6:7]
	scratch_store_b128 off, v[4:7], off offset:32
	s_wait_xcnt 0x0
	v_cmpx_lt_u32_e32 1, v1
	s_cbranch_execz .LBB63_407
; %bb.406:
	scratch_load_b128 v[6:9], off, s54
	v_dual_mov_b32 v3, v2 :: v_dual_mov_b32 v4, v2
	v_mov_b32_e32 v5, v2
	scratch_store_b128 off, v[2:5], off offset:16
	s_wait_loadcnt 0x0
	ds_store_b128 v160, v[6:9]
.LBB63_407:
	s_wait_xcnt 0x0
	s_or_b32 exec_lo, exec_lo, s2
	s_wait_storecnt_dscnt 0x0
	s_barrier_signal -1
	s_barrier_wait -1
	s_clause 0x9
	scratch_load_b128 v[4:7], off, off offset:32
	scratch_load_b128 v[8:11], off, off offset:48
	;; [unrolled: 1-line block ×10, first 2 shown]
	ds_load_b128 v[174:177], v2 offset:1056
	ds_load_b128 v[182:185], v2 offset:1072
	s_clause 0x2
	scratch_load_b128 v[178:181], off, off offset:192
	scratch_load_b128 v[186:189], off, off offset:16
	;; [unrolled: 1-line block ×3, first 2 shown]
	s_mov_b32 s2, exec_lo
	s_wait_loadcnt_dscnt 0xc01
	v_mul_f64_e32 v[194:195], v[176:177], v[6:7]
	v_mul_f64_e32 v[198:199], v[174:175], v[6:7]
	s_wait_loadcnt_dscnt 0xb00
	v_mul_f64_e32 v[200:201], v[182:183], v[10:11]
	v_mul_f64_e32 v[10:11], v[184:185], v[10:11]
	s_delay_alu instid0(VALU_DEP_4) | instskip(NEXT) | instid1(VALU_DEP_4)
	v_fma_f64 v[202:203], v[174:175], v[4:5], -v[194:195]
	v_fmac_f64_e32 v[198:199], v[176:177], v[4:5]
	ds_load_b128 v[4:7], v2 offset:1088
	ds_load_b128 v[174:177], v2 offset:1104
	scratch_load_b128 v[194:197], off, off offset:224
	v_fmac_f64_e32 v[200:201], v[184:185], v[8:9]
	v_fma_f64 v[182:183], v[182:183], v[8:9], -v[10:11]
	scratch_load_b128 v[8:11], off, off offset:240
	s_wait_loadcnt_dscnt 0xc01
	v_mul_f64_e32 v[204:205], v[4:5], v[14:15]
	v_mul_f64_e32 v[14:15], v[6:7], v[14:15]
	v_add_f64_e32 v[184:185], 0, v[202:203]
	v_add_f64_e32 v[198:199], 0, v[198:199]
	s_wait_loadcnt_dscnt 0xb00
	v_mul_f64_e32 v[202:203], v[174:175], v[18:19]
	v_mul_f64_e32 v[18:19], v[176:177], v[18:19]
	v_fmac_f64_e32 v[204:205], v[6:7], v[12:13]
	v_fma_f64 v[206:207], v[4:5], v[12:13], -v[14:15]
	ds_load_b128 v[4:7], v2 offset:1120
	ds_load_b128 v[12:15], v2 offset:1136
	v_add_f64_e32 v[208:209], v[184:185], v[182:183]
	v_add_f64_e32 v[198:199], v[198:199], v[200:201]
	scratch_load_b128 v[182:185], off, off offset:256
	v_fmac_f64_e32 v[202:203], v[176:177], v[16:17]
	v_fma_f64 v[174:175], v[174:175], v[16:17], -v[18:19]
	scratch_load_b128 v[16:19], off, off offset:272
	s_wait_loadcnt_dscnt 0xc01
	v_mul_f64_e32 v[200:201], v[4:5], v[22:23]
	v_mul_f64_e32 v[22:23], v[6:7], v[22:23]
	v_add_f64_e32 v[176:177], v[208:209], v[206:207]
	v_add_f64_e32 v[198:199], v[198:199], v[204:205]
	s_wait_loadcnt_dscnt 0xb00
	v_mul_f64_e32 v[204:205], v[12:13], v[26:27]
	v_mul_f64_e32 v[26:27], v[14:15], v[26:27]
	v_fmac_f64_e32 v[200:201], v[6:7], v[20:21]
	v_fma_f64 v[206:207], v[4:5], v[20:21], -v[22:23]
	ds_load_b128 v[4:7], v2 offset:1152
	ds_load_b128 v[20:23], v2 offset:1168
	v_add_f64_e32 v[208:209], v[176:177], v[174:175]
	v_add_f64_e32 v[198:199], v[198:199], v[202:203]
	scratch_load_b128 v[174:177], off, off offset:288
	s_wait_loadcnt_dscnt 0xb01
	v_mul_f64_e32 v[202:203], v[4:5], v[30:31]
	v_mul_f64_e32 v[30:31], v[6:7], v[30:31]
	v_fmac_f64_e32 v[204:205], v[14:15], v[24:25]
	v_fma_f64 v[24:25], v[12:13], v[24:25], -v[26:27]
	scratch_load_b128 v[12:15], off, off offset:304
	v_add_f64_e32 v[26:27], v[208:209], v[206:207]
	v_add_f64_e32 v[198:199], v[198:199], v[200:201]
	s_wait_loadcnt_dscnt 0xb00
	v_mul_f64_e32 v[200:201], v[20:21], v[164:165]
	v_mul_f64_e32 v[164:165], v[22:23], v[164:165]
	v_fmac_f64_e32 v[202:203], v[6:7], v[28:29]
	v_fma_f64 v[206:207], v[4:5], v[28:29], -v[30:31]
	v_add_f64_e32 v[208:209], v[26:27], v[24:25]
	v_add_f64_e32 v[198:199], v[198:199], v[204:205]
	ds_load_b128 v[4:7], v2 offset:1184
	ds_load_b128 v[24:27], v2 offset:1200
	scratch_load_b128 v[28:31], off, off offset:320
	v_fmac_f64_e32 v[200:201], v[22:23], v[162:163]
	v_fma_f64 v[162:163], v[20:21], v[162:163], -v[164:165]
	scratch_load_b128 v[20:23], off, off offset:336
	s_wait_loadcnt_dscnt 0xc01
	v_mul_f64_e32 v[204:205], v[4:5], v[168:169]
	v_mul_f64_e32 v[168:169], v[6:7], v[168:169]
	v_add_f64_e32 v[164:165], v[208:209], v[206:207]
	v_add_f64_e32 v[198:199], v[198:199], v[202:203]
	s_wait_loadcnt_dscnt 0xb00
	v_mul_f64_e32 v[202:203], v[24:25], v[172:173]
	v_mul_f64_e32 v[172:173], v[26:27], v[172:173]
	v_fmac_f64_e32 v[204:205], v[6:7], v[166:167]
	v_fma_f64 v[206:207], v[4:5], v[166:167], -v[168:169]
	v_add_f64_e32 v[208:209], v[164:165], v[162:163]
	v_add_f64_e32 v[198:199], v[198:199], v[200:201]
	ds_load_b128 v[4:7], v2 offset:1216
	ds_load_b128 v[162:165], v2 offset:1232
	scratch_load_b128 v[166:169], off, off offset:352
	v_fmac_f64_e32 v[202:203], v[26:27], v[170:171]
	v_fma_f64 v[170:171], v[24:25], v[170:171], -v[172:173]
	scratch_load_b128 v[24:27], off, off offset:368
	s_wait_loadcnt_dscnt 0xc01
	v_mul_f64_e32 v[200:201], v[4:5], v[180:181]
	v_mul_f64_e32 v[180:181], v[6:7], v[180:181]
	;; [unrolled: 18-line block ×5, first 2 shown]
	v_add_f64_e32 v[192:193], v[208:209], v[206:207]
	v_add_f64_e32 v[198:199], v[198:199], v[204:205]
	s_wait_loadcnt_dscnt 0xa00
	v_mul_f64_e32 v[204:205], v[170:171], v[14:15]
	v_mul_f64_e32 v[14:15], v[172:173], v[14:15]
	v_fmac_f64_e32 v[200:201], v[6:7], v[174:175]
	v_fma_f64 v[206:207], v[4:5], v[174:175], -v[176:177]
	ds_load_b128 v[4:7], v2 offset:1344
	ds_load_b128 v[174:177], v2 offset:1360
	v_add_f64_e32 v[208:209], v[192:193], v[190:191]
	v_add_f64_e32 v[198:199], v[198:199], v[202:203]
	scratch_load_b128 v[190:193], off, off offset:480
	v_fmac_f64_e32 v[204:205], v[172:173], v[12:13]
	v_fma_f64 v[170:171], v[170:171], v[12:13], -v[14:15]
	scratch_load_b128 v[12:15], off, off offset:496
	s_wait_loadcnt_dscnt 0xb01
	v_mul_f64_e32 v[202:203], v[4:5], v[30:31]
	v_mul_f64_e32 v[30:31], v[6:7], v[30:31]
	v_add_f64_e32 v[172:173], v[208:209], v[206:207]
	v_add_f64_e32 v[198:199], v[198:199], v[200:201]
	s_wait_loadcnt_dscnt 0xa00
	v_mul_f64_e32 v[200:201], v[174:175], v[22:23]
	v_mul_f64_e32 v[22:23], v[176:177], v[22:23]
	v_fmac_f64_e32 v[202:203], v[6:7], v[28:29]
	v_fma_f64 v[206:207], v[4:5], v[28:29], -v[30:31]
	ds_load_b128 v[4:7], v2 offset:1376
	ds_load_b128 v[28:31], v2 offset:1392
	v_add_f64_e32 v[208:209], v[172:173], v[170:171]
	v_add_f64_e32 v[198:199], v[198:199], v[204:205]
	scratch_load_b128 v[170:173], off, off offset:512
	s_wait_loadcnt_dscnt 0xa01
	v_mul_f64_e32 v[204:205], v[4:5], v[168:169]
	v_mul_f64_e32 v[168:169], v[6:7], v[168:169]
	v_fmac_f64_e32 v[200:201], v[176:177], v[20:21]
	v_fma_f64 v[174:175], v[174:175], v[20:21], -v[22:23]
	scratch_load_b128 v[20:23], off, off offset:528
	v_add_f64_e32 v[176:177], v[208:209], v[206:207]
	v_add_f64_e32 v[198:199], v[198:199], v[202:203]
	s_wait_loadcnt_dscnt 0xa00
	v_mul_f64_e32 v[202:203], v[28:29], v[26:27]
	v_mul_f64_e32 v[26:27], v[30:31], v[26:27]
	v_fmac_f64_e32 v[204:205], v[6:7], v[166:167]
	v_fma_f64 v[206:207], v[4:5], v[166:167], -v[168:169]
	ds_load_b128 v[4:7], v2 offset:1408
	ds_load_b128 v[166:169], v2 offset:1424
	v_add_f64_e32 v[208:209], v[176:177], v[174:175]
	v_add_f64_e32 v[198:199], v[198:199], v[200:201]
	scratch_load_b128 v[174:177], off, off offset:544
	s_wait_loadcnt_dscnt 0xa01
	v_mul_f64_e32 v[200:201], v[4:5], v[180:181]
	v_mul_f64_e32 v[180:181], v[6:7], v[180:181]
	v_fmac_f64_e32 v[202:203], v[30:31], v[24:25]
	v_fma_f64 v[28:29], v[28:29], v[24:25], -v[26:27]
	scratch_load_b128 v[24:27], off, off offset:560
	v_add_f64_e32 v[30:31], v[208:209], v[206:207]
	v_add_f64_e32 v[198:199], v[198:199], v[204:205]
	s_wait_loadcnt_dscnt 0xa00
	v_mul_f64_e32 v[204:205], v[166:167], v[164:165]
	v_mul_f64_e32 v[164:165], v[168:169], v[164:165]
	v_fmac_f64_e32 v[200:201], v[6:7], v[178:179]
	v_fma_f64 v[206:207], v[4:5], v[178:179], -v[180:181]
	v_add_f64_e32 v[208:209], v[30:31], v[28:29]
	v_add_f64_e32 v[198:199], v[198:199], v[202:203]
	ds_load_b128 v[4:7], v2 offset:1440
	ds_load_b128 v[28:31], v2 offset:1456
	scratch_load_b128 v[178:181], off, off offset:576
	v_fmac_f64_e32 v[204:205], v[168:169], v[162:163]
	v_fma_f64 v[166:167], v[166:167], v[162:163], -v[164:165]
	scratch_load_b128 v[162:165], off, off offset:592
	s_wait_loadcnt_dscnt 0xb01
	v_mul_f64_e32 v[202:203], v[4:5], v[196:197]
	v_mul_f64_e32 v[196:197], v[6:7], v[196:197]
	v_add_f64_e32 v[168:169], v[208:209], v[206:207]
	v_add_f64_e32 v[198:199], v[198:199], v[200:201]
	s_wait_loadcnt_dscnt 0xa00
	v_mul_f64_e32 v[200:201], v[28:29], v[10:11]
	v_mul_f64_e32 v[10:11], v[30:31], v[10:11]
	v_fmac_f64_e32 v[202:203], v[6:7], v[194:195]
	v_fma_f64 v[206:207], v[4:5], v[194:195], -v[196:197]
	v_add_f64_e32 v[208:209], v[168:169], v[166:167]
	v_add_f64_e32 v[198:199], v[198:199], v[204:205]
	ds_load_b128 v[4:7], v2 offset:1472
	ds_load_b128 v[166:169], v2 offset:1488
	scratch_load_b128 v[194:197], off, off offset:608
	v_fmac_f64_e32 v[200:201], v[30:31], v[8:9]
	v_fma_f64 v[28:29], v[28:29], v[8:9], -v[10:11]
	scratch_load_b128 v[8:11], off, off offset:624
	s_wait_loadcnt_dscnt 0xb01
	v_mul_f64_e32 v[204:205], v[4:5], v[184:185]
	v_mul_f64_e32 v[184:185], v[6:7], v[184:185]
	;; [unrolled: 18-line block ×14, first 2 shown]
	v_add_f64_e32 v[30:31], v[208:209], v[206:207]
	v_add_f64_e32 v[198:199], v[198:199], v[202:203]
	s_wait_loadcnt_dscnt 0xa00
	v_mul_f64_e32 v[202:203], v[166:167], v[18:19]
	v_mul_f64_e32 v[18:19], v[168:169], v[18:19]
	v_fmac_f64_e32 v[204:205], v[6:7], v[182:183]
	v_fma_f64 v[182:183], v[4:5], v[182:183], -v[184:185]
	v_add_f64_e32 v[184:185], v[30:31], v[28:29]
	v_add_f64_e32 v[198:199], v[198:199], v[200:201]
	ds_load_b128 v[4:7], v2 offset:1888
	ds_load_b128 v[28:31], v2 offset:1904
	v_fmac_f64_e32 v[202:203], v[168:169], v[16:17]
	v_fma_f64 v[16:17], v[166:167], v[16:17], -v[18:19]
	s_wait_loadcnt_dscnt 0x901
	v_mul_f64_e32 v[200:201], v[4:5], v[192:193]
	v_mul_f64_e32 v[192:193], v[6:7], v[192:193]
	s_wait_loadcnt_dscnt 0x800
	v_mul_f64_e32 v[168:169], v[28:29], v[14:15]
	v_add_f64_e32 v[18:19], v[184:185], v[182:183]
	v_add_f64_e32 v[166:167], v[198:199], v[204:205]
	v_mul_f64_e32 v[182:183], v[30:31], v[14:15]
	v_fmac_f64_e32 v[200:201], v[6:7], v[190:191]
	v_fma_f64 v[184:185], v[4:5], v[190:191], -v[192:193]
	v_fmac_f64_e32 v[168:169], v[30:31], v[12:13]
	v_add_f64_e32 v[18:19], v[18:19], v[16:17]
	v_add_f64_e32 v[166:167], v[166:167], v[202:203]
	ds_load_b128 v[4:7], v2 offset:1920
	ds_load_b128 v[14:17], v2 offset:1936
	v_fma_f64 v[12:13], v[28:29], v[12:13], -v[182:183]
	s_wait_loadcnt_dscnt 0x701
	v_mul_f64_e32 v[190:191], v[4:5], v[172:173]
	v_mul_f64_e32 v[172:173], v[6:7], v[172:173]
	v_add_f64_e32 v[18:19], v[18:19], v[184:185]
	v_add_f64_e32 v[28:29], v[166:167], v[200:201]
	s_wait_loadcnt_dscnt 0x600
	v_mul_f64_e32 v[166:167], v[14:15], v[22:23]
	v_mul_f64_e32 v[22:23], v[16:17], v[22:23]
	v_fmac_f64_e32 v[190:191], v[6:7], v[170:171]
	v_fma_f64 v[170:171], v[4:5], v[170:171], -v[172:173]
	v_add_f64_e32 v[12:13], v[18:19], v[12:13]
	v_add_f64_e32 v[18:19], v[28:29], v[168:169]
	ds_load_b128 v[4:7], v2 offset:1952
	ds_load_b128 v[28:31], v2 offset:1968
	v_fmac_f64_e32 v[166:167], v[16:17], v[20:21]
	v_fma_f64 v[14:15], v[14:15], v[20:21], -v[22:23]
	s_wait_loadcnt_dscnt 0x501
	v_mul_f64_e32 v[168:169], v[4:5], v[176:177]
	v_mul_f64_e32 v[172:173], v[6:7], v[176:177]
	s_wait_loadcnt_dscnt 0x400
	v_mul_f64_e32 v[20:21], v[30:31], v[26:27]
	v_add_f64_e32 v[12:13], v[12:13], v[170:171]
	v_add_f64_e32 v[16:17], v[18:19], v[190:191]
	v_mul_f64_e32 v[18:19], v[28:29], v[26:27]
	v_fmac_f64_e32 v[168:169], v[6:7], v[174:175]
	v_fma_f64 v[22:23], v[4:5], v[174:175], -v[172:173]
	v_fma_f64 v[20:21], v[28:29], v[24:25], -v[20:21]
	v_add_f64_e32 v[26:27], v[12:13], v[14:15]
	v_add_f64_e32 v[16:17], v[16:17], v[166:167]
	ds_load_b128 v[4:7], v2 offset:1984
	ds_load_b128 v[12:15], v2 offset:2000
	v_fmac_f64_e32 v[18:19], v[30:31], v[24:25]
	s_wait_loadcnt_dscnt 0x301
	v_mul_f64_e32 v[166:167], v[4:5], v[180:181]
	v_mul_f64_e32 v[170:171], v[6:7], v[180:181]
	s_wait_loadcnt_dscnt 0x200
	v_mul_f64_e32 v[24:25], v[12:13], v[164:165]
	v_add_f64_e32 v[22:23], v[26:27], v[22:23]
	v_add_f64_e32 v[16:17], v[16:17], v[168:169]
	v_mul_f64_e32 v[26:27], v[14:15], v[164:165]
	v_fmac_f64_e32 v[166:167], v[6:7], v[178:179]
	v_fma_f64 v[28:29], v[4:5], v[178:179], -v[170:171]
	v_fmac_f64_e32 v[24:25], v[14:15], v[162:163]
	v_add_f64_e32 v[20:21], v[22:23], v[20:21]
	v_add_f64_e32 v[22:23], v[16:17], v[18:19]
	ds_load_b128 v[4:7], v2 offset:2016
	ds_load_b128 v[16:19], v2 offset:2032
	v_fma_f64 v[12:13], v[12:13], v[162:163], -v[26:27]
	s_wait_loadcnt_dscnt 0x101
	v_mul_f64_e32 v[2:3], v[4:5], v[196:197]
	v_mul_f64_e32 v[30:31], v[6:7], v[196:197]
	v_add_f64_e32 v[14:15], v[20:21], v[28:29]
	v_add_f64_e32 v[20:21], v[22:23], v[166:167]
	s_wait_loadcnt_dscnt 0x0
	v_mul_f64_e32 v[22:23], v[16:17], v[10:11]
	v_mul_f64_e32 v[10:11], v[18:19], v[10:11]
	v_fmac_f64_e32 v[2:3], v[6:7], v[194:195]
	v_fma_f64 v[4:5], v[4:5], v[194:195], -v[30:31]
	v_add_f64_e32 v[6:7], v[14:15], v[12:13]
	v_add_f64_e32 v[12:13], v[20:21], v[24:25]
	v_fmac_f64_e32 v[22:23], v[18:19], v[8:9]
	v_fma_f64 v[8:9], v[16:17], v[8:9], -v[10:11]
	s_delay_alu instid0(VALU_DEP_4) | instskip(NEXT) | instid1(VALU_DEP_4)
	v_add_f64_e32 v[4:5], v[6:7], v[4:5]
	v_add_f64_e32 v[2:3], v[12:13], v[2:3]
	s_delay_alu instid0(VALU_DEP_2) | instskip(NEXT) | instid1(VALU_DEP_2)
	v_add_f64_e32 v[4:5], v[4:5], v[8:9]
	v_add_f64_e32 v[6:7], v[2:3], v[22:23]
	s_delay_alu instid0(VALU_DEP_2) | instskip(NEXT) | instid1(VALU_DEP_2)
	v_add_f64_e64 v[2:3], v[186:187], -v[4:5]
	v_add_f64_e64 v[4:5], v[188:189], -v[6:7]
	scratch_store_b128 off, v[2:5], off offset:16
	s_wait_xcnt 0x0
	v_cmpx_ne_u32_e32 0, v1
	s_cbranch_execz .LBB63_409
; %bb.408:
	scratch_load_b128 v[2:5], off, off
	v_mov_b32_e32 v6, 0
	s_delay_alu instid0(VALU_DEP_1)
	v_dual_mov_b32 v7, v6 :: v_dual_mov_b32 v8, v6
	v_mov_b32_e32 v9, v6
	scratch_store_b128 off, v[6:9], off
	s_wait_loadcnt 0x0
	ds_store_b128 v160, v[2:5]
.LBB63_409:
	s_wait_xcnt 0x0
	s_or_b32 exec_lo, exec_lo, s2
	v_lshl_add_u64 v[16:17], v[90:91], 4, s[8:9]
	v_lshl_add_u64 v[18:19], v[92:93], 4, s[8:9]
	v_mov_b64_e32 v[90:91], 0
	v_mov_b64_e32 v[92:93], 0
	v_lshl_add_u64 v[196:197], v[36:37], 4, s[8:9]
	v_lshl_add_u64 v[198:199], v[38:39], 4, s[8:9]
	v_lshl_add_u64 v[194:195], v[40:41], 4, s[8:9]
	v_lshl_add_u64 v[192:193], v[42:43], 4, s[8:9]
	v_lshl_add_u64 v[188:189], v[44:45], 4, s[8:9]
	v_lshl_add_u64 v[190:191], v[46:47], 4, s[8:9]
	v_lshl_add_u64 v[186:187], v[48:49], 4, s[8:9]
	v_lshl_add_u64 v[184:185], v[50:51], 4, s[8:9]
	v_lshl_add_u64 v[180:181], v[52:53], 4, s[8:9]
	v_lshl_add_u64 v[182:183], v[54:55], 4, s[8:9]
	v_lshl_add_u64 v[178:179], v[56:57], 4, s[8:9]
	v_lshl_add_u64 v[176:177], v[58:59], 4, s[8:9]
	v_lshl_add_u64 v[172:173], v[60:61], 4, s[8:9]
	v_lshl_add_u64 v[174:175], v[62:63], 4, s[8:9]
	v_lshl_add_u64 v[170:171], v[64:65], 4, s[8:9]
	v_lshl_add_u64 v[168:169], v[66:67], 4, s[8:9]
	v_lshl_add_u64 v[164:165], v[68:69], 4, s[8:9]
	v_lshl_add_u64 v[166:167], v[70:71], 4, s[8:9]
	v_lshl_add_u64 v[162:163], v[72:73], 4, s[8:9]
	v_lshl_add_u64 v[160:161], v[74:75], 4, s[8:9]
	v_lshl_add_u64 v[2:3], v[76:77], 4, s[8:9]
	v_lshl_add_u64 v[4:5], v[78:79], 4, s[8:9]
	v_lshl_add_u64 v[6:7], v[80:81], 4, s[8:9]
	v_lshl_add_u64 v[8:9], v[82:83], 4, s[8:9]
	v_lshl_add_u64 v[10:11], v[84:85], 4, s[8:9]
	v_lshl_add_u64 v[12:13], v[86:87], 4, s[8:9]
	v_lshl_add_u64 v[14:15], v[88:89], 4, s[8:9]
	v_lshl_add_u64 v[20:21], v[94:95], 4, s[8:9]
	v_lshl_add_u64 v[22:23], v[96:97], 4, s[8:9]
	v_lshl_add_u64 v[24:25], v[98:99], 4, s[8:9]
	v_lshl_add_u64 v[26:27], v[100:101], 4, s[8:9]
	v_lshl_add_u64 v[28:29], v[102:103], 4, s[8:9]
	v_lshl_add_u64 v[30:31], v[104:105], 4, s[8:9]
	v_lshl_add_u64 v[36:37], v[106:107], 4, s[8:9]
	v_lshl_add_u64 v[38:39], v[108:109], 4, s[8:9]
	v_lshl_add_u64 v[40:41], v[110:111], 4, s[8:9]
	v_lshl_add_u64 v[42:43], v[112:113], 4, s[8:9]
	v_lshl_add_u64 v[44:45], v[114:115], 4, s[8:9]
	v_lshl_add_u64 v[46:47], v[116:117], 4, s[8:9]
	v_lshl_add_u64 v[48:49], v[118:119], 4, s[8:9]
	v_lshl_add_u64 v[50:51], v[120:121], 4, s[8:9]
	v_lshl_add_u64 v[52:53], v[122:123], 4, s[8:9]
	v_lshl_add_u64 v[54:55], v[124:125], 4, s[8:9]
	v_lshl_add_u64 v[56:57], v[126:127], 4, s[8:9]
	v_lshl_add_u64 v[58:59], v[128:129], 4, s[8:9]
	v_lshl_add_u64 v[60:61], v[130:131], 4, s[8:9]
	v_lshl_add_u64 v[62:63], v[132:133], 4, s[8:9]
	v_lshl_add_u64 v[64:65], v[134:135], 4, s[8:9]
	v_lshl_add_u64 v[66:67], v[136:137], 4, s[8:9]
	v_lshl_add_u64 v[68:69], v[138:139], 4, s[8:9]
	v_lshl_add_u64 v[70:71], v[140:141], 4, s[8:9]
	v_lshl_add_u64 v[72:73], v[142:143], 4, s[8:9]
	v_lshl_add_u64 v[74:75], v[144:145], 4, s[8:9]
	v_lshl_add_u64 v[76:77], v[146:147], 4, s[8:9]
	v_lshl_add_u64 v[78:79], v[148:149], 4, s[8:9]
	v_lshl_add_u64 v[80:81], v[150:151], 4, s[8:9]
	v_lshl_add_u64 v[82:83], v[152:153], 4, s[8:9]
	v_lshl_add_u64 v[84:85], v[154:155], 4, s[8:9]
	v_lshl_add_u64 v[86:87], v[158:159], 4, s[8:9]
	v_lshl_add_u64 v[88:89], v[156:157], 4, s[8:9]
	s_movk_i32 s2, 0xfc10
	s_wait_storecnt_dscnt 0x0
	s_barrier_signal -1
	s_barrier_wait -1
.LBB63_410:                             ; =>This Inner Loop Header: Depth=1
	s_clause 0x8
	scratch_load_b128 v[94:97], off, s2 offset:1024
	scratch_load_b128 v[98:101], off, s2 offset:1040
	;; [unrolled: 1-line block ×9, first 2 shown]
	v_mov_b32_e32 v146, s2
	s_wait_xcnt 0x0
	s_addk_co_i32 s2, 0x90
	ds_load_b128 v[130:133], v146 offset:2048
	ds_load_b128 v[134:137], v146 offset:2064
	s_cmp_lg_u32 s2, 0
	s_wait_loadcnt_dscnt 0x801
	v_mul_f64_e32 v[138:139], v[132:133], v[96:97]
	v_mul_f64_e32 v[140:141], v[130:131], v[96:97]
	s_wait_loadcnt_dscnt 0x700
	v_mul_f64_e32 v[142:143], v[136:137], v[100:101]
	v_mul_f64_e32 v[100:101], v[134:135], v[100:101]
	s_delay_alu instid0(VALU_DEP_4) | instskip(NEXT) | instid1(VALU_DEP_4)
	v_fma_f64 v[138:139], v[130:131], v[94:95], -v[138:139]
	v_fmac_f64_e32 v[140:141], v[132:133], v[94:95]
	ds_load_b128 v[94:97], v146 offset:2080
	ds_load_b128 v[130:133], v146 offset:2096
	v_fma_f64 v[134:135], v[134:135], v[98:99], -v[142:143]
	v_fmac_f64_e32 v[100:101], v[136:137], v[98:99]
	s_wait_loadcnt_dscnt 0x601
	v_mul_f64_e32 v[144:145], v[96:97], v[104:105]
	v_mul_f64_e32 v[104:105], v[94:95], v[104:105]
	s_wait_loadcnt_dscnt 0x500
	v_mul_f64_e32 v[98:99], v[132:133], v[108:109]
	v_mul_f64_e32 v[108:109], v[130:131], v[108:109]
	v_add_f64_e32 v[92:93], v[92:93], v[138:139]
	v_add_f64_e32 v[90:91], v[90:91], v[140:141]
	v_fma_f64 v[136:137], v[94:95], v[102:103], -v[144:145]
	v_fmac_f64_e32 v[104:105], v[96:97], v[102:103]
	v_fma_f64 v[98:99], v[130:131], v[106:107], -v[98:99]
	v_fmac_f64_e32 v[108:109], v[132:133], v[106:107]
	v_add_f64_e32 v[102:103], v[92:93], v[134:135]
	v_add_f64_e32 v[100:101], v[90:91], v[100:101]
	ds_load_b128 v[90:93], v146 offset:2112
	ds_load_b128 v[94:97], v146 offset:2128
	s_wait_loadcnt_dscnt 0x401
	v_mul_f64_e32 v[134:135], v[92:93], v[112:113]
	v_mul_f64_e32 v[112:113], v[90:91], v[112:113]
	s_wait_loadcnt_dscnt 0x300
	v_mul_f64_e32 v[106:107], v[94:95], v[116:117]
	v_add_f64_e32 v[102:103], v[102:103], v[136:137]
	v_add_f64_e32 v[100:101], v[100:101], v[104:105]
	v_mul_f64_e32 v[104:105], v[96:97], v[116:117]
	v_fma_f64 v[116:117], v[90:91], v[110:111], -v[134:135]
	v_fmac_f64_e32 v[112:113], v[92:93], v[110:111]
	v_fmac_f64_e32 v[106:107], v[96:97], v[114:115]
	v_add_f64_e32 v[102:103], v[102:103], v[98:99]
	v_add_f64_e32 v[108:109], v[100:101], v[108:109]
	ds_load_b128 v[90:93], v146 offset:2144
	ds_load_b128 v[98:101], v146 offset:2160
	v_fma_f64 v[94:95], v[94:95], v[114:115], -v[104:105]
	s_wait_loadcnt_dscnt 0x201
	v_mul_f64_e32 v[110:111], v[92:93], v[120:121]
	v_mul_f64_e32 v[120:121], v[90:91], v[120:121]
	s_wait_loadcnt_dscnt 0x100
	v_mul_f64_e32 v[104:105], v[100:101], v[124:125]
	v_add_f64_e32 v[96:97], v[102:103], v[116:117]
	v_add_f64_e32 v[102:103], v[108:109], v[112:113]
	v_mul_f64_e32 v[108:109], v[98:99], v[124:125]
	v_fma_f64 v[110:111], v[90:91], v[118:119], -v[110:111]
	v_fmac_f64_e32 v[120:121], v[92:93], v[118:119]
	ds_load_b128 v[90:93], v146 offset:2176
	v_fma_f64 v[98:99], v[98:99], v[122:123], -v[104:105]
	v_add_f64_e32 v[94:95], v[96:97], v[94:95]
	v_add_f64_e32 v[96:97], v[102:103], v[106:107]
	v_fmac_f64_e32 v[108:109], v[100:101], v[122:123]
	s_wait_loadcnt_dscnt 0x0
	v_mul_f64_e32 v[102:103], v[92:93], v[128:129]
	v_mul_f64_e32 v[106:107], v[90:91], v[128:129]
	v_add_f64_e32 v[94:95], v[94:95], v[110:111]
	v_add_f64_e32 v[96:97], v[96:97], v[120:121]
	s_delay_alu instid0(VALU_DEP_4) | instskip(NEXT) | instid1(VALU_DEP_4)
	v_fma_f64 v[90:91], v[90:91], v[126:127], -v[102:103]
	v_fmac_f64_e32 v[106:107], v[92:93], v[126:127]
	s_delay_alu instid0(VALU_DEP_4) | instskip(NEXT) | instid1(VALU_DEP_4)
	v_add_f64_e32 v[92:93], v[94:95], v[98:99]
	v_add_f64_e32 v[94:95], v[96:97], v[108:109]
	s_delay_alu instid0(VALU_DEP_2) | instskip(NEXT) | instid1(VALU_DEP_2)
	v_add_f64_e32 v[92:93], v[92:93], v[90:91]
	v_add_f64_e32 v[90:91], v[94:95], v[106:107]
	s_cbranch_scc1 .LBB63_410
; %bb.411:
	scratch_load_b128 v[94:97], off, off
	s_set_vgpr_msb 1                        ;  msbs: dst=0 src0=1 src1=0 src2=0
	v_readlane_b32 s2, v0 /*v256*/, 0
	s_and_b32 vcc_lo, exec_lo, s2
	s_wait_loadcnt 0x0
	s_set_vgpr_msb 0                        ;  msbs: dst=0 src0=0 src1=0 src2=0
	v_add_f64_e64 v[92:93], v[94:95], -v[92:93]
	v_add_f64_e64 v[94:95], v[96:97], -v[90:91]
	scratch_store_b128 off, v[92:95], off
	s_cbranch_vccz .LBB63_538
; %bb.412:
	v_mov_b32_e32 v90, 0
	s_load_b64 s[2:3], s[0:1], 0x4
	v_bfe_u32 v92, v0, 10, 10
	v_bfe_u32 v0, v0, 20, 10
	global_load_b32 v91, v90, s[16:17] offset:248
	s_wait_kmcnt 0x0
	s_lshr_b32 s0, s2, 16
	v_mul_u32_u24_e32 v92, s3, v92
	s_mul_i32 s0, s0, s3
	s_delay_alu instid0(SALU_CYCLE_1) | instskip(NEXT) | instid1(VALU_DEP_1)
	v_mul_u32_u24_e32 v1, s0, v1
	v_add3_u32 v0, v1, v92, v0
	s_delay_alu instid0(VALU_DEP_1)
	v_lshl_add_u32 v0, v0, 4, 0x808
	s_wait_loadcnt 0x0
	v_cmp_ne_u32_e32 vcc_lo, 63, v91
	s_cbranch_vccz .LBB63_414
; %bb.413:
	v_lshlrev_b32_e32 v1, 4, v91
	s_clause 0x1
	scratch_load_b128 v[92:95], off, s28
	scratch_load_b128 v[96:99], v1, off offset:-16
	s_wait_loadcnt 0x1
	ds_store_2addr_b64 v0, v[92:93], v[94:95] offset1:1
	s_wait_loadcnt 0x0
	s_clause 0x1
	scratch_store_b128 off, v[96:99], s28
	scratch_store_b128 v1, v[92:95], off offset:-16
.LBB63_414:
	global_load_b32 v1, v90, s[16:17] offset:244
	s_wait_loadcnt 0x0
	v_cmp_eq_u32_e32 vcc_lo, 62, v1
	s_cbranch_vccnz .LBB63_416
; %bb.415:
	v_lshlrev_b32_e32 v1, 4, v1
	s_clause 0x1
	scratch_load_b128 v[90:93], off, s26
	scratch_load_b128 v[94:97], v1, off offset:-16
	s_wait_loadcnt 0x1
	ds_store_2addr_b64 v0, v[90:91], v[92:93] offset1:1
	s_wait_loadcnt 0x0
	s_clause 0x1
	scratch_store_b128 off, v[94:97], s26
	scratch_store_b128 v1, v[90:93], off offset:-16
.LBB63_416:
	s_wait_xcnt 0x0
	v_mov_b32_e32 v1, 0
	global_load_b32 v90, v1, s[16:17] offset:240
	s_wait_loadcnt 0x0
	v_cmp_eq_u32_e32 vcc_lo, 61, v90
	s_cbranch_vccnz .LBB63_418
; %bb.417:
	v_lshlrev_b32_e32 v90, 4, v90
	s_delay_alu instid0(VALU_DEP_1)
	v_mov_b32_e32 v98, v90
	s_clause 0x1
	scratch_load_b128 v[90:93], off, s33
	scratch_load_b128 v[94:97], v98, off offset:-16
	s_wait_loadcnt 0x1
	ds_store_2addr_b64 v0, v[90:91], v[92:93] offset1:1
	s_wait_loadcnt 0x0
	s_clause 0x1
	scratch_store_b128 off, v[94:97], s33
	scratch_store_b128 v98, v[90:93], off offset:-16
.LBB63_418:
	global_load_b32 v1, v1, s[16:17] offset:236
	s_wait_loadcnt 0x0
	v_cmp_eq_u32_e32 vcc_lo, 60, v1
	s_cbranch_vccnz .LBB63_420
; %bb.419:
	s_wait_xcnt 0x0
	v_lshlrev_b32_e32 v1, 4, v1
	s_clause 0x1
	scratch_load_b128 v[90:93], off, s29
	scratch_load_b128 v[94:97], v1, off offset:-16
	s_wait_loadcnt 0x1
	ds_store_2addr_b64 v0, v[90:91], v[92:93] offset1:1
	s_wait_loadcnt 0x0
	s_clause 0x1
	scratch_store_b128 off, v[94:97], s29
	scratch_store_b128 v1, v[90:93], off offset:-16
.LBB63_420:
	s_wait_xcnt 0x0
	v_mov_b32_e32 v1, 0
	global_load_b32 v90, v1, s[16:17] offset:232
	s_wait_loadcnt 0x0
	v_cmp_eq_u32_e32 vcc_lo, 59, v90
	s_cbranch_vccnz .LBB63_422
; %bb.421:
	v_lshlrev_b32_e32 v90, 4, v90
	s_delay_alu instid0(VALU_DEP_1)
	v_mov_b32_e32 v98, v90
	s_clause 0x1
	scratch_load_b128 v[90:93], off, s36
	scratch_load_b128 v[94:97], v98, off offset:-16
	s_wait_loadcnt 0x1
	ds_store_2addr_b64 v0, v[90:91], v[92:93] offset1:1
	s_wait_loadcnt 0x0
	s_clause 0x1
	scratch_store_b128 off, v[94:97], s36
	scratch_store_b128 v98, v[90:93], off offset:-16
.LBB63_422:
	global_load_b32 v1, v1, s[16:17] offset:228
	s_wait_loadcnt 0x0
	v_cmp_eq_u32_e32 vcc_lo, 58, v1
	s_cbranch_vccnz .LBB63_424
; %bb.423:
	s_wait_xcnt 0x0
	v_lshlrev_b32_e32 v1, 4, v1
	s_clause 0x1
	scratch_load_b128 v[90:93], off, s34
	scratch_load_b128 v[94:97], v1, off offset:-16
	s_wait_loadcnt 0x1
	ds_store_2addr_b64 v0, v[90:91], v[92:93] offset1:1
	s_wait_loadcnt 0x0
	s_clause 0x1
	scratch_store_b128 off, v[94:97], s34
	scratch_store_b128 v1, v[90:93], off offset:-16
.LBB63_424:
	;; [unrolled: 37-line block ×30, first 2 shown]
	s_wait_xcnt 0x0
	v_mov_b32_e32 v1, 0
	global_load_b32 v1, v1, s[16:17]
	s_wait_loadcnt 0x0
	v_cmp_eq_u32_e32 vcc_lo, 1, v1
	s_cbranch_vccnz .LBB63_538
; %bb.537:
	s_wait_xcnt 0x0
	v_lshlrev_b32_e32 v1, 4, v1
	scratch_load_b128 v[90:93], off, off
	scratch_load_b128 v[94:97], v1, off offset:-16
	s_wait_loadcnt 0x1
	ds_store_2addr_b64 v0, v[90:91], v[92:93] offset1:1
	s_wait_loadcnt 0x0
	scratch_store_b128 off, v[94:97], off
	scratch_store_b128 v1, v[90:93], off offset:-16
.LBB63_538:
	scratch_load_b128 v[90:93], off, off
	s_clause 0x1c
	scratch_load_b128 v[94:97], off, s54
	scratch_load_b128 v[98:101], off, s53
	;; [unrolled: 1-line block ×27, first 2 shown]
	; meta instruction
	; meta instruction
	;; [unrolled: 1-line block ×15, first 2 shown]
	scratch_load_b128 v[244:247], off, s49
	scratch_load_b128 v[248:251], off, s50
	s_wait_loadcnt 0x1d
	global_store_b128 v[32:33], v[90:93], off
	s_clause 0x1
	scratch_load_b128 v[90:93], off, s47
	scratch_load_b128 v[252:255], off, s48
	s_wait_loadcnt 0x1e
	global_store_b128 v[34:35], v[94:97], off
	s_clause 0x1
	scratch_load_b128 v[32:35], off, s45
	scratch_load_b128 v[94:97], off, s46
	s_wait_loadcnt 0x1f
	global_store_b128 v[196:197], v[98:101], off
	s_wait_loadcnt 0x1e
	global_store_b128 v[198:199], v[102:105], off
	s_clause 0x1
	scratch_load_b128 v[98:101], off, s43
	scratch_load_b128 v[102:105], off, s44
	s_wait_loadcnt 0x1f
	global_store_b128 v[194:195], v[106:109], off
	s_clause 0x1
	scratch_load_b128 v[106:109], off, s41
	scratch_load_b128 v[194:197], off, s42
	s_wait_loadcnt 0x20
	global_store_b128 v[192:193], v[110:113], off
	s_clause 0x2
	scratch_load_b128 v[110:113], off, s39
	s_set_vgpr_msb 64                       ;  msbs: dst=1 src0=0 src1=0 src2=0
	scratch_load_b128 v[2:5] /*v[258:261]*/, off, s40
	s_wait_loadcnt 0x21
	global_store_b128 v[188:189], v[114:117], off
	s_wait_loadcnt 0x20
	global_store_b128 v[190:191], v[118:121], off
	s_set_vgpr_msb 0                        ;  msbs: dst=0 src0=0 src1=0 src2=0
	s_clause 0x1
	scratch_load_b128 v[114:117], off, s37
	scratch_load_b128 v[118:121], off, s38
	s_wait_loadcnt 0x21
	global_store_b128 v[186:187], v[122:125], off
	s_clause 0x1
	scratch_load_b128 v[122:125], off, s31
	scratch_load_b128 v[186:189], off, s35
	s_wait_loadcnt 0x22
	global_store_b128 v[184:185], v[126:129], off
	s_clause 0x1
	scratch_load_b128 v[126:129], off, s27
	scratch_load_b128 v[190:193], off, s30
	s_wait_loadcnt 0x23
	global_store_b128 v[180:181], v[130:133], off
	s_wait_loadcnt 0x22
	global_store_b128 v[182:183], v[134:137], off
	s_clause 0x1
	scratch_load_b128 v[130:133], off, s24
	scratch_load_b128 v[134:137], off, s25
	s_wait_loadcnt 0x23
	global_store_b128 v[178:179], v[138:141], off
	s_clause 0x1
	scratch_load_b128 v[138:141], off, s22
	scratch_load_b128 v[178:181], off, s23
	s_wait_loadcnt 0x24
	global_store_b128 v[176:177], v[142:145], off
	s_clause 0x1
	scratch_load_b128 v[142:145], off, s20
	scratch_load_b128 v[182:185], off, s21
	s_wait_loadcnt 0x25
	global_store_b128 v[172:173], v[146:149], off
	s_wait_loadcnt 0x24
	global_store_b128 v[174:175], v[150:153], off
	;; [unrolled: 17-line block ×4, first 2 shown]
	s_wait_loadcnt 0x27
	global_store_b128 v[6:7], v[228:231], off
	s_wait_loadcnt 0x26
	global_store_b128 v[8:9], v[232:235], off
	s_wait_loadcnt 0x25
	global_store_b128 v[10:11], v[236:239], off
	s_wait_loadcnt 0x24
	global_store_b128 v[12:13], v[240:243], off
	s_wait_loadcnt 0x23
	global_store_b128 v[14:15], v[244:247], off
	s_wait_loadcnt 0x21
	global_store_b128 v[16:17], v[90:93], off
	s_wait_loadcnt 0x20
	global_store_b128 v[18:19], v[252:255], off
	s_wait_loadcnt 0x1f
	global_store_b128 v[20:21], v[32:35], off
	s_wait_loadcnt 0x1e
	global_store_b128 v[22:23], v[94:97], off
	s_wait_loadcnt 0x1d
	global_store_b128 v[24:25], v[98:101], off
	s_wait_loadcnt 0x1c
	global_store_b128 v[26:27], v[102:105], off
	s_wait_loadcnt 0x1b
	global_store_b128 v[28:29], v[106:109], off
	s_wait_loadcnt 0x1a
	global_store_b128 v[30:31], v[194:197], off
	s_wait_loadcnt 0x19
	global_store_b128 v[36:37], v[110:113], off
	s_wait_loadcnt 0x18
	s_set_vgpr_msb 4                        ;  msbs: dst=0 src0=0 src1=1 src2=0
	global_store_b128 v[38:39], v[2:5] /*v[258:261]*/, off
	s_wait_loadcnt 0x17
	s_set_vgpr_msb 0                        ;  msbs: dst=0 src0=0 src1=0 src2=0
	global_store_b128 v[40:41], v[114:117], off
	s_wait_loadcnt 0x16
	global_store_b128 v[42:43], v[118:121], off
	s_wait_loadcnt 0x15
	;; [unrolled: 2-line block ×23, first 2 shown]
	s_clause 0x1
	global_store_b128 v[86:87], v[214:217], off
	global_store_b128 v[88:89], v[248:251], off
	s_sendmsg sendmsg(MSG_DEALLOC_VGPRS)
	s_endpgm
	.section	.rodata,"a",@progbits
	.p2align	6, 0x0
	.amdhsa_kernel _ZN9rocsolver6v33100L18getri_kernel_smallILi64E19rocblas_complex_numIdEPS3_EEvT1_iilPiilS6_bb
		.amdhsa_group_segment_fixed_size 3080
		.amdhsa_private_segment_fixed_size 1040
		.amdhsa_kernarg_size 60
		.amdhsa_user_sgpr_count 4
		.amdhsa_user_sgpr_dispatch_ptr 1
		.amdhsa_user_sgpr_queue_ptr 0
		.amdhsa_user_sgpr_kernarg_segment_ptr 1
		.amdhsa_user_sgpr_dispatch_id 0
		.amdhsa_user_sgpr_kernarg_preload_length 0
		.amdhsa_user_sgpr_kernarg_preload_offset 0
		.amdhsa_user_sgpr_private_segment_size 0
		.amdhsa_wavefront_size32 1
		.amdhsa_uses_dynamic_stack 0
		.amdhsa_enable_private_segment 1
		.amdhsa_system_sgpr_workgroup_id_x 1
		.amdhsa_system_sgpr_workgroup_id_y 0
		.amdhsa_system_sgpr_workgroup_id_z 0
		.amdhsa_system_sgpr_workgroup_info 0
		.amdhsa_system_vgpr_workitem_id 2
		.amdhsa_next_free_vgpr 270
		.amdhsa_next_free_sgpr 105
		.amdhsa_named_barrier_count 0
		.amdhsa_reserve_vcc 1
		.amdhsa_float_round_mode_32 0
		.amdhsa_float_round_mode_16_64 0
		.amdhsa_float_denorm_mode_32 3
		.amdhsa_float_denorm_mode_16_64 3
		.amdhsa_fp16_overflow 0
		.amdhsa_memory_ordered 1
		.amdhsa_forward_progress 1
		.amdhsa_inst_pref_size 255
		.amdhsa_round_robin_scheduling 0
		.amdhsa_exception_fp_ieee_invalid_op 0
		.amdhsa_exception_fp_denorm_src 0
		.amdhsa_exception_fp_ieee_div_zero 0
		.amdhsa_exception_fp_ieee_overflow 0
		.amdhsa_exception_fp_ieee_underflow 0
		.amdhsa_exception_fp_ieee_inexact 0
		.amdhsa_exception_int_div_zero 0
	.end_amdhsa_kernel
	.section	.text._ZN9rocsolver6v33100L18getri_kernel_smallILi64E19rocblas_complex_numIdEPS3_EEvT1_iilPiilS6_bb,"axG",@progbits,_ZN9rocsolver6v33100L18getri_kernel_smallILi64E19rocblas_complex_numIdEPS3_EEvT1_iilPiilS6_bb,comdat
.Lfunc_end63:
	.size	_ZN9rocsolver6v33100L18getri_kernel_smallILi64E19rocblas_complex_numIdEPS3_EEvT1_iilPiilS6_bb, .Lfunc_end63-_ZN9rocsolver6v33100L18getri_kernel_smallILi64E19rocblas_complex_numIdEPS3_EEvT1_iilPiilS6_bb
                                        ; -- End function
	.set _ZN9rocsolver6v33100L18getri_kernel_smallILi64E19rocblas_complex_numIdEPS3_EEvT1_iilPiilS6_bb.num_vgpr, 270
	.set _ZN9rocsolver6v33100L18getri_kernel_smallILi64E19rocblas_complex_numIdEPS3_EEvT1_iilPiilS6_bb.num_agpr, 0
	.set _ZN9rocsolver6v33100L18getri_kernel_smallILi64E19rocblas_complex_numIdEPS3_EEvT1_iilPiilS6_bb.numbered_sgpr, 105
	.set _ZN9rocsolver6v33100L18getri_kernel_smallILi64E19rocblas_complex_numIdEPS3_EEvT1_iilPiilS6_bb.num_named_barrier, 0
	.set _ZN9rocsolver6v33100L18getri_kernel_smallILi64E19rocblas_complex_numIdEPS3_EEvT1_iilPiilS6_bb.private_seg_size, 1040
	.set _ZN9rocsolver6v33100L18getri_kernel_smallILi64E19rocblas_complex_numIdEPS3_EEvT1_iilPiilS6_bb.uses_vcc, 1
	.set _ZN9rocsolver6v33100L18getri_kernel_smallILi64E19rocblas_complex_numIdEPS3_EEvT1_iilPiilS6_bb.uses_flat_scratch, 1
	.set _ZN9rocsolver6v33100L18getri_kernel_smallILi64E19rocblas_complex_numIdEPS3_EEvT1_iilPiilS6_bb.has_dyn_sized_stack, 0
	.set _ZN9rocsolver6v33100L18getri_kernel_smallILi64E19rocblas_complex_numIdEPS3_EEvT1_iilPiilS6_bb.has_recursion, 0
	.set _ZN9rocsolver6v33100L18getri_kernel_smallILi64E19rocblas_complex_numIdEPS3_EEvT1_iilPiilS6_bb.has_indirect_call, 0
	.section	.AMDGPU.csdata,"",@progbits
; Kernel info:
; codeLenInByte = 142340
; TotalNumSgprs: 107
; NumVgprs: 270
; ScratchSize: 1040
; MemoryBound: 0
; FloatMode: 240
; IeeeMode: 1
; LDSByteSize: 3080 bytes/workgroup (compile time only)
; SGPRBlocks: 0
; VGPRBlocks: 16
; NumSGPRsForWavesPerEU: 107
; NumVGPRsForWavesPerEU: 270
; NamedBarCnt: 0
; Occupancy: 3
; WaveLimiterHint : 1
; COMPUTE_PGM_RSRC2:SCRATCH_EN: 1
; COMPUTE_PGM_RSRC2:USER_SGPR: 4
; COMPUTE_PGM_RSRC2:TRAP_HANDLER: 0
; COMPUTE_PGM_RSRC2:TGID_X_EN: 1
; COMPUTE_PGM_RSRC2:TGID_Y_EN: 0
; COMPUTE_PGM_RSRC2:TGID_Z_EN: 0
; COMPUTE_PGM_RSRC2:TIDIG_COMP_CNT: 2
	.section	.text._ZN9rocsolver6v33100L18getri_kernel_smallILi1E19rocblas_complex_numIdEPKPS3_EEvT1_iilPiilS8_bb,"axG",@progbits,_ZN9rocsolver6v33100L18getri_kernel_smallILi1E19rocblas_complex_numIdEPKPS3_EEvT1_iilPiilS8_bb,comdat
	.globl	_ZN9rocsolver6v33100L18getri_kernel_smallILi1E19rocblas_complex_numIdEPKPS3_EEvT1_iilPiilS8_bb ; -- Begin function _ZN9rocsolver6v33100L18getri_kernel_smallILi1E19rocblas_complex_numIdEPKPS3_EEvT1_iilPiilS8_bb
	.p2align	8
	.type	_ZN9rocsolver6v33100L18getri_kernel_smallILi1E19rocblas_complex_numIdEPKPS3_EEvT1_iilPiilS8_bb,@function
_ZN9rocsolver6v33100L18getri_kernel_smallILi1E19rocblas_complex_numIdEPKPS3_EEvT1_iilPiilS8_bb: ; @_ZN9rocsolver6v33100L18getri_kernel_smallILi1E19rocblas_complex_numIdEPKPS3_EEvT1_iilPiilS8_bb
; %bb.0:
	s_mov_b32 s7, 0
	s_mov_b32 s2, exec_lo
	v_cmpx_eq_u32_e32 0, v0
	s_cbranch_execz .LBB64_16
; %bb.1:
	s_clause 0x1
	s_load_b96 s[8:10], s[0:1], 0x30
	s_load_b96 s[4:6], s[0:1], 0x0
	s_getreg_b32 s2, hwreg(HW_REG_IB_STS2, 6, 4)
	s_wait_kmcnt 0x0
	s_bitcmp1_b32 s10, 0
	v_mov_b32_e32 v0, s6
	s_cselect_b32 s12, -1, 0
	s_bfe_u32 s0, ttmp6, 0x4000c
	s_and_b32 s1, ttmp6, 15
	s_add_co_i32 s0, s0, 1
	s_delay_alu instid0(SALU_CYCLE_1) | instskip(NEXT) | instid1(SALU_CYCLE_1)
	s_mul_i32 s0, ttmp9, s0
	s_add_co_i32 s1, s1, s0
	s_cmp_eq_u32 s2, 0
	s_cselect_b32 s10, ttmp9, s1
	s_and_b32 vcc_lo, exec_lo, s12
	s_ashr_i32 s11, s10, 31
	s_delay_alu instid0(SALU_CYCLE_1) | instskip(NEXT) | instid1(SALU_CYCLE_1)
	s_lshl_b64 s[0:1], s[10:11], 3
	s_add_nc_u64 s[0:1], s[4:5], s[0:1]
	s_load_b64 s[2:3], s[0:1], 0x0
	s_wait_xcnt 0x0
	s_mov_b32 s0, -1
	s_wait_kmcnt 0x0
	flat_load_b128 v[0:3], v0, s[2:3] scale_offset
	s_cbranch_vccnz .LBB64_3
; %bb.2:
	s_lshl_b64 s[0:1], s[10:11], 2
	s_delay_alu instid0(SALU_CYCLE_1)
	s_add_nc_u64 s[0:1], s[8:9], s[0:1]
	s_load_b32 s0, s[0:1], 0x0
	s_wait_kmcnt 0x0
	s_cmp_eq_u32 s0, 0
	s_mov_b32 s0, 0
	s_cselect_b32 s7, -1, 0
.LBB64_3:
	s_and_not1_b32 vcc_lo, exec_lo, s0
	s_cbranch_vccnz .LBB64_14
; %bb.4:
	s_wait_loadcnt_dscnt 0x0
	v_cmp_eq_f64_e32 vcc_lo, 0, v[0:1]
	v_cmp_eq_f64_e64 s0, 0, v[2:3]
	v_mov_b32_e32 v4, 0
	ds_store_b32 v4, v4
	s_wait_dscnt 0x0
	s_barrier_signal -1
	s_barrier_wait -1
	s_and_b32 s0, vcc_lo, s0
	s_delay_alu instid0(SALU_CYCLE_1)
	s_and_saveexec_b32 s1, s0
	s_cbranch_execz .LBB64_8
; %bb.5:
	ds_load_b32 v5, v4
	s_mov_b32 s4, 0
	s_wait_dscnt 0x0
	v_cmp_ne_u32_e32 vcc_lo, 0, v5
	v_cmp_gt_i32_e64 s0, 2, v5
	s_and_b32 s0, vcc_lo, s0
	s_delay_alu instid0(SALU_CYCLE_1)
	s_and_b32 vcc_lo, exec_lo, s0
	s_cbranch_vccnz .LBB64_8
; %bb.6:
	v_dual_mov_b32 v6, 1 :: v_dual_mov_b32 v7, 0
.LBB64_7:                               ; =>This Inner Loop Header: Depth=1
	ds_cmpstore_rtn_b32 v5, v7, v6, v5
	s_wait_dscnt 0x0
	v_cmp_ne_u32_e32 vcc_lo, 0, v5
	v_cmp_gt_i32_e64 s0, 2, v5
	s_and_b32 s0, vcc_lo, s0
	s_delay_alu instid0(SALU_CYCLE_1) | instskip(NEXT) | instid1(SALU_CYCLE_1)
	s_and_b32 s0, exec_lo, s0
	s_or_b32 s4, s0, s4
	s_delay_alu instid0(SALU_CYCLE_1)
	s_and_not1_b32 exec_lo, exec_lo, s4
	s_cbranch_execnz .LBB64_7
.LBB64_8:
	s_or_b32 exec_lo, exec_lo, s1
	s_barrier_signal -1
	s_barrier_wait -1
	ds_load_b32 v5, v4
	s_lshl_b64 s[0:1], s[10:11], 2
	s_delay_alu instid0(SALU_CYCLE_1)
	s_add_nc_u64 s[0:1], s[8:9], s[0:1]
	s_wait_dscnt 0x0
	v_cmp_ne_u32_e32 vcc_lo, 0, v5
	global_store_b32 v4, v5, s[0:1]
	s_cbranch_vccnz .LBB64_14
; %bb.9:
	s_wait_xcnt 0x0
	v_cmp_ngt_f64_e64 s0, |v[0:1]|, |v[2:3]|
	s_and_saveexec_b32 s1, s0
	s_delay_alu instid0(SALU_CYCLE_1)
	s_xor_b32 s0, exec_lo, s1
	s_cbranch_execz .LBB64_11
; %bb.10:
	v_div_scale_f64 v[4:5], null, v[2:3], v[2:3], v[0:1]
	v_div_scale_f64 v[10:11], vcc_lo, v[0:1], v[2:3], v[0:1]
	s_delay_alu instid0(VALU_DEP_2) | instskip(SKIP_1) | instid1(TRANS32_DEP_1)
	v_rcp_f64_e32 v[6:7], v[4:5]
	v_nop
	v_fma_f64 v[8:9], -v[4:5], v[6:7], 1.0
	s_delay_alu instid0(VALU_DEP_1) | instskip(NEXT) | instid1(VALU_DEP_1)
	v_fmac_f64_e32 v[6:7], v[6:7], v[8:9]
	v_fma_f64 v[8:9], -v[4:5], v[6:7], 1.0
	s_delay_alu instid0(VALU_DEP_1) | instskip(NEXT) | instid1(VALU_DEP_1)
	v_fmac_f64_e32 v[6:7], v[6:7], v[8:9]
	v_mul_f64_e32 v[8:9], v[10:11], v[6:7]
	s_delay_alu instid0(VALU_DEP_1) | instskip(NEXT) | instid1(VALU_DEP_1)
	v_fma_f64 v[4:5], -v[4:5], v[8:9], v[10:11]
	v_div_fmas_f64 v[4:5], v[4:5], v[6:7], v[8:9]
	s_delay_alu instid0(VALU_DEP_1) | instskip(NEXT) | instid1(VALU_DEP_1)
	v_div_fixup_f64 v[4:5], v[4:5], v[2:3], v[0:1]
	v_fmac_f64_e32 v[2:3], v[0:1], v[4:5]
	s_delay_alu instid0(VALU_DEP_1) | instskip(NEXT) | instid1(VALU_DEP_1)
	v_div_scale_f64 v[0:1], null, v[2:3], v[2:3], 1.0
	v_rcp_f64_e32 v[6:7], v[0:1]
	v_nop
	s_delay_alu instid0(TRANS32_DEP_1) | instskip(NEXT) | instid1(VALU_DEP_1)
	v_fma_f64 v[8:9], -v[0:1], v[6:7], 1.0
	v_fmac_f64_e32 v[6:7], v[6:7], v[8:9]
	s_delay_alu instid0(VALU_DEP_1) | instskip(NEXT) | instid1(VALU_DEP_1)
	v_fma_f64 v[8:9], -v[0:1], v[6:7], 1.0
	v_fmac_f64_e32 v[6:7], v[6:7], v[8:9]
	v_div_scale_f64 v[8:9], vcc_lo, 1.0, v[2:3], 1.0
	s_delay_alu instid0(VALU_DEP_1) | instskip(NEXT) | instid1(VALU_DEP_1)
	v_mul_f64_e32 v[10:11], v[8:9], v[6:7]
	v_fma_f64 v[0:1], -v[0:1], v[10:11], v[8:9]
	s_delay_alu instid0(VALU_DEP_1) | instskip(NEXT) | instid1(VALU_DEP_1)
	v_div_fmas_f64 v[0:1], v[0:1], v[6:7], v[10:11]
	v_div_fixup_f64 v[2:3], v[0:1], v[2:3], 1.0
	s_delay_alu instid0(VALU_DEP_1)
	v_mul_f64_e32 v[0:1], v[4:5], v[2:3]
	v_xor_b32_e32 v3, 0x80000000, v3
.LBB64_11:
	s_and_not1_saveexec_b32 s0, s0
	s_cbranch_execz .LBB64_13
; %bb.12:
	s_delay_alu instid0(VALU_DEP_1) | instskip(SKIP_1) | instid1(VALU_DEP_2)
	v_div_scale_f64 v[4:5], null, v[0:1], v[0:1], v[2:3]
	v_div_scale_f64 v[10:11], vcc_lo, v[2:3], v[0:1], v[2:3]
	v_rcp_f64_e32 v[6:7], v[4:5]
	v_nop
	s_delay_alu instid0(TRANS32_DEP_1) | instskip(NEXT) | instid1(VALU_DEP_1)
	v_fma_f64 v[8:9], -v[4:5], v[6:7], 1.0
	v_fmac_f64_e32 v[6:7], v[6:7], v[8:9]
	s_delay_alu instid0(VALU_DEP_1) | instskip(NEXT) | instid1(VALU_DEP_1)
	v_fma_f64 v[8:9], -v[4:5], v[6:7], 1.0
	v_fmac_f64_e32 v[6:7], v[6:7], v[8:9]
	s_delay_alu instid0(VALU_DEP_1) | instskip(NEXT) | instid1(VALU_DEP_1)
	v_mul_f64_e32 v[8:9], v[10:11], v[6:7]
	v_fma_f64 v[4:5], -v[4:5], v[8:9], v[10:11]
	s_delay_alu instid0(VALU_DEP_1) | instskip(NEXT) | instid1(VALU_DEP_1)
	v_div_fmas_f64 v[4:5], v[4:5], v[6:7], v[8:9]
	v_div_fixup_f64 v[4:5], v[4:5], v[0:1], v[2:3]
	s_delay_alu instid0(VALU_DEP_1) | instskip(NEXT) | instid1(VALU_DEP_1)
	v_fmac_f64_e32 v[0:1], v[2:3], v[4:5]
	v_div_scale_f64 v[2:3], null, v[0:1], v[0:1], 1.0
	s_delay_alu instid0(VALU_DEP_1) | instskip(SKIP_1) | instid1(TRANS32_DEP_1)
	v_rcp_f64_e32 v[6:7], v[2:3]
	v_nop
	v_fma_f64 v[8:9], -v[2:3], v[6:7], 1.0
	s_delay_alu instid0(VALU_DEP_1) | instskip(NEXT) | instid1(VALU_DEP_1)
	v_fmac_f64_e32 v[6:7], v[6:7], v[8:9]
	v_fma_f64 v[8:9], -v[2:3], v[6:7], 1.0
	s_delay_alu instid0(VALU_DEP_1) | instskip(SKIP_1) | instid1(VALU_DEP_1)
	v_fmac_f64_e32 v[6:7], v[6:7], v[8:9]
	v_div_scale_f64 v[8:9], vcc_lo, 1.0, v[0:1], 1.0
	v_mul_f64_e32 v[10:11], v[8:9], v[6:7]
	s_delay_alu instid0(VALU_DEP_1) | instskip(NEXT) | instid1(VALU_DEP_1)
	v_fma_f64 v[2:3], -v[2:3], v[10:11], v[8:9]
	v_div_fmas_f64 v[2:3], v[2:3], v[6:7], v[10:11]
	s_delay_alu instid0(VALU_DEP_1) | instskip(NEXT) | instid1(VALU_DEP_1)
	v_div_fixup_f64 v[0:1], v[2:3], v[0:1], 1.0
	v_mul_f64_e64 v[2:3], v[4:5], -v[0:1]
.LBB64_13:
	s_or_b32 exec_lo, exec_lo, s0
	s_mov_b32 s7, -1
.LBB64_14:
	s_delay_alu instid0(SALU_CYCLE_1)
	s_and_b32 vcc_lo, exec_lo, s7
	s_cbranch_vccz .LBB64_16
; %bb.15:
	s_wait_xcnt 0x0
	s_ashr_i32 s1, s6, 31
	s_mov_b32 s0, s6
	v_mov_b32_e32 v4, 0
	s_lshl_b64 s[0:1], s[0:1], 4
	s_delay_alu instid0(SALU_CYCLE_1)
	s_add_nc_u64 s[0:1], s[2:3], s[0:1]
	s_wait_loadcnt_dscnt 0x0
	flat_store_b128 v4, v[0:3], s[0:1]
.LBB64_16:
	s_endpgm
	.section	.rodata,"a",@progbits
	.p2align	6, 0x0
	.amdhsa_kernel _ZN9rocsolver6v33100L18getri_kernel_smallILi1E19rocblas_complex_numIdEPKPS3_EEvT1_iilPiilS8_bb
		.amdhsa_group_segment_fixed_size 4
		.amdhsa_private_segment_fixed_size 0
		.amdhsa_kernarg_size 60
		.amdhsa_user_sgpr_count 2
		.amdhsa_user_sgpr_dispatch_ptr 0
		.amdhsa_user_sgpr_queue_ptr 0
		.amdhsa_user_sgpr_kernarg_segment_ptr 1
		.amdhsa_user_sgpr_dispatch_id 0
		.amdhsa_user_sgpr_kernarg_preload_length 0
		.amdhsa_user_sgpr_kernarg_preload_offset 0
		.amdhsa_user_sgpr_private_segment_size 0
		.amdhsa_wavefront_size32 1
		.amdhsa_uses_dynamic_stack 0
		.amdhsa_enable_private_segment 0
		.amdhsa_system_sgpr_workgroup_id_x 1
		.amdhsa_system_sgpr_workgroup_id_y 0
		.amdhsa_system_sgpr_workgroup_id_z 0
		.amdhsa_system_sgpr_workgroup_info 0
		.amdhsa_system_vgpr_workitem_id 0
		.amdhsa_next_free_vgpr 12
		.amdhsa_next_free_sgpr 13
		.amdhsa_named_barrier_count 0
		.amdhsa_reserve_vcc 1
		.amdhsa_float_round_mode_32 0
		.amdhsa_float_round_mode_16_64 0
		.amdhsa_float_denorm_mode_32 3
		.amdhsa_float_denorm_mode_16_64 3
		.amdhsa_fp16_overflow 0
		.amdhsa_memory_ordered 1
		.amdhsa_forward_progress 1
		.amdhsa_inst_pref_size 8
		.amdhsa_round_robin_scheduling 0
		.amdhsa_exception_fp_ieee_invalid_op 0
		.amdhsa_exception_fp_denorm_src 0
		.amdhsa_exception_fp_ieee_div_zero 0
		.amdhsa_exception_fp_ieee_overflow 0
		.amdhsa_exception_fp_ieee_underflow 0
		.amdhsa_exception_fp_ieee_inexact 0
		.amdhsa_exception_int_div_zero 0
	.end_amdhsa_kernel
	.section	.text._ZN9rocsolver6v33100L18getri_kernel_smallILi1E19rocblas_complex_numIdEPKPS3_EEvT1_iilPiilS8_bb,"axG",@progbits,_ZN9rocsolver6v33100L18getri_kernel_smallILi1E19rocblas_complex_numIdEPKPS3_EEvT1_iilPiilS8_bb,comdat
.Lfunc_end64:
	.size	_ZN9rocsolver6v33100L18getri_kernel_smallILi1E19rocblas_complex_numIdEPKPS3_EEvT1_iilPiilS8_bb, .Lfunc_end64-_ZN9rocsolver6v33100L18getri_kernel_smallILi1E19rocblas_complex_numIdEPKPS3_EEvT1_iilPiilS8_bb
                                        ; -- End function
	.set _ZN9rocsolver6v33100L18getri_kernel_smallILi1E19rocblas_complex_numIdEPKPS3_EEvT1_iilPiilS8_bb.num_vgpr, 12
	.set _ZN9rocsolver6v33100L18getri_kernel_smallILi1E19rocblas_complex_numIdEPKPS3_EEvT1_iilPiilS8_bb.num_agpr, 0
	.set _ZN9rocsolver6v33100L18getri_kernel_smallILi1E19rocblas_complex_numIdEPKPS3_EEvT1_iilPiilS8_bb.numbered_sgpr, 13
	.set _ZN9rocsolver6v33100L18getri_kernel_smallILi1E19rocblas_complex_numIdEPKPS3_EEvT1_iilPiilS8_bb.num_named_barrier, 0
	.set _ZN9rocsolver6v33100L18getri_kernel_smallILi1E19rocblas_complex_numIdEPKPS3_EEvT1_iilPiilS8_bb.private_seg_size, 0
	.set _ZN9rocsolver6v33100L18getri_kernel_smallILi1E19rocblas_complex_numIdEPKPS3_EEvT1_iilPiilS8_bb.uses_vcc, 1
	.set _ZN9rocsolver6v33100L18getri_kernel_smallILi1E19rocblas_complex_numIdEPKPS3_EEvT1_iilPiilS8_bb.uses_flat_scratch, 0
	.set _ZN9rocsolver6v33100L18getri_kernel_smallILi1E19rocblas_complex_numIdEPKPS3_EEvT1_iilPiilS8_bb.has_dyn_sized_stack, 0
	.set _ZN9rocsolver6v33100L18getri_kernel_smallILi1E19rocblas_complex_numIdEPKPS3_EEvT1_iilPiilS8_bb.has_recursion, 0
	.set _ZN9rocsolver6v33100L18getri_kernel_smallILi1E19rocblas_complex_numIdEPKPS3_EEvT1_iilPiilS8_bb.has_indirect_call, 0
	.section	.AMDGPU.csdata,"",@progbits
; Kernel info:
; codeLenInByte = 932
; TotalNumSgprs: 15
; NumVgprs: 12
; ScratchSize: 0
; MemoryBound: 0
; FloatMode: 240
; IeeeMode: 1
; LDSByteSize: 4 bytes/workgroup (compile time only)
; SGPRBlocks: 0
; VGPRBlocks: 0
; NumSGPRsForWavesPerEU: 15
; NumVGPRsForWavesPerEU: 12
; NamedBarCnt: 0
; Occupancy: 16
; WaveLimiterHint : 1
; COMPUTE_PGM_RSRC2:SCRATCH_EN: 0
; COMPUTE_PGM_RSRC2:USER_SGPR: 2
; COMPUTE_PGM_RSRC2:TRAP_HANDLER: 0
; COMPUTE_PGM_RSRC2:TGID_X_EN: 1
; COMPUTE_PGM_RSRC2:TGID_Y_EN: 0
; COMPUTE_PGM_RSRC2:TGID_Z_EN: 0
; COMPUTE_PGM_RSRC2:TIDIG_COMP_CNT: 0
	.section	.text._ZN9rocsolver6v33100L18getri_kernel_smallILi2E19rocblas_complex_numIdEPKPS3_EEvT1_iilPiilS8_bb,"axG",@progbits,_ZN9rocsolver6v33100L18getri_kernel_smallILi2E19rocblas_complex_numIdEPKPS3_EEvT1_iilPiilS8_bb,comdat
	.globl	_ZN9rocsolver6v33100L18getri_kernel_smallILi2E19rocblas_complex_numIdEPKPS3_EEvT1_iilPiilS8_bb ; -- Begin function _ZN9rocsolver6v33100L18getri_kernel_smallILi2E19rocblas_complex_numIdEPKPS3_EEvT1_iilPiilS8_bb
	.p2align	8
	.type	_ZN9rocsolver6v33100L18getri_kernel_smallILi2E19rocblas_complex_numIdEPKPS3_EEvT1_iilPiilS8_bb,@function
_ZN9rocsolver6v33100L18getri_kernel_smallILi2E19rocblas_complex_numIdEPKPS3_EEvT1_iilPiilS8_bb: ; @_ZN9rocsolver6v33100L18getri_kernel_smallILi2E19rocblas_complex_numIdEPKPS3_EEvT1_iilPiilS8_bb
; %bb.0:
	v_and_b32_e32 v1, 0x3ff, v0
	s_mov_b32 s4, exec_lo
	s_delay_alu instid0(VALU_DEP_1)
	v_cmpx_gt_u32_e32 2, v1
	s_cbranch_execz .LBB65_22
; %bb.1:
	s_clause 0x1
	s_load_b32 s15, s[2:3], 0x38
	s_load_b64 s[8:9], s[2:3], 0x0
	s_getreg_b32 s6, hwreg(HW_REG_IB_STS2, 6, 4)
	s_wait_kmcnt 0x0
	s_bitcmp1_b32 s15, 8
	s_cselect_b32 s14, -1, 0
	s_bfe_u32 s4, ttmp6, 0x4000c
	s_and_b32 s5, ttmp6, 15
	s_add_co_i32 s4, s4, 1
	s_delay_alu instid0(SALU_CYCLE_1) | instskip(NEXT) | instid1(SALU_CYCLE_1)
	s_mul_i32 s4, ttmp9, s4
	s_add_co_i32 s5, s5, s4
	s_cmp_eq_u32 s6, 0
	s_cselect_b32 s10, ttmp9, s5
	s_load_b128 s[4:7], s[2:3], 0x28
	s_ashr_i32 s11, s10, 31
	s_delay_alu instid0(SALU_CYCLE_1) | instskip(NEXT) | instid1(SALU_CYCLE_1)
	s_lshl_b64 s[12:13], s[10:11], 3
	s_add_nc_u64 s[8:9], s[8:9], s[12:13]
	s_load_b64 s[12:13], s[8:9], 0x0
	s_wait_xcnt 0x0
	s_bfe_u32 s8, s15, 0x10008
	s_delay_alu instid0(SALU_CYCLE_1)
	s_cmp_eq_u32 s8, 0
                                        ; implicit-def: $sgpr8_sgpr9
	s_cbranch_scc1 .LBB65_3
; %bb.2:
	s_load_b96 s[16:18], s[2:3], 0x18
	s_wait_kmcnt 0x0
	s_mul_u64 s[4:5], s[4:5], s[10:11]
	s_delay_alu instid0(SALU_CYCLE_1) | instskip(SKIP_4) | instid1(SALU_CYCLE_1)
	s_lshl_b64 s[4:5], s[4:5], 2
	s_ashr_i32 s9, s18, 31
	s_mov_b32 s8, s18
	s_add_nc_u64 s[4:5], s[16:17], s[4:5]
	s_lshl_b64 s[8:9], s[8:9], 2
	s_add_nc_u64 s[8:9], s[4:5], s[8:9]
.LBB65_3:
	s_wait_kmcnt 0x0
	s_clause 0x1
	s_load_b64 s[4:5], s[2:3], 0x8
	s_load_b32 s15, s[2:3], 0x38
	v_dual_mov_b32 v19, 0 :: v_dual_lshlrev_b32 v18, 4, v1
	s_wait_kmcnt 0x0
	s_ashr_i32 s3, s4, 31
	s_mov_b32 s2, s4
	s_mov_b32 s4, 16
	s_lshl_b64 s[2:3], s[2:3], 4
	s_delay_alu instid0(SALU_CYCLE_1) | instskip(SKIP_4) | instid1(VALU_DEP_1)
	s_add_nc_u64 s[2:3], s[12:13], s[2:3]
	s_ashr_i32 s13, s5, 31
	v_add_nc_u64_e32 v[14:15], s[2:3], v[18:19]
	s_mov_b32 s12, s5
	s_bitcmp0_b32 s15, 0
	v_lshl_add_u64 v[16:17], s[12:13], 4, v[14:15]
	s_clause 0x1
	flat_load_b128 v[2:5], v1, s[2:3] scale_offset
	flat_load_b128 v[6:9], v[16:17]
	s_wait_xcnt 0x1
	s_mov_b32 s3, -1
	s_wait_loadcnt_dscnt 0x101
	scratch_store_b128 off, v[2:5], off
	s_wait_loadcnt_dscnt 0x0
	scratch_store_b128 off, v[6:9], off offset:16
	s_cbranch_scc1 .LBB65_20
; %bb.4:
	v_cmp_eq_u32_e64 s2, 0, v1
	s_wait_xcnt 0x0
	s_and_saveexec_b32 s3, s2
; %bb.5:
	v_mov_b32_e32 v2, 0
	ds_store_b32 v2, v2 offset:64
; %bb.6:
	s_or_b32 exec_lo, exec_lo, s3
	s_wait_storecnt_dscnt 0x0
	s_barrier_signal -1
	s_barrier_wait -1
	scratch_load_b128 v[2:5], v1, off scale_offset
	s_wait_loadcnt 0x0
	v_cmp_eq_f64_e32 vcc_lo, 0, v[2:3]
	v_cmp_eq_f64_e64 s3, 0, v[4:5]
	s_and_b32 s3, vcc_lo, s3
	s_delay_alu instid0(SALU_CYCLE_1)
	s_and_saveexec_b32 s5, s3
	s_cbranch_execz .LBB65_10
; %bb.7:
	v_mov_b32_e32 v2, 0
	s_mov_b32 s12, 0
	ds_load_b32 v3, v2 offset:64
	s_wait_dscnt 0x0
	v_readfirstlane_b32 s3, v3
	v_add_nc_u32_e32 v3, 1, v1
	s_cmp_eq_u32 s3, 0
	s_delay_alu instid0(VALU_DEP_1) | instskip(SKIP_1) | instid1(SALU_CYCLE_1)
	v_cmp_gt_i32_e32 vcc_lo, s3, v3
	s_cselect_b32 s13, -1, 0
	s_or_b32 s13, s13, vcc_lo
	s_delay_alu instid0(SALU_CYCLE_1)
	s_and_b32 exec_lo, exec_lo, s13
	s_cbranch_execz .LBB65_10
; %bb.8:
	v_mov_b32_e32 v4, s3
.LBB65_9:                               ; =>This Inner Loop Header: Depth=1
	ds_cmpstore_rtn_b32 v4, v2, v3, v4 offset:64
	s_wait_dscnt 0x0
	v_cmp_ne_u32_e32 vcc_lo, 0, v4
	v_cmp_le_i32_e64 s3, v4, v3
	s_and_b32 s3, vcc_lo, s3
	s_delay_alu instid0(SALU_CYCLE_1) | instskip(NEXT) | instid1(SALU_CYCLE_1)
	s_and_b32 s3, exec_lo, s3
	s_or_b32 s12, s3, s12
	s_delay_alu instid0(SALU_CYCLE_1)
	s_and_not1_b32 exec_lo, exec_lo, s12
	s_cbranch_execnz .LBB65_9
.LBB65_10:
	s_or_b32 exec_lo, exec_lo, s5
	v_mov_b32_e32 v2, 0
	s_barrier_signal -1
	s_barrier_wait -1
	ds_load_b32 v3, v2 offset:64
	s_and_saveexec_b32 s3, s2
	s_cbranch_execz .LBB65_12
; %bb.11:
	s_lshl_b64 s[12:13], s[10:11], 2
	s_delay_alu instid0(SALU_CYCLE_1)
	s_add_nc_u64 s[12:13], s[6:7], s[12:13]
	s_wait_dscnt 0x0
	global_store_b32 v2, v3, s[12:13]
.LBB65_12:
	s_wait_xcnt 0x0
	s_or_b32 exec_lo, exec_lo, s3
	s_wait_dscnt 0x0
	v_cmp_ne_u32_e32 vcc_lo, 0, v3
	s_mov_b32 s3, 0
	s_cbranch_vccnz .LBB65_20
; %bb.13:
	v_lshl_add_u32 v12, v1, 4, 0
                                        ; implicit-def: $vgpr6_vgpr7
                                        ; implicit-def: $vgpr10_vgpr11
	scratch_load_b128 v[2:5], v12, off
	s_wait_loadcnt 0x0
	v_cmp_ngt_f64_e64 s3, |v[2:3]|, |v[4:5]|
	s_wait_xcnt 0x0
	s_and_saveexec_b32 s5, s3
	s_delay_alu instid0(SALU_CYCLE_1)
	s_xor_b32 s3, exec_lo, s5
	s_cbranch_execz .LBB65_15
; %bb.14:
	v_div_scale_f64 v[6:7], null, v[4:5], v[4:5], v[2:3]
	v_div_scale_f64 v[20:21], vcc_lo, v[2:3], v[4:5], v[2:3]
	s_delay_alu instid0(VALU_DEP_2) | instskip(SKIP_1) | instid1(TRANS32_DEP_1)
	v_rcp_f64_e32 v[8:9], v[6:7]
	v_nop
	v_fma_f64 v[10:11], -v[6:7], v[8:9], 1.0
	s_delay_alu instid0(VALU_DEP_1) | instskip(NEXT) | instid1(VALU_DEP_1)
	v_fmac_f64_e32 v[8:9], v[8:9], v[10:11]
	v_fma_f64 v[10:11], -v[6:7], v[8:9], 1.0
	s_delay_alu instid0(VALU_DEP_1) | instskip(NEXT) | instid1(VALU_DEP_1)
	v_fmac_f64_e32 v[8:9], v[8:9], v[10:11]
	v_mul_f64_e32 v[10:11], v[20:21], v[8:9]
	s_delay_alu instid0(VALU_DEP_1) | instskip(NEXT) | instid1(VALU_DEP_1)
	v_fma_f64 v[6:7], -v[6:7], v[10:11], v[20:21]
	v_div_fmas_f64 v[6:7], v[6:7], v[8:9], v[10:11]
	s_delay_alu instid0(VALU_DEP_1) | instskip(NEXT) | instid1(VALU_DEP_1)
	v_div_fixup_f64 v[6:7], v[6:7], v[4:5], v[2:3]
	v_fmac_f64_e32 v[4:5], v[2:3], v[6:7]
	s_delay_alu instid0(VALU_DEP_1) | instskip(SKIP_1) | instid1(VALU_DEP_2)
	v_div_scale_f64 v[2:3], null, v[4:5], v[4:5], 1.0
	v_div_scale_f64 v[20:21], vcc_lo, 1.0, v[4:5], 1.0
	v_rcp_f64_e32 v[8:9], v[2:3]
	v_nop
	s_delay_alu instid0(TRANS32_DEP_1) | instskip(NEXT) | instid1(VALU_DEP_1)
	v_fma_f64 v[10:11], -v[2:3], v[8:9], 1.0
	v_fmac_f64_e32 v[8:9], v[8:9], v[10:11]
	s_delay_alu instid0(VALU_DEP_1) | instskip(NEXT) | instid1(VALU_DEP_1)
	v_fma_f64 v[10:11], -v[2:3], v[8:9], 1.0
	v_fmac_f64_e32 v[8:9], v[8:9], v[10:11]
	s_delay_alu instid0(VALU_DEP_1) | instskip(NEXT) | instid1(VALU_DEP_1)
	v_mul_f64_e32 v[10:11], v[20:21], v[8:9]
	v_fma_f64 v[2:3], -v[2:3], v[10:11], v[20:21]
	s_delay_alu instid0(VALU_DEP_1) | instskip(NEXT) | instid1(VALU_DEP_1)
	v_div_fmas_f64 v[2:3], v[2:3], v[8:9], v[10:11]
	v_div_fixup_f64 v[8:9], v[2:3], v[4:5], 1.0
                                        ; implicit-def: $vgpr2_vgpr3
	s_delay_alu instid0(VALU_DEP_1) | instskip(SKIP_1) | instid1(VALU_DEP_2)
	v_mul_f64_e32 v[6:7], v[6:7], v[8:9]
	v_xor_b32_e32 v9, 0x80000000, v9
	v_xor_b32_e32 v11, 0x80000000, v7
	s_delay_alu instid0(VALU_DEP_3)
	v_mov_b32_e32 v10, v6
.LBB65_15:
	s_and_not1_saveexec_b32 s3, s3
	s_cbranch_execz .LBB65_17
; %bb.16:
	v_div_scale_f64 v[6:7], null, v[2:3], v[2:3], v[4:5]
	v_div_scale_f64 v[20:21], vcc_lo, v[4:5], v[2:3], v[4:5]
	s_delay_alu instid0(VALU_DEP_2) | instskip(SKIP_1) | instid1(TRANS32_DEP_1)
	v_rcp_f64_e32 v[8:9], v[6:7]
	v_nop
	v_fma_f64 v[10:11], -v[6:7], v[8:9], 1.0
	s_delay_alu instid0(VALU_DEP_1) | instskip(NEXT) | instid1(VALU_DEP_1)
	v_fmac_f64_e32 v[8:9], v[8:9], v[10:11]
	v_fma_f64 v[10:11], -v[6:7], v[8:9], 1.0
	s_delay_alu instid0(VALU_DEP_1) | instskip(NEXT) | instid1(VALU_DEP_1)
	v_fmac_f64_e32 v[8:9], v[8:9], v[10:11]
	v_mul_f64_e32 v[10:11], v[20:21], v[8:9]
	s_delay_alu instid0(VALU_DEP_1) | instskip(NEXT) | instid1(VALU_DEP_1)
	v_fma_f64 v[6:7], -v[6:7], v[10:11], v[20:21]
	v_div_fmas_f64 v[6:7], v[6:7], v[8:9], v[10:11]
	s_delay_alu instid0(VALU_DEP_1) | instskip(NEXT) | instid1(VALU_DEP_1)
	v_div_fixup_f64 v[8:9], v[6:7], v[2:3], v[4:5]
	v_fmac_f64_e32 v[2:3], v[4:5], v[8:9]
	s_delay_alu instid0(VALU_DEP_1) | instskip(NEXT) | instid1(VALU_DEP_1)
	v_div_scale_f64 v[4:5], null, v[2:3], v[2:3], 1.0
	v_rcp_f64_e32 v[6:7], v[4:5]
	v_nop
	s_delay_alu instid0(TRANS32_DEP_1) | instskip(NEXT) | instid1(VALU_DEP_1)
	v_fma_f64 v[10:11], -v[4:5], v[6:7], 1.0
	v_fmac_f64_e32 v[6:7], v[6:7], v[10:11]
	s_delay_alu instid0(VALU_DEP_1) | instskip(NEXT) | instid1(VALU_DEP_1)
	v_fma_f64 v[10:11], -v[4:5], v[6:7], 1.0
	v_fmac_f64_e32 v[6:7], v[6:7], v[10:11]
	v_div_scale_f64 v[10:11], vcc_lo, 1.0, v[2:3], 1.0
	s_delay_alu instid0(VALU_DEP_1) | instskip(NEXT) | instid1(VALU_DEP_1)
	v_mul_f64_e32 v[20:21], v[10:11], v[6:7]
	v_fma_f64 v[4:5], -v[4:5], v[20:21], v[10:11]
	s_delay_alu instid0(VALU_DEP_1) | instskip(NEXT) | instid1(VALU_DEP_1)
	v_div_fmas_f64 v[4:5], v[4:5], v[6:7], v[20:21]
	v_div_fixup_f64 v[6:7], v[4:5], v[2:3], 1.0
	s_delay_alu instid0(VALU_DEP_1)
	v_mul_f64_e64 v[8:9], v[8:9], -v[6:7]
	v_xor_b32_e32 v11, 0x80000000, v7
	v_mov_b32_e32 v10, v6
.LBB65_17:
	s_or_b32 exec_lo, exec_lo, s3
	s_clause 0x1
	scratch_store_b128 v12, v[6:9], off
	scratch_load_b128 v[2:5], off, s4
	v_xor_b32_e32 v13, 0x80000000, v9
	s_wait_xcnt 0x1
	v_mov_b32_e32 v12, v8
	ds_store_b128 v18, v[10:13]
	s_wait_loadcnt 0x0
	ds_store_b128 v18, v[2:5] offset:32
	s_wait_storecnt_dscnt 0x0
	s_barrier_signal -1
	s_barrier_wait -1
	s_wait_xcnt 0x0
	s_and_saveexec_b32 s3, s2
	s_cbranch_execz .LBB65_19
; %bb.18:
	scratch_load_b128 v[2:5], off, off
	v_mov_b32_e32 v12, 0
	ds_load_b128 v[6:9], v12 offset:32
	s_wait_loadcnt_dscnt 0x0
	v_mul_f64_e32 v[10:11], v[6:7], v[4:5]
	v_mul_f64_e32 v[4:5], v[8:9], v[4:5]
	s_delay_alu instid0(VALU_DEP_2) | instskip(NEXT) | instid1(VALU_DEP_2)
	v_fmac_f64_e32 v[10:11], v[8:9], v[2:3]
	v_fma_f64 v[2:3], v[6:7], v[2:3], -v[4:5]
	s_delay_alu instid0(VALU_DEP_2) | instskip(NEXT) | instid1(VALU_DEP_2)
	v_add_f64_e32 v[8:9], 0, v[10:11]
	v_add_f64_e32 v[10:11], 0, v[2:3]
	ds_load_b128 v[2:5], v12 offset:16
	s_wait_dscnt 0x0
	v_mul_f64_e32 v[12:13], v[8:9], v[4:5]
	v_mul_f64_e32 v[6:7], v[10:11], v[4:5]
	s_delay_alu instid0(VALU_DEP_2) | instskip(NEXT) | instid1(VALU_DEP_2)
	v_fma_f64 v[4:5], v[10:11], v[2:3], -v[12:13]
	v_fmac_f64_e32 v[6:7], v[8:9], v[2:3]
	scratch_store_b128 off, v[4:7], off offset:16
.LBB65_19:
	s_wait_xcnt 0x0
	s_or_b32 exec_lo, exec_lo, s3
	s_mov_b32 s3, -1
	s_wait_storecnt 0x0
	s_barrier_signal -1
	s_barrier_wait -1
.LBB65_20:
	s_and_b32 vcc_lo, exec_lo, s3
	s_cbranch_vccz .LBB65_22
; %bb.21:
	s_wait_xcnt 0x1
	v_mov_b32_e32 v2, 0
	s_lshl_b64 s[2:3], s[10:11], 2
	s_delay_alu instid0(SALU_CYCLE_1)
	s_add_nc_u64 s[2:3], s[6:7], s[2:3]
	global_load_b32 v2, v2, s[2:3]
	s_wait_loadcnt 0x0
	v_cmp_ne_u32_e32 vcc_lo, 0, v2
	s_cbranch_vccz .LBB65_23
.LBB65_22:
	s_endpgm
.LBB65_23:
	s_wait_xcnt 0x0
	s_mov_b32 s2, exec_lo
	v_cmpx_eq_u32_e32 1, v1
	s_cbranch_execz .LBB65_25
; %bb.24:
	scratch_load_b128 v[2:5], off, off
	v_mov_b32_e32 v6, 0
	s_delay_alu instid0(VALU_DEP_1)
	v_dual_mov_b32 v7, v6 :: v_dual_mov_b32 v8, v6
	v_mov_b32_e32 v9, v6
	scratch_store_b128 off, v[6:9], off
	s_wait_loadcnt 0x0
	ds_store_b128 v6, v[2:5] offset:48
.LBB65_25:
	s_wait_xcnt 0x0
	s_or_b32 exec_lo, exec_lo, s2
	s_wait_storecnt_dscnt 0x0
	s_barrier_signal -1
	s_barrier_wait -1
	s_clause 0x1
	scratch_load_b128 v[4:7], off, off offset:16
	scratch_load_b128 v[8:11], off, off
	v_mov_b32_e32 v2, 0
	s_and_b32 vcc_lo, exec_lo, s14
	ds_load_b128 v[18:21], v2 offset:48
	s_wait_loadcnt_dscnt 0x100
	v_mul_f64_e32 v[12:13], v[20:21], v[6:7]
	v_mul_f64_e32 v[6:7], v[18:19], v[6:7]
	s_delay_alu instid0(VALU_DEP_2) | instskip(NEXT) | instid1(VALU_DEP_2)
	v_fma_f64 v[12:13], v[18:19], v[4:5], -v[12:13]
	v_fmac_f64_e32 v[6:7], v[20:21], v[4:5]
	s_delay_alu instid0(VALU_DEP_2) | instskip(NEXT) | instid1(VALU_DEP_2)
	v_add_f64_e32 v[4:5], 0, v[12:13]
	v_add_f64_e32 v[6:7], 0, v[6:7]
	s_wait_loadcnt 0x0
	s_delay_alu instid0(VALU_DEP_2) | instskip(NEXT) | instid1(VALU_DEP_2)
	v_add_f64_e64 v[4:5], v[8:9], -v[4:5]
	v_add_f64_e64 v[6:7], v[10:11], -v[6:7]
	scratch_store_b128 off, v[4:7], off
	s_cbranch_vccz .LBB65_28
; %bb.26:
	global_load_b32 v2, v2, s[8:9]
	s_wait_loadcnt 0x0
	v_cmp_ne_u32_e32 vcc_lo, 1, v2
	s_cbranch_vccz .LBB65_28
; %bb.27:
	s_wait_xcnt 0x0
	v_lshlrev_b32_e32 v2, 4, v2
	s_load_b64 s[2:3], s[0:1], 0x4
	v_bfe_u32 v11, v0, 10, 10
	v_bfe_u32 v0, v0, 20, 10
	s_delay_alu instid0(VALU_DEP_3)
	v_mov_b32_e32 v10, v2
	scratch_load_b128 v[2:5], off, off
	scratch_load_b128 v[6:9], v10, off offset:-16
	s_wait_kmcnt 0x0
	v_mul_u32_u24_e32 v11, s3, v11
	s_lshr_b32 s0, s2, 16
	s_delay_alu instid0(SALU_CYCLE_1)
	s_mul_i32 s0, s0, s3
	s_delay_alu instid0(VALU_DEP_1) | instid1(SALU_CYCLE_1)
	v_mad_u32_u24 v1, s0, v1, v11
	s_delay_alu instid0(VALU_DEP_1)
	v_add_lshl_u32 v0, v1, v0, 4
	s_wait_loadcnt 0x1
	ds_store_2addr_b64 v0, v[2:3], v[4:5] offset0:9 offset1:10
	s_wait_loadcnt 0x0
	scratch_store_b128 off, v[6:9], off
	scratch_store_b128 v10, v[2:5], off offset:-16
.LBB65_28:
	scratch_load_b128 v[0:3], off, off
	scratch_load_b128 v[4:7], off, s4
	s_wait_loadcnt 0x1
	flat_store_b128 v[14:15], v[0:3]
	s_wait_loadcnt 0x0
	flat_store_b128 v[16:17], v[4:7]
	s_endpgm
	.section	.rodata,"a",@progbits
	.p2align	6, 0x0
	.amdhsa_kernel _ZN9rocsolver6v33100L18getri_kernel_smallILi2E19rocblas_complex_numIdEPKPS3_EEvT1_iilPiilS8_bb
		.amdhsa_group_segment_fixed_size 1096
		.amdhsa_private_segment_fixed_size 48
		.amdhsa_kernarg_size 60
		.amdhsa_user_sgpr_count 4
		.amdhsa_user_sgpr_dispatch_ptr 1
		.amdhsa_user_sgpr_queue_ptr 0
		.amdhsa_user_sgpr_kernarg_segment_ptr 1
		.amdhsa_user_sgpr_dispatch_id 0
		.amdhsa_user_sgpr_kernarg_preload_length 0
		.amdhsa_user_sgpr_kernarg_preload_offset 0
		.amdhsa_user_sgpr_private_segment_size 0
		.amdhsa_wavefront_size32 1
		.amdhsa_uses_dynamic_stack 0
		.amdhsa_enable_private_segment 1
		.amdhsa_system_sgpr_workgroup_id_x 1
		.amdhsa_system_sgpr_workgroup_id_y 0
		.amdhsa_system_sgpr_workgroup_id_z 0
		.amdhsa_system_sgpr_workgroup_info 0
		.amdhsa_system_vgpr_workitem_id 2
		.amdhsa_next_free_vgpr 22
		.amdhsa_next_free_sgpr 19
		.amdhsa_named_barrier_count 0
		.amdhsa_reserve_vcc 1
		.amdhsa_float_round_mode_32 0
		.amdhsa_float_round_mode_16_64 0
		.amdhsa_float_denorm_mode_32 3
		.amdhsa_float_denorm_mode_16_64 3
		.amdhsa_fp16_overflow 0
		.amdhsa_memory_ordered 1
		.amdhsa_forward_progress 1
		.amdhsa_inst_pref_size 15
		.amdhsa_round_robin_scheduling 0
		.amdhsa_exception_fp_ieee_invalid_op 0
		.amdhsa_exception_fp_denorm_src 0
		.amdhsa_exception_fp_ieee_div_zero 0
		.amdhsa_exception_fp_ieee_overflow 0
		.amdhsa_exception_fp_ieee_underflow 0
		.amdhsa_exception_fp_ieee_inexact 0
		.amdhsa_exception_int_div_zero 0
	.end_amdhsa_kernel
	.section	.text._ZN9rocsolver6v33100L18getri_kernel_smallILi2E19rocblas_complex_numIdEPKPS3_EEvT1_iilPiilS8_bb,"axG",@progbits,_ZN9rocsolver6v33100L18getri_kernel_smallILi2E19rocblas_complex_numIdEPKPS3_EEvT1_iilPiilS8_bb,comdat
.Lfunc_end65:
	.size	_ZN9rocsolver6v33100L18getri_kernel_smallILi2E19rocblas_complex_numIdEPKPS3_EEvT1_iilPiilS8_bb, .Lfunc_end65-_ZN9rocsolver6v33100L18getri_kernel_smallILi2E19rocblas_complex_numIdEPKPS3_EEvT1_iilPiilS8_bb
                                        ; -- End function
	.set _ZN9rocsolver6v33100L18getri_kernel_smallILi2E19rocblas_complex_numIdEPKPS3_EEvT1_iilPiilS8_bb.num_vgpr, 22
	.set _ZN9rocsolver6v33100L18getri_kernel_smallILi2E19rocblas_complex_numIdEPKPS3_EEvT1_iilPiilS8_bb.num_agpr, 0
	.set _ZN9rocsolver6v33100L18getri_kernel_smallILi2E19rocblas_complex_numIdEPKPS3_EEvT1_iilPiilS8_bb.numbered_sgpr, 19
	.set _ZN9rocsolver6v33100L18getri_kernel_smallILi2E19rocblas_complex_numIdEPKPS3_EEvT1_iilPiilS8_bb.num_named_barrier, 0
	.set _ZN9rocsolver6v33100L18getri_kernel_smallILi2E19rocblas_complex_numIdEPKPS3_EEvT1_iilPiilS8_bb.private_seg_size, 48
	.set _ZN9rocsolver6v33100L18getri_kernel_smallILi2E19rocblas_complex_numIdEPKPS3_EEvT1_iilPiilS8_bb.uses_vcc, 1
	.set _ZN9rocsolver6v33100L18getri_kernel_smallILi2E19rocblas_complex_numIdEPKPS3_EEvT1_iilPiilS8_bb.uses_flat_scratch, 1
	.set _ZN9rocsolver6v33100L18getri_kernel_smallILi2E19rocblas_complex_numIdEPKPS3_EEvT1_iilPiilS8_bb.has_dyn_sized_stack, 0
	.set _ZN9rocsolver6v33100L18getri_kernel_smallILi2E19rocblas_complex_numIdEPKPS3_EEvT1_iilPiilS8_bb.has_recursion, 0
	.set _ZN9rocsolver6v33100L18getri_kernel_smallILi2E19rocblas_complex_numIdEPKPS3_EEvT1_iilPiilS8_bb.has_indirect_call, 0
	.section	.AMDGPU.csdata,"",@progbits
; Kernel info:
; codeLenInByte = 1880
; TotalNumSgprs: 21
; NumVgprs: 22
; ScratchSize: 48
; MemoryBound: 0
; FloatMode: 240
; IeeeMode: 1
; LDSByteSize: 1096 bytes/workgroup (compile time only)
; SGPRBlocks: 0
; VGPRBlocks: 1
; NumSGPRsForWavesPerEU: 21
; NumVGPRsForWavesPerEU: 22
; NamedBarCnt: 0
; Occupancy: 16
; WaveLimiterHint : 1
; COMPUTE_PGM_RSRC2:SCRATCH_EN: 1
; COMPUTE_PGM_RSRC2:USER_SGPR: 4
; COMPUTE_PGM_RSRC2:TRAP_HANDLER: 0
; COMPUTE_PGM_RSRC2:TGID_X_EN: 1
; COMPUTE_PGM_RSRC2:TGID_Y_EN: 0
; COMPUTE_PGM_RSRC2:TGID_Z_EN: 0
; COMPUTE_PGM_RSRC2:TIDIG_COMP_CNT: 2
	.section	.text._ZN9rocsolver6v33100L18getri_kernel_smallILi3E19rocblas_complex_numIdEPKPS3_EEvT1_iilPiilS8_bb,"axG",@progbits,_ZN9rocsolver6v33100L18getri_kernel_smallILi3E19rocblas_complex_numIdEPKPS3_EEvT1_iilPiilS8_bb,comdat
	.globl	_ZN9rocsolver6v33100L18getri_kernel_smallILi3E19rocblas_complex_numIdEPKPS3_EEvT1_iilPiilS8_bb ; -- Begin function _ZN9rocsolver6v33100L18getri_kernel_smallILi3E19rocblas_complex_numIdEPKPS3_EEvT1_iilPiilS8_bb
	.p2align	8
	.type	_ZN9rocsolver6v33100L18getri_kernel_smallILi3E19rocblas_complex_numIdEPKPS3_EEvT1_iilPiilS8_bb,@function
_ZN9rocsolver6v33100L18getri_kernel_smallILi3E19rocblas_complex_numIdEPKPS3_EEvT1_iilPiilS8_bb: ; @_ZN9rocsolver6v33100L18getri_kernel_smallILi3E19rocblas_complex_numIdEPKPS3_EEvT1_iilPiilS8_bb
; %bb.0:
	v_and_b32_e32 v1, 0x3ff, v0
	s_mov_b32 s4, exec_lo
	s_delay_alu instid0(VALU_DEP_1)
	v_cmpx_gt_u32_e32 3, v1
	s_cbranch_execz .LBB66_26
; %bb.1:
	s_clause 0x1
	s_load_b32 s15, s[2:3], 0x38
	s_load_b64 s[8:9], s[2:3], 0x0
	s_getreg_b32 s6, hwreg(HW_REG_IB_STS2, 6, 4)
	s_wait_kmcnt 0x0
	s_bitcmp1_b32 s15, 8
	s_cselect_b32 s14, -1, 0
	s_bfe_u32 s4, ttmp6, 0x4000c
	s_and_b32 s5, ttmp6, 15
	s_add_co_i32 s4, s4, 1
	s_delay_alu instid0(SALU_CYCLE_1) | instskip(NEXT) | instid1(SALU_CYCLE_1)
	s_mul_i32 s4, ttmp9, s4
	s_add_co_i32 s5, s5, s4
	s_cmp_eq_u32 s6, 0
	s_cselect_b32 s10, ttmp9, s5
	s_load_b128 s[4:7], s[2:3], 0x28
	s_ashr_i32 s11, s10, 31
	s_delay_alu instid0(SALU_CYCLE_1) | instskip(NEXT) | instid1(SALU_CYCLE_1)
	s_lshl_b64 s[12:13], s[10:11], 3
	s_add_nc_u64 s[8:9], s[8:9], s[12:13]
	s_load_b64 s[12:13], s[8:9], 0x0
	s_wait_xcnt 0x0
	s_bfe_u32 s8, s15, 0x10008
	s_delay_alu instid0(SALU_CYCLE_1)
	s_cmp_eq_u32 s8, 0
                                        ; implicit-def: $sgpr8_sgpr9
	s_cbranch_scc1 .LBB66_3
; %bb.2:
	s_load_b96 s[16:18], s[2:3], 0x18
	s_wait_kmcnt 0x0
	s_mul_u64 s[4:5], s[4:5], s[10:11]
	s_delay_alu instid0(SALU_CYCLE_1) | instskip(SKIP_4) | instid1(SALU_CYCLE_1)
	s_lshl_b64 s[4:5], s[4:5], 2
	s_ashr_i32 s9, s18, 31
	s_mov_b32 s8, s18
	s_add_nc_u64 s[4:5], s[16:17], s[4:5]
	s_lshl_b64 s[8:9], s[8:9], 2
	s_add_nc_u64 s[8:9], s[4:5], s[8:9]
.LBB66_3:
	s_clause 0x1
	s_load_b64 s[16:17], s[2:3], 0x8
	s_load_b32 s15, s[2:3], 0x38
	v_dual_mov_b32 v21, 0 :: v_dual_lshlrev_b32 v20, 4, v1
	s_wait_kmcnt 0x0
	s_ashr_i32 s3, s16, 31
	s_mov_b32 s2, s16
	v_add3_u32 v18, s17, s17, v1
	s_lshl_b64 s[2:3], s[2:3], 4
	s_delay_alu instid0(SALU_CYCLE_1)
	s_add_nc_u64 s[4:5], s[12:13], s[2:3]
	s_ashr_i32 s3, s17, 31
	v_add_nc_u64_e32 v[14:15], s[4:5], v[20:21]
	s_mov_b32 s2, s17
	s_mov_b32 s12, 16
	;; [unrolled: 1-line block ×3, first 2 shown]
	s_bitcmp0_b32 s15, 0
	s_delay_alu instid0(VALU_DEP_1)
	v_lshl_add_u64 v[16:17], s[2:3], 4, v[14:15]
	s_mov_b32 s3, -1
	s_clause 0x2
	flat_load_b128 v[2:5], v1, s[4:5] scale_offset
	flat_load_b128 v[6:9], v[16:17]
	flat_load_b128 v[10:13], v18, s[4:5] scale_offset
	s_wait_loadcnt_dscnt 0x202
	scratch_store_b128 off, v[2:5], off
	s_wait_loadcnt_dscnt 0x101
	scratch_store_b128 off, v[6:9], off offset:16
	s_wait_loadcnt_dscnt 0x0
	scratch_store_b128 off, v[10:13], off offset:32
	s_cbranch_scc1 .LBB66_24
; %bb.4:
	v_cmp_eq_u32_e64 s2, 0, v1
	s_wait_xcnt 0x0
	s_and_saveexec_b32 s3, s2
; %bb.5:
	v_mov_b32_e32 v2, 0
	ds_store_b32 v2, v2 offset:96
; %bb.6:
	s_or_b32 exec_lo, exec_lo, s3
	s_wait_storecnt_dscnt 0x0
	s_barrier_signal -1
	s_barrier_wait -1
	scratch_load_b128 v[2:5], v1, off scale_offset
	s_wait_loadcnt 0x0
	v_cmp_eq_f64_e32 vcc_lo, 0, v[2:3]
	v_cmp_eq_f64_e64 s3, 0, v[4:5]
	s_and_b32 s3, vcc_lo, s3
	s_delay_alu instid0(SALU_CYCLE_1)
	s_and_saveexec_b32 s15, s3
	s_cbranch_execz .LBB66_10
; %bb.7:
	v_mov_b32_e32 v2, 0
	s_mov_b32 s16, 0
	ds_load_b32 v3, v2 offset:96
	s_wait_dscnt 0x0
	v_readfirstlane_b32 s3, v3
	v_add_nc_u32_e32 v3, 1, v1
	s_cmp_eq_u32 s3, 0
	s_delay_alu instid0(VALU_DEP_1) | instskip(SKIP_1) | instid1(SALU_CYCLE_1)
	v_cmp_gt_i32_e32 vcc_lo, s3, v3
	s_cselect_b32 s17, -1, 0
	s_or_b32 s17, s17, vcc_lo
	s_delay_alu instid0(SALU_CYCLE_1)
	s_and_b32 exec_lo, exec_lo, s17
	s_cbranch_execz .LBB66_10
; %bb.8:
	v_mov_b32_e32 v4, s3
.LBB66_9:                               ; =>This Inner Loop Header: Depth=1
	ds_cmpstore_rtn_b32 v4, v2, v3, v4 offset:96
	s_wait_dscnt 0x0
	v_cmp_ne_u32_e32 vcc_lo, 0, v4
	v_cmp_le_i32_e64 s3, v4, v3
	s_and_b32 s3, vcc_lo, s3
	s_delay_alu instid0(SALU_CYCLE_1) | instskip(NEXT) | instid1(SALU_CYCLE_1)
	s_and_b32 s3, exec_lo, s3
	s_or_b32 s16, s3, s16
	s_delay_alu instid0(SALU_CYCLE_1)
	s_and_not1_b32 exec_lo, exec_lo, s16
	s_cbranch_execnz .LBB66_9
.LBB66_10:
	s_or_b32 exec_lo, exec_lo, s15
	v_mov_b32_e32 v2, 0
	s_barrier_signal -1
	s_barrier_wait -1
	ds_load_b32 v3, v2 offset:96
	s_and_saveexec_b32 s3, s2
	s_cbranch_execz .LBB66_12
; %bb.11:
	s_lshl_b64 s[16:17], s[10:11], 2
	s_delay_alu instid0(SALU_CYCLE_1)
	s_add_nc_u64 s[16:17], s[6:7], s[16:17]
	s_wait_dscnt 0x0
	global_store_b32 v2, v3, s[16:17]
.LBB66_12:
	s_wait_xcnt 0x0
	s_or_b32 exec_lo, exec_lo, s3
	s_wait_dscnt 0x0
	v_cmp_ne_u32_e32 vcc_lo, 0, v3
	s_mov_b32 s3, 0
	s_cbranch_vccnz .LBB66_24
; %bb.13:
	v_lshl_add_u32 v19, v1, 4, 0
                                        ; implicit-def: $vgpr6_vgpr7
                                        ; implicit-def: $vgpr10_vgpr11
	scratch_load_b128 v[2:5], v19, off
	s_wait_loadcnt 0x0
	v_cmp_ngt_f64_e64 s3, |v[2:3]|, |v[4:5]|
	s_wait_xcnt 0x0
	s_and_saveexec_b32 s15, s3
	s_delay_alu instid0(SALU_CYCLE_1)
	s_xor_b32 s3, exec_lo, s15
	s_cbranch_execz .LBB66_15
; %bb.14:
	v_div_scale_f64 v[6:7], null, v[4:5], v[4:5], v[2:3]
	v_div_scale_f64 v[12:13], vcc_lo, v[2:3], v[4:5], v[2:3]
	s_delay_alu instid0(VALU_DEP_2) | instskip(SKIP_1) | instid1(TRANS32_DEP_1)
	v_rcp_f64_e32 v[8:9], v[6:7]
	v_nop
	v_fma_f64 v[10:11], -v[6:7], v[8:9], 1.0
	s_delay_alu instid0(VALU_DEP_1) | instskip(NEXT) | instid1(VALU_DEP_1)
	v_fmac_f64_e32 v[8:9], v[8:9], v[10:11]
	v_fma_f64 v[10:11], -v[6:7], v[8:9], 1.0
	s_delay_alu instid0(VALU_DEP_1) | instskip(NEXT) | instid1(VALU_DEP_1)
	v_fmac_f64_e32 v[8:9], v[8:9], v[10:11]
	v_mul_f64_e32 v[10:11], v[12:13], v[8:9]
	s_delay_alu instid0(VALU_DEP_1) | instskip(NEXT) | instid1(VALU_DEP_1)
	v_fma_f64 v[6:7], -v[6:7], v[10:11], v[12:13]
	v_div_fmas_f64 v[6:7], v[6:7], v[8:9], v[10:11]
	s_delay_alu instid0(VALU_DEP_1) | instskip(NEXT) | instid1(VALU_DEP_1)
	v_div_fixup_f64 v[6:7], v[6:7], v[4:5], v[2:3]
	v_fmac_f64_e32 v[4:5], v[2:3], v[6:7]
	s_delay_alu instid0(VALU_DEP_1) | instskip(SKIP_1) | instid1(VALU_DEP_2)
	v_div_scale_f64 v[2:3], null, v[4:5], v[4:5], 1.0
	v_div_scale_f64 v[12:13], vcc_lo, 1.0, v[4:5], 1.0
	v_rcp_f64_e32 v[8:9], v[2:3]
	v_nop
	s_delay_alu instid0(TRANS32_DEP_1) | instskip(NEXT) | instid1(VALU_DEP_1)
	v_fma_f64 v[10:11], -v[2:3], v[8:9], 1.0
	v_fmac_f64_e32 v[8:9], v[8:9], v[10:11]
	s_delay_alu instid0(VALU_DEP_1) | instskip(NEXT) | instid1(VALU_DEP_1)
	v_fma_f64 v[10:11], -v[2:3], v[8:9], 1.0
	v_fmac_f64_e32 v[8:9], v[8:9], v[10:11]
	s_delay_alu instid0(VALU_DEP_1) | instskip(NEXT) | instid1(VALU_DEP_1)
	v_mul_f64_e32 v[10:11], v[12:13], v[8:9]
	v_fma_f64 v[2:3], -v[2:3], v[10:11], v[12:13]
	s_delay_alu instid0(VALU_DEP_1) | instskip(NEXT) | instid1(VALU_DEP_1)
	v_div_fmas_f64 v[2:3], v[2:3], v[8:9], v[10:11]
	v_div_fixup_f64 v[8:9], v[2:3], v[4:5], 1.0
                                        ; implicit-def: $vgpr2_vgpr3
	s_delay_alu instid0(VALU_DEP_1) | instskip(SKIP_1) | instid1(VALU_DEP_2)
	v_mul_f64_e32 v[6:7], v[6:7], v[8:9]
	v_xor_b32_e32 v9, 0x80000000, v9
	v_xor_b32_e32 v11, 0x80000000, v7
	s_delay_alu instid0(VALU_DEP_3)
	v_mov_b32_e32 v10, v6
.LBB66_15:
	s_and_not1_saveexec_b32 s3, s3
	s_cbranch_execz .LBB66_17
; %bb.16:
	v_div_scale_f64 v[6:7], null, v[2:3], v[2:3], v[4:5]
	v_div_scale_f64 v[12:13], vcc_lo, v[4:5], v[2:3], v[4:5]
	s_delay_alu instid0(VALU_DEP_2) | instskip(SKIP_1) | instid1(TRANS32_DEP_1)
	v_rcp_f64_e32 v[8:9], v[6:7]
	v_nop
	v_fma_f64 v[10:11], -v[6:7], v[8:9], 1.0
	s_delay_alu instid0(VALU_DEP_1) | instskip(NEXT) | instid1(VALU_DEP_1)
	v_fmac_f64_e32 v[8:9], v[8:9], v[10:11]
	v_fma_f64 v[10:11], -v[6:7], v[8:9], 1.0
	s_delay_alu instid0(VALU_DEP_1) | instskip(NEXT) | instid1(VALU_DEP_1)
	v_fmac_f64_e32 v[8:9], v[8:9], v[10:11]
	v_mul_f64_e32 v[10:11], v[12:13], v[8:9]
	s_delay_alu instid0(VALU_DEP_1) | instskip(NEXT) | instid1(VALU_DEP_1)
	v_fma_f64 v[6:7], -v[6:7], v[10:11], v[12:13]
	v_div_fmas_f64 v[6:7], v[6:7], v[8:9], v[10:11]
	s_delay_alu instid0(VALU_DEP_1) | instskip(NEXT) | instid1(VALU_DEP_1)
	v_div_fixup_f64 v[8:9], v[6:7], v[2:3], v[4:5]
	v_fmac_f64_e32 v[2:3], v[4:5], v[8:9]
	s_delay_alu instid0(VALU_DEP_1) | instskip(NEXT) | instid1(VALU_DEP_1)
	v_div_scale_f64 v[4:5], null, v[2:3], v[2:3], 1.0
	v_rcp_f64_e32 v[6:7], v[4:5]
	v_nop
	s_delay_alu instid0(TRANS32_DEP_1) | instskip(NEXT) | instid1(VALU_DEP_1)
	v_fma_f64 v[10:11], -v[4:5], v[6:7], 1.0
	v_fmac_f64_e32 v[6:7], v[6:7], v[10:11]
	s_delay_alu instid0(VALU_DEP_1) | instskip(NEXT) | instid1(VALU_DEP_1)
	v_fma_f64 v[10:11], -v[4:5], v[6:7], 1.0
	v_fmac_f64_e32 v[6:7], v[6:7], v[10:11]
	v_div_scale_f64 v[10:11], vcc_lo, 1.0, v[2:3], 1.0
	s_delay_alu instid0(VALU_DEP_1) | instskip(NEXT) | instid1(VALU_DEP_1)
	v_mul_f64_e32 v[12:13], v[10:11], v[6:7]
	v_fma_f64 v[4:5], -v[4:5], v[12:13], v[10:11]
	s_delay_alu instid0(VALU_DEP_1) | instskip(NEXT) | instid1(VALU_DEP_1)
	v_div_fmas_f64 v[4:5], v[4:5], v[6:7], v[12:13]
	v_div_fixup_f64 v[6:7], v[4:5], v[2:3], 1.0
	s_delay_alu instid0(VALU_DEP_1)
	v_mul_f64_e64 v[8:9], v[8:9], -v[6:7]
	v_xor_b32_e32 v11, 0x80000000, v7
	v_mov_b32_e32 v10, v6
.LBB66_17:
	s_or_b32 exec_lo, exec_lo, s3
	s_clause 0x1
	scratch_store_b128 v19, v[6:9], off
	scratch_load_b128 v[4:7], off, s12
	v_xor_b32_e32 v13, 0x80000000, v9
	v_dual_mov_b32 v12, v8 :: v_dual_add_nc_u32 v2, 48, v20
	ds_store_b128 v20, v[10:13]
	s_wait_loadcnt 0x0
	ds_store_b128 v20, v[4:7] offset:48
	s_wait_storecnt_dscnt 0x0
	s_barrier_signal -1
	s_barrier_wait -1
	s_wait_xcnt 0x0
	s_and_saveexec_b32 s3, s2
	s_cbranch_execz .LBB66_19
; %bb.18:
	scratch_load_b128 v[4:7], v19, off
	ds_load_b128 v[8:11], v2
	v_mov_b32_e32 v3, 0
	ds_load_b128 v[20:23], v3 offset:16
	s_wait_loadcnt_dscnt 0x1
	v_mul_f64_e32 v[12:13], v[8:9], v[6:7]
	v_mul_f64_e32 v[6:7], v[10:11], v[6:7]
	s_delay_alu instid0(VALU_DEP_2) | instskip(NEXT) | instid1(VALU_DEP_2)
	v_fmac_f64_e32 v[12:13], v[10:11], v[4:5]
	v_fma_f64 v[4:5], v[8:9], v[4:5], -v[6:7]
	s_delay_alu instid0(VALU_DEP_2) | instskip(NEXT) | instid1(VALU_DEP_2)
	v_add_f64_e32 v[8:9], 0, v[12:13]
	v_add_f64_e32 v[4:5], 0, v[4:5]
	s_wait_dscnt 0x0
	s_delay_alu instid0(VALU_DEP_2) | instskip(NEXT) | instid1(VALU_DEP_2)
	v_mul_f64_e32 v[10:11], v[8:9], v[22:23]
	v_mul_f64_e32 v[6:7], v[4:5], v[22:23]
	s_delay_alu instid0(VALU_DEP_2) | instskip(NEXT) | instid1(VALU_DEP_2)
	v_fma_f64 v[4:5], v[4:5], v[20:21], -v[10:11]
	v_fmac_f64_e32 v[6:7], v[8:9], v[20:21]
	scratch_store_b128 off, v[4:7], off offset:16
.LBB66_19:
	s_wait_xcnt 0x0
	s_or_b32 exec_lo, exec_lo, s3
	s_wait_storecnt 0x0
	s_barrier_signal -1
	s_barrier_wait -1
	scratch_load_b128 v[4:7], off, s13
	s_mov_b32 s3, exec_lo
	s_wait_loadcnt 0x0
	ds_store_b128 v2, v[4:7]
	s_wait_dscnt 0x0
	s_barrier_signal -1
	s_barrier_wait -1
	v_cmpx_ne_u32_e32 2, v1
	s_cbranch_execz .LBB66_23
; %bb.20:
	scratch_load_b128 v[4:7], v19, off
	ds_load_b128 v[8:11], v2
	s_wait_loadcnt_dscnt 0x0
	v_mul_f64_e32 v[2:3], v[10:11], v[6:7]
	v_mul_f64_e32 v[6:7], v[8:9], v[6:7]
	s_delay_alu instid0(VALU_DEP_2) | instskip(NEXT) | instid1(VALU_DEP_2)
	v_fma_f64 v[2:3], v[8:9], v[4:5], -v[2:3]
	v_fmac_f64_e32 v[6:7], v[10:11], v[4:5]
	s_delay_alu instid0(VALU_DEP_2) | instskip(NEXT) | instid1(VALU_DEP_2)
	v_add_f64_e32 v[4:5], 0, v[2:3]
	v_add_f64_e32 v[2:3], 0, v[6:7]
	s_and_saveexec_b32 s15, s2
	s_cbranch_execz .LBB66_22
; %bb.21:
	scratch_load_b128 v[6:9], off, off offset:16
	v_mov_b32_e32 v10, 0
	ds_load_b128 v[10:13], v10 offset:64
	s_wait_loadcnt_dscnt 0x0
	v_mul_f64_e32 v[20:21], v[10:11], v[8:9]
	v_mul_f64_e32 v[8:9], v[12:13], v[8:9]
	s_delay_alu instid0(VALU_DEP_2) | instskip(NEXT) | instid1(VALU_DEP_2)
	v_fmac_f64_e32 v[20:21], v[12:13], v[6:7]
	v_fma_f64 v[6:7], v[10:11], v[6:7], -v[8:9]
	s_delay_alu instid0(VALU_DEP_2) | instskip(NEXT) | instid1(VALU_DEP_2)
	v_add_f64_e32 v[2:3], v[2:3], v[20:21]
	v_add_f64_e32 v[4:5], v[4:5], v[6:7]
.LBB66_22:
	s_or_b32 exec_lo, exec_lo, s15
	v_mov_b32_e32 v6, 0
	ds_load_b128 v[6:9], v6 offset:32
	s_wait_dscnt 0x0
	v_mul_f64_e32 v[12:13], v[2:3], v[8:9]
	v_mul_f64_e32 v[10:11], v[4:5], v[8:9]
	s_delay_alu instid0(VALU_DEP_2) | instskip(NEXT) | instid1(VALU_DEP_2)
	v_fma_f64 v[8:9], v[4:5], v[6:7], -v[12:13]
	v_fmac_f64_e32 v[10:11], v[2:3], v[6:7]
	scratch_store_b128 off, v[8:11], off offset:32
.LBB66_23:
	s_wait_xcnt 0x0
	s_or_b32 exec_lo, exec_lo, s3
	s_mov_b32 s3, -1
	s_wait_storecnt 0x0
	s_barrier_signal -1
	s_barrier_wait -1
.LBB66_24:
	s_and_b32 vcc_lo, exec_lo, s3
	s_cbranch_vccz .LBB66_26
; %bb.25:
	s_wait_xcnt 0x2
	v_mov_b32_e32 v2, 0
	s_lshl_b64 s[2:3], s[10:11], 2
	s_delay_alu instid0(SALU_CYCLE_1)
	s_add_nc_u64 s[2:3], s[6:7], s[2:3]
	global_load_b32 v2, v2, s[2:3]
	s_wait_loadcnt 0x0
	v_cmp_ne_u32_e32 vcc_lo, 0, v2
	s_cbranch_vccz .LBB66_27
.LBB66_26:
	s_endpgm
.LBB66_27:
	v_ashrrev_i32_e32 v19, 31, v18
	s_wait_xcnt 0x2
	v_lshl_add_u32 v6, v1, 4, 48
	s_wait_xcnt 0x0
	s_mov_b32 s2, exec_lo
	v_cmpx_eq_u32_e32 2, v1
	s_cbranch_execz .LBB66_29
; %bb.28:
	scratch_load_b128 v[2:5], off, s12
	v_mov_b32_e32 v8, 0
	s_delay_alu instid0(VALU_DEP_1)
	v_dual_mov_b32 v9, v8 :: v_dual_mov_b32 v10, v8
	v_mov_b32_e32 v11, v8
	scratch_store_b128 off, v[8:11], off offset:16
	s_wait_loadcnt 0x0
	ds_store_b128 v6, v[2:5]
.LBB66_29:
	s_wait_xcnt 0x0
	s_or_b32 exec_lo, exec_lo, s2
	s_wait_storecnt_dscnt 0x0
	s_barrier_signal -1
	s_barrier_wait -1
	s_clause 0x1
	scratch_load_b128 v[8:11], off, off offset:32
	scratch_load_b128 v[20:23], off, off offset:16
	v_mov_b32_e32 v2, 0
	s_mov_b32 s2, exec_lo
	ds_load_b128 v[24:27], v2 offset:80
	s_wait_loadcnt_dscnt 0x100
	v_mul_f64_e32 v[4:5], v[26:27], v[10:11]
	v_mul_f64_e32 v[10:11], v[24:25], v[10:11]
	s_delay_alu instid0(VALU_DEP_2) | instskip(NEXT) | instid1(VALU_DEP_2)
	v_fma_f64 v[4:5], v[24:25], v[8:9], -v[4:5]
	v_fmac_f64_e32 v[10:11], v[26:27], v[8:9]
	s_delay_alu instid0(VALU_DEP_2) | instskip(NEXT) | instid1(VALU_DEP_2)
	v_add_f64_e32 v[4:5], 0, v[4:5]
	v_add_f64_e32 v[10:11], 0, v[10:11]
	s_wait_loadcnt 0x0
	s_delay_alu instid0(VALU_DEP_2) | instskip(NEXT) | instid1(VALU_DEP_2)
	v_add_f64_e64 v[8:9], v[20:21], -v[4:5]
	v_add_f64_e64 v[10:11], v[22:23], -v[10:11]
	scratch_store_b128 off, v[8:11], off offset:16
	s_wait_xcnt 0x0
	v_cmpx_ne_u32_e32 0, v1
	s_cbranch_execz .LBB66_31
; %bb.30:
	scratch_load_b128 v[8:11], off, off
	v_dual_mov_b32 v3, v2 :: v_dual_mov_b32 v4, v2
	v_mov_b32_e32 v5, v2
	scratch_store_b128 off, v[2:5], off
	s_wait_loadcnt 0x0
	ds_store_b128 v6, v[8:11]
.LBB66_31:
	s_wait_xcnt 0x0
	s_or_b32 exec_lo, exec_lo, s2
	s_wait_storecnt_dscnt 0x0
	s_barrier_signal -1
	s_barrier_wait -1
	s_clause 0x2
	scratch_load_b128 v[4:7], off, off offset:16
	scratch_load_b128 v[8:11], off, off offset:32
	scratch_load_b128 v[20:23], off, off
	ds_load_b128 v[24:27], v2 offset:64
	ds_load_b128 v[28:31], v2 offset:80
	s_and_b32 vcc_lo, exec_lo, s14
	s_wait_loadcnt_dscnt 0x201
	v_mul_f64_e32 v[2:3], v[26:27], v[6:7]
	v_mul_f64_e32 v[6:7], v[24:25], v[6:7]
	s_wait_loadcnt_dscnt 0x100
	v_mul_f64_e32 v[12:13], v[28:29], v[10:11]
	v_mul_f64_e32 v[10:11], v[30:31], v[10:11]
	s_delay_alu instid0(VALU_DEP_4) | instskip(NEXT) | instid1(VALU_DEP_4)
	v_fma_f64 v[2:3], v[24:25], v[4:5], -v[2:3]
	v_fmac_f64_e32 v[6:7], v[26:27], v[4:5]
	s_delay_alu instid0(VALU_DEP_4) | instskip(NEXT) | instid1(VALU_DEP_4)
	v_fmac_f64_e32 v[12:13], v[30:31], v[8:9]
	v_fma_f64 v[4:5], v[28:29], v[8:9], -v[10:11]
	s_delay_alu instid0(VALU_DEP_4) | instskip(NEXT) | instid1(VALU_DEP_4)
	v_add_f64_e32 v[2:3], 0, v[2:3]
	v_add_f64_e32 v[6:7], 0, v[6:7]
	s_delay_alu instid0(VALU_DEP_2) | instskip(NEXT) | instid1(VALU_DEP_2)
	v_add_f64_e32 v[2:3], v[2:3], v[4:5]
	v_add_f64_e32 v[6:7], v[6:7], v[12:13]
	s_wait_loadcnt 0x0
	s_delay_alu instid0(VALU_DEP_2) | instskip(NEXT) | instid1(VALU_DEP_2)
	v_add_f64_e64 v[4:5], v[20:21], -v[2:3]
	v_add_f64_e64 v[6:7], v[22:23], -v[6:7]
	v_lshl_add_u64 v[2:3], v[18:19], 4, s[4:5]
	scratch_store_b128 off, v[4:7], off
	s_cbranch_vccz .LBB66_36
; %bb.32:
	s_wait_xcnt 0x0
	v_mov_b32_e32 v4, 0
	s_load_b64 s[2:3], s[0:1], 0x4
	v_bfe_u32 v6, v0, 10, 10
	v_bfe_u32 v0, v0, 20, 10
	global_load_b32 v5, v4, s[8:9] offset:4
	s_wait_kmcnt 0x0
	s_lshr_b32 s0, s2, 16
	v_mul_u32_u24_e32 v6, s3, v6
	s_mul_i32 s0, s0, s3
	s_delay_alu instid0(SALU_CYCLE_1) | instskip(NEXT) | instid1(VALU_DEP_1)
	v_mul_u32_u24_e32 v1, s0, v1
	v_add3_u32 v0, v1, v6, v0
	s_delay_alu instid0(VALU_DEP_1)
	v_lshl_add_u32 v0, v0, 4, 0x68
	s_wait_loadcnt 0x0
	v_cmp_ne_u32_e32 vcc_lo, 2, v5
	s_cbranch_vccz .LBB66_34
; %bb.33:
	v_lshlrev_b32_e32 v1, 4, v5
	s_clause 0x1
	scratch_load_b128 v[6:9], off, s12
	scratch_load_b128 v[10:13], v1, off offset:-16
	s_wait_loadcnt 0x1
	ds_store_2addr_b64 v0, v[6:7], v[8:9] offset1:1
	s_wait_loadcnt 0x0
	s_clause 0x1
	scratch_store_b128 off, v[10:13], s12
	scratch_store_b128 v1, v[6:9], off offset:-16
.LBB66_34:
	global_load_b32 v1, v4, s[8:9]
	s_wait_loadcnt 0x0
	v_cmp_eq_u32_e32 vcc_lo, 1, v1
	s_cbranch_vccnz .LBB66_36
; %bb.35:
	v_lshlrev_b32_e32 v1, 4, v1
	scratch_load_b128 v[4:7], off, off
	scratch_load_b128 v[8:11], v1, off offset:-16
	s_wait_loadcnt 0x1
	ds_store_2addr_b64 v0, v[4:5], v[6:7] offset1:1
	s_wait_loadcnt 0x0
	scratch_store_b128 off, v[8:11], off
	scratch_store_b128 v1, v[4:7], off offset:-16
.LBB66_36:
	scratch_load_b128 v[4:7], off, off
	s_clause 0x1
	scratch_load_b128 v[8:11], off, s12
	scratch_load_b128 v[18:21], off, s13
	s_wait_loadcnt 0x2
	flat_store_b128 v[14:15], v[4:7]
	s_wait_loadcnt 0x1
	flat_store_b128 v[16:17], v[8:11]
	;; [unrolled: 2-line block ×3, first 2 shown]
	s_endpgm
	.section	.rodata,"a",@progbits
	.p2align	6, 0x0
	.amdhsa_kernel _ZN9rocsolver6v33100L18getri_kernel_smallILi3E19rocblas_complex_numIdEPKPS3_EEvT1_iilPiilS8_bb
		.amdhsa_group_segment_fixed_size 1128
		.amdhsa_private_segment_fixed_size 64
		.amdhsa_kernarg_size 60
		.amdhsa_user_sgpr_count 4
		.amdhsa_user_sgpr_dispatch_ptr 1
		.amdhsa_user_sgpr_queue_ptr 0
		.amdhsa_user_sgpr_kernarg_segment_ptr 1
		.amdhsa_user_sgpr_dispatch_id 0
		.amdhsa_user_sgpr_kernarg_preload_length 0
		.amdhsa_user_sgpr_kernarg_preload_offset 0
		.amdhsa_user_sgpr_private_segment_size 0
		.amdhsa_wavefront_size32 1
		.amdhsa_uses_dynamic_stack 0
		.amdhsa_enable_private_segment 1
		.amdhsa_system_sgpr_workgroup_id_x 1
		.amdhsa_system_sgpr_workgroup_id_y 0
		.amdhsa_system_sgpr_workgroup_id_z 0
		.amdhsa_system_sgpr_workgroup_info 0
		.amdhsa_system_vgpr_workitem_id 2
		.amdhsa_next_free_vgpr 32
		.amdhsa_next_free_sgpr 19
		.amdhsa_named_barrier_count 0
		.amdhsa_reserve_vcc 1
		.amdhsa_float_round_mode_32 0
		.amdhsa_float_round_mode_16_64 0
		.amdhsa_float_denorm_mode_32 3
		.amdhsa_float_denorm_mode_16_64 3
		.amdhsa_fp16_overflow 0
		.amdhsa_memory_ordered 1
		.amdhsa_forward_progress 1
		.amdhsa_inst_pref_size 21
		.amdhsa_round_robin_scheduling 0
		.amdhsa_exception_fp_ieee_invalid_op 0
		.amdhsa_exception_fp_denorm_src 0
		.amdhsa_exception_fp_ieee_div_zero 0
		.amdhsa_exception_fp_ieee_overflow 0
		.amdhsa_exception_fp_ieee_underflow 0
		.amdhsa_exception_fp_ieee_inexact 0
		.amdhsa_exception_int_div_zero 0
	.end_amdhsa_kernel
	.section	.text._ZN9rocsolver6v33100L18getri_kernel_smallILi3E19rocblas_complex_numIdEPKPS3_EEvT1_iilPiilS8_bb,"axG",@progbits,_ZN9rocsolver6v33100L18getri_kernel_smallILi3E19rocblas_complex_numIdEPKPS3_EEvT1_iilPiilS8_bb,comdat
.Lfunc_end66:
	.size	_ZN9rocsolver6v33100L18getri_kernel_smallILi3E19rocblas_complex_numIdEPKPS3_EEvT1_iilPiilS8_bb, .Lfunc_end66-_ZN9rocsolver6v33100L18getri_kernel_smallILi3E19rocblas_complex_numIdEPKPS3_EEvT1_iilPiilS8_bb
                                        ; -- End function
	.set _ZN9rocsolver6v33100L18getri_kernel_smallILi3E19rocblas_complex_numIdEPKPS3_EEvT1_iilPiilS8_bb.num_vgpr, 32
	.set _ZN9rocsolver6v33100L18getri_kernel_smallILi3E19rocblas_complex_numIdEPKPS3_EEvT1_iilPiilS8_bb.num_agpr, 0
	.set _ZN9rocsolver6v33100L18getri_kernel_smallILi3E19rocblas_complex_numIdEPKPS3_EEvT1_iilPiilS8_bb.numbered_sgpr, 19
	.set _ZN9rocsolver6v33100L18getri_kernel_smallILi3E19rocblas_complex_numIdEPKPS3_EEvT1_iilPiilS8_bb.num_named_barrier, 0
	.set _ZN9rocsolver6v33100L18getri_kernel_smallILi3E19rocblas_complex_numIdEPKPS3_EEvT1_iilPiilS8_bb.private_seg_size, 64
	.set _ZN9rocsolver6v33100L18getri_kernel_smallILi3E19rocblas_complex_numIdEPKPS3_EEvT1_iilPiilS8_bb.uses_vcc, 1
	.set _ZN9rocsolver6v33100L18getri_kernel_smallILi3E19rocblas_complex_numIdEPKPS3_EEvT1_iilPiilS8_bb.uses_flat_scratch, 1
	.set _ZN9rocsolver6v33100L18getri_kernel_smallILi3E19rocblas_complex_numIdEPKPS3_EEvT1_iilPiilS8_bb.has_dyn_sized_stack, 0
	.set _ZN9rocsolver6v33100L18getri_kernel_smallILi3E19rocblas_complex_numIdEPKPS3_EEvT1_iilPiilS8_bb.has_recursion, 0
	.set _ZN9rocsolver6v33100L18getri_kernel_smallILi3E19rocblas_complex_numIdEPKPS3_EEvT1_iilPiilS8_bb.has_indirect_call, 0
	.section	.AMDGPU.csdata,"",@progbits
; Kernel info:
; codeLenInByte = 2592
; TotalNumSgprs: 21
; NumVgprs: 32
; ScratchSize: 64
; MemoryBound: 0
; FloatMode: 240
; IeeeMode: 1
; LDSByteSize: 1128 bytes/workgroup (compile time only)
; SGPRBlocks: 0
; VGPRBlocks: 1
; NumSGPRsForWavesPerEU: 21
; NumVGPRsForWavesPerEU: 32
; NamedBarCnt: 0
; Occupancy: 16
; WaveLimiterHint : 1
; COMPUTE_PGM_RSRC2:SCRATCH_EN: 1
; COMPUTE_PGM_RSRC2:USER_SGPR: 4
; COMPUTE_PGM_RSRC2:TRAP_HANDLER: 0
; COMPUTE_PGM_RSRC2:TGID_X_EN: 1
; COMPUTE_PGM_RSRC2:TGID_Y_EN: 0
; COMPUTE_PGM_RSRC2:TGID_Z_EN: 0
; COMPUTE_PGM_RSRC2:TIDIG_COMP_CNT: 2
	.section	.text._ZN9rocsolver6v33100L18getri_kernel_smallILi4E19rocblas_complex_numIdEPKPS3_EEvT1_iilPiilS8_bb,"axG",@progbits,_ZN9rocsolver6v33100L18getri_kernel_smallILi4E19rocblas_complex_numIdEPKPS3_EEvT1_iilPiilS8_bb,comdat
	.globl	_ZN9rocsolver6v33100L18getri_kernel_smallILi4E19rocblas_complex_numIdEPKPS3_EEvT1_iilPiilS8_bb ; -- Begin function _ZN9rocsolver6v33100L18getri_kernel_smallILi4E19rocblas_complex_numIdEPKPS3_EEvT1_iilPiilS8_bb
	.p2align	8
	.type	_ZN9rocsolver6v33100L18getri_kernel_smallILi4E19rocblas_complex_numIdEPKPS3_EEvT1_iilPiilS8_bb,@function
_ZN9rocsolver6v33100L18getri_kernel_smallILi4E19rocblas_complex_numIdEPKPS3_EEvT1_iilPiilS8_bb: ; @_ZN9rocsolver6v33100L18getri_kernel_smallILi4E19rocblas_complex_numIdEPKPS3_EEvT1_iilPiilS8_bb
; %bb.0:
	v_and_b32_e32 v1, 0x3ff, v0
	s_mov_b32 s4, exec_lo
	s_delay_alu instid0(VALU_DEP_1)
	v_cmpx_gt_u32_e32 4, v1
	s_cbranch_execz .LBB67_30
; %bb.1:
	s_clause 0x1
	s_load_b32 s15, s[2:3], 0x38
	s_load_b64 s[8:9], s[2:3], 0x0
	s_getreg_b32 s6, hwreg(HW_REG_IB_STS2, 6, 4)
	s_wait_kmcnt 0x0
	s_bitcmp1_b32 s15, 8
	s_cselect_b32 s14, -1, 0
	s_bfe_u32 s4, ttmp6, 0x4000c
	s_and_b32 s5, ttmp6, 15
	s_add_co_i32 s4, s4, 1
	s_delay_alu instid0(SALU_CYCLE_1) | instskip(NEXT) | instid1(SALU_CYCLE_1)
	s_mul_i32 s4, ttmp9, s4
	s_add_co_i32 s5, s5, s4
	s_cmp_eq_u32 s6, 0
	s_cselect_b32 s10, ttmp9, s5
	s_load_b128 s[4:7], s[2:3], 0x28
	s_ashr_i32 s11, s10, 31
	s_delay_alu instid0(SALU_CYCLE_1) | instskip(NEXT) | instid1(SALU_CYCLE_1)
	s_lshl_b64 s[12:13], s[10:11], 3
	s_add_nc_u64 s[8:9], s[8:9], s[12:13]
	s_load_b64 s[12:13], s[8:9], 0x0
	s_wait_xcnt 0x0
	s_bfe_u32 s8, s15, 0x10008
	s_delay_alu instid0(SALU_CYCLE_1)
	s_cmp_eq_u32 s8, 0
                                        ; implicit-def: $sgpr8_sgpr9
	s_cbranch_scc1 .LBB67_3
; %bb.2:
	s_load_b96 s[16:18], s[2:3], 0x18
	s_wait_kmcnt 0x0
	s_mul_u64 s[4:5], s[4:5], s[10:11]
	s_delay_alu instid0(SALU_CYCLE_1) | instskip(SKIP_4) | instid1(SALU_CYCLE_1)
	s_lshl_b64 s[4:5], s[4:5], 2
	s_ashr_i32 s9, s18, 31
	s_mov_b32 s8, s18
	s_add_nc_u64 s[4:5], s[16:17], s[4:5]
	s_lshl_b64 s[8:9], s[8:9], 2
	s_add_nc_u64 s[8:9], s[4:5], s[8:9]
.LBB67_3:
	s_clause 0x1
	s_load_b64 s[16:17], s[2:3], 0x8
	s_load_b32 s18, s[2:3], 0x38
	v_dual_mov_b32 v23, 0 :: v_dual_lshlrev_b32 v22, 4, v1
	s_mov_b32 s15, 48
	s_wait_kmcnt 0x0
	s_ashr_i32 s3, s16, 31
	s_mov_b32 s2, s16
	v_add3_u32 v18, s17, s17, v1
	s_lshl_b64 s[2:3], s[2:3], 4
	s_delay_alu instid0(SALU_CYCLE_1)
	s_add_nc_u64 s[4:5], s[12:13], s[2:3]
	s_ashr_i32 s3, s17, 31
	v_add_nc_u64_e32 v[14:15], s[4:5], v[22:23]
	s_mov_b32 s2, s17
	v_add_nc_u32_e32 v20, s17, v18
	s_mov_b32 s13, 16
	s_mov_b32 s12, 32
	s_bitcmp0_b32 s18, 0
	s_delay_alu instid0(VALU_DEP_2)
	v_lshl_add_u64 v[16:17], s[2:3], 4, v[14:15]
	s_mov_b32 s3, -1
	s_clause 0x3
	flat_load_b128 v[2:5], v1, s[4:5] scale_offset
	flat_load_b128 v[6:9], v[16:17]
	flat_load_b128 v[10:13], v18, s[4:5] scale_offset
	flat_load_b128 v[24:27], v20, s[4:5] scale_offset
	s_wait_loadcnt_dscnt 0x303
	scratch_store_b128 off, v[2:5], off
	s_wait_loadcnt_dscnt 0x202
	scratch_store_b128 off, v[6:9], off offset:16
	s_wait_loadcnt_dscnt 0x101
	scratch_store_b128 off, v[10:13], off offset:32
	;; [unrolled: 2-line block ×3, first 2 shown]
	s_cbranch_scc1 .LBB67_28
; %bb.4:
	v_cmp_eq_u32_e64 s2, 0, v1
	s_wait_xcnt 0x0
	s_and_saveexec_b32 s3, s2
; %bb.5:
	v_mov_b32_e32 v2, 0
	ds_store_b32 v2, v2 offset:128
; %bb.6:
	s_or_b32 exec_lo, exec_lo, s3
	s_wait_storecnt_dscnt 0x0
	s_barrier_signal -1
	s_barrier_wait -1
	scratch_load_b128 v[2:5], v1, off scale_offset
	s_wait_loadcnt 0x0
	v_cmp_eq_f64_e32 vcc_lo, 0, v[2:3]
	v_cmp_eq_f64_e64 s3, 0, v[4:5]
	s_and_b32 s3, vcc_lo, s3
	s_delay_alu instid0(SALU_CYCLE_1)
	s_and_saveexec_b32 s16, s3
	s_cbranch_execz .LBB67_10
; %bb.7:
	v_mov_b32_e32 v2, 0
	s_mov_b32 s17, 0
	ds_load_b32 v3, v2 offset:128
	s_wait_dscnt 0x0
	v_readfirstlane_b32 s3, v3
	v_add_nc_u32_e32 v3, 1, v1
	s_cmp_eq_u32 s3, 0
	s_delay_alu instid0(VALU_DEP_1) | instskip(SKIP_1) | instid1(SALU_CYCLE_1)
	v_cmp_gt_i32_e32 vcc_lo, s3, v3
	s_cselect_b32 s18, -1, 0
	s_or_b32 s18, s18, vcc_lo
	s_delay_alu instid0(SALU_CYCLE_1)
	s_and_b32 exec_lo, exec_lo, s18
	s_cbranch_execz .LBB67_10
; %bb.8:
	v_mov_b32_e32 v4, s3
.LBB67_9:                               ; =>This Inner Loop Header: Depth=1
	ds_cmpstore_rtn_b32 v4, v2, v3, v4 offset:128
	s_wait_dscnt 0x0
	v_cmp_ne_u32_e32 vcc_lo, 0, v4
	v_cmp_le_i32_e64 s3, v4, v3
	s_and_b32 s3, vcc_lo, s3
	s_delay_alu instid0(SALU_CYCLE_1) | instskip(NEXT) | instid1(SALU_CYCLE_1)
	s_and_b32 s3, exec_lo, s3
	s_or_b32 s17, s3, s17
	s_delay_alu instid0(SALU_CYCLE_1)
	s_and_not1_b32 exec_lo, exec_lo, s17
	s_cbranch_execnz .LBB67_9
.LBB67_10:
	s_or_b32 exec_lo, exec_lo, s16
	v_mov_b32_e32 v2, 0
	s_barrier_signal -1
	s_barrier_wait -1
	ds_load_b32 v3, v2 offset:128
	s_and_saveexec_b32 s3, s2
	s_cbranch_execz .LBB67_12
; %bb.11:
	s_lshl_b64 s[16:17], s[10:11], 2
	s_delay_alu instid0(SALU_CYCLE_1)
	s_add_nc_u64 s[16:17], s[6:7], s[16:17]
	s_wait_dscnt 0x0
	global_store_b32 v2, v3, s[16:17]
.LBB67_12:
	s_wait_xcnt 0x0
	s_or_b32 exec_lo, exec_lo, s3
	s_wait_dscnt 0x0
	v_cmp_ne_u32_e32 vcc_lo, 0, v3
	s_mov_b32 s3, 0
	s_cbranch_vccnz .LBB67_28
; %bb.13:
	v_lshl_add_u32 v19, v1, 4, 0
                                        ; implicit-def: $vgpr6_vgpr7
                                        ; implicit-def: $vgpr10_vgpr11
	scratch_load_b128 v[2:5], v19, off
	s_wait_loadcnt 0x0
	v_cmp_ngt_f64_e64 s3, |v[2:3]|, |v[4:5]|
	s_wait_xcnt 0x0
	s_and_saveexec_b32 s16, s3
	s_delay_alu instid0(SALU_CYCLE_1)
	s_xor_b32 s3, exec_lo, s16
	s_cbranch_execz .LBB67_15
; %bb.14:
	v_div_scale_f64 v[6:7], null, v[4:5], v[4:5], v[2:3]
	v_div_scale_f64 v[12:13], vcc_lo, v[2:3], v[4:5], v[2:3]
	s_delay_alu instid0(VALU_DEP_2) | instskip(SKIP_1) | instid1(TRANS32_DEP_1)
	v_rcp_f64_e32 v[8:9], v[6:7]
	v_nop
	v_fma_f64 v[10:11], -v[6:7], v[8:9], 1.0
	s_delay_alu instid0(VALU_DEP_1) | instskip(NEXT) | instid1(VALU_DEP_1)
	v_fmac_f64_e32 v[8:9], v[8:9], v[10:11]
	v_fma_f64 v[10:11], -v[6:7], v[8:9], 1.0
	s_delay_alu instid0(VALU_DEP_1) | instskip(NEXT) | instid1(VALU_DEP_1)
	v_fmac_f64_e32 v[8:9], v[8:9], v[10:11]
	v_mul_f64_e32 v[10:11], v[12:13], v[8:9]
	s_delay_alu instid0(VALU_DEP_1) | instskip(NEXT) | instid1(VALU_DEP_1)
	v_fma_f64 v[6:7], -v[6:7], v[10:11], v[12:13]
	v_div_fmas_f64 v[6:7], v[6:7], v[8:9], v[10:11]
	s_delay_alu instid0(VALU_DEP_1) | instskip(NEXT) | instid1(VALU_DEP_1)
	v_div_fixup_f64 v[6:7], v[6:7], v[4:5], v[2:3]
	v_fmac_f64_e32 v[4:5], v[2:3], v[6:7]
	s_delay_alu instid0(VALU_DEP_1) | instskip(SKIP_1) | instid1(VALU_DEP_2)
	v_div_scale_f64 v[2:3], null, v[4:5], v[4:5], 1.0
	v_div_scale_f64 v[12:13], vcc_lo, 1.0, v[4:5], 1.0
	v_rcp_f64_e32 v[8:9], v[2:3]
	v_nop
	s_delay_alu instid0(TRANS32_DEP_1) | instskip(NEXT) | instid1(VALU_DEP_1)
	v_fma_f64 v[10:11], -v[2:3], v[8:9], 1.0
	v_fmac_f64_e32 v[8:9], v[8:9], v[10:11]
	s_delay_alu instid0(VALU_DEP_1) | instskip(NEXT) | instid1(VALU_DEP_1)
	v_fma_f64 v[10:11], -v[2:3], v[8:9], 1.0
	v_fmac_f64_e32 v[8:9], v[8:9], v[10:11]
	s_delay_alu instid0(VALU_DEP_1) | instskip(NEXT) | instid1(VALU_DEP_1)
	v_mul_f64_e32 v[10:11], v[12:13], v[8:9]
	v_fma_f64 v[2:3], -v[2:3], v[10:11], v[12:13]
	s_delay_alu instid0(VALU_DEP_1) | instskip(NEXT) | instid1(VALU_DEP_1)
	v_div_fmas_f64 v[2:3], v[2:3], v[8:9], v[10:11]
	v_div_fixup_f64 v[8:9], v[2:3], v[4:5], 1.0
                                        ; implicit-def: $vgpr2_vgpr3
	s_delay_alu instid0(VALU_DEP_1) | instskip(SKIP_1) | instid1(VALU_DEP_2)
	v_mul_f64_e32 v[6:7], v[6:7], v[8:9]
	v_xor_b32_e32 v9, 0x80000000, v9
	v_xor_b32_e32 v11, 0x80000000, v7
	s_delay_alu instid0(VALU_DEP_3)
	v_mov_b32_e32 v10, v6
.LBB67_15:
	s_and_not1_saveexec_b32 s3, s3
	s_cbranch_execz .LBB67_17
; %bb.16:
	v_div_scale_f64 v[6:7], null, v[2:3], v[2:3], v[4:5]
	v_div_scale_f64 v[12:13], vcc_lo, v[4:5], v[2:3], v[4:5]
	s_delay_alu instid0(VALU_DEP_2) | instskip(SKIP_1) | instid1(TRANS32_DEP_1)
	v_rcp_f64_e32 v[8:9], v[6:7]
	v_nop
	v_fma_f64 v[10:11], -v[6:7], v[8:9], 1.0
	s_delay_alu instid0(VALU_DEP_1) | instskip(NEXT) | instid1(VALU_DEP_1)
	v_fmac_f64_e32 v[8:9], v[8:9], v[10:11]
	v_fma_f64 v[10:11], -v[6:7], v[8:9], 1.0
	s_delay_alu instid0(VALU_DEP_1) | instskip(NEXT) | instid1(VALU_DEP_1)
	v_fmac_f64_e32 v[8:9], v[8:9], v[10:11]
	v_mul_f64_e32 v[10:11], v[12:13], v[8:9]
	s_delay_alu instid0(VALU_DEP_1) | instskip(NEXT) | instid1(VALU_DEP_1)
	v_fma_f64 v[6:7], -v[6:7], v[10:11], v[12:13]
	v_div_fmas_f64 v[6:7], v[6:7], v[8:9], v[10:11]
	s_delay_alu instid0(VALU_DEP_1) | instskip(NEXT) | instid1(VALU_DEP_1)
	v_div_fixup_f64 v[8:9], v[6:7], v[2:3], v[4:5]
	v_fmac_f64_e32 v[2:3], v[4:5], v[8:9]
	s_delay_alu instid0(VALU_DEP_1) | instskip(NEXT) | instid1(VALU_DEP_1)
	v_div_scale_f64 v[4:5], null, v[2:3], v[2:3], 1.0
	v_rcp_f64_e32 v[6:7], v[4:5]
	v_nop
	s_delay_alu instid0(TRANS32_DEP_1) | instskip(NEXT) | instid1(VALU_DEP_1)
	v_fma_f64 v[10:11], -v[4:5], v[6:7], 1.0
	v_fmac_f64_e32 v[6:7], v[6:7], v[10:11]
	s_delay_alu instid0(VALU_DEP_1) | instskip(NEXT) | instid1(VALU_DEP_1)
	v_fma_f64 v[10:11], -v[4:5], v[6:7], 1.0
	v_fmac_f64_e32 v[6:7], v[6:7], v[10:11]
	v_div_scale_f64 v[10:11], vcc_lo, 1.0, v[2:3], 1.0
	s_delay_alu instid0(VALU_DEP_1) | instskip(NEXT) | instid1(VALU_DEP_1)
	v_mul_f64_e32 v[12:13], v[10:11], v[6:7]
	v_fma_f64 v[4:5], -v[4:5], v[12:13], v[10:11]
	s_delay_alu instid0(VALU_DEP_1) | instskip(NEXT) | instid1(VALU_DEP_1)
	v_div_fmas_f64 v[4:5], v[4:5], v[6:7], v[12:13]
	v_div_fixup_f64 v[6:7], v[4:5], v[2:3], 1.0
	s_delay_alu instid0(VALU_DEP_1)
	v_mul_f64_e64 v[8:9], v[8:9], -v[6:7]
	v_xor_b32_e32 v11, 0x80000000, v7
	v_mov_b32_e32 v10, v6
.LBB67_17:
	s_or_b32 exec_lo, exec_lo, s3
	s_clause 0x1
	scratch_store_b128 v19, v[6:9], off
	scratch_load_b128 v[2:5], off, s13
	v_xor_b32_e32 v13, 0x80000000, v9
	s_wait_xcnt 0x1
	v_dual_mov_b32 v12, v8 :: v_dual_add_nc_u32 v6, 64, v22
	ds_store_b128 v22, v[10:13]
	s_wait_loadcnt 0x0
	ds_store_b128 v22, v[2:5] offset:64
	s_wait_storecnt_dscnt 0x0
	s_barrier_signal -1
	s_barrier_wait -1
	s_wait_xcnt 0x0
	s_and_saveexec_b32 s3, s2
	s_cbranch_execz .LBB67_19
; %bb.18:
	scratch_load_b128 v[2:5], v19, off
	ds_load_b128 v[8:11], v6
	v_mov_b32_e32 v7, 0
	ds_load_b128 v[24:27], v7 offset:16
	s_wait_loadcnt_dscnt 0x1
	v_mul_f64_e32 v[12:13], v[8:9], v[4:5]
	v_mul_f64_e32 v[4:5], v[10:11], v[4:5]
	s_delay_alu instid0(VALU_DEP_2) | instskip(NEXT) | instid1(VALU_DEP_2)
	v_fmac_f64_e32 v[12:13], v[10:11], v[2:3]
	v_fma_f64 v[2:3], v[8:9], v[2:3], -v[4:5]
	s_delay_alu instid0(VALU_DEP_2) | instskip(NEXT) | instid1(VALU_DEP_2)
	v_add_f64_e32 v[8:9], 0, v[12:13]
	v_add_f64_e32 v[2:3], 0, v[2:3]
	s_wait_dscnt 0x0
	s_delay_alu instid0(VALU_DEP_2) | instskip(NEXT) | instid1(VALU_DEP_2)
	v_mul_f64_e32 v[10:11], v[8:9], v[26:27]
	v_mul_f64_e32 v[4:5], v[2:3], v[26:27]
	s_delay_alu instid0(VALU_DEP_2) | instskip(NEXT) | instid1(VALU_DEP_2)
	v_fma_f64 v[2:3], v[2:3], v[24:25], -v[10:11]
	v_fmac_f64_e32 v[4:5], v[8:9], v[24:25]
	scratch_store_b128 off, v[2:5], off offset:16
.LBB67_19:
	s_wait_xcnt 0x0
	s_or_b32 exec_lo, exec_lo, s3
	s_wait_storecnt 0x0
	s_barrier_signal -1
	s_barrier_wait -1
	scratch_load_b128 v[2:5], off, s12
	s_mov_b32 s3, exec_lo
	s_wait_loadcnt 0x0
	ds_store_b128 v6, v[2:5]
	s_wait_dscnt 0x0
	s_barrier_signal -1
	s_barrier_wait -1
	v_cmpx_gt_u32_e32 2, v1
	s_cbranch_execz .LBB67_23
; %bb.20:
	scratch_load_b128 v[2:5], v19, off
	ds_load_b128 v[8:11], v6
	s_wait_loadcnt_dscnt 0x0
	v_mul_f64_e32 v[12:13], v[10:11], v[4:5]
	v_mul_f64_e32 v[24:25], v[8:9], v[4:5]
	s_delay_alu instid0(VALU_DEP_2) | instskip(NEXT) | instid1(VALU_DEP_2)
	v_fma_f64 v[4:5], v[8:9], v[2:3], -v[12:13]
	v_fmac_f64_e32 v[24:25], v[10:11], v[2:3]
	s_delay_alu instid0(VALU_DEP_2) | instskip(NEXT) | instid1(VALU_DEP_2)
	v_add_f64_e32 v[4:5], 0, v[4:5]
	v_add_f64_e32 v[2:3], 0, v[24:25]
	s_and_saveexec_b32 s16, s2
	s_cbranch_execz .LBB67_22
; %bb.21:
	scratch_load_b128 v[8:11], off, off offset:16
	v_mov_b32_e32 v7, 0
	ds_load_b128 v[24:27], v7 offset:80
	s_wait_loadcnt_dscnt 0x0
	v_mul_f64_e32 v[12:13], v[24:25], v[10:11]
	v_mul_f64_e32 v[10:11], v[26:27], v[10:11]
	s_delay_alu instid0(VALU_DEP_2) | instskip(NEXT) | instid1(VALU_DEP_2)
	v_fmac_f64_e32 v[12:13], v[26:27], v[8:9]
	v_fma_f64 v[8:9], v[24:25], v[8:9], -v[10:11]
	s_delay_alu instid0(VALU_DEP_2) | instskip(NEXT) | instid1(VALU_DEP_2)
	v_add_f64_e32 v[2:3], v[2:3], v[12:13]
	v_add_f64_e32 v[4:5], v[4:5], v[8:9]
.LBB67_22:
	s_or_b32 exec_lo, exec_lo, s16
	v_mov_b32_e32 v7, 0
	ds_load_b128 v[8:11], v7 offset:32
	s_wait_dscnt 0x0
	v_mul_f64_e32 v[24:25], v[2:3], v[10:11]
	v_mul_f64_e32 v[12:13], v[4:5], v[10:11]
	s_delay_alu instid0(VALU_DEP_2) | instskip(NEXT) | instid1(VALU_DEP_2)
	v_fma_f64 v[10:11], v[4:5], v[8:9], -v[24:25]
	v_fmac_f64_e32 v[12:13], v[2:3], v[8:9]
	scratch_store_b128 off, v[10:13], off offset:32
.LBB67_23:
	s_wait_xcnt 0x0
	s_or_b32 exec_lo, exec_lo, s3
	s_wait_storecnt 0x0
	s_barrier_signal -1
	s_barrier_wait -1
	scratch_load_b128 v[2:5], off, s15
	s_mov_b32 s2, exec_lo
	s_wait_loadcnt 0x0
	ds_store_b128 v6, v[2:5]
	s_wait_dscnt 0x0
	s_barrier_signal -1
	s_barrier_wait -1
	v_cmpx_ne_u32_e32 3, v1
	s_cbranch_execz .LBB67_27
; %bb.24:
	v_dual_mov_b32 v8, v22 :: v_dual_add_nc_u32 v7, -1, v1
	v_mov_b64_e32 v[2:3], 0
	v_mov_b64_e32 v[4:5], 0
	s_mov_b32 s3, 0
	s_delay_alu instid0(VALU_DEP_3)
	v_or_b32_e32 v8, 8, v8
.LBB67_25:                              ; =>This Inner Loop Header: Depth=1
	scratch_load_b128 v[10:13], v8, off offset:-8
	ds_load_b128 v[22:25], v6
	v_dual_add_nc_u32 v7, 1, v7 :: v_dual_add_nc_u32 v6, 16, v6
	s_wait_xcnt 0x0
	v_add_nc_u32_e32 v8, 16, v8
	s_delay_alu instid0(VALU_DEP_2) | instskip(SKIP_4) | instid1(VALU_DEP_2)
	v_cmp_lt_u32_e32 vcc_lo, 1, v7
	s_or_b32 s3, vcc_lo, s3
	s_wait_loadcnt_dscnt 0x0
	v_mul_f64_e32 v[26:27], v[24:25], v[12:13]
	v_mul_f64_e32 v[12:13], v[22:23], v[12:13]
	v_fma_f64 v[22:23], v[22:23], v[10:11], -v[26:27]
	s_delay_alu instid0(VALU_DEP_2) | instskip(NEXT) | instid1(VALU_DEP_2)
	v_fmac_f64_e32 v[12:13], v[24:25], v[10:11]
	v_add_f64_e32 v[4:5], v[4:5], v[22:23]
	s_delay_alu instid0(VALU_DEP_2)
	v_add_f64_e32 v[2:3], v[2:3], v[12:13]
	s_and_not1_b32 exec_lo, exec_lo, s3
	s_cbranch_execnz .LBB67_25
; %bb.26:
	s_or_b32 exec_lo, exec_lo, s3
	v_mov_b32_e32 v6, 0
	ds_load_b128 v[6:9], v6 offset:48
	s_wait_dscnt 0x0
	v_mul_f64_e32 v[12:13], v[2:3], v[8:9]
	v_mul_f64_e32 v[10:11], v[4:5], v[8:9]
	s_delay_alu instid0(VALU_DEP_2) | instskip(NEXT) | instid1(VALU_DEP_2)
	v_fma_f64 v[8:9], v[4:5], v[6:7], -v[12:13]
	v_fmac_f64_e32 v[10:11], v[2:3], v[6:7]
	scratch_store_b128 off, v[8:11], off offset:48
.LBB67_27:
	s_wait_xcnt 0x0
	s_or_b32 exec_lo, exec_lo, s2
	s_mov_b32 s3, -1
	s_wait_storecnt 0x0
	s_barrier_signal -1
	s_barrier_wait -1
.LBB67_28:
	s_and_b32 vcc_lo, exec_lo, s3
	s_cbranch_vccz .LBB67_30
; %bb.29:
	s_wait_xcnt 0x3
	v_mov_b32_e32 v2, 0
	s_lshl_b64 s[2:3], s[10:11], 2
	s_delay_alu instid0(SALU_CYCLE_1)
	s_add_nc_u64 s[2:3], s[6:7], s[2:3]
	global_load_b32 v2, v2, s[2:3]
	s_wait_loadcnt 0x0
	v_cmp_ne_u32_e32 vcc_lo, 0, v2
	s_cbranch_vccz .LBB67_31
.LBB67_30:
	s_endpgm
.LBB67_31:
	s_wait_xcnt 0x3
	v_lshl_add_u32 v6, v1, 4, 64
	s_wait_xcnt 0x0
	s_mov_b32 s2, exec_lo
	v_cmpx_eq_u32_e32 3, v1
	s_cbranch_execz .LBB67_33
; %bb.32:
	scratch_load_b128 v[2:5], off, s12
	v_mov_b32_e32 v8, 0
	s_delay_alu instid0(VALU_DEP_1)
	v_dual_mov_b32 v9, v8 :: v_dual_mov_b32 v10, v8
	v_mov_b32_e32 v11, v8
	scratch_store_b128 off, v[8:11], off offset:32
	s_wait_loadcnt 0x0
	ds_store_b128 v6, v[2:5]
.LBB67_33:
	s_wait_xcnt 0x0
	s_or_b32 exec_lo, exec_lo, s2
	s_wait_storecnt_dscnt 0x0
	s_barrier_signal -1
	s_barrier_wait -1
	s_clause 0x1
	scratch_load_b128 v[8:11], off, off offset:48
	scratch_load_b128 v[22:25], off, off offset:32
	v_mov_b32_e32 v2, 0
	s_mov_b32 s2, exec_lo
	v_dual_ashrrev_i32 v21, 31, v20 :: v_dual_ashrrev_i32 v19, 31, v18
	ds_load_b128 v[26:29], v2 offset:112
	s_wait_loadcnt_dscnt 0x100
	v_mul_f64_e32 v[4:5], v[28:29], v[10:11]
	v_mul_f64_e32 v[10:11], v[26:27], v[10:11]
	s_delay_alu instid0(VALU_DEP_2) | instskip(NEXT) | instid1(VALU_DEP_2)
	v_fma_f64 v[4:5], v[26:27], v[8:9], -v[4:5]
	v_fmac_f64_e32 v[10:11], v[28:29], v[8:9]
	s_delay_alu instid0(VALU_DEP_2) | instskip(NEXT) | instid1(VALU_DEP_2)
	v_add_f64_e32 v[4:5], 0, v[4:5]
	v_add_f64_e32 v[10:11], 0, v[10:11]
	s_wait_loadcnt 0x0
	s_delay_alu instid0(VALU_DEP_2) | instskip(NEXT) | instid1(VALU_DEP_2)
	v_add_f64_e64 v[8:9], v[22:23], -v[4:5]
	v_add_f64_e64 v[10:11], v[24:25], -v[10:11]
	scratch_store_b128 off, v[8:11], off offset:32
	s_wait_xcnt 0x0
	v_cmpx_lt_u32_e32 1, v1
	s_cbranch_execz .LBB67_35
; %bb.34:
	scratch_load_b128 v[8:11], off, s13
	v_dual_mov_b32 v3, v2 :: v_dual_mov_b32 v4, v2
	v_mov_b32_e32 v5, v2
	scratch_store_b128 off, v[2:5], off offset:16
	s_wait_loadcnt 0x0
	ds_store_b128 v6, v[8:11]
.LBB67_35:
	s_wait_xcnt 0x0
	s_or_b32 exec_lo, exec_lo, s2
	s_wait_storecnt_dscnt 0x0
	s_barrier_signal -1
	s_barrier_wait -1
	s_clause 0x2
	scratch_load_b128 v[8:11], off, off offset:32
	scratch_load_b128 v[22:25], off, off offset:48
	;; [unrolled: 1-line block ×3, first 2 shown]
	ds_load_b128 v[30:33], v2 offset:96
	ds_load_b128 v[2:5], v2 offset:112
	s_mov_b32 s2, exec_lo
	s_wait_loadcnt_dscnt 0x201
	v_mul_f64_e32 v[12:13], v[32:33], v[10:11]
	v_mul_f64_e32 v[10:11], v[30:31], v[10:11]
	s_wait_loadcnt_dscnt 0x100
	v_mul_f64_e32 v[34:35], v[2:3], v[24:25]
	v_mul_f64_e32 v[24:25], v[4:5], v[24:25]
	s_delay_alu instid0(VALU_DEP_4) | instskip(NEXT) | instid1(VALU_DEP_4)
	v_fma_f64 v[12:13], v[30:31], v[8:9], -v[12:13]
	v_fmac_f64_e32 v[10:11], v[32:33], v[8:9]
	s_delay_alu instid0(VALU_DEP_4) | instskip(NEXT) | instid1(VALU_DEP_4)
	v_fmac_f64_e32 v[34:35], v[4:5], v[22:23]
	v_fma_f64 v[2:3], v[2:3], v[22:23], -v[24:25]
	s_delay_alu instid0(VALU_DEP_4) | instskip(NEXT) | instid1(VALU_DEP_4)
	v_add_f64_e32 v[4:5], 0, v[12:13]
	v_add_f64_e32 v[8:9], 0, v[10:11]
	s_delay_alu instid0(VALU_DEP_2) | instskip(NEXT) | instid1(VALU_DEP_2)
	v_add_f64_e32 v[2:3], v[4:5], v[2:3]
	v_add_f64_e32 v[4:5], v[8:9], v[34:35]
	s_wait_loadcnt 0x0
	s_delay_alu instid0(VALU_DEP_2) | instskip(NEXT) | instid1(VALU_DEP_2)
	v_add_f64_e64 v[2:3], v[26:27], -v[2:3]
	v_add_f64_e64 v[4:5], v[28:29], -v[4:5]
	scratch_store_b128 off, v[2:5], off offset:16
	s_wait_xcnt 0x0
	v_cmpx_ne_u32_e32 0, v1
	s_cbranch_execz .LBB67_37
; %bb.36:
	scratch_load_b128 v[2:5], off, off
	v_mov_b32_e32 v8, 0
	s_delay_alu instid0(VALU_DEP_1)
	v_dual_mov_b32 v9, v8 :: v_dual_mov_b32 v10, v8
	v_mov_b32_e32 v11, v8
	scratch_store_b128 off, v[8:11], off
	s_wait_loadcnt 0x0
	ds_store_b128 v6, v[2:5]
.LBB67_37:
	s_wait_xcnt 0x0
	s_or_b32 exec_lo, exec_lo, s2
	s_wait_storecnt_dscnt 0x0
	s_barrier_signal -1
	s_barrier_wait -1
	s_clause 0x3
	scratch_load_b128 v[2:5], off, off offset:16
	scratch_load_b128 v[8:11], off, off offset:32
	;; [unrolled: 1-line block ×3, first 2 shown]
	scratch_load_b128 v[26:29], off, off
	v_mov_b32_e32 v6, 0
	ds_load_b128 v[30:33], v6 offset:80
	ds_load_b128 v[34:37], v6 offset:96
	s_and_b32 vcc_lo, exec_lo, s14
	s_wait_loadcnt_dscnt 0x301
	v_mul_f64_e32 v[12:13], v[32:33], v[4:5]
	v_mul_f64_e32 v[38:39], v[30:31], v[4:5]
	s_wait_loadcnt_dscnt 0x200
	v_mul_f64_e32 v[40:41], v[34:35], v[10:11]
	v_mul_f64_e32 v[10:11], v[36:37], v[10:11]
	s_delay_alu instid0(VALU_DEP_4) | instskip(NEXT) | instid1(VALU_DEP_4)
	v_fma_f64 v[12:13], v[30:31], v[2:3], -v[12:13]
	v_fmac_f64_e32 v[38:39], v[32:33], v[2:3]
	ds_load_b128 v[2:5], v6 offset:112
	v_fmac_f64_e32 v[40:41], v[36:37], v[8:9]
	v_fma_f64 v[8:9], v[34:35], v[8:9], -v[10:11]
	s_wait_loadcnt_dscnt 0x100
	v_mul_f64_e32 v[30:31], v[2:3], v[24:25]
	v_mul_f64_e32 v[24:25], v[4:5], v[24:25]
	v_add_f64_e32 v[10:11], 0, v[12:13]
	v_add_f64_e32 v[12:13], 0, v[38:39]
	s_delay_alu instid0(VALU_DEP_4) | instskip(NEXT) | instid1(VALU_DEP_4)
	v_fmac_f64_e32 v[30:31], v[4:5], v[22:23]
	v_fma_f64 v[2:3], v[2:3], v[22:23], -v[24:25]
	s_delay_alu instid0(VALU_DEP_4) | instskip(NEXT) | instid1(VALU_DEP_4)
	v_add_f64_e32 v[4:5], v[10:11], v[8:9]
	v_add_f64_e32 v[8:9], v[12:13], v[40:41]
	s_delay_alu instid0(VALU_DEP_2) | instskip(NEXT) | instid1(VALU_DEP_2)
	v_add_f64_e32 v[2:3], v[4:5], v[2:3]
	v_add_f64_e32 v[4:5], v[8:9], v[30:31]
	s_wait_loadcnt 0x0
	s_delay_alu instid0(VALU_DEP_2) | instskip(NEXT) | instid1(VALU_DEP_2)
	v_add_f64_e64 v[8:9], v[26:27], -v[2:3]
	v_add_f64_e64 v[10:11], v[28:29], -v[4:5]
	v_lshl_add_u64 v[2:3], v[18:19], 4, s[4:5]
	v_lshl_add_u64 v[4:5], v[20:21], 4, s[4:5]
	scratch_store_b128 off, v[8:11], off
	s_cbranch_vccz .LBB67_44
; %bb.38:
	global_load_b32 v6, v6, s[8:9] offset:8
	s_load_b64 s[2:3], s[0:1], 0x4
	v_bfe_u32 v7, v0, 10, 10
	v_bfe_u32 v0, v0, 20, 10
	s_wait_kmcnt 0x0
	s_lshr_b32 s0, s2, 16
	s_delay_alu instid0(VALU_DEP_2) | instskip(SKIP_1) | instid1(SALU_CYCLE_1)
	v_mul_u32_u24_e32 v7, s3, v7
	s_mul_i32 s0, s0, s3
	v_mul_u32_u24_e32 v1, s0, v1
	s_delay_alu instid0(VALU_DEP_1) | instskip(NEXT) | instid1(VALU_DEP_1)
	v_add3_u32 v0, v1, v7, v0
	v_lshl_add_u32 v0, v0, 4, 0x88
	s_wait_loadcnt 0x0
	v_cmp_ne_u32_e32 vcc_lo, 3, v6
	s_cbranch_vccz .LBB67_40
; %bb.39:
	v_lshlrev_b32_e32 v1, 4, v6
	s_clause 0x1
	scratch_load_b128 v[6:9], off, s12
	scratch_load_b128 v[10:13], v1, off offset:-16
	s_wait_loadcnt 0x1
	ds_store_2addr_b64 v0, v[6:7], v[8:9] offset1:1
	s_wait_loadcnt 0x0
	s_clause 0x1
	scratch_store_b128 off, v[10:13], s12
	scratch_store_b128 v1, v[6:9], off offset:-16
.LBB67_40:
	s_wait_xcnt 0x0
	v_mov_b32_e32 v1, 0
	global_load_b32 v6, v1, s[8:9] offset:4
	s_wait_loadcnt 0x0
	v_cmp_eq_u32_e32 vcc_lo, 2, v6
	s_cbranch_vccnz .LBB67_42
; %bb.41:
	v_lshlrev_b32_e32 v6, 4, v6
	s_delay_alu instid0(VALU_DEP_1)
	v_mov_b32_e32 v18, v6
	s_clause 0x1
	scratch_load_b128 v[6:9], off, s13
	scratch_load_b128 v[10:13], v18, off offset:-16
	s_wait_loadcnt 0x1
	ds_store_2addr_b64 v0, v[6:7], v[8:9] offset1:1
	s_wait_loadcnt 0x0
	s_clause 0x1
	scratch_store_b128 off, v[10:13], s13
	scratch_store_b128 v18, v[6:9], off offset:-16
.LBB67_42:
	global_load_b32 v1, v1, s[8:9]
	s_wait_loadcnt 0x0
	v_cmp_eq_u32_e32 vcc_lo, 1, v1
	s_cbranch_vccnz .LBB67_44
; %bb.43:
	s_wait_xcnt 0x0
	v_lshlrev_b32_e32 v1, 4, v1
	scratch_load_b128 v[6:9], off, off
	scratch_load_b128 v[10:13], v1, off offset:-16
	s_wait_loadcnt 0x1
	ds_store_2addr_b64 v0, v[6:7], v[8:9] offset1:1
	s_wait_loadcnt 0x0
	scratch_store_b128 off, v[10:13], off
	scratch_store_b128 v1, v[6:9], off offset:-16
.LBB67_44:
	scratch_load_b128 v[6:9], off, off
	s_clause 0x2
	scratch_load_b128 v[10:13], off, s13
	scratch_load_b128 v[18:21], off, s12
	;; [unrolled: 1-line block ×3, first 2 shown]
	s_wait_loadcnt 0x3
	flat_store_b128 v[14:15], v[6:9]
	s_wait_loadcnt 0x2
	flat_store_b128 v[16:17], v[10:13]
	;; [unrolled: 2-line block ×4, first 2 shown]
	s_endpgm
	.section	.rodata,"a",@progbits
	.p2align	6, 0x0
	.amdhsa_kernel _ZN9rocsolver6v33100L18getri_kernel_smallILi4E19rocblas_complex_numIdEPKPS3_EEvT1_iilPiilS8_bb
		.amdhsa_group_segment_fixed_size 1160
		.amdhsa_private_segment_fixed_size 80
		.amdhsa_kernarg_size 60
		.amdhsa_user_sgpr_count 4
		.amdhsa_user_sgpr_dispatch_ptr 1
		.amdhsa_user_sgpr_queue_ptr 0
		.amdhsa_user_sgpr_kernarg_segment_ptr 1
		.amdhsa_user_sgpr_dispatch_id 0
		.amdhsa_user_sgpr_kernarg_preload_length 0
		.amdhsa_user_sgpr_kernarg_preload_offset 0
		.amdhsa_user_sgpr_private_segment_size 0
		.amdhsa_wavefront_size32 1
		.amdhsa_uses_dynamic_stack 0
		.amdhsa_enable_private_segment 1
		.amdhsa_system_sgpr_workgroup_id_x 1
		.amdhsa_system_sgpr_workgroup_id_y 0
		.amdhsa_system_sgpr_workgroup_id_z 0
		.amdhsa_system_sgpr_workgroup_info 0
		.amdhsa_system_vgpr_workitem_id 2
		.amdhsa_next_free_vgpr 42
		.amdhsa_next_free_sgpr 19
		.amdhsa_named_barrier_count 0
		.amdhsa_reserve_vcc 1
		.amdhsa_float_round_mode_32 0
		.amdhsa_float_round_mode_16_64 0
		.amdhsa_float_denorm_mode_32 3
		.amdhsa_float_denorm_mode_16_64 3
		.amdhsa_fp16_overflow 0
		.amdhsa_memory_ordered 1
		.amdhsa_forward_progress 1
		.amdhsa_inst_pref_size 27
		.amdhsa_round_robin_scheduling 0
		.amdhsa_exception_fp_ieee_invalid_op 0
		.amdhsa_exception_fp_denorm_src 0
		.amdhsa_exception_fp_ieee_div_zero 0
		.amdhsa_exception_fp_ieee_overflow 0
		.amdhsa_exception_fp_ieee_underflow 0
		.amdhsa_exception_fp_ieee_inexact 0
		.amdhsa_exception_int_div_zero 0
	.end_amdhsa_kernel
	.section	.text._ZN9rocsolver6v33100L18getri_kernel_smallILi4E19rocblas_complex_numIdEPKPS3_EEvT1_iilPiilS8_bb,"axG",@progbits,_ZN9rocsolver6v33100L18getri_kernel_smallILi4E19rocblas_complex_numIdEPKPS3_EEvT1_iilPiilS8_bb,comdat
.Lfunc_end67:
	.size	_ZN9rocsolver6v33100L18getri_kernel_smallILi4E19rocblas_complex_numIdEPKPS3_EEvT1_iilPiilS8_bb, .Lfunc_end67-_ZN9rocsolver6v33100L18getri_kernel_smallILi4E19rocblas_complex_numIdEPKPS3_EEvT1_iilPiilS8_bb
                                        ; -- End function
	.set _ZN9rocsolver6v33100L18getri_kernel_smallILi4E19rocblas_complex_numIdEPKPS3_EEvT1_iilPiilS8_bb.num_vgpr, 42
	.set _ZN9rocsolver6v33100L18getri_kernel_smallILi4E19rocblas_complex_numIdEPKPS3_EEvT1_iilPiilS8_bb.num_agpr, 0
	.set _ZN9rocsolver6v33100L18getri_kernel_smallILi4E19rocblas_complex_numIdEPKPS3_EEvT1_iilPiilS8_bb.numbered_sgpr, 19
	.set _ZN9rocsolver6v33100L18getri_kernel_smallILi4E19rocblas_complex_numIdEPKPS3_EEvT1_iilPiilS8_bb.num_named_barrier, 0
	.set _ZN9rocsolver6v33100L18getri_kernel_smallILi4E19rocblas_complex_numIdEPKPS3_EEvT1_iilPiilS8_bb.private_seg_size, 80
	.set _ZN9rocsolver6v33100L18getri_kernel_smallILi4E19rocblas_complex_numIdEPKPS3_EEvT1_iilPiilS8_bb.uses_vcc, 1
	.set _ZN9rocsolver6v33100L18getri_kernel_smallILi4E19rocblas_complex_numIdEPKPS3_EEvT1_iilPiilS8_bb.uses_flat_scratch, 1
	.set _ZN9rocsolver6v33100L18getri_kernel_smallILi4E19rocblas_complex_numIdEPKPS3_EEvT1_iilPiilS8_bb.has_dyn_sized_stack, 0
	.set _ZN9rocsolver6v33100L18getri_kernel_smallILi4E19rocblas_complex_numIdEPKPS3_EEvT1_iilPiilS8_bb.has_recursion, 0
	.set _ZN9rocsolver6v33100L18getri_kernel_smallILi4E19rocblas_complex_numIdEPKPS3_EEvT1_iilPiilS8_bb.has_indirect_call, 0
	.section	.AMDGPU.csdata,"",@progbits
; Kernel info:
; codeLenInByte = 3360
; TotalNumSgprs: 21
; NumVgprs: 42
; ScratchSize: 80
; MemoryBound: 0
; FloatMode: 240
; IeeeMode: 1
; LDSByteSize: 1160 bytes/workgroup (compile time only)
; SGPRBlocks: 0
; VGPRBlocks: 2
; NumSGPRsForWavesPerEU: 21
; NumVGPRsForWavesPerEU: 42
; NamedBarCnt: 0
; Occupancy: 16
; WaveLimiterHint : 1
; COMPUTE_PGM_RSRC2:SCRATCH_EN: 1
; COMPUTE_PGM_RSRC2:USER_SGPR: 4
; COMPUTE_PGM_RSRC2:TRAP_HANDLER: 0
; COMPUTE_PGM_RSRC2:TGID_X_EN: 1
; COMPUTE_PGM_RSRC2:TGID_Y_EN: 0
; COMPUTE_PGM_RSRC2:TGID_Z_EN: 0
; COMPUTE_PGM_RSRC2:TIDIG_COMP_CNT: 2
	.section	.text._ZN9rocsolver6v33100L18getri_kernel_smallILi5E19rocblas_complex_numIdEPKPS3_EEvT1_iilPiilS8_bb,"axG",@progbits,_ZN9rocsolver6v33100L18getri_kernel_smallILi5E19rocblas_complex_numIdEPKPS3_EEvT1_iilPiilS8_bb,comdat
	.globl	_ZN9rocsolver6v33100L18getri_kernel_smallILi5E19rocblas_complex_numIdEPKPS3_EEvT1_iilPiilS8_bb ; -- Begin function _ZN9rocsolver6v33100L18getri_kernel_smallILi5E19rocblas_complex_numIdEPKPS3_EEvT1_iilPiilS8_bb
	.p2align	8
	.type	_ZN9rocsolver6v33100L18getri_kernel_smallILi5E19rocblas_complex_numIdEPKPS3_EEvT1_iilPiilS8_bb,@function
_ZN9rocsolver6v33100L18getri_kernel_smallILi5E19rocblas_complex_numIdEPKPS3_EEvT1_iilPiilS8_bb: ; @_ZN9rocsolver6v33100L18getri_kernel_smallILi5E19rocblas_complex_numIdEPKPS3_EEvT1_iilPiilS8_bb
; %bb.0:
	v_and_b32_e32 v1, 0x3ff, v0
	s_mov_b32 s4, exec_lo
	s_delay_alu instid0(VALU_DEP_1)
	v_cmpx_gt_u32_e32 5, v1
	s_cbranch_execz .LBB68_34
; %bb.1:
	s_clause 0x1
	s_load_b32 s14, s[2:3], 0x38
	s_load_b64 s[8:9], s[2:3], 0x0
	s_getreg_b32 s6, hwreg(HW_REG_IB_STS2, 6, 4)
	s_wait_kmcnt 0x0
	s_bitcmp1_b32 s14, 8
	s_cselect_b32 s16, -1, 0
	s_bfe_u32 s4, ttmp6, 0x4000c
	s_and_b32 s5, ttmp6, 15
	s_add_co_i32 s4, s4, 1
	s_delay_alu instid0(SALU_CYCLE_1) | instskip(NEXT) | instid1(SALU_CYCLE_1)
	s_mul_i32 s4, ttmp9, s4
	s_add_co_i32 s5, s5, s4
	s_cmp_eq_u32 s6, 0
	s_cselect_b32 s10, ttmp9, s5
	s_load_b128 s[4:7], s[2:3], 0x28
	s_ashr_i32 s11, s10, 31
	s_delay_alu instid0(SALU_CYCLE_1) | instskip(NEXT) | instid1(SALU_CYCLE_1)
	s_lshl_b64 s[12:13], s[10:11], 3
	s_add_nc_u64 s[8:9], s[8:9], s[12:13]
	s_load_b64 s[12:13], s[8:9], 0x0
	s_wait_xcnt 0x0
	s_bfe_u32 s8, s14, 0x10008
	s_delay_alu instid0(SALU_CYCLE_1)
	s_cmp_eq_u32 s8, 0
                                        ; implicit-def: $sgpr8_sgpr9
	s_cbranch_scc1 .LBB68_3
; %bb.2:
	s_load_b96 s[20:22], s[2:3], 0x18
	s_wait_kmcnt 0x0
	s_mul_u64 s[4:5], s[4:5], s[10:11]
	s_delay_alu instid0(SALU_CYCLE_1) | instskip(SKIP_4) | instid1(SALU_CYCLE_1)
	s_lshl_b64 s[4:5], s[4:5], 2
	s_ashr_i32 s9, s22, 31
	s_mov_b32 s8, s22
	s_add_nc_u64 s[4:5], s[20:21], s[4:5]
	s_lshl_b64 s[8:9], s[8:9], 2
	s_add_nc_u64 s[8:9], s[4:5], s[8:9]
.LBB68_3:
	s_clause 0x1
	s_load_b64 s[14:15], s[2:3], 0x8
	s_load_b32 s17, s[2:3], 0x38
	v_dual_mov_b32 v25, 0 :: v_dual_lshlrev_b32 v24, 4, v1
	s_wait_kmcnt 0x0
	s_ashr_i32 s3, s14, 31
	s_mov_b32 s2, s14
	v_add3_u32 v18, s15, s15, v1
	s_lshl_b64 s[2:3], s[2:3], 4
	s_mov_b32 s14, 32
	s_add_nc_u64 s[4:5], s[12:13], s[2:3]
	s_ashr_i32 s3, s15, 31
	flat_load_b128 v[2:5], v1, s[4:5] scale_offset
	v_add_nc_u64_e32 v[14:15], s[4:5], v[24:25]
	s_mov_b32 s2, s15
	v_add_nc_u32_e32 v20, s15, v18
	s_mov_b32 s13, 48
	s_mov_b32 s12, 64
	s_bitcmp0_b32 s17, 0
	s_delay_alu instid0(VALU_DEP_2)
	v_lshl_add_u64 v[16:17], s[2:3], 4, v[14:15]
	v_add_nc_u32_e32 v22, s15, v20
	s_mov_b32 s15, 16
	s_mov_b32 s3, -1
	s_wait_loadcnt_dscnt 0x0
	scratch_store_b128 off, v[2:5], off
	flat_load_b128 v[2:5], v[16:17]
	s_wait_loadcnt_dscnt 0x0
	scratch_store_b128 off, v[2:5], off offset:16
	flat_load_b128 v[2:5], v18, s[4:5] scale_offset
	s_wait_loadcnt_dscnt 0x0
	scratch_store_b128 off, v[2:5], off offset:32
	flat_load_b128 v[2:5], v20, s[4:5] scale_offset
	;; [unrolled: 3-line block ×3, first 2 shown]
	s_wait_loadcnt_dscnt 0x0
	scratch_store_b128 off, v[2:5], off offset:64
	s_cbranch_scc1 .LBB68_32
; %bb.4:
	v_cmp_eq_u32_e64 s2, 0, v1
	s_wait_xcnt 0x0
	s_and_saveexec_b32 s3, s2
; %bb.5:
	v_mov_b32_e32 v2, 0
	ds_store_b32 v2, v2 offset:160
; %bb.6:
	s_or_b32 exec_lo, exec_lo, s3
	s_wait_storecnt_dscnt 0x0
	s_barrier_signal -1
	s_barrier_wait -1
	scratch_load_b128 v[2:5], v1, off scale_offset
	s_wait_loadcnt 0x0
	v_cmp_eq_f64_e32 vcc_lo, 0, v[2:3]
	v_cmp_eq_f64_e64 s3, 0, v[4:5]
	s_and_b32 s3, vcc_lo, s3
	s_delay_alu instid0(SALU_CYCLE_1)
	s_and_saveexec_b32 s17, s3
	s_cbranch_execz .LBB68_10
; %bb.7:
	v_mov_b32_e32 v2, 0
	s_mov_b32 s18, 0
	ds_load_b32 v3, v2 offset:160
	s_wait_dscnt 0x0
	v_readfirstlane_b32 s3, v3
	v_add_nc_u32_e32 v3, 1, v1
	s_cmp_eq_u32 s3, 0
	s_delay_alu instid0(VALU_DEP_1) | instskip(SKIP_1) | instid1(SALU_CYCLE_1)
	v_cmp_gt_i32_e32 vcc_lo, s3, v3
	s_cselect_b32 s19, -1, 0
	s_or_b32 s19, s19, vcc_lo
	s_delay_alu instid0(SALU_CYCLE_1)
	s_and_b32 exec_lo, exec_lo, s19
	s_cbranch_execz .LBB68_10
; %bb.8:
	v_mov_b32_e32 v4, s3
.LBB68_9:                               ; =>This Inner Loop Header: Depth=1
	ds_cmpstore_rtn_b32 v4, v2, v3, v4 offset:160
	s_wait_dscnt 0x0
	v_cmp_ne_u32_e32 vcc_lo, 0, v4
	v_cmp_le_i32_e64 s3, v4, v3
	s_and_b32 s3, vcc_lo, s3
	s_delay_alu instid0(SALU_CYCLE_1) | instskip(NEXT) | instid1(SALU_CYCLE_1)
	s_and_b32 s3, exec_lo, s3
	s_or_b32 s18, s3, s18
	s_delay_alu instid0(SALU_CYCLE_1)
	s_and_not1_b32 exec_lo, exec_lo, s18
	s_cbranch_execnz .LBB68_9
.LBB68_10:
	s_or_b32 exec_lo, exec_lo, s17
	v_mov_b32_e32 v2, 0
	s_barrier_signal -1
	s_barrier_wait -1
	ds_load_b32 v3, v2 offset:160
	s_and_saveexec_b32 s3, s2
	s_cbranch_execz .LBB68_12
; %bb.11:
	s_lshl_b64 s[18:19], s[10:11], 2
	s_delay_alu instid0(SALU_CYCLE_1)
	s_add_nc_u64 s[18:19], s[6:7], s[18:19]
	s_wait_dscnt 0x0
	global_store_b32 v2, v3, s[18:19]
.LBB68_12:
	s_wait_xcnt 0x0
	s_or_b32 exec_lo, exec_lo, s3
	s_wait_dscnt 0x0
	v_cmp_ne_u32_e32 vcc_lo, 0, v3
	s_mov_b32 s3, 0
	s_cbranch_vccnz .LBB68_32
; %bb.13:
	v_lshl_add_u32 v19, v1, 4, 0
                                        ; implicit-def: $vgpr6_vgpr7
                                        ; implicit-def: $vgpr10_vgpr11
	scratch_load_b128 v[2:5], v19, off
	s_wait_loadcnt 0x0
	v_cmp_ngt_f64_e64 s3, |v[2:3]|, |v[4:5]|
	s_wait_xcnt 0x0
	s_and_saveexec_b32 s17, s3
	s_delay_alu instid0(SALU_CYCLE_1)
	s_xor_b32 s3, exec_lo, s17
	s_cbranch_execz .LBB68_15
; %bb.14:
	v_div_scale_f64 v[6:7], null, v[4:5], v[4:5], v[2:3]
	v_div_scale_f64 v[12:13], vcc_lo, v[2:3], v[4:5], v[2:3]
	s_delay_alu instid0(VALU_DEP_2) | instskip(SKIP_1) | instid1(TRANS32_DEP_1)
	v_rcp_f64_e32 v[8:9], v[6:7]
	v_nop
	v_fma_f64 v[10:11], -v[6:7], v[8:9], 1.0
	s_delay_alu instid0(VALU_DEP_1) | instskip(NEXT) | instid1(VALU_DEP_1)
	v_fmac_f64_e32 v[8:9], v[8:9], v[10:11]
	v_fma_f64 v[10:11], -v[6:7], v[8:9], 1.0
	s_delay_alu instid0(VALU_DEP_1) | instskip(NEXT) | instid1(VALU_DEP_1)
	v_fmac_f64_e32 v[8:9], v[8:9], v[10:11]
	v_mul_f64_e32 v[10:11], v[12:13], v[8:9]
	s_delay_alu instid0(VALU_DEP_1) | instskip(NEXT) | instid1(VALU_DEP_1)
	v_fma_f64 v[6:7], -v[6:7], v[10:11], v[12:13]
	v_div_fmas_f64 v[6:7], v[6:7], v[8:9], v[10:11]
	s_delay_alu instid0(VALU_DEP_1) | instskip(NEXT) | instid1(VALU_DEP_1)
	v_div_fixup_f64 v[6:7], v[6:7], v[4:5], v[2:3]
	v_fmac_f64_e32 v[4:5], v[2:3], v[6:7]
	s_delay_alu instid0(VALU_DEP_1) | instskip(SKIP_1) | instid1(VALU_DEP_2)
	v_div_scale_f64 v[2:3], null, v[4:5], v[4:5], 1.0
	v_div_scale_f64 v[12:13], vcc_lo, 1.0, v[4:5], 1.0
	v_rcp_f64_e32 v[8:9], v[2:3]
	v_nop
	s_delay_alu instid0(TRANS32_DEP_1) | instskip(NEXT) | instid1(VALU_DEP_1)
	v_fma_f64 v[10:11], -v[2:3], v[8:9], 1.0
	v_fmac_f64_e32 v[8:9], v[8:9], v[10:11]
	s_delay_alu instid0(VALU_DEP_1) | instskip(NEXT) | instid1(VALU_DEP_1)
	v_fma_f64 v[10:11], -v[2:3], v[8:9], 1.0
	v_fmac_f64_e32 v[8:9], v[8:9], v[10:11]
	s_delay_alu instid0(VALU_DEP_1) | instskip(NEXT) | instid1(VALU_DEP_1)
	v_mul_f64_e32 v[10:11], v[12:13], v[8:9]
	v_fma_f64 v[2:3], -v[2:3], v[10:11], v[12:13]
	s_delay_alu instid0(VALU_DEP_1) | instskip(NEXT) | instid1(VALU_DEP_1)
	v_div_fmas_f64 v[2:3], v[2:3], v[8:9], v[10:11]
	v_div_fixup_f64 v[8:9], v[2:3], v[4:5], 1.0
                                        ; implicit-def: $vgpr2_vgpr3
	s_delay_alu instid0(VALU_DEP_1) | instskip(SKIP_1) | instid1(VALU_DEP_2)
	v_mul_f64_e32 v[6:7], v[6:7], v[8:9]
	v_xor_b32_e32 v9, 0x80000000, v9
	v_xor_b32_e32 v11, 0x80000000, v7
	s_delay_alu instid0(VALU_DEP_3)
	v_mov_b32_e32 v10, v6
.LBB68_15:
	s_and_not1_saveexec_b32 s3, s3
	s_cbranch_execz .LBB68_17
; %bb.16:
	v_div_scale_f64 v[6:7], null, v[2:3], v[2:3], v[4:5]
	v_div_scale_f64 v[12:13], vcc_lo, v[4:5], v[2:3], v[4:5]
	s_delay_alu instid0(VALU_DEP_2) | instskip(SKIP_1) | instid1(TRANS32_DEP_1)
	v_rcp_f64_e32 v[8:9], v[6:7]
	v_nop
	v_fma_f64 v[10:11], -v[6:7], v[8:9], 1.0
	s_delay_alu instid0(VALU_DEP_1) | instskip(NEXT) | instid1(VALU_DEP_1)
	v_fmac_f64_e32 v[8:9], v[8:9], v[10:11]
	v_fma_f64 v[10:11], -v[6:7], v[8:9], 1.0
	s_delay_alu instid0(VALU_DEP_1) | instskip(NEXT) | instid1(VALU_DEP_1)
	v_fmac_f64_e32 v[8:9], v[8:9], v[10:11]
	v_mul_f64_e32 v[10:11], v[12:13], v[8:9]
	s_delay_alu instid0(VALU_DEP_1) | instskip(NEXT) | instid1(VALU_DEP_1)
	v_fma_f64 v[6:7], -v[6:7], v[10:11], v[12:13]
	v_div_fmas_f64 v[6:7], v[6:7], v[8:9], v[10:11]
	s_delay_alu instid0(VALU_DEP_1) | instskip(NEXT) | instid1(VALU_DEP_1)
	v_div_fixup_f64 v[8:9], v[6:7], v[2:3], v[4:5]
	v_fmac_f64_e32 v[2:3], v[4:5], v[8:9]
	s_delay_alu instid0(VALU_DEP_1) | instskip(NEXT) | instid1(VALU_DEP_1)
	v_div_scale_f64 v[4:5], null, v[2:3], v[2:3], 1.0
	v_rcp_f64_e32 v[6:7], v[4:5]
	v_nop
	s_delay_alu instid0(TRANS32_DEP_1) | instskip(NEXT) | instid1(VALU_DEP_1)
	v_fma_f64 v[10:11], -v[4:5], v[6:7], 1.0
	v_fmac_f64_e32 v[6:7], v[6:7], v[10:11]
	s_delay_alu instid0(VALU_DEP_1) | instskip(NEXT) | instid1(VALU_DEP_1)
	v_fma_f64 v[10:11], -v[4:5], v[6:7], 1.0
	v_fmac_f64_e32 v[6:7], v[6:7], v[10:11]
	v_div_scale_f64 v[10:11], vcc_lo, 1.0, v[2:3], 1.0
	s_delay_alu instid0(VALU_DEP_1) | instskip(NEXT) | instid1(VALU_DEP_1)
	v_mul_f64_e32 v[12:13], v[10:11], v[6:7]
	v_fma_f64 v[4:5], -v[4:5], v[12:13], v[10:11]
	s_delay_alu instid0(VALU_DEP_1) | instskip(NEXT) | instid1(VALU_DEP_1)
	v_div_fmas_f64 v[4:5], v[4:5], v[6:7], v[12:13]
	v_div_fixup_f64 v[6:7], v[4:5], v[2:3], 1.0
	s_delay_alu instid0(VALU_DEP_1)
	v_mul_f64_e64 v[8:9], v[8:9], -v[6:7]
	v_xor_b32_e32 v11, 0x80000000, v7
	v_mov_b32_e32 v10, v6
.LBB68_17:
	s_or_b32 exec_lo, exec_lo, s3
	s_clause 0x1
	scratch_store_b128 v19, v[6:9], off
	scratch_load_b128 v[2:5], off, s15
	v_xor_b32_e32 v13, 0x80000000, v9
	v_mov_b32_e32 v12, v8
	s_wait_xcnt 0x1
	v_add_nc_u32_e32 v6, 0x50, v24
	ds_store_b128 v24, v[10:13]
	s_wait_loadcnt 0x0
	ds_store_b128 v24, v[2:5] offset:80
	s_wait_storecnt_dscnt 0x0
	s_barrier_signal -1
	s_barrier_wait -1
	s_wait_xcnt 0x0
	s_and_saveexec_b32 s3, s2
	s_cbranch_execz .LBB68_19
; %bb.18:
	scratch_load_b128 v[2:5], v19, off
	ds_load_b128 v[8:11], v6
	v_mov_b32_e32 v7, 0
	ds_load_b128 v[26:29], v7 offset:16
	s_wait_loadcnt_dscnt 0x1
	v_mul_f64_e32 v[12:13], v[8:9], v[4:5]
	v_mul_f64_e32 v[4:5], v[10:11], v[4:5]
	s_delay_alu instid0(VALU_DEP_2) | instskip(NEXT) | instid1(VALU_DEP_2)
	v_fmac_f64_e32 v[12:13], v[10:11], v[2:3]
	v_fma_f64 v[2:3], v[8:9], v[2:3], -v[4:5]
	s_delay_alu instid0(VALU_DEP_2) | instskip(NEXT) | instid1(VALU_DEP_2)
	v_add_f64_e32 v[8:9], 0, v[12:13]
	v_add_f64_e32 v[2:3], 0, v[2:3]
	s_wait_dscnt 0x0
	s_delay_alu instid0(VALU_DEP_2) | instskip(NEXT) | instid1(VALU_DEP_2)
	v_mul_f64_e32 v[10:11], v[8:9], v[28:29]
	v_mul_f64_e32 v[4:5], v[2:3], v[28:29]
	s_delay_alu instid0(VALU_DEP_2) | instskip(NEXT) | instid1(VALU_DEP_2)
	v_fma_f64 v[2:3], v[2:3], v[26:27], -v[10:11]
	v_fmac_f64_e32 v[4:5], v[8:9], v[26:27]
	scratch_store_b128 off, v[2:5], off offset:16
.LBB68_19:
	s_wait_xcnt 0x0
	s_or_b32 exec_lo, exec_lo, s3
	s_wait_storecnt 0x0
	s_barrier_signal -1
	s_barrier_wait -1
	scratch_load_b128 v[2:5], off, s14
	s_mov_b32 s3, exec_lo
	s_wait_loadcnt 0x0
	ds_store_b128 v6, v[2:5]
	s_wait_dscnt 0x0
	s_barrier_signal -1
	s_barrier_wait -1
	v_cmpx_gt_u32_e32 2, v1
	s_cbranch_execz .LBB68_23
; %bb.20:
	scratch_load_b128 v[2:5], v19, off
	ds_load_b128 v[8:11], v6
	s_wait_loadcnt_dscnt 0x0
	v_mul_f64_e32 v[12:13], v[10:11], v[4:5]
	v_mul_f64_e32 v[26:27], v[8:9], v[4:5]
	s_delay_alu instid0(VALU_DEP_2) | instskip(NEXT) | instid1(VALU_DEP_2)
	v_fma_f64 v[4:5], v[8:9], v[2:3], -v[12:13]
	v_fmac_f64_e32 v[26:27], v[10:11], v[2:3]
	s_delay_alu instid0(VALU_DEP_2) | instskip(NEXT) | instid1(VALU_DEP_2)
	v_add_f64_e32 v[4:5], 0, v[4:5]
	v_add_f64_e32 v[2:3], 0, v[26:27]
	s_and_saveexec_b32 s17, s2
	s_cbranch_execz .LBB68_22
; %bb.21:
	scratch_load_b128 v[8:11], off, off offset:16
	v_mov_b32_e32 v7, 0
	ds_load_b128 v[26:29], v7 offset:96
	s_wait_loadcnt_dscnt 0x0
	v_mul_f64_e32 v[12:13], v[26:27], v[10:11]
	v_mul_f64_e32 v[10:11], v[28:29], v[10:11]
	s_delay_alu instid0(VALU_DEP_2) | instskip(NEXT) | instid1(VALU_DEP_2)
	v_fmac_f64_e32 v[12:13], v[28:29], v[8:9]
	v_fma_f64 v[8:9], v[26:27], v[8:9], -v[10:11]
	s_delay_alu instid0(VALU_DEP_2) | instskip(NEXT) | instid1(VALU_DEP_2)
	v_add_f64_e32 v[2:3], v[2:3], v[12:13]
	v_add_f64_e32 v[4:5], v[4:5], v[8:9]
.LBB68_22:
	s_or_b32 exec_lo, exec_lo, s17
	v_mov_b32_e32 v7, 0
	ds_load_b128 v[8:11], v7 offset:32
	s_wait_dscnt 0x0
	v_mul_f64_e32 v[26:27], v[2:3], v[10:11]
	v_mul_f64_e32 v[12:13], v[4:5], v[10:11]
	s_delay_alu instid0(VALU_DEP_2) | instskip(NEXT) | instid1(VALU_DEP_2)
	v_fma_f64 v[10:11], v[4:5], v[8:9], -v[26:27]
	v_fmac_f64_e32 v[12:13], v[2:3], v[8:9]
	scratch_store_b128 off, v[10:13], off offset:32
.LBB68_23:
	s_wait_xcnt 0x0
	s_or_b32 exec_lo, exec_lo, s3
	s_wait_storecnt 0x0
	s_barrier_signal -1
	s_barrier_wait -1
	scratch_load_b128 v[2:5], off, s13
	v_add_nc_u32_e32 v7, -1, v1
	s_mov_b32 s2, exec_lo
	s_wait_loadcnt 0x0
	ds_store_b128 v6, v[2:5]
	s_wait_dscnt 0x0
	s_barrier_signal -1
	s_barrier_wait -1
	v_cmpx_gt_u32_e32 3, v1
	s_cbranch_execz .LBB68_27
; %bb.24:
	v_dual_mov_b32 v10, v24 :: v_dual_add_nc_u32 v8, -1, v1
	v_mov_b64_e32 v[2:3], 0
	v_mov_b64_e32 v[4:5], 0
	v_add_nc_u32_e32 v9, 0x50, v24
	s_delay_alu instid0(VALU_DEP_4)
	v_or_b32_e32 v10, 8, v10
	s_mov_b32 s3, 0
.LBB68_25:                              ; =>This Inner Loop Header: Depth=1
	scratch_load_b128 v[26:29], v10, off offset:-8
	ds_load_b128 v[30:33], v9
	s_wait_xcnt 0x0
	v_dual_add_nc_u32 v9, 16, v9 :: v_dual_add_nc_u32 v10, 16, v10
	v_add_nc_u32_e32 v8, 1, v8
	s_delay_alu instid0(VALU_DEP_1) | instskip(SKIP_4) | instid1(VALU_DEP_2)
	v_cmp_lt_u32_e32 vcc_lo, 1, v8
	s_or_b32 s3, vcc_lo, s3
	s_wait_loadcnt_dscnt 0x0
	v_mul_f64_e32 v[12:13], v[32:33], v[28:29]
	v_mul_f64_e32 v[28:29], v[30:31], v[28:29]
	v_fma_f64 v[12:13], v[30:31], v[26:27], -v[12:13]
	s_delay_alu instid0(VALU_DEP_2) | instskip(NEXT) | instid1(VALU_DEP_2)
	v_fmac_f64_e32 v[28:29], v[32:33], v[26:27]
	v_add_f64_e32 v[4:5], v[4:5], v[12:13]
	s_delay_alu instid0(VALU_DEP_2)
	v_add_f64_e32 v[2:3], v[2:3], v[28:29]
	s_and_not1_b32 exec_lo, exec_lo, s3
	s_cbranch_execnz .LBB68_25
; %bb.26:
	s_or_b32 exec_lo, exec_lo, s3
	v_mov_b32_e32 v8, 0
	ds_load_b128 v[8:11], v8 offset:48
	s_wait_dscnt 0x0
	v_mul_f64_e32 v[26:27], v[2:3], v[10:11]
	v_mul_f64_e32 v[12:13], v[4:5], v[10:11]
	s_delay_alu instid0(VALU_DEP_2) | instskip(NEXT) | instid1(VALU_DEP_2)
	v_fma_f64 v[10:11], v[4:5], v[8:9], -v[26:27]
	v_fmac_f64_e32 v[12:13], v[2:3], v[8:9]
	scratch_store_b128 off, v[10:13], off offset:48
.LBB68_27:
	s_wait_xcnt 0x0
	s_or_b32 exec_lo, exec_lo, s2
	s_wait_storecnt 0x0
	s_barrier_signal -1
	s_barrier_wait -1
	scratch_load_b128 v[2:5], off, s12
	s_mov_b32 s2, exec_lo
	s_wait_loadcnt 0x0
	ds_store_b128 v6, v[2:5]
	s_wait_dscnt 0x0
	s_barrier_signal -1
	s_barrier_wait -1
	v_cmpx_ne_u32_e32 4, v1
	s_cbranch_execz .LBB68_31
; %bb.28:
	v_mov_b32_e32 v8, v24
	v_mov_b64_e32 v[2:3], 0
	v_mov_b64_e32 v[4:5], 0
	s_mov_b32 s3, 0
	s_delay_alu instid0(VALU_DEP_3)
	v_or_b32_e32 v8, 8, v8
.LBB68_29:                              ; =>This Inner Loop Header: Depth=1
	scratch_load_b128 v[10:13], v8, off offset:-8
	ds_load_b128 v[24:27], v6
	v_dual_add_nc_u32 v7, 1, v7 :: v_dual_add_nc_u32 v6, 16, v6
	s_wait_xcnt 0x0
	v_add_nc_u32_e32 v8, 16, v8
	s_delay_alu instid0(VALU_DEP_2) | instskip(SKIP_4) | instid1(VALU_DEP_2)
	v_cmp_lt_u32_e32 vcc_lo, 2, v7
	s_or_b32 s3, vcc_lo, s3
	s_wait_loadcnt_dscnt 0x0
	v_mul_f64_e32 v[28:29], v[26:27], v[12:13]
	v_mul_f64_e32 v[12:13], v[24:25], v[12:13]
	v_fma_f64 v[24:25], v[24:25], v[10:11], -v[28:29]
	s_delay_alu instid0(VALU_DEP_2) | instskip(NEXT) | instid1(VALU_DEP_2)
	v_fmac_f64_e32 v[12:13], v[26:27], v[10:11]
	v_add_f64_e32 v[4:5], v[4:5], v[24:25]
	s_delay_alu instid0(VALU_DEP_2)
	v_add_f64_e32 v[2:3], v[2:3], v[12:13]
	s_and_not1_b32 exec_lo, exec_lo, s3
	s_cbranch_execnz .LBB68_29
; %bb.30:
	s_or_b32 exec_lo, exec_lo, s3
	v_mov_b32_e32 v6, 0
	ds_load_b128 v[6:9], v6 offset:64
	s_wait_dscnt 0x0
	v_mul_f64_e32 v[12:13], v[2:3], v[8:9]
	v_mul_f64_e32 v[10:11], v[4:5], v[8:9]
	s_delay_alu instid0(VALU_DEP_2) | instskip(NEXT) | instid1(VALU_DEP_2)
	v_fma_f64 v[8:9], v[4:5], v[6:7], -v[12:13]
	v_fmac_f64_e32 v[10:11], v[2:3], v[6:7]
	scratch_store_b128 off, v[8:11], off offset:64
.LBB68_31:
	s_wait_xcnt 0x0
	s_or_b32 exec_lo, exec_lo, s2
	s_mov_b32 s3, -1
	s_wait_storecnt 0x0
	s_barrier_signal -1
	s_barrier_wait -1
.LBB68_32:
	s_and_b32 vcc_lo, exec_lo, s3
	s_cbranch_vccz .LBB68_34
; %bb.33:
	s_wait_xcnt 0x0
	v_mov_b32_e32 v2, 0
	s_lshl_b64 s[2:3], s[10:11], 2
	s_delay_alu instid0(SALU_CYCLE_1)
	s_add_nc_u64 s[2:3], s[6:7], s[2:3]
	global_load_b32 v2, v2, s[2:3]
	s_wait_loadcnt 0x0
	v_cmp_ne_u32_e32 vcc_lo, 0, v2
	s_cbranch_vccz .LBB68_35
.LBB68_34:
	s_endpgm
.LBB68_35:
	v_lshl_add_u32 v6, v1, 4, 0x50
	s_wait_xcnt 0x0
	s_mov_b32 s2, exec_lo
	v_cmpx_eq_u32_e32 4, v1
	s_cbranch_execz .LBB68_37
; %bb.36:
	scratch_load_b128 v[2:5], off, s13
	v_mov_b32_e32 v8, 0
	s_delay_alu instid0(VALU_DEP_1)
	v_dual_mov_b32 v9, v8 :: v_dual_mov_b32 v10, v8
	v_mov_b32_e32 v11, v8
	scratch_store_b128 off, v[8:11], off offset:48
	s_wait_loadcnt 0x0
	ds_store_b128 v6, v[2:5]
.LBB68_37:
	s_wait_xcnt 0x0
	s_or_b32 exec_lo, exec_lo, s2
	s_wait_storecnt_dscnt 0x0
	s_barrier_signal -1
	s_barrier_wait -1
	s_clause 0x1
	scratch_load_b128 v[8:11], off, off offset:64
	scratch_load_b128 v[24:27], off, off offset:48
	v_mov_b32_e32 v2, 0
	s_mov_b32 s2, exec_lo
	ds_load_b128 v[28:31], v2 offset:144
	s_wait_loadcnt_dscnt 0x100
	v_mul_f64_e32 v[4:5], v[30:31], v[10:11]
	v_mul_f64_e32 v[10:11], v[28:29], v[10:11]
	s_delay_alu instid0(VALU_DEP_2) | instskip(NEXT) | instid1(VALU_DEP_2)
	v_fma_f64 v[4:5], v[28:29], v[8:9], -v[4:5]
	v_fmac_f64_e32 v[10:11], v[30:31], v[8:9]
	s_delay_alu instid0(VALU_DEP_2) | instskip(NEXT) | instid1(VALU_DEP_2)
	v_add_f64_e32 v[4:5], 0, v[4:5]
	v_add_f64_e32 v[10:11], 0, v[10:11]
	s_wait_loadcnt 0x0
	s_delay_alu instid0(VALU_DEP_2) | instskip(NEXT) | instid1(VALU_DEP_2)
	v_add_f64_e64 v[8:9], v[24:25], -v[4:5]
	v_add_f64_e64 v[10:11], v[26:27], -v[10:11]
	scratch_store_b128 off, v[8:11], off offset:48
	s_wait_xcnt 0x0
	v_cmpx_lt_u32_e32 2, v1
	s_cbranch_execz .LBB68_39
; %bb.38:
	scratch_load_b128 v[8:11], off, s14
	v_dual_mov_b32 v3, v2 :: v_dual_mov_b32 v4, v2
	v_mov_b32_e32 v5, v2
	scratch_store_b128 off, v[2:5], off offset:32
	s_wait_loadcnt 0x0
	ds_store_b128 v6, v[8:11]
.LBB68_39:
	s_wait_xcnt 0x0
	s_or_b32 exec_lo, exec_lo, s2
	s_wait_storecnt_dscnt 0x0
	s_barrier_signal -1
	s_barrier_wait -1
	s_clause 0x2
	scratch_load_b128 v[8:11], off, off offset:48
	scratch_load_b128 v[24:27], off, off offset:64
	;; [unrolled: 1-line block ×3, first 2 shown]
	ds_load_b128 v[32:35], v2 offset:128
	ds_load_b128 v[2:5], v2 offset:144
	s_mov_b32 s2, exec_lo
	v_dual_ashrrev_i32 v21, 31, v20 :: v_dual_ashrrev_i32 v19, 31, v18
	v_ashrrev_i32_e32 v23, 31, v22
	s_wait_loadcnt_dscnt 0x201
	v_mul_f64_e32 v[12:13], v[34:35], v[10:11]
	v_mul_f64_e32 v[10:11], v[32:33], v[10:11]
	s_wait_loadcnt_dscnt 0x100
	v_mul_f64_e32 v[36:37], v[2:3], v[26:27]
	v_mul_f64_e32 v[26:27], v[4:5], v[26:27]
	s_delay_alu instid0(VALU_DEP_4) | instskip(NEXT) | instid1(VALU_DEP_4)
	v_fma_f64 v[12:13], v[32:33], v[8:9], -v[12:13]
	v_fmac_f64_e32 v[10:11], v[34:35], v[8:9]
	s_delay_alu instid0(VALU_DEP_4) | instskip(NEXT) | instid1(VALU_DEP_4)
	v_fmac_f64_e32 v[36:37], v[4:5], v[24:25]
	v_fma_f64 v[2:3], v[2:3], v[24:25], -v[26:27]
	s_delay_alu instid0(VALU_DEP_4) | instskip(NEXT) | instid1(VALU_DEP_4)
	v_add_f64_e32 v[4:5], 0, v[12:13]
	v_add_f64_e32 v[8:9], 0, v[10:11]
	s_delay_alu instid0(VALU_DEP_2) | instskip(NEXT) | instid1(VALU_DEP_2)
	v_add_f64_e32 v[2:3], v[4:5], v[2:3]
	v_add_f64_e32 v[4:5], v[8:9], v[36:37]
	s_wait_loadcnt 0x0
	s_delay_alu instid0(VALU_DEP_2) | instskip(NEXT) | instid1(VALU_DEP_2)
	v_add_f64_e64 v[2:3], v[28:29], -v[2:3]
	v_add_f64_e64 v[4:5], v[30:31], -v[4:5]
	scratch_store_b128 off, v[2:5], off offset:32
	s_wait_xcnt 0x0
	v_cmpx_lt_u32_e32 1, v1
	s_cbranch_execz .LBB68_41
; %bb.40:
	scratch_load_b128 v[2:5], off, s15
	v_mov_b32_e32 v8, 0
	s_delay_alu instid0(VALU_DEP_1)
	v_dual_mov_b32 v9, v8 :: v_dual_mov_b32 v10, v8
	v_mov_b32_e32 v11, v8
	scratch_store_b128 off, v[8:11], off offset:16
	s_wait_loadcnt 0x0
	ds_store_b128 v6, v[2:5]
.LBB68_41:
	s_wait_xcnt 0x0
	s_or_b32 exec_lo, exec_lo, s2
	s_wait_storecnt_dscnt 0x0
	s_barrier_signal -1
	s_barrier_wait -1
	s_clause 0x3
	scratch_load_b128 v[8:11], off, off offset:32
	scratch_load_b128 v[24:27], off, off offset:48
	;; [unrolled: 1-line block ×4, first 2 shown]
	v_mov_b32_e32 v2, 0
	ds_load_b128 v[36:39], v2 offset:112
	ds_load_b128 v[40:43], v2 offset:128
	s_mov_b32 s2, exec_lo
	s_wait_loadcnt_dscnt 0x301
	v_mul_f64_e32 v[4:5], v[38:39], v[10:11]
	v_mul_f64_e32 v[12:13], v[36:37], v[10:11]
	s_wait_loadcnt_dscnt 0x200
	v_mul_f64_e32 v[44:45], v[40:41], v[26:27]
	v_mul_f64_e32 v[26:27], v[42:43], v[26:27]
	s_delay_alu instid0(VALU_DEP_4) | instskip(NEXT) | instid1(VALU_DEP_4)
	v_fma_f64 v[4:5], v[36:37], v[8:9], -v[4:5]
	v_fmac_f64_e32 v[12:13], v[38:39], v[8:9]
	ds_load_b128 v[8:11], v2 offset:144
	v_fmac_f64_e32 v[44:45], v[42:43], v[24:25]
	v_fma_f64 v[24:25], v[40:41], v[24:25], -v[26:27]
	s_wait_loadcnt_dscnt 0x100
	v_mul_f64_e32 v[36:37], v[8:9], v[30:31]
	v_mul_f64_e32 v[30:31], v[10:11], v[30:31]
	v_add_f64_e32 v[4:5], 0, v[4:5]
	v_add_f64_e32 v[12:13], 0, v[12:13]
	s_delay_alu instid0(VALU_DEP_4) | instskip(NEXT) | instid1(VALU_DEP_4)
	v_fmac_f64_e32 v[36:37], v[10:11], v[28:29]
	v_fma_f64 v[8:9], v[8:9], v[28:29], -v[30:31]
	s_delay_alu instid0(VALU_DEP_4) | instskip(NEXT) | instid1(VALU_DEP_4)
	v_add_f64_e32 v[4:5], v[4:5], v[24:25]
	v_add_f64_e32 v[10:11], v[12:13], v[44:45]
	s_delay_alu instid0(VALU_DEP_2) | instskip(NEXT) | instid1(VALU_DEP_2)
	v_add_f64_e32 v[4:5], v[4:5], v[8:9]
	v_add_f64_e32 v[10:11], v[10:11], v[36:37]
	s_wait_loadcnt 0x0
	s_delay_alu instid0(VALU_DEP_2) | instskip(NEXT) | instid1(VALU_DEP_2)
	v_add_f64_e64 v[8:9], v[32:33], -v[4:5]
	v_add_f64_e64 v[10:11], v[34:35], -v[10:11]
	scratch_store_b128 off, v[8:11], off offset:16
	s_wait_xcnt 0x0
	v_cmpx_ne_u32_e32 0, v1
	s_cbranch_execz .LBB68_43
; %bb.42:
	scratch_load_b128 v[8:11], off, off
	v_dual_mov_b32 v3, v2 :: v_dual_mov_b32 v4, v2
	v_mov_b32_e32 v5, v2
	scratch_store_b128 off, v[2:5], off
	s_wait_loadcnt 0x0
	ds_store_b128 v6, v[8:11]
.LBB68_43:
	s_wait_xcnt 0x0
	s_or_b32 exec_lo, exec_lo, s2
	s_wait_storecnt_dscnt 0x0
	s_barrier_signal -1
	s_barrier_wait -1
	s_clause 0x4
	scratch_load_b128 v[4:7], off, off offset:16
	scratch_load_b128 v[8:11], off, off offset:32
	;; [unrolled: 1-line block ×4, first 2 shown]
	scratch_load_b128 v[32:35], off, off
	ds_load_b128 v[36:39], v2 offset:96
	ds_load_b128 v[40:43], v2 offset:112
	s_and_b32 vcc_lo, exec_lo, s16
	s_wait_loadcnt_dscnt 0x401
	v_mul_f64_e32 v[12:13], v[38:39], v[6:7]
	v_mul_f64_e32 v[44:45], v[36:37], v[6:7]
	s_wait_loadcnt_dscnt 0x300
	v_mul_f64_e32 v[46:47], v[40:41], v[10:11]
	v_mul_f64_e32 v[48:49], v[42:43], v[10:11]
	s_delay_alu instid0(VALU_DEP_4) | instskip(NEXT) | instid1(VALU_DEP_4)
	v_fma_f64 v[36:37], v[36:37], v[4:5], -v[12:13]
	v_fmac_f64_e32 v[44:45], v[38:39], v[4:5]
	ds_load_b128 v[4:7], v2 offset:128
	ds_load_b128 v[10:13], v2 offset:144
	v_fmac_f64_e32 v[46:47], v[42:43], v[8:9]
	v_fma_f64 v[8:9], v[40:41], v[8:9], -v[48:49]
	s_wait_loadcnt_dscnt 0x201
	v_mul_f64_e32 v[2:3], v[4:5], v[26:27]
	v_mul_f64_e32 v[26:27], v[6:7], v[26:27]
	s_wait_loadcnt_dscnt 0x100
	v_mul_f64_e32 v[40:41], v[10:11], v[30:31]
	v_mul_f64_e32 v[30:31], v[12:13], v[30:31]
	v_add_f64_e32 v[36:37], 0, v[36:37]
	v_add_f64_e32 v[38:39], 0, v[44:45]
	v_fmac_f64_e32 v[2:3], v[6:7], v[24:25]
	v_fma_f64 v[4:5], v[4:5], v[24:25], -v[26:27]
	v_fmac_f64_e32 v[40:41], v[12:13], v[28:29]
	v_fma_f64 v[10:11], v[10:11], v[28:29], -v[30:31]
	v_add_f64_e32 v[6:7], v[36:37], v[8:9]
	v_add_f64_e32 v[8:9], v[38:39], v[46:47]
	s_delay_alu instid0(VALU_DEP_2) | instskip(NEXT) | instid1(VALU_DEP_2)
	v_add_f64_e32 v[4:5], v[6:7], v[4:5]
	v_add_f64_e32 v[2:3], v[8:9], v[2:3]
	v_lshl_add_u64 v[6:7], v[18:19], 4, s[4:5]
	s_delay_alu instid0(VALU_DEP_3) | instskip(NEXT) | instid1(VALU_DEP_3)
	v_add_f64_e32 v[4:5], v[4:5], v[10:11]
	v_add_f64_e32 v[2:3], v[2:3], v[40:41]
	s_wait_loadcnt 0x0
	s_delay_alu instid0(VALU_DEP_2) | instskip(NEXT) | instid1(VALU_DEP_2)
	v_add_f64_e64 v[8:9], v[32:33], -v[4:5]
	v_add_f64_e64 v[10:11], v[34:35], -v[2:3]
	v_lshl_add_u64 v[4:5], v[20:21], 4, s[4:5]
	v_lshl_add_u64 v[2:3], v[22:23], 4, s[4:5]
	scratch_store_b128 off, v[8:11], off
	s_cbranch_vccz .LBB68_52
; %bb.44:
	s_wait_xcnt 0x0
	v_mov_b32_e32 v8, 0
	s_load_b64 s[2:3], s[0:1], 0x4
	v_bfe_u32 v10, v0, 10, 10
	v_bfe_u32 v0, v0, 20, 10
	global_load_b32 v9, v8, s[8:9] offset:12
	s_wait_kmcnt 0x0
	s_lshr_b32 s0, s2, 16
	v_mul_u32_u24_e32 v10, s3, v10
	s_mul_i32 s0, s0, s3
	s_delay_alu instid0(SALU_CYCLE_1) | instskip(NEXT) | instid1(VALU_DEP_1)
	v_mul_u32_u24_e32 v1, s0, v1
	v_add3_u32 v0, v1, v10, v0
	s_delay_alu instid0(VALU_DEP_1)
	v_lshl_add_u32 v0, v0, 4, 0xa8
	s_wait_loadcnt 0x0
	v_cmp_ne_u32_e32 vcc_lo, 4, v9
	s_cbranch_vccz .LBB68_46
; %bb.45:
	v_lshlrev_b32_e32 v1, 4, v9
	s_clause 0x1
	scratch_load_b128 v[10:13], off, s13
	scratch_load_b128 v[18:21], v1, off offset:-16
	s_wait_loadcnt 0x1
	ds_store_2addr_b64 v0, v[10:11], v[12:13] offset1:1
	s_wait_loadcnt 0x0
	s_clause 0x1
	scratch_store_b128 off, v[18:21], s13
	scratch_store_b128 v1, v[10:13], off offset:-16
.LBB68_46:
	global_load_b32 v1, v8, s[8:9] offset:8
	s_wait_loadcnt 0x0
	v_cmp_eq_u32_e32 vcc_lo, 3, v1
	s_cbranch_vccnz .LBB68_48
; %bb.47:
	v_lshlrev_b32_e32 v1, 4, v1
	s_clause 0x1
	scratch_load_b128 v[8:11], off, s14
	scratch_load_b128 v[18:21], v1, off offset:-16
	s_wait_loadcnt 0x1
	ds_store_2addr_b64 v0, v[8:9], v[10:11] offset1:1
	s_wait_loadcnt 0x0
	s_clause 0x1
	scratch_store_b128 off, v[18:21], s14
	scratch_store_b128 v1, v[8:11], off offset:-16
.LBB68_48:
	s_wait_xcnt 0x0
	v_mov_b32_e32 v1, 0
	global_load_b32 v8, v1, s[8:9] offset:4
	s_wait_loadcnt 0x0
	v_cmp_eq_u32_e32 vcc_lo, 2, v8
	s_cbranch_vccnz .LBB68_50
; %bb.49:
	v_lshlrev_b32_e32 v8, 4, v8
	s_delay_alu instid0(VALU_DEP_1)
	v_mov_b32_e32 v12, v8
	s_clause 0x1
	scratch_load_b128 v[8:11], off, s15
	scratch_load_b128 v[18:21], v12, off offset:-16
	s_wait_loadcnt 0x1
	ds_store_2addr_b64 v0, v[8:9], v[10:11] offset1:1
	s_wait_loadcnt 0x0
	s_clause 0x1
	scratch_store_b128 off, v[18:21], s15
	scratch_store_b128 v12, v[8:11], off offset:-16
.LBB68_50:
	global_load_b32 v1, v1, s[8:9]
	s_wait_loadcnt 0x0
	v_cmp_eq_u32_e32 vcc_lo, 1, v1
	s_cbranch_vccnz .LBB68_52
; %bb.51:
	s_wait_xcnt 0x0
	v_lshlrev_b32_e32 v1, 4, v1
	scratch_load_b128 v[8:11], off, off
	scratch_load_b128 v[18:21], v1, off offset:-16
	s_wait_loadcnt 0x1
	ds_store_2addr_b64 v0, v[8:9], v[10:11] offset1:1
	s_wait_loadcnt 0x0
	scratch_store_b128 off, v[18:21], off
	scratch_store_b128 v1, v[8:11], off offset:-16
.LBB68_52:
	scratch_load_b128 v[8:11], off, off
	s_wait_loadcnt 0x0
	flat_store_b128 v[14:15], v[8:11]
	scratch_load_b128 v[8:11], off, s15
	s_wait_loadcnt 0x0
	flat_store_b128 v[16:17], v[8:11]
	scratch_load_b128 v[8:11], off, s14
	;; [unrolled: 3-line block ×4, first 2 shown]
	s_wait_loadcnt 0x0
	flat_store_b128 v[2:3], v[4:7]
	s_endpgm
	.section	.rodata,"a",@progbits
	.p2align	6, 0x0
	.amdhsa_kernel _ZN9rocsolver6v33100L18getri_kernel_smallILi5E19rocblas_complex_numIdEPKPS3_EEvT1_iilPiilS8_bb
		.amdhsa_group_segment_fixed_size 1192
		.amdhsa_private_segment_fixed_size 96
		.amdhsa_kernarg_size 60
		.amdhsa_user_sgpr_count 4
		.amdhsa_user_sgpr_dispatch_ptr 1
		.amdhsa_user_sgpr_queue_ptr 0
		.amdhsa_user_sgpr_kernarg_segment_ptr 1
		.amdhsa_user_sgpr_dispatch_id 0
		.amdhsa_user_sgpr_kernarg_preload_length 0
		.amdhsa_user_sgpr_kernarg_preload_offset 0
		.amdhsa_user_sgpr_private_segment_size 0
		.amdhsa_wavefront_size32 1
		.amdhsa_uses_dynamic_stack 0
		.amdhsa_enable_private_segment 1
		.amdhsa_system_sgpr_workgroup_id_x 1
		.amdhsa_system_sgpr_workgroup_id_y 0
		.amdhsa_system_sgpr_workgroup_id_z 0
		.amdhsa_system_sgpr_workgroup_info 0
		.amdhsa_system_vgpr_workitem_id 2
		.amdhsa_next_free_vgpr 50
		.amdhsa_next_free_sgpr 23
		.amdhsa_named_barrier_count 0
		.amdhsa_reserve_vcc 1
		.amdhsa_float_round_mode_32 0
		.amdhsa_float_round_mode_16_64 0
		.amdhsa_float_denorm_mode_32 3
		.amdhsa_float_denorm_mode_16_64 3
		.amdhsa_fp16_overflow 0
		.amdhsa_memory_ordered 1
		.amdhsa_forward_progress 1
		.amdhsa_inst_pref_size 33
		.amdhsa_round_robin_scheduling 0
		.amdhsa_exception_fp_ieee_invalid_op 0
		.amdhsa_exception_fp_denorm_src 0
		.amdhsa_exception_fp_ieee_div_zero 0
		.amdhsa_exception_fp_ieee_overflow 0
		.amdhsa_exception_fp_ieee_underflow 0
		.amdhsa_exception_fp_ieee_inexact 0
		.amdhsa_exception_int_div_zero 0
	.end_amdhsa_kernel
	.section	.text._ZN9rocsolver6v33100L18getri_kernel_smallILi5E19rocblas_complex_numIdEPKPS3_EEvT1_iilPiilS8_bb,"axG",@progbits,_ZN9rocsolver6v33100L18getri_kernel_smallILi5E19rocblas_complex_numIdEPKPS3_EEvT1_iilPiilS8_bb,comdat
.Lfunc_end68:
	.size	_ZN9rocsolver6v33100L18getri_kernel_smallILi5E19rocblas_complex_numIdEPKPS3_EEvT1_iilPiilS8_bb, .Lfunc_end68-_ZN9rocsolver6v33100L18getri_kernel_smallILi5E19rocblas_complex_numIdEPKPS3_EEvT1_iilPiilS8_bb
                                        ; -- End function
	.set _ZN9rocsolver6v33100L18getri_kernel_smallILi5E19rocblas_complex_numIdEPKPS3_EEvT1_iilPiilS8_bb.num_vgpr, 50
	.set _ZN9rocsolver6v33100L18getri_kernel_smallILi5E19rocblas_complex_numIdEPKPS3_EEvT1_iilPiilS8_bb.num_agpr, 0
	.set _ZN9rocsolver6v33100L18getri_kernel_smallILi5E19rocblas_complex_numIdEPKPS3_EEvT1_iilPiilS8_bb.numbered_sgpr, 23
	.set _ZN9rocsolver6v33100L18getri_kernel_smallILi5E19rocblas_complex_numIdEPKPS3_EEvT1_iilPiilS8_bb.num_named_barrier, 0
	.set _ZN9rocsolver6v33100L18getri_kernel_smallILi5E19rocblas_complex_numIdEPKPS3_EEvT1_iilPiilS8_bb.private_seg_size, 96
	.set _ZN9rocsolver6v33100L18getri_kernel_smallILi5E19rocblas_complex_numIdEPKPS3_EEvT1_iilPiilS8_bb.uses_vcc, 1
	.set _ZN9rocsolver6v33100L18getri_kernel_smallILi5E19rocblas_complex_numIdEPKPS3_EEvT1_iilPiilS8_bb.uses_flat_scratch, 1
	.set _ZN9rocsolver6v33100L18getri_kernel_smallILi5E19rocblas_complex_numIdEPKPS3_EEvT1_iilPiilS8_bb.has_dyn_sized_stack, 0
	.set _ZN9rocsolver6v33100L18getri_kernel_smallILi5E19rocblas_complex_numIdEPKPS3_EEvT1_iilPiilS8_bb.has_recursion, 0
	.set _ZN9rocsolver6v33100L18getri_kernel_smallILi5E19rocblas_complex_numIdEPKPS3_EEvT1_iilPiilS8_bb.has_indirect_call, 0
	.section	.AMDGPU.csdata,"",@progbits
; Kernel info:
; codeLenInByte = 4152
; TotalNumSgprs: 25
; NumVgprs: 50
; ScratchSize: 96
; MemoryBound: 0
; FloatMode: 240
; IeeeMode: 1
; LDSByteSize: 1192 bytes/workgroup (compile time only)
; SGPRBlocks: 0
; VGPRBlocks: 3
; NumSGPRsForWavesPerEU: 25
; NumVGPRsForWavesPerEU: 50
; NamedBarCnt: 0
; Occupancy: 16
; WaveLimiterHint : 1
; COMPUTE_PGM_RSRC2:SCRATCH_EN: 1
; COMPUTE_PGM_RSRC2:USER_SGPR: 4
; COMPUTE_PGM_RSRC2:TRAP_HANDLER: 0
; COMPUTE_PGM_RSRC2:TGID_X_EN: 1
; COMPUTE_PGM_RSRC2:TGID_Y_EN: 0
; COMPUTE_PGM_RSRC2:TGID_Z_EN: 0
; COMPUTE_PGM_RSRC2:TIDIG_COMP_CNT: 2
	.section	.text._ZN9rocsolver6v33100L18getri_kernel_smallILi6E19rocblas_complex_numIdEPKPS3_EEvT1_iilPiilS8_bb,"axG",@progbits,_ZN9rocsolver6v33100L18getri_kernel_smallILi6E19rocblas_complex_numIdEPKPS3_EEvT1_iilPiilS8_bb,comdat
	.globl	_ZN9rocsolver6v33100L18getri_kernel_smallILi6E19rocblas_complex_numIdEPKPS3_EEvT1_iilPiilS8_bb ; -- Begin function _ZN9rocsolver6v33100L18getri_kernel_smallILi6E19rocblas_complex_numIdEPKPS3_EEvT1_iilPiilS8_bb
	.p2align	8
	.type	_ZN9rocsolver6v33100L18getri_kernel_smallILi6E19rocblas_complex_numIdEPKPS3_EEvT1_iilPiilS8_bb,@function
_ZN9rocsolver6v33100L18getri_kernel_smallILi6E19rocblas_complex_numIdEPKPS3_EEvT1_iilPiilS8_bb: ; @_ZN9rocsolver6v33100L18getri_kernel_smallILi6E19rocblas_complex_numIdEPKPS3_EEvT1_iilPiilS8_bb
; %bb.0:
	v_and_b32_e32 v1, 0x3ff, v0
	s_mov_b32 s4, exec_lo
	s_delay_alu instid0(VALU_DEP_1)
	v_cmpx_gt_u32_e32 6, v1
	s_cbranch_execz .LBB69_38
; %bb.1:
	s_clause 0x1
	s_load_b32 s14, s[2:3], 0x38
	s_load_b64 s[8:9], s[2:3], 0x0
	s_getreg_b32 s6, hwreg(HW_REG_IB_STS2, 6, 4)
	s_wait_kmcnt 0x0
	s_bitcmp1_b32 s14, 8
	s_cselect_b32 s17, -1, 0
	s_bfe_u32 s4, ttmp6, 0x4000c
	s_and_b32 s5, ttmp6, 15
	s_add_co_i32 s4, s4, 1
	s_delay_alu instid0(SALU_CYCLE_1) | instskip(NEXT) | instid1(SALU_CYCLE_1)
	s_mul_i32 s4, ttmp9, s4
	s_add_co_i32 s5, s5, s4
	s_cmp_eq_u32 s6, 0
	s_cselect_b32 s10, ttmp9, s5
	s_load_b128 s[4:7], s[2:3], 0x28
	s_ashr_i32 s11, s10, 31
	s_delay_alu instid0(SALU_CYCLE_1) | instskip(NEXT) | instid1(SALU_CYCLE_1)
	s_lshl_b64 s[12:13], s[10:11], 3
	s_add_nc_u64 s[8:9], s[8:9], s[12:13]
	s_load_b64 s[12:13], s[8:9], 0x0
	s_wait_xcnt 0x0
	s_bfe_u32 s8, s14, 0x10008
	s_delay_alu instid0(SALU_CYCLE_1)
	s_cmp_eq_u32 s8, 0
                                        ; implicit-def: $sgpr8_sgpr9
	s_cbranch_scc1 .LBB69_3
; %bb.2:
	s_load_b96 s[20:22], s[2:3], 0x18
	s_wait_kmcnt 0x0
	s_mul_u64 s[4:5], s[4:5], s[10:11]
	s_delay_alu instid0(SALU_CYCLE_1) | instskip(SKIP_4) | instid1(SALU_CYCLE_1)
	s_lshl_b64 s[4:5], s[4:5], 2
	s_ashr_i32 s9, s22, 31
	s_mov_b32 s8, s22
	s_add_nc_u64 s[4:5], s[20:21], s[4:5]
	s_lshl_b64 s[8:9], s[8:9], 2
	s_add_nc_u64 s[8:9], s[4:5], s[8:9]
.LBB69_3:
	s_clause 0x1
	s_load_b64 s[14:15], s[2:3], 0x8
	s_load_b32 s18, s[2:3], 0x38
	v_dual_mov_b32 v27, 0 :: v_dual_lshlrev_b32 v26, 4, v1
	s_mov_b32 s16, 16
	s_wait_kmcnt 0x0
	s_ashr_i32 s3, s14, 31
	s_mov_b32 s2, s14
	v_add3_u32 v18, s15, s15, v1
	s_lshl_b64 s[2:3], s[2:3], 4
	s_mov_b32 s14, 64
	s_add_nc_u64 s[4:5], s[12:13], s[2:3]
	s_ashr_i32 s3, s15, 31
	flat_load_b128 v[2:5], v1, s[4:5] scale_offset
	v_add_nc_u64_e32 v[14:15], s[4:5], v[26:27]
	s_mov_b32 s2, s15
	v_add_nc_u32_e32 v20, s15, v18
	s_mov_b32 s13, 48
	s_movk_i32 s12, 0x50
	s_bitcmp0_b32 s18, 0
	s_delay_alu instid0(VALU_DEP_2) | instskip(SKIP_2) | instid1(VALU_DEP_1)
	v_lshl_add_u64 v[16:17], s[2:3], 4, v[14:15]
	v_add_nc_u32_e32 v22, s15, v20
	s_mov_b32 s3, -1
	v_add_nc_u32_e32 v24, s15, v22
	s_mov_b32 s15, 32
	s_wait_loadcnt_dscnt 0x0
	scratch_store_b128 off, v[2:5], off
	flat_load_b128 v[2:5], v[16:17]
	s_wait_loadcnt_dscnt 0x0
	scratch_store_b128 off, v[2:5], off offset:16
	flat_load_b128 v[2:5], v18, s[4:5] scale_offset
	s_wait_loadcnt_dscnt 0x0
	scratch_store_b128 off, v[2:5], off offset:32
	flat_load_b128 v[2:5], v20, s[4:5] scale_offset
	;; [unrolled: 3-line block ×4, first 2 shown]
	s_wait_loadcnt_dscnt 0x0
	scratch_store_b128 off, v[2:5], off offset:80
	s_cbranch_scc1 .LBB69_36
; %bb.4:
	v_cmp_eq_u32_e64 s2, 0, v1
	s_wait_xcnt 0x0
	s_and_saveexec_b32 s3, s2
; %bb.5:
	v_mov_b32_e32 v2, 0
	ds_store_b32 v2, v2 offset:192
; %bb.6:
	s_or_b32 exec_lo, exec_lo, s3
	s_wait_storecnt_dscnt 0x0
	s_barrier_signal -1
	s_barrier_wait -1
	scratch_load_b128 v[2:5], v1, off scale_offset
	s_wait_loadcnt 0x0
	v_cmp_eq_f64_e32 vcc_lo, 0, v[2:3]
	v_cmp_eq_f64_e64 s3, 0, v[4:5]
	s_and_b32 s3, vcc_lo, s3
	s_delay_alu instid0(SALU_CYCLE_1)
	s_and_saveexec_b32 s18, s3
	s_cbranch_execz .LBB69_10
; %bb.7:
	v_mov_b32_e32 v2, 0
	s_mov_b32 s19, 0
	ds_load_b32 v3, v2 offset:192
	s_wait_dscnt 0x0
	v_readfirstlane_b32 s3, v3
	v_add_nc_u32_e32 v3, 1, v1
	s_cmp_eq_u32 s3, 0
	s_delay_alu instid0(VALU_DEP_1) | instskip(SKIP_1) | instid1(SALU_CYCLE_1)
	v_cmp_gt_i32_e32 vcc_lo, s3, v3
	s_cselect_b32 s20, -1, 0
	s_or_b32 s20, s20, vcc_lo
	s_delay_alu instid0(SALU_CYCLE_1)
	s_and_b32 exec_lo, exec_lo, s20
	s_cbranch_execz .LBB69_10
; %bb.8:
	v_mov_b32_e32 v4, s3
.LBB69_9:                               ; =>This Inner Loop Header: Depth=1
	ds_cmpstore_rtn_b32 v4, v2, v3, v4 offset:192
	s_wait_dscnt 0x0
	v_cmp_ne_u32_e32 vcc_lo, 0, v4
	v_cmp_le_i32_e64 s3, v4, v3
	s_and_b32 s3, vcc_lo, s3
	s_delay_alu instid0(SALU_CYCLE_1) | instskip(NEXT) | instid1(SALU_CYCLE_1)
	s_and_b32 s3, exec_lo, s3
	s_or_b32 s19, s3, s19
	s_delay_alu instid0(SALU_CYCLE_1)
	s_and_not1_b32 exec_lo, exec_lo, s19
	s_cbranch_execnz .LBB69_9
.LBB69_10:
	s_or_b32 exec_lo, exec_lo, s18
	v_mov_b32_e32 v2, 0
	s_barrier_signal -1
	s_barrier_wait -1
	ds_load_b32 v3, v2 offset:192
	s_and_saveexec_b32 s3, s2
	s_cbranch_execz .LBB69_12
; %bb.11:
	s_lshl_b64 s[18:19], s[10:11], 2
	s_delay_alu instid0(SALU_CYCLE_1)
	s_add_nc_u64 s[18:19], s[6:7], s[18:19]
	s_wait_dscnt 0x0
	global_store_b32 v2, v3, s[18:19]
.LBB69_12:
	s_wait_xcnt 0x0
	s_or_b32 exec_lo, exec_lo, s3
	s_wait_dscnt 0x0
	v_cmp_ne_u32_e32 vcc_lo, 0, v3
	s_mov_b32 s3, 0
	s_cbranch_vccnz .LBB69_36
; %bb.13:
	v_lshl_add_u32 v19, v1, 4, 0
                                        ; implicit-def: $vgpr6_vgpr7
                                        ; implicit-def: $vgpr10_vgpr11
	scratch_load_b128 v[2:5], v19, off
	s_wait_loadcnt 0x0
	v_cmp_ngt_f64_e64 s3, |v[2:3]|, |v[4:5]|
	s_wait_xcnt 0x0
	s_and_saveexec_b32 s18, s3
	s_delay_alu instid0(SALU_CYCLE_1)
	s_xor_b32 s3, exec_lo, s18
	s_cbranch_execz .LBB69_15
; %bb.14:
	v_div_scale_f64 v[6:7], null, v[4:5], v[4:5], v[2:3]
	v_div_scale_f64 v[12:13], vcc_lo, v[2:3], v[4:5], v[2:3]
	s_delay_alu instid0(VALU_DEP_2) | instskip(SKIP_1) | instid1(TRANS32_DEP_1)
	v_rcp_f64_e32 v[8:9], v[6:7]
	v_nop
	v_fma_f64 v[10:11], -v[6:7], v[8:9], 1.0
	s_delay_alu instid0(VALU_DEP_1) | instskip(NEXT) | instid1(VALU_DEP_1)
	v_fmac_f64_e32 v[8:9], v[8:9], v[10:11]
	v_fma_f64 v[10:11], -v[6:7], v[8:9], 1.0
	s_delay_alu instid0(VALU_DEP_1) | instskip(NEXT) | instid1(VALU_DEP_1)
	v_fmac_f64_e32 v[8:9], v[8:9], v[10:11]
	v_mul_f64_e32 v[10:11], v[12:13], v[8:9]
	s_delay_alu instid0(VALU_DEP_1) | instskip(NEXT) | instid1(VALU_DEP_1)
	v_fma_f64 v[6:7], -v[6:7], v[10:11], v[12:13]
	v_div_fmas_f64 v[6:7], v[6:7], v[8:9], v[10:11]
	s_delay_alu instid0(VALU_DEP_1) | instskip(NEXT) | instid1(VALU_DEP_1)
	v_div_fixup_f64 v[6:7], v[6:7], v[4:5], v[2:3]
	v_fmac_f64_e32 v[4:5], v[2:3], v[6:7]
	s_delay_alu instid0(VALU_DEP_1) | instskip(SKIP_1) | instid1(VALU_DEP_2)
	v_div_scale_f64 v[2:3], null, v[4:5], v[4:5], 1.0
	v_div_scale_f64 v[12:13], vcc_lo, 1.0, v[4:5], 1.0
	v_rcp_f64_e32 v[8:9], v[2:3]
	v_nop
	s_delay_alu instid0(TRANS32_DEP_1) | instskip(NEXT) | instid1(VALU_DEP_1)
	v_fma_f64 v[10:11], -v[2:3], v[8:9], 1.0
	v_fmac_f64_e32 v[8:9], v[8:9], v[10:11]
	s_delay_alu instid0(VALU_DEP_1) | instskip(NEXT) | instid1(VALU_DEP_1)
	v_fma_f64 v[10:11], -v[2:3], v[8:9], 1.0
	v_fmac_f64_e32 v[8:9], v[8:9], v[10:11]
	s_delay_alu instid0(VALU_DEP_1) | instskip(NEXT) | instid1(VALU_DEP_1)
	v_mul_f64_e32 v[10:11], v[12:13], v[8:9]
	v_fma_f64 v[2:3], -v[2:3], v[10:11], v[12:13]
	s_delay_alu instid0(VALU_DEP_1) | instskip(NEXT) | instid1(VALU_DEP_1)
	v_div_fmas_f64 v[2:3], v[2:3], v[8:9], v[10:11]
	v_div_fixup_f64 v[8:9], v[2:3], v[4:5], 1.0
                                        ; implicit-def: $vgpr2_vgpr3
	s_delay_alu instid0(VALU_DEP_1) | instskip(SKIP_1) | instid1(VALU_DEP_2)
	v_mul_f64_e32 v[6:7], v[6:7], v[8:9]
	v_xor_b32_e32 v9, 0x80000000, v9
	v_xor_b32_e32 v11, 0x80000000, v7
	s_delay_alu instid0(VALU_DEP_3)
	v_mov_b32_e32 v10, v6
.LBB69_15:
	s_and_not1_saveexec_b32 s3, s3
	s_cbranch_execz .LBB69_17
; %bb.16:
	v_div_scale_f64 v[6:7], null, v[2:3], v[2:3], v[4:5]
	v_div_scale_f64 v[12:13], vcc_lo, v[4:5], v[2:3], v[4:5]
	s_delay_alu instid0(VALU_DEP_2) | instskip(SKIP_1) | instid1(TRANS32_DEP_1)
	v_rcp_f64_e32 v[8:9], v[6:7]
	v_nop
	v_fma_f64 v[10:11], -v[6:7], v[8:9], 1.0
	s_delay_alu instid0(VALU_DEP_1) | instskip(NEXT) | instid1(VALU_DEP_1)
	v_fmac_f64_e32 v[8:9], v[8:9], v[10:11]
	v_fma_f64 v[10:11], -v[6:7], v[8:9], 1.0
	s_delay_alu instid0(VALU_DEP_1) | instskip(NEXT) | instid1(VALU_DEP_1)
	v_fmac_f64_e32 v[8:9], v[8:9], v[10:11]
	v_mul_f64_e32 v[10:11], v[12:13], v[8:9]
	s_delay_alu instid0(VALU_DEP_1) | instskip(NEXT) | instid1(VALU_DEP_1)
	v_fma_f64 v[6:7], -v[6:7], v[10:11], v[12:13]
	v_div_fmas_f64 v[6:7], v[6:7], v[8:9], v[10:11]
	s_delay_alu instid0(VALU_DEP_1) | instskip(NEXT) | instid1(VALU_DEP_1)
	v_div_fixup_f64 v[8:9], v[6:7], v[2:3], v[4:5]
	v_fmac_f64_e32 v[2:3], v[4:5], v[8:9]
	s_delay_alu instid0(VALU_DEP_1) | instskip(NEXT) | instid1(VALU_DEP_1)
	v_div_scale_f64 v[4:5], null, v[2:3], v[2:3], 1.0
	v_rcp_f64_e32 v[6:7], v[4:5]
	v_nop
	s_delay_alu instid0(TRANS32_DEP_1) | instskip(NEXT) | instid1(VALU_DEP_1)
	v_fma_f64 v[10:11], -v[4:5], v[6:7], 1.0
	v_fmac_f64_e32 v[6:7], v[6:7], v[10:11]
	s_delay_alu instid0(VALU_DEP_1) | instskip(NEXT) | instid1(VALU_DEP_1)
	v_fma_f64 v[10:11], -v[4:5], v[6:7], 1.0
	v_fmac_f64_e32 v[6:7], v[6:7], v[10:11]
	v_div_scale_f64 v[10:11], vcc_lo, 1.0, v[2:3], 1.0
	s_delay_alu instid0(VALU_DEP_1) | instskip(NEXT) | instid1(VALU_DEP_1)
	v_mul_f64_e32 v[12:13], v[10:11], v[6:7]
	v_fma_f64 v[4:5], -v[4:5], v[12:13], v[10:11]
	s_delay_alu instid0(VALU_DEP_1) | instskip(NEXT) | instid1(VALU_DEP_1)
	v_div_fmas_f64 v[4:5], v[4:5], v[6:7], v[12:13]
	v_div_fixup_f64 v[6:7], v[4:5], v[2:3], 1.0
	s_delay_alu instid0(VALU_DEP_1)
	v_mul_f64_e64 v[8:9], v[8:9], -v[6:7]
	v_xor_b32_e32 v11, 0x80000000, v7
	v_mov_b32_e32 v10, v6
.LBB69_17:
	s_or_b32 exec_lo, exec_lo, s3
	s_clause 0x1
	scratch_store_b128 v19, v[6:9], off
	scratch_load_b128 v[2:5], off, s16
	v_xor_b32_e32 v13, 0x80000000, v9
	v_mov_b32_e32 v12, v8
	s_wait_xcnt 0x1
	v_add_nc_u32_e32 v6, 0x60, v26
	ds_store_b128 v26, v[10:13]
	s_wait_loadcnt 0x0
	ds_store_b128 v26, v[2:5] offset:96
	s_wait_storecnt_dscnt 0x0
	s_barrier_signal -1
	s_barrier_wait -1
	s_wait_xcnt 0x0
	s_and_saveexec_b32 s3, s2
	s_cbranch_execz .LBB69_19
; %bb.18:
	scratch_load_b128 v[2:5], v19, off
	ds_load_b128 v[8:11], v6
	v_mov_b32_e32 v7, 0
	ds_load_b128 v[28:31], v7 offset:16
	s_wait_loadcnt_dscnt 0x1
	v_mul_f64_e32 v[12:13], v[8:9], v[4:5]
	v_mul_f64_e32 v[4:5], v[10:11], v[4:5]
	s_delay_alu instid0(VALU_DEP_2) | instskip(NEXT) | instid1(VALU_DEP_2)
	v_fmac_f64_e32 v[12:13], v[10:11], v[2:3]
	v_fma_f64 v[2:3], v[8:9], v[2:3], -v[4:5]
	s_delay_alu instid0(VALU_DEP_2) | instskip(NEXT) | instid1(VALU_DEP_2)
	v_add_f64_e32 v[8:9], 0, v[12:13]
	v_add_f64_e32 v[2:3], 0, v[2:3]
	s_wait_dscnt 0x0
	s_delay_alu instid0(VALU_DEP_2) | instskip(NEXT) | instid1(VALU_DEP_2)
	v_mul_f64_e32 v[10:11], v[8:9], v[30:31]
	v_mul_f64_e32 v[4:5], v[2:3], v[30:31]
	s_delay_alu instid0(VALU_DEP_2) | instskip(NEXT) | instid1(VALU_DEP_2)
	v_fma_f64 v[2:3], v[2:3], v[28:29], -v[10:11]
	v_fmac_f64_e32 v[4:5], v[8:9], v[28:29]
	scratch_store_b128 off, v[2:5], off offset:16
.LBB69_19:
	s_wait_xcnt 0x0
	s_or_b32 exec_lo, exec_lo, s3
	s_wait_storecnt 0x0
	s_barrier_signal -1
	s_barrier_wait -1
	scratch_load_b128 v[2:5], off, s15
	s_mov_b32 s3, exec_lo
	s_wait_loadcnt 0x0
	ds_store_b128 v6, v[2:5]
	s_wait_dscnt 0x0
	s_barrier_signal -1
	s_barrier_wait -1
	v_cmpx_gt_u32_e32 2, v1
	s_cbranch_execz .LBB69_23
; %bb.20:
	scratch_load_b128 v[2:5], v19, off
	ds_load_b128 v[8:11], v6
	s_wait_loadcnt_dscnt 0x0
	v_mul_f64_e32 v[12:13], v[10:11], v[4:5]
	v_mul_f64_e32 v[28:29], v[8:9], v[4:5]
	s_delay_alu instid0(VALU_DEP_2) | instskip(NEXT) | instid1(VALU_DEP_2)
	v_fma_f64 v[4:5], v[8:9], v[2:3], -v[12:13]
	v_fmac_f64_e32 v[28:29], v[10:11], v[2:3]
	s_delay_alu instid0(VALU_DEP_2) | instskip(NEXT) | instid1(VALU_DEP_2)
	v_add_f64_e32 v[4:5], 0, v[4:5]
	v_add_f64_e32 v[2:3], 0, v[28:29]
	s_and_saveexec_b32 s18, s2
	s_cbranch_execz .LBB69_22
; %bb.21:
	scratch_load_b128 v[8:11], off, off offset:16
	v_mov_b32_e32 v7, 0
	ds_load_b128 v[28:31], v7 offset:112
	s_wait_loadcnt_dscnt 0x0
	v_mul_f64_e32 v[12:13], v[28:29], v[10:11]
	v_mul_f64_e32 v[10:11], v[30:31], v[10:11]
	s_delay_alu instid0(VALU_DEP_2) | instskip(NEXT) | instid1(VALU_DEP_2)
	v_fmac_f64_e32 v[12:13], v[30:31], v[8:9]
	v_fma_f64 v[8:9], v[28:29], v[8:9], -v[10:11]
	s_delay_alu instid0(VALU_DEP_2) | instskip(NEXT) | instid1(VALU_DEP_2)
	v_add_f64_e32 v[2:3], v[2:3], v[12:13]
	v_add_f64_e32 v[4:5], v[4:5], v[8:9]
.LBB69_22:
	s_or_b32 exec_lo, exec_lo, s18
	v_mov_b32_e32 v7, 0
	ds_load_b128 v[8:11], v7 offset:32
	s_wait_dscnt 0x0
	v_mul_f64_e32 v[28:29], v[2:3], v[10:11]
	v_mul_f64_e32 v[12:13], v[4:5], v[10:11]
	s_delay_alu instid0(VALU_DEP_2) | instskip(NEXT) | instid1(VALU_DEP_2)
	v_fma_f64 v[10:11], v[4:5], v[8:9], -v[28:29]
	v_fmac_f64_e32 v[12:13], v[2:3], v[8:9]
	scratch_store_b128 off, v[10:13], off offset:32
.LBB69_23:
	s_wait_xcnt 0x0
	s_or_b32 exec_lo, exec_lo, s3
	s_wait_storecnt 0x0
	s_barrier_signal -1
	s_barrier_wait -1
	scratch_load_b128 v[2:5], off, s13
	v_add_nc_u32_e32 v7, -1, v1
	s_mov_b32 s2, exec_lo
	s_wait_loadcnt 0x0
	ds_store_b128 v6, v[2:5]
	s_wait_dscnt 0x0
	s_barrier_signal -1
	s_barrier_wait -1
	v_cmpx_gt_u32_e32 3, v1
	s_cbranch_execz .LBB69_27
; %bb.24:
	v_dual_mov_b32 v10, v26 :: v_dual_add_nc_u32 v8, -1, v1
	v_mov_b64_e32 v[2:3], 0
	v_mov_b64_e32 v[4:5], 0
	v_add_nc_u32_e32 v9, 0x60, v26
	s_delay_alu instid0(VALU_DEP_4)
	v_or_b32_e32 v10, 8, v10
	s_mov_b32 s3, 0
.LBB69_25:                              ; =>This Inner Loop Header: Depth=1
	scratch_load_b128 v[28:31], v10, off offset:-8
	ds_load_b128 v[32:35], v9
	v_dual_add_nc_u32 v8, 1, v8 :: v_dual_add_nc_u32 v9, 16, v9
	s_wait_xcnt 0x0
	v_add_nc_u32_e32 v10, 16, v10
	s_delay_alu instid0(VALU_DEP_2) | instskip(SKIP_4) | instid1(VALU_DEP_2)
	v_cmp_lt_u32_e32 vcc_lo, 1, v8
	s_or_b32 s3, vcc_lo, s3
	s_wait_loadcnt_dscnt 0x0
	v_mul_f64_e32 v[12:13], v[34:35], v[30:31]
	v_mul_f64_e32 v[30:31], v[32:33], v[30:31]
	v_fma_f64 v[12:13], v[32:33], v[28:29], -v[12:13]
	s_delay_alu instid0(VALU_DEP_2) | instskip(NEXT) | instid1(VALU_DEP_2)
	v_fmac_f64_e32 v[30:31], v[34:35], v[28:29]
	v_add_f64_e32 v[4:5], v[4:5], v[12:13]
	s_delay_alu instid0(VALU_DEP_2)
	v_add_f64_e32 v[2:3], v[2:3], v[30:31]
	s_and_not1_b32 exec_lo, exec_lo, s3
	s_cbranch_execnz .LBB69_25
; %bb.26:
	s_or_b32 exec_lo, exec_lo, s3
	v_mov_b32_e32 v8, 0
	ds_load_b128 v[8:11], v8 offset:48
	s_wait_dscnt 0x0
	v_mul_f64_e32 v[28:29], v[2:3], v[10:11]
	v_mul_f64_e32 v[12:13], v[4:5], v[10:11]
	s_delay_alu instid0(VALU_DEP_2) | instskip(NEXT) | instid1(VALU_DEP_2)
	v_fma_f64 v[10:11], v[4:5], v[8:9], -v[28:29]
	v_fmac_f64_e32 v[12:13], v[2:3], v[8:9]
	scratch_store_b128 off, v[10:13], off offset:48
.LBB69_27:
	s_wait_xcnt 0x0
	s_or_b32 exec_lo, exec_lo, s2
	s_wait_storecnt 0x0
	s_barrier_signal -1
	s_barrier_wait -1
	scratch_load_b128 v[2:5], off, s14
	s_mov_b32 s2, exec_lo
	s_wait_loadcnt 0x0
	ds_store_b128 v6, v[2:5]
	s_wait_dscnt 0x0
	s_barrier_signal -1
	s_barrier_wait -1
	v_cmpx_gt_u32_e32 4, v1
	s_cbranch_execz .LBB69_31
; %bb.28:
	v_dual_mov_b32 v10, v26 :: v_dual_add_nc_u32 v8, -1, v1
	v_mov_b64_e32 v[2:3], 0
	v_mov_b64_e32 v[4:5], 0
	v_add_nc_u32_e32 v9, 0x60, v26
	s_delay_alu instid0(VALU_DEP_4)
	v_or_b32_e32 v10, 8, v10
	s_mov_b32 s3, 0
.LBB69_29:                              ; =>This Inner Loop Header: Depth=1
	scratch_load_b128 v[28:31], v10, off offset:-8
	ds_load_b128 v[32:35], v9
	v_dual_add_nc_u32 v8, 1, v8 :: v_dual_add_nc_u32 v9, 16, v9
	s_wait_xcnt 0x0
	v_add_nc_u32_e32 v10, 16, v10
	s_delay_alu instid0(VALU_DEP_2) | instskip(SKIP_4) | instid1(VALU_DEP_2)
	v_cmp_lt_u32_e32 vcc_lo, 2, v8
	s_or_b32 s3, vcc_lo, s3
	s_wait_loadcnt_dscnt 0x0
	v_mul_f64_e32 v[12:13], v[34:35], v[30:31]
	v_mul_f64_e32 v[30:31], v[32:33], v[30:31]
	v_fma_f64 v[12:13], v[32:33], v[28:29], -v[12:13]
	s_delay_alu instid0(VALU_DEP_2) | instskip(NEXT) | instid1(VALU_DEP_2)
	v_fmac_f64_e32 v[30:31], v[34:35], v[28:29]
	v_add_f64_e32 v[4:5], v[4:5], v[12:13]
	s_delay_alu instid0(VALU_DEP_2)
	v_add_f64_e32 v[2:3], v[2:3], v[30:31]
	s_and_not1_b32 exec_lo, exec_lo, s3
	s_cbranch_execnz .LBB69_29
; %bb.30:
	s_or_b32 exec_lo, exec_lo, s3
	v_mov_b32_e32 v8, 0
	ds_load_b128 v[8:11], v8 offset:64
	s_wait_dscnt 0x0
	v_mul_f64_e32 v[28:29], v[2:3], v[10:11]
	v_mul_f64_e32 v[12:13], v[4:5], v[10:11]
	s_delay_alu instid0(VALU_DEP_2) | instskip(NEXT) | instid1(VALU_DEP_2)
	v_fma_f64 v[10:11], v[4:5], v[8:9], -v[28:29]
	v_fmac_f64_e32 v[12:13], v[2:3], v[8:9]
	scratch_store_b128 off, v[10:13], off offset:64
.LBB69_31:
	s_wait_xcnt 0x0
	s_or_b32 exec_lo, exec_lo, s2
	s_wait_storecnt 0x0
	s_barrier_signal -1
	s_barrier_wait -1
	scratch_load_b128 v[2:5], off, s12
	s_mov_b32 s2, exec_lo
	s_wait_loadcnt 0x0
	ds_store_b128 v6, v[2:5]
	s_wait_dscnt 0x0
	s_barrier_signal -1
	s_barrier_wait -1
	v_cmpx_ne_u32_e32 5, v1
	s_cbranch_execz .LBB69_35
; %bb.32:
	v_mov_b32_e32 v8, v26
	v_mov_b64_e32 v[2:3], 0
	v_mov_b64_e32 v[4:5], 0
	s_mov_b32 s3, 0
	s_delay_alu instid0(VALU_DEP_3)
	v_or_b32_e32 v8, 8, v8
.LBB69_33:                              ; =>This Inner Loop Header: Depth=1
	scratch_load_b128 v[10:13], v8, off offset:-8
	ds_load_b128 v[26:29], v6
	v_dual_add_nc_u32 v7, 1, v7 :: v_dual_add_nc_u32 v6, 16, v6
	s_wait_xcnt 0x0
	v_add_nc_u32_e32 v8, 16, v8
	s_delay_alu instid0(VALU_DEP_2) | instskip(SKIP_4) | instid1(VALU_DEP_2)
	v_cmp_lt_u32_e32 vcc_lo, 3, v7
	s_or_b32 s3, vcc_lo, s3
	s_wait_loadcnt_dscnt 0x0
	v_mul_f64_e32 v[30:31], v[28:29], v[12:13]
	v_mul_f64_e32 v[12:13], v[26:27], v[12:13]
	v_fma_f64 v[26:27], v[26:27], v[10:11], -v[30:31]
	s_delay_alu instid0(VALU_DEP_2) | instskip(NEXT) | instid1(VALU_DEP_2)
	v_fmac_f64_e32 v[12:13], v[28:29], v[10:11]
	v_add_f64_e32 v[4:5], v[4:5], v[26:27]
	s_delay_alu instid0(VALU_DEP_2)
	v_add_f64_e32 v[2:3], v[2:3], v[12:13]
	s_and_not1_b32 exec_lo, exec_lo, s3
	s_cbranch_execnz .LBB69_33
; %bb.34:
	s_or_b32 exec_lo, exec_lo, s3
	v_mov_b32_e32 v6, 0
	ds_load_b128 v[6:9], v6 offset:80
	s_wait_dscnt 0x0
	v_mul_f64_e32 v[12:13], v[2:3], v[8:9]
	v_mul_f64_e32 v[10:11], v[4:5], v[8:9]
	s_delay_alu instid0(VALU_DEP_2) | instskip(NEXT) | instid1(VALU_DEP_2)
	v_fma_f64 v[8:9], v[4:5], v[6:7], -v[12:13]
	v_fmac_f64_e32 v[10:11], v[2:3], v[6:7]
	scratch_store_b128 off, v[8:11], off offset:80
.LBB69_35:
	s_wait_xcnt 0x0
	s_or_b32 exec_lo, exec_lo, s2
	s_mov_b32 s3, -1
	s_wait_storecnt 0x0
	s_barrier_signal -1
	s_barrier_wait -1
.LBB69_36:
	s_and_b32 vcc_lo, exec_lo, s3
	s_cbranch_vccz .LBB69_38
; %bb.37:
	s_wait_xcnt 0x0
	v_mov_b32_e32 v2, 0
	s_lshl_b64 s[2:3], s[10:11], 2
	s_delay_alu instid0(SALU_CYCLE_1)
	s_add_nc_u64 s[2:3], s[6:7], s[2:3]
	global_load_b32 v2, v2, s[2:3]
	s_wait_loadcnt 0x0
	v_cmp_ne_u32_e32 vcc_lo, 0, v2
	s_cbranch_vccz .LBB69_39
.LBB69_38:
	s_endpgm
.LBB69_39:
	v_lshl_add_u32 v6, v1, 4, 0x60
	s_wait_xcnt 0x0
	s_mov_b32 s2, exec_lo
	v_cmpx_eq_u32_e32 5, v1
	s_cbranch_execz .LBB69_41
; %bb.40:
	scratch_load_b128 v[2:5], off, s14
	v_mov_b32_e32 v8, 0
	s_delay_alu instid0(VALU_DEP_1)
	v_dual_mov_b32 v9, v8 :: v_dual_mov_b32 v10, v8
	v_mov_b32_e32 v11, v8
	scratch_store_b128 off, v[8:11], off offset:64
	s_wait_loadcnt 0x0
	ds_store_b128 v6, v[2:5]
.LBB69_41:
	s_wait_xcnt 0x0
	s_or_b32 exec_lo, exec_lo, s2
	s_wait_storecnt_dscnt 0x0
	s_barrier_signal -1
	s_barrier_wait -1
	s_clause 0x1
	scratch_load_b128 v[8:11], off, off offset:80
	scratch_load_b128 v[26:29], off, off offset:64
	v_mov_b32_e32 v2, 0
	s_mov_b32 s2, exec_lo
	ds_load_b128 v[30:33], v2 offset:176
	s_wait_loadcnt_dscnt 0x100
	v_mul_f64_e32 v[4:5], v[32:33], v[10:11]
	v_mul_f64_e32 v[10:11], v[30:31], v[10:11]
	s_delay_alu instid0(VALU_DEP_2) | instskip(NEXT) | instid1(VALU_DEP_2)
	v_fma_f64 v[4:5], v[30:31], v[8:9], -v[4:5]
	v_fmac_f64_e32 v[10:11], v[32:33], v[8:9]
	s_delay_alu instid0(VALU_DEP_2) | instskip(NEXT) | instid1(VALU_DEP_2)
	v_add_f64_e32 v[4:5], 0, v[4:5]
	v_add_f64_e32 v[10:11], 0, v[10:11]
	s_wait_loadcnt 0x0
	s_delay_alu instid0(VALU_DEP_2) | instskip(NEXT) | instid1(VALU_DEP_2)
	v_add_f64_e64 v[8:9], v[26:27], -v[4:5]
	v_add_f64_e64 v[10:11], v[28:29], -v[10:11]
	scratch_store_b128 off, v[8:11], off offset:64
	s_wait_xcnt 0x0
	v_cmpx_lt_u32_e32 3, v1
	s_cbranch_execz .LBB69_43
; %bb.42:
	scratch_load_b128 v[8:11], off, s13
	v_dual_mov_b32 v3, v2 :: v_dual_mov_b32 v4, v2
	v_mov_b32_e32 v5, v2
	scratch_store_b128 off, v[2:5], off offset:48
	s_wait_loadcnt 0x0
	ds_store_b128 v6, v[8:11]
.LBB69_43:
	s_wait_xcnt 0x0
	s_or_b32 exec_lo, exec_lo, s2
	s_wait_storecnt_dscnt 0x0
	s_barrier_signal -1
	s_barrier_wait -1
	s_clause 0x2
	scratch_load_b128 v[8:11], off, off offset:64
	scratch_load_b128 v[26:29], off, off offset:80
	;; [unrolled: 1-line block ×3, first 2 shown]
	ds_load_b128 v[34:37], v2 offset:160
	ds_load_b128 v[2:5], v2 offset:176
	s_mov_b32 s2, exec_lo
	s_wait_loadcnt_dscnt 0x201
	v_mul_f64_e32 v[12:13], v[36:37], v[10:11]
	v_mul_f64_e32 v[10:11], v[34:35], v[10:11]
	s_wait_loadcnt_dscnt 0x100
	v_mul_f64_e32 v[38:39], v[2:3], v[28:29]
	v_mul_f64_e32 v[28:29], v[4:5], v[28:29]
	s_delay_alu instid0(VALU_DEP_4) | instskip(NEXT) | instid1(VALU_DEP_4)
	v_fma_f64 v[12:13], v[34:35], v[8:9], -v[12:13]
	v_fmac_f64_e32 v[10:11], v[36:37], v[8:9]
	s_delay_alu instid0(VALU_DEP_4) | instskip(NEXT) | instid1(VALU_DEP_4)
	v_fmac_f64_e32 v[38:39], v[4:5], v[26:27]
	v_fma_f64 v[2:3], v[2:3], v[26:27], -v[28:29]
	s_delay_alu instid0(VALU_DEP_4) | instskip(NEXT) | instid1(VALU_DEP_4)
	v_add_f64_e32 v[4:5], 0, v[12:13]
	v_add_f64_e32 v[8:9], 0, v[10:11]
	s_delay_alu instid0(VALU_DEP_2) | instskip(NEXT) | instid1(VALU_DEP_2)
	v_add_f64_e32 v[2:3], v[4:5], v[2:3]
	v_add_f64_e32 v[4:5], v[8:9], v[38:39]
	s_wait_loadcnt 0x0
	s_delay_alu instid0(VALU_DEP_2) | instskip(NEXT) | instid1(VALU_DEP_2)
	v_add_f64_e64 v[2:3], v[30:31], -v[2:3]
	v_add_f64_e64 v[4:5], v[32:33], -v[4:5]
	scratch_store_b128 off, v[2:5], off offset:48
	s_wait_xcnt 0x0
	v_cmpx_lt_u32_e32 2, v1
	s_cbranch_execz .LBB69_45
; %bb.44:
	scratch_load_b128 v[2:5], off, s15
	v_mov_b32_e32 v8, 0
	s_delay_alu instid0(VALU_DEP_1)
	v_dual_mov_b32 v9, v8 :: v_dual_mov_b32 v10, v8
	v_mov_b32_e32 v11, v8
	scratch_store_b128 off, v[8:11], off offset:32
	s_wait_loadcnt 0x0
	ds_store_b128 v6, v[2:5]
.LBB69_45:
	s_wait_xcnt 0x0
	s_or_b32 exec_lo, exec_lo, s2
	s_wait_storecnt_dscnt 0x0
	s_barrier_signal -1
	s_barrier_wait -1
	s_clause 0x3
	scratch_load_b128 v[8:11], off, off offset:48
	scratch_load_b128 v[26:29], off, off offset:64
	;; [unrolled: 1-line block ×4, first 2 shown]
	v_mov_b32_e32 v2, 0
	ds_load_b128 v[38:41], v2 offset:144
	ds_load_b128 v[42:45], v2 offset:160
	s_mov_b32 s2, exec_lo
	v_dual_ashrrev_i32 v21, 31, v20 :: v_dual_ashrrev_i32 v19, 31, v18
	v_dual_ashrrev_i32 v23, 31, v22 :: v_dual_ashrrev_i32 v25, 31, v24
	s_wait_loadcnt_dscnt 0x301
	v_mul_f64_e32 v[4:5], v[40:41], v[10:11]
	v_mul_f64_e32 v[12:13], v[38:39], v[10:11]
	s_wait_loadcnt_dscnt 0x200
	v_mul_f64_e32 v[46:47], v[42:43], v[28:29]
	v_mul_f64_e32 v[28:29], v[44:45], v[28:29]
	s_delay_alu instid0(VALU_DEP_4) | instskip(NEXT) | instid1(VALU_DEP_4)
	v_fma_f64 v[4:5], v[38:39], v[8:9], -v[4:5]
	v_fmac_f64_e32 v[12:13], v[40:41], v[8:9]
	ds_load_b128 v[8:11], v2 offset:176
	v_fmac_f64_e32 v[46:47], v[44:45], v[26:27]
	v_fma_f64 v[26:27], v[42:43], v[26:27], -v[28:29]
	s_wait_loadcnt_dscnt 0x100
	v_mul_f64_e32 v[38:39], v[8:9], v[32:33]
	v_mul_f64_e32 v[32:33], v[10:11], v[32:33]
	v_add_f64_e32 v[4:5], 0, v[4:5]
	v_add_f64_e32 v[12:13], 0, v[12:13]
	s_delay_alu instid0(VALU_DEP_4) | instskip(NEXT) | instid1(VALU_DEP_4)
	v_fmac_f64_e32 v[38:39], v[10:11], v[30:31]
	v_fma_f64 v[8:9], v[8:9], v[30:31], -v[32:33]
	s_delay_alu instid0(VALU_DEP_4) | instskip(NEXT) | instid1(VALU_DEP_4)
	v_add_f64_e32 v[4:5], v[4:5], v[26:27]
	v_add_f64_e32 v[10:11], v[12:13], v[46:47]
	s_delay_alu instid0(VALU_DEP_2) | instskip(NEXT) | instid1(VALU_DEP_2)
	v_add_f64_e32 v[4:5], v[4:5], v[8:9]
	v_add_f64_e32 v[10:11], v[10:11], v[38:39]
	s_wait_loadcnt 0x0
	s_delay_alu instid0(VALU_DEP_2) | instskip(NEXT) | instid1(VALU_DEP_2)
	v_add_f64_e64 v[8:9], v[34:35], -v[4:5]
	v_add_f64_e64 v[10:11], v[36:37], -v[10:11]
	scratch_store_b128 off, v[8:11], off offset:32
	s_wait_xcnt 0x0
	v_cmpx_lt_u32_e32 1, v1
	s_cbranch_execz .LBB69_47
; %bb.46:
	scratch_load_b128 v[8:11], off, s16
	v_dual_mov_b32 v3, v2 :: v_dual_mov_b32 v4, v2
	v_mov_b32_e32 v5, v2
	scratch_store_b128 off, v[2:5], off offset:16
	s_wait_loadcnt 0x0
	ds_store_b128 v6, v[8:11]
.LBB69_47:
	s_wait_xcnt 0x0
	s_or_b32 exec_lo, exec_lo, s2
	s_wait_storecnt_dscnt 0x0
	s_barrier_signal -1
	s_barrier_wait -1
	s_clause 0x4
	scratch_load_b128 v[8:11], off, off offset:32
	scratch_load_b128 v[26:29], off, off offset:48
	scratch_load_b128 v[30:33], off, off offset:64
	scratch_load_b128 v[34:37], off, off offset:80
	scratch_load_b128 v[38:41], off, off offset:16
	ds_load_b128 v[42:45], v2 offset:128
	ds_load_b128 v[46:49], v2 offset:144
	s_mov_b32 s2, exec_lo
	s_wait_loadcnt_dscnt 0x401
	v_mul_f64_e32 v[4:5], v[44:45], v[10:11]
	v_mul_f64_e32 v[12:13], v[42:43], v[10:11]
	s_wait_loadcnt_dscnt 0x300
	v_mul_f64_e32 v[50:51], v[46:47], v[28:29]
	v_mul_f64_e32 v[28:29], v[48:49], v[28:29]
	s_delay_alu instid0(VALU_DEP_4) | instskip(NEXT) | instid1(VALU_DEP_4)
	v_fma_f64 v[42:43], v[42:43], v[8:9], -v[4:5]
	v_fmac_f64_e32 v[12:13], v[44:45], v[8:9]
	ds_load_b128 v[8:11], v2 offset:160
	ds_load_b128 v[2:5], v2 offset:176
	v_fmac_f64_e32 v[50:51], v[48:49], v[26:27]
	v_fma_f64 v[26:27], v[46:47], v[26:27], -v[28:29]
	s_wait_loadcnt_dscnt 0x201
	v_mul_f64_e32 v[44:45], v[8:9], v[32:33]
	v_mul_f64_e32 v[32:33], v[10:11], v[32:33]
	v_add_f64_e32 v[28:29], 0, v[42:43]
	v_add_f64_e32 v[12:13], 0, v[12:13]
	s_wait_loadcnt_dscnt 0x100
	v_mul_f64_e32 v[42:43], v[2:3], v[36:37]
	v_mul_f64_e32 v[36:37], v[4:5], v[36:37]
	v_fmac_f64_e32 v[44:45], v[10:11], v[30:31]
	v_fma_f64 v[8:9], v[8:9], v[30:31], -v[32:33]
	v_add_f64_e32 v[10:11], v[28:29], v[26:27]
	v_add_f64_e32 v[12:13], v[12:13], v[50:51]
	v_fmac_f64_e32 v[42:43], v[4:5], v[34:35]
	v_fma_f64 v[2:3], v[2:3], v[34:35], -v[36:37]
	s_delay_alu instid0(VALU_DEP_4) | instskip(NEXT) | instid1(VALU_DEP_4)
	v_add_f64_e32 v[4:5], v[10:11], v[8:9]
	v_add_f64_e32 v[8:9], v[12:13], v[44:45]
	s_delay_alu instid0(VALU_DEP_2) | instskip(NEXT) | instid1(VALU_DEP_2)
	v_add_f64_e32 v[2:3], v[4:5], v[2:3]
	v_add_f64_e32 v[4:5], v[8:9], v[42:43]
	s_wait_loadcnt 0x0
	s_delay_alu instid0(VALU_DEP_2) | instskip(NEXT) | instid1(VALU_DEP_2)
	v_add_f64_e64 v[2:3], v[38:39], -v[2:3]
	v_add_f64_e64 v[4:5], v[40:41], -v[4:5]
	scratch_store_b128 off, v[2:5], off offset:16
	s_wait_xcnt 0x0
	v_cmpx_ne_u32_e32 0, v1
	s_cbranch_execz .LBB69_49
; %bb.48:
	scratch_load_b128 v[2:5], off, off
	v_mov_b32_e32 v8, 0
	s_delay_alu instid0(VALU_DEP_1)
	v_dual_mov_b32 v9, v8 :: v_dual_mov_b32 v10, v8
	v_mov_b32_e32 v11, v8
	scratch_store_b128 off, v[8:11], off
	s_wait_loadcnt 0x0
	ds_store_b128 v6, v[2:5]
.LBB69_49:
	s_wait_xcnt 0x0
	s_or_b32 exec_lo, exec_lo, s2
	s_wait_storecnt_dscnt 0x0
	s_barrier_signal -1
	s_barrier_wait -1
	s_clause 0x5
	scratch_load_b128 v[2:5], off, off offset:16
	scratch_load_b128 v[6:9], off, off offset:32
	;; [unrolled: 1-line block ×5, first 2 shown]
	scratch_load_b128 v[38:41], off, off
	v_mov_b32_e32 v10, 0
	ds_load_b128 v[42:45], v10 offset:112
	ds_load_b128 v[46:49], v10 offset:128
	s_and_b32 vcc_lo, exec_lo, s17
	s_wait_loadcnt_dscnt 0x501
	v_mul_f64_e32 v[12:13], v[44:45], v[4:5]
	v_mul_f64_e32 v[50:51], v[42:43], v[4:5]
	s_wait_loadcnt_dscnt 0x400
	v_mul_f64_e32 v[52:53], v[46:47], v[8:9]
	v_mul_f64_e32 v[8:9], v[48:49], v[8:9]
	s_delay_alu instid0(VALU_DEP_4) | instskip(NEXT) | instid1(VALU_DEP_4)
	v_fma_f64 v[12:13], v[42:43], v[2:3], -v[12:13]
	v_fmac_f64_e32 v[50:51], v[44:45], v[2:3]
	ds_load_b128 v[2:5], v10 offset:144
	ds_load_b128 v[42:45], v10 offset:160
	v_fmac_f64_e32 v[52:53], v[48:49], v[6:7]
	v_fma_f64 v[6:7], v[46:47], v[6:7], -v[8:9]
	s_wait_loadcnt_dscnt 0x301
	v_mul_f64_e32 v[54:55], v[2:3], v[28:29]
	v_mul_f64_e32 v[28:29], v[4:5], v[28:29]
	s_wait_loadcnt_dscnt 0x200
	v_mul_f64_e32 v[46:47], v[42:43], v[32:33]
	v_mul_f64_e32 v[32:33], v[44:45], v[32:33]
	v_add_f64_e32 v[8:9], 0, v[12:13]
	v_add_f64_e32 v[12:13], 0, v[50:51]
	v_fmac_f64_e32 v[54:55], v[4:5], v[26:27]
	v_fma_f64 v[26:27], v[2:3], v[26:27], -v[28:29]
	ds_load_b128 v[2:5], v10 offset:176
	v_fmac_f64_e32 v[46:47], v[44:45], v[30:31]
	v_fma_f64 v[30:31], v[42:43], v[30:31], -v[32:33]
	v_add_f64_e32 v[6:7], v[8:9], v[6:7]
	v_add_f64_e32 v[8:9], v[12:13], v[52:53]
	s_wait_loadcnt_dscnt 0x100
	v_mul_f64_e32 v[12:13], v[2:3], v[36:37]
	v_mul_f64_e32 v[28:29], v[4:5], v[36:37]
	s_delay_alu instid0(VALU_DEP_4) | instskip(NEXT) | instid1(VALU_DEP_4)
	v_add_f64_e32 v[6:7], v[6:7], v[26:27]
	v_add_f64_e32 v[8:9], v[8:9], v[54:55]
	s_delay_alu instid0(VALU_DEP_4) | instskip(NEXT) | instid1(VALU_DEP_4)
	v_fmac_f64_e32 v[12:13], v[4:5], v[34:35]
	v_fma_f64 v[2:3], v[2:3], v[34:35], -v[28:29]
	s_delay_alu instid0(VALU_DEP_4) | instskip(NEXT) | instid1(VALU_DEP_4)
	v_add_f64_e32 v[4:5], v[6:7], v[30:31]
	v_add_f64_e32 v[6:7], v[8:9], v[46:47]
	v_lshl_add_u64 v[8:9], v[18:19], 4, s[4:5]
	s_delay_alu instid0(VALU_DEP_3) | instskip(NEXT) | instid1(VALU_DEP_3)
	v_add_f64_e32 v[2:3], v[4:5], v[2:3]
	v_add_f64_e32 v[4:5], v[6:7], v[12:13]
	v_lshl_add_u64 v[6:7], v[20:21], 4, s[4:5]
	s_wait_loadcnt 0x0
	s_delay_alu instid0(VALU_DEP_3) | instskip(NEXT) | instid1(VALU_DEP_3)
	v_add_f64_e64 v[26:27], v[38:39], -v[2:3]
	v_add_f64_e64 v[28:29], v[40:41], -v[4:5]
	v_lshl_add_u64 v[4:5], v[22:23], 4, s[4:5]
	v_lshl_add_u64 v[2:3], v[24:25], 4, s[4:5]
	scratch_store_b128 off, v[26:29], off
	s_cbranch_vccz .LBB69_60
; %bb.50:
	global_load_b32 v10, v10, s[8:9] offset:16
	s_load_b64 s[2:3], s[0:1], 0x4
	v_bfe_u32 v11, v0, 10, 10
	v_bfe_u32 v0, v0, 20, 10
	s_wait_kmcnt 0x0
	s_lshr_b32 s0, s2, 16
	s_delay_alu instid0(VALU_DEP_2) | instskip(SKIP_1) | instid1(SALU_CYCLE_1)
	v_mul_u32_u24_e32 v11, s3, v11
	s_mul_i32 s0, s0, s3
	v_mul_u32_u24_e32 v1, s0, v1
	s_delay_alu instid0(VALU_DEP_1) | instskip(NEXT) | instid1(VALU_DEP_1)
	v_add3_u32 v0, v1, v11, v0
	v_lshl_add_u32 v0, v0, 4, 0xc8
	s_wait_loadcnt 0x0
	v_cmp_ne_u32_e32 vcc_lo, 5, v10
	s_cbranch_vccz .LBB69_52
; %bb.51:
	v_lshlrev_b32_e32 v1, 4, v10
	s_clause 0x1
	scratch_load_b128 v[10:13], off, s14
	scratch_load_b128 v[18:21], v1, off offset:-16
	s_wait_loadcnt 0x1
	ds_store_2addr_b64 v0, v[10:11], v[12:13] offset1:1
	s_wait_loadcnt 0x0
	s_clause 0x1
	scratch_store_b128 off, v[18:21], s14
	scratch_store_b128 v1, v[10:13], off offset:-16
.LBB69_52:
	s_wait_xcnt 0x0
	v_mov_b32_e32 v1, 0
	global_load_b32 v10, v1, s[8:9] offset:12
	s_wait_loadcnt 0x0
	v_cmp_eq_u32_e32 vcc_lo, 4, v10
	s_cbranch_vccnz .LBB69_54
; %bb.53:
	v_lshlrev_b32_e32 v10, 4, v10
	s_delay_alu instid0(VALU_DEP_1)
	v_mov_b32_e32 v22, v10
	s_clause 0x1
	scratch_load_b128 v[10:13], off, s13
	scratch_load_b128 v[18:21], v22, off offset:-16
	s_wait_loadcnt 0x1
	ds_store_2addr_b64 v0, v[10:11], v[12:13] offset1:1
	s_wait_loadcnt 0x0
	s_clause 0x1
	scratch_store_b128 off, v[18:21], s13
	scratch_store_b128 v22, v[10:13], off offset:-16
.LBB69_54:
	global_load_b32 v1, v1, s[8:9] offset:8
	s_wait_loadcnt 0x0
	v_cmp_eq_u32_e32 vcc_lo, 3, v1
	s_cbranch_vccnz .LBB69_56
; %bb.55:
	s_wait_xcnt 0x0
	v_lshlrev_b32_e32 v1, 4, v1
	s_clause 0x1
	scratch_load_b128 v[10:13], off, s15
	scratch_load_b128 v[18:21], v1, off offset:-16
	s_wait_loadcnt 0x1
	ds_store_2addr_b64 v0, v[10:11], v[12:13] offset1:1
	s_wait_loadcnt 0x0
	s_clause 0x1
	scratch_store_b128 off, v[18:21], s15
	scratch_store_b128 v1, v[10:13], off offset:-16
.LBB69_56:
	s_wait_xcnt 0x0
	v_mov_b32_e32 v1, 0
	global_load_b32 v10, v1, s[8:9] offset:4
	s_wait_loadcnt 0x0
	v_cmp_eq_u32_e32 vcc_lo, 2, v10
	s_cbranch_vccnz .LBB69_58
; %bb.57:
	v_lshlrev_b32_e32 v10, 4, v10
	s_delay_alu instid0(VALU_DEP_1)
	v_mov_b32_e32 v22, v10
	s_clause 0x1
	scratch_load_b128 v[10:13], off, s16
	scratch_load_b128 v[18:21], v22, off offset:-16
	s_wait_loadcnt 0x1
	ds_store_2addr_b64 v0, v[10:11], v[12:13] offset1:1
	s_wait_loadcnt 0x0
	s_clause 0x1
	scratch_store_b128 off, v[18:21], s16
	scratch_store_b128 v22, v[10:13], off offset:-16
.LBB69_58:
	global_load_b32 v1, v1, s[8:9]
	s_wait_loadcnt 0x0
	v_cmp_eq_u32_e32 vcc_lo, 1, v1
	s_cbranch_vccnz .LBB69_60
; %bb.59:
	s_wait_xcnt 0x0
	v_lshlrev_b32_e32 v1, 4, v1
	scratch_load_b128 v[10:13], off, off
	scratch_load_b128 v[18:21], v1, off offset:-16
	s_wait_loadcnt 0x1
	ds_store_2addr_b64 v0, v[10:11], v[12:13] offset1:1
	s_wait_loadcnt 0x0
	scratch_store_b128 off, v[18:21], off
	scratch_store_b128 v1, v[10:13], off offset:-16
.LBB69_60:
	scratch_load_b128 v[10:13], off, off
	s_wait_loadcnt 0x0
	flat_store_b128 v[14:15], v[10:13]
	scratch_load_b128 v[10:13], off, s16
	s_wait_loadcnt 0x0
	flat_store_b128 v[16:17], v[10:13]
	scratch_load_b128 v[10:13], off, s15
	;; [unrolled: 3-line block ×5, first 2 shown]
	s_wait_loadcnt 0x0
	flat_store_b128 v[2:3], v[4:7]
	s_endpgm
	.section	.rodata,"a",@progbits
	.p2align	6, 0x0
	.amdhsa_kernel _ZN9rocsolver6v33100L18getri_kernel_smallILi6E19rocblas_complex_numIdEPKPS3_EEvT1_iilPiilS8_bb
		.amdhsa_group_segment_fixed_size 1224
		.amdhsa_private_segment_fixed_size 112
		.amdhsa_kernarg_size 60
		.amdhsa_user_sgpr_count 4
		.amdhsa_user_sgpr_dispatch_ptr 1
		.amdhsa_user_sgpr_queue_ptr 0
		.amdhsa_user_sgpr_kernarg_segment_ptr 1
		.amdhsa_user_sgpr_dispatch_id 0
		.amdhsa_user_sgpr_kernarg_preload_length 0
		.amdhsa_user_sgpr_kernarg_preload_offset 0
		.amdhsa_user_sgpr_private_segment_size 0
		.amdhsa_wavefront_size32 1
		.amdhsa_uses_dynamic_stack 0
		.amdhsa_enable_private_segment 1
		.amdhsa_system_sgpr_workgroup_id_x 1
		.amdhsa_system_sgpr_workgroup_id_y 0
		.amdhsa_system_sgpr_workgroup_id_z 0
		.amdhsa_system_sgpr_workgroup_info 0
		.amdhsa_system_vgpr_workitem_id 2
		.amdhsa_next_free_vgpr 56
		.amdhsa_next_free_sgpr 23
		.amdhsa_named_barrier_count 0
		.amdhsa_reserve_vcc 1
		.amdhsa_float_round_mode_32 0
		.amdhsa_float_round_mode_16_64 0
		.amdhsa_float_denorm_mode_32 3
		.amdhsa_float_denorm_mode_16_64 3
		.amdhsa_fp16_overflow 0
		.amdhsa_memory_ordered 1
		.amdhsa_forward_progress 1
		.amdhsa_inst_pref_size 40
		.amdhsa_round_robin_scheduling 0
		.amdhsa_exception_fp_ieee_invalid_op 0
		.amdhsa_exception_fp_denorm_src 0
		.amdhsa_exception_fp_ieee_div_zero 0
		.amdhsa_exception_fp_ieee_overflow 0
		.amdhsa_exception_fp_ieee_underflow 0
		.amdhsa_exception_fp_ieee_inexact 0
		.amdhsa_exception_int_div_zero 0
	.end_amdhsa_kernel
	.section	.text._ZN9rocsolver6v33100L18getri_kernel_smallILi6E19rocblas_complex_numIdEPKPS3_EEvT1_iilPiilS8_bb,"axG",@progbits,_ZN9rocsolver6v33100L18getri_kernel_smallILi6E19rocblas_complex_numIdEPKPS3_EEvT1_iilPiilS8_bb,comdat
.Lfunc_end69:
	.size	_ZN9rocsolver6v33100L18getri_kernel_smallILi6E19rocblas_complex_numIdEPKPS3_EEvT1_iilPiilS8_bb, .Lfunc_end69-_ZN9rocsolver6v33100L18getri_kernel_smallILi6E19rocblas_complex_numIdEPKPS3_EEvT1_iilPiilS8_bb
                                        ; -- End function
	.set _ZN9rocsolver6v33100L18getri_kernel_smallILi6E19rocblas_complex_numIdEPKPS3_EEvT1_iilPiilS8_bb.num_vgpr, 56
	.set _ZN9rocsolver6v33100L18getri_kernel_smallILi6E19rocblas_complex_numIdEPKPS3_EEvT1_iilPiilS8_bb.num_agpr, 0
	.set _ZN9rocsolver6v33100L18getri_kernel_smallILi6E19rocblas_complex_numIdEPKPS3_EEvT1_iilPiilS8_bb.numbered_sgpr, 23
	.set _ZN9rocsolver6v33100L18getri_kernel_smallILi6E19rocblas_complex_numIdEPKPS3_EEvT1_iilPiilS8_bb.num_named_barrier, 0
	.set _ZN9rocsolver6v33100L18getri_kernel_smallILi6E19rocblas_complex_numIdEPKPS3_EEvT1_iilPiilS8_bb.private_seg_size, 112
	.set _ZN9rocsolver6v33100L18getri_kernel_smallILi6E19rocblas_complex_numIdEPKPS3_EEvT1_iilPiilS8_bb.uses_vcc, 1
	.set _ZN9rocsolver6v33100L18getri_kernel_smallILi6E19rocblas_complex_numIdEPKPS3_EEvT1_iilPiilS8_bb.uses_flat_scratch, 1
	.set _ZN9rocsolver6v33100L18getri_kernel_smallILi6E19rocblas_complex_numIdEPKPS3_EEvT1_iilPiilS8_bb.has_dyn_sized_stack, 0
	.set _ZN9rocsolver6v33100L18getri_kernel_smallILi6E19rocblas_complex_numIdEPKPS3_EEvT1_iilPiilS8_bb.has_recursion, 0
	.set _ZN9rocsolver6v33100L18getri_kernel_smallILi6E19rocblas_complex_numIdEPKPS3_EEvT1_iilPiilS8_bb.has_indirect_call, 0
	.section	.AMDGPU.csdata,"",@progbits
; Kernel info:
; codeLenInByte = 5036
; TotalNumSgprs: 25
; NumVgprs: 56
; ScratchSize: 112
; MemoryBound: 0
; FloatMode: 240
; IeeeMode: 1
; LDSByteSize: 1224 bytes/workgroup (compile time only)
; SGPRBlocks: 0
; VGPRBlocks: 3
; NumSGPRsForWavesPerEU: 25
; NumVGPRsForWavesPerEU: 56
; NamedBarCnt: 0
; Occupancy: 16
; WaveLimiterHint : 1
; COMPUTE_PGM_RSRC2:SCRATCH_EN: 1
; COMPUTE_PGM_RSRC2:USER_SGPR: 4
; COMPUTE_PGM_RSRC2:TRAP_HANDLER: 0
; COMPUTE_PGM_RSRC2:TGID_X_EN: 1
; COMPUTE_PGM_RSRC2:TGID_Y_EN: 0
; COMPUTE_PGM_RSRC2:TGID_Z_EN: 0
; COMPUTE_PGM_RSRC2:TIDIG_COMP_CNT: 2
	.section	.text._ZN9rocsolver6v33100L18getri_kernel_smallILi7E19rocblas_complex_numIdEPKPS3_EEvT1_iilPiilS8_bb,"axG",@progbits,_ZN9rocsolver6v33100L18getri_kernel_smallILi7E19rocblas_complex_numIdEPKPS3_EEvT1_iilPiilS8_bb,comdat
	.globl	_ZN9rocsolver6v33100L18getri_kernel_smallILi7E19rocblas_complex_numIdEPKPS3_EEvT1_iilPiilS8_bb ; -- Begin function _ZN9rocsolver6v33100L18getri_kernel_smallILi7E19rocblas_complex_numIdEPKPS3_EEvT1_iilPiilS8_bb
	.p2align	8
	.type	_ZN9rocsolver6v33100L18getri_kernel_smallILi7E19rocblas_complex_numIdEPKPS3_EEvT1_iilPiilS8_bb,@function
_ZN9rocsolver6v33100L18getri_kernel_smallILi7E19rocblas_complex_numIdEPKPS3_EEvT1_iilPiilS8_bb: ; @_ZN9rocsolver6v33100L18getri_kernel_smallILi7E19rocblas_complex_numIdEPKPS3_EEvT1_iilPiilS8_bb
; %bb.0:
	v_and_b32_e32 v1, 0x3ff, v0
	s_mov_b32 s4, exec_lo
	s_delay_alu instid0(VALU_DEP_1)
	v_cmpx_gt_u32_e32 7, v1
	s_cbranch_execz .LBB70_42
; %bb.1:
	s_clause 0x1
	s_load_b32 s14, s[2:3], 0x38
	s_load_b64 s[8:9], s[2:3], 0x0
	s_getreg_b32 s6, hwreg(HW_REG_IB_STS2, 6, 4)
	s_wait_kmcnt 0x0
	s_bitcmp1_b32 s14, 8
	s_cselect_b32 s18, -1, 0
	s_bfe_u32 s4, ttmp6, 0x4000c
	s_and_b32 s5, ttmp6, 15
	s_add_co_i32 s4, s4, 1
	s_delay_alu instid0(SALU_CYCLE_1) | instskip(NEXT) | instid1(SALU_CYCLE_1)
	s_mul_i32 s4, ttmp9, s4
	s_add_co_i32 s5, s5, s4
	s_cmp_eq_u32 s6, 0
	s_cselect_b32 s10, ttmp9, s5
	s_load_b128 s[4:7], s[2:3], 0x28
	s_ashr_i32 s11, s10, 31
	s_delay_alu instid0(SALU_CYCLE_1) | instskip(NEXT) | instid1(SALU_CYCLE_1)
	s_lshl_b64 s[12:13], s[10:11], 3
	s_add_nc_u64 s[8:9], s[8:9], s[12:13]
	s_load_b64 s[12:13], s[8:9], 0x0
	s_wait_xcnt 0x0
	s_bfe_u32 s8, s14, 0x10008
	s_delay_alu instid0(SALU_CYCLE_1)
	s_cmp_eq_u32 s8, 0
                                        ; implicit-def: $sgpr8_sgpr9
	s_cbranch_scc1 .LBB70_3
; %bb.2:
	s_load_b96 s[20:22], s[2:3], 0x18
	s_wait_kmcnt 0x0
	s_mul_u64 s[4:5], s[4:5], s[10:11]
	s_delay_alu instid0(SALU_CYCLE_1) | instskip(SKIP_4) | instid1(SALU_CYCLE_1)
	s_lshl_b64 s[4:5], s[4:5], 2
	s_ashr_i32 s9, s22, 31
	s_mov_b32 s8, s22
	s_add_nc_u64 s[4:5], s[20:21], s[4:5]
	s_lshl_b64 s[8:9], s[8:9], 2
	s_add_nc_u64 s[8:9], s[4:5], s[8:9]
.LBB70_3:
	s_clause 0x1
	s_load_b64 s[14:15], s[2:3], 0x8
	s_load_b32 s19, s[2:3], 0x38
	v_dual_mov_b32 v29, 0 :: v_dual_lshlrev_b32 v28, 4, v1
	s_mov_b32 s17, 16
	s_mov_b32 s16, 32
	s_wait_kmcnt 0x0
	s_ashr_i32 s3, s14, 31
	s_mov_b32 s2, s14
	v_add3_u32 v18, s15, s15, v1
	s_lshl_b64 s[2:3], s[2:3], 4
	s_mov_b32 s14, 48
	s_add_nc_u64 s[4:5], s[12:13], s[2:3]
	s_ashr_i32 s3, s15, 31
	flat_load_b128 v[2:5], v1, s[4:5] scale_offset
	v_add_nc_u64_e32 v[14:15], s[4:5], v[28:29]
	s_mov_b32 s2, s15
	v_add_nc_u32_e32 v20, s15, v18
	s_mov_b32 s12, 64
	s_movk_i32 s13, 0x60
	s_bitcmp0_b32 s19, 0
	s_delay_alu instid0(VALU_DEP_2) | instskip(SKIP_2) | instid1(VALU_DEP_1)
	v_lshl_add_u64 v[16:17], s[2:3], 4, v[14:15]
	v_add_nc_u32_e32 v22, s15, v20
	s_mov_b32 s3, -1
	v_add_nc_u32_e32 v24, s15, v22
	s_delay_alu instid0(VALU_DEP_1)
	v_add_nc_u32_e32 v26, s15, v24
	s_movk_i32 s15, 0x50
	s_wait_loadcnt_dscnt 0x0
	scratch_store_b128 off, v[2:5], off
	flat_load_b128 v[2:5], v[16:17]
	s_wait_loadcnt_dscnt 0x0
	scratch_store_b128 off, v[2:5], off offset:16
	flat_load_b128 v[2:5], v18, s[4:5] scale_offset
	s_wait_loadcnt_dscnt 0x0
	scratch_store_b128 off, v[2:5], off offset:32
	flat_load_b128 v[2:5], v20, s[4:5] scale_offset
	;; [unrolled: 3-line block ×5, first 2 shown]
	s_wait_loadcnt_dscnt 0x0
	scratch_store_b128 off, v[2:5], off offset:96
	s_cbranch_scc1 .LBB70_40
; %bb.4:
	v_cmp_eq_u32_e64 s2, 0, v1
	s_wait_xcnt 0x0
	s_and_saveexec_b32 s3, s2
; %bb.5:
	v_mov_b32_e32 v2, 0
	ds_store_b32 v2, v2 offset:224
; %bb.6:
	s_or_b32 exec_lo, exec_lo, s3
	s_wait_storecnt_dscnt 0x0
	s_barrier_signal -1
	s_barrier_wait -1
	scratch_load_b128 v[2:5], v1, off scale_offset
	s_wait_loadcnt 0x0
	v_cmp_eq_f64_e32 vcc_lo, 0, v[2:3]
	v_cmp_eq_f64_e64 s3, 0, v[4:5]
	s_and_b32 s3, vcc_lo, s3
	s_delay_alu instid0(SALU_CYCLE_1)
	s_and_saveexec_b32 s19, s3
	s_cbranch_execz .LBB70_10
; %bb.7:
	v_mov_b32_e32 v2, 0
	s_mov_b32 s20, 0
	ds_load_b32 v3, v2 offset:224
	s_wait_dscnt 0x0
	v_readfirstlane_b32 s3, v3
	v_add_nc_u32_e32 v3, 1, v1
	s_cmp_eq_u32 s3, 0
	s_delay_alu instid0(VALU_DEP_1) | instskip(SKIP_1) | instid1(SALU_CYCLE_1)
	v_cmp_gt_i32_e32 vcc_lo, s3, v3
	s_cselect_b32 s21, -1, 0
	s_or_b32 s21, s21, vcc_lo
	s_delay_alu instid0(SALU_CYCLE_1)
	s_and_b32 exec_lo, exec_lo, s21
	s_cbranch_execz .LBB70_10
; %bb.8:
	v_mov_b32_e32 v4, s3
.LBB70_9:                               ; =>This Inner Loop Header: Depth=1
	ds_cmpstore_rtn_b32 v4, v2, v3, v4 offset:224
	s_wait_dscnt 0x0
	v_cmp_ne_u32_e32 vcc_lo, 0, v4
	v_cmp_le_i32_e64 s3, v4, v3
	s_and_b32 s3, vcc_lo, s3
	s_delay_alu instid0(SALU_CYCLE_1) | instskip(NEXT) | instid1(SALU_CYCLE_1)
	s_and_b32 s3, exec_lo, s3
	s_or_b32 s20, s3, s20
	s_delay_alu instid0(SALU_CYCLE_1)
	s_and_not1_b32 exec_lo, exec_lo, s20
	s_cbranch_execnz .LBB70_9
.LBB70_10:
	s_or_b32 exec_lo, exec_lo, s19
	v_mov_b32_e32 v2, 0
	s_barrier_signal -1
	s_barrier_wait -1
	ds_load_b32 v3, v2 offset:224
	s_and_saveexec_b32 s3, s2
	s_cbranch_execz .LBB70_12
; %bb.11:
	s_lshl_b64 s[20:21], s[10:11], 2
	s_delay_alu instid0(SALU_CYCLE_1)
	s_add_nc_u64 s[20:21], s[6:7], s[20:21]
	s_wait_dscnt 0x0
	global_store_b32 v2, v3, s[20:21]
.LBB70_12:
	s_wait_xcnt 0x0
	s_or_b32 exec_lo, exec_lo, s3
	s_wait_dscnt 0x0
	v_cmp_ne_u32_e32 vcc_lo, 0, v3
	s_mov_b32 s3, 0
	s_cbranch_vccnz .LBB70_40
; %bb.13:
	v_lshl_add_u32 v19, v1, 4, 0
                                        ; implicit-def: $vgpr6_vgpr7
                                        ; implicit-def: $vgpr10_vgpr11
	scratch_load_b128 v[2:5], v19, off
	s_wait_loadcnt 0x0
	v_cmp_ngt_f64_e64 s3, |v[2:3]|, |v[4:5]|
	s_wait_xcnt 0x0
	s_and_saveexec_b32 s19, s3
	s_delay_alu instid0(SALU_CYCLE_1)
	s_xor_b32 s3, exec_lo, s19
	s_cbranch_execz .LBB70_15
; %bb.14:
	v_div_scale_f64 v[6:7], null, v[4:5], v[4:5], v[2:3]
	v_div_scale_f64 v[12:13], vcc_lo, v[2:3], v[4:5], v[2:3]
	s_delay_alu instid0(VALU_DEP_2) | instskip(SKIP_1) | instid1(TRANS32_DEP_1)
	v_rcp_f64_e32 v[8:9], v[6:7]
	v_nop
	v_fma_f64 v[10:11], -v[6:7], v[8:9], 1.0
	s_delay_alu instid0(VALU_DEP_1) | instskip(NEXT) | instid1(VALU_DEP_1)
	v_fmac_f64_e32 v[8:9], v[8:9], v[10:11]
	v_fma_f64 v[10:11], -v[6:7], v[8:9], 1.0
	s_delay_alu instid0(VALU_DEP_1) | instskip(NEXT) | instid1(VALU_DEP_1)
	v_fmac_f64_e32 v[8:9], v[8:9], v[10:11]
	v_mul_f64_e32 v[10:11], v[12:13], v[8:9]
	s_delay_alu instid0(VALU_DEP_1) | instskip(NEXT) | instid1(VALU_DEP_1)
	v_fma_f64 v[6:7], -v[6:7], v[10:11], v[12:13]
	v_div_fmas_f64 v[6:7], v[6:7], v[8:9], v[10:11]
	s_delay_alu instid0(VALU_DEP_1) | instskip(NEXT) | instid1(VALU_DEP_1)
	v_div_fixup_f64 v[6:7], v[6:7], v[4:5], v[2:3]
	v_fmac_f64_e32 v[4:5], v[2:3], v[6:7]
	s_delay_alu instid0(VALU_DEP_1) | instskip(SKIP_1) | instid1(VALU_DEP_2)
	v_div_scale_f64 v[2:3], null, v[4:5], v[4:5], 1.0
	v_div_scale_f64 v[12:13], vcc_lo, 1.0, v[4:5], 1.0
	v_rcp_f64_e32 v[8:9], v[2:3]
	v_nop
	s_delay_alu instid0(TRANS32_DEP_1) | instskip(NEXT) | instid1(VALU_DEP_1)
	v_fma_f64 v[10:11], -v[2:3], v[8:9], 1.0
	v_fmac_f64_e32 v[8:9], v[8:9], v[10:11]
	s_delay_alu instid0(VALU_DEP_1) | instskip(NEXT) | instid1(VALU_DEP_1)
	v_fma_f64 v[10:11], -v[2:3], v[8:9], 1.0
	v_fmac_f64_e32 v[8:9], v[8:9], v[10:11]
	s_delay_alu instid0(VALU_DEP_1) | instskip(NEXT) | instid1(VALU_DEP_1)
	v_mul_f64_e32 v[10:11], v[12:13], v[8:9]
	v_fma_f64 v[2:3], -v[2:3], v[10:11], v[12:13]
	s_delay_alu instid0(VALU_DEP_1) | instskip(NEXT) | instid1(VALU_DEP_1)
	v_div_fmas_f64 v[2:3], v[2:3], v[8:9], v[10:11]
	v_div_fixup_f64 v[8:9], v[2:3], v[4:5], 1.0
                                        ; implicit-def: $vgpr2_vgpr3
	s_delay_alu instid0(VALU_DEP_1) | instskip(SKIP_1) | instid1(VALU_DEP_2)
	v_mul_f64_e32 v[6:7], v[6:7], v[8:9]
	v_xor_b32_e32 v9, 0x80000000, v9
	v_xor_b32_e32 v11, 0x80000000, v7
	s_delay_alu instid0(VALU_DEP_3)
	v_mov_b32_e32 v10, v6
.LBB70_15:
	s_and_not1_saveexec_b32 s3, s3
	s_cbranch_execz .LBB70_17
; %bb.16:
	v_div_scale_f64 v[6:7], null, v[2:3], v[2:3], v[4:5]
	v_div_scale_f64 v[12:13], vcc_lo, v[4:5], v[2:3], v[4:5]
	s_delay_alu instid0(VALU_DEP_2) | instskip(SKIP_1) | instid1(TRANS32_DEP_1)
	v_rcp_f64_e32 v[8:9], v[6:7]
	v_nop
	v_fma_f64 v[10:11], -v[6:7], v[8:9], 1.0
	s_delay_alu instid0(VALU_DEP_1) | instskip(NEXT) | instid1(VALU_DEP_1)
	v_fmac_f64_e32 v[8:9], v[8:9], v[10:11]
	v_fma_f64 v[10:11], -v[6:7], v[8:9], 1.0
	s_delay_alu instid0(VALU_DEP_1) | instskip(NEXT) | instid1(VALU_DEP_1)
	v_fmac_f64_e32 v[8:9], v[8:9], v[10:11]
	v_mul_f64_e32 v[10:11], v[12:13], v[8:9]
	s_delay_alu instid0(VALU_DEP_1) | instskip(NEXT) | instid1(VALU_DEP_1)
	v_fma_f64 v[6:7], -v[6:7], v[10:11], v[12:13]
	v_div_fmas_f64 v[6:7], v[6:7], v[8:9], v[10:11]
	s_delay_alu instid0(VALU_DEP_1) | instskip(NEXT) | instid1(VALU_DEP_1)
	v_div_fixup_f64 v[8:9], v[6:7], v[2:3], v[4:5]
	v_fmac_f64_e32 v[2:3], v[4:5], v[8:9]
	s_delay_alu instid0(VALU_DEP_1) | instskip(NEXT) | instid1(VALU_DEP_1)
	v_div_scale_f64 v[4:5], null, v[2:3], v[2:3], 1.0
	v_rcp_f64_e32 v[6:7], v[4:5]
	v_nop
	s_delay_alu instid0(TRANS32_DEP_1) | instskip(NEXT) | instid1(VALU_DEP_1)
	v_fma_f64 v[10:11], -v[4:5], v[6:7], 1.0
	v_fmac_f64_e32 v[6:7], v[6:7], v[10:11]
	s_delay_alu instid0(VALU_DEP_1) | instskip(NEXT) | instid1(VALU_DEP_1)
	v_fma_f64 v[10:11], -v[4:5], v[6:7], 1.0
	v_fmac_f64_e32 v[6:7], v[6:7], v[10:11]
	v_div_scale_f64 v[10:11], vcc_lo, 1.0, v[2:3], 1.0
	s_delay_alu instid0(VALU_DEP_1) | instskip(NEXT) | instid1(VALU_DEP_1)
	v_mul_f64_e32 v[12:13], v[10:11], v[6:7]
	v_fma_f64 v[4:5], -v[4:5], v[12:13], v[10:11]
	s_delay_alu instid0(VALU_DEP_1) | instskip(NEXT) | instid1(VALU_DEP_1)
	v_div_fmas_f64 v[4:5], v[4:5], v[6:7], v[12:13]
	v_div_fixup_f64 v[6:7], v[4:5], v[2:3], 1.0
	s_delay_alu instid0(VALU_DEP_1)
	v_mul_f64_e64 v[8:9], v[8:9], -v[6:7]
	v_xor_b32_e32 v11, 0x80000000, v7
	v_mov_b32_e32 v10, v6
.LBB70_17:
	s_or_b32 exec_lo, exec_lo, s3
	s_clause 0x1
	scratch_store_b128 v19, v[6:9], off
	scratch_load_b128 v[2:5], off, s17
	v_xor_b32_e32 v13, 0x80000000, v9
	v_mov_b32_e32 v12, v8
	s_wait_xcnt 0x1
	v_add_nc_u32_e32 v6, 0x70, v28
	ds_store_b128 v28, v[10:13]
	s_wait_loadcnt 0x0
	ds_store_b128 v28, v[2:5] offset:112
	s_wait_storecnt_dscnt 0x0
	s_barrier_signal -1
	s_barrier_wait -1
	s_wait_xcnt 0x0
	s_and_saveexec_b32 s3, s2
	s_cbranch_execz .LBB70_19
; %bb.18:
	scratch_load_b128 v[2:5], v19, off
	ds_load_b128 v[8:11], v6
	v_mov_b32_e32 v7, 0
	ds_load_b128 v[30:33], v7 offset:16
	s_wait_loadcnt_dscnt 0x1
	v_mul_f64_e32 v[12:13], v[8:9], v[4:5]
	v_mul_f64_e32 v[4:5], v[10:11], v[4:5]
	s_delay_alu instid0(VALU_DEP_2) | instskip(NEXT) | instid1(VALU_DEP_2)
	v_fmac_f64_e32 v[12:13], v[10:11], v[2:3]
	v_fma_f64 v[2:3], v[8:9], v[2:3], -v[4:5]
	s_delay_alu instid0(VALU_DEP_2) | instskip(NEXT) | instid1(VALU_DEP_2)
	v_add_f64_e32 v[8:9], 0, v[12:13]
	v_add_f64_e32 v[2:3], 0, v[2:3]
	s_wait_dscnt 0x0
	s_delay_alu instid0(VALU_DEP_2) | instskip(NEXT) | instid1(VALU_DEP_2)
	v_mul_f64_e32 v[10:11], v[8:9], v[32:33]
	v_mul_f64_e32 v[4:5], v[2:3], v[32:33]
	s_delay_alu instid0(VALU_DEP_2) | instskip(NEXT) | instid1(VALU_DEP_2)
	v_fma_f64 v[2:3], v[2:3], v[30:31], -v[10:11]
	v_fmac_f64_e32 v[4:5], v[8:9], v[30:31]
	scratch_store_b128 off, v[2:5], off offset:16
.LBB70_19:
	s_wait_xcnt 0x0
	s_or_b32 exec_lo, exec_lo, s3
	s_wait_storecnt 0x0
	s_barrier_signal -1
	s_barrier_wait -1
	scratch_load_b128 v[2:5], off, s16
	s_mov_b32 s3, exec_lo
	s_wait_loadcnt 0x0
	ds_store_b128 v6, v[2:5]
	s_wait_dscnt 0x0
	s_barrier_signal -1
	s_barrier_wait -1
	v_cmpx_gt_u32_e32 2, v1
	s_cbranch_execz .LBB70_23
; %bb.20:
	scratch_load_b128 v[2:5], v19, off
	ds_load_b128 v[8:11], v6
	s_wait_loadcnt_dscnt 0x0
	v_mul_f64_e32 v[12:13], v[10:11], v[4:5]
	v_mul_f64_e32 v[30:31], v[8:9], v[4:5]
	s_delay_alu instid0(VALU_DEP_2) | instskip(NEXT) | instid1(VALU_DEP_2)
	v_fma_f64 v[4:5], v[8:9], v[2:3], -v[12:13]
	v_fmac_f64_e32 v[30:31], v[10:11], v[2:3]
	s_delay_alu instid0(VALU_DEP_2) | instskip(NEXT) | instid1(VALU_DEP_2)
	v_add_f64_e32 v[4:5], 0, v[4:5]
	v_add_f64_e32 v[2:3], 0, v[30:31]
	s_and_saveexec_b32 s19, s2
	s_cbranch_execz .LBB70_22
; %bb.21:
	scratch_load_b128 v[8:11], off, off offset:16
	v_mov_b32_e32 v7, 0
	ds_load_b128 v[30:33], v7 offset:128
	s_wait_loadcnt_dscnt 0x0
	v_mul_f64_e32 v[12:13], v[30:31], v[10:11]
	v_mul_f64_e32 v[10:11], v[32:33], v[10:11]
	s_delay_alu instid0(VALU_DEP_2) | instskip(NEXT) | instid1(VALU_DEP_2)
	v_fmac_f64_e32 v[12:13], v[32:33], v[8:9]
	v_fma_f64 v[8:9], v[30:31], v[8:9], -v[10:11]
	s_delay_alu instid0(VALU_DEP_2) | instskip(NEXT) | instid1(VALU_DEP_2)
	v_add_f64_e32 v[2:3], v[2:3], v[12:13]
	v_add_f64_e32 v[4:5], v[4:5], v[8:9]
.LBB70_22:
	s_or_b32 exec_lo, exec_lo, s19
	v_mov_b32_e32 v7, 0
	ds_load_b128 v[8:11], v7 offset:32
	s_wait_dscnt 0x0
	v_mul_f64_e32 v[30:31], v[2:3], v[10:11]
	v_mul_f64_e32 v[12:13], v[4:5], v[10:11]
	s_delay_alu instid0(VALU_DEP_2) | instskip(NEXT) | instid1(VALU_DEP_2)
	v_fma_f64 v[10:11], v[4:5], v[8:9], -v[30:31]
	v_fmac_f64_e32 v[12:13], v[2:3], v[8:9]
	scratch_store_b128 off, v[10:13], off offset:32
.LBB70_23:
	s_wait_xcnt 0x0
	s_or_b32 exec_lo, exec_lo, s3
	s_wait_storecnt 0x0
	s_barrier_signal -1
	s_barrier_wait -1
	scratch_load_b128 v[2:5], off, s14
	v_add_nc_u32_e32 v7, -1, v1
	s_mov_b32 s2, exec_lo
	s_wait_loadcnt 0x0
	ds_store_b128 v6, v[2:5]
	s_wait_dscnt 0x0
	s_barrier_signal -1
	s_barrier_wait -1
	v_cmpx_gt_u32_e32 3, v1
	s_cbranch_execz .LBB70_27
; %bb.24:
	v_dual_mov_b32 v10, v28 :: v_dual_add_nc_u32 v8, -1, v1
	v_mov_b64_e32 v[2:3], 0
	v_mov_b64_e32 v[4:5], 0
	v_add_nc_u32_e32 v9, 0x70, v28
	s_delay_alu instid0(VALU_DEP_4)
	v_or_b32_e32 v10, 8, v10
	s_mov_b32 s3, 0
.LBB70_25:                              ; =>This Inner Loop Header: Depth=1
	scratch_load_b128 v[30:33], v10, off offset:-8
	ds_load_b128 v[34:37], v9
	s_wait_xcnt 0x0
	v_dual_add_nc_u32 v9, 16, v9 :: v_dual_add_nc_u32 v10, 16, v10
	v_add_nc_u32_e32 v8, 1, v8
	s_delay_alu instid0(VALU_DEP_1) | instskip(SKIP_4) | instid1(VALU_DEP_2)
	v_cmp_lt_u32_e32 vcc_lo, 1, v8
	s_or_b32 s3, vcc_lo, s3
	s_wait_loadcnt_dscnt 0x0
	v_mul_f64_e32 v[12:13], v[36:37], v[32:33]
	v_mul_f64_e32 v[32:33], v[34:35], v[32:33]
	v_fma_f64 v[12:13], v[34:35], v[30:31], -v[12:13]
	s_delay_alu instid0(VALU_DEP_2) | instskip(NEXT) | instid1(VALU_DEP_2)
	v_fmac_f64_e32 v[32:33], v[36:37], v[30:31]
	v_add_f64_e32 v[4:5], v[4:5], v[12:13]
	s_delay_alu instid0(VALU_DEP_2)
	v_add_f64_e32 v[2:3], v[2:3], v[32:33]
	s_and_not1_b32 exec_lo, exec_lo, s3
	s_cbranch_execnz .LBB70_25
; %bb.26:
	s_or_b32 exec_lo, exec_lo, s3
	v_mov_b32_e32 v8, 0
	ds_load_b128 v[8:11], v8 offset:48
	s_wait_dscnt 0x0
	v_mul_f64_e32 v[30:31], v[2:3], v[10:11]
	v_mul_f64_e32 v[12:13], v[4:5], v[10:11]
	s_delay_alu instid0(VALU_DEP_2) | instskip(NEXT) | instid1(VALU_DEP_2)
	v_fma_f64 v[10:11], v[4:5], v[8:9], -v[30:31]
	v_fmac_f64_e32 v[12:13], v[2:3], v[8:9]
	scratch_store_b128 off, v[10:13], off offset:48
.LBB70_27:
	s_wait_xcnt 0x0
	s_or_b32 exec_lo, exec_lo, s2
	s_wait_storecnt 0x0
	s_barrier_signal -1
	s_barrier_wait -1
	scratch_load_b128 v[2:5], off, s12
	s_mov_b32 s2, exec_lo
	s_wait_loadcnt 0x0
	ds_store_b128 v6, v[2:5]
	s_wait_dscnt 0x0
	s_barrier_signal -1
	s_barrier_wait -1
	v_cmpx_gt_u32_e32 4, v1
	s_cbranch_execz .LBB70_31
; %bb.28:
	v_dual_mov_b32 v10, v28 :: v_dual_add_nc_u32 v8, -1, v1
	v_mov_b64_e32 v[2:3], 0
	v_mov_b64_e32 v[4:5], 0
	v_add_nc_u32_e32 v9, 0x70, v28
	s_delay_alu instid0(VALU_DEP_4)
	v_or_b32_e32 v10, 8, v10
	s_mov_b32 s3, 0
.LBB70_29:                              ; =>This Inner Loop Header: Depth=1
	scratch_load_b128 v[30:33], v10, off offset:-8
	ds_load_b128 v[34:37], v9
	s_wait_xcnt 0x0
	v_dual_add_nc_u32 v9, 16, v9 :: v_dual_add_nc_u32 v10, 16, v10
	v_add_nc_u32_e32 v8, 1, v8
	s_delay_alu instid0(VALU_DEP_1) | instskip(SKIP_4) | instid1(VALU_DEP_2)
	v_cmp_lt_u32_e32 vcc_lo, 2, v8
	s_or_b32 s3, vcc_lo, s3
	s_wait_loadcnt_dscnt 0x0
	v_mul_f64_e32 v[12:13], v[36:37], v[32:33]
	v_mul_f64_e32 v[32:33], v[34:35], v[32:33]
	v_fma_f64 v[12:13], v[34:35], v[30:31], -v[12:13]
	s_delay_alu instid0(VALU_DEP_2) | instskip(NEXT) | instid1(VALU_DEP_2)
	v_fmac_f64_e32 v[32:33], v[36:37], v[30:31]
	v_add_f64_e32 v[4:5], v[4:5], v[12:13]
	s_delay_alu instid0(VALU_DEP_2)
	v_add_f64_e32 v[2:3], v[2:3], v[32:33]
	s_and_not1_b32 exec_lo, exec_lo, s3
	s_cbranch_execnz .LBB70_29
; %bb.30:
	s_or_b32 exec_lo, exec_lo, s3
	v_mov_b32_e32 v8, 0
	ds_load_b128 v[8:11], v8 offset:64
	s_wait_dscnt 0x0
	v_mul_f64_e32 v[30:31], v[2:3], v[10:11]
	v_mul_f64_e32 v[12:13], v[4:5], v[10:11]
	s_delay_alu instid0(VALU_DEP_2) | instskip(NEXT) | instid1(VALU_DEP_2)
	v_fma_f64 v[10:11], v[4:5], v[8:9], -v[30:31]
	v_fmac_f64_e32 v[12:13], v[2:3], v[8:9]
	scratch_store_b128 off, v[10:13], off offset:64
.LBB70_31:
	s_wait_xcnt 0x0
	s_or_b32 exec_lo, exec_lo, s2
	s_wait_storecnt 0x0
	s_barrier_signal -1
	s_barrier_wait -1
	scratch_load_b128 v[2:5], off, s15
	;; [unrolled: 54-line block ×3, first 2 shown]
	s_mov_b32 s2, exec_lo
	s_wait_loadcnt 0x0
	ds_store_b128 v6, v[2:5]
	s_wait_dscnt 0x0
	s_barrier_signal -1
	s_barrier_wait -1
	v_cmpx_ne_u32_e32 6, v1
	s_cbranch_execz .LBB70_39
; %bb.36:
	v_mov_b32_e32 v8, v28
	v_mov_b64_e32 v[2:3], 0
	v_mov_b64_e32 v[4:5], 0
	s_mov_b32 s3, 0
	s_delay_alu instid0(VALU_DEP_3)
	v_or_b32_e32 v8, 8, v8
.LBB70_37:                              ; =>This Inner Loop Header: Depth=1
	scratch_load_b128 v[10:13], v8, off offset:-8
	ds_load_b128 v[28:31], v6
	v_dual_add_nc_u32 v7, 1, v7 :: v_dual_add_nc_u32 v6, 16, v6
	s_wait_xcnt 0x0
	v_add_nc_u32_e32 v8, 16, v8
	s_delay_alu instid0(VALU_DEP_2) | instskip(SKIP_4) | instid1(VALU_DEP_2)
	v_cmp_lt_u32_e32 vcc_lo, 4, v7
	s_or_b32 s3, vcc_lo, s3
	s_wait_loadcnt_dscnt 0x0
	v_mul_f64_e32 v[32:33], v[30:31], v[12:13]
	v_mul_f64_e32 v[12:13], v[28:29], v[12:13]
	v_fma_f64 v[28:29], v[28:29], v[10:11], -v[32:33]
	s_delay_alu instid0(VALU_DEP_2) | instskip(NEXT) | instid1(VALU_DEP_2)
	v_fmac_f64_e32 v[12:13], v[30:31], v[10:11]
	v_add_f64_e32 v[4:5], v[4:5], v[28:29]
	s_delay_alu instid0(VALU_DEP_2)
	v_add_f64_e32 v[2:3], v[2:3], v[12:13]
	s_and_not1_b32 exec_lo, exec_lo, s3
	s_cbranch_execnz .LBB70_37
; %bb.38:
	s_or_b32 exec_lo, exec_lo, s3
	v_mov_b32_e32 v6, 0
	ds_load_b128 v[6:9], v6 offset:96
	s_wait_dscnt 0x0
	v_mul_f64_e32 v[12:13], v[2:3], v[8:9]
	v_mul_f64_e32 v[10:11], v[4:5], v[8:9]
	s_delay_alu instid0(VALU_DEP_2) | instskip(NEXT) | instid1(VALU_DEP_2)
	v_fma_f64 v[8:9], v[4:5], v[6:7], -v[12:13]
	v_fmac_f64_e32 v[10:11], v[2:3], v[6:7]
	scratch_store_b128 off, v[8:11], off offset:96
.LBB70_39:
	s_wait_xcnt 0x0
	s_or_b32 exec_lo, exec_lo, s2
	s_mov_b32 s3, -1
	s_wait_storecnt 0x0
	s_barrier_signal -1
	s_barrier_wait -1
.LBB70_40:
	s_and_b32 vcc_lo, exec_lo, s3
	s_cbranch_vccz .LBB70_42
; %bb.41:
	s_wait_xcnt 0x0
	v_mov_b32_e32 v2, 0
	s_lshl_b64 s[2:3], s[10:11], 2
	s_delay_alu instid0(SALU_CYCLE_1)
	s_add_nc_u64 s[2:3], s[6:7], s[2:3]
	global_load_b32 v2, v2, s[2:3]
	s_wait_loadcnt 0x0
	v_cmp_ne_u32_e32 vcc_lo, 0, v2
	s_cbranch_vccz .LBB70_43
.LBB70_42:
	s_endpgm
.LBB70_43:
	v_lshl_add_u32 v6, v1, 4, 0x70
	s_wait_xcnt 0x0
	s_mov_b32 s2, exec_lo
	v_cmpx_eq_u32_e32 6, v1
	s_cbranch_execz .LBB70_45
; %bb.44:
	scratch_load_b128 v[2:5], off, s15
	v_mov_b32_e32 v8, 0
	s_delay_alu instid0(VALU_DEP_1)
	v_dual_mov_b32 v9, v8 :: v_dual_mov_b32 v10, v8
	v_mov_b32_e32 v11, v8
	scratch_store_b128 off, v[8:11], off offset:80
	s_wait_loadcnt 0x0
	ds_store_b128 v6, v[2:5]
.LBB70_45:
	s_wait_xcnt 0x0
	s_or_b32 exec_lo, exec_lo, s2
	s_wait_storecnt_dscnt 0x0
	s_barrier_signal -1
	s_barrier_wait -1
	s_clause 0x1
	scratch_load_b128 v[8:11], off, off offset:96
	scratch_load_b128 v[28:31], off, off offset:80
	v_mov_b32_e32 v2, 0
	s_mov_b32 s2, exec_lo
	ds_load_b128 v[32:35], v2 offset:208
	s_wait_loadcnt_dscnt 0x100
	v_mul_f64_e32 v[4:5], v[34:35], v[10:11]
	v_mul_f64_e32 v[10:11], v[32:33], v[10:11]
	s_delay_alu instid0(VALU_DEP_2) | instskip(NEXT) | instid1(VALU_DEP_2)
	v_fma_f64 v[4:5], v[32:33], v[8:9], -v[4:5]
	v_fmac_f64_e32 v[10:11], v[34:35], v[8:9]
	s_delay_alu instid0(VALU_DEP_2) | instskip(NEXT) | instid1(VALU_DEP_2)
	v_add_f64_e32 v[4:5], 0, v[4:5]
	v_add_f64_e32 v[10:11], 0, v[10:11]
	s_wait_loadcnt 0x0
	s_delay_alu instid0(VALU_DEP_2) | instskip(NEXT) | instid1(VALU_DEP_2)
	v_add_f64_e64 v[8:9], v[28:29], -v[4:5]
	v_add_f64_e64 v[10:11], v[30:31], -v[10:11]
	scratch_store_b128 off, v[8:11], off offset:80
	s_wait_xcnt 0x0
	v_cmpx_lt_u32_e32 4, v1
	s_cbranch_execz .LBB70_47
; %bb.46:
	scratch_load_b128 v[8:11], off, s12
	v_dual_mov_b32 v3, v2 :: v_dual_mov_b32 v4, v2
	v_mov_b32_e32 v5, v2
	scratch_store_b128 off, v[2:5], off offset:64
	s_wait_loadcnt 0x0
	ds_store_b128 v6, v[8:11]
.LBB70_47:
	s_wait_xcnt 0x0
	s_or_b32 exec_lo, exec_lo, s2
	s_wait_storecnt_dscnt 0x0
	s_barrier_signal -1
	s_barrier_wait -1
	s_clause 0x2
	scratch_load_b128 v[8:11], off, off offset:80
	scratch_load_b128 v[28:31], off, off offset:96
	;; [unrolled: 1-line block ×3, first 2 shown]
	ds_load_b128 v[36:39], v2 offset:192
	ds_load_b128 v[2:5], v2 offset:208
	s_mov_b32 s2, exec_lo
	s_wait_loadcnt_dscnt 0x201
	v_mul_f64_e32 v[12:13], v[38:39], v[10:11]
	v_mul_f64_e32 v[10:11], v[36:37], v[10:11]
	s_wait_loadcnt_dscnt 0x100
	v_mul_f64_e32 v[40:41], v[2:3], v[30:31]
	v_mul_f64_e32 v[30:31], v[4:5], v[30:31]
	s_delay_alu instid0(VALU_DEP_4) | instskip(NEXT) | instid1(VALU_DEP_4)
	v_fma_f64 v[12:13], v[36:37], v[8:9], -v[12:13]
	v_fmac_f64_e32 v[10:11], v[38:39], v[8:9]
	s_delay_alu instid0(VALU_DEP_4) | instskip(NEXT) | instid1(VALU_DEP_4)
	v_fmac_f64_e32 v[40:41], v[4:5], v[28:29]
	v_fma_f64 v[2:3], v[2:3], v[28:29], -v[30:31]
	s_delay_alu instid0(VALU_DEP_4) | instskip(NEXT) | instid1(VALU_DEP_4)
	v_add_f64_e32 v[4:5], 0, v[12:13]
	v_add_f64_e32 v[8:9], 0, v[10:11]
	s_delay_alu instid0(VALU_DEP_2) | instskip(NEXT) | instid1(VALU_DEP_2)
	v_add_f64_e32 v[2:3], v[4:5], v[2:3]
	v_add_f64_e32 v[4:5], v[8:9], v[40:41]
	s_wait_loadcnt 0x0
	s_delay_alu instid0(VALU_DEP_2) | instskip(NEXT) | instid1(VALU_DEP_2)
	v_add_f64_e64 v[2:3], v[32:33], -v[2:3]
	v_add_f64_e64 v[4:5], v[34:35], -v[4:5]
	scratch_store_b128 off, v[2:5], off offset:64
	s_wait_xcnt 0x0
	v_cmpx_lt_u32_e32 3, v1
	s_cbranch_execz .LBB70_49
; %bb.48:
	scratch_load_b128 v[2:5], off, s14
	v_mov_b32_e32 v8, 0
	s_delay_alu instid0(VALU_DEP_1)
	v_dual_mov_b32 v9, v8 :: v_dual_mov_b32 v10, v8
	v_mov_b32_e32 v11, v8
	scratch_store_b128 off, v[8:11], off offset:48
	s_wait_loadcnt 0x0
	ds_store_b128 v6, v[2:5]
.LBB70_49:
	s_wait_xcnt 0x0
	s_or_b32 exec_lo, exec_lo, s2
	s_wait_storecnt_dscnt 0x0
	s_barrier_signal -1
	s_barrier_wait -1
	s_clause 0x3
	scratch_load_b128 v[8:11], off, off offset:64
	scratch_load_b128 v[28:31], off, off offset:80
	;; [unrolled: 1-line block ×4, first 2 shown]
	v_mov_b32_e32 v2, 0
	ds_load_b128 v[40:43], v2 offset:176
	ds_load_b128 v[44:47], v2 offset:192
	s_mov_b32 s2, exec_lo
	s_wait_loadcnt_dscnt 0x301
	v_mul_f64_e32 v[4:5], v[42:43], v[10:11]
	v_mul_f64_e32 v[12:13], v[40:41], v[10:11]
	s_wait_loadcnt_dscnt 0x200
	v_mul_f64_e32 v[48:49], v[44:45], v[30:31]
	v_mul_f64_e32 v[30:31], v[46:47], v[30:31]
	s_delay_alu instid0(VALU_DEP_4) | instskip(NEXT) | instid1(VALU_DEP_4)
	v_fma_f64 v[4:5], v[40:41], v[8:9], -v[4:5]
	v_fmac_f64_e32 v[12:13], v[42:43], v[8:9]
	ds_load_b128 v[8:11], v2 offset:208
	v_fmac_f64_e32 v[48:49], v[46:47], v[28:29]
	v_fma_f64 v[28:29], v[44:45], v[28:29], -v[30:31]
	s_wait_loadcnt_dscnt 0x100
	v_mul_f64_e32 v[40:41], v[8:9], v[34:35]
	v_mul_f64_e32 v[34:35], v[10:11], v[34:35]
	v_add_f64_e32 v[4:5], 0, v[4:5]
	v_add_f64_e32 v[12:13], 0, v[12:13]
	s_delay_alu instid0(VALU_DEP_4) | instskip(NEXT) | instid1(VALU_DEP_4)
	v_fmac_f64_e32 v[40:41], v[10:11], v[32:33]
	v_fma_f64 v[8:9], v[8:9], v[32:33], -v[34:35]
	s_delay_alu instid0(VALU_DEP_4) | instskip(NEXT) | instid1(VALU_DEP_4)
	v_add_f64_e32 v[4:5], v[4:5], v[28:29]
	v_add_f64_e32 v[10:11], v[12:13], v[48:49]
	s_delay_alu instid0(VALU_DEP_2) | instskip(NEXT) | instid1(VALU_DEP_2)
	v_add_f64_e32 v[4:5], v[4:5], v[8:9]
	v_add_f64_e32 v[10:11], v[10:11], v[40:41]
	s_wait_loadcnt 0x0
	s_delay_alu instid0(VALU_DEP_2) | instskip(NEXT) | instid1(VALU_DEP_2)
	v_add_f64_e64 v[8:9], v[36:37], -v[4:5]
	v_add_f64_e64 v[10:11], v[38:39], -v[10:11]
	scratch_store_b128 off, v[8:11], off offset:48
	s_wait_xcnt 0x0
	v_cmpx_lt_u32_e32 2, v1
	s_cbranch_execz .LBB70_51
; %bb.50:
	scratch_load_b128 v[8:11], off, s16
	v_dual_mov_b32 v3, v2 :: v_dual_mov_b32 v4, v2
	v_mov_b32_e32 v5, v2
	scratch_store_b128 off, v[2:5], off offset:32
	s_wait_loadcnt 0x0
	ds_store_b128 v6, v[8:11]
.LBB70_51:
	s_wait_xcnt 0x0
	s_or_b32 exec_lo, exec_lo, s2
	s_wait_storecnt_dscnt 0x0
	s_barrier_signal -1
	s_barrier_wait -1
	s_clause 0x4
	scratch_load_b128 v[8:11], off, off offset:48
	scratch_load_b128 v[28:31], off, off offset:64
	;; [unrolled: 1-line block ×5, first 2 shown]
	ds_load_b128 v[44:47], v2 offset:160
	ds_load_b128 v[48:51], v2 offset:176
	s_mov_b32 s2, exec_lo
	v_ashrrev_i32_e32 v21, 31, v20
	v_dual_ashrrev_i32 v25, 31, v24 :: v_dual_ashrrev_i32 v19, 31, v18
	v_ashrrev_i32_e32 v23, 31, v22
	v_ashrrev_i32_e32 v27, 31, v26
	s_wait_loadcnt_dscnt 0x401
	v_mul_f64_e32 v[4:5], v[46:47], v[10:11]
	v_mul_f64_e32 v[12:13], v[44:45], v[10:11]
	s_wait_loadcnt_dscnt 0x300
	v_mul_f64_e32 v[52:53], v[48:49], v[30:31]
	v_mul_f64_e32 v[30:31], v[50:51], v[30:31]
	s_delay_alu instid0(VALU_DEP_4) | instskip(NEXT) | instid1(VALU_DEP_4)
	v_fma_f64 v[44:45], v[44:45], v[8:9], -v[4:5]
	v_fmac_f64_e32 v[12:13], v[46:47], v[8:9]
	ds_load_b128 v[8:11], v2 offset:192
	ds_load_b128 v[2:5], v2 offset:208
	v_fmac_f64_e32 v[52:53], v[50:51], v[28:29]
	v_fma_f64 v[28:29], v[48:49], v[28:29], -v[30:31]
	s_wait_loadcnt_dscnt 0x201
	v_mul_f64_e32 v[46:47], v[8:9], v[34:35]
	v_mul_f64_e32 v[34:35], v[10:11], v[34:35]
	v_add_f64_e32 v[30:31], 0, v[44:45]
	v_add_f64_e32 v[12:13], 0, v[12:13]
	s_wait_loadcnt_dscnt 0x100
	v_mul_f64_e32 v[44:45], v[2:3], v[38:39]
	v_mul_f64_e32 v[38:39], v[4:5], v[38:39]
	v_fmac_f64_e32 v[46:47], v[10:11], v[32:33]
	v_fma_f64 v[8:9], v[8:9], v[32:33], -v[34:35]
	v_add_f64_e32 v[10:11], v[30:31], v[28:29]
	v_add_f64_e32 v[12:13], v[12:13], v[52:53]
	v_fmac_f64_e32 v[44:45], v[4:5], v[36:37]
	v_fma_f64 v[2:3], v[2:3], v[36:37], -v[38:39]
	s_delay_alu instid0(VALU_DEP_4) | instskip(NEXT) | instid1(VALU_DEP_4)
	v_add_f64_e32 v[4:5], v[10:11], v[8:9]
	v_add_f64_e32 v[8:9], v[12:13], v[46:47]
	s_delay_alu instid0(VALU_DEP_2) | instskip(NEXT) | instid1(VALU_DEP_2)
	v_add_f64_e32 v[2:3], v[4:5], v[2:3]
	v_add_f64_e32 v[4:5], v[8:9], v[44:45]
	s_wait_loadcnt 0x0
	s_delay_alu instid0(VALU_DEP_2) | instskip(NEXT) | instid1(VALU_DEP_2)
	v_add_f64_e64 v[2:3], v[40:41], -v[2:3]
	v_add_f64_e64 v[4:5], v[42:43], -v[4:5]
	scratch_store_b128 off, v[2:5], off offset:32
	s_wait_xcnt 0x0
	v_cmpx_lt_u32_e32 1, v1
	s_cbranch_execz .LBB70_53
; %bb.52:
	scratch_load_b128 v[2:5], off, s17
	v_mov_b32_e32 v8, 0
	s_delay_alu instid0(VALU_DEP_1)
	v_dual_mov_b32 v9, v8 :: v_dual_mov_b32 v10, v8
	v_mov_b32_e32 v11, v8
	scratch_store_b128 off, v[8:11], off offset:16
	s_wait_loadcnt 0x0
	ds_store_b128 v6, v[2:5]
.LBB70_53:
	s_wait_xcnt 0x0
	s_or_b32 exec_lo, exec_lo, s2
	s_wait_storecnt_dscnt 0x0
	s_barrier_signal -1
	s_barrier_wait -1
	s_clause 0x5
	scratch_load_b128 v[8:11], off, off offset:32
	scratch_load_b128 v[28:31], off, off offset:48
	;; [unrolled: 1-line block ×6, first 2 shown]
	v_mov_b32_e32 v2, 0
	ds_load_b128 v[48:51], v2 offset:144
	ds_load_b128 v[52:55], v2 offset:160
	s_mov_b32 s2, exec_lo
	s_wait_loadcnt_dscnt 0x501
	v_mul_f64_e32 v[4:5], v[50:51], v[10:11]
	v_mul_f64_e32 v[12:13], v[48:49], v[10:11]
	s_wait_loadcnt_dscnt 0x400
	v_mul_f64_e32 v[56:57], v[52:53], v[30:31]
	v_mul_f64_e32 v[30:31], v[54:55], v[30:31]
	s_delay_alu instid0(VALU_DEP_4) | instskip(NEXT) | instid1(VALU_DEP_4)
	v_fma_f64 v[4:5], v[48:49], v[8:9], -v[4:5]
	v_fmac_f64_e32 v[12:13], v[50:51], v[8:9]
	ds_load_b128 v[8:11], v2 offset:176
	ds_load_b128 v[48:51], v2 offset:192
	v_fmac_f64_e32 v[56:57], v[54:55], v[28:29]
	v_fma_f64 v[28:29], v[52:53], v[28:29], -v[30:31]
	s_wait_loadcnt_dscnt 0x301
	v_mul_f64_e32 v[58:59], v[8:9], v[34:35]
	v_mul_f64_e32 v[34:35], v[10:11], v[34:35]
	s_wait_loadcnt_dscnt 0x200
	v_mul_f64_e32 v[30:31], v[48:49], v[38:39]
	v_mul_f64_e32 v[38:39], v[50:51], v[38:39]
	v_add_f64_e32 v[4:5], 0, v[4:5]
	v_add_f64_e32 v[12:13], 0, v[12:13]
	v_fmac_f64_e32 v[58:59], v[10:11], v[32:33]
	v_fma_f64 v[32:33], v[8:9], v[32:33], -v[34:35]
	ds_load_b128 v[8:11], v2 offset:208
	v_fmac_f64_e32 v[30:31], v[50:51], v[36:37]
	v_fma_f64 v[36:37], v[48:49], v[36:37], -v[38:39]
	v_add_f64_e32 v[4:5], v[4:5], v[28:29]
	v_add_f64_e32 v[12:13], v[12:13], v[56:57]
	s_wait_loadcnt_dscnt 0x100
	v_mul_f64_e32 v[28:29], v[8:9], v[42:43]
	v_mul_f64_e32 v[34:35], v[10:11], v[42:43]
	s_delay_alu instid0(VALU_DEP_4) | instskip(NEXT) | instid1(VALU_DEP_4)
	v_add_f64_e32 v[4:5], v[4:5], v[32:33]
	v_add_f64_e32 v[12:13], v[12:13], v[58:59]
	s_delay_alu instid0(VALU_DEP_4) | instskip(NEXT) | instid1(VALU_DEP_4)
	v_fmac_f64_e32 v[28:29], v[10:11], v[40:41]
	v_fma_f64 v[8:9], v[8:9], v[40:41], -v[34:35]
	s_delay_alu instid0(VALU_DEP_4) | instskip(NEXT) | instid1(VALU_DEP_4)
	v_add_f64_e32 v[4:5], v[4:5], v[36:37]
	v_add_f64_e32 v[10:11], v[12:13], v[30:31]
	s_delay_alu instid0(VALU_DEP_2) | instskip(NEXT) | instid1(VALU_DEP_2)
	v_add_f64_e32 v[4:5], v[4:5], v[8:9]
	v_add_f64_e32 v[10:11], v[10:11], v[28:29]
	s_wait_loadcnt 0x0
	s_delay_alu instid0(VALU_DEP_2) | instskip(NEXT) | instid1(VALU_DEP_2)
	v_add_f64_e64 v[8:9], v[44:45], -v[4:5]
	v_add_f64_e64 v[10:11], v[46:47], -v[10:11]
	scratch_store_b128 off, v[8:11], off offset:16
	s_wait_xcnt 0x0
	v_cmpx_ne_u32_e32 0, v1
	s_cbranch_execz .LBB70_55
; %bb.54:
	scratch_load_b128 v[8:11], off, off
	v_dual_mov_b32 v3, v2 :: v_dual_mov_b32 v4, v2
	v_mov_b32_e32 v5, v2
	scratch_store_b128 off, v[2:5], off
	s_wait_loadcnt 0x0
	ds_store_b128 v6, v[8:11]
.LBB70_55:
	s_wait_xcnt 0x0
	s_or_b32 exec_lo, exec_lo, s2
	s_wait_storecnt_dscnt 0x0
	s_barrier_signal -1
	s_barrier_wait -1
	s_clause 0x6
	scratch_load_b128 v[4:7], off, off offset:16
	scratch_load_b128 v[8:11], off, off offset:32
	;; [unrolled: 1-line block ×6, first 2 shown]
	scratch_load_b128 v[44:47], off, off
	ds_load_b128 v[48:51], v2 offset:128
	ds_load_b128 v[52:55], v2 offset:144
	s_and_b32 vcc_lo, exec_lo, s18
	s_wait_loadcnt_dscnt 0x601
	v_mul_f64_e32 v[12:13], v[50:51], v[6:7]
	v_mul_f64_e32 v[56:57], v[48:49], v[6:7]
	s_wait_loadcnt_dscnt 0x500
	v_mul_f64_e32 v[58:59], v[52:53], v[10:11]
	v_mul_f64_e32 v[60:61], v[54:55], v[10:11]
	s_delay_alu instid0(VALU_DEP_4) | instskip(NEXT) | instid1(VALU_DEP_4)
	v_fma_f64 v[48:49], v[48:49], v[4:5], -v[12:13]
	v_fmac_f64_e32 v[56:57], v[50:51], v[4:5]
	ds_load_b128 v[4:7], v2 offset:160
	ds_load_b128 v[10:13], v2 offset:176
	v_fmac_f64_e32 v[58:59], v[54:55], v[8:9]
	v_fma_f64 v[8:9], v[52:53], v[8:9], -v[60:61]
	s_wait_loadcnt_dscnt 0x401
	v_mul_f64_e32 v[50:51], v[4:5], v[30:31]
	v_mul_f64_e32 v[30:31], v[6:7], v[30:31]
	s_wait_loadcnt_dscnt 0x300
	v_mul_f64_e32 v[54:55], v[10:11], v[34:35]
	v_mul_f64_e32 v[34:35], v[12:13], v[34:35]
	v_add_f64_e32 v[48:49], 0, v[48:49]
	v_add_f64_e32 v[52:53], 0, v[56:57]
	v_fmac_f64_e32 v[50:51], v[6:7], v[28:29]
	v_fma_f64 v[56:57], v[4:5], v[28:29], -v[30:31]
	ds_load_b128 v[4:7], v2 offset:192
	ds_load_b128 v[28:31], v2 offset:208
	v_fmac_f64_e32 v[54:55], v[12:13], v[32:33]
	v_fma_f64 v[10:11], v[10:11], v[32:33], -v[34:35]
	v_add_f64_e32 v[8:9], v[48:49], v[8:9]
	v_add_f64_e32 v[48:49], v[52:53], v[58:59]
	s_wait_loadcnt_dscnt 0x201
	v_mul_f64_e32 v[2:3], v[4:5], v[38:39]
	v_mul_f64_e32 v[38:39], v[6:7], v[38:39]
	s_wait_loadcnt_dscnt 0x100
	v_mul_f64_e32 v[32:33], v[28:29], v[42:43]
	v_mul_f64_e32 v[34:35], v[30:31], v[42:43]
	v_add_f64_e32 v[8:9], v[8:9], v[56:57]
	v_add_f64_e32 v[12:13], v[48:49], v[50:51]
	v_fmac_f64_e32 v[2:3], v[6:7], v[36:37]
	v_fma_f64 v[4:5], v[4:5], v[36:37], -v[38:39]
	v_fmac_f64_e32 v[32:33], v[30:31], v[40:41]
	v_add_f64_e32 v[6:7], v[8:9], v[10:11]
	v_add_f64_e32 v[8:9], v[12:13], v[54:55]
	v_fma_f64 v[10:11], v[28:29], v[40:41], -v[34:35]
	s_delay_alu instid0(VALU_DEP_3) | instskip(NEXT) | instid1(VALU_DEP_3)
	v_add_f64_e32 v[4:5], v[6:7], v[4:5]
	v_add_f64_e32 v[2:3], v[8:9], v[2:3]
	v_lshl_add_u64 v[8:9], v[20:21], 4, s[4:5]
	v_lshl_add_u64 v[6:7], v[22:23], 4, s[4:5]
	s_delay_alu instid0(VALU_DEP_4) | instskip(NEXT) | instid1(VALU_DEP_4)
	v_add_f64_e32 v[4:5], v[4:5], v[10:11]
	v_add_f64_e32 v[2:3], v[2:3], v[32:33]
	v_lshl_add_u64 v[10:11], v[18:19], 4, s[4:5]
	s_wait_loadcnt 0x0
	s_delay_alu instid0(VALU_DEP_3) | instskip(NEXT) | instid1(VALU_DEP_3)
	v_add_f64_e64 v[28:29], v[44:45], -v[4:5]
	v_add_f64_e64 v[30:31], v[46:47], -v[2:3]
	v_lshl_add_u64 v[4:5], v[24:25], 4, s[4:5]
	v_lshl_add_u64 v[2:3], v[26:27], 4, s[4:5]
	scratch_store_b128 off, v[28:31], off
	s_cbranch_vccz .LBB70_68
; %bb.56:
	v_mov_b32_e32 v12, 0
	s_load_b64 s[2:3], s[0:1], 0x4
	v_bfe_u32 v18, v0, 10, 10
	v_bfe_u32 v0, v0, 20, 10
	global_load_b32 v13, v12, s[8:9] offset:20
	s_wait_kmcnt 0x0
	s_lshr_b32 s0, s2, 16
	v_mul_u32_u24_e32 v18, s3, v18
	s_mul_i32 s0, s0, s3
	s_delay_alu instid0(SALU_CYCLE_1) | instskip(NEXT) | instid1(VALU_DEP_1)
	v_mul_u32_u24_e32 v1, s0, v1
	v_add3_u32 v0, v1, v18, v0
	s_delay_alu instid0(VALU_DEP_1)
	v_lshl_add_u32 v0, v0, 4, 0xe8
	s_wait_loadcnt 0x0
	v_cmp_ne_u32_e32 vcc_lo, 6, v13
	s_cbranch_vccz .LBB70_58
; %bb.57:
	v_lshlrev_b32_e32 v1, 4, v13
	s_clause 0x1
	scratch_load_b128 v[18:21], off, s15
	scratch_load_b128 v[22:25], v1, off offset:-16
	s_wait_loadcnt 0x1
	ds_store_2addr_b64 v0, v[18:19], v[20:21] offset1:1
	s_wait_loadcnt 0x0
	s_clause 0x1
	scratch_store_b128 off, v[22:25], s15
	scratch_store_b128 v1, v[18:21], off offset:-16
.LBB70_58:
	global_load_b32 v1, v12, s[8:9] offset:16
	s_wait_loadcnt 0x0
	v_cmp_eq_u32_e32 vcc_lo, 5, v1
	s_cbranch_vccnz .LBB70_60
; %bb.59:
	v_lshlrev_b32_e32 v1, 4, v1
	s_clause 0x1
	scratch_load_b128 v[18:21], off, s12
	scratch_load_b128 v[22:25], v1, off offset:-16
	s_wait_loadcnt 0x1
	ds_store_2addr_b64 v0, v[18:19], v[20:21] offset1:1
	s_wait_loadcnt 0x0
	s_clause 0x1
	scratch_store_b128 off, v[22:25], s12
	scratch_store_b128 v1, v[18:21], off offset:-16
.LBB70_60:
	s_wait_xcnt 0x0
	v_mov_b32_e32 v1, 0
	global_load_b32 v12, v1, s[8:9] offset:12
	s_wait_loadcnt 0x0
	v_cmp_eq_u32_e32 vcc_lo, 4, v12
	s_cbranch_vccnz .LBB70_62
; %bb.61:
	v_lshlrev_b32_e32 v12, 4, v12
	s_clause 0x1
	scratch_load_b128 v[18:21], off, s14
	scratch_load_b128 v[22:25], v12, off offset:-16
	s_wait_loadcnt 0x1
	ds_store_2addr_b64 v0, v[18:19], v[20:21] offset1:1
	s_wait_loadcnt 0x0
	s_clause 0x1
	scratch_store_b128 off, v[22:25], s14
	scratch_store_b128 v12, v[18:21], off offset:-16
.LBB70_62:
	global_load_b32 v1, v1, s[8:9] offset:8
	s_wait_loadcnt 0x0
	v_cmp_eq_u32_e32 vcc_lo, 3, v1
	s_cbranch_vccnz .LBB70_64
; %bb.63:
	s_wait_xcnt 0x0
	v_lshlrev_b32_e32 v1, 4, v1
	s_clause 0x1
	scratch_load_b128 v[18:21], off, s16
	scratch_load_b128 v[22:25], v1, off offset:-16
	s_wait_loadcnt 0x1
	ds_store_2addr_b64 v0, v[18:19], v[20:21] offset1:1
	s_wait_loadcnt 0x0
	s_clause 0x1
	scratch_store_b128 off, v[22:25], s16
	scratch_store_b128 v1, v[18:21], off offset:-16
.LBB70_64:
	s_wait_xcnt 0x0
	v_mov_b32_e32 v1, 0
	global_load_b32 v12, v1, s[8:9] offset:4
	s_wait_loadcnt 0x0
	v_cmp_eq_u32_e32 vcc_lo, 2, v12
	s_cbranch_vccnz .LBB70_66
; %bb.65:
	v_lshlrev_b32_e32 v12, 4, v12
	s_clause 0x1
	scratch_load_b128 v[18:21], off, s17
	scratch_load_b128 v[22:25], v12, off offset:-16
	s_wait_loadcnt 0x1
	ds_store_2addr_b64 v0, v[18:19], v[20:21] offset1:1
	s_wait_loadcnt 0x0
	s_clause 0x1
	scratch_store_b128 off, v[22:25], s17
	scratch_store_b128 v12, v[18:21], off offset:-16
.LBB70_66:
	global_load_b32 v1, v1, s[8:9]
	s_wait_loadcnt 0x0
	v_cmp_eq_u32_e32 vcc_lo, 1, v1
	s_cbranch_vccnz .LBB70_68
; %bb.67:
	s_wait_xcnt 0x0
	v_lshlrev_b32_e32 v1, 4, v1
	scratch_load_b128 v[18:21], off, off
	scratch_load_b128 v[22:25], v1, off offset:-16
	s_wait_loadcnt 0x1
	ds_store_2addr_b64 v0, v[18:19], v[20:21] offset1:1
	s_wait_loadcnt 0x0
	scratch_store_b128 off, v[22:25], off
	scratch_store_b128 v1, v[18:21], off offset:-16
.LBB70_68:
	scratch_load_b128 v[18:21], off, off
	s_wait_loadcnt 0x0
	flat_store_b128 v[14:15], v[18:21]
	scratch_load_b128 v[12:15], off, s17
	s_wait_loadcnt 0x0
	flat_store_b128 v[16:17], v[12:15]
	scratch_load_b128 v[12:15], off, s16
	s_wait_loadcnt 0x0
	flat_store_b128 v[10:11], v[12:15]
	scratch_load_b128 v[10:13], off, s14
	s_wait_loadcnt 0x0
	flat_store_b128 v[8:9], v[10:13]
	scratch_load_b128 v[8:11], off, s12
	s_wait_loadcnt 0x0
	flat_store_b128 v[6:7], v[8:11]
	scratch_load_b128 v[6:9], off, s15
	s_wait_loadcnt 0x0
	flat_store_b128 v[4:5], v[6:9]
	scratch_load_b128 v[4:7], off, s13
	s_wait_loadcnt 0x0
	flat_store_b128 v[2:3], v[4:7]
	s_endpgm
	.section	.rodata,"a",@progbits
	.p2align	6, 0x0
	.amdhsa_kernel _ZN9rocsolver6v33100L18getri_kernel_smallILi7E19rocblas_complex_numIdEPKPS3_EEvT1_iilPiilS8_bb
		.amdhsa_group_segment_fixed_size 1256
		.amdhsa_private_segment_fixed_size 128
		.amdhsa_kernarg_size 60
		.amdhsa_user_sgpr_count 4
		.amdhsa_user_sgpr_dispatch_ptr 1
		.amdhsa_user_sgpr_queue_ptr 0
		.amdhsa_user_sgpr_kernarg_segment_ptr 1
		.amdhsa_user_sgpr_dispatch_id 0
		.amdhsa_user_sgpr_kernarg_preload_length 0
		.amdhsa_user_sgpr_kernarg_preload_offset 0
		.amdhsa_user_sgpr_private_segment_size 0
		.amdhsa_wavefront_size32 1
		.amdhsa_uses_dynamic_stack 0
		.amdhsa_enable_private_segment 1
		.amdhsa_system_sgpr_workgroup_id_x 1
		.amdhsa_system_sgpr_workgroup_id_y 0
		.amdhsa_system_sgpr_workgroup_id_z 0
		.amdhsa_system_sgpr_workgroup_info 0
		.amdhsa_system_vgpr_workitem_id 2
		.amdhsa_next_free_vgpr 62
		.amdhsa_next_free_sgpr 23
		.amdhsa_named_barrier_count 0
		.amdhsa_reserve_vcc 1
		.amdhsa_float_round_mode_32 0
		.amdhsa_float_round_mode_16_64 0
		.amdhsa_float_denorm_mode_32 3
		.amdhsa_float_denorm_mode_16_64 3
		.amdhsa_fp16_overflow 0
		.amdhsa_memory_ordered 1
		.amdhsa_forward_progress 1
		.amdhsa_inst_pref_size 47
		.amdhsa_round_robin_scheduling 0
		.amdhsa_exception_fp_ieee_invalid_op 0
		.amdhsa_exception_fp_denorm_src 0
		.amdhsa_exception_fp_ieee_div_zero 0
		.amdhsa_exception_fp_ieee_overflow 0
		.amdhsa_exception_fp_ieee_underflow 0
		.amdhsa_exception_fp_ieee_inexact 0
		.amdhsa_exception_int_div_zero 0
	.end_amdhsa_kernel
	.section	.text._ZN9rocsolver6v33100L18getri_kernel_smallILi7E19rocblas_complex_numIdEPKPS3_EEvT1_iilPiilS8_bb,"axG",@progbits,_ZN9rocsolver6v33100L18getri_kernel_smallILi7E19rocblas_complex_numIdEPKPS3_EEvT1_iilPiilS8_bb,comdat
.Lfunc_end70:
	.size	_ZN9rocsolver6v33100L18getri_kernel_smallILi7E19rocblas_complex_numIdEPKPS3_EEvT1_iilPiilS8_bb, .Lfunc_end70-_ZN9rocsolver6v33100L18getri_kernel_smallILi7E19rocblas_complex_numIdEPKPS3_EEvT1_iilPiilS8_bb
                                        ; -- End function
	.set _ZN9rocsolver6v33100L18getri_kernel_smallILi7E19rocblas_complex_numIdEPKPS3_EEvT1_iilPiilS8_bb.num_vgpr, 62
	.set _ZN9rocsolver6v33100L18getri_kernel_smallILi7E19rocblas_complex_numIdEPKPS3_EEvT1_iilPiilS8_bb.num_agpr, 0
	.set _ZN9rocsolver6v33100L18getri_kernel_smallILi7E19rocblas_complex_numIdEPKPS3_EEvT1_iilPiilS8_bb.numbered_sgpr, 23
	.set _ZN9rocsolver6v33100L18getri_kernel_smallILi7E19rocblas_complex_numIdEPKPS3_EEvT1_iilPiilS8_bb.num_named_barrier, 0
	.set _ZN9rocsolver6v33100L18getri_kernel_smallILi7E19rocblas_complex_numIdEPKPS3_EEvT1_iilPiilS8_bb.private_seg_size, 128
	.set _ZN9rocsolver6v33100L18getri_kernel_smallILi7E19rocblas_complex_numIdEPKPS3_EEvT1_iilPiilS8_bb.uses_vcc, 1
	.set _ZN9rocsolver6v33100L18getri_kernel_smallILi7E19rocblas_complex_numIdEPKPS3_EEvT1_iilPiilS8_bb.uses_flat_scratch, 1
	.set _ZN9rocsolver6v33100L18getri_kernel_smallILi7E19rocblas_complex_numIdEPKPS3_EEvT1_iilPiilS8_bb.has_dyn_sized_stack, 0
	.set _ZN9rocsolver6v33100L18getri_kernel_smallILi7E19rocblas_complex_numIdEPKPS3_EEvT1_iilPiilS8_bb.has_recursion, 0
	.set _ZN9rocsolver6v33100L18getri_kernel_smallILi7E19rocblas_complex_numIdEPKPS3_EEvT1_iilPiilS8_bb.has_indirect_call, 0
	.section	.AMDGPU.csdata,"",@progbits
; Kernel info:
; codeLenInByte = 5924
; TotalNumSgprs: 25
; NumVgprs: 62
; ScratchSize: 128
; MemoryBound: 0
; FloatMode: 240
; IeeeMode: 1
; LDSByteSize: 1256 bytes/workgroup (compile time only)
; SGPRBlocks: 0
; VGPRBlocks: 3
; NumSGPRsForWavesPerEU: 25
; NumVGPRsForWavesPerEU: 62
; NamedBarCnt: 0
; Occupancy: 16
; WaveLimiterHint : 1
; COMPUTE_PGM_RSRC2:SCRATCH_EN: 1
; COMPUTE_PGM_RSRC2:USER_SGPR: 4
; COMPUTE_PGM_RSRC2:TRAP_HANDLER: 0
; COMPUTE_PGM_RSRC2:TGID_X_EN: 1
; COMPUTE_PGM_RSRC2:TGID_Y_EN: 0
; COMPUTE_PGM_RSRC2:TGID_Z_EN: 0
; COMPUTE_PGM_RSRC2:TIDIG_COMP_CNT: 2
	.section	.text._ZN9rocsolver6v33100L18getri_kernel_smallILi8E19rocblas_complex_numIdEPKPS3_EEvT1_iilPiilS8_bb,"axG",@progbits,_ZN9rocsolver6v33100L18getri_kernel_smallILi8E19rocblas_complex_numIdEPKPS3_EEvT1_iilPiilS8_bb,comdat
	.globl	_ZN9rocsolver6v33100L18getri_kernel_smallILi8E19rocblas_complex_numIdEPKPS3_EEvT1_iilPiilS8_bb ; -- Begin function _ZN9rocsolver6v33100L18getri_kernel_smallILi8E19rocblas_complex_numIdEPKPS3_EEvT1_iilPiilS8_bb
	.p2align	8
	.type	_ZN9rocsolver6v33100L18getri_kernel_smallILi8E19rocblas_complex_numIdEPKPS3_EEvT1_iilPiilS8_bb,@function
_ZN9rocsolver6v33100L18getri_kernel_smallILi8E19rocblas_complex_numIdEPKPS3_EEvT1_iilPiilS8_bb: ; @_ZN9rocsolver6v33100L18getri_kernel_smallILi8E19rocblas_complex_numIdEPKPS3_EEvT1_iilPiilS8_bb
; %bb.0:
	v_and_b32_e32 v1, 0x3ff, v0
	s_mov_b32 s4, exec_lo
	s_delay_alu instid0(VALU_DEP_1)
	v_cmpx_gt_u32_e32 8, v1
	s_cbranch_execz .LBB71_46
; %bb.1:
	s_clause 0x1
	s_load_b32 s14, s[2:3], 0x38
	s_load_b64 s[8:9], s[2:3], 0x0
	s_getreg_b32 s6, hwreg(HW_REG_IB_STS2, 6, 4)
	s_wait_kmcnt 0x0
	s_bitcmp1_b32 s14, 8
	s_cselect_b32 s19, -1, 0
	s_bfe_u32 s4, ttmp6, 0x4000c
	s_and_b32 s5, ttmp6, 15
	s_add_co_i32 s4, s4, 1
	s_delay_alu instid0(SALU_CYCLE_1) | instskip(NEXT) | instid1(SALU_CYCLE_1)
	s_mul_i32 s4, ttmp9, s4
	s_add_co_i32 s5, s5, s4
	s_cmp_eq_u32 s6, 0
	s_cselect_b32 s10, ttmp9, s5
	s_load_b128 s[4:7], s[2:3], 0x28
	s_ashr_i32 s11, s10, 31
	s_delay_alu instid0(SALU_CYCLE_1) | instskip(NEXT) | instid1(SALU_CYCLE_1)
	s_lshl_b64 s[12:13], s[10:11], 3
	s_add_nc_u64 s[8:9], s[8:9], s[12:13]
	s_load_b64 s[12:13], s[8:9], 0x0
	s_wait_xcnt 0x0
	s_bfe_u32 s8, s14, 0x10008
	s_delay_alu instid0(SALU_CYCLE_1)
	s_cmp_eq_u32 s8, 0
                                        ; implicit-def: $sgpr8_sgpr9
	s_cbranch_scc1 .LBB71_3
; %bb.2:
	s_load_b96 s[16:18], s[2:3], 0x18
	s_wait_kmcnt 0x0
	s_mul_u64 s[4:5], s[4:5], s[10:11]
	s_delay_alu instid0(SALU_CYCLE_1) | instskip(SKIP_4) | instid1(SALU_CYCLE_1)
	s_lshl_b64 s[4:5], s[4:5], 2
	s_ashr_i32 s9, s18, 31
	s_mov_b32 s8, s18
	s_add_nc_u64 s[4:5], s[16:17], s[4:5]
	s_lshl_b64 s[8:9], s[8:9], 2
	s_add_nc_u64 s[8:9], s[4:5], s[8:9]
.LBB71_3:
	s_clause 0x1
	s_load_b64 s[14:15], s[2:3], 0x8
	s_load_b32 s20, s[2:3], 0x38
	v_dual_mov_b32 v31, 0 :: v_dual_lshlrev_b32 v30, 4, v1
	s_mov_b32 s18, 16
	s_mov_b32 s17, 32
	s_movk_i32 s16, 0x60
	s_wait_kmcnt 0x0
	s_ashr_i32 s3, s14, 31
	s_mov_b32 s2, s14
	v_add3_u32 v18, s15, s15, v1
	s_lshl_b64 s[2:3], s[2:3], 4
	s_mov_b32 s14, 48
	s_add_nc_u64 s[4:5], s[12:13], s[2:3]
	s_ashr_i32 s3, s15, 31
	flat_load_b128 v[2:5], v1, s[4:5] scale_offset
	v_add_nc_u64_e32 v[14:15], s[4:5], v[30:31]
	s_mov_b32 s2, s15
	v_add_nc_u32_e32 v20, s15, v18
	s_movk_i32 s12, 0x50
	s_movk_i32 s13, 0x70
	s_bitcmp0_b32 s20, 0
	s_delay_alu instid0(VALU_DEP_2) | instskip(SKIP_2) | instid1(VALU_DEP_1)
	v_lshl_add_u64 v[16:17], s[2:3], 4, v[14:15]
	v_add_nc_u32_e32 v22, s15, v20
	s_mov_b32 s3, -1
	v_add_nc_u32_e32 v24, s15, v22
	s_delay_alu instid0(VALU_DEP_1) | instskip(NEXT) | instid1(VALU_DEP_1)
	v_add_nc_u32_e32 v26, s15, v24
	v_add_nc_u32_e32 v28, s15, v26
	s_mov_b32 s15, 64
	s_wait_loadcnt_dscnt 0x0
	scratch_store_b128 off, v[2:5], off
	flat_load_b128 v[2:5], v[16:17]
	s_wait_loadcnt_dscnt 0x0
	scratch_store_b128 off, v[2:5], off offset:16
	flat_load_b128 v[2:5], v18, s[4:5] scale_offset
	s_wait_loadcnt_dscnt 0x0
	scratch_store_b128 off, v[2:5], off offset:32
	flat_load_b128 v[2:5], v20, s[4:5] scale_offset
	;; [unrolled: 3-line block ×6, first 2 shown]
	s_wait_loadcnt_dscnt 0x0
	scratch_store_b128 off, v[2:5], off offset:112
	s_cbranch_scc1 .LBB71_44
; %bb.4:
	v_cmp_eq_u32_e64 s2, 0, v1
	s_wait_xcnt 0x0
	s_and_saveexec_b32 s3, s2
; %bb.5:
	v_mov_b32_e32 v2, 0
	ds_store_b32 v2, v2 offset:256
; %bb.6:
	s_or_b32 exec_lo, exec_lo, s3
	s_wait_storecnt_dscnt 0x0
	s_barrier_signal -1
	s_barrier_wait -1
	scratch_load_b128 v[2:5], v1, off scale_offset
	s_wait_loadcnt 0x0
	v_cmp_eq_f64_e32 vcc_lo, 0, v[2:3]
	v_cmp_eq_f64_e64 s3, 0, v[4:5]
	s_and_b32 s3, vcc_lo, s3
	s_delay_alu instid0(SALU_CYCLE_1)
	s_and_saveexec_b32 s20, s3
	s_cbranch_execz .LBB71_10
; %bb.7:
	v_mov_b32_e32 v2, 0
	s_mov_b32 s21, 0
	ds_load_b32 v3, v2 offset:256
	s_wait_dscnt 0x0
	v_readfirstlane_b32 s3, v3
	v_add_nc_u32_e32 v3, 1, v1
	s_cmp_eq_u32 s3, 0
	s_delay_alu instid0(VALU_DEP_1) | instskip(SKIP_1) | instid1(SALU_CYCLE_1)
	v_cmp_gt_i32_e32 vcc_lo, s3, v3
	s_cselect_b32 s22, -1, 0
	s_or_b32 s22, s22, vcc_lo
	s_delay_alu instid0(SALU_CYCLE_1)
	s_and_b32 exec_lo, exec_lo, s22
	s_cbranch_execz .LBB71_10
; %bb.8:
	v_mov_b32_e32 v4, s3
.LBB71_9:                               ; =>This Inner Loop Header: Depth=1
	ds_cmpstore_rtn_b32 v4, v2, v3, v4 offset:256
	s_wait_dscnt 0x0
	v_cmp_ne_u32_e32 vcc_lo, 0, v4
	v_cmp_le_i32_e64 s3, v4, v3
	s_and_b32 s3, vcc_lo, s3
	s_delay_alu instid0(SALU_CYCLE_1) | instskip(NEXT) | instid1(SALU_CYCLE_1)
	s_and_b32 s3, exec_lo, s3
	s_or_b32 s21, s3, s21
	s_delay_alu instid0(SALU_CYCLE_1)
	s_and_not1_b32 exec_lo, exec_lo, s21
	s_cbranch_execnz .LBB71_9
.LBB71_10:
	s_or_b32 exec_lo, exec_lo, s20
	v_mov_b32_e32 v2, 0
	s_barrier_signal -1
	s_barrier_wait -1
	ds_load_b32 v3, v2 offset:256
	s_and_saveexec_b32 s3, s2
	s_cbranch_execz .LBB71_12
; %bb.11:
	s_lshl_b64 s[20:21], s[10:11], 2
	s_delay_alu instid0(SALU_CYCLE_1)
	s_add_nc_u64 s[20:21], s[6:7], s[20:21]
	s_wait_dscnt 0x0
	global_store_b32 v2, v3, s[20:21]
.LBB71_12:
	s_wait_xcnt 0x0
	s_or_b32 exec_lo, exec_lo, s3
	s_wait_dscnt 0x0
	v_cmp_ne_u32_e32 vcc_lo, 0, v3
	s_mov_b32 s3, 0
	s_cbranch_vccnz .LBB71_44
; %bb.13:
	v_lshl_add_u32 v19, v1, 4, 0
                                        ; implicit-def: $vgpr6_vgpr7
                                        ; implicit-def: $vgpr10_vgpr11
	scratch_load_b128 v[2:5], v19, off
	s_wait_loadcnt 0x0
	v_cmp_ngt_f64_e64 s3, |v[2:3]|, |v[4:5]|
	s_wait_xcnt 0x0
	s_and_saveexec_b32 s20, s3
	s_delay_alu instid0(SALU_CYCLE_1)
	s_xor_b32 s3, exec_lo, s20
	s_cbranch_execz .LBB71_15
; %bb.14:
	v_div_scale_f64 v[6:7], null, v[4:5], v[4:5], v[2:3]
	v_div_scale_f64 v[12:13], vcc_lo, v[2:3], v[4:5], v[2:3]
	s_delay_alu instid0(VALU_DEP_2) | instskip(SKIP_1) | instid1(TRANS32_DEP_1)
	v_rcp_f64_e32 v[8:9], v[6:7]
	v_nop
	v_fma_f64 v[10:11], -v[6:7], v[8:9], 1.0
	s_delay_alu instid0(VALU_DEP_1) | instskip(NEXT) | instid1(VALU_DEP_1)
	v_fmac_f64_e32 v[8:9], v[8:9], v[10:11]
	v_fma_f64 v[10:11], -v[6:7], v[8:9], 1.0
	s_delay_alu instid0(VALU_DEP_1) | instskip(NEXT) | instid1(VALU_DEP_1)
	v_fmac_f64_e32 v[8:9], v[8:9], v[10:11]
	v_mul_f64_e32 v[10:11], v[12:13], v[8:9]
	s_delay_alu instid0(VALU_DEP_1) | instskip(NEXT) | instid1(VALU_DEP_1)
	v_fma_f64 v[6:7], -v[6:7], v[10:11], v[12:13]
	v_div_fmas_f64 v[6:7], v[6:7], v[8:9], v[10:11]
	s_delay_alu instid0(VALU_DEP_1) | instskip(NEXT) | instid1(VALU_DEP_1)
	v_div_fixup_f64 v[6:7], v[6:7], v[4:5], v[2:3]
	v_fmac_f64_e32 v[4:5], v[2:3], v[6:7]
	s_delay_alu instid0(VALU_DEP_1) | instskip(SKIP_1) | instid1(VALU_DEP_2)
	v_div_scale_f64 v[2:3], null, v[4:5], v[4:5], 1.0
	v_div_scale_f64 v[12:13], vcc_lo, 1.0, v[4:5], 1.0
	v_rcp_f64_e32 v[8:9], v[2:3]
	v_nop
	s_delay_alu instid0(TRANS32_DEP_1) | instskip(NEXT) | instid1(VALU_DEP_1)
	v_fma_f64 v[10:11], -v[2:3], v[8:9], 1.0
	v_fmac_f64_e32 v[8:9], v[8:9], v[10:11]
	s_delay_alu instid0(VALU_DEP_1) | instskip(NEXT) | instid1(VALU_DEP_1)
	v_fma_f64 v[10:11], -v[2:3], v[8:9], 1.0
	v_fmac_f64_e32 v[8:9], v[8:9], v[10:11]
	s_delay_alu instid0(VALU_DEP_1) | instskip(NEXT) | instid1(VALU_DEP_1)
	v_mul_f64_e32 v[10:11], v[12:13], v[8:9]
	v_fma_f64 v[2:3], -v[2:3], v[10:11], v[12:13]
	s_delay_alu instid0(VALU_DEP_1) | instskip(NEXT) | instid1(VALU_DEP_1)
	v_div_fmas_f64 v[2:3], v[2:3], v[8:9], v[10:11]
	v_div_fixup_f64 v[8:9], v[2:3], v[4:5], 1.0
                                        ; implicit-def: $vgpr2_vgpr3
	s_delay_alu instid0(VALU_DEP_1) | instskip(SKIP_1) | instid1(VALU_DEP_2)
	v_mul_f64_e32 v[6:7], v[6:7], v[8:9]
	v_xor_b32_e32 v9, 0x80000000, v9
	v_xor_b32_e32 v11, 0x80000000, v7
	s_delay_alu instid0(VALU_DEP_3)
	v_mov_b32_e32 v10, v6
.LBB71_15:
	s_and_not1_saveexec_b32 s3, s3
	s_cbranch_execz .LBB71_17
; %bb.16:
	v_div_scale_f64 v[6:7], null, v[2:3], v[2:3], v[4:5]
	v_div_scale_f64 v[12:13], vcc_lo, v[4:5], v[2:3], v[4:5]
	s_delay_alu instid0(VALU_DEP_2) | instskip(SKIP_1) | instid1(TRANS32_DEP_1)
	v_rcp_f64_e32 v[8:9], v[6:7]
	v_nop
	v_fma_f64 v[10:11], -v[6:7], v[8:9], 1.0
	s_delay_alu instid0(VALU_DEP_1) | instskip(NEXT) | instid1(VALU_DEP_1)
	v_fmac_f64_e32 v[8:9], v[8:9], v[10:11]
	v_fma_f64 v[10:11], -v[6:7], v[8:9], 1.0
	s_delay_alu instid0(VALU_DEP_1) | instskip(NEXT) | instid1(VALU_DEP_1)
	v_fmac_f64_e32 v[8:9], v[8:9], v[10:11]
	v_mul_f64_e32 v[10:11], v[12:13], v[8:9]
	s_delay_alu instid0(VALU_DEP_1) | instskip(NEXT) | instid1(VALU_DEP_1)
	v_fma_f64 v[6:7], -v[6:7], v[10:11], v[12:13]
	v_div_fmas_f64 v[6:7], v[6:7], v[8:9], v[10:11]
	s_delay_alu instid0(VALU_DEP_1) | instskip(NEXT) | instid1(VALU_DEP_1)
	v_div_fixup_f64 v[8:9], v[6:7], v[2:3], v[4:5]
	v_fmac_f64_e32 v[2:3], v[4:5], v[8:9]
	s_delay_alu instid0(VALU_DEP_1) | instskip(NEXT) | instid1(VALU_DEP_1)
	v_div_scale_f64 v[4:5], null, v[2:3], v[2:3], 1.0
	v_rcp_f64_e32 v[6:7], v[4:5]
	v_nop
	s_delay_alu instid0(TRANS32_DEP_1) | instskip(NEXT) | instid1(VALU_DEP_1)
	v_fma_f64 v[10:11], -v[4:5], v[6:7], 1.0
	v_fmac_f64_e32 v[6:7], v[6:7], v[10:11]
	s_delay_alu instid0(VALU_DEP_1) | instskip(NEXT) | instid1(VALU_DEP_1)
	v_fma_f64 v[10:11], -v[4:5], v[6:7], 1.0
	v_fmac_f64_e32 v[6:7], v[6:7], v[10:11]
	v_div_scale_f64 v[10:11], vcc_lo, 1.0, v[2:3], 1.0
	s_delay_alu instid0(VALU_DEP_1) | instskip(NEXT) | instid1(VALU_DEP_1)
	v_mul_f64_e32 v[12:13], v[10:11], v[6:7]
	v_fma_f64 v[4:5], -v[4:5], v[12:13], v[10:11]
	s_delay_alu instid0(VALU_DEP_1) | instskip(NEXT) | instid1(VALU_DEP_1)
	v_div_fmas_f64 v[4:5], v[4:5], v[6:7], v[12:13]
	v_div_fixup_f64 v[6:7], v[4:5], v[2:3], 1.0
	s_delay_alu instid0(VALU_DEP_1)
	v_mul_f64_e64 v[8:9], v[8:9], -v[6:7]
	v_xor_b32_e32 v11, 0x80000000, v7
	v_mov_b32_e32 v10, v6
.LBB71_17:
	s_or_b32 exec_lo, exec_lo, s3
	s_clause 0x1
	scratch_store_b128 v19, v[6:9], off
	scratch_load_b128 v[2:5], off, s18
	v_xor_b32_e32 v13, 0x80000000, v9
	v_mov_b32_e32 v12, v8
	s_wait_xcnt 0x1
	v_add_nc_u32_e32 v6, 0x80, v30
	ds_store_b128 v30, v[10:13]
	s_wait_loadcnt 0x0
	ds_store_b128 v30, v[2:5] offset:128
	s_wait_storecnt_dscnt 0x0
	s_barrier_signal -1
	s_barrier_wait -1
	s_wait_xcnt 0x0
	s_and_saveexec_b32 s3, s2
	s_cbranch_execz .LBB71_19
; %bb.18:
	scratch_load_b128 v[2:5], v19, off
	ds_load_b128 v[8:11], v6
	v_mov_b32_e32 v7, 0
	ds_load_b128 v[32:35], v7 offset:16
	s_wait_loadcnt_dscnt 0x1
	v_mul_f64_e32 v[12:13], v[8:9], v[4:5]
	v_mul_f64_e32 v[4:5], v[10:11], v[4:5]
	s_delay_alu instid0(VALU_DEP_2) | instskip(NEXT) | instid1(VALU_DEP_2)
	v_fmac_f64_e32 v[12:13], v[10:11], v[2:3]
	v_fma_f64 v[2:3], v[8:9], v[2:3], -v[4:5]
	s_delay_alu instid0(VALU_DEP_2) | instskip(NEXT) | instid1(VALU_DEP_2)
	v_add_f64_e32 v[8:9], 0, v[12:13]
	v_add_f64_e32 v[2:3], 0, v[2:3]
	s_wait_dscnt 0x0
	s_delay_alu instid0(VALU_DEP_2) | instskip(NEXT) | instid1(VALU_DEP_2)
	v_mul_f64_e32 v[10:11], v[8:9], v[34:35]
	v_mul_f64_e32 v[4:5], v[2:3], v[34:35]
	s_delay_alu instid0(VALU_DEP_2) | instskip(NEXT) | instid1(VALU_DEP_2)
	v_fma_f64 v[2:3], v[2:3], v[32:33], -v[10:11]
	v_fmac_f64_e32 v[4:5], v[8:9], v[32:33]
	scratch_store_b128 off, v[2:5], off offset:16
.LBB71_19:
	s_wait_xcnt 0x0
	s_or_b32 exec_lo, exec_lo, s3
	s_wait_storecnt 0x0
	s_barrier_signal -1
	s_barrier_wait -1
	scratch_load_b128 v[2:5], off, s17
	s_mov_b32 s3, exec_lo
	s_wait_loadcnt 0x0
	ds_store_b128 v6, v[2:5]
	s_wait_dscnt 0x0
	s_barrier_signal -1
	s_barrier_wait -1
	v_cmpx_gt_u32_e32 2, v1
	s_cbranch_execz .LBB71_23
; %bb.20:
	scratch_load_b128 v[2:5], v19, off
	ds_load_b128 v[8:11], v6
	s_wait_loadcnt_dscnt 0x0
	v_mul_f64_e32 v[12:13], v[10:11], v[4:5]
	v_mul_f64_e32 v[32:33], v[8:9], v[4:5]
	s_delay_alu instid0(VALU_DEP_2) | instskip(NEXT) | instid1(VALU_DEP_2)
	v_fma_f64 v[4:5], v[8:9], v[2:3], -v[12:13]
	v_fmac_f64_e32 v[32:33], v[10:11], v[2:3]
	s_delay_alu instid0(VALU_DEP_2) | instskip(NEXT) | instid1(VALU_DEP_2)
	v_add_f64_e32 v[4:5], 0, v[4:5]
	v_add_f64_e32 v[2:3], 0, v[32:33]
	s_and_saveexec_b32 s20, s2
	s_cbranch_execz .LBB71_22
; %bb.21:
	scratch_load_b128 v[8:11], off, off offset:16
	v_mov_b32_e32 v7, 0
	ds_load_b128 v[32:35], v7 offset:144
	s_wait_loadcnt_dscnt 0x0
	v_mul_f64_e32 v[12:13], v[32:33], v[10:11]
	v_mul_f64_e32 v[10:11], v[34:35], v[10:11]
	s_delay_alu instid0(VALU_DEP_2) | instskip(NEXT) | instid1(VALU_DEP_2)
	v_fmac_f64_e32 v[12:13], v[34:35], v[8:9]
	v_fma_f64 v[8:9], v[32:33], v[8:9], -v[10:11]
	s_delay_alu instid0(VALU_DEP_2) | instskip(NEXT) | instid1(VALU_DEP_2)
	v_add_f64_e32 v[2:3], v[2:3], v[12:13]
	v_add_f64_e32 v[4:5], v[4:5], v[8:9]
.LBB71_22:
	s_or_b32 exec_lo, exec_lo, s20
	v_mov_b32_e32 v7, 0
	ds_load_b128 v[8:11], v7 offset:32
	s_wait_dscnt 0x0
	v_mul_f64_e32 v[32:33], v[2:3], v[10:11]
	v_mul_f64_e32 v[12:13], v[4:5], v[10:11]
	s_delay_alu instid0(VALU_DEP_2) | instskip(NEXT) | instid1(VALU_DEP_2)
	v_fma_f64 v[10:11], v[4:5], v[8:9], -v[32:33]
	v_fmac_f64_e32 v[12:13], v[2:3], v[8:9]
	scratch_store_b128 off, v[10:13], off offset:32
.LBB71_23:
	s_wait_xcnt 0x0
	s_or_b32 exec_lo, exec_lo, s3
	s_wait_storecnt 0x0
	s_barrier_signal -1
	s_barrier_wait -1
	scratch_load_b128 v[2:5], off, s14
	v_add_nc_u32_e32 v7, -1, v1
	s_mov_b32 s2, exec_lo
	s_wait_loadcnt 0x0
	ds_store_b128 v6, v[2:5]
	s_wait_dscnt 0x0
	s_barrier_signal -1
	s_barrier_wait -1
	v_cmpx_gt_u32_e32 3, v1
	s_cbranch_execz .LBB71_27
; %bb.24:
	v_dual_mov_b32 v10, v30 :: v_dual_add_nc_u32 v8, -1, v1
	v_mov_b64_e32 v[2:3], 0
	v_mov_b64_e32 v[4:5], 0
	v_add_nc_u32_e32 v9, 0x80, v30
	s_delay_alu instid0(VALU_DEP_4)
	v_or_b32_e32 v10, 8, v10
	s_mov_b32 s3, 0
.LBB71_25:                              ; =>This Inner Loop Header: Depth=1
	scratch_load_b128 v[32:35], v10, off offset:-8
	ds_load_b128 v[36:39], v9
	v_dual_add_nc_u32 v8, 1, v8 :: v_dual_add_nc_u32 v9, 16, v9
	s_wait_xcnt 0x0
	v_add_nc_u32_e32 v10, 16, v10
	s_delay_alu instid0(VALU_DEP_2) | instskip(SKIP_4) | instid1(VALU_DEP_2)
	v_cmp_lt_u32_e32 vcc_lo, 1, v8
	s_or_b32 s3, vcc_lo, s3
	s_wait_loadcnt_dscnt 0x0
	v_mul_f64_e32 v[12:13], v[38:39], v[34:35]
	v_mul_f64_e32 v[34:35], v[36:37], v[34:35]
	v_fma_f64 v[12:13], v[36:37], v[32:33], -v[12:13]
	s_delay_alu instid0(VALU_DEP_2) | instskip(NEXT) | instid1(VALU_DEP_2)
	v_fmac_f64_e32 v[34:35], v[38:39], v[32:33]
	v_add_f64_e32 v[4:5], v[4:5], v[12:13]
	s_delay_alu instid0(VALU_DEP_2)
	v_add_f64_e32 v[2:3], v[2:3], v[34:35]
	s_and_not1_b32 exec_lo, exec_lo, s3
	s_cbranch_execnz .LBB71_25
; %bb.26:
	s_or_b32 exec_lo, exec_lo, s3
	v_mov_b32_e32 v8, 0
	ds_load_b128 v[8:11], v8 offset:48
	s_wait_dscnt 0x0
	v_mul_f64_e32 v[32:33], v[2:3], v[10:11]
	v_mul_f64_e32 v[12:13], v[4:5], v[10:11]
	s_delay_alu instid0(VALU_DEP_2) | instskip(NEXT) | instid1(VALU_DEP_2)
	v_fma_f64 v[10:11], v[4:5], v[8:9], -v[32:33]
	v_fmac_f64_e32 v[12:13], v[2:3], v[8:9]
	scratch_store_b128 off, v[10:13], off offset:48
.LBB71_27:
	s_wait_xcnt 0x0
	s_or_b32 exec_lo, exec_lo, s2
	s_wait_storecnt 0x0
	s_barrier_signal -1
	s_barrier_wait -1
	scratch_load_b128 v[2:5], off, s15
	s_mov_b32 s2, exec_lo
	s_wait_loadcnt 0x0
	ds_store_b128 v6, v[2:5]
	s_wait_dscnt 0x0
	s_barrier_signal -1
	s_barrier_wait -1
	v_cmpx_gt_u32_e32 4, v1
	s_cbranch_execz .LBB71_31
; %bb.28:
	v_dual_mov_b32 v10, v30 :: v_dual_add_nc_u32 v8, -1, v1
	v_mov_b64_e32 v[2:3], 0
	v_mov_b64_e32 v[4:5], 0
	v_add_nc_u32_e32 v9, 0x80, v30
	s_delay_alu instid0(VALU_DEP_4)
	v_or_b32_e32 v10, 8, v10
	s_mov_b32 s3, 0
.LBB71_29:                              ; =>This Inner Loop Header: Depth=1
	scratch_load_b128 v[32:35], v10, off offset:-8
	ds_load_b128 v[36:39], v9
	v_dual_add_nc_u32 v8, 1, v8 :: v_dual_add_nc_u32 v9, 16, v9
	s_wait_xcnt 0x0
	v_add_nc_u32_e32 v10, 16, v10
	s_delay_alu instid0(VALU_DEP_2) | instskip(SKIP_4) | instid1(VALU_DEP_2)
	v_cmp_lt_u32_e32 vcc_lo, 2, v8
	s_or_b32 s3, vcc_lo, s3
	s_wait_loadcnt_dscnt 0x0
	v_mul_f64_e32 v[12:13], v[38:39], v[34:35]
	v_mul_f64_e32 v[34:35], v[36:37], v[34:35]
	v_fma_f64 v[12:13], v[36:37], v[32:33], -v[12:13]
	s_delay_alu instid0(VALU_DEP_2) | instskip(NEXT) | instid1(VALU_DEP_2)
	v_fmac_f64_e32 v[34:35], v[38:39], v[32:33]
	v_add_f64_e32 v[4:5], v[4:5], v[12:13]
	s_delay_alu instid0(VALU_DEP_2)
	v_add_f64_e32 v[2:3], v[2:3], v[34:35]
	s_and_not1_b32 exec_lo, exec_lo, s3
	s_cbranch_execnz .LBB71_29
; %bb.30:
	s_or_b32 exec_lo, exec_lo, s3
	v_mov_b32_e32 v8, 0
	ds_load_b128 v[8:11], v8 offset:64
	s_wait_dscnt 0x0
	v_mul_f64_e32 v[32:33], v[2:3], v[10:11]
	v_mul_f64_e32 v[12:13], v[4:5], v[10:11]
	s_delay_alu instid0(VALU_DEP_2) | instskip(NEXT) | instid1(VALU_DEP_2)
	v_fma_f64 v[10:11], v[4:5], v[8:9], -v[32:33]
	v_fmac_f64_e32 v[12:13], v[2:3], v[8:9]
	scratch_store_b128 off, v[10:13], off offset:64
.LBB71_31:
	s_wait_xcnt 0x0
	s_or_b32 exec_lo, exec_lo, s2
	s_wait_storecnt 0x0
	s_barrier_signal -1
	s_barrier_wait -1
	scratch_load_b128 v[2:5], off, s12
	;; [unrolled: 54-line block ×4, first 2 shown]
	s_mov_b32 s2, exec_lo
	s_wait_loadcnt 0x0
	ds_store_b128 v6, v[2:5]
	s_wait_dscnt 0x0
	s_barrier_signal -1
	s_barrier_wait -1
	v_cmpx_ne_u32_e32 7, v1
	s_cbranch_execz .LBB71_43
; %bb.40:
	v_mov_b32_e32 v8, v30
	v_mov_b64_e32 v[2:3], 0
	v_mov_b64_e32 v[4:5], 0
	s_mov_b32 s3, 0
	s_delay_alu instid0(VALU_DEP_3)
	v_or_b32_e32 v8, 8, v8
.LBB71_41:                              ; =>This Inner Loop Header: Depth=1
	scratch_load_b128 v[10:13], v8, off offset:-8
	ds_load_b128 v[30:33], v6
	v_dual_add_nc_u32 v7, 1, v7 :: v_dual_add_nc_u32 v6, 16, v6
	s_wait_xcnt 0x0
	v_add_nc_u32_e32 v8, 16, v8
	s_delay_alu instid0(VALU_DEP_2) | instskip(SKIP_4) | instid1(VALU_DEP_2)
	v_cmp_lt_u32_e32 vcc_lo, 5, v7
	s_or_b32 s3, vcc_lo, s3
	s_wait_loadcnt_dscnt 0x0
	v_mul_f64_e32 v[34:35], v[32:33], v[12:13]
	v_mul_f64_e32 v[12:13], v[30:31], v[12:13]
	v_fma_f64 v[30:31], v[30:31], v[10:11], -v[34:35]
	s_delay_alu instid0(VALU_DEP_2) | instskip(NEXT) | instid1(VALU_DEP_2)
	v_fmac_f64_e32 v[12:13], v[32:33], v[10:11]
	v_add_f64_e32 v[4:5], v[4:5], v[30:31]
	s_delay_alu instid0(VALU_DEP_2)
	v_add_f64_e32 v[2:3], v[2:3], v[12:13]
	s_and_not1_b32 exec_lo, exec_lo, s3
	s_cbranch_execnz .LBB71_41
; %bb.42:
	s_or_b32 exec_lo, exec_lo, s3
	v_mov_b32_e32 v6, 0
	ds_load_b128 v[6:9], v6 offset:112
	s_wait_dscnt 0x0
	v_mul_f64_e32 v[12:13], v[2:3], v[8:9]
	v_mul_f64_e32 v[10:11], v[4:5], v[8:9]
	s_delay_alu instid0(VALU_DEP_2) | instskip(NEXT) | instid1(VALU_DEP_2)
	v_fma_f64 v[8:9], v[4:5], v[6:7], -v[12:13]
	v_fmac_f64_e32 v[10:11], v[2:3], v[6:7]
	scratch_store_b128 off, v[8:11], off offset:112
.LBB71_43:
	s_wait_xcnt 0x0
	s_or_b32 exec_lo, exec_lo, s2
	s_mov_b32 s3, -1
	s_wait_storecnt 0x0
	s_barrier_signal -1
	s_barrier_wait -1
.LBB71_44:
	s_and_b32 vcc_lo, exec_lo, s3
	s_cbranch_vccz .LBB71_46
; %bb.45:
	s_wait_xcnt 0x0
	v_mov_b32_e32 v2, 0
	s_lshl_b64 s[2:3], s[10:11], 2
	s_delay_alu instid0(SALU_CYCLE_1)
	s_add_nc_u64 s[2:3], s[6:7], s[2:3]
	global_load_b32 v2, v2, s[2:3]
	s_wait_loadcnt 0x0
	v_cmp_ne_u32_e32 vcc_lo, 0, v2
	s_cbranch_vccz .LBB71_47
.LBB71_46:
	s_sendmsg sendmsg(MSG_DEALLOC_VGPRS)
	s_endpgm
.LBB71_47:
	v_lshl_add_u32 v6, v1, 4, 0x80
	s_wait_xcnt 0x0
	s_mov_b32 s2, exec_lo
	v_cmpx_eq_u32_e32 7, v1
	s_cbranch_execz .LBB71_49
; %bb.48:
	scratch_load_b128 v[2:5], off, s16
	v_mov_b32_e32 v8, 0
	s_delay_alu instid0(VALU_DEP_1)
	v_dual_mov_b32 v9, v8 :: v_dual_mov_b32 v10, v8
	v_mov_b32_e32 v11, v8
	scratch_store_b128 off, v[8:11], off offset:96
	s_wait_loadcnt 0x0
	ds_store_b128 v6, v[2:5]
.LBB71_49:
	s_wait_xcnt 0x0
	s_or_b32 exec_lo, exec_lo, s2
	s_wait_storecnt_dscnt 0x0
	s_barrier_signal -1
	s_barrier_wait -1
	s_clause 0x1
	scratch_load_b128 v[8:11], off, off offset:112
	scratch_load_b128 v[30:33], off, off offset:96
	v_mov_b32_e32 v2, 0
	s_mov_b32 s2, exec_lo
	ds_load_b128 v[34:37], v2 offset:240
	s_wait_loadcnt_dscnt 0x100
	v_mul_f64_e32 v[4:5], v[36:37], v[10:11]
	v_mul_f64_e32 v[10:11], v[34:35], v[10:11]
	s_delay_alu instid0(VALU_DEP_2) | instskip(NEXT) | instid1(VALU_DEP_2)
	v_fma_f64 v[4:5], v[34:35], v[8:9], -v[4:5]
	v_fmac_f64_e32 v[10:11], v[36:37], v[8:9]
	s_delay_alu instid0(VALU_DEP_2) | instskip(NEXT) | instid1(VALU_DEP_2)
	v_add_f64_e32 v[4:5], 0, v[4:5]
	v_add_f64_e32 v[10:11], 0, v[10:11]
	s_wait_loadcnt 0x0
	s_delay_alu instid0(VALU_DEP_2) | instskip(NEXT) | instid1(VALU_DEP_2)
	v_add_f64_e64 v[8:9], v[30:31], -v[4:5]
	v_add_f64_e64 v[10:11], v[32:33], -v[10:11]
	scratch_store_b128 off, v[8:11], off offset:96
	s_wait_xcnt 0x0
	v_cmpx_lt_u32_e32 5, v1
	s_cbranch_execz .LBB71_51
; %bb.50:
	scratch_load_b128 v[8:11], off, s12
	v_dual_mov_b32 v3, v2 :: v_dual_mov_b32 v4, v2
	v_mov_b32_e32 v5, v2
	scratch_store_b128 off, v[2:5], off offset:80
	s_wait_loadcnt 0x0
	ds_store_b128 v6, v[8:11]
.LBB71_51:
	s_wait_xcnt 0x0
	s_or_b32 exec_lo, exec_lo, s2
	s_wait_storecnt_dscnt 0x0
	s_barrier_signal -1
	s_barrier_wait -1
	s_clause 0x2
	scratch_load_b128 v[8:11], off, off offset:96
	scratch_load_b128 v[30:33], off, off offset:112
	scratch_load_b128 v[34:37], off, off offset:80
	ds_load_b128 v[38:41], v2 offset:224
	ds_load_b128 v[2:5], v2 offset:240
	s_mov_b32 s2, exec_lo
	s_wait_loadcnt_dscnt 0x201
	v_mul_f64_e32 v[12:13], v[40:41], v[10:11]
	v_mul_f64_e32 v[10:11], v[38:39], v[10:11]
	s_wait_loadcnt_dscnt 0x100
	v_mul_f64_e32 v[42:43], v[2:3], v[32:33]
	v_mul_f64_e32 v[32:33], v[4:5], v[32:33]
	s_delay_alu instid0(VALU_DEP_4) | instskip(NEXT) | instid1(VALU_DEP_4)
	v_fma_f64 v[12:13], v[38:39], v[8:9], -v[12:13]
	v_fmac_f64_e32 v[10:11], v[40:41], v[8:9]
	s_delay_alu instid0(VALU_DEP_4) | instskip(NEXT) | instid1(VALU_DEP_4)
	v_fmac_f64_e32 v[42:43], v[4:5], v[30:31]
	v_fma_f64 v[2:3], v[2:3], v[30:31], -v[32:33]
	s_delay_alu instid0(VALU_DEP_4) | instskip(NEXT) | instid1(VALU_DEP_4)
	v_add_f64_e32 v[4:5], 0, v[12:13]
	v_add_f64_e32 v[8:9], 0, v[10:11]
	s_delay_alu instid0(VALU_DEP_2) | instskip(NEXT) | instid1(VALU_DEP_2)
	v_add_f64_e32 v[2:3], v[4:5], v[2:3]
	v_add_f64_e32 v[4:5], v[8:9], v[42:43]
	s_wait_loadcnt 0x0
	s_delay_alu instid0(VALU_DEP_2) | instskip(NEXT) | instid1(VALU_DEP_2)
	v_add_f64_e64 v[2:3], v[34:35], -v[2:3]
	v_add_f64_e64 v[4:5], v[36:37], -v[4:5]
	scratch_store_b128 off, v[2:5], off offset:80
	s_wait_xcnt 0x0
	v_cmpx_lt_u32_e32 4, v1
	s_cbranch_execz .LBB71_53
; %bb.52:
	scratch_load_b128 v[2:5], off, s15
	v_mov_b32_e32 v8, 0
	s_delay_alu instid0(VALU_DEP_1)
	v_dual_mov_b32 v9, v8 :: v_dual_mov_b32 v10, v8
	v_mov_b32_e32 v11, v8
	scratch_store_b128 off, v[8:11], off offset:64
	s_wait_loadcnt 0x0
	ds_store_b128 v6, v[2:5]
.LBB71_53:
	s_wait_xcnt 0x0
	s_or_b32 exec_lo, exec_lo, s2
	s_wait_storecnt_dscnt 0x0
	s_barrier_signal -1
	s_barrier_wait -1
	s_clause 0x3
	scratch_load_b128 v[8:11], off, off offset:80
	scratch_load_b128 v[30:33], off, off offset:96
	;; [unrolled: 1-line block ×4, first 2 shown]
	v_mov_b32_e32 v2, 0
	ds_load_b128 v[42:45], v2 offset:208
	ds_load_b128 v[46:49], v2 offset:224
	s_mov_b32 s2, exec_lo
	s_wait_loadcnt_dscnt 0x301
	v_mul_f64_e32 v[4:5], v[44:45], v[10:11]
	v_mul_f64_e32 v[12:13], v[42:43], v[10:11]
	s_wait_loadcnt_dscnt 0x200
	v_mul_f64_e32 v[50:51], v[46:47], v[32:33]
	v_mul_f64_e32 v[32:33], v[48:49], v[32:33]
	s_delay_alu instid0(VALU_DEP_4) | instskip(NEXT) | instid1(VALU_DEP_4)
	v_fma_f64 v[4:5], v[42:43], v[8:9], -v[4:5]
	v_fmac_f64_e32 v[12:13], v[44:45], v[8:9]
	ds_load_b128 v[8:11], v2 offset:240
	v_fmac_f64_e32 v[50:51], v[48:49], v[30:31]
	v_fma_f64 v[30:31], v[46:47], v[30:31], -v[32:33]
	s_wait_loadcnt_dscnt 0x100
	v_mul_f64_e32 v[42:43], v[8:9], v[36:37]
	v_mul_f64_e32 v[36:37], v[10:11], v[36:37]
	v_add_f64_e32 v[4:5], 0, v[4:5]
	v_add_f64_e32 v[12:13], 0, v[12:13]
	s_delay_alu instid0(VALU_DEP_4) | instskip(NEXT) | instid1(VALU_DEP_4)
	v_fmac_f64_e32 v[42:43], v[10:11], v[34:35]
	v_fma_f64 v[8:9], v[8:9], v[34:35], -v[36:37]
	s_delay_alu instid0(VALU_DEP_4) | instskip(NEXT) | instid1(VALU_DEP_4)
	v_add_f64_e32 v[4:5], v[4:5], v[30:31]
	v_add_f64_e32 v[10:11], v[12:13], v[50:51]
	s_delay_alu instid0(VALU_DEP_2) | instskip(NEXT) | instid1(VALU_DEP_2)
	v_add_f64_e32 v[4:5], v[4:5], v[8:9]
	v_add_f64_e32 v[10:11], v[10:11], v[42:43]
	s_wait_loadcnt 0x0
	s_delay_alu instid0(VALU_DEP_2) | instskip(NEXT) | instid1(VALU_DEP_2)
	v_add_f64_e64 v[8:9], v[38:39], -v[4:5]
	v_add_f64_e64 v[10:11], v[40:41], -v[10:11]
	scratch_store_b128 off, v[8:11], off offset:64
	s_wait_xcnt 0x0
	v_cmpx_lt_u32_e32 3, v1
	s_cbranch_execz .LBB71_55
; %bb.54:
	scratch_load_b128 v[8:11], off, s14
	v_dual_mov_b32 v3, v2 :: v_dual_mov_b32 v4, v2
	v_mov_b32_e32 v5, v2
	scratch_store_b128 off, v[2:5], off offset:48
	s_wait_loadcnt 0x0
	ds_store_b128 v6, v[8:11]
.LBB71_55:
	s_wait_xcnt 0x0
	s_or_b32 exec_lo, exec_lo, s2
	s_wait_storecnt_dscnt 0x0
	s_barrier_signal -1
	s_barrier_wait -1
	s_clause 0x4
	scratch_load_b128 v[8:11], off, off offset:64
	scratch_load_b128 v[30:33], off, off offset:80
	;; [unrolled: 1-line block ×5, first 2 shown]
	ds_load_b128 v[46:49], v2 offset:192
	ds_load_b128 v[50:53], v2 offset:208
	s_mov_b32 s2, exec_lo
	s_wait_loadcnt_dscnt 0x401
	v_mul_f64_e32 v[4:5], v[48:49], v[10:11]
	v_mul_f64_e32 v[12:13], v[46:47], v[10:11]
	s_wait_loadcnt_dscnt 0x300
	v_mul_f64_e32 v[54:55], v[50:51], v[32:33]
	v_mul_f64_e32 v[32:33], v[52:53], v[32:33]
	s_delay_alu instid0(VALU_DEP_4) | instskip(NEXT) | instid1(VALU_DEP_4)
	v_fma_f64 v[46:47], v[46:47], v[8:9], -v[4:5]
	v_fmac_f64_e32 v[12:13], v[48:49], v[8:9]
	ds_load_b128 v[8:11], v2 offset:224
	ds_load_b128 v[2:5], v2 offset:240
	v_fmac_f64_e32 v[54:55], v[52:53], v[30:31]
	v_fma_f64 v[30:31], v[50:51], v[30:31], -v[32:33]
	s_wait_loadcnt_dscnt 0x201
	v_mul_f64_e32 v[48:49], v[8:9], v[36:37]
	v_mul_f64_e32 v[36:37], v[10:11], v[36:37]
	v_add_f64_e32 v[32:33], 0, v[46:47]
	v_add_f64_e32 v[12:13], 0, v[12:13]
	s_wait_loadcnt_dscnt 0x100
	v_mul_f64_e32 v[46:47], v[2:3], v[40:41]
	v_mul_f64_e32 v[40:41], v[4:5], v[40:41]
	v_fmac_f64_e32 v[48:49], v[10:11], v[34:35]
	v_fma_f64 v[8:9], v[8:9], v[34:35], -v[36:37]
	v_add_f64_e32 v[10:11], v[32:33], v[30:31]
	v_add_f64_e32 v[12:13], v[12:13], v[54:55]
	v_fmac_f64_e32 v[46:47], v[4:5], v[38:39]
	v_fma_f64 v[2:3], v[2:3], v[38:39], -v[40:41]
	s_delay_alu instid0(VALU_DEP_4) | instskip(NEXT) | instid1(VALU_DEP_4)
	v_add_f64_e32 v[4:5], v[10:11], v[8:9]
	v_add_f64_e32 v[8:9], v[12:13], v[48:49]
	s_delay_alu instid0(VALU_DEP_2) | instskip(NEXT) | instid1(VALU_DEP_2)
	v_add_f64_e32 v[2:3], v[4:5], v[2:3]
	v_add_f64_e32 v[4:5], v[8:9], v[46:47]
	s_wait_loadcnt 0x0
	s_delay_alu instid0(VALU_DEP_2) | instskip(NEXT) | instid1(VALU_DEP_2)
	v_add_f64_e64 v[2:3], v[42:43], -v[2:3]
	v_add_f64_e64 v[4:5], v[44:45], -v[4:5]
	scratch_store_b128 off, v[2:5], off offset:48
	s_wait_xcnt 0x0
	v_cmpx_lt_u32_e32 2, v1
	s_cbranch_execz .LBB71_57
; %bb.56:
	scratch_load_b128 v[2:5], off, s17
	v_mov_b32_e32 v8, 0
	s_delay_alu instid0(VALU_DEP_1)
	v_dual_mov_b32 v9, v8 :: v_dual_mov_b32 v10, v8
	v_mov_b32_e32 v11, v8
	scratch_store_b128 off, v[8:11], off offset:32
	s_wait_loadcnt 0x0
	ds_store_b128 v6, v[2:5]
.LBB71_57:
	s_wait_xcnt 0x0
	s_or_b32 exec_lo, exec_lo, s2
	s_wait_storecnt_dscnt 0x0
	s_barrier_signal -1
	s_barrier_wait -1
	s_clause 0x5
	scratch_load_b128 v[8:11], off, off offset:48
	scratch_load_b128 v[30:33], off, off offset:64
	;; [unrolled: 1-line block ×6, first 2 shown]
	v_mov_b32_e32 v2, 0
	ds_load_b128 v[50:53], v2 offset:176
	ds_load_b128 v[54:57], v2 offset:192
	s_mov_b32 s2, exec_lo
	v_dual_ashrrev_i32 v21, 31, v20 :: v_dual_ashrrev_i32 v19, 31, v18
	v_ashrrev_i32_e32 v23, 31, v22
	v_dual_ashrrev_i32 v27, 31, v26 :: v_dual_ashrrev_i32 v25, 31, v24
	s_wait_loadcnt_dscnt 0x501
	v_dual_mul_f64 v[4:5], v[52:53], v[10:11] :: v_dual_ashrrev_i32 v29, 31, v28
	v_mul_f64_e32 v[12:13], v[50:51], v[10:11]
	s_wait_loadcnt_dscnt 0x400
	v_mul_f64_e32 v[58:59], v[54:55], v[32:33]
	v_mul_f64_e32 v[32:33], v[56:57], v[32:33]
	s_delay_alu instid0(VALU_DEP_4) | instskip(NEXT) | instid1(VALU_DEP_4)
	v_fma_f64 v[4:5], v[50:51], v[8:9], -v[4:5]
	v_fmac_f64_e32 v[12:13], v[52:53], v[8:9]
	ds_load_b128 v[8:11], v2 offset:208
	ds_load_b128 v[50:53], v2 offset:224
	v_fmac_f64_e32 v[58:59], v[56:57], v[30:31]
	v_fma_f64 v[30:31], v[54:55], v[30:31], -v[32:33]
	s_wait_loadcnt_dscnt 0x301
	v_mul_f64_e32 v[60:61], v[8:9], v[36:37]
	v_mul_f64_e32 v[32:33], v[10:11], v[36:37]
	s_wait_loadcnt_dscnt 0x200
	v_mul_f64_e32 v[36:37], v[50:51], v[40:41]
	v_mul_f64_e32 v[40:41], v[52:53], v[40:41]
	v_add_f64_e32 v[4:5], 0, v[4:5]
	v_add_f64_e32 v[12:13], 0, v[12:13]
	v_fmac_f64_e32 v[60:61], v[10:11], v[34:35]
	v_fma_f64 v[32:33], v[8:9], v[34:35], -v[32:33]
	ds_load_b128 v[8:11], v2 offset:240
	v_fmac_f64_e32 v[36:37], v[52:53], v[38:39]
	v_fma_f64 v[38:39], v[50:51], v[38:39], -v[40:41]
	v_add_f64_e32 v[4:5], v[4:5], v[30:31]
	v_add_f64_e32 v[12:13], v[12:13], v[58:59]
	s_wait_loadcnt_dscnt 0x100
	v_mul_f64_e32 v[30:31], v[8:9], v[44:45]
	v_mul_f64_e32 v[34:35], v[10:11], v[44:45]
	s_delay_alu instid0(VALU_DEP_4) | instskip(NEXT) | instid1(VALU_DEP_4)
	v_add_f64_e32 v[4:5], v[4:5], v[32:33]
	v_add_f64_e32 v[12:13], v[12:13], v[60:61]
	s_delay_alu instid0(VALU_DEP_4) | instskip(NEXT) | instid1(VALU_DEP_4)
	v_fmac_f64_e32 v[30:31], v[10:11], v[42:43]
	v_fma_f64 v[8:9], v[8:9], v[42:43], -v[34:35]
	s_delay_alu instid0(VALU_DEP_4) | instskip(NEXT) | instid1(VALU_DEP_4)
	v_add_f64_e32 v[4:5], v[4:5], v[38:39]
	v_add_f64_e32 v[10:11], v[12:13], v[36:37]
	s_delay_alu instid0(VALU_DEP_2) | instskip(NEXT) | instid1(VALU_DEP_2)
	v_add_f64_e32 v[4:5], v[4:5], v[8:9]
	v_add_f64_e32 v[10:11], v[10:11], v[30:31]
	s_wait_loadcnt 0x0
	s_delay_alu instid0(VALU_DEP_2) | instskip(NEXT) | instid1(VALU_DEP_2)
	v_add_f64_e64 v[8:9], v[46:47], -v[4:5]
	v_add_f64_e64 v[10:11], v[48:49], -v[10:11]
	scratch_store_b128 off, v[8:11], off offset:32
	s_wait_xcnt 0x0
	v_cmpx_lt_u32_e32 1, v1
	s_cbranch_execz .LBB71_59
; %bb.58:
	scratch_load_b128 v[8:11], off, s18
	v_dual_mov_b32 v3, v2 :: v_dual_mov_b32 v4, v2
	v_mov_b32_e32 v5, v2
	scratch_store_b128 off, v[2:5], off offset:16
	s_wait_loadcnt 0x0
	ds_store_b128 v6, v[8:11]
.LBB71_59:
	s_wait_xcnt 0x0
	s_or_b32 exec_lo, exec_lo, s2
	s_wait_storecnt_dscnt 0x0
	s_barrier_signal -1
	s_barrier_wait -1
	s_clause 0x6
	scratch_load_b128 v[8:11], off, off offset:32
	scratch_load_b128 v[30:33], off, off offset:48
	;; [unrolled: 1-line block ×7, first 2 shown]
	ds_load_b128 v[54:57], v2 offset:160
	ds_load_b128 v[58:61], v2 offset:176
	s_mov_b32 s2, exec_lo
	s_wait_loadcnt_dscnt 0x601
	v_mul_f64_e32 v[4:5], v[56:57], v[10:11]
	v_mul_f64_e32 v[12:13], v[54:55], v[10:11]
	s_wait_loadcnt_dscnt 0x500
	v_mul_f64_e32 v[62:63], v[58:59], v[32:33]
	v_mul_f64_e32 v[32:33], v[60:61], v[32:33]
	s_delay_alu instid0(VALU_DEP_4) | instskip(NEXT) | instid1(VALU_DEP_4)
	v_fma_f64 v[4:5], v[54:55], v[8:9], -v[4:5]
	v_fmac_f64_e32 v[12:13], v[56:57], v[8:9]
	ds_load_b128 v[8:11], v2 offset:192
	ds_load_b128 v[54:57], v2 offset:208
	v_fmac_f64_e32 v[62:63], v[60:61], v[30:31]
	v_fma_f64 v[30:31], v[58:59], v[30:31], -v[32:33]
	s_wait_loadcnt_dscnt 0x401
	v_mul_f64_e32 v[64:65], v[8:9], v[36:37]
	v_mul_f64_e32 v[36:37], v[10:11], v[36:37]
	s_wait_loadcnt_dscnt 0x300
	v_mul_f64_e32 v[32:33], v[54:55], v[40:41]
	v_mul_f64_e32 v[40:41], v[56:57], v[40:41]
	v_add_f64_e32 v[4:5], 0, v[4:5]
	v_add_f64_e32 v[12:13], 0, v[12:13]
	v_fmac_f64_e32 v[64:65], v[10:11], v[34:35]
	v_fma_f64 v[34:35], v[8:9], v[34:35], -v[36:37]
	v_fmac_f64_e32 v[32:33], v[56:57], v[38:39]
	v_fma_f64 v[38:39], v[54:55], v[38:39], -v[40:41]
	v_add_f64_e32 v[30:31], v[4:5], v[30:31]
	v_add_f64_e32 v[12:13], v[12:13], v[62:63]
	ds_load_b128 v[8:11], v2 offset:224
	ds_load_b128 v[2:5], v2 offset:240
	s_wait_loadcnt_dscnt 0x201
	v_mul_f64_e32 v[36:37], v[8:9], v[44:45]
	v_mul_f64_e32 v[44:45], v[10:11], v[44:45]
	s_wait_loadcnt_dscnt 0x100
	v_mul_f64_e32 v[40:41], v[4:5], v[48:49]
	v_add_f64_e32 v[30:31], v[30:31], v[34:35]
	v_add_f64_e32 v[12:13], v[12:13], v[64:65]
	v_mul_f64_e32 v[34:35], v[2:3], v[48:49]
	v_fmac_f64_e32 v[36:37], v[10:11], v[42:43]
	v_fma_f64 v[8:9], v[8:9], v[42:43], -v[44:45]
	v_fma_f64 v[2:3], v[2:3], v[46:47], -v[40:41]
	v_add_f64_e32 v[10:11], v[30:31], v[38:39]
	v_add_f64_e32 v[12:13], v[12:13], v[32:33]
	v_fmac_f64_e32 v[34:35], v[4:5], v[46:47]
	s_delay_alu instid0(VALU_DEP_3) | instskip(NEXT) | instid1(VALU_DEP_3)
	v_add_f64_e32 v[4:5], v[10:11], v[8:9]
	v_add_f64_e32 v[8:9], v[12:13], v[36:37]
	s_delay_alu instid0(VALU_DEP_2) | instskip(NEXT) | instid1(VALU_DEP_2)
	v_add_f64_e32 v[2:3], v[4:5], v[2:3]
	v_add_f64_e32 v[4:5], v[8:9], v[34:35]
	s_wait_loadcnt 0x0
	s_delay_alu instid0(VALU_DEP_2) | instskip(NEXT) | instid1(VALU_DEP_2)
	v_add_f64_e64 v[2:3], v[50:51], -v[2:3]
	v_add_f64_e64 v[4:5], v[52:53], -v[4:5]
	scratch_store_b128 off, v[2:5], off offset:16
	s_wait_xcnt 0x0
	v_cmpx_ne_u32_e32 0, v1
	s_cbranch_execz .LBB71_61
; %bb.60:
	scratch_load_b128 v[2:5], off, off
	v_mov_b32_e32 v8, 0
	s_delay_alu instid0(VALU_DEP_1)
	v_dual_mov_b32 v9, v8 :: v_dual_mov_b32 v10, v8
	v_mov_b32_e32 v11, v8
	scratch_store_b128 off, v[8:11], off
	s_wait_loadcnt 0x0
	ds_store_b128 v6, v[2:5]
.LBB71_61:
	s_wait_xcnt 0x0
	s_or_b32 exec_lo, exec_lo, s2
	s_wait_storecnt_dscnt 0x0
	s_barrier_signal -1
	s_barrier_wait -1
	s_clause 0x7
	scratch_load_b128 v[2:5], off, off offset:16
	scratch_load_b128 v[6:9], off, off offset:32
	;; [unrolled: 1-line block ×7, first 2 shown]
	scratch_load_b128 v[48:51], off, off
	v_mov_b32_e32 v30, 0
	ds_load_b128 v[52:55], v30 offset:144
	ds_load_b128 v[56:59], v30 offset:160
	s_and_b32 vcc_lo, exec_lo, s19
	s_wait_loadcnt_dscnt 0x701
	v_mul_f64_e32 v[60:61], v[54:55], v[4:5]
	v_mul_f64_e32 v[62:63], v[52:53], v[4:5]
	s_wait_loadcnt_dscnt 0x600
	v_mul_f64_e32 v[64:65], v[56:57], v[8:9]
	v_mul_f64_e32 v[8:9], v[58:59], v[8:9]
	s_delay_alu instid0(VALU_DEP_4) | instskip(NEXT) | instid1(VALU_DEP_4)
	v_fma_f64 v[60:61], v[52:53], v[2:3], -v[60:61]
	v_fmac_f64_e32 v[62:63], v[54:55], v[2:3]
	ds_load_b128 v[2:5], v30 offset:176
	ds_load_b128 v[52:55], v30 offset:192
	v_fmac_f64_e32 v[64:65], v[58:59], v[6:7]
	v_fma_f64 v[6:7], v[56:57], v[6:7], -v[8:9]
	s_wait_loadcnt_dscnt 0x501
	v_mul_f64_e32 v[66:67], v[2:3], v[12:13]
	v_mul_f64_e32 v[12:13], v[4:5], v[12:13]
	s_wait_loadcnt_dscnt 0x400
	v_mul_f64_e32 v[58:59], v[52:53], v[34:35]
	v_mul_f64_e32 v[34:35], v[54:55], v[34:35]
	v_add_f64_e32 v[8:9], 0, v[60:61]
	v_add_f64_e32 v[56:57], 0, v[62:63]
	v_fmac_f64_e32 v[66:67], v[4:5], v[10:11]
	v_fma_f64 v[10:11], v[2:3], v[10:11], -v[12:13]
	v_fmac_f64_e32 v[58:59], v[54:55], v[32:33]
	v_fma_f64 v[32:33], v[52:53], v[32:33], -v[34:35]
	v_add_f64_e32 v[12:13], v[8:9], v[6:7]
	v_add_f64_e32 v[56:57], v[56:57], v[64:65]
	ds_load_b128 v[2:5], v30 offset:208
	ds_load_b128 v[6:9], v30 offset:224
	s_wait_loadcnt_dscnt 0x301
	v_mul_f64_e32 v[60:61], v[2:3], v[38:39]
	v_mul_f64_e32 v[38:39], v[4:5], v[38:39]
	s_wait_loadcnt_dscnt 0x200
	v_mul_f64_e32 v[34:35], v[6:7], v[42:43]
	v_mul_f64_e32 v[42:43], v[8:9], v[42:43]
	v_add_f64_e32 v[10:11], v[12:13], v[10:11]
	v_add_f64_e32 v[12:13], v[56:57], v[66:67]
	v_fmac_f64_e32 v[60:61], v[4:5], v[36:37]
	v_fma_f64 v[36:37], v[2:3], v[36:37], -v[38:39]
	ds_load_b128 v[2:5], v30 offset:240
	v_fmac_f64_e32 v[34:35], v[8:9], v[40:41]
	v_fma_f64 v[6:7], v[6:7], v[40:41], -v[42:43]
	v_add_f64_e32 v[10:11], v[10:11], v[32:33]
	v_add_f64_e32 v[12:13], v[12:13], v[58:59]
	s_wait_loadcnt_dscnt 0x100
	v_mul_f64_e32 v[32:33], v[2:3], v[46:47]
	v_mul_f64_e32 v[38:39], v[4:5], v[46:47]
	s_delay_alu instid0(VALU_DEP_4) | instskip(NEXT) | instid1(VALU_DEP_4)
	v_add_f64_e32 v[8:9], v[10:11], v[36:37]
	v_add_f64_e32 v[10:11], v[12:13], v[60:61]
	v_lshl_add_u64 v[12:13], v[18:19], 4, s[4:5]
	v_fmac_f64_e32 v[32:33], v[4:5], v[44:45]
	v_fma_f64 v[2:3], v[2:3], v[44:45], -v[38:39]
	v_add_f64_e32 v[4:5], v[8:9], v[6:7]
	v_add_f64_e32 v[6:7], v[10:11], v[34:35]
	v_lshl_add_u64 v[10:11], v[20:21], 4, s[4:5]
	v_lshl_add_u64 v[8:9], v[22:23], 4, s[4:5]
	s_delay_alu instid0(VALU_DEP_4) | instskip(NEXT) | instid1(VALU_DEP_4)
	v_add_f64_e32 v[2:3], v[4:5], v[2:3]
	v_add_f64_e32 v[4:5], v[6:7], v[32:33]
	v_lshl_add_u64 v[6:7], v[24:25], 4, s[4:5]
	s_wait_loadcnt 0x0
	s_delay_alu instid0(VALU_DEP_3) | instskip(NEXT) | instid1(VALU_DEP_3)
	v_add_f64_e64 v[32:33], v[48:49], -v[2:3]
	v_add_f64_e64 v[34:35], v[50:51], -v[4:5]
	v_lshl_add_u64 v[4:5], v[26:27], 4, s[4:5]
	v_lshl_add_u64 v[2:3], v[28:29], 4, s[4:5]
	scratch_store_b128 off, v[32:35], off
	s_cbranch_vccz .LBB71_76
; %bb.62:
	global_load_b32 v18, v30, s[8:9] offset:24
	s_load_b64 s[2:3], s[0:1], 0x4
	v_bfe_u32 v19, v0, 10, 10
	v_bfe_u32 v0, v0, 20, 10
	s_wait_kmcnt 0x0
	s_lshr_b32 s0, s2, 16
	s_delay_alu instid0(VALU_DEP_2) | instskip(SKIP_1) | instid1(SALU_CYCLE_1)
	v_mul_u32_u24_e32 v19, s3, v19
	s_mul_i32 s0, s0, s3
	v_mul_u32_u24_e32 v1, s0, v1
	s_delay_alu instid0(VALU_DEP_1) | instskip(NEXT) | instid1(VALU_DEP_1)
	v_add3_u32 v0, v1, v19, v0
	v_lshl_add_u32 v0, v0, 4, 0x108
	s_wait_loadcnt 0x0
	v_cmp_ne_u32_e32 vcc_lo, 7, v18
	s_cbranch_vccz .LBB71_64
; %bb.63:
	v_lshlrev_b32_e32 v1, 4, v18
	s_clause 0x1
	scratch_load_b128 v[18:21], off, s16
	scratch_load_b128 v[22:25], v1, off offset:-16
	s_wait_loadcnt 0x1
	ds_store_2addr_b64 v0, v[18:19], v[20:21] offset1:1
	s_wait_loadcnt 0x0
	s_clause 0x1
	scratch_store_b128 off, v[22:25], s16
	scratch_store_b128 v1, v[18:21], off offset:-16
.LBB71_64:
	s_wait_xcnt 0x0
	v_mov_b32_e32 v1, 0
	global_load_b32 v18, v1, s[8:9] offset:20
	s_wait_loadcnt 0x0
	v_cmp_eq_u32_e32 vcc_lo, 6, v18
	s_cbranch_vccnz .LBB71_66
; %bb.65:
	v_lshlrev_b32_e32 v18, 4, v18
	s_delay_alu instid0(VALU_DEP_1)
	v_mov_b32_e32 v26, v18
	s_clause 0x1
	scratch_load_b128 v[18:21], off, s12
	scratch_load_b128 v[22:25], v26, off offset:-16
	s_wait_loadcnt 0x1
	ds_store_2addr_b64 v0, v[18:19], v[20:21] offset1:1
	s_wait_loadcnt 0x0
	s_clause 0x1
	scratch_store_b128 off, v[22:25], s12
	scratch_store_b128 v26, v[18:21], off offset:-16
.LBB71_66:
	global_load_b32 v1, v1, s[8:9] offset:16
	s_wait_loadcnt 0x0
	v_cmp_eq_u32_e32 vcc_lo, 5, v1
	s_cbranch_vccnz .LBB71_68
; %bb.67:
	s_wait_xcnt 0x0
	v_lshlrev_b32_e32 v1, 4, v1
	s_clause 0x1
	scratch_load_b128 v[18:21], off, s15
	scratch_load_b128 v[22:25], v1, off offset:-16
	s_wait_loadcnt 0x1
	ds_store_2addr_b64 v0, v[18:19], v[20:21] offset1:1
	s_wait_loadcnt 0x0
	s_clause 0x1
	scratch_store_b128 off, v[22:25], s15
	scratch_store_b128 v1, v[18:21], off offset:-16
.LBB71_68:
	s_wait_xcnt 0x0
	v_mov_b32_e32 v1, 0
	global_load_b32 v18, v1, s[8:9] offset:12
	s_wait_loadcnt 0x0
	v_cmp_eq_u32_e32 vcc_lo, 4, v18
	s_cbranch_vccnz .LBB71_70
; %bb.69:
	v_lshlrev_b32_e32 v18, 4, v18
	s_delay_alu instid0(VALU_DEP_1)
	v_mov_b32_e32 v26, v18
	s_clause 0x1
	scratch_load_b128 v[18:21], off, s14
	scratch_load_b128 v[22:25], v26, off offset:-16
	s_wait_loadcnt 0x1
	ds_store_2addr_b64 v0, v[18:19], v[20:21] offset1:1
	s_wait_loadcnt 0x0
	s_clause 0x1
	scratch_store_b128 off, v[22:25], s14
	scratch_store_b128 v26, v[18:21], off offset:-16
.LBB71_70:
	global_load_b32 v1, v1, s[8:9] offset:8
	s_wait_loadcnt 0x0
	v_cmp_eq_u32_e32 vcc_lo, 3, v1
	s_cbranch_vccnz .LBB71_72
; %bb.71:
	s_wait_xcnt 0x0
	v_lshlrev_b32_e32 v1, 4, v1
	s_clause 0x1
	scratch_load_b128 v[18:21], off, s17
	scratch_load_b128 v[22:25], v1, off offset:-16
	s_wait_loadcnt 0x1
	ds_store_2addr_b64 v0, v[18:19], v[20:21] offset1:1
	s_wait_loadcnt 0x0
	s_clause 0x1
	scratch_store_b128 off, v[22:25], s17
	scratch_store_b128 v1, v[18:21], off offset:-16
.LBB71_72:
	s_wait_xcnt 0x0
	v_mov_b32_e32 v1, 0
	global_load_b32 v18, v1, s[8:9] offset:4
	s_wait_loadcnt 0x0
	v_cmp_eq_u32_e32 vcc_lo, 2, v18
	s_cbranch_vccnz .LBB71_74
; %bb.73:
	v_lshlrev_b32_e32 v18, 4, v18
	s_delay_alu instid0(VALU_DEP_1)
	v_mov_b32_e32 v26, v18
	s_clause 0x1
	scratch_load_b128 v[18:21], off, s18
	scratch_load_b128 v[22:25], v26, off offset:-16
	s_wait_loadcnt 0x1
	ds_store_2addr_b64 v0, v[18:19], v[20:21] offset1:1
	s_wait_loadcnt 0x0
	s_clause 0x1
	scratch_store_b128 off, v[22:25], s18
	scratch_store_b128 v26, v[18:21], off offset:-16
.LBB71_74:
	global_load_b32 v1, v1, s[8:9]
	s_wait_loadcnt 0x0
	v_cmp_eq_u32_e32 vcc_lo, 1, v1
	s_cbranch_vccnz .LBB71_76
; %bb.75:
	s_wait_xcnt 0x0
	v_lshlrev_b32_e32 v1, 4, v1
	scratch_load_b128 v[18:21], off, off
	scratch_load_b128 v[22:25], v1, off offset:-16
	s_wait_loadcnt 0x1
	ds_store_2addr_b64 v0, v[18:19], v[20:21] offset1:1
	s_wait_loadcnt 0x0
	scratch_store_b128 off, v[22:25], off
	scratch_store_b128 v1, v[18:21], off offset:-16
.LBB71_76:
	scratch_load_b128 v[18:21], off, off
	s_wait_loadcnt 0x0
	flat_store_b128 v[14:15], v[18:21]
	scratch_load_b128 v[18:21], off, s18
	s_wait_loadcnt 0x0
	flat_store_b128 v[16:17], v[18:21]
	scratch_load_b128 v[14:17], off, s17
	;; [unrolled: 3-line block ×7, first 2 shown]
	s_wait_loadcnt 0x0
	flat_store_b128 v[2:3], v[4:7]
	s_sendmsg sendmsg(MSG_DEALLOC_VGPRS)
	s_endpgm
	.section	.rodata,"a",@progbits
	.p2align	6, 0x0
	.amdhsa_kernel _ZN9rocsolver6v33100L18getri_kernel_smallILi8E19rocblas_complex_numIdEPKPS3_EEvT1_iilPiilS8_bb
		.amdhsa_group_segment_fixed_size 1288
		.amdhsa_private_segment_fixed_size 144
		.amdhsa_kernarg_size 60
		.amdhsa_user_sgpr_count 4
		.amdhsa_user_sgpr_dispatch_ptr 1
		.amdhsa_user_sgpr_queue_ptr 0
		.amdhsa_user_sgpr_kernarg_segment_ptr 1
		.amdhsa_user_sgpr_dispatch_id 0
		.amdhsa_user_sgpr_kernarg_preload_length 0
		.amdhsa_user_sgpr_kernarg_preload_offset 0
		.amdhsa_user_sgpr_private_segment_size 0
		.amdhsa_wavefront_size32 1
		.amdhsa_uses_dynamic_stack 0
		.amdhsa_enable_private_segment 1
		.amdhsa_system_sgpr_workgroup_id_x 1
		.amdhsa_system_sgpr_workgroup_id_y 0
		.amdhsa_system_sgpr_workgroup_id_z 0
		.amdhsa_system_sgpr_workgroup_info 0
		.amdhsa_system_vgpr_workitem_id 2
		.amdhsa_next_free_vgpr 68
		.amdhsa_next_free_sgpr 23
		.amdhsa_named_barrier_count 0
		.amdhsa_reserve_vcc 1
		.amdhsa_float_round_mode_32 0
		.amdhsa_float_round_mode_16_64 0
		.amdhsa_float_denorm_mode_32 3
		.amdhsa_float_denorm_mode_16_64 3
		.amdhsa_fp16_overflow 0
		.amdhsa_memory_ordered 1
		.amdhsa_forward_progress 1
		.amdhsa_inst_pref_size 55
		.amdhsa_round_robin_scheduling 0
		.amdhsa_exception_fp_ieee_invalid_op 0
		.amdhsa_exception_fp_denorm_src 0
		.amdhsa_exception_fp_ieee_div_zero 0
		.amdhsa_exception_fp_ieee_overflow 0
		.amdhsa_exception_fp_ieee_underflow 0
		.amdhsa_exception_fp_ieee_inexact 0
		.amdhsa_exception_int_div_zero 0
	.end_amdhsa_kernel
	.section	.text._ZN9rocsolver6v33100L18getri_kernel_smallILi8E19rocblas_complex_numIdEPKPS3_EEvT1_iilPiilS8_bb,"axG",@progbits,_ZN9rocsolver6v33100L18getri_kernel_smallILi8E19rocblas_complex_numIdEPKPS3_EEvT1_iilPiilS8_bb,comdat
.Lfunc_end71:
	.size	_ZN9rocsolver6v33100L18getri_kernel_smallILi8E19rocblas_complex_numIdEPKPS3_EEvT1_iilPiilS8_bb, .Lfunc_end71-_ZN9rocsolver6v33100L18getri_kernel_smallILi8E19rocblas_complex_numIdEPKPS3_EEvT1_iilPiilS8_bb
                                        ; -- End function
	.set _ZN9rocsolver6v33100L18getri_kernel_smallILi8E19rocblas_complex_numIdEPKPS3_EEvT1_iilPiilS8_bb.num_vgpr, 68
	.set _ZN9rocsolver6v33100L18getri_kernel_smallILi8E19rocblas_complex_numIdEPKPS3_EEvT1_iilPiilS8_bb.num_agpr, 0
	.set _ZN9rocsolver6v33100L18getri_kernel_smallILi8E19rocblas_complex_numIdEPKPS3_EEvT1_iilPiilS8_bb.numbered_sgpr, 23
	.set _ZN9rocsolver6v33100L18getri_kernel_smallILi8E19rocblas_complex_numIdEPKPS3_EEvT1_iilPiilS8_bb.num_named_barrier, 0
	.set _ZN9rocsolver6v33100L18getri_kernel_smallILi8E19rocblas_complex_numIdEPKPS3_EEvT1_iilPiilS8_bb.private_seg_size, 144
	.set _ZN9rocsolver6v33100L18getri_kernel_smallILi8E19rocblas_complex_numIdEPKPS3_EEvT1_iilPiilS8_bb.uses_vcc, 1
	.set _ZN9rocsolver6v33100L18getri_kernel_smallILi8E19rocblas_complex_numIdEPKPS3_EEvT1_iilPiilS8_bb.uses_flat_scratch, 1
	.set _ZN9rocsolver6v33100L18getri_kernel_smallILi8E19rocblas_complex_numIdEPKPS3_EEvT1_iilPiilS8_bb.has_dyn_sized_stack, 0
	.set _ZN9rocsolver6v33100L18getri_kernel_smallILi8E19rocblas_complex_numIdEPKPS3_EEvT1_iilPiilS8_bb.has_recursion, 0
	.set _ZN9rocsolver6v33100L18getri_kernel_smallILi8E19rocblas_complex_numIdEPKPS3_EEvT1_iilPiilS8_bb.has_indirect_call, 0
	.section	.AMDGPU.csdata,"",@progbits
; Kernel info:
; codeLenInByte = 6936
; TotalNumSgprs: 25
; NumVgprs: 68
; ScratchSize: 144
; MemoryBound: 0
; FloatMode: 240
; IeeeMode: 1
; LDSByteSize: 1288 bytes/workgroup (compile time only)
; SGPRBlocks: 0
; VGPRBlocks: 4
; NumSGPRsForWavesPerEU: 25
; NumVGPRsForWavesPerEU: 68
; NamedBarCnt: 0
; Occupancy: 12
; WaveLimiterHint : 1
; COMPUTE_PGM_RSRC2:SCRATCH_EN: 1
; COMPUTE_PGM_RSRC2:USER_SGPR: 4
; COMPUTE_PGM_RSRC2:TRAP_HANDLER: 0
; COMPUTE_PGM_RSRC2:TGID_X_EN: 1
; COMPUTE_PGM_RSRC2:TGID_Y_EN: 0
; COMPUTE_PGM_RSRC2:TGID_Z_EN: 0
; COMPUTE_PGM_RSRC2:TIDIG_COMP_CNT: 2
	.section	.text._ZN9rocsolver6v33100L18getri_kernel_smallILi9E19rocblas_complex_numIdEPKPS3_EEvT1_iilPiilS8_bb,"axG",@progbits,_ZN9rocsolver6v33100L18getri_kernel_smallILi9E19rocblas_complex_numIdEPKPS3_EEvT1_iilPiilS8_bb,comdat
	.globl	_ZN9rocsolver6v33100L18getri_kernel_smallILi9E19rocblas_complex_numIdEPKPS3_EEvT1_iilPiilS8_bb ; -- Begin function _ZN9rocsolver6v33100L18getri_kernel_smallILi9E19rocblas_complex_numIdEPKPS3_EEvT1_iilPiilS8_bb
	.p2align	8
	.type	_ZN9rocsolver6v33100L18getri_kernel_smallILi9E19rocblas_complex_numIdEPKPS3_EEvT1_iilPiilS8_bb,@function
_ZN9rocsolver6v33100L18getri_kernel_smallILi9E19rocblas_complex_numIdEPKPS3_EEvT1_iilPiilS8_bb: ; @_ZN9rocsolver6v33100L18getri_kernel_smallILi9E19rocblas_complex_numIdEPKPS3_EEvT1_iilPiilS8_bb
; %bb.0:
	s_mov_b32 s2, exec_lo
	v_cmpx_gt_u32_e32 9, v0
	s_cbranch_execz .LBB72_50
; %bb.1:
	s_clause 0x1
	s_load_b32 s12, s[0:1], 0x38
	s_load_b64 s[2:3], s[0:1], 0x0
	s_getreg_b32 s6, hwreg(HW_REG_IB_STS2, 6, 4)
	s_wait_kmcnt 0x0
	s_bitcmp1_b32 s12, 8
	s_cselect_b32 s18, -1, 0
	s_bfe_u32 s4, ttmp6, 0x4000c
	s_and_b32 s5, ttmp6, 15
	s_add_co_i32 s4, s4, 1
	s_delay_alu instid0(SALU_CYCLE_1) | instskip(NEXT) | instid1(SALU_CYCLE_1)
	s_mul_i32 s4, ttmp9, s4
	s_add_co_i32 s5, s5, s4
	s_cmp_eq_u32 s6, 0
	s_cselect_b32 s8, ttmp9, s5
	s_load_b128 s[4:7], s[0:1], 0x28
	s_ashr_i32 s9, s8, 31
	s_delay_alu instid0(SALU_CYCLE_1) | instskip(NEXT) | instid1(SALU_CYCLE_1)
	s_lshl_b64 s[10:11], s[8:9], 3
	s_add_nc_u64 s[2:3], s[2:3], s[10:11]
	s_load_b64 s[10:11], s[2:3], 0x0
	s_wait_xcnt 0x0
	s_bfe_u32 s2, s12, 0x10008
	s_delay_alu instid0(SALU_CYCLE_1)
	s_cmp_eq_u32 s2, 0
                                        ; implicit-def: $sgpr2_sgpr3
	s_cbranch_scc1 .LBB72_3
; %bb.2:
	s_load_b96 s[12:14], s[0:1], 0x18
	s_wait_kmcnt 0x0
	s_mul_u64 s[2:3], s[4:5], s[8:9]
	s_delay_alu instid0(SALU_CYCLE_1) | instskip(SKIP_4) | instid1(SALU_CYCLE_1)
	s_lshl_b64 s[2:3], s[2:3], 2
	s_ashr_i32 s5, s14, 31
	s_mov_b32 s4, s14
	s_add_nc_u64 s[2:3], s[12:13], s[2:3]
	s_lshl_b64 s[4:5], s[4:5], 2
	s_add_nc_u64 s[2:3], s[2:3], s[4:5]
.LBB72_3:
	s_clause 0x1
	s_load_b64 s[12:13], s[0:1], 0x8
	s_load_b32 s19, s[0:1], 0x38
	v_dual_mov_b32 v33, 0 :: v_dual_lshlrev_b32 v32, 4, v0
	s_mov_b32 s17, 32
	s_mov_b32 s16, 48
	s_wait_kmcnt 0x0
	s_ashr_i32 s1, s12, 31
	s_mov_b32 s0, s12
	v_add3_u32 v18, s13, s13, v0
	s_lshl_b64 s[0:1], s[0:1], 4
	s_delay_alu instid0(SALU_CYCLE_1)
	s_add_nc_u64 s[4:5], s[10:11], s[0:1]
	s_ashr_i32 s1, s13, 31
	flat_load_b128 v[2:5], v0, s[4:5] scale_offset
	v_add_nc_u64_e32 v[14:15], s[4:5], v[32:33]
	s_mov_b32 s0, s13
	v_add_nc_u32_e32 v20, s13, v18
	s_movk_i32 s10, 0x50
	s_delay_alu instid0(VALU_DEP_1) | instskip(NEXT) | instid1(VALU_DEP_3)
	v_add_nc_u32_e32 v22, s13, v20
	v_lshl_add_u64 v[16:17], s[0:1], 4, v[14:15]
	s_movk_i32 s0, 0x50
	s_movk_i32 s1, 0x60
	s_add_co_i32 s14, s0, 16
	v_add_nc_u32_e32 v24, s13, v22
	s_add_co_i32 s11, s1, 16
	s_movk_i32 s0, 0x70
	s_movk_i32 s1, 0x80
	s_add_co_i32 s15, s0, 16
	v_add_nc_u32_e32 v26, s13, v24
	s_add_co_i32 s12, s1, 16
	s_bitcmp0_b32 s19, 0
	s_mov_b32 s1, -1
	s_delay_alu instid0(VALU_DEP_1) | instskip(NEXT) | instid1(VALU_DEP_1)
	v_add_nc_u32_e32 v28, s13, v26
	v_add_nc_u32_e32 v30, s13, v28
	s_mov_b32 s13, 64
	s_wait_loadcnt_dscnt 0x0
	scratch_store_b128 off, v[2:5], off offset:16
	flat_load_b128 v[2:5], v[16:17]
	s_wait_loadcnt_dscnt 0x0
	scratch_store_b128 off, v[2:5], off offset:32
	flat_load_b128 v[2:5], v18, s[4:5] scale_offset
	s_wait_loadcnt_dscnt 0x0
	scratch_store_b128 off, v[2:5], off offset:48
	flat_load_b128 v[2:5], v20, s[4:5] scale_offset
	;; [unrolled: 3-line block ×7, first 2 shown]
	s_wait_loadcnt_dscnt 0x0
	scratch_store_b128 off, v[2:5], off offset:144
	s_cbranch_scc1 .LBB72_48
; %bb.4:
	v_cmp_eq_u32_e64 s0, 0, v0
	s_wait_xcnt 0x0
	s_and_saveexec_b32 s1, s0
; %bb.5:
	v_mov_b32_e32 v1, 0
	ds_store_b32 v1, v1 offset:288
; %bb.6:
	s_or_b32 exec_lo, exec_lo, s1
	s_wait_storecnt_dscnt 0x0
	s_barrier_signal -1
	s_barrier_wait -1
	scratch_load_b128 v[2:5], v0, off offset:16 scale_offset
	s_wait_loadcnt 0x0
	v_cmp_eq_f64_e32 vcc_lo, 0, v[2:3]
	v_cmp_eq_f64_e64 s1, 0, v[4:5]
	s_and_b32 s1, vcc_lo, s1
	s_delay_alu instid0(SALU_CYCLE_1)
	s_and_saveexec_b32 s19, s1
	s_cbranch_execz .LBB72_10
; %bb.7:
	v_mov_b32_e32 v1, 0
	s_mov_b32 s20, 0
	ds_load_b32 v2, v1 offset:288
	s_wait_dscnt 0x0
	v_readfirstlane_b32 s1, v2
	v_add_nc_u32_e32 v2, 1, v0
	s_cmp_eq_u32 s1, 0
	s_delay_alu instid0(VALU_DEP_1) | instskip(SKIP_1) | instid1(SALU_CYCLE_1)
	v_cmp_gt_i32_e32 vcc_lo, s1, v2
	s_cselect_b32 s21, -1, 0
	s_or_b32 s21, s21, vcc_lo
	s_delay_alu instid0(SALU_CYCLE_1)
	s_and_b32 exec_lo, exec_lo, s21
	s_cbranch_execz .LBB72_10
; %bb.8:
	v_mov_b32_e32 v3, s1
.LBB72_9:                               ; =>This Inner Loop Header: Depth=1
	ds_cmpstore_rtn_b32 v3, v1, v2, v3 offset:288
	s_wait_dscnt 0x0
	v_cmp_ne_u32_e32 vcc_lo, 0, v3
	v_cmp_le_i32_e64 s1, v3, v2
	s_and_b32 s1, vcc_lo, s1
	s_delay_alu instid0(SALU_CYCLE_1) | instskip(NEXT) | instid1(SALU_CYCLE_1)
	s_and_b32 s1, exec_lo, s1
	s_or_b32 s20, s1, s20
	s_delay_alu instid0(SALU_CYCLE_1)
	s_and_not1_b32 exec_lo, exec_lo, s20
	s_cbranch_execnz .LBB72_9
.LBB72_10:
	s_or_b32 exec_lo, exec_lo, s19
	v_mov_b32_e32 v1, 0
	s_barrier_signal -1
	s_barrier_wait -1
	ds_load_b32 v2, v1 offset:288
	s_and_saveexec_b32 s1, s0
	s_cbranch_execz .LBB72_12
; %bb.11:
	s_lshl_b64 s[20:21], s[8:9], 2
	s_delay_alu instid0(SALU_CYCLE_1)
	s_add_nc_u64 s[20:21], s[6:7], s[20:21]
	s_wait_dscnt 0x0
	global_store_b32 v1, v2, s[20:21]
.LBB72_12:
	s_wait_xcnt 0x0
	s_or_b32 exec_lo, exec_lo, s1
	s_wait_dscnt 0x0
	v_cmp_ne_u32_e32 vcc_lo, 0, v2
	s_mov_b32 s1, 0
	s_cbranch_vccnz .LBB72_48
; %bb.13:
	v_lshl_add_u32 v19, v0, 4, 16
                                        ; implicit-def: $vgpr6_vgpr7
                                        ; implicit-def: $vgpr10_vgpr11
	scratch_load_b128 v[2:5], v19, off
	s_wait_loadcnt 0x0
	v_cmp_ngt_f64_e64 s1, |v[2:3]|, |v[4:5]|
	s_wait_xcnt 0x0
	s_and_saveexec_b32 s19, s1
	s_delay_alu instid0(SALU_CYCLE_1)
	s_xor_b32 s1, exec_lo, s19
	s_cbranch_execz .LBB72_15
; %bb.14:
	v_div_scale_f64 v[6:7], null, v[4:5], v[4:5], v[2:3]
	v_div_scale_f64 v[12:13], vcc_lo, v[2:3], v[4:5], v[2:3]
	s_delay_alu instid0(VALU_DEP_2) | instskip(SKIP_1) | instid1(TRANS32_DEP_1)
	v_rcp_f64_e32 v[8:9], v[6:7]
	v_nop
	v_fma_f64 v[10:11], -v[6:7], v[8:9], 1.0
	s_delay_alu instid0(VALU_DEP_1) | instskip(NEXT) | instid1(VALU_DEP_1)
	v_fmac_f64_e32 v[8:9], v[8:9], v[10:11]
	v_fma_f64 v[10:11], -v[6:7], v[8:9], 1.0
	s_delay_alu instid0(VALU_DEP_1) | instskip(NEXT) | instid1(VALU_DEP_1)
	v_fmac_f64_e32 v[8:9], v[8:9], v[10:11]
	v_mul_f64_e32 v[10:11], v[12:13], v[8:9]
	s_delay_alu instid0(VALU_DEP_1) | instskip(NEXT) | instid1(VALU_DEP_1)
	v_fma_f64 v[6:7], -v[6:7], v[10:11], v[12:13]
	v_div_fmas_f64 v[6:7], v[6:7], v[8:9], v[10:11]
	s_delay_alu instid0(VALU_DEP_1) | instskip(NEXT) | instid1(VALU_DEP_1)
	v_div_fixup_f64 v[6:7], v[6:7], v[4:5], v[2:3]
	v_fmac_f64_e32 v[4:5], v[2:3], v[6:7]
	s_delay_alu instid0(VALU_DEP_1) | instskip(SKIP_1) | instid1(VALU_DEP_2)
	v_div_scale_f64 v[2:3], null, v[4:5], v[4:5], 1.0
	v_div_scale_f64 v[12:13], vcc_lo, 1.0, v[4:5], 1.0
	v_rcp_f64_e32 v[8:9], v[2:3]
	v_nop
	s_delay_alu instid0(TRANS32_DEP_1) | instskip(NEXT) | instid1(VALU_DEP_1)
	v_fma_f64 v[10:11], -v[2:3], v[8:9], 1.0
	v_fmac_f64_e32 v[8:9], v[8:9], v[10:11]
	s_delay_alu instid0(VALU_DEP_1) | instskip(NEXT) | instid1(VALU_DEP_1)
	v_fma_f64 v[10:11], -v[2:3], v[8:9], 1.0
	v_fmac_f64_e32 v[8:9], v[8:9], v[10:11]
	s_delay_alu instid0(VALU_DEP_1) | instskip(NEXT) | instid1(VALU_DEP_1)
	v_mul_f64_e32 v[10:11], v[12:13], v[8:9]
	v_fma_f64 v[2:3], -v[2:3], v[10:11], v[12:13]
	s_delay_alu instid0(VALU_DEP_1) | instskip(NEXT) | instid1(VALU_DEP_1)
	v_div_fmas_f64 v[2:3], v[2:3], v[8:9], v[10:11]
	v_div_fixup_f64 v[8:9], v[2:3], v[4:5], 1.0
                                        ; implicit-def: $vgpr2_vgpr3
	s_delay_alu instid0(VALU_DEP_1) | instskip(SKIP_1) | instid1(VALU_DEP_2)
	v_mul_f64_e32 v[6:7], v[6:7], v[8:9]
	v_xor_b32_e32 v9, 0x80000000, v9
	v_xor_b32_e32 v11, 0x80000000, v7
	s_delay_alu instid0(VALU_DEP_3)
	v_mov_b32_e32 v10, v6
.LBB72_15:
	s_and_not1_saveexec_b32 s1, s1
	s_cbranch_execz .LBB72_17
; %bb.16:
	v_div_scale_f64 v[6:7], null, v[2:3], v[2:3], v[4:5]
	v_div_scale_f64 v[12:13], vcc_lo, v[4:5], v[2:3], v[4:5]
	s_delay_alu instid0(VALU_DEP_2) | instskip(SKIP_1) | instid1(TRANS32_DEP_1)
	v_rcp_f64_e32 v[8:9], v[6:7]
	v_nop
	v_fma_f64 v[10:11], -v[6:7], v[8:9], 1.0
	s_delay_alu instid0(VALU_DEP_1) | instskip(NEXT) | instid1(VALU_DEP_1)
	v_fmac_f64_e32 v[8:9], v[8:9], v[10:11]
	v_fma_f64 v[10:11], -v[6:7], v[8:9], 1.0
	s_delay_alu instid0(VALU_DEP_1) | instskip(NEXT) | instid1(VALU_DEP_1)
	v_fmac_f64_e32 v[8:9], v[8:9], v[10:11]
	v_mul_f64_e32 v[10:11], v[12:13], v[8:9]
	s_delay_alu instid0(VALU_DEP_1) | instskip(NEXT) | instid1(VALU_DEP_1)
	v_fma_f64 v[6:7], -v[6:7], v[10:11], v[12:13]
	v_div_fmas_f64 v[6:7], v[6:7], v[8:9], v[10:11]
	s_delay_alu instid0(VALU_DEP_1) | instskip(NEXT) | instid1(VALU_DEP_1)
	v_div_fixup_f64 v[8:9], v[6:7], v[2:3], v[4:5]
	v_fmac_f64_e32 v[2:3], v[4:5], v[8:9]
	s_delay_alu instid0(VALU_DEP_1) | instskip(NEXT) | instid1(VALU_DEP_1)
	v_div_scale_f64 v[4:5], null, v[2:3], v[2:3], 1.0
	v_rcp_f64_e32 v[6:7], v[4:5]
	v_nop
	s_delay_alu instid0(TRANS32_DEP_1) | instskip(NEXT) | instid1(VALU_DEP_1)
	v_fma_f64 v[10:11], -v[4:5], v[6:7], 1.0
	v_fmac_f64_e32 v[6:7], v[6:7], v[10:11]
	s_delay_alu instid0(VALU_DEP_1) | instskip(NEXT) | instid1(VALU_DEP_1)
	v_fma_f64 v[10:11], -v[4:5], v[6:7], 1.0
	v_fmac_f64_e32 v[6:7], v[6:7], v[10:11]
	v_div_scale_f64 v[10:11], vcc_lo, 1.0, v[2:3], 1.0
	s_delay_alu instid0(VALU_DEP_1) | instskip(NEXT) | instid1(VALU_DEP_1)
	v_mul_f64_e32 v[12:13], v[10:11], v[6:7]
	v_fma_f64 v[4:5], -v[4:5], v[12:13], v[10:11]
	s_delay_alu instid0(VALU_DEP_1) | instskip(NEXT) | instid1(VALU_DEP_1)
	v_div_fmas_f64 v[4:5], v[4:5], v[6:7], v[12:13]
	v_div_fixup_f64 v[6:7], v[4:5], v[2:3], 1.0
	s_delay_alu instid0(VALU_DEP_1)
	v_mul_f64_e64 v[8:9], v[8:9], -v[6:7]
	v_xor_b32_e32 v11, 0x80000000, v7
	v_mov_b32_e32 v10, v6
.LBB72_17:
	s_or_b32 exec_lo, exec_lo, s1
	s_clause 0x1
	scratch_store_b128 v19, v[6:9], off
	scratch_load_b128 v[2:5], off, s17
	v_xor_b32_e32 v13, 0x80000000, v9
	v_dual_mov_b32 v12, v8 :: v_dual_add_nc_u32 v1, 0x90, v32
	ds_store_b128 v32, v[10:13]
	s_wait_loadcnt 0x0
	ds_store_b128 v32, v[2:5] offset:144
	s_wait_storecnt_dscnt 0x0
	s_barrier_signal -1
	s_barrier_wait -1
	s_wait_xcnt 0x0
	s_and_saveexec_b32 s1, s0
	s_cbranch_execz .LBB72_19
; %bb.18:
	scratch_load_b128 v[2:5], v19, off
	ds_load_b128 v[6:9], v1
	v_mov_b32_e32 v10, 0
	ds_load_b128 v[10:13], v10 offset:16
	s_wait_loadcnt_dscnt 0x1
	v_mul_f64_e32 v[34:35], v[6:7], v[4:5]
	v_mul_f64_e32 v[4:5], v[8:9], v[4:5]
	s_delay_alu instid0(VALU_DEP_2) | instskip(NEXT) | instid1(VALU_DEP_2)
	v_fmac_f64_e32 v[34:35], v[8:9], v[2:3]
	v_fma_f64 v[2:3], v[6:7], v[2:3], -v[4:5]
	s_delay_alu instid0(VALU_DEP_2) | instskip(NEXT) | instid1(VALU_DEP_2)
	v_add_f64_e32 v[6:7], 0, v[34:35]
	v_add_f64_e32 v[2:3], 0, v[2:3]
	s_wait_dscnt 0x0
	s_delay_alu instid0(VALU_DEP_2) | instskip(NEXT) | instid1(VALU_DEP_2)
	v_mul_f64_e32 v[8:9], v[6:7], v[12:13]
	v_mul_f64_e32 v[4:5], v[2:3], v[12:13]
	s_delay_alu instid0(VALU_DEP_2) | instskip(NEXT) | instid1(VALU_DEP_2)
	v_fma_f64 v[2:3], v[2:3], v[10:11], -v[8:9]
	v_fmac_f64_e32 v[4:5], v[6:7], v[10:11]
	scratch_store_b128 off, v[2:5], off offset:32
.LBB72_19:
	s_wait_xcnt 0x0
	s_or_b32 exec_lo, exec_lo, s1
	s_wait_storecnt 0x0
	s_barrier_signal -1
	s_barrier_wait -1
	scratch_load_b128 v[2:5], off, s16
	s_mov_b32 s1, exec_lo
	s_wait_loadcnt 0x0
	ds_store_b128 v1, v[2:5]
	s_wait_dscnt 0x0
	s_barrier_signal -1
	s_barrier_wait -1
	v_cmpx_gt_u32_e32 2, v0
	s_cbranch_execz .LBB72_23
; %bb.20:
	scratch_load_b128 v[2:5], v19, off
	ds_load_b128 v[6:9], v1
	s_wait_loadcnt_dscnt 0x0
	v_mul_f64_e32 v[10:11], v[8:9], v[4:5]
	v_mul_f64_e32 v[12:13], v[6:7], v[4:5]
	s_delay_alu instid0(VALU_DEP_2) | instskip(NEXT) | instid1(VALU_DEP_2)
	v_fma_f64 v[4:5], v[6:7], v[2:3], -v[10:11]
	v_fmac_f64_e32 v[12:13], v[8:9], v[2:3]
	s_delay_alu instid0(VALU_DEP_2) | instskip(NEXT) | instid1(VALU_DEP_2)
	v_add_f64_e32 v[4:5], 0, v[4:5]
	v_add_f64_e32 v[2:3], 0, v[12:13]
	s_and_saveexec_b32 s19, s0
	s_cbranch_execz .LBB72_22
; %bb.21:
	scratch_load_b128 v[6:9], off, off offset:32
	v_mov_b32_e32 v10, 0
	ds_load_b128 v[10:13], v10 offset:160
	s_wait_loadcnt_dscnt 0x0
	v_mul_f64_e32 v[34:35], v[10:11], v[8:9]
	v_mul_f64_e32 v[8:9], v[12:13], v[8:9]
	s_delay_alu instid0(VALU_DEP_2) | instskip(NEXT) | instid1(VALU_DEP_2)
	v_fmac_f64_e32 v[34:35], v[12:13], v[6:7]
	v_fma_f64 v[6:7], v[10:11], v[6:7], -v[8:9]
	s_delay_alu instid0(VALU_DEP_2) | instskip(NEXT) | instid1(VALU_DEP_2)
	v_add_f64_e32 v[2:3], v[2:3], v[34:35]
	v_add_f64_e32 v[4:5], v[4:5], v[6:7]
.LBB72_22:
	s_or_b32 exec_lo, exec_lo, s19
	v_mov_b32_e32 v6, 0
	ds_load_b128 v[6:9], v6 offset:32
	s_wait_dscnt 0x0
	v_mul_f64_e32 v[12:13], v[2:3], v[8:9]
	v_mul_f64_e32 v[10:11], v[4:5], v[8:9]
	s_delay_alu instid0(VALU_DEP_2) | instskip(NEXT) | instid1(VALU_DEP_2)
	v_fma_f64 v[8:9], v[4:5], v[6:7], -v[12:13]
	v_fmac_f64_e32 v[10:11], v[2:3], v[6:7]
	scratch_store_b128 off, v[8:11], off offset:48
.LBB72_23:
	s_wait_xcnt 0x0
	s_or_b32 exec_lo, exec_lo, s1
	s_wait_storecnt 0x0
	s_barrier_signal -1
	s_barrier_wait -1
	scratch_load_b128 v[2:5], off, s13
	v_add_nc_u32_e32 v6, -1, v0
	s_mov_b32 s0, exec_lo
	s_wait_loadcnt 0x0
	ds_store_b128 v1, v[2:5]
	s_wait_dscnt 0x0
	s_barrier_signal -1
	s_barrier_wait -1
	v_cmpx_gt_u32_e32 3, v0
	s_cbranch_execz .LBB72_27
; %bb.24:
	v_add_nc_u32_e32 v9, 16, v32
	v_mov_b64_e32 v[2:3], 0
	v_mov_b64_e32 v[4:5], 0
	v_add_nc_u32_e32 v7, -1, v0
	v_add_nc_u32_e32 v8, 0x90, v32
	v_or_b32_e32 v9, 8, v9
	s_mov_b32 s1, 0
.LBB72_25:                              ; =>This Inner Loop Header: Depth=1
	scratch_load_b128 v[10:13], v9, off offset:-8
	ds_load_b128 v[34:37], v8
	v_dual_add_nc_u32 v7, 1, v7 :: v_dual_add_nc_u32 v8, 16, v8
	s_wait_xcnt 0x0
	v_add_nc_u32_e32 v9, 16, v9
	s_delay_alu instid0(VALU_DEP_2) | instskip(SKIP_4) | instid1(VALU_DEP_2)
	v_cmp_lt_u32_e32 vcc_lo, 1, v7
	s_or_b32 s1, vcc_lo, s1
	s_wait_loadcnt_dscnt 0x0
	v_mul_f64_e32 v[38:39], v[36:37], v[12:13]
	v_mul_f64_e32 v[12:13], v[34:35], v[12:13]
	v_fma_f64 v[34:35], v[34:35], v[10:11], -v[38:39]
	s_delay_alu instid0(VALU_DEP_2) | instskip(NEXT) | instid1(VALU_DEP_2)
	v_fmac_f64_e32 v[12:13], v[36:37], v[10:11]
	v_add_f64_e32 v[4:5], v[4:5], v[34:35]
	s_delay_alu instid0(VALU_DEP_2)
	v_add_f64_e32 v[2:3], v[2:3], v[12:13]
	s_and_not1_b32 exec_lo, exec_lo, s1
	s_cbranch_execnz .LBB72_25
; %bb.26:
	s_or_b32 exec_lo, exec_lo, s1
	v_mov_b32_e32 v7, 0
	ds_load_b128 v[8:11], v7 offset:48
	s_wait_dscnt 0x0
	v_mul_f64_e32 v[34:35], v[2:3], v[10:11]
	v_mul_f64_e32 v[12:13], v[4:5], v[10:11]
	s_delay_alu instid0(VALU_DEP_2) | instskip(NEXT) | instid1(VALU_DEP_2)
	v_fma_f64 v[10:11], v[4:5], v[8:9], -v[34:35]
	v_fmac_f64_e32 v[12:13], v[2:3], v[8:9]
	scratch_store_b128 off, v[10:13], off offset:64
.LBB72_27:
	s_wait_xcnt 0x0
	s_or_b32 exec_lo, exec_lo, s0
	s_wait_storecnt 0x0
	s_barrier_signal -1
	s_barrier_wait -1
	scratch_load_b128 v[2:5], off, s10
	s_mov_b32 s0, exec_lo
	s_wait_loadcnt 0x0
	ds_store_b128 v1, v[2:5]
	s_wait_dscnt 0x0
	s_barrier_signal -1
	s_barrier_wait -1
	v_cmpx_gt_u32_e32 4, v0
	s_cbranch_execz .LBB72_31
; %bb.28:
	v_add_nc_u32_e32 v9, 16, v32
	v_mov_b64_e32 v[2:3], 0
	v_mov_b64_e32 v[4:5], 0
	v_add_nc_u32_e32 v7, -1, v0
	v_add_nc_u32_e32 v8, 0x90, v32
	v_or_b32_e32 v9, 8, v9
	s_mov_b32 s1, 0
.LBB72_29:                              ; =>This Inner Loop Header: Depth=1
	scratch_load_b128 v[10:13], v9, off offset:-8
	ds_load_b128 v[34:37], v8
	v_dual_add_nc_u32 v7, 1, v7 :: v_dual_add_nc_u32 v8, 16, v8
	s_wait_xcnt 0x0
	v_add_nc_u32_e32 v9, 16, v9
	s_delay_alu instid0(VALU_DEP_2) | instskip(SKIP_4) | instid1(VALU_DEP_2)
	v_cmp_lt_u32_e32 vcc_lo, 2, v7
	s_or_b32 s1, vcc_lo, s1
	s_wait_loadcnt_dscnt 0x0
	v_mul_f64_e32 v[38:39], v[36:37], v[12:13]
	v_mul_f64_e32 v[12:13], v[34:35], v[12:13]
	v_fma_f64 v[34:35], v[34:35], v[10:11], -v[38:39]
	s_delay_alu instid0(VALU_DEP_2) | instskip(NEXT) | instid1(VALU_DEP_2)
	v_fmac_f64_e32 v[12:13], v[36:37], v[10:11]
	v_add_f64_e32 v[4:5], v[4:5], v[34:35]
	s_delay_alu instid0(VALU_DEP_2)
	v_add_f64_e32 v[2:3], v[2:3], v[12:13]
	s_and_not1_b32 exec_lo, exec_lo, s1
	s_cbranch_execnz .LBB72_29
; %bb.30:
	s_or_b32 exec_lo, exec_lo, s1
	v_mov_b32_e32 v7, 0
	ds_load_b128 v[8:11], v7 offset:64
	s_wait_dscnt 0x0
	v_mul_f64_e32 v[34:35], v[2:3], v[10:11]
	v_mul_f64_e32 v[12:13], v[4:5], v[10:11]
	s_delay_alu instid0(VALU_DEP_2) | instskip(NEXT) | instid1(VALU_DEP_2)
	v_fma_f64 v[10:11], v[4:5], v[8:9], -v[34:35]
	v_fmac_f64_e32 v[12:13], v[2:3], v[8:9]
	scratch_store_b128 off, v[10:13], off offset:80
.LBB72_31:
	s_wait_xcnt 0x0
	s_or_b32 exec_lo, exec_lo, s0
	s_wait_storecnt 0x0
	s_barrier_signal -1
	s_barrier_wait -1
	scratch_load_b128 v[2:5], off, s14
	;; [unrolled: 54-line block ×5, first 2 shown]
	s_mov_b32 s0, exec_lo
	s_wait_loadcnt 0x0
	ds_store_b128 v1, v[2:5]
	s_wait_dscnt 0x0
	s_barrier_signal -1
	s_barrier_wait -1
	v_cmpx_ne_u32_e32 8, v0
	s_cbranch_execz .LBB72_47
; %bb.44:
	v_add_nc_u32_e32 v7, 16, v32
	v_mov_b64_e32 v[2:3], 0
	v_mov_b64_e32 v[4:5], 0
	s_mov_b32 s1, 0
	s_delay_alu instid0(VALU_DEP_3)
	v_or_b32_e32 v7, 8, v7
.LBB72_45:                              ; =>This Inner Loop Header: Depth=1
	scratch_load_b128 v[8:11], v7, off offset:-8
	ds_load_b128 v[32:35], v1
	v_dual_add_nc_u32 v1, 16, v1 :: v_dual_add_nc_u32 v6, 1, v6
	s_wait_xcnt 0x0
	v_add_nc_u32_e32 v7, 16, v7
	s_delay_alu instid0(VALU_DEP_2) | instskip(SKIP_4) | instid1(VALU_DEP_2)
	v_cmp_lt_u32_e32 vcc_lo, 6, v6
	s_or_b32 s1, vcc_lo, s1
	s_wait_loadcnt_dscnt 0x0
	v_mul_f64_e32 v[12:13], v[34:35], v[10:11]
	v_mul_f64_e32 v[10:11], v[32:33], v[10:11]
	v_fma_f64 v[12:13], v[32:33], v[8:9], -v[12:13]
	s_delay_alu instid0(VALU_DEP_2) | instskip(NEXT) | instid1(VALU_DEP_2)
	v_fmac_f64_e32 v[10:11], v[34:35], v[8:9]
	v_add_f64_e32 v[4:5], v[4:5], v[12:13]
	s_delay_alu instid0(VALU_DEP_2)
	v_add_f64_e32 v[2:3], v[2:3], v[10:11]
	s_and_not1_b32 exec_lo, exec_lo, s1
	s_cbranch_execnz .LBB72_45
; %bb.46:
	s_or_b32 exec_lo, exec_lo, s1
	v_mov_b32_e32 v1, 0
	ds_load_b128 v[6:9], v1 offset:128
	s_wait_dscnt 0x0
	v_mul_f64_e32 v[12:13], v[2:3], v[8:9]
	v_mul_f64_e32 v[10:11], v[4:5], v[8:9]
	s_delay_alu instid0(VALU_DEP_2) | instskip(NEXT) | instid1(VALU_DEP_2)
	v_fma_f64 v[8:9], v[4:5], v[6:7], -v[12:13]
	v_fmac_f64_e32 v[10:11], v[2:3], v[6:7]
	scratch_store_b128 off, v[8:11], off offset:144
.LBB72_47:
	s_wait_xcnt 0x0
	s_or_b32 exec_lo, exec_lo, s0
	s_mov_b32 s1, -1
	s_wait_storecnt 0x0
	s_barrier_signal -1
	s_barrier_wait -1
.LBB72_48:
	s_and_b32 vcc_lo, exec_lo, s1
	s_cbranch_vccz .LBB72_50
; %bb.49:
	v_mov_b32_e32 v1, 0
	s_lshl_b64 s[0:1], s[8:9], 2
	s_delay_alu instid0(SALU_CYCLE_1)
	s_add_nc_u64 s[0:1], s[6:7], s[0:1]
	global_load_b32 v1, v1, s[0:1]
	s_wait_loadcnt 0x0
	v_cmp_ne_u32_e32 vcc_lo, 0, v1
	s_cbranch_vccz .LBB72_51
.LBB72_50:
	s_sendmsg sendmsg(MSG_DEALLOC_VGPRS)
	s_endpgm
.LBB72_51:
	s_wait_xcnt 0x0
	v_lshl_add_u32 v1, v0, 4, 0x90
	s_mov_b32 s0, exec_lo
	v_cmpx_eq_u32_e32 8, v0
	s_cbranch_execz .LBB72_53
; %bb.52:
	scratch_load_b128 v[2:5], off, s15
	v_mov_b32_e32 v6, 0
	s_delay_alu instid0(VALU_DEP_1)
	v_dual_mov_b32 v7, v6 :: v_dual_mov_b32 v8, v6
	v_mov_b32_e32 v9, v6
	scratch_store_b128 off, v[6:9], off offset:128
	s_wait_loadcnt 0x0
	ds_store_b128 v1, v[2:5]
.LBB72_53:
	s_wait_xcnt 0x0
	s_or_b32 exec_lo, exec_lo, s0
	s_wait_storecnt_dscnt 0x0
	s_barrier_signal -1
	s_barrier_wait -1
	s_clause 0x1
	scratch_load_b128 v[4:7], off, off offset:144
	scratch_load_b128 v[8:11], off, off offset:128
	v_mov_b32_e32 v2, 0
	s_mov_b32 s0, exec_lo
	ds_load_b128 v[32:35], v2 offset:272
	s_wait_loadcnt_dscnt 0x100
	v_mul_f64_e32 v[12:13], v[34:35], v[6:7]
	v_mul_f64_e32 v[6:7], v[32:33], v[6:7]
	s_delay_alu instid0(VALU_DEP_2) | instskip(NEXT) | instid1(VALU_DEP_2)
	v_fma_f64 v[12:13], v[32:33], v[4:5], -v[12:13]
	v_fmac_f64_e32 v[6:7], v[34:35], v[4:5]
	s_delay_alu instid0(VALU_DEP_2) | instskip(NEXT) | instid1(VALU_DEP_2)
	v_add_f64_e32 v[4:5], 0, v[12:13]
	v_add_f64_e32 v[6:7], 0, v[6:7]
	s_wait_loadcnt 0x0
	s_delay_alu instid0(VALU_DEP_2) | instskip(NEXT) | instid1(VALU_DEP_2)
	v_add_f64_e64 v[4:5], v[8:9], -v[4:5]
	v_add_f64_e64 v[6:7], v[10:11], -v[6:7]
	scratch_store_b128 off, v[4:7], off offset:128
	s_wait_xcnt 0x0
	v_cmpx_lt_u32_e32 6, v0
	s_cbranch_execz .LBB72_55
; %bb.54:
	scratch_load_b128 v[6:9], off, s11
	v_dual_mov_b32 v3, v2 :: v_dual_mov_b32 v4, v2
	v_mov_b32_e32 v5, v2
	scratch_store_b128 off, v[2:5], off offset:112
	s_wait_loadcnt 0x0
	ds_store_b128 v1, v[6:9]
.LBB72_55:
	s_wait_xcnt 0x0
	s_or_b32 exec_lo, exec_lo, s0
	s_wait_storecnt_dscnt 0x0
	s_barrier_signal -1
	s_barrier_wait -1
	s_clause 0x2
	scratch_load_b128 v[4:7], off, off offset:128
	scratch_load_b128 v[8:11], off, off offset:144
	;; [unrolled: 1-line block ×3, first 2 shown]
	ds_load_b128 v[36:39], v2 offset:256
	ds_load_b128 v[40:43], v2 offset:272
	s_mov_b32 s0, exec_lo
	s_wait_loadcnt_dscnt 0x201
	v_mul_f64_e32 v[2:3], v[38:39], v[6:7]
	v_mul_f64_e32 v[6:7], v[36:37], v[6:7]
	s_wait_loadcnt_dscnt 0x100
	v_mul_f64_e32 v[12:13], v[40:41], v[10:11]
	v_mul_f64_e32 v[10:11], v[42:43], v[10:11]
	s_delay_alu instid0(VALU_DEP_4) | instskip(NEXT) | instid1(VALU_DEP_4)
	v_fma_f64 v[2:3], v[36:37], v[4:5], -v[2:3]
	v_fmac_f64_e32 v[6:7], v[38:39], v[4:5]
	s_delay_alu instid0(VALU_DEP_4) | instskip(NEXT) | instid1(VALU_DEP_4)
	v_fmac_f64_e32 v[12:13], v[42:43], v[8:9]
	v_fma_f64 v[4:5], v[40:41], v[8:9], -v[10:11]
	s_delay_alu instid0(VALU_DEP_4) | instskip(NEXT) | instid1(VALU_DEP_4)
	v_add_f64_e32 v[2:3], 0, v[2:3]
	v_add_f64_e32 v[6:7], 0, v[6:7]
	s_delay_alu instid0(VALU_DEP_2) | instskip(NEXT) | instid1(VALU_DEP_2)
	v_add_f64_e32 v[2:3], v[2:3], v[4:5]
	v_add_f64_e32 v[4:5], v[6:7], v[12:13]
	s_wait_loadcnt 0x0
	s_delay_alu instid0(VALU_DEP_2) | instskip(NEXT) | instid1(VALU_DEP_2)
	v_add_f64_e64 v[2:3], v[32:33], -v[2:3]
	v_add_f64_e64 v[4:5], v[34:35], -v[4:5]
	scratch_store_b128 off, v[2:5], off offset:112
	s_wait_xcnt 0x0
	v_cmpx_lt_u32_e32 5, v0
	s_cbranch_execz .LBB72_57
; %bb.56:
	scratch_load_b128 v[2:5], off, s14
	v_mov_b32_e32 v6, 0
	s_delay_alu instid0(VALU_DEP_1)
	v_dual_mov_b32 v7, v6 :: v_dual_mov_b32 v8, v6
	v_mov_b32_e32 v9, v6
	scratch_store_b128 off, v[6:9], off offset:96
	s_wait_loadcnt 0x0
	ds_store_b128 v1, v[2:5]
.LBB72_57:
	s_wait_xcnt 0x0
	s_or_b32 exec_lo, exec_lo, s0
	s_wait_storecnt_dscnt 0x0
	s_barrier_signal -1
	s_barrier_wait -1
	s_clause 0x3
	scratch_load_b128 v[4:7], off, off offset:112
	scratch_load_b128 v[8:11], off, off offset:128
	;; [unrolled: 1-line block ×4, first 2 shown]
	v_mov_b32_e32 v2, 0
	ds_load_b128 v[40:43], v2 offset:240
	ds_load_b128 v[44:47], v2 offset:256
	s_mov_b32 s0, exec_lo
	s_wait_loadcnt_dscnt 0x301
	v_mul_f64_e32 v[12:13], v[42:43], v[6:7]
	v_mul_f64_e32 v[48:49], v[40:41], v[6:7]
	s_wait_loadcnt_dscnt 0x200
	v_mul_f64_e32 v[50:51], v[44:45], v[10:11]
	v_mul_f64_e32 v[10:11], v[46:47], v[10:11]
	s_delay_alu instid0(VALU_DEP_4) | instskip(NEXT) | instid1(VALU_DEP_4)
	v_fma_f64 v[12:13], v[40:41], v[4:5], -v[12:13]
	v_fmac_f64_e32 v[48:49], v[42:43], v[4:5]
	ds_load_b128 v[4:7], v2 offset:272
	v_fmac_f64_e32 v[50:51], v[46:47], v[8:9]
	v_fma_f64 v[8:9], v[44:45], v[8:9], -v[10:11]
	s_wait_loadcnt_dscnt 0x100
	v_mul_f64_e32 v[40:41], v[4:5], v[34:35]
	v_mul_f64_e32 v[34:35], v[6:7], v[34:35]
	v_add_f64_e32 v[10:11], 0, v[12:13]
	v_add_f64_e32 v[12:13], 0, v[48:49]
	s_delay_alu instid0(VALU_DEP_4) | instskip(NEXT) | instid1(VALU_DEP_4)
	v_fmac_f64_e32 v[40:41], v[6:7], v[32:33]
	v_fma_f64 v[4:5], v[4:5], v[32:33], -v[34:35]
	s_delay_alu instid0(VALU_DEP_4) | instskip(NEXT) | instid1(VALU_DEP_4)
	v_add_f64_e32 v[6:7], v[10:11], v[8:9]
	v_add_f64_e32 v[8:9], v[12:13], v[50:51]
	s_delay_alu instid0(VALU_DEP_2) | instskip(NEXT) | instid1(VALU_DEP_2)
	v_add_f64_e32 v[4:5], v[6:7], v[4:5]
	v_add_f64_e32 v[6:7], v[8:9], v[40:41]
	s_wait_loadcnt 0x0
	s_delay_alu instid0(VALU_DEP_2) | instskip(NEXT) | instid1(VALU_DEP_2)
	v_add_f64_e64 v[4:5], v[36:37], -v[4:5]
	v_add_f64_e64 v[6:7], v[38:39], -v[6:7]
	scratch_store_b128 off, v[4:7], off offset:96
	s_wait_xcnt 0x0
	v_cmpx_lt_u32_e32 4, v0
	s_cbranch_execz .LBB72_59
; %bb.58:
	scratch_load_b128 v[6:9], off, s10
	v_dual_mov_b32 v3, v2 :: v_dual_mov_b32 v4, v2
	v_mov_b32_e32 v5, v2
	scratch_store_b128 off, v[2:5], off offset:80
	s_wait_loadcnt 0x0
	ds_store_b128 v1, v[6:9]
.LBB72_59:
	s_wait_xcnt 0x0
	s_or_b32 exec_lo, exec_lo, s0
	s_wait_storecnt_dscnt 0x0
	s_barrier_signal -1
	s_barrier_wait -1
	s_clause 0x4
	scratch_load_b128 v[4:7], off, off offset:96
	scratch_load_b128 v[8:11], off, off offset:112
	;; [unrolled: 1-line block ×5, first 2 shown]
	ds_load_b128 v[44:47], v2 offset:224
	ds_load_b128 v[48:51], v2 offset:240
	s_mov_b32 s0, exec_lo
	s_wait_loadcnt_dscnt 0x401
	v_mul_f64_e32 v[12:13], v[46:47], v[6:7]
	v_mul_f64_e32 v[52:53], v[44:45], v[6:7]
	s_wait_loadcnt_dscnt 0x300
	v_mul_f64_e32 v[54:55], v[48:49], v[10:11]
	v_mul_f64_e32 v[56:57], v[50:51], v[10:11]
	s_delay_alu instid0(VALU_DEP_4) | instskip(NEXT) | instid1(VALU_DEP_4)
	v_fma_f64 v[44:45], v[44:45], v[4:5], -v[12:13]
	v_fmac_f64_e32 v[52:53], v[46:47], v[4:5]
	ds_load_b128 v[4:7], v2 offset:256
	ds_load_b128 v[10:13], v2 offset:272
	v_fmac_f64_e32 v[54:55], v[50:51], v[8:9]
	v_fma_f64 v[8:9], v[48:49], v[8:9], -v[56:57]
	s_wait_loadcnt_dscnt 0x201
	v_mul_f64_e32 v[2:3], v[4:5], v[34:35]
	v_mul_f64_e32 v[34:35], v[6:7], v[34:35]
	s_wait_loadcnt_dscnt 0x100
	v_mul_f64_e32 v[48:49], v[10:11], v[38:39]
	v_mul_f64_e32 v[38:39], v[12:13], v[38:39]
	v_add_f64_e32 v[44:45], 0, v[44:45]
	v_add_f64_e32 v[46:47], 0, v[52:53]
	v_fmac_f64_e32 v[2:3], v[6:7], v[32:33]
	v_fma_f64 v[4:5], v[4:5], v[32:33], -v[34:35]
	v_fmac_f64_e32 v[48:49], v[12:13], v[36:37]
	v_fma_f64 v[10:11], v[10:11], v[36:37], -v[38:39]
	v_add_f64_e32 v[6:7], v[44:45], v[8:9]
	v_add_f64_e32 v[8:9], v[46:47], v[54:55]
	s_delay_alu instid0(VALU_DEP_2) | instskip(NEXT) | instid1(VALU_DEP_2)
	v_add_f64_e32 v[4:5], v[6:7], v[4:5]
	v_add_f64_e32 v[2:3], v[8:9], v[2:3]
	s_delay_alu instid0(VALU_DEP_2) | instskip(NEXT) | instid1(VALU_DEP_2)
	v_add_f64_e32 v[4:5], v[4:5], v[10:11]
	v_add_f64_e32 v[6:7], v[2:3], v[48:49]
	s_wait_loadcnt 0x0
	s_delay_alu instid0(VALU_DEP_2) | instskip(NEXT) | instid1(VALU_DEP_2)
	v_add_f64_e64 v[2:3], v[40:41], -v[4:5]
	v_add_f64_e64 v[4:5], v[42:43], -v[6:7]
	scratch_store_b128 off, v[2:5], off offset:80
	s_wait_xcnt 0x0
	v_cmpx_lt_u32_e32 3, v0
	s_cbranch_execz .LBB72_61
; %bb.60:
	scratch_load_b128 v[2:5], off, s13
	v_mov_b32_e32 v6, 0
	s_delay_alu instid0(VALU_DEP_1)
	v_dual_mov_b32 v7, v6 :: v_dual_mov_b32 v8, v6
	v_mov_b32_e32 v9, v6
	scratch_store_b128 off, v[6:9], off offset:64
	s_wait_loadcnt 0x0
	ds_store_b128 v1, v[2:5]
.LBB72_61:
	s_wait_xcnt 0x0
	s_or_b32 exec_lo, exec_lo, s0
	s_wait_storecnt_dscnt 0x0
	s_barrier_signal -1
	s_barrier_wait -1
	s_clause 0x5
	scratch_load_b128 v[4:7], off, off offset:80
	scratch_load_b128 v[8:11], off, off offset:96
	;; [unrolled: 1-line block ×6, first 2 shown]
	v_mov_b32_e32 v2, 0
	ds_load_b128 v[48:51], v2 offset:208
	ds_load_b128 v[52:55], v2 offset:224
	s_mov_b32 s0, exec_lo
	s_wait_loadcnt_dscnt 0x501
	v_mul_f64_e32 v[12:13], v[50:51], v[6:7]
	v_mul_f64_e32 v[56:57], v[48:49], v[6:7]
	s_wait_loadcnt_dscnt 0x400
	v_mul_f64_e32 v[58:59], v[52:53], v[10:11]
	v_mul_f64_e32 v[60:61], v[54:55], v[10:11]
	s_delay_alu instid0(VALU_DEP_4) | instskip(NEXT) | instid1(VALU_DEP_4)
	v_fma_f64 v[48:49], v[48:49], v[4:5], -v[12:13]
	v_fmac_f64_e32 v[56:57], v[50:51], v[4:5]
	ds_load_b128 v[4:7], v2 offset:240
	ds_load_b128 v[10:13], v2 offset:256
	v_fmac_f64_e32 v[58:59], v[54:55], v[8:9]
	v_fma_f64 v[8:9], v[52:53], v[8:9], -v[60:61]
	s_wait_loadcnt_dscnt 0x301
	v_mul_f64_e32 v[50:51], v[4:5], v[34:35]
	v_mul_f64_e32 v[34:35], v[6:7], v[34:35]
	s_wait_loadcnt_dscnt 0x200
	v_mul_f64_e32 v[54:55], v[10:11], v[38:39]
	v_mul_f64_e32 v[38:39], v[12:13], v[38:39]
	v_add_f64_e32 v[48:49], 0, v[48:49]
	v_add_f64_e32 v[52:53], 0, v[56:57]
	v_fmac_f64_e32 v[50:51], v[6:7], v[32:33]
	v_fma_f64 v[32:33], v[4:5], v[32:33], -v[34:35]
	ds_load_b128 v[4:7], v2 offset:272
	v_fmac_f64_e32 v[54:55], v[12:13], v[36:37]
	v_fma_f64 v[10:11], v[10:11], v[36:37], -v[38:39]
	v_add_f64_e32 v[8:9], v[48:49], v[8:9]
	v_add_f64_e32 v[34:35], v[52:53], v[58:59]
	s_wait_loadcnt_dscnt 0x100
	v_mul_f64_e32 v[48:49], v[4:5], v[42:43]
	v_mul_f64_e32 v[42:43], v[6:7], v[42:43]
	s_delay_alu instid0(VALU_DEP_4) | instskip(NEXT) | instid1(VALU_DEP_4)
	v_add_f64_e32 v[8:9], v[8:9], v[32:33]
	v_add_f64_e32 v[12:13], v[34:35], v[50:51]
	s_delay_alu instid0(VALU_DEP_4) | instskip(NEXT) | instid1(VALU_DEP_4)
	v_fmac_f64_e32 v[48:49], v[6:7], v[40:41]
	v_fma_f64 v[4:5], v[4:5], v[40:41], -v[42:43]
	s_delay_alu instid0(VALU_DEP_4) | instskip(NEXT) | instid1(VALU_DEP_4)
	v_add_f64_e32 v[6:7], v[8:9], v[10:11]
	v_add_f64_e32 v[8:9], v[12:13], v[54:55]
	s_delay_alu instid0(VALU_DEP_2) | instskip(NEXT) | instid1(VALU_DEP_2)
	v_add_f64_e32 v[4:5], v[6:7], v[4:5]
	v_add_f64_e32 v[6:7], v[8:9], v[48:49]
	s_wait_loadcnt 0x0
	s_delay_alu instid0(VALU_DEP_2) | instskip(NEXT) | instid1(VALU_DEP_2)
	v_add_f64_e64 v[4:5], v[44:45], -v[4:5]
	v_add_f64_e64 v[6:7], v[46:47], -v[6:7]
	scratch_store_b128 off, v[4:7], off offset:64
	s_wait_xcnt 0x0
	v_cmpx_lt_u32_e32 2, v0
	s_cbranch_execz .LBB72_63
; %bb.62:
	scratch_load_b128 v[6:9], off, s16
	v_dual_mov_b32 v3, v2 :: v_dual_mov_b32 v4, v2
	v_mov_b32_e32 v5, v2
	scratch_store_b128 off, v[2:5], off offset:48
	s_wait_loadcnt 0x0
	ds_store_b128 v1, v[6:9]
.LBB72_63:
	s_wait_xcnt 0x0
	s_or_b32 exec_lo, exec_lo, s0
	s_wait_storecnt_dscnt 0x0
	s_barrier_signal -1
	s_barrier_wait -1
	s_clause 0x6
	scratch_load_b128 v[4:7], off, off offset:64
	scratch_load_b128 v[8:11], off, off offset:80
	;; [unrolled: 1-line block ×7, first 2 shown]
	ds_load_b128 v[52:55], v2 offset:192
	ds_load_b128 v[56:59], v2 offset:208
	s_mov_b32 s0, exec_lo
	v_ashrrev_i32_e32 v21, 31, v20
	v_ashrrev_i32_e32 v25, 31, v24
	v_dual_ashrrev_i32 v29, 31, v28 :: v_dual_ashrrev_i32 v19, 31, v18
	v_ashrrev_i32_e32 v23, 31, v22
	v_ashrrev_i32_e32 v27, 31, v26
	;; [unrolled: 1-line block ×3, first 2 shown]
	s_wait_loadcnt_dscnt 0x601
	v_mul_f64_e32 v[12:13], v[54:55], v[6:7]
	v_mul_f64_e32 v[60:61], v[52:53], v[6:7]
	s_wait_loadcnt_dscnt 0x500
	v_mul_f64_e32 v[62:63], v[56:57], v[10:11]
	v_mul_f64_e32 v[64:65], v[58:59], v[10:11]
	s_delay_alu instid0(VALU_DEP_4) | instskip(NEXT) | instid1(VALU_DEP_4)
	v_fma_f64 v[52:53], v[52:53], v[4:5], -v[12:13]
	v_fmac_f64_e32 v[60:61], v[54:55], v[4:5]
	ds_load_b128 v[4:7], v2 offset:224
	ds_load_b128 v[10:13], v2 offset:240
	v_fmac_f64_e32 v[62:63], v[58:59], v[8:9]
	v_fma_f64 v[8:9], v[56:57], v[8:9], -v[64:65]
	s_wait_loadcnt_dscnt 0x401
	v_mul_f64_e32 v[54:55], v[4:5], v[34:35]
	v_mul_f64_e32 v[34:35], v[6:7], v[34:35]
	s_wait_loadcnt_dscnt 0x300
	v_mul_f64_e32 v[58:59], v[10:11], v[38:39]
	v_mul_f64_e32 v[38:39], v[12:13], v[38:39]
	v_add_f64_e32 v[52:53], 0, v[52:53]
	v_add_f64_e32 v[56:57], 0, v[60:61]
	v_fmac_f64_e32 v[54:55], v[6:7], v[32:33]
	v_fma_f64 v[60:61], v[4:5], v[32:33], -v[34:35]
	ds_load_b128 v[4:7], v2 offset:256
	ds_load_b128 v[32:35], v2 offset:272
	v_fmac_f64_e32 v[58:59], v[12:13], v[36:37]
	v_fma_f64 v[10:11], v[10:11], v[36:37], -v[38:39]
	v_add_f64_e32 v[8:9], v[52:53], v[8:9]
	v_add_f64_e32 v[52:53], v[56:57], v[62:63]
	s_wait_loadcnt_dscnt 0x201
	v_mul_f64_e32 v[2:3], v[4:5], v[42:43]
	v_mul_f64_e32 v[42:43], v[6:7], v[42:43]
	s_wait_loadcnt_dscnt 0x100
	v_mul_f64_e32 v[36:37], v[32:33], v[46:47]
	v_mul_f64_e32 v[38:39], v[34:35], v[46:47]
	v_add_f64_e32 v[8:9], v[8:9], v[60:61]
	v_add_f64_e32 v[12:13], v[52:53], v[54:55]
	v_fmac_f64_e32 v[2:3], v[6:7], v[40:41]
	v_fma_f64 v[4:5], v[4:5], v[40:41], -v[42:43]
	v_fmac_f64_e32 v[36:37], v[34:35], v[44:45]
	v_add_f64_e32 v[6:7], v[8:9], v[10:11]
	v_add_f64_e32 v[8:9], v[12:13], v[58:59]
	v_fma_f64 v[10:11], v[32:33], v[44:45], -v[38:39]
	s_delay_alu instid0(VALU_DEP_3) | instskip(NEXT) | instid1(VALU_DEP_3)
	v_add_f64_e32 v[4:5], v[6:7], v[4:5]
	v_add_f64_e32 v[2:3], v[8:9], v[2:3]
	s_delay_alu instid0(VALU_DEP_2) | instskip(NEXT) | instid1(VALU_DEP_2)
	v_add_f64_e32 v[4:5], v[4:5], v[10:11]
	v_add_f64_e32 v[6:7], v[2:3], v[36:37]
	s_wait_loadcnt 0x0
	s_delay_alu instid0(VALU_DEP_2) | instskip(NEXT) | instid1(VALU_DEP_2)
	v_add_f64_e64 v[2:3], v[48:49], -v[4:5]
	v_add_f64_e64 v[4:5], v[50:51], -v[6:7]
	scratch_store_b128 off, v[2:5], off offset:48
	s_wait_xcnt 0x0
	v_cmpx_lt_u32_e32 1, v0
	s_cbranch_execz .LBB72_65
; %bb.64:
	scratch_load_b128 v[2:5], off, s17
	v_mov_b32_e32 v6, 0
	s_delay_alu instid0(VALU_DEP_1)
	v_dual_mov_b32 v7, v6 :: v_dual_mov_b32 v8, v6
	v_mov_b32_e32 v9, v6
	scratch_store_b128 off, v[6:9], off offset:32
	s_wait_loadcnt 0x0
	ds_store_b128 v1, v[2:5]
.LBB72_65:
	s_wait_xcnt 0x0
	s_or_b32 exec_lo, exec_lo, s0
	s_wait_storecnt_dscnt 0x0
	s_barrier_signal -1
	s_barrier_wait -1
	s_clause 0x7
	scratch_load_b128 v[4:7], off, off offset:48
	scratch_load_b128 v[8:11], off, off offset:64
	;; [unrolled: 1-line block ×8, first 2 shown]
	v_mov_b32_e32 v2, 0
	ds_load_b128 v[56:59], v2 offset:176
	ds_load_b128 v[60:63], v2 offset:192
	s_mov_b32 s0, exec_lo
	s_wait_loadcnt_dscnt 0x701
	v_mul_f64_e32 v[12:13], v[58:59], v[6:7]
	v_mul_f64_e32 v[64:65], v[56:57], v[6:7]
	s_wait_loadcnt_dscnt 0x600
	v_mul_f64_e32 v[66:67], v[60:61], v[10:11]
	v_mul_f64_e32 v[68:69], v[62:63], v[10:11]
	s_delay_alu instid0(VALU_DEP_4) | instskip(NEXT) | instid1(VALU_DEP_4)
	v_fma_f64 v[56:57], v[56:57], v[4:5], -v[12:13]
	v_fmac_f64_e32 v[64:65], v[58:59], v[4:5]
	ds_load_b128 v[4:7], v2 offset:208
	ds_load_b128 v[10:13], v2 offset:224
	v_fmac_f64_e32 v[66:67], v[62:63], v[8:9]
	v_fma_f64 v[8:9], v[60:61], v[8:9], -v[68:69]
	s_wait_loadcnt_dscnt 0x501
	v_mul_f64_e32 v[58:59], v[4:5], v[34:35]
	v_mul_f64_e32 v[34:35], v[6:7], v[34:35]
	s_wait_loadcnt_dscnt 0x400
	v_mul_f64_e32 v[62:63], v[10:11], v[38:39]
	v_mul_f64_e32 v[38:39], v[12:13], v[38:39]
	v_add_f64_e32 v[56:57], 0, v[56:57]
	v_add_f64_e32 v[60:61], 0, v[64:65]
	v_fmac_f64_e32 v[58:59], v[6:7], v[32:33]
	v_fma_f64 v[64:65], v[4:5], v[32:33], -v[34:35]
	ds_load_b128 v[4:7], v2 offset:240
	ds_load_b128 v[32:35], v2 offset:256
	v_fmac_f64_e32 v[62:63], v[12:13], v[36:37]
	v_fma_f64 v[10:11], v[10:11], v[36:37], -v[38:39]
	v_add_f64_e32 v[8:9], v[56:57], v[8:9]
	v_add_f64_e32 v[56:57], v[60:61], v[66:67]
	s_wait_loadcnt_dscnt 0x301
	v_mul_f64_e32 v[60:61], v[4:5], v[42:43]
	v_mul_f64_e32 v[42:43], v[6:7], v[42:43]
	s_wait_loadcnt_dscnt 0x200
	v_mul_f64_e32 v[36:37], v[32:33], v[46:47]
	v_mul_f64_e32 v[38:39], v[34:35], v[46:47]
	v_add_f64_e32 v[8:9], v[8:9], v[64:65]
	v_add_f64_e32 v[12:13], v[56:57], v[58:59]
	v_fmac_f64_e32 v[60:61], v[6:7], v[40:41]
	v_fma_f64 v[40:41], v[4:5], v[40:41], -v[42:43]
	ds_load_b128 v[4:7], v2 offset:272
	v_fmac_f64_e32 v[36:37], v[34:35], v[44:45]
	v_fma_f64 v[32:33], v[32:33], v[44:45], -v[38:39]
	s_wait_loadcnt_dscnt 0x100
	v_mul_f64_e32 v[42:43], v[6:7], v[50:51]
	v_add_f64_e32 v[8:9], v[8:9], v[10:11]
	v_add_f64_e32 v[10:11], v[12:13], v[62:63]
	v_mul_f64_e32 v[12:13], v[4:5], v[50:51]
	s_delay_alu instid0(VALU_DEP_4) | instskip(NEXT) | instid1(VALU_DEP_4)
	v_fma_f64 v[4:5], v[4:5], v[48:49], -v[42:43]
	v_add_f64_e32 v[8:9], v[8:9], v[40:41]
	s_delay_alu instid0(VALU_DEP_4) | instskip(NEXT) | instid1(VALU_DEP_4)
	v_add_f64_e32 v[10:11], v[10:11], v[60:61]
	v_fmac_f64_e32 v[12:13], v[6:7], v[48:49]
	s_delay_alu instid0(VALU_DEP_3) | instskip(NEXT) | instid1(VALU_DEP_3)
	v_add_f64_e32 v[6:7], v[8:9], v[32:33]
	v_add_f64_e32 v[8:9], v[10:11], v[36:37]
	s_delay_alu instid0(VALU_DEP_2) | instskip(NEXT) | instid1(VALU_DEP_2)
	v_add_f64_e32 v[4:5], v[6:7], v[4:5]
	v_add_f64_e32 v[6:7], v[8:9], v[12:13]
	s_wait_loadcnt 0x0
	s_delay_alu instid0(VALU_DEP_2) | instskip(NEXT) | instid1(VALU_DEP_2)
	v_add_f64_e64 v[4:5], v[52:53], -v[4:5]
	v_add_f64_e64 v[6:7], v[54:55], -v[6:7]
	scratch_store_b128 off, v[4:7], off offset:32
	s_wait_xcnt 0x0
	v_cmpx_ne_u32_e32 0, v0
	s_cbranch_execz .LBB72_67
; %bb.66:
	scratch_load_b128 v[6:9], off, off offset:16
	v_dual_mov_b32 v3, v2 :: v_dual_mov_b32 v4, v2
	v_mov_b32_e32 v5, v2
	scratch_store_b128 off, v[2:5], off offset:16
	s_wait_loadcnt 0x0
	ds_store_b128 v1, v[6:9]
.LBB72_67:
	s_wait_xcnt 0x0
	s_or_b32 exec_lo, exec_lo, s0
	s_wait_storecnt_dscnt 0x0
	s_barrier_signal -1
	s_barrier_wait -1
	s_clause 0x7
	scratch_load_b128 v[4:7], off, off offset:32
	scratch_load_b128 v[8:11], off, off offset:48
	;; [unrolled: 1-line block ×8, first 2 shown]
	ds_load_b128 v[56:59], v2 offset:160
	ds_load_b128 v[60:63], v2 offset:176
	scratch_load_b128 v[64:67], off, off offset:16
	s_and_b32 vcc_lo, exec_lo, s18
	s_wait_loadcnt_dscnt 0x801
	v_mul_f64_e32 v[0:1], v[58:59], v[6:7]
	v_mul_f64_e32 v[68:69], v[56:57], v[6:7]
	s_wait_loadcnt_dscnt 0x700
	v_mul_f64_e32 v[70:71], v[60:61], v[10:11]
	v_mul_f64_e32 v[72:73], v[62:63], v[10:11]
	s_delay_alu instid0(VALU_DEP_4) | instskip(NEXT) | instid1(VALU_DEP_4)
	v_fma_f64 v[0:1], v[56:57], v[4:5], -v[0:1]
	v_fmac_f64_e32 v[68:69], v[58:59], v[4:5]
	ds_load_b128 v[4:7], v2 offset:192
	ds_load_b128 v[10:13], v2 offset:208
	v_fmac_f64_e32 v[70:71], v[62:63], v[8:9]
	v_fma_f64 v[8:9], v[60:61], v[8:9], -v[72:73]
	s_wait_loadcnt_dscnt 0x601
	v_mul_f64_e32 v[56:57], v[4:5], v[34:35]
	v_mul_f64_e32 v[34:35], v[6:7], v[34:35]
	s_wait_loadcnt_dscnt 0x500
	v_mul_f64_e32 v[60:61], v[10:11], v[38:39]
	v_mul_f64_e32 v[38:39], v[12:13], v[38:39]
	v_add_f64_e32 v[0:1], 0, v[0:1]
	v_add_f64_e32 v[58:59], 0, v[68:69]
	v_fmac_f64_e32 v[56:57], v[6:7], v[32:33]
	v_fma_f64 v[62:63], v[4:5], v[32:33], -v[34:35]
	ds_load_b128 v[4:7], v2 offset:224
	ds_load_b128 v[32:35], v2 offset:240
	v_fmac_f64_e32 v[60:61], v[12:13], v[36:37]
	v_fma_f64 v[10:11], v[10:11], v[36:37], -v[38:39]
	v_add_f64_e32 v[0:1], v[0:1], v[8:9]
	v_add_f64_e32 v[8:9], v[58:59], v[70:71]
	s_wait_loadcnt_dscnt 0x401
	v_mul_f64_e32 v[58:59], v[4:5], v[42:43]
	v_mul_f64_e32 v[42:43], v[6:7], v[42:43]
	s_wait_loadcnt_dscnt 0x300
	v_mul_f64_e32 v[12:13], v[32:33], v[46:47]
	v_mul_f64_e32 v[36:37], v[34:35], v[46:47]
	v_add_f64_e32 v[0:1], v[0:1], v[62:63]
	v_add_f64_e32 v[8:9], v[8:9], v[56:57]
	v_fmac_f64_e32 v[58:59], v[6:7], v[40:41]
	v_fma_f64 v[38:39], v[4:5], v[40:41], -v[42:43]
	v_fmac_f64_e32 v[12:13], v[34:35], v[44:45]
	v_fma_f64 v[32:33], v[32:33], v[44:45], -v[36:37]
	v_add_f64_e32 v[10:11], v[0:1], v[10:11]
	v_add_f64_e32 v[8:9], v[8:9], v[60:61]
	ds_load_b128 v[4:7], v2 offset:256
	ds_load_b128 v[0:3], v2 offset:272
	s_wait_loadcnt_dscnt 0x201
	v_mul_f64_e32 v[40:41], v[4:5], v[50:51]
	v_mul_f64_e32 v[42:43], v[6:7], v[50:51]
	s_wait_loadcnt_dscnt 0x100
	v_mul_f64_e32 v[34:35], v[0:1], v[54:55]
	v_mul_f64_e32 v[36:37], v[2:3], v[54:55]
	v_add_f64_e32 v[10:11], v[10:11], v[38:39]
	v_add_f64_e32 v[8:9], v[8:9], v[58:59]
	v_fmac_f64_e32 v[40:41], v[6:7], v[48:49]
	v_fma_f64 v[4:5], v[4:5], v[48:49], -v[42:43]
	v_fmac_f64_e32 v[34:35], v[2:3], v[52:53]
	v_fma_f64 v[0:1], v[0:1], v[52:53], -v[36:37]
	v_add_f64_e32 v[6:7], v[10:11], v[32:33]
	v_add_f64_e32 v[8:9], v[8:9], v[12:13]
	v_lshl_add_u64 v[12:13], v[18:19], 4, s[4:5]
	v_lshl_add_u64 v[10:11], v[20:21], 4, s[4:5]
	s_delay_alu instid0(VALU_DEP_4) | instskip(NEXT) | instid1(VALU_DEP_4)
	v_add_f64_e32 v[2:3], v[6:7], v[4:5]
	v_add_f64_e32 v[4:5], v[8:9], v[40:41]
	v_lshl_add_u64 v[8:9], v[22:23], 4, s[4:5]
	v_lshl_add_u64 v[6:7], v[24:25], 4, s[4:5]
	s_delay_alu instid0(VALU_DEP_4) | instskip(NEXT) | instid1(VALU_DEP_4)
	v_add_f64_e32 v[0:1], v[2:3], v[0:1]
	v_add_f64_e32 v[2:3], v[4:5], v[34:35]
	v_lshl_add_u64 v[4:5], v[26:27], 4, s[4:5]
	s_wait_loadcnt 0x0
	s_delay_alu instid0(VALU_DEP_3) | instskip(NEXT) | instid1(VALU_DEP_3)
	v_add_f64_e64 v[32:33], v[64:65], -v[0:1]
	v_add_f64_e64 v[34:35], v[66:67], -v[2:3]
	v_lshl_add_u64 v[2:3], v[28:29], 4, s[4:5]
	v_lshl_add_u64 v[0:1], v[30:31], 4, s[4:5]
	scratch_store_b128 off, v[32:35], off offset:16
	s_cbranch_vccz .LBB72_84
; %bb.68:
	v_mov_b32_e32 v18, 0
	global_load_b32 v19, v18, s[2:3] offset:28
	s_wait_loadcnt 0x0
	v_cmp_ne_u32_e32 vcc_lo, 8, v19
	s_cbranch_vccz .LBB72_70
; %bb.69:
	v_lshlrev_b32_e32 v19, 4, v19
	s_delay_alu instid0(VALU_DEP_1)
	v_add_nc_u32_e32 v19, 16, v19
	s_clause 0x1
	scratch_load_b128 v[20:23], v19, off offset:-16
	scratch_load_b128 v[24:27], off, s15
	s_wait_loadcnt 0x1
	scratch_store_b128 off, v[20:23], s15
	s_wait_loadcnt 0x0
	scratch_store_b128 v19, v[24:27], off offset:-16
.LBB72_70:
	global_load_b32 v18, v18, s[2:3] offset:24
	s_wait_loadcnt 0x0
	v_cmp_eq_u32_e32 vcc_lo, 7, v18
	s_cbranch_vccnz .LBB72_72
; %bb.71:
	s_wait_xcnt 0x0
	v_lshlrev_b32_e32 v18, 4, v18
	s_delay_alu instid0(VALU_DEP_1)
	v_add_nc_u32_e32 v26, 16, v18
	s_clause 0x1
	scratch_load_b128 v[18:21], v26, off offset:-16
	scratch_load_b128 v[22:25], off, s11
	s_wait_loadcnt 0x1
	scratch_store_b128 off, v[18:21], s11
	s_wait_loadcnt 0x0
	scratch_store_b128 v26, v[22:25], off offset:-16
.LBB72_72:
	s_wait_xcnt 0x0
	v_mov_b32_e32 v18, 0
	global_load_b32 v19, v18, s[2:3] offset:20
	s_wait_loadcnt 0x0
	v_cmp_eq_u32_e32 vcc_lo, 6, v19
	s_cbranch_vccnz .LBB72_74
; %bb.73:
	v_lshlrev_b32_e32 v19, 4, v19
	s_delay_alu instid0(VALU_DEP_1)
	v_add_nc_u32_e32 v19, 16, v19
	s_clause 0x1
	scratch_load_b128 v[20:23], v19, off offset:-16
	scratch_load_b128 v[24:27], off, s14
	s_wait_loadcnt 0x1
	scratch_store_b128 off, v[20:23], s14
	s_wait_loadcnt 0x0
	scratch_store_b128 v19, v[24:27], off offset:-16
.LBB72_74:
	global_load_b32 v18, v18, s[2:3] offset:16
	s_wait_loadcnt 0x0
	v_cmp_eq_u32_e32 vcc_lo, 5, v18
	s_cbranch_vccnz .LBB72_76
; %bb.75:
	s_wait_xcnt 0x0
	v_lshlrev_b32_e32 v18, 4, v18
	s_delay_alu instid0(VALU_DEP_1)
	v_add_nc_u32_e32 v26, 16, v18
	s_clause 0x1
	scratch_load_b128 v[18:21], v26, off offset:-16
	scratch_load_b128 v[22:25], off, s10
	s_wait_loadcnt 0x1
	scratch_store_b128 off, v[18:21], s10
	s_wait_loadcnt 0x0
	scratch_store_b128 v26, v[22:25], off offset:-16
.LBB72_76:
	s_wait_xcnt 0x0
	v_mov_b32_e32 v18, 0
	global_load_b32 v19, v18, s[2:3] offset:12
	s_wait_loadcnt 0x0
	v_cmp_eq_u32_e32 vcc_lo, 4, v19
	s_cbranch_vccnz .LBB72_78
; %bb.77:
	v_lshlrev_b32_e32 v19, 4, v19
	s_delay_alu instid0(VALU_DEP_1)
	v_add_nc_u32_e32 v19, 16, v19
	s_clause 0x1
	scratch_load_b128 v[20:23], v19, off offset:-16
	scratch_load_b128 v[24:27], off, s13
	s_wait_loadcnt 0x1
	scratch_store_b128 off, v[20:23], s13
	s_wait_loadcnt 0x0
	scratch_store_b128 v19, v[24:27], off offset:-16
.LBB72_78:
	;; [unrolled: 35-line block ×3, first 2 shown]
	global_load_b32 v18, v18, s[2:3]
	s_wait_loadcnt 0x0
	v_cmp_eq_u32_e32 vcc_lo, 1, v18
	s_cbranch_vccnz .LBB72_84
; %bb.83:
	s_wait_xcnt 0x0
	v_lshlrev_b32_e32 v18, 4, v18
	s_delay_alu instid0(VALU_DEP_1)
	v_add_nc_u32_e32 v26, 16, v18
	scratch_load_b128 v[18:21], v26, off offset:-16
	scratch_load_b128 v[22:25], off, off offset:16
	s_wait_loadcnt 0x1
	scratch_store_b128 off, v[18:21], off offset:16
	s_wait_loadcnt 0x0
	scratch_store_b128 v26, v[22:25], off offset:-16
.LBB72_84:
	scratch_load_b128 v[18:21], off, off offset:16
	s_wait_loadcnt 0x0
	flat_store_b128 v[14:15], v[18:21]
	scratch_load_b128 v[18:21], off, s17
	s_wait_loadcnt 0x0
	flat_store_b128 v[16:17], v[18:21]
	scratch_load_b128 v[14:17], off, s16
	;; [unrolled: 3-line block ×8, first 2 shown]
	s_wait_loadcnt 0x0
	flat_store_b128 v[0:1], v[2:5]
	s_sendmsg sendmsg(MSG_DEALLOC_VGPRS)
	s_endpgm
	.section	.rodata,"a",@progbits
	.p2align	6, 0x0
	.amdhsa_kernel _ZN9rocsolver6v33100L18getri_kernel_smallILi9E19rocblas_complex_numIdEPKPS3_EEvT1_iilPiilS8_bb
		.amdhsa_group_segment_fixed_size 296
		.amdhsa_private_segment_fixed_size 176
		.amdhsa_kernarg_size 60
		.amdhsa_user_sgpr_count 2
		.amdhsa_user_sgpr_dispatch_ptr 0
		.amdhsa_user_sgpr_queue_ptr 0
		.amdhsa_user_sgpr_kernarg_segment_ptr 1
		.amdhsa_user_sgpr_dispatch_id 0
		.amdhsa_user_sgpr_kernarg_preload_length 0
		.amdhsa_user_sgpr_kernarg_preload_offset 0
		.amdhsa_user_sgpr_private_segment_size 0
		.amdhsa_wavefront_size32 1
		.amdhsa_uses_dynamic_stack 0
		.amdhsa_enable_private_segment 1
		.amdhsa_system_sgpr_workgroup_id_x 1
		.amdhsa_system_sgpr_workgroup_id_y 0
		.amdhsa_system_sgpr_workgroup_id_z 0
		.amdhsa_system_sgpr_workgroup_info 0
		.amdhsa_system_vgpr_workitem_id 0
		.amdhsa_next_free_vgpr 74
		.amdhsa_next_free_sgpr 22
		.amdhsa_named_barrier_count 0
		.amdhsa_reserve_vcc 1
		.amdhsa_float_round_mode_32 0
		.amdhsa_float_round_mode_16_64 0
		.amdhsa_float_denorm_mode_32 3
		.amdhsa_float_denorm_mode_16_64 3
		.amdhsa_fp16_overflow 0
		.amdhsa_memory_ordered 1
		.amdhsa_forward_progress 1
		.amdhsa_inst_pref_size 61
		.amdhsa_round_robin_scheduling 0
		.amdhsa_exception_fp_ieee_invalid_op 0
		.amdhsa_exception_fp_denorm_src 0
		.amdhsa_exception_fp_ieee_div_zero 0
		.amdhsa_exception_fp_ieee_overflow 0
		.amdhsa_exception_fp_ieee_underflow 0
		.amdhsa_exception_fp_ieee_inexact 0
		.amdhsa_exception_int_div_zero 0
	.end_amdhsa_kernel
	.section	.text._ZN9rocsolver6v33100L18getri_kernel_smallILi9E19rocblas_complex_numIdEPKPS3_EEvT1_iilPiilS8_bb,"axG",@progbits,_ZN9rocsolver6v33100L18getri_kernel_smallILi9E19rocblas_complex_numIdEPKPS3_EEvT1_iilPiilS8_bb,comdat
.Lfunc_end72:
	.size	_ZN9rocsolver6v33100L18getri_kernel_smallILi9E19rocblas_complex_numIdEPKPS3_EEvT1_iilPiilS8_bb, .Lfunc_end72-_ZN9rocsolver6v33100L18getri_kernel_smallILi9E19rocblas_complex_numIdEPKPS3_EEvT1_iilPiilS8_bb
                                        ; -- End function
	.set _ZN9rocsolver6v33100L18getri_kernel_smallILi9E19rocblas_complex_numIdEPKPS3_EEvT1_iilPiilS8_bb.num_vgpr, 74
	.set _ZN9rocsolver6v33100L18getri_kernel_smallILi9E19rocblas_complex_numIdEPKPS3_EEvT1_iilPiilS8_bb.num_agpr, 0
	.set _ZN9rocsolver6v33100L18getri_kernel_smallILi9E19rocblas_complex_numIdEPKPS3_EEvT1_iilPiilS8_bb.numbered_sgpr, 22
	.set _ZN9rocsolver6v33100L18getri_kernel_smallILi9E19rocblas_complex_numIdEPKPS3_EEvT1_iilPiilS8_bb.num_named_barrier, 0
	.set _ZN9rocsolver6v33100L18getri_kernel_smallILi9E19rocblas_complex_numIdEPKPS3_EEvT1_iilPiilS8_bb.private_seg_size, 176
	.set _ZN9rocsolver6v33100L18getri_kernel_smallILi9E19rocblas_complex_numIdEPKPS3_EEvT1_iilPiilS8_bb.uses_vcc, 1
	.set _ZN9rocsolver6v33100L18getri_kernel_smallILi9E19rocblas_complex_numIdEPKPS3_EEvT1_iilPiilS8_bb.uses_flat_scratch, 1
	.set _ZN9rocsolver6v33100L18getri_kernel_smallILi9E19rocblas_complex_numIdEPKPS3_EEvT1_iilPiilS8_bb.has_dyn_sized_stack, 0
	.set _ZN9rocsolver6v33100L18getri_kernel_smallILi9E19rocblas_complex_numIdEPKPS3_EEvT1_iilPiilS8_bb.has_recursion, 0
	.set _ZN9rocsolver6v33100L18getri_kernel_smallILi9E19rocblas_complex_numIdEPKPS3_EEvT1_iilPiilS8_bb.has_indirect_call, 0
	.section	.AMDGPU.csdata,"",@progbits
; Kernel info:
; codeLenInByte = 7784
; TotalNumSgprs: 24
; NumVgprs: 74
; ScratchSize: 176
; MemoryBound: 0
; FloatMode: 240
; IeeeMode: 1
; LDSByteSize: 296 bytes/workgroup (compile time only)
; SGPRBlocks: 0
; VGPRBlocks: 4
; NumSGPRsForWavesPerEU: 24
; NumVGPRsForWavesPerEU: 74
; NamedBarCnt: 0
; Occupancy: 12
; WaveLimiterHint : 1
; COMPUTE_PGM_RSRC2:SCRATCH_EN: 1
; COMPUTE_PGM_RSRC2:USER_SGPR: 2
; COMPUTE_PGM_RSRC2:TRAP_HANDLER: 0
; COMPUTE_PGM_RSRC2:TGID_X_EN: 1
; COMPUTE_PGM_RSRC2:TGID_Y_EN: 0
; COMPUTE_PGM_RSRC2:TGID_Z_EN: 0
; COMPUTE_PGM_RSRC2:TIDIG_COMP_CNT: 0
	.section	.text._ZN9rocsolver6v33100L18getri_kernel_smallILi10E19rocblas_complex_numIdEPKPS3_EEvT1_iilPiilS8_bb,"axG",@progbits,_ZN9rocsolver6v33100L18getri_kernel_smallILi10E19rocblas_complex_numIdEPKPS3_EEvT1_iilPiilS8_bb,comdat
	.globl	_ZN9rocsolver6v33100L18getri_kernel_smallILi10E19rocblas_complex_numIdEPKPS3_EEvT1_iilPiilS8_bb ; -- Begin function _ZN9rocsolver6v33100L18getri_kernel_smallILi10E19rocblas_complex_numIdEPKPS3_EEvT1_iilPiilS8_bb
	.p2align	8
	.type	_ZN9rocsolver6v33100L18getri_kernel_smallILi10E19rocblas_complex_numIdEPKPS3_EEvT1_iilPiilS8_bb,@function
_ZN9rocsolver6v33100L18getri_kernel_smallILi10E19rocblas_complex_numIdEPKPS3_EEvT1_iilPiilS8_bb: ; @_ZN9rocsolver6v33100L18getri_kernel_smallILi10E19rocblas_complex_numIdEPKPS3_EEvT1_iilPiilS8_bb
; %bb.0:
	v_and_b32_e32 v1, 0x3ff, v0
	s_mov_b32 s4, exec_lo
	s_delay_alu instid0(VALU_DEP_1)
	v_cmpx_gt_u32_e32 10, v1
	s_cbranch_execz .LBB73_54
; %bb.1:
	s_clause 0x1
	s_load_b32 s14, s[2:3], 0x38
	s_load_b64 s[8:9], s[2:3], 0x0
	s_getreg_b32 s6, hwreg(HW_REG_IB_STS2, 6, 4)
	s_wait_kmcnt 0x0
	s_bitcmp1_b32 s14, 8
	s_cselect_b32 s21, -1, 0
	s_bfe_u32 s4, ttmp6, 0x4000c
	s_and_b32 s5, ttmp6, 15
	s_add_co_i32 s4, s4, 1
	s_delay_alu instid0(SALU_CYCLE_1) | instskip(NEXT) | instid1(SALU_CYCLE_1)
	s_mul_i32 s4, ttmp9, s4
	s_add_co_i32 s5, s5, s4
	s_cmp_eq_u32 s6, 0
	s_cselect_b32 s10, ttmp9, s5
	s_load_b128 s[4:7], s[2:3], 0x28
	s_ashr_i32 s11, s10, 31
	s_delay_alu instid0(SALU_CYCLE_1) | instskip(NEXT) | instid1(SALU_CYCLE_1)
	s_lshl_b64 s[12:13], s[10:11], 3
	s_add_nc_u64 s[8:9], s[8:9], s[12:13]
	s_load_b64 s[12:13], s[8:9], 0x0
	s_wait_xcnt 0x0
	s_bfe_u32 s8, s14, 0x10008
	s_delay_alu instid0(SALU_CYCLE_1)
	s_cmp_eq_u32 s8, 0
                                        ; implicit-def: $sgpr8_sgpr9
	s_cbranch_scc1 .LBB73_3
; %bb.2:
	s_load_b96 s[16:18], s[2:3], 0x18
	s_wait_kmcnt 0x0
	s_mul_u64 s[4:5], s[4:5], s[10:11]
	s_delay_alu instid0(SALU_CYCLE_1) | instskip(SKIP_4) | instid1(SALU_CYCLE_1)
	s_lshl_b64 s[4:5], s[4:5], 2
	s_ashr_i32 s9, s18, 31
	s_mov_b32 s8, s18
	s_add_nc_u64 s[4:5], s[16:17], s[4:5]
	s_lshl_b64 s[8:9], s[8:9], 2
	s_add_nc_u64 s[8:9], s[4:5], s[8:9]
.LBB73_3:
	s_clause 0x1
	s_load_b64 s[14:15], s[2:3], 0x8
	s_load_b32 s22, s[2:3], 0x38
	v_dual_mov_b32 v35, 0 :: v_dual_lshlrev_b32 v34, 4, v1
	s_mov_b32 s20, 16
	s_mov_b32 s19, 32
	;; [unrolled: 1-line block ×3, first 2 shown]
	s_movk_i32 s17, 0x60
	s_movk_i32 s18, 0x80
	s_wait_kmcnt 0x0
	s_ashr_i32 s3, s14, 31
	s_mov_b32 s2, s14
	v_add3_u32 v18, s15, s15, v1
	s_lshl_b64 s[2:3], s[2:3], 4
	s_movk_i32 s14, 0x90
	s_add_nc_u64 s[4:5], s[12:13], s[2:3]
	s_ashr_i32 s3, s15, 31
	flat_load_b128 v[2:5], v1, s[4:5] scale_offset
	v_add_nc_u64_e32 v[14:15], s[4:5], v[34:35]
	s_mov_b32 s2, s15
	v_add_nc_u32_e32 v20, s15, v18
	s_movk_i32 s12, 0x50
	s_movk_i32 s13, 0x70
	s_bitcmp0_b32 s22, 0
	s_delay_alu instid0(VALU_DEP_2) | instskip(SKIP_2) | instid1(VALU_DEP_1)
	v_lshl_add_u64 v[16:17], s[2:3], 4, v[14:15]
	v_add_nc_u32_e32 v22, s15, v20
	s_mov_b32 s3, -1
	v_add_nc_u32_e32 v24, s15, v22
	s_delay_alu instid0(VALU_DEP_1) | instskip(NEXT) | instid1(VALU_DEP_1)
	v_add_nc_u32_e32 v26, s15, v24
	v_add_nc_u32_e32 v28, s15, v26
	s_delay_alu instid0(VALU_DEP_1) | instskip(NEXT) | instid1(VALU_DEP_1)
	v_add_nc_u32_e32 v30, s15, v28
	v_add_nc_u32_e32 v32, s15, v30
	s_mov_b32 s15, 48
	s_wait_loadcnt_dscnt 0x0
	scratch_store_b128 off, v[2:5], off
	flat_load_b128 v[2:5], v[16:17]
	s_wait_loadcnt_dscnt 0x0
	scratch_store_b128 off, v[2:5], off offset:16
	flat_load_b128 v[2:5], v18, s[4:5] scale_offset
	s_wait_loadcnt_dscnt 0x0
	scratch_store_b128 off, v[2:5], off offset:32
	flat_load_b128 v[2:5], v20, s[4:5] scale_offset
	;; [unrolled: 3-line block ×8, first 2 shown]
	s_wait_loadcnt_dscnt 0x0
	scratch_store_b128 off, v[2:5], off offset:144
	s_cbranch_scc1 .LBB73_52
; %bb.4:
	v_cmp_eq_u32_e64 s2, 0, v1
	s_wait_xcnt 0x0
	s_and_saveexec_b32 s3, s2
; %bb.5:
	v_mov_b32_e32 v2, 0
	ds_store_b32 v2, v2 offset:320
; %bb.6:
	s_or_b32 exec_lo, exec_lo, s3
	s_wait_storecnt_dscnt 0x0
	s_barrier_signal -1
	s_barrier_wait -1
	scratch_load_b128 v[2:5], v1, off scale_offset
	s_wait_loadcnt 0x0
	v_cmp_eq_f64_e32 vcc_lo, 0, v[2:3]
	v_cmp_eq_f64_e64 s3, 0, v[4:5]
	s_and_b32 s3, vcc_lo, s3
	s_delay_alu instid0(SALU_CYCLE_1)
	s_and_saveexec_b32 s22, s3
	s_cbranch_execz .LBB73_10
; %bb.7:
	v_mov_b32_e32 v2, 0
	s_mov_b32 s23, 0
	ds_load_b32 v3, v2 offset:320
	s_wait_dscnt 0x0
	v_readfirstlane_b32 s3, v3
	v_add_nc_u32_e32 v3, 1, v1
	s_cmp_eq_u32 s3, 0
	s_delay_alu instid0(VALU_DEP_1) | instskip(SKIP_1) | instid1(SALU_CYCLE_1)
	v_cmp_gt_i32_e32 vcc_lo, s3, v3
	s_cselect_b32 s24, -1, 0
	s_or_b32 s24, s24, vcc_lo
	s_delay_alu instid0(SALU_CYCLE_1)
	s_and_b32 exec_lo, exec_lo, s24
	s_cbranch_execz .LBB73_10
; %bb.8:
	v_mov_b32_e32 v4, s3
.LBB73_9:                               ; =>This Inner Loop Header: Depth=1
	ds_cmpstore_rtn_b32 v4, v2, v3, v4 offset:320
	s_wait_dscnt 0x0
	v_cmp_ne_u32_e32 vcc_lo, 0, v4
	v_cmp_le_i32_e64 s3, v4, v3
	s_and_b32 s3, vcc_lo, s3
	s_delay_alu instid0(SALU_CYCLE_1) | instskip(NEXT) | instid1(SALU_CYCLE_1)
	s_and_b32 s3, exec_lo, s3
	s_or_b32 s23, s3, s23
	s_delay_alu instid0(SALU_CYCLE_1)
	s_and_not1_b32 exec_lo, exec_lo, s23
	s_cbranch_execnz .LBB73_9
.LBB73_10:
	s_or_b32 exec_lo, exec_lo, s22
	v_mov_b32_e32 v2, 0
	s_barrier_signal -1
	s_barrier_wait -1
	ds_load_b32 v3, v2 offset:320
	s_and_saveexec_b32 s3, s2
	s_cbranch_execz .LBB73_12
; %bb.11:
	s_lshl_b64 s[22:23], s[10:11], 2
	s_delay_alu instid0(SALU_CYCLE_1)
	s_add_nc_u64 s[22:23], s[6:7], s[22:23]
	s_wait_dscnt 0x0
	global_store_b32 v2, v3, s[22:23]
.LBB73_12:
	s_wait_xcnt 0x0
	s_or_b32 exec_lo, exec_lo, s3
	s_wait_dscnt 0x0
	v_cmp_ne_u32_e32 vcc_lo, 0, v3
	s_mov_b32 s3, 0
	s_cbranch_vccnz .LBB73_52
; %bb.13:
	v_lshl_add_u32 v19, v1, 4, 0
                                        ; implicit-def: $vgpr6_vgpr7
                                        ; implicit-def: $vgpr10_vgpr11
	scratch_load_b128 v[2:5], v19, off
	s_wait_loadcnt 0x0
	v_cmp_ngt_f64_e64 s3, |v[2:3]|, |v[4:5]|
	s_wait_xcnt 0x0
	s_and_saveexec_b32 s22, s3
	s_delay_alu instid0(SALU_CYCLE_1)
	s_xor_b32 s3, exec_lo, s22
	s_cbranch_execz .LBB73_15
; %bb.14:
	v_div_scale_f64 v[6:7], null, v[4:5], v[4:5], v[2:3]
	v_div_scale_f64 v[12:13], vcc_lo, v[2:3], v[4:5], v[2:3]
	s_delay_alu instid0(VALU_DEP_2) | instskip(SKIP_1) | instid1(TRANS32_DEP_1)
	v_rcp_f64_e32 v[8:9], v[6:7]
	v_nop
	v_fma_f64 v[10:11], -v[6:7], v[8:9], 1.0
	s_delay_alu instid0(VALU_DEP_1) | instskip(NEXT) | instid1(VALU_DEP_1)
	v_fmac_f64_e32 v[8:9], v[8:9], v[10:11]
	v_fma_f64 v[10:11], -v[6:7], v[8:9], 1.0
	s_delay_alu instid0(VALU_DEP_1) | instskip(NEXT) | instid1(VALU_DEP_1)
	v_fmac_f64_e32 v[8:9], v[8:9], v[10:11]
	v_mul_f64_e32 v[10:11], v[12:13], v[8:9]
	s_delay_alu instid0(VALU_DEP_1) | instskip(NEXT) | instid1(VALU_DEP_1)
	v_fma_f64 v[6:7], -v[6:7], v[10:11], v[12:13]
	v_div_fmas_f64 v[6:7], v[6:7], v[8:9], v[10:11]
	s_delay_alu instid0(VALU_DEP_1) | instskip(NEXT) | instid1(VALU_DEP_1)
	v_div_fixup_f64 v[6:7], v[6:7], v[4:5], v[2:3]
	v_fmac_f64_e32 v[4:5], v[2:3], v[6:7]
	s_delay_alu instid0(VALU_DEP_1) | instskip(SKIP_1) | instid1(VALU_DEP_2)
	v_div_scale_f64 v[2:3], null, v[4:5], v[4:5], 1.0
	v_div_scale_f64 v[12:13], vcc_lo, 1.0, v[4:5], 1.0
	v_rcp_f64_e32 v[8:9], v[2:3]
	v_nop
	s_delay_alu instid0(TRANS32_DEP_1) | instskip(NEXT) | instid1(VALU_DEP_1)
	v_fma_f64 v[10:11], -v[2:3], v[8:9], 1.0
	v_fmac_f64_e32 v[8:9], v[8:9], v[10:11]
	s_delay_alu instid0(VALU_DEP_1) | instskip(NEXT) | instid1(VALU_DEP_1)
	v_fma_f64 v[10:11], -v[2:3], v[8:9], 1.0
	v_fmac_f64_e32 v[8:9], v[8:9], v[10:11]
	s_delay_alu instid0(VALU_DEP_1) | instskip(NEXT) | instid1(VALU_DEP_1)
	v_mul_f64_e32 v[10:11], v[12:13], v[8:9]
	v_fma_f64 v[2:3], -v[2:3], v[10:11], v[12:13]
	s_delay_alu instid0(VALU_DEP_1) | instskip(NEXT) | instid1(VALU_DEP_1)
	v_div_fmas_f64 v[2:3], v[2:3], v[8:9], v[10:11]
	v_div_fixup_f64 v[8:9], v[2:3], v[4:5], 1.0
                                        ; implicit-def: $vgpr2_vgpr3
	s_delay_alu instid0(VALU_DEP_1) | instskip(SKIP_1) | instid1(VALU_DEP_2)
	v_mul_f64_e32 v[6:7], v[6:7], v[8:9]
	v_xor_b32_e32 v9, 0x80000000, v9
	v_xor_b32_e32 v11, 0x80000000, v7
	s_delay_alu instid0(VALU_DEP_3)
	v_mov_b32_e32 v10, v6
.LBB73_15:
	s_and_not1_saveexec_b32 s3, s3
	s_cbranch_execz .LBB73_17
; %bb.16:
	v_div_scale_f64 v[6:7], null, v[2:3], v[2:3], v[4:5]
	v_div_scale_f64 v[12:13], vcc_lo, v[4:5], v[2:3], v[4:5]
	s_delay_alu instid0(VALU_DEP_2) | instskip(SKIP_1) | instid1(TRANS32_DEP_1)
	v_rcp_f64_e32 v[8:9], v[6:7]
	v_nop
	v_fma_f64 v[10:11], -v[6:7], v[8:9], 1.0
	s_delay_alu instid0(VALU_DEP_1) | instskip(NEXT) | instid1(VALU_DEP_1)
	v_fmac_f64_e32 v[8:9], v[8:9], v[10:11]
	v_fma_f64 v[10:11], -v[6:7], v[8:9], 1.0
	s_delay_alu instid0(VALU_DEP_1) | instskip(NEXT) | instid1(VALU_DEP_1)
	v_fmac_f64_e32 v[8:9], v[8:9], v[10:11]
	v_mul_f64_e32 v[10:11], v[12:13], v[8:9]
	s_delay_alu instid0(VALU_DEP_1) | instskip(NEXT) | instid1(VALU_DEP_1)
	v_fma_f64 v[6:7], -v[6:7], v[10:11], v[12:13]
	v_div_fmas_f64 v[6:7], v[6:7], v[8:9], v[10:11]
	s_delay_alu instid0(VALU_DEP_1) | instskip(NEXT) | instid1(VALU_DEP_1)
	v_div_fixup_f64 v[8:9], v[6:7], v[2:3], v[4:5]
	v_fmac_f64_e32 v[2:3], v[4:5], v[8:9]
	s_delay_alu instid0(VALU_DEP_1) | instskip(NEXT) | instid1(VALU_DEP_1)
	v_div_scale_f64 v[4:5], null, v[2:3], v[2:3], 1.0
	v_rcp_f64_e32 v[6:7], v[4:5]
	v_nop
	s_delay_alu instid0(TRANS32_DEP_1) | instskip(NEXT) | instid1(VALU_DEP_1)
	v_fma_f64 v[10:11], -v[4:5], v[6:7], 1.0
	v_fmac_f64_e32 v[6:7], v[6:7], v[10:11]
	s_delay_alu instid0(VALU_DEP_1) | instskip(NEXT) | instid1(VALU_DEP_1)
	v_fma_f64 v[10:11], -v[4:5], v[6:7], 1.0
	v_fmac_f64_e32 v[6:7], v[6:7], v[10:11]
	v_div_scale_f64 v[10:11], vcc_lo, 1.0, v[2:3], 1.0
	s_delay_alu instid0(VALU_DEP_1) | instskip(NEXT) | instid1(VALU_DEP_1)
	v_mul_f64_e32 v[12:13], v[10:11], v[6:7]
	v_fma_f64 v[4:5], -v[4:5], v[12:13], v[10:11]
	s_delay_alu instid0(VALU_DEP_1) | instskip(NEXT) | instid1(VALU_DEP_1)
	v_div_fmas_f64 v[4:5], v[4:5], v[6:7], v[12:13]
	v_div_fixup_f64 v[6:7], v[4:5], v[2:3], 1.0
	s_delay_alu instid0(VALU_DEP_1)
	v_mul_f64_e64 v[8:9], v[8:9], -v[6:7]
	v_xor_b32_e32 v11, 0x80000000, v7
	v_mov_b32_e32 v10, v6
.LBB73_17:
	s_or_b32 exec_lo, exec_lo, s3
	s_clause 0x1
	scratch_store_b128 v19, v[6:9], off
	scratch_load_b128 v[2:5], off, s20
	v_xor_b32_e32 v13, 0x80000000, v9
	v_mov_b32_e32 v12, v8
	s_wait_xcnt 0x1
	v_add_nc_u32_e32 v6, 0xa0, v34
	ds_store_b128 v34, v[10:13]
	s_wait_loadcnt 0x0
	ds_store_b128 v34, v[2:5] offset:160
	s_wait_storecnt_dscnt 0x0
	s_barrier_signal -1
	s_barrier_wait -1
	s_wait_xcnt 0x0
	s_and_saveexec_b32 s3, s2
	s_cbranch_execz .LBB73_19
; %bb.18:
	scratch_load_b128 v[2:5], v19, off
	ds_load_b128 v[8:11], v6
	v_mov_b32_e32 v7, 0
	ds_load_b128 v[36:39], v7 offset:16
	s_wait_loadcnt_dscnt 0x1
	v_mul_f64_e32 v[12:13], v[8:9], v[4:5]
	v_mul_f64_e32 v[4:5], v[10:11], v[4:5]
	s_delay_alu instid0(VALU_DEP_2) | instskip(NEXT) | instid1(VALU_DEP_2)
	v_fmac_f64_e32 v[12:13], v[10:11], v[2:3]
	v_fma_f64 v[2:3], v[8:9], v[2:3], -v[4:5]
	s_delay_alu instid0(VALU_DEP_2) | instskip(NEXT) | instid1(VALU_DEP_2)
	v_add_f64_e32 v[8:9], 0, v[12:13]
	v_add_f64_e32 v[2:3], 0, v[2:3]
	s_wait_dscnt 0x0
	s_delay_alu instid0(VALU_DEP_2) | instskip(NEXT) | instid1(VALU_DEP_2)
	v_mul_f64_e32 v[10:11], v[8:9], v[38:39]
	v_mul_f64_e32 v[4:5], v[2:3], v[38:39]
	s_delay_alu instid0(VALU_DEP_2) | instskip(NEXT) | instid1(VALU_DEP_2)
	v_fma_f64 v[2:3], v[2:3], v[36:37], -v[10:11]
	v_fmac_f64_e32 v[4:5], v[8:9], v[36:37]
	scratch_store_b128 off, v[2:5], off offset:16
.LBB73_19:
	s_wait_xcnt 0x0
	s_or_b32 exec_lo, exec_lo, s3
	s_wait_storecnt 0x0
	s_barrier_signal -1
	s_barrier_wait -1
	scratch_load_b128 v[2:5], off, s19
	s_mov_b32 s3, exec_lo
	s_wait_loadcnt 0x0
	ds_store_b128 v6, v[2:5]
	s_wait_dscnt 0x0
	s_barrier_signal -1
	s_barrier_wait -1
	v_cmpx_gt_u32_e32 2, v1
	s_cbranch_execz .LBB73_23
; %bb.20:
	scratch_load_b128 v[2:5], v19, off
	ds_load_b128 v[8:11], v6
	s_wait_loadcnt_dscnt 0x0
	v_mul_f64_e32 v[12:13], v[10:11], v[4:5]
	v_mul_f64_e32 v[36:37], v[8:9], v[4:5]
	s_delay_alu instid0(VALU_DEP_2) | instskip(NEXT) | instid1(VALU_DEP_2)
	v_fma_f64 v[4:5], v[8:9], v[2:3], -v[12:13]
	v_fmac_f64_e32 v[36:37], v[10:11], v[2:3]
	s_delay_alu instid0(VALU_DEP_2) | instskip(NEXT) | instid1(VALU_DEP_2)
	v_add_f64_e32 v[4:5], 0, v[4:5]
	v_add_f64_e32 v[2:3], 0, v[36:37]
	s_and_saveexec_b32 s22, s2
	s_cbranch_execz .LBB73_22
; %bb.21:
	scratch_load_b128 v[8:11], off, off offset:16
	v_mov_b32_e32 v7, 0
	ds_load_b128 v[36:39], v7 offset:176
	s_wait_loadcnt_dscnt 0x0
	v_mul_f64_e32 v[12:13], v[36:37], v[10:11]
	v_mul_f64_e32 v[10:11], v[38:39], v[10:11]
	s_delay_alu instid0(VALU_DEP_2) | instskip(NEXT) | instid1(VALU_DEP_2)
	v_fmac_f64_e32 v[12:13], v[38:39], v[8:9]
	v_fma_f64 v[8:9], v[36:37], v[8:9], -v[10:11]
	s_delay_alu instid0(VALU_DEP_2) | instskip(NEXT) | instid1(VALU_DEP_2)
	v_add_f64_e32 v[2:3], v[2:3], v[12:13]
	v_add_f64_e32 v[4:5], v[4:5], v[8:9]
.LBB73_22:
	s_or_b32 exec_lo, exec_lo, s22
	v_mov_b32_e32 v7, 0
	ds_load_b128 v[8:11], v7 offset:32
	s_wait_dscnt 0x0
	v_mul_f64_e32 v[36:37], v[2:3], v[10:11]
	v_mul_f64_e32 v[12:13], v[4:5], v[10:11]
	s_delay_alu instid0(VALU_DEP_2) | instskip(NEXT) | instid1(VALU_DEP_2)
	v_fma_f64 v[10:11], v[4:5], v[8:9], -v[36:37]
	v_fmac_f64_e32 v[12:13], v[2:3], v[8:9]
	scratch_store_b128 off, v[10:13], off offset:32
.LBB73_23:
	s_wait_xcnt 0x0
	s_or_b32 exec_lo, exec_lo, s3
	s_wait_storecnt 0x0
	s_barrier_signal -1
	s_barrier_wait -1
	scratch_load_b128 v[2:5], off, s15
	v_add_nc_u32_e32 v7, -1, v1
	s_mov_b32 s2, exec_lo
	s_wait_loadcnt 0x0
	ds_store_b128 v6, v[2:5]
	s_wait_dscnt 0x0
	s_barrier_signal -1
	s_barrier_wait -1
	v_cmpx_gt_u32_e32 3, v1
	s_cbranch_execz .LBB73_27
; %bb.24:
	v_dual_mov_b32 v10, v34 :: v_dual_add_nc_u32 v8, -1, v1
	v_mov_b64_e32 v[2:3], 0
	v_mov_b64_e32 v[4:5], 0
	v_add_nc_u32_e32 v9, 0xa0, v34
	s_delay_alu instid0(VALU_DEP_4)
	v_or_b32_e32 v10, 8, v10
	s_mov_b32 s3, 0
.LBB73_25:                              ; =>This Inner Loop Header: Depth=1
	scratch_load_b128 v[36:39], v10, off offset:-8
	ds_load_b128 v[40:43], v9
	v_dual_add_nc_u32 v8, 1, v8 :: v_dual_add_nc_u32 v9, 16, v9
	s_wait_xcnt 0x0
	v_add_nc_u32_e32 v10, 16, v10
	s_delay_alu instid0(VALU_DEP_2) | instskip(SKIP_4) | instid1(VALU_DEP_2)
	v_cmp_lt_u32_e32 vcc_lo, 1, v8
	s_or_b32 s3, vcc_lo, s3
	s_wait_loadcnt_dscnt 0x0
	v_mul_f64_e32 v[12:13], v[42:43], v[38:39]
	v_mul_f64_e32 v[38:39], v[40:41], v[38:39]
	v_fma_f64 v[12:13], v[40:41], v[36:37], -v[12:13]
	s_delay_alu instid0(VALU_DEP_2) | instskip(NEXT) | instid1(VALU_DEP_2)
	v_fmac_f64_e32 v[38:39], v[42:43], v[36:37]
	v_add_f64_e32 v[4:5], v[4:5], v[12:13]
	s_delay_alu instid0(VALU_DEP_2)
	v_add_f64_e32 v[2:3], v[2:3], v[38:39]
	s_and_not1_b32 exec_lo, exec_lo, s3
	s_cbranch_execnz .LBB73_25
; %bb.26:
	s_or_b32 exec_lo, exec_lo, s3
	v_mov_b32_e32 v8, 0
	ds_load_b128 v[8:11], v8 offset:48
	s_wait_dscnt 0x0
	v_mul_f64_e32 v[36:37], v[2:3], v[10:11]
	v_mul_f64_e32 v[12:13], v[4:5], v[10:11]
	s_delay_alu instid0(VALU_DEP_2) | instskip(NEXT) | instid1(VALU_DEP_2)
	v_fma_f64 v[10:11], v[4:5], v[8:9], -v[36:37]
	v_fmac_f64_e32 v[12:13], v[2:3], v[8:9]
	scratch_store_b128 off, v[10:13], off offset:48
.LBB73_27:
	s_wait_xcnt 0x0
	s_or_b32 exec_lo, exec_lo, s2
	s_wait_storecnt 0x0
	s_barrier_signal -1
	s_barrier_wait -1
	scratch_load_b128 v[2:5], off, s16
	s_mov_b32 s2, exec_lo
	s_wait_loadcnt 0x0
	ds_store_b128 v6, v[2:5]
	s_wait_dscnt 0x0
	s_barrier_signal -1
	s_barrier_wait -1
	v_cmpx_gt_u32_e32 4, v1
	s_cbranch_execz .LBB73_31
; %bb.28:
	v_dual_mov_b32 v10, v34 :: v_dual_add_nc_u32 v8, -1, v1
	v_mov_b64_e32 v[2:3], 0
	v_mov_b64_e32 v[4:5], 0
	v_add_nc_u32_e32 v9, 0xa0, v34
	s_delay_alu instid0(VALU_DEP_4)
	v_or_b32_e32 v10, 8, v10
	s_mov_b32 s3, 0
.LBB73_29:                              ; =>This Inner Loop Header: Depth=1
	scratch_load_b128 v[36:39], v10, off offset:-8
	ds_load_b128 v[40:43], v9
	v_dual_add_nc_u32 v8, 1, v8 :: v_dual_add_nc_u32 v9, 16, v9
	s_wait_xcnt 0x0
	v_add_nc_u32_e32 v10, 16, v10
	s_delay_alu instid0(VALU_DEP_2) | instskip(SKIP_4) | instid1(VALU_DEP_2)
	v_cmp_lt_u32_e32 vcc_lo, 2, v8
	s_or_b32 s3, vcc_lo, s3
	s_wait_loadcnt_dscnt 0x0
	v_mul_f64_e32 v[12:13], v[42:43], v[38:39]
	v_mul_f64_e32 v[38:39], v[40:41], v[38:39]
	v_fma_f64 v[12:13], v[40:41], v[36:37], -v[12:13]
	s_delay_alu instid0(VALU_DEP_2) | instskip(NEXT) | instid1(VALU_DEP_2)
	v_fmac_f64_e32 v[38:39], v[42:43], v[36:37]
	v_add_f64_e32 v[4:5], v[4:5], v[12:13]
	s_delay_alu instid0(VALU_DEP_2)
	v_add_f64_e32 v[2:3], v[2:3], v[38:39]
	s_and_not1_b32 exec_lo, exec_lo, s3
	s_cbranch_execnz .LBB73_29
; %bb.30:
	s_or_b32 exec_lo, exec_lo, s3
	v_mov_b32_e32 v8, 0
	ds_load_b128 v[8:11], v8 offset:64
	s_wait_dscnt 0x0
	v_mul_f64_e32 v[36:37], v[2:3], v[10:11]
	v_mul_f64_e32 v[12:13], v[4:5], v[10:11]
	s_delay_alu instid0(VALU_DEP_2) | instskip(NEXT) | instid1(VALU_DEP_2)
	v_fma_f64 v[10:11], v[4:5], v[8:9], -v[36:37]
	v_fmac_f64_e32 v[12:13], v[2:3], v[8:9]
	scratch_store_b128 off, v[10:13], off offset:64
.LBB73_31:
	s_wait_xcnt 0x0
	s_or_b32 exec_lo, exec_lo, s2
	s_wait_storecnt 0x0
	s_barrier_signal -1
	s_barrier_wait -1
	scratch_load_b128 v[2:5], off, s12
	;; [unrolled: 54-line block ×6, first 2 shown]
	s_mov_b32 s2, exec_lo
	s_wait_loadcnt 0x0
	ds_store_b128 v6, v[2:5]
	s_wait_dscnt 0x0
	s_barrier_signal -1
	s_barrier_wait -1
	v_cmpx_ne_u32_e32 9, v1
	s_cbranch_execz .LBB73_51
; %bb.48:
	v_mov_b32_e32 v8, v34
	v_mov_b64_e32 v[2:3], 0
	v_mov_b64_e32 v[4:5], 0
	s_mov_b32 s3, 0
	s_delay_alu instid0(VALU_DEP_3)
	v_or_b32_e32 v8, 8, v8
.LBB73_49:                              ; =>This Inner Loop Header: Depth=1
	scratch_load_b128 v[10:13], v8, off offset:-8
	ds_load_b128 v[34:37], v6
	v_dual_add_nc_u32 v7, 1, v7 :: v_dual_add_nc_u32 v6, 16, v6
	s_wait_xcnt 0x0
	v_add_nc_u32_e32 v8, 16, v8
	s_delay_alu instid0(VALU_DEP_2) | instskip(SKIP_4) | instid1(VALU_DEP_2)
	v_cmp_lt_u32_e32 vcc_lo, 7, v7
	s_or_b32 s3, vcc_lo, s3
	s_wait_loadcnt_dscnt 0x0
	v_mul_f64_e32 v[38:39], v[36:37], v[12:13]
	v_mul_f64_e32 v[12:13], v[34:35], v[12:13]
	v_fma_f64 v[34:35], v[34:35], v[10:11], -v[38:39]
	s_delay_alu instid0(VALU_DEP_2) | instskip(NEXT) | instid1(VALU_DEP_2)
	v_fmac_f64_e32 v[12:13], v[36:37], v[10:11]
	v_add_f64_e32 v[4:5], v[4:5], v[34:35]
	s_delay_alu instid0(VALU_DEP_2)
	v_add_f64_e32 v[2:3], v[2:3], v[12:13]
	s_and_not1_b32 exec_lo, exec_lo, s3
	s_cbranch_execnz .LBB73_49
; %bb.50:
	s_or_b32 exec_lo, exec_lo, s3
	v_mov_b32_e32 v6, 0
	ds_load_b128 v[6:9], v6 offset:144
	s_wait_dscnt 0x0
	v_mul_f64_e32 v[12:13], v[2:3], v[8:9]
	v_mul_f64_e32 v[10:11], v[4:5], v[8:9]
	s_delay_alu instid0(VALU_DEP_2) | instskip(NEXT) | instid1(VALU_DEP_2)
	v_fma_f64 v[8:9], v[4:5], v[6:7], -v[12:13]
	v_fmac_f64_e32 v[10:11], v[2:3], v[6:7]
	scratch_store_b128 off, v[8:11], off offset:144
.LBB73_51:
	s_wait_xcnt 0x0
	s_or_b32 exec_lo, exec_lo, s2
	s_mov_b32 s3, -1
	s_wait_storecnt 0x0
	s_barrier_signal -1
	s_barrier_wait -1
.LBB73_52:
	s_and_b32 vcc_lo, exec_lo, s3
	s_cbranch_vccz .LBB73_54
; %bb.53:
	s_wait_xcnt 0x0
	v_mov_b32_e32 v2, 0
	s_lshl_b64 s[2:3], s[10:11], 2
	s_delay_alu instid0(SALU_CYCLE_1)
	s_add_nc_u64 s[2:3], s[6:7], s[2:3]
	global_load_b32 v2, v2, s[2:3]
	s_wait_loadcnt 0x0
	v_cmp_ne_u32_e32 vcc_lo, 0, v2
	s_cbranch_vccz .LBB73_55
.LBB73_54:
	s_sendmsg sendmsg(MSG_DEALLOC_VGPRS)
	s_endpgm
.LBB73_55:
	v_lshl_add_u32 v6, v1, 4, 0xa0
	s_wait_xcnt 0x0
	s_mov_b32 s2, exec_lo
	v_cmpx_eq_u32_e32 9, v1
	s_cbranch_execz .LBB73_57
; %bb.56:
	scratch_load_b128 v[2:5], off, s18
	v_mov_b32_e32 v8, 0
	s_delay_alu instid0(VALU_DEP_1)
	v_dual_mov_b32 v9, v8 :: v_dual_mov_b32 v10, v8
	v_mov_b32_e32 v11, v8
	scratch_store_b128 off, v[8:11], off offset:128
	s_wait_loadcnt 0x0
	ds_store_b128 v6, v[2:5]
.LBB73_57:
	s_wait_xcnt 0x0
	s_or_b32 exec_lo, exec_lo, s2
	s_wait_storecnt_dscnt 0x0
	s_barrier_signal -1
	s_barrier_wait -1
	s_clause 0x1
	scratch_load_b128 v[8:11], off, off offset:144
	scratch_load_b128 v[34:37], off, off offset:128
	v_mov_b32_e32 v2, 0
	s_mov_b32 s2, exec_lo
	ds_load_b128 v[38:41], v2 offset:304
	s_wait_loadcnt_dscnt 0x100
	v_mul_f64_e32 v[4:5], v[40:41], v[10:11]
	v_mul_f64_e32 v[10:11], v[38:39], v[10:11]
	s_delay_alu instid0(VALU_DEP_2) | instskip(NEXT) | instid1(VALU_DEP_2)
	v_fma_f64 v[4:5], v[38:39], v[8:9], -v[4:5]
	v_fmac_f64_e32 v[10:11], v[40:41], v[8:9]
	s_delay_alu instid0(VALU_DEP_2) | instskip(NEXT) | instid1(VALU_DEP_2)
	v_add_f64_e32 v[4:5], 0, v[4:5]
	v_add_f64_e32 v[10:11], 0, v[10:11]
	s_wait_loadcnt 0x0
	s_delay_alu instid0(VALU_DEP_2) | instskip(NEXT) | instid1(VALU_DEP_2)
	v_add_f64_e64 v[8:9], v[34:35], -v[4:5]
	v_add_f64_e64 v[10:11], v[36:37], -v[10:11]
	scratch_store_b128 off, v[8:11], off offset:128
	s_wait_xcnt 0x0
	v_cmpx_lt_u32_e32 7, v1
	s_cbranch_execz .LBB73_59
; %bb.58:
	scratch_load_b128 v[8:11], off, s13
	v_dual_mov_b32 v3, v2 :: v_dual_mov_b32 v4, v2
	v_mov_b32_e32 v5, v2
	scratch_store_b128 off, v[2:5], off offset:112
	s_wait_loadcnt 0x0
	ds_store_b128 v6, v[8:11]
.LBB73_59:
	s_wait_xcnt 0x0
	s_or_b32 exec_lo, exec_lo, s2
	s_wait_storecnt_dscnt 0x0
	s_barrier_signal -1
	s_barrier_wait -1
	s_clause 0x2
	scratch_load_b128 v[8:11], off, off offset:128
	scratch_load_b128 v[34:37], off, off offset:144
	scratch_load_b128 v[38:41], off, off offset:112
	ds_load_b128 v[42:45], v2 offset:288
	ds_load_b128 v[2:5], v2 offset:304
	s_mov_b32 s2, exec_lo
	s_wait_loadcnt_dscnt 0x201
	v_mul_f64_e32 v[12:13], v[44:45], v[10:11]
	v_mul_f64_e32 v[10:11], v[42:43], v[10:11]
	s_wait_loadcnt_dscnt 0x100
	v_mul_f64_e32 v[46:47], v[2:3], v[36:37]
	v_mul_f64_e32 v[36:37], v[4:5], v[36:37]
	s_delay_alu instid0(VALU_DEP_4) | instskip(NEXT) | instid1(VALU_DEP_4)
	v_fma_f64 v[12:13], v[42:43], v[8:9], -v[12:13]
	v_fmac_f64_e32 v[10:11], v[44:45], v[8:9]
	s_delay_alu instid0(VALU_DEP_4) | instskip(NEXT) | instid1(VALU_DEP_4)
	v_fmac_f64_e32 v[46:47], v[4:5], v[34:35]
	v_fma_f64 v[2:3], v[2:3], v[34:35], -v[36:37]
	s_delay_alu instid0(VALU_DEP_4) | instskip(NEXT) | instid1(VALU_DEP_4)
	v_add_f64_e32 v[4:5], 0, v[12:13]
	v_add_f64_e32 v[8:9], 0, v[10:11]
	s_delay_alu instid0(VALU_DEP_2) | instskip(NEXT) | instid1(VALU_DEP_2)
	v_add_f64_e32 v[2:3], v[4:5], v[2:3]
	v_add_f64_e32 v[4:5], v[8:9], v[46:47]
	s_wait_loadcnt 0x0
	s_delay_alu instid0(VALU_DEP_2) | instskip(NEXT) | instid1(VALU_DEP_2)
	v_add_f64_e64 v[2:3], v[38:39], -v[2:3]
	v_add_f64_e64 v[4:5], v[40:41], -v[4:5]
	scratch_store_b128 off, v[2:5], off offset:112
	s_wait_xcnt 0x0
	v_cmpx_lt_u32_e32 6, v1
	s_cbranch_execz .LBB73_61
; %bb.60:
	scratch_load_b128 v[2:5], off, s17
	v_mov_b32_e32 v8, 0
	s_delay_alu instid0(VALU_DEP_1)
	v_dual_mov_b32 v9, v8 :: v_dual_mov_b32 v10, v8
	v_mov_b32_e32 v11, v8
	scratch_store_b128 off, v[8:11], off offset:96
	s_wait_loadcnt 0x0
	ds_store_b128 v6, v[2:5]
.LBB73_61:
	s_wait_xcnt 0x0
	s_or_b32 exec_lo, exec_lo, s2
	s_wait_storecnt_dscnt 0x0
	s_barrier_signal -1
	s_barrier_wait -1
	s_clause 0x3
	scratch_load_b128 v[8:11], off, off offset:112
	scratch_load_b128 v[34:37], off, off offset:128
	;; [unrolled: 1-line block ×4, first 2 shown]
	v_mov_b32_e32 v2, 0
	ds_load_b128 v[46:49], v2 offset:272
	ds_load_b128 v[50:53], v2 offset:288
	s_mov_b32 s2, exec_lo
	s_wait_loadcnt_dscnt 0x301
	v_mul_f64_e32 v[4:5], v[48:49], v[10:11]
	v_mul_f64_e32 v[12:13], v[46:47], v[10:11]
	s_wait_loadcnt_dscnt 0x200
	v_mul_f64_e32 v[54:55], v[50:51], v[36:37]
	v_mul_f64_e32 v[36:37], v[52:53], v[36:37]
	s_delay_alu instid0(VALU_DEP_4) | instskip(NEXT) | instid1(VALU_DEP_4)
	v_fma_f64 v[4:5], v[46:47], v[8:9], -v[4:5]
	v_fmac_f64_e32 v[12:13], v[48:49], v[8:9]
	ds_load_b128 v[8:11], v2 offset:304
	v_fmac_f64_e32 v[54:55], v[52:53], v[34:35]
	v_fma_f64 v[34:35], v[50:51], v[34:35], -v[36:37]
	s_wait_loadcnt_dscnt 0x100
	v_mul_f64_e32 v[46:47], v[8:9], v[40:41]
	v_mul_f64_e32 v[40:41], v[10:11], v[40:41]
	v_add_f64_e32 v[4:5], 0, v[4:5]
	v_add_f64_e32 v[12:13], 0, v[12:13]
	s_delay_alu instid0(VALU_DEP_4) | instskip(NEXT) | instid1(VALU_DEP_4)
	v_fmac_f64_e32 v[46:47], v[10:11], v[38:39]
	v_fma_f64 v[8:9], v[8:9], v[38:39], -v[40:41]
	s_delay_alu instid0(VALU_DEP_4) | instskip(NEXT) | instid1(VALU_DEP_4)
	v_add_f64_e32 v[4:5], v[4:5], v[34:35]
	v_add_f64_e32 v[10:11], v[12:13], v[54:55]
	s_delay_alu instid0(VALU_DEP_2) | instskip(NEXT) | instid1(VALU_DEP_2)
	v_add_f64_e32 v[4:5], v[4:5], v[8:9]
	v_add_f64_e32 v[10:11], v[10:11], v[46:47]
	s_wait_loadcnt 0x0
	s_delay_alu instid0(VALU_DEP_2) | instskip(NEXT) | instid1(VALU_DEP_2)
	v_add_f64_e64 v[8:9], v[42:43], -v[4:5]
	v_add_f64_e64 v[10:11], v[44:45], -v[10:11]
	scratch_store_b128 off, v[8:11], off offset:96
	s_wait_xcnt 0x0
	v_cmpx_lt_u32_e32 5, v1
	s_cbranch_execz .LBB73_63
; %bb.62:
	scratch_load_b128 v[8:11], off, s12
	v_dual_mov_b32 v3, v2 :: v_dual_mov_b32 v4, v2
	v_mov_b32_e32 v5, v2
	scratch_store_b128 off, v[2:5], off offset:80
	s_wait_loadcnt 0x0
	ds_store_b128 v6, v[8:11]
.LBB73_63:
	s_wait_xcnt 0x0
	s_or_b32 exec_lo, exec_lo, s2
	s_wait_storecnt_dscnt 0x0
	s_barrier_signal -1
	s_barrier_wait -1
	s_clause 0x4
	scratch_load_b128 v[8:11], off, off offset:96
	scratch_load_b128 v[34:37], off, off offset:112
	;; [unrolled: 1-line block ×5, first 2 shown]
	ds_load_b128 v[50:53], v2 offset:256
	ds_load_b128 v[54:57], v2 offset:272
	s_mov_b32 s2, exec_lo
	s_wait_loadcnt_dscnt 0x401
	v_mul_f64_e32 v[4:5], v[52:53], v[10:11]
	v_mul_f64_e32 v[12:13], v[50:51], v[10:11]
	s_wait_loadcnt_dscnt 0x300
	v_mul_f64_e32 v[58:59], v[54:55], v[36:37]
	v_mul_f64_e32 v[36:37], v[56:57], v[36:37]
	s_delay_alu instid0(VALU_DEP_4) | instskip(NEXT) | instid1(VALU_DEP_4)
	v_fma_f64 v[50:51], v[50:51], v[8:9], -v[4:5]
	v_fmac_f64_e32 v[12:13], v[52:53], v[8:9]
	ds_load_b128 v[8:11], v2 offset:288
	ds_load_b128 v[2:5], v2 offset:304
	v_fmac_f64_e32 v[58:59], v[56:57], v[34:35]
	v_fma_f64 v[34:35], v[54:55], v[34:35], -v[36:37]
	s_wait_loadcnt_dscnt 0x201
	v_mul_f64_e32 v[52:53], v[8:9], v[40:41]
	v_mul_f64_e32 v[40:41], v[10:11], v[40:41]
	v_add_f64_e32 v[36:37], 0, v[50:51]
	v_add_f64_e32 v[12:13], 0, v[12:13]
	s_wait_loadcnt_dscnt 0x100
	v_mul_f64_e32 v[50:51], v[2:3], v[44:45]
	v_mul_f64_e32 v[44:45], v[4:5], v[44:45]
	v_fmac_f64_e32 v[52:53], v[10:11], v[38:39]
	v_fma_f64 v[8:9], v[8:9], v[38:39], -v[40:41]
	v_add_f64_e32 v[10:11], v[36:37], v[34:35]
	v_add_f64_e32 v[12:13], v[12:13], v[58:59]
	v_fmac_f64_e32 v[50:51], v[4:5], v[42:43]
	v_fma_f64 v[2:3], v[2:3], v[42:43], -v[44:45]
	s_delay_alu instid0(VALU_DEP_4) | instskip(NEXT) | instid1(VALU_DEP_4)
	v_add_f64_e32 v[4:5], v[10:11], v[8:9]
	v_add_f64_e32 v[8:9], v[12:13], v[52:53]
	s_delay_alu instid0(VALU_DEP_2) | instskip(NEXT) | instid1(VALU_DEP_2)
	v_add_f64_e32 v[2:3], v[4:5], v[2:3]
	v_add_f64_e32 v[4:5], v[8:9], v[50:51]
	s_wait_loadcnt 0x0
	s_delay_alu instid0(VALU_DEP_2) | instskip(NEXT) | instid1(VALU_DEP_2)
	v_add_f64_e64 v[2:3], v[46:47], -v[2:3]
	v_add_f64_e64 v[4:5], v[48:49], -v[4:5]
	scratch_store_b128 off, v[2:5], off offset:80
	s_wait_xcnt 0x0
	v_cmpx_lt_u32_e32 4, v1
	s_cbranch_execz .LBB73_65
; %bb.64:
	scratch_load_b128 v[2:5], off, s16
	v_mov_b32_e32 v8, 0
	s_delay_alu instid0(VALU_DEP_1)
	v_dual_mov_b32 v9, v8 :: v_dual_mov_b32 v10, v8
	v_mov_b32_e32 v11, v8
	scratch_store_b128 off, v[8:11], off offset:64
	s_wait_loadcnt 0x0
	ds_store_b128 v6, v[2:5]
.LBB73_65:
	s_wait_xcnt 0x0
	s_or_b32 exec_lo, exec_lo, s2
	s_wait_storecnt_dscnt 0x0
	s_barrier_signal -1
	s_barrier_wait -1
	s_clause 0x5
	scratch_load_b128 v[8:11], off, off offset:80
	scratch_load_b128 v[34:37], off, off offset:96
	;; [unrolled: 1-line block ×6, first 2 shown]
	v_mov_b32_e32 v2, 0
	ds_load_b128 v[54:57], v2 offset:240
	ds_load_b128 v[58:61], v2 offset:256
	s_mov_b32 s2, exec_lo
	s_wait_loadcnt_dscnt 0x501
	v_mul_f64_e32 v[4:5], v[56:57], v[10:11]
	v_mul_f64_e32 v[12:13], v[54:55], v[10:11]
	s_wait_loadcnt_dscnt 0x400
	v_mul_f64_e32 v[62:63], v[58:59], v[36:37]
	v_mul_f64_e32 v[36:37], v[60:61], v[36:37]
	s_delay_alu instid0(VALU_DEP_4) | instskip(NEXT) | instid1(VALU_DEP_4)
	v_fma_f64 v[4:5], v[54:55], v[8:9], -v[4:5]
	v_fmac_f64_e32 v[12:13], v[56:57], v[8:9]
	ds_load_b128 v[8:11], v2 offset:272
	ds_load_b128 v[54:57], v2 offset:288
	v_fmac_f64_e32 v[62:63], v[60:61], v[34:35]
	v_fma_f64 v[34:35], v[58:59], v[34:35], -v[36:37]
	s_wait_loadcnt_dscnt 0x301
	v_mul_f64_e32 v[64:65], v[8:9], v[40:41]
	v_mul_f64_e32 v[40:41], v[10:11], v[40:41]
	s_wait_loadcnt_dscnt 0x200
	v_mul_f64_e32 v[36:37], v[54:55], v[44:45]
	v_mul_f64_e32 v[44:45], v[56:57], v[44:45]
	v_add_f64_e32 v[4:5], 0, v[4:5]
	v_add_f64_e32 v[12:13], 0, v[12:13]
	v_fmac_f64_e32 v[64:65], v[10:11], v[38:39]
	v_fma_f64 v[38:39], v[8:9], v[38:39], -v[40:41]
	ds_load_b128 v[8:11], v2 offset:304
	v_fmac_f64_e32 v[36:37], v[56:57], v[42:43]
	v_fma_f64 v[42:43], v[54:55], v[42:43], -v[44:45]
	v_add_f64_e32 v[4:5], v[4:5], v[34:35]
	v_add_f64_e32 v[12:13], v[12:13], v[62:63]
	s_wait_loadcnt_dscnt 0x100
	v_mul_f64_e32 v[34:35], v[8:9], v[48:49]
	v_mul_f64_e32 v[40:41], v[10:11], v[48:49]
	s_delay_alu instid0(VALU_DEP_4) | instskip(NEXT) | instid1(VALU_DEP_4)
	v_add_f64_e32 v[4:5], v[4:5], v[38:39]
	v_add_f64_e32 v[12:13], v[12:13], v[64:65]
	s_delay_alu instid0(VALU_DEP_4) | instskip(NEXT) | instid1(VALU_DEP_4)
	v_fmac_f64_e32 v[34:35], v[10:11], v[46:47]
	v_fma_f64 v[8:9], v[8:9], v[46:47], -v[40:41]
	s_delay_alu instid0(VALU_DEP_4) | instskip(NEXT) | instid1(VALU_DEP_4)
	v_add_f64_e32 v[4:5], v[4:5], v[42:43]
	v_add_f64_e32 v[10:11], v[12:13], v[36:37]
	s_delay_alu instid0(VALU_DEP_2) | instskip(NEXT) | instid1(VALU_DEP_2)
	v_add_f64_e32 v[4:5], v[4:5], v[8:9]
	v_add_f64_e32 v[10:11], v[10:11], v[34:35]
	s_wait_loadcnt 0x0
	s_delay_alu instid0(VALU_DEP_2) | instskip(NEXT) | instid1(VALU_DEP_2)
	v_add_f64_e64 v[8:9], v[50:51], -v[4:5]
	v_add_f64_e64 v[10:11], v[52:53], -v[10:11]
	scratch_store_b128 off, v[8:11], off offset:64
	s_wait_xcnt 0x0
	v_cmpx_lt_u32_e32 3, v1
	s_cbranch_execz .LBB73_67
; %bb.66:
	scratch_load_b128 v[8:11], off, s15
	v_dual_mov_b32 v3, v2 :: v_dual_mov_b32 v4, v2
	v_mov_b32_e32 v5, v2
	scratch_store_b128 off, v[2:5], off offset:48
	s_wait_loadcnt 0x0
	ds_store_b128 v6, v[8:11]
.LBB73_67:
	s_wait_xcnt 0x0
	s_or_b32 exec_lo, exec_lo, s2
	s_wait_storecnt_dscnt 0x0
	s_barrier_signal -1
	s_barrier_wait -1
	s_clause 0x6
	scratch_load_b128 v[8:11], off, off offset:64
	scratch_load_b128 v[34:37], off, off offset:80
	;; [unrolled: 1-line block ×7, first 2 shown]
	ds_load_b128 v[58:61], v2 offset:224
	ds_load_b128 v[62:65], v2 offset:240
	s_mov_b32 s2, exec_lo
	s_wait_loadcnt_dscnt 0x601
	v_mul_f64_e32 v[4:5], v[60:61], v[10:11]
	v_mul_f64_e32 v[12:13], v[58:59], v[10:11]
	s_wait_loadcnt_dscnt 0x500
	v_mul_f64_e32 v[66:67], v[62:63], v[36:37]
	v_mul_f64_e32 v[36:37], v[64:65], v[36:37]
	s_delay_alu instid0(VALU_DEP_4) | instskip(NEXT) | instid1(VALU_DEP_4)
	v_fma_f64 v[4:5], v[58:59], v[8:9], -v[4:5]
	v_fmac_f64_e32 v[12:13], v[60:61], v[8:9]
	ds_load_b128 v[8:11], v2 offset:256
	ds_load_b128 v[58:61], v2 offset:272
	v_fmac_f64_e32 v[66:67], v[64:65], v[34:35]
	v_fma_f64 v[34:35], v[62:63], v[34:35], -v[36:37]
	s_wait_loadcnt_dscnt 0x401
	v_mul_f64_e32 v[68:69], v[8:9], v[40:41]
	v_mul_f64_e32 v[40:41], v[10:11], v[40:41]
	s_wait_loadcnt_dscnt 0x300
	v_mul_f64_e32 v[36:37], v[58:59], v[44:45]
	v_mul_f64_e32 v[44:45], v[60:61], v[44:45]
	v_add_f64_e32 v[4:5], 0, v[4:5]
	v_add_f64_e32 v[12:13], 0, v[12:13]
	v_fmac_f64_e32 v[68:69], v[10:11], v[38:39]
	v_fma_f64 v[38:39], v[8:9], v[38:39], -v[40:41]
	v_fmac_f64_e32 v[36:37], v[60:61], v[42:43]
	v_fma_f64 v[42:43], v[58:59], v[42:43], -v[44:45]
	v_add_f64_e32 v[34:35], v[4:5], v[34:35]
	v_add_f64_e32 v[12:13], v[12:13], v[66:67]
	ds_load_b128 v[8:11], v2 offset:288
	ds_load_b128 v[2:5], v2 offset:304
	s_wait_loadcnt_dscnt 0x201
	v_mul_f64_e32 v[40:41], v[8:9], v[48:49]
	v_mul_f64_e32 v[48:49], v[10:11], v[48:49]
	s_wait_loadcnt_dscnt 0x100
	v_mul_f64_e32 v[44:45], v[4:5], v[52:53]
	v_add_f64_e32 v[34:35], v[34:35], v[38:39]
	v_add_f64_e32 v[12:13], v[12:13], v[68:69]
	v_mul_f64_e32 v[38:39], v[2:3], v[52:53]
	v_fmac_f64_e32 v[40:41], v[10:11], v[46:47]
	v_fma_f64 v[8:9], v[8:9], v[46:47], -v[48:49]
	v_fma_f64 v[2:3], v[2:3], v[50:51], -v[44:45]
	v_add_f64_e32 v[10:11], v[34:35], v[42:43]
	v_add_f64_e32 v[12:13], v[12:13], v[36:37]
	v_fmac_f64_e32 v[38:39], v[4:5], v[50:51]
	s_delay_alu instid0(VALU_DEP_3) | instskip(NEXT) | instid1(VALU_DEP_3)
	v_add_f64_e32 v[4:5], v[10:11], v[8:9]
	v_add_f64_e32 v[8:9], v[12:13], v[40:41]
	s_delay_alu instid0(VALU_DEP_2) | instskip(NEXT) | instid1(VALU_DEP_2)
	v_add_f64_e32 v[2:3], v[4:5], v[2:3]
	v_add_f64_e32 v[4:5], v[8:9], v[38:39]
	s_wait_loadcnt 0x0
	s_delay_alu instid0(VALU_DEP_2) | instskip(NEXT) | instid1(VALU_DEP_2)
	v_add_f64_e64 v[2:3], v[54:55], -v[2:3]
	v_add_f64_e64 v[4:5], v[56:57], -v[4:5]
	scratch_store_b128 off, v[2:5], off offset:48
	s_wait_xcnt 0x0
	v_cmpx_lt_u32_e32 2, v1
	s_cbranch_execz .LBB73_69
; %bb.68:
	scratch_load_b128 v[2:5], off, s19
	v_mov_b32_e32 v8, 0
	s_delay_alu instid0(VALU_DEP_1)
	v_dual_mov_b32 v9, v8 :: v_dual_mov_b32 v10, v8
	v_mov_b32_e32 v11, v8
	scratch_store_b128 off, v[8:11], off offset:32
	s_wait_loadcnt 0x0
	ds_store_b128 v6, v[2:5]
.LBB73_69:
	s_wait_xcnt 0x0
	s_or_b32 exec_lo, exec_lo, s2
	s_wait_storecnt_dscnt 0x0
	s_barrier_signal -1
	s_barrier_wait -1
	s_clause 0x7
	scratch_load_b128 v[8:11], off, off offset:48
	scratch_load_b128 v[34:37], off, off offset:64
	scratch_load_b128 v[38:41], off, off offset:80
	scratch_load_b128 v[42:45], off, off offset:96
	scratch_load_b128 v[46:49], off, off offset:112
	scratch_load_b128 v[50:53], off, off offset:128
	scratch_load_b128 v[54:57], off, off offset:144
	scratch_load_b128 v[58:61], off, off offset:32
	v_mov_b32_e32 v2, 0
	ds_load_b128 v[62:65], v2 offset:208
	ds_load_b128 v[66:69], v2 offset:224
	s_mov_b32 s2, exec_lo
	v_dual_ashrrev_i32 v21, 31, v20 :: v_dual_ashrrev_i32 v19, 31, v18
	v_ashrrev_i32_e32 v23, 31, v22
	v_dual_ashrrev_i32 v27, 31, v26 :: v_dual_ashrrev_i32 v25, 31, v24
	v_dual_ashrrev_i32 v31, 31, v30 :: v_dual_ashrrev_i32 v29, 31, v28
	s_wait_loadcnt_dscnt 0x701
	v_dual_mul_f64 v[4:5], v[64:65], v[10:11] :: v_dual_ashrrev_i32 v33, 31, v32
	v_mul_f64_e32 v[12:13], v[62:63], v[10:11]
	s_wait_loadcnt_dscnt 0x600
	v_mul_f64_e32 v[70:71], v[66:67], v[36:37]
	v_mul_f64_e32 v[36:37], v[68:69], v[36:37]
	s_delay_alu instid0(VALU_DEP_4) | instskip(NEXT) | instid1(VALU_DEP_4)
	v_fma_f64 v[4:5], v[62:63], v[8:9], -v[4:5]
	v_fmac_f64_e32 v[12:13], v[64:65], v[8:9]
	ds_load_b128 v[8:11], v2 offset:240
	ds_load_b128 v[62:65], v2 offset:256
	v_fmac_f64_e32 v[70:71], v[68:69], v[34:35]
	v_fma_f64 v[34:35], v[66:67], v[34:35], -v[36:37]
	s_wait_loadcnt_dscnt 0x501
	v_mul_f64_e32 v[72:73], v[8:9], v[40:41]
	v_mul_f64_e32 v[40:41], v[10:11], v[40:41]
	s_wait_loadcnt_dscnt 0x400
	v_mul_f64_e32 v[66:67], v[62:63], v[44:45]
	v_mul_f64_e32 v[44:45], v[64:65], v[44:45]
	v_add_f64_e32 v[4:5], 0, v[4:5]
	v_add_f64_e32 v[12:13], 0, v[12:13]
	v_fmac_f64_e32 v[72:73], v[10:11], v[38:39]
	v_fma_f64 v[38:39], v[8:9], v[38:39], -v[40:41]
	v_fmac_f64_e32 v[66:67], v[64:65], v[42:43]
	v_fma_f64 v[42:43], v[62:63], v[42:43], -v[44:45]
	v_add_f64_e32 v[4:5], v[4:5], v[34:35]
	v_add_f64_e32 v[12:13], v[12:13], v[70:71]
	ds_load_b128 v[8:11], v2 offset:272
	ds_load_b128 v[34:37], v2 offset:288
	s_wait_loadcnt_dscnt 0x301
	v_mul_f64_e32 v[40:41], v[8:9], v[48:49]
	v_mul_f64_e32 v[48:49], v[10:11], v[48:49]
	s_wait_loadcnt_dscnt 0x200
	v_mul_f64_e32 v[44:45], v[36:37], v[52:53]
	v_add_f64_e32 v[4:5], v[4:5], v[38:39]
	v_add_f64_e32 v[12:13], v[12:13], v[72:73]
	v_mul_f64_e32 v[38:39], v[34:35], v[52:53]
	v_fmac_f64_e32 v[40:41], v[10:11], v[46:47]
	v_fma_f64 v[46:47], v[8:9], v[46:47], -v[48:49]
	ds_load_b128 v[8:11], v2 offset:304
	v_fma_f64 v[34:35], v[34:35], v[50:51], -v[44:45]
	v_add_f64_e32 v[4:5], v[4:5], v[42:43]
	v_add_f64_e32 v[12:13], v[12:13], v[66:67]
	v_fmac_f64_e32 v[38:39], v[36:37], v[50:51]
	s_wait_loadcnt_dscnt 0x100
	v_mul_f64_e32 v[42:43], v[8:9], v[56:57]
	v_mul_f64_e32 v[48:49], v[10:11], v[56:57]
	v_add_f64_e32 v[4:5], v[4:5], v[46:47]
	v_add_f64_e32 v[12:13], v[12:13], v[40:41]
	s_delay_alu instid0(VALU_DEP_4) | instskip(NEXT) | instid1(VALU_DEP_4)
	v_fmac_f64_e32 v[42:43], v[10:11], v[54:55]
	v_fma_f64 v[8:9], v[8:9], v[54:55], -v[48:49]
	s_delay_alu instid0(VALU_DEP_4) | instskip(NEXT) | instid1(VALU_DEP_4)
	v_add_f64_e32 v[4:5], v[4:5], v[34:35]
	v_add_f64_e32 v[10:11], v[12:13], v[38:39]
	s_delay_alu instid0(VALU_DEP_2) | instskip(NEXT) | instid1(VALU_DEP_2)
	v_add_f64_e32 v[4:5], v[4:5], v[8:9]
	v_add_f64_e32 v[10:11], v[10:11], v[42:43]
	s_wait_loadcnt 0x0
	s_delay_alu instid0(VALU_DEP_2) | instskip(NEXT) | instid1(VALU_DEP_2)
	v_add_f64_e64 v[8:9], v[58:59], -v[4:5]
	v_add_f64_e64 v[10:11], v[60:61], -v[10:11]
	scratch_store_b128 off, v[8:11], off offset:32
	s_wait_xcnt 0x0
	v_cmpx_lt_u32_e32 1, v1
	s_cbranch_execz .LBB73_71
; %bb.70:
	scratch_load_b128 v[8:11], off, s20
	v_dual_mov_b32 v3, v2 :: v_dual_mov_b32 v4, v2
	v_mov_b32_e32 v5, v2
	scratch_store_b128 off, v[2:5], off offset:16
	s_wait_loadcnt 0x0
	ds_store_b128 v6, v[8:11]
.LBB73_71:
	s_wait_xcnt 0x0
	s_or_b32 exec_lo, exec_lo, s2
	s_wait_storecnt_dscnt 0x0
	s_barrier_signal -1
	s_barrier_wait -1
	s_clause 0x7
	scratch_load_b128 v[8:11], off, off offset:32
	scratch_load_b128 v[34:37], off, off offset:48
	;; [unrolled: 1-line block ×8, first 2 shown]
	ds_load_b128 v[62:65], v2 offset:192
	ds_load_b128 v[70:73], v2 offset:208
	scratch_load_b128 v[66:69], off, off offset:16
	s_mov_b32 s2, exec_lo
	s_wait_loadcnt_dscnt 0x801
	v_mul_f64_e32 v[4:5], v[64:65], v[10:11]
	v_mul_f64_e32 v[12:13], v[62:63], v[10:11]
	s_wait_loadcnt_dscnt 0x700
	v_mul_f64_e32 v[74:75], v[70:71], v[36:37]
	v_mul_f64_e32 v[36:37], v[72:73], v[36:37]
	s_delay_alu instid0(VALU_DEP_4) | instskip(NEXT) | instid1(VALU_DEP_4)
	v_fma_f64 v[4:5], v[62:63], v[8:9], -v[4:5]
	v_fmac_f64_e32 v[12:13], v[64:65], v[8:9]
	ds_load_b128 v[8:11], v2 offset:224
	ds_load_b128 v[62:65], v2 offset:240
	v_fmac_f64_e32 v[74:75], v[72:73], v[34:35]
	v_fma_f64 v[34:35], v[70:71], v[34:35], -v[36:37]
	s_wait_loadcnt_dscnt 0x601
	v_mul_f64_e32 v[76:77], v[8:9], v[40:41]
	v_mul_f64_e32 v[40:41], v[10:11], v[40:41]
	s_wait_loadcnt_dscnt 0x500
	v_mul_f64_e32 v[70:71], v[62:63], v[44:45]
	v_mul_f64_e32 v[44:45], v[64:65], v[44:45]
	v_add_f64_e32 v[4:5], 0, v[4:5]
	v_add_f64_e32 v[12:13], 0, v[12:13]
	v_fmac_f64_e32 v[76:77], v[10:11], v[38:39]
	v_fma_f64 v[38:39], v[8:9], v[38:39], -v[40:41]
	v_fmac_f64_e32 v[70:71], v[64:65], v[42:43]
	v_fma_f64 v[42:43], v[62:63], v[42:43], -v[44:45]
	v_add_f64_e32 v[4:5], v[4:5], v[34:35]
	v_add_f64_e32 v[12:13], v[12:13], v[74:75]
	ds_load_b128 v[8:11], v2 offset:256
	ds_load_b128 v[34:37], v2 offset:272
	s_wait_loadcnt_dscnt 0x401
	v_mul_f64_e32 v[40:41], v[8:9], v[48:49]
	v_mul_f64_e32 v[48:49], v[10:11], v[48:49]
	s_wait_loadcnt_dscnt 0x300
	v_mul_f64_e32 v[44:45], v[36:37], v[52:53]
	v_add_f64_e32 v[4:5], v[4:5], v[38:39]
	v_add_f64_e32 v[12:13], v[12:13], v[76:77]
	v_mul_f64_e32 v[38:39], v[34:35], v[52:53]
	v_fmac_f64_e32 v[40:41], v[10:11], v[46:47]
	v_fma_f64 v[46:47], v[8:9], v[46:47], -v[48:49]
	v_fma_f64 v[34:35], v[34:35], v[50:51], -v[44:45]
	v_add_f64_e32 v[42:43], v[4:5], v[42:43]
	v_add_f64_e32 v[12:13], v[12:13], v[70:71]
	ds_load_b128 v[8:11], v2 offset:288
	ds_load_b128 v[2:5], v2 offset:304
	v_fmac_f64_e32 v[38:39], v[36:37], v[50:51]
	s_wait_loadcnt_dscnt 0x201
	v_mul_f64_e32 v[48:49], v[8:9], v[56:57]
	v_mul_f64_e32 v[52:53], v[10:11], v[56:57]
	v_add_f64_e32 v[36:37], v[42:43], v[46:47]
	v_add_f64_e32 v[12:13], v[12:13], v[40:41]
	s_wait_loadcnt_dscnt 0x100
	v_mul_f64_e32 v[40:41], v[2:3], v[60:61]
	v_mul_f64_e32 v[42:43], v[4:5], v[60:61]
	v_fmac_f64_e32 v[48:49], v[10:11], v[54:55]
	v_fma_f64 v[8:9], v[8:9], v[54:55], -v[52:53]
	v_add_f64_e32 v[10:11], v[36:37], v[34:35]
	v_add_f64_e32 v[12:13], v[12:13], v[38:39]
	v_fmac_f64_e32 v[40:41], v[4:5], v[58:59]
	v_fma_f64 v[2:3], v[2:3], v[58:59], -v[42:43]
	s_delay_alu instid0(VALU_DEP_4) | instskip(NEXT) | instid1(VALU_DEP_4)
	v_add_f64_e32 v[4:5], v[10:11], v[8:9]
	v_add_f64_e32 v[8:9], v[12:13], v[48:49]
	s_delay_alu instid0(VALU_DEP_2) | instskip(NEXT) | instid1(VALU_DEP_2)
	v_add_f64_e32 v[2:3], v[4:5], v[2:3]
	v_add_f64_e32 v[4:5], v[8:9], v[40:41]
	s_wait_loadcnt 0x0
	s_delay_alu instid0(VALU_DEP_2) | instskip(NEXT) | instid1(VALU_DEP_2)
	v_add_f64_e64 v[2:3], v[66:67], -v[2:3]
	v_add_f64_e64 v[4:5], v[68:69], -v[4:5]
	scratch_store_b128 off, v[2:5], off offset:16
	s_wait_xcnt 0x0
	v_cmpx_ne_u32_e32 0, v1
	s_cbranch_execz .LBB73_73
; %bb.72:
	scratch_load_b128 v[2:5], off, off
	v_mov_b32_e32 v8, 0
	s_delay_alu instid0(VALU_DEP_1)
	v_dual_mov_b32 v9, v8 :: v_dual_mov_b32 v10, v8
	v_mov_b32_e32 v11, v8
	scratch_store_b128 off, v[8:11], off
	s_wait_loadcnt 0x0
	ds_store_b128 v6, v[2:5]
.LBB73_73:
	s_wait_xcnt 0x0
	s_or_b32 exec_lo, exec_lo, s2
	s_wait_storecnt_dscnt 0x0
	s_barrier_signal -1
	s_barrier_wait -1
	s_clause 0x8
	scratch_load_b128 v[2:5], off, off offset:16
	scratch_load_b128 v[6:9], off, off offset:32
	;; [unrolled: 1-line block ×9, first 2 shown]
	v_mov_b32_e32 v36, 0
	scratch_load_b128 v[66:69], off, off
	s_and_b32 vcc_lo, exec_lo, s21
	ds_load_b128 v[62:65], v36 offset:176
	ds_load_b128 v[70:73], v36 offset:192
	s_wait_loadcnt_dscnt 0x901
	v_mul_f64_e32 v[34:35], v[64:65], v[4:5]
	v_mul_f64_e32 v[74:75], v[62:63], v[4:5]
	s_wait_loadcnt_dscnt 0x800
	v_mul_f64_e32 v[76:77], v[70:71], v[8:9]
	v_mul_f64_e32 v[8:9], v[72:73], v[8:9]
	s_delay_alu instid0(VALU_DEP_4) | instskip(NEXT) | instid1(VALU_DEP_4)
	v_fma_f64 v[34:35], v[62:63], v[2:3], -v[34:35]
	v_fmac_f64_e32 v[74:75], v[64:65], v[2:3]
	ds_load_b128 v[2:5], v36 offset:208
	ds_load_b128 v[62:65], v36 offset:224
	v_fmac_f64_e32 v[76:77], v[72:73], v[6:7]
	v_fma_f64 v[6:7], v[70:71], v[6:7], -v[8:9]
	s_wait_loadcnt_dscnt 0x701
	v_mul_f64_e32 v[78:79], v[2:3], v[12:13]
	v_mul_f64_e32 v[8:9], v[4:5], v[12:13]
	s_wait_loadcnt_dscnt 0x600
	v_mul_f64_e32 v[70:71], v[62:63], v[40:41]
	v_mul_f64_e32 v[40:41], v[64:65], v[40:41]
	v_add_f64_e32 v[12:13], 0, v[34:35]
	v_add_f64_e32 v[34:35], 0, v[74:75]
	v_fmac_f64_e32 v[78:79], v[4:5], v[10:11]
	v_fma_f64 v[10:11], v[2:3], v[10:11], -v[8:9]
	v_fmac_f64_e32 v[70:71], v[64:65], v[38:39]
	v_fma_f64 v[38:39], v[62:63], v[38:39], -v[40:41]
	v_add_f64_e32 v[12:13], v[12:13], v[6:7]
	v_add_f64_e32 v[34:35], v[34:35], v[76:77]
	ds_load_b128 v[2:5], v36 offset:240
	ds_load_b128 v[6:9], v36 offset:256
	s_wait_loadcnt_dscnt 0x501
	v_mul_f64_e32 v[72:73], v[2:3], v[44:45]
	v_mul_f64_e32 v[44:45], v[4:5], v[44:45]
	s_wait_loadcnt_dscnt 0x400
	v_mul_f64_e32 v[40:41], v[8:9], v[48:49]
	v_add_f64_e32 v[10:11], v[12:13], v[10:11]
	v_add_f64_e32 v[12:13], v[34:35], v[78:79]
	v_mul_f64_e32 v[34:35], v[6:7], v[48:49]
	v_fmac_f64_e32 v[72:73], v[4:5], v[42:43]
	v_fma_f64 v[42:43], v[2:3], v[42:43], -v[44:45]
	v_fma_f64 v[6:7], v[6:7], v[46:47], -v[40:41]
	v_add_f64_e32 v[38:39], v[10:11], v[38:39]
	v_add_f64_e32 v[44:45], v[12:13], v[70:71]
	ds_load_b128 v[2:5], v36 offset:272
	ds_load_b128 v[10:13], v36 offset:288
	v_fmac_f64_e32 v[34:35], v[8:9], v[46:47]
	s_wait_loadcnt_dscnt 0x301
	v_mul_f64_e32 v[48:49], v[2:3], v[52:53]
	v_mul_f64_e32 v[52:53], v[4:5], v[52:53]
	s_wait_loadcnt_dscnt 0x200
	v_mul_f64_e32 v[40:41], v[10:11], v[56:57]
	v_add_f64_e32 v[8:9], v[38:39], v[42:43]
	v_add_f64_e32 v[38:39], v[44:45], v[72:73]
	v_mul_f64_e32 v[42:43], v[12:13], v[56:57]
	v_fmac_f64_e32 v[48:49], v[4:5], v[50:51]
	v_fma_f64 v[44:45], v[2:3], v[50:51], -v[52:53]
	ds_load_b128 v[2:5], v36 offset:304
	v_fmac_f64_e32 v[40:41], v[12:13], v[54:55]
	v_lshl_add_u64 v[12:13], v[22:23], 4, s[4:5]
	v_add_f64_e32 v[6:7], v[8:9], v[6:7]
	v_add_f64_e32 v[8:9], v[38:39], v[34:35]
	v_fma_f64 v[10:11], v[10:11], v[54:55], -v[42:43]
	s_wait_loadcnt_dscnt 0x100
	v_mul_f64_e32 v[34:35], v[2:3], v[60:61]
	v_mul_f64_e32 v[38:39], v[4:5], v[60:61]
	v_add_f64_e32 v[6:7], v[6:7], v[44:45]
	v_add_f64_e32 v[8:9], v[8:9], v[48:49]
	s_delay_alu instid0(VALU_DEP_4) | instskip(NEXT) | instid1(VALU_DEP_4)
	v_fmac_f64_e32 v[34:35], v[4:5], v[58:59]
	v_fma_f64 v[2:3], v[2:3], v[58:59], -v[38:39]
	s_delay_alu instid0(VALU_DEP_4) | instskip(NEXT) | instid1(VALU_DEP_4)
	v_add_f64_e32 v[4:5], v[6:7], v[10:11]
	v_add_f64_e32 v[6:7], v[8:9], v[40:41]
	v_lshl_add_u64 v[10:11], v[24:25], 4, s[4:5]
	v_lshl_add_u64 v[8:9], v[26:27], 4, s[4:5]
	s_delay_alu instid0(VALU_DEP_4) | instskip(NEXT) | instid1(VALU_DEP_4)
	v_add_f64_e32 v[2:3], v[4:5], v[2:3]
	v_add_f64_e32 v[4:5], v[6:7], v[34:35]
	v_lshl_add_u64 v[34:35], v[18:19], 4, s[4:5]
	v_lshl_add_u64 v[18:19], v[20:21], 4, s[4:5]
	v_lshl_add_u64 v[6:7], v[28:29], 4, s[4:5]
	s_wait_loadcnt 0x0
	v_add_f64_e64 v[38:39], v[66:67], -v[2:3]
	v_add_f64_e64 v[40:41], v[68:69], -v[4:5]
	v_lshl_add_u64 v[4:5], v[30:31], 4, s[4:5]
	v_lshl_add_u64 v[2:3], v[32:33], 4, s[4:5]
	scratch_store_b128 off, v[38:41], off
	s_cbranch_vccz .LBB73_92
; %bb.74:
	global_load_b32 v20, v36, s[8:9] offset:32
	s_load_b64 s[2:3], s[0:1], 0x4
	v_bfe_u32 v21, v0, 10, 10
	v_bfe_u32 v0, v0, 20, 10
	s_wait_kmcnt 0x0
	s_lshr_b32 s0, s2, 16
	s_delay_alu instid0(VALU_DEP_2) | instskip(SKIP_1) | instid1(SALU_CYCLE_1)
	v_mul_u32_u24_e32 v21, s3, v21
	s_mul_i32 s0, s0, s3
	v_mul_u32_u24_e32 v1, s0, v1
	s_delay_alu instid0(VALU_DEP_1) | instskip(NEXT) | instid1(VALU_DEP_1)
	v_add3_u32 v0, v1, v21, v0
	v_lshl_add_u32 v0, v0, 4, 0x148
	s_wait_loadcnt 0x0
	v_cmp_ne_u32_e32 vcc_lo, 9, v20
	s_cbranch_vccz .LBB73_76
; %bb.75:
	v_lshlrev_b32_e32 v1, 4, v20
	s_clause 0x1
	scratch_load_b128 v[20:23], off, s18
	scratch_load_b128 v[24:27], v1, off offset:-16
	s_wait_loadcnt 0x1
	ds_store_2addr_b64 v0, v[20:21], v[22:23] offset1:1
	s_wait_loadcnt 0x0
	s_clause 0x1
	scratch_store_b128 off, v[24:27], s18
	scratch_store_b128 v1, v[20:23], off offset:-16
.LBB73_76:
	s_wait_xcnt 0x0
	v_mov_b32_e32 v1, 0
	global_load_b32 v20, v1, s[8:9] offset:28
	s_wait_loadcnt 0x0
	v_cmp_eq_u32_e32 vcc_lo, 8, v20
	s_cbranch_vccnz .LBB73_78
; %bb.77:
	v_lshlrev_b32_e32 v20, 4, v20
	s_delay_alu instid0(VALU_DEP_1)
	v_mov_b32_e32 v28, v20
	s_clause 0x1
	scratch_load_b128 v[20:23], off, s13
	scratch_load_b128 v[24:27], v28, off offset:-16
	s_wait_loadcnt 0x1
	ds_store_2addr_b64 v0, v[20:21], v[22:23] offset1:1
	s_wait_loadcnt 0x0
	s_clause 0x1
	scratch_store_b128 off, v[24:27], s13
	scratch_store_b128 v28, v[20:23], off offset:-16
.LBB73_78:
	global_load_b32 v1, v1, s[8:9] offset:24
	s_wait_loadcnt 0x0
	v_cmp_eq_u32_e32 vcc_lo, 7, v1
	s_cbranch_vccnz .LBB73_80
; %bb.79:
	s_wait_xcnt 0x0
	v_lshlrev_b32_e32 v1, 4, v1
	s_clause 0x1
	scratch_load_b128 v[20:23], off, s17
	scratch_load_b128 v[24:27], v1, off offset:-16
	s_wait_loadcnt 0x1
	ds_store_2addr_b64 v0, v[20:21], v[22:23] offset1:1
	s_wait_loadcnt 0x0
	s_clause 0x1
	scratch_store_b128 off, v[24:27], s17
	scratch_store_b128 v1, v[20:23], off offset:-16
.LBB73_80:
	s_wait_xcnt 0x0
	v_mov_b32_e32 v1, 0
	global_load_b32 v20, v1, s[8:9] offset:20
	s_wait_loadcnt 0x0
	v_cmp_eq_u32_e32 vcc_lo, 6, v20
	s_cbranch_vccnz .LBB73_82
; %bb.81:
	v_lshlrev_b32_e32 v20, 4, v20
	s_delay_alu instid0(VALU_DEP_1)
	v_mov_b32_e32 v28, v20
	s_clause 0x1
	scratch_load_b128 v[20:23], off, s12
	scratch_load_b128 v[24:27], v28, off offset:-16
	s_wait_loadcnt 0x1
	ds_store_2addr_b64 v0, v[20:21], v[22:23] offset1:1
	s_wait_loadcnt 0x0
	s_clause 0x1
	scratch_store_b128 off, v[24:27], s12
	scratch_store_b128 v28, v[20:23], off offset:-16
.LBB73_82:
	global_load_b32 v1, v1, s[8:9] offset:16
	s_wait_loadcnt 0x0
	v_cmp_eq_u32_e32 vcc_lo, 5, v1
	s_cbranch_vccnz .LBB73_84
; %bb.83:
	s_wait_xcnt 0x0
	v_lshlrev_b32_e32 v1, 4, v1
	s_clause 0x1
	scratch_load_b128 v[20:23], off, s16
	scratch_load_b128 v[24:27], v1, off offset:-16
	s_wait_loadcnt 0x1
	ds_store_2addr_b64 v0, v[20:21], v[22:23] offset1:1
	s_wait_loadcnt 0x0
	s_clause 0x1
	scratch_store_b128 off, v[24:27], s16
	scratch_store_b128 v1, v[20:23], off offset:-16
.LBB73_84:
	s_wait_xcnt 0x0
	v_mov_b32_e32 v1, 0
	global_load_b32 v20, v1, s[8:9] offset:12
	s_wait_loadcnt 0x0
	v_cmp_eq_u32_e32 vcc_lo, 4, v20
	s_cbranch_vccnz .LBB73_86
; %bb.85:
	v_lshlrev_b32_e32 v20, 4, v20
	s_delay_alu instid0(VALU_DEP_1)
	v_mov_b32_e32 v28, v20
	s_clause 0x1
	scratch_load_b128 v[20:23], off, s15
	scratch_load_b128 v[24:27], v28, off offset:-16
	s_wait_loadcnt 0x1
	ds_store_2addr_b64 v0, v[20:21], v[22:23] offset1:1
	s_wait_loadcnt 0x0
	s_clause 0x1
	scratch_store_b128 off, v[24:27], s15
	scratch_store_b128 v28, v[20:23], off offset:-16
.LBB73_86:
	global_load_b32 v1, v1, s[8:9] offset:8
	s_wait_loadcnt 0x0
	v_cmp_eq_u32_e32 vcc_lo, 3, v1
	s_cbranch_vccnz .LBB73_88
; %bb.87:
	s_wait_xcnt 0x0
	v_lshlrev_b32_e32 v1, 4, v1
	s_clause 0x1
	scratch_load_b128 v[20:23], off, s19
	scratch_load_b128 v[24:27], v1, off offset:-16
	s_wait_loadcnt 0x1
	ds_store_2addr_b64 v0, v[20:21], v[22:23] offset1:1
	s_wait_loadcnt 0x0
	s_clause 0x1
	scratch_store_b128 off, v[24:27], s19
	scratch_store_b128 v1, v[20:23], off offset:-16
.LBB73_88:
	s_wait_xcnt 0x0
	v_mov_b32_e32 v1, 0
	global_load_b32 v20, v1, s[8:9] offset:4
	s_wait_loadcnt 0x0
	v_cmp_eq_u32_e32 vcc_lo, 2, v20
	s_cbranch_vccnz .LBB73_90
; %bb.89:
	v_lshlrev_b32_e32 v20, 4, v20
	s_delay_alu instid0(VALU_DEP_1)
	v_mov_b32_e32 v28, v20
	s_clause 0x1
	scratch_load_b128 v[20:23], off, s20
	scratch_load_b128 v[24:27], v28, off offset:-16
	s_wait_loadcnt 0x1
	ds_store_2addr_b64 v0, v[20:21], v[22:23] offset1:1
	s_wait_loadcnt 0x0
	s_clause 0x1
	scratch_store_b128 off, v[24:27], s20
	scratch_store_b128 v28, v[20:23], off offset:-16
.LBB73_90:
	global_load_b32 v1, v1, s[8:9]
	s_wait_loadcnt 0x0
	v_cmp_eq_u32_e32 vcc_lo, 1, v1
	s_cbranch_vccnz .LBB73_92
; %bb.91:
	s_wait_xcnt 0x0
	v_lshlrev_b32_e32 v1, 4, v1
	scratch_load_b128 v[20:23], off, off
	scratch_load_b128 v[24:27], v1, off offset:-16
	s_wait_loadcnt 0x1
	ds_store_2addr_b64 v0, v[20:21], v[22:23] offset1:1
	s_wait_loadcnt 0x0
	scratch_store_b128 off, v[24:27], off
	scratch_store_b128 v1, v[20:23], off offset:-16
.LBB73_92:
	scratch_load_b128 v[20:23], off, off
	s_wait_loadcnt 0x0
	flat_store_b128 v[14:15], v[20:23]
	scratch_load_b128 v[20:23], off, s20
	s_wait_loadcnt 0x0
	flat_store_b128 v[16:17], v[20:23]
	scratch_load_b128 v[14:17], off, s19
	s_wait_loadcnt 0x0
	flat_store_b128 v[34:35], v[14:17]
	scratch_load_b128 v[14:17], off, s15
	s_wait_loadcnt 0x0
	flat_store_b128 v[18:19], v[14:17]
	scratch_load_b128 v[14:17], off, s16
	s_wait_loadcnt 0x0
	flat_store_b128 v[12:13], v[14:17]
	scratch_load_b128 v[12:15], off, s12
	s_wait_loadcnt 0x0
	flat_store_b128 v[10:11], v[12:15]
	scratch_load_b128 v[10:13], off, s17
	s_wait_loadcnt 0x0
	flat_store_b128 v[8:9], v[10:13]
	scratch_load_b128 v[8:11], off, s13
	s_wait_loadcnt 0x0
	flat_store_b128 v[6:7], v[8:11]
	scratch_load_b128 v[6:9], off, s18
	s_wait_loadcnt 0x0
	flat_store_b128 v[4:5], v[6:9]
	scratch_load_b128 v[4:7], off, s14
	s_wait_loadcnt 0x0
	flat_store_b128 v[2:3], v[4:7]
	s_sendmsg sendmsg(MSG_DEALLOC_VGPRS)
	s_endpgm
	.section	.rodata,"a",@progbits
	.p2align	6, 0x0
	.amdhsa_kernel _ZN9rocsolver6v33100L18getri_kernel_smallILi10E19rocblas_complex_numIdEPKPS3_EEvT1_iilPiilS8_bb
		.amdhsa_group_segment_fixed_size 1352
		.amdhsa_private_segment_fixed_size 176
		.amdhsa_kernarg_size 60
		.amdhsa_user_sgpr_count 4
		.amdhsa_user_sgpr_dispatch_ptr 1
		.amdhsa_user_sgpr_queue_ptr 0
		.amdhsa_user_sgpr_kernarg_segment_ptr 1
		.amdhsa_user_sgpr_dispatch_id 0
		.amdhsa_user_sgpr_kernarg_preload_length 0
		.amdhsa_user_sgpr_kernarg_preload_offset 0
		.amdhsa_user_sgpr_private_segment_size 0
		.amdhsa_wavefront_size32 1
		.amdhsa_uses_dynamic_stack 0
		.amdhsa_enable_private_segment 1
		.amdhsa_system_sgpr_workgroup_id_x 1
		.amdhsa_system_sgpr_workgroup_id_y 0
		.amdhsa_system_sgpr_workgroup_id_z 0
		.amdhsa_system_sgpr_workgroup_info 0
		.amdhsa_system_vgpr_workitem_id 2
		.amdhsa_next_free_vgpr 80
		.amdhsa_next_free_sgpr 25
		.amdhsa_named_barrier_count 0
		.amdhsa_reserve_vcc 1
		.amdhsa_float_round_mode_32 0
		.amdhsa_float_round_mode_16_64 0
		.amdhsa_float_denorm_mode_32 3
		.amdhsa_float_denorm_mode_16_64 3
		.amdhsa_fp16_overflow 0
		.amdhsa_memory_ordered 1
		.amdhsa_forward_progress 1
		.amdhsa_inst_pref_size 71
		.amdhsa_round_robin_scheduling 0
		.amdhsa_exception_fp_ieee_invalid_op 0
		.amdhsa_exception_fp_denorm_src 0
		.amdhsa_exception_fp_ieee_div_zero 0
		.amdhsa_exception_fp_ieee_overflow 0
		.amdhsa_exception_fp_ieee_underflow 0
		.amdhsa_exception_fp_ieee_inexact 0
		.amdhsa_exception_int_div_zero 0
	.end_amdhsa_kernel
	.section	.text._ZN9rocsolver6v33100L18getri_kernel_smallILi10E19rocblas_complex_numIdEPKPS3_EEvT1_iilPiilS8_bb,"axG",@progbits,_ZN9rocsolver6v33100L18getri_kernel_smallILi10E19rocblas_complex_numIdEPKPS3_EEvT1_iilPiilS8_bb,comdat
.Lfunc_end73:
	.size	_ZN9rocsolver6v33100L18getri_kernel_smallILi10E19rocblas_complex_numIdEPKPS3_EEvT1_iilPiilS8_bb, .Lfunc_end73-_ZN9rocsolver6v33100L18getri_kernel_smallILi10E19rocblas_complex_numIdEPKPS3_EEvT1_iilPiilS8_bb
                                        ; -- End function
	.set _ZN9rocsolver6v33100L18getri_kernel_smallILi10E19rocblas_complex_numIdEPKPS3_EEvT1_iilPiilS8_bb.num_vgpr, 80
	.set _ZN9rocsolver6v33100L18getri_kernel_smallILi10E19rocblas_complex_numIdEPKPS3_EEvT1_iilPiilS8_bb.num_agpr, 0
	.set _ZN9rocsolver6v33100L18getri_kernel_smallILi10E19rocblas_complex_numIdEPKPS3_EEvT1_iilPiilS8_bb.numbered_sgpr, 25
	.set _ZN9rocsolver6v33100L18getri_kernel_smallILi10E19rocblas_complex_numIdEPKPS3_EEvT1_iilPiilS8_bb.num_named_barrier, 0
	.set _ZN9rocsolver6v33100L18getri_kernel_smallILi10E19rocblas_complex_numIdEPKPS3_EEvT1_iilPiilS8_bb.private_seg_size, 176
	.set _ZN9rocsolver6v33100L18getri_kernel_smallILi10E19rocblas_complex_numIdEPKPS3_EEvT1_iilPiilS8_bb.uses_vcc, 1
	.set _ZN9rocsolver6v33100L18getri_kernel_smallILi10E19rocblas_complex_numIdEPKPS3_EEvT1_iilPiilS8_bb.uses_flat_scratch, 1
	.set _ZN9rocsolver6v33100L18getri_kernel_smallILi10E19rocblas_complex_numIdEPKPS3_EEvT1_iilPiilS8_bb.has_dyn_sized_stack, 0
	.set _ZN9rocsolver6v33100L18getri_kernel_smallILi10E19rocblas_complex_numIdEPKPS3_EEvT1_iilPiilS8_bb.has_recursion, 0
	.set _ZN9rocsolver6v33100L18getri_kernel_smallILi10E19rocblas_complex_numIdEPKPS3_EEvT1_iilPiilS8_bb.has_indirect_call, 0
	.section	.AMDGPU.csdata,"",@progbits
; Kernel info:
; codeLenInByte = 9040
; TotalNumSgprs: 27
; NumVgprs: 80
; ScratchSize: 176
; MemoryBound: 0
; FloatMode: 240
; IeeeMode: 1
; LDSByteSize: 1352 bytes/workgroup (compile time only)
; SGPRBlocks: 0
; VGPRBlocks: 4
; NumSGPRsForWavesPerEU: 27
; NumVGPRsForWavesPerEU: 80
; NamedBarCnt: 0
; Occupancy: 12
; WaveLimiterHint : 1
; COMPUTE_PGM_RSRC2:SCRATCH_EN: 1
; COMPUTE_PGM_RSRC2:USER_SGPR: 4
; COMPUTE_PGM_RSRC2:TRAP_HANDLER: 0
; COMPUTE_PGM_RSRC2:TGID_X_EN: 1
; COMPUTE_PGM_RSRC2:TGID_Y_EN: 0
; COMPUTE_PGM_RSRC2:TGID_Z_EN: 0
; COMPUTE_PGM_RSRC2:TIDIG_COMP_CNT: 2
	.section	.text._ZN9rocsolver6v33100L18getri_kernel_smallILi11E19rocblas_complex_numIdEPKPS3_EEvT1_iilPiilS8_bb,"axG",@progbits,_ZN9rocsolver6v33100L18getri_kernel_smallILi11E19rocblas_complex_numIdEPKPS3_EEvT1_iilPiilS8_bb,comdat
	.globl	_ZN9rocsolver6v33100L18getri_kernel_smallILi11E19rocblas_complex_numIdEPKPS3_EEvT1_iilPiilS8_bb ; -- Begin function _ZN9rocsolver6v33100L18getri_kernel_smallILi11E19rocblas_complex_numIdEPKPS3_EEvT1_iilPiilS8_bb
	.p2align	8
	.type	_ZN9rocsolver6v33100L18getri_kernel_smallILi11E19rocblas_complex_numIdEPKPS3_EEvT1_iilPiilS8_bb,@function
_ZN9rocsolver6v33100L18getri_kernel_smallILi11E19rocblas_complex_numIdEPKPS3_EEvT1_iilPiilS8_bb: ; @_ZN9rocsolver6v33100L18getri_kernel_smallILi11E19rocblas_complex_numIdEPKPS3_EEvT1_iilPiilS8_bb
; %bb.0:
	v_and_b32_e32 v1, 0x3ff, v0
	s_mov_b32 s4, exec_lo
	s_delay_alu instid0(VALU_DEP_1)
	v_cmpx_gt_u32_e32 11, v1
	s_cbranch_execz .LBB74_58
; %bb.1:
	s_clause 0x1
	s_load_b32 s14, s[2:3], 0x38
	s_load_b64 s[8:9], s[2:3], 0x0
	s_getreg_b32 s6, hwreg(HW_REG_IB_STS2, 6, 4)
	s_wait_kmcnt 0x0
	s_bitcmp1_b32 s14, 8
	s_cselect_b32 s22, -1, 0
	s_bfe_u32 s4, ttmp6, 0x4000c
	s_and_b32 s5, ttmp6, 15
	s_add_co_i32 s4, s4, 1
	s_delay_alu instid0(SALU_CYCLE_1) | instskip(NEXT) | instid1(SALU_CYCLE_1)
	s_mul_i32 s4, ttmp9, s4
	s_add_co_i32 s5, s5, s4
	s_cmp_eq_u32 s6, 0
	s_cselect_b32 s10, ttmp9, s5
	s_load_b128 s[4:7], s[2:3], 0x28
	s_ashr_i32 s11, s10, 31
	s_delay_alu instid0(SALU_CYCLE_1) | instskip(NEXT) | instid1(SALU_CYCLE_1)
	s_lshl_b64 s[12:13], s[10:11], 3
	s_add_nc_u64 s[8:9], s[8:9], s[12:13]
	s_load_b64 s[12:13], s[8:9], 0x0
	s_wait_xcnt 0x0
	s_bfe_u32 s8, s14, 0x10008
	s_delay_alu instid0(SALU_CYCLE_1)
	s_cmp_eq_u32 s8, 0
                                        ; implicit-def: $sgpr8_sgpr9
	s_cbranch_scc1 .LBB74_3
; %bb.2:
	s_load_b96 s[16:18], s[2:3], 0x18
	s_wait_kmcnt 0x0
	s_mul_u64 s[4:5], s[4:5], s[10:11]
	s_delay_alu instid0(SALU_CYCLE_1) | instskip(SKIP_4) | instid1(SALU_CYCLE_1)
	s_lshl_b64 s[4:5], s[4:5], 2
	s_ashr_i32 s9, s18, 31
	s_mov_b32 s8, s18
	s_add_nc_u64 s[4:5], s[16:17], s[4:5]
	s_lshl_b64 s[8:9], s[8:9], 2
	s_add_nc_u64 s[8:9], s[4:5], s[8:9]
.LBB74_3:
	s_clause 0x1
	s_load_b64 s[14:15], s[2:3], 0x8
	s_load_b32 s23, s[2:3], 0x38
	v_dual_mov_b32 v37, 0 :: v_dual_lshlrev_b32 v36, 4, v1
	s_mov_b32 s21, 16
	s_mov_b32 s20, 32
	;; [unrolled: 1-line block ×3, first 2 shown]
	s_movk_i32 s17, 0x50
	s_movk_i32 s18, 0x70
	;; [unrolled: 1-line block ×3, first 2 shown]
	s_wait_kmcnt 0x0
	s_ashr_i32 s3, s14, 31
	s_mov_b32 s2, s14
	v_add3_u32 v18, s15, s15, v1
	s_lshl_b64 s[2:3], s[2:3], 4
	s_movk_i32 s14, 0x80
	s_add_nc_u64 s[4:5], s[12:13], s[2:3]
	s_ashr_i32 s3, s15, 31
	flat_load_b128 v[2:5], v1, s[4:5] scale_offset
	v_add_nc_u64_e32 v[14:15], s[4:5], v[36:37]
	s_mov_b32 s2, s15
	v_add_nc_u32_e32 v20, s15, v18
	s_mov_b32 s12, 64
	s_movk_i32 s13, 0x60
	s_bitcmp0_b32 s23, 0
	s_delay_alu instid0(VALU_DEP_2) | instskip(SKIP_2) | instid1(VALU_DEP_1)
	v_lshl_add_u64 v[16:17], s[2:3], 4, v[14:15]
	v_add_nc_u32_e32 v22, s15, v20
	s_mov_b32 s3, -1
	v_add_nc_u32_e32 v24, s15, v22
	s_delay_alu instid0(VALU_DEP_1) | instskip(NEXT) | instid1(VALU_DEP_1)
	v_add_nc_u32_e32 v26, s15, v24
	v_add_nc_u32_e32 v28, s15, v26
	s_delay_alu instid0(VALU_DEP_1) | instskip(NEXT) | instid1(VALU_DEP_1)
	v_add_nc_u32_e32 v30, s15, v28
	v_add_nc_u32_e32 v32, s15, v30
	s_delay_alu instid0(VALU_DEP_1)
	v_add_nc_u32_e32 v34, s15, v32
	s_movk_i32 s15, 0xa0
	s_wait_loadcnt_dscnt 0x0
	scratch_store_b128 off, v[2:5], off
	flat_load_b128 v[2:5], v[16:17]
	s_wait_loadcnt_dscnt 0x0
	scratch_store_b128 off, v[2:5], off offset:16
	flat_load_b128 v[2:5], v18, s[4:5] scale_offset
	s_wait_loadcnt_dscnt 0x0
	scratch_store_b128 off, v[2:5], off offset:32
	flat_load_b128 v[2:5], v20, s[4:5] scale_offset
	s_wait_loadcnt_dscnt 0x0
	scratch_store_b128 off, v[2:5], off offset:48
	flat_load_b128 v[2:5], v22, s[4:5] scale_offset
	s_wait_loadcnt_dscnt 0x0
	scratch_store_b128 off, v[2:5], off offset:64
	flat_load_b128 v[2:5], v24, s[4:5] scale_offset
	s_wait_loadcnt_dscnt 0x0
	scratch_store_b128 off, v[2:5], off offset:80
	flat_load_b128 v[2:5], v26, s[4:5] scale_offset
	s_wait_loadcnt_dscnt 0x0
	scratch_store_b128 off, v[2:5], off offset:96
	flat_load_b128 v[2:5], v28, s[4:5] scale_offset
	s_wait_loadcnt_dscnt 0x0
	scratch_store_b128 off, v[2:5], off offset:112
	flat_load_b128 v[2:5], v30, s[4:5] scale_offset
	s_wait_loadcnt_dscnt 0x0
	scratch_store_b128 off, v[2:5], off offset:128
	flat_load_b128 v[2:5], v32, s[4:5] scale_offset
	s_wait_loadcnt_dscnt 0x0
	scratch_store_b128 off, v[2:5], off offset:144
	flat_load_b128 v[2:5], v34, s[4:5] scale_offset
	s_wait_loadcnt_dscnt 0x0
	scratch_store_b128 off, v[2:5], off offset:160
	s_cbranch_scc1 .LBB74_56
; %bb.4:
	v_cmp_eq_u32_e64 s2, 0, v1
	s_wait_xcnt 0x0
	s_and_saveexec_b32 s3, s2
; %bb.5:
	v_mov_b32_e32 v2, 0
	ds_store_b32 v2, v2 offset:352
; %bb.6:
	s_or_b32 exec_lo, exec_lo, s3
	s_wait_storecnt_dscnt 0x0
	s_barrier_signal -1
	s_barrier_wait -1
	scratch_load_b128 v[2:5], v1, off scale_offset
	s_wait_loadcnt 0x0
	v_cmp_eq_f64_e32 vcc_lo, 0, v[2:3]
	v_cmp_eq_f64_e64 s3, 0, v[4:5]
	s_and_b32 s3, vcc_lo, s3
	s_delay_alu instid0(SALU_CYCLE_1)
	s_and_saveexec_b32 s23, s3
	s_cbranch_execz .LBB74_10
; %bb.7:
	v_mov_b32_e32 v2, 0
	s_mov_b32 s24, 0
	ds_load_b32 v3, v2 offset:352
	s_wait_dscnt 0x0
	v_readfirstlane_b32 s3, v3
	v_add_nc_u32_e32 v3, 1, v1
	s_cmp_eq_u32 s3, 0
	s_delay_alu instid0(VALU_DEP_1) | instskip(SKIP_1) | instid1(SALU_CYCLE_1)
	v_cmp_gt_i32_e32 vcc_lo, s3, v3
	s_cselect_b32 s25, -1, 0
	s_or_b32 s25, s25, vcc_lo
	s_delay_alu instid0(SALU_CYCLE_1)
	s_and_b32 exec_lo, exec_lo, s25
	s_cbranch_execz .LBB74_10
; %bb.8:
	v_mov_b32_e32 v4, s3
.LBB74_9:                               ; =>This Inner Loop Header: Depth=1
	ds_cmpstore_rtn_b32 v4, v2, v3, v4 offset:352
	s_wait_dscnt 0x0
	v_cmp_ne_u32_e32 vcc_lo, 0, v4
	v_cmp_le_i32_e64 s3, v4, v3
	s_and_b32 s3, vcc_lo, s3
	s_delay_alu instid0(SALU_CYCLE_1) | instskip(NEXT) | instid1(SALU_CYCLE_1)
	s_and_b32 s3, exec_lo, s3
	s_or_b32 s24, s3, s24
	s_delay_alu instid0(SALU_CYCLE_1)
	s_and_not1_b32 exec_lo, exec_lo, s24
	s_cbranch_execnz .LBB74_9
.LBB74_10:
	s_or_b32 exec_lo, exec_lo, s23
	v_mov_b32_e32 v2, 0
	s_barrier_signal -1
	s_barrier_wait -1
	ds_load_b32 v3, v2 offset:352
	s_and_saveexec_b32 s3, s2
	s_cbranch_execz .LBB74_12
; %bb.11:
	s_lshl_b64 s[24:25], s[10:11], 2
	s_delay_alu instid0(SALU_CYCLE_1)
	s_add_nc_u64 s[24:25], s[6:7], s[24:25]
	s_wait_dscnt 0x0
	global_store_b32 v2, v3, s[24:25]
.LBB74_12:
	s_wait_xcnt 0x0
	s_or_b32 exec_lo, exec_lo, s3
	s_wait_dscnt 0x0
	v_cmp_ne_u32_e32 vcc_lo, 0, v3
	s_mov_b32 s3, 0
	s_cbranch_vccnz .LBB74_56
; %bb.13:
	v_lshl_add_u32 v19, v1, 4, 0
                                        ; implicit-def: $vgpr6_vgpr7
                                        ; implicit-def: $vgpr10_vgpr11
	scratch_load_b128 v[2:5], v19, off
	s_wait_loadcnt 0x0
	v_cmp_ngt_f64_e64 s3, |v[2:3]|, |v[4:5]|
	s_wait_xcnt 0x0
	s_and_saveexec_b32 s23, s3
	s_delay_alu instid0(SALU_CYCLE_1)
	s_xor_b32 s3, exec_lo, s23
	s_cbranch_execz .LBB74_15
; %bb.14:
	v_div_scale_f64 v[6:7], null, v[4:5], v[4:5], v[2:3]
	v_div_scale_f64 v[12:13], vcc_lo, v[2:3], v[4:5], v[2:3]
	s_delay_alu instid0(VALU_DEP_2) | instskip(SKIP_1) | instid1(TRANS32_DEP_1)
	v_rcp_f64_e32 v[8:9], v[6:7]
	v_nop
	v_fma_f64 v[10:11], -v[6:7], v[8:9], 1.0
	s_delay_alu instid0(VALU_DEP_1) | instskip(NEXT) | instid1(VALU_DEP_1)
	v_fmac_f64_e32 v[8:9], v[8:9], v[10:11]
	v_fma_f64 v[10:11], -v[6:7], v[8:9], 1.0
	s_delay_alu instid0(VALU_DEP_1) | instskip(NEXT) | instid1(VALU_DEP_1)
	v_fmac_f64_e32 v[8:9], v[8:9], v[10:11]
	v_mul_f64_e32 v[10:11], v[12:13], v[8:9]
	s_delay_alu instid0(VALU_DEP_1) | instskip(NEXT) | instid1(VALU_DEP_1)
	v_fma_f64 v[6:7], -v[6:7], v[10:11], v[12:13]
	v_div_fmas_f64 v[6:7], v[6:7], v[8:9], v[10:11]
	s_delay_alu instid0(VALU_DEP_1) | instskip(NEXT) | instid1(VALU_DEP_1)
	v_div_fixup_f64 v[6:7], v[6:7], v[4:5], v[2:3]
	v_fmac_f64_e32 v[4:5], v[2:3], v[6:7]
	s_delay_alu instid0(VALU_DEP_1) | instskip(SKIP_1) | instid1(VALU_DEP_2)
	v_div_scale_f64 v[2:3], null, v[4:5], v[4:5], 1.0
	v_div_scale_f64 v[12:13], vcc_lo, 1.0, v[4:5], 1.0
	v_rcp_f64_e32 v[8:9], v[2:3]
	v_nop
	s_delay_alu instid0(TRANS32_DEP_1) | instskip(NEXT) | instid1(VALU_DEP_1)
	v_fma_f64 v[10:11], -v[2:3], v[8:9], 1.0
	v_fmac_f64_e32 v[8:9], v[8:9], v[10:11]
	s_delay_alu instid0(VALU_DEP_1) | instskip(NEXT) | instid1(VALU_DEP_1)
	v_fma_f64 v[10:11], -v[2:3], v[8:9], 1.0
	v_fmac_f64_e32 v[8:9], v[8:9], v[10:11]
	s_delay_alu instid0(VALU_DEP_1) | instskip(NEXT) | instid1(VALU_DEP_1)
	v_mul_f64_e32 v[10:11], v[12:13], v[8:9]
	v_fma_f64 v[2:3], -v[2:3], v[10:11], v[12:13]
	s_delay_alu instid0(VALU_DEP_1) | instskip(NEXT) | instid1(VALU_DEP_1)
	v_div_fmas_f64 v[2:3], v[2:3], v[8:9], v[10:11]
	v_div_fixup_f64 v[8:9], v[2:3], v[4:5], 1.0
                                        ; implicit-def: $vgpr2_vgpr3
	s_delay_alu instid0(VALU_DEP_1) | instskip(SKIP_1) | instid1(VALU_DEP_2)
	v_mul_f64_e32 v[6:7], v[6:7], v[8:9]
	v_xor_b32_e32 v9, 0x80000000, v9
	v_xor_b32_e32 v11, 0x80000000, v7
	s_delay_alu instid0(VALU_DEP_3)
	v_mov_b32_e32 v10, v6
.LBB74_15:
	s_and_not1_saveexec_b32 s3, s3
	s_cbranch_execz .LBB74_17
; %bb.16:
	v_div_scale_f64 v[6:7], null, v[2:3], v[2:3], v[4:5]
	v_div_scale_f64 v[12:13], vcc_lo, v[4:5], v[2:3], v[4:5]
	s_delay_alu instid0(VALU_DEP_2) | instskip(SKIP_1) | instid1(TRANS32_DEP_1)
	v_rcp_f64_e32 v[8:9], v[6:7]
	v_nop
	v_fma_f64 v[10:11], -v[6:7], v[8:9], 1.0
	s_delay_alu instid0(VALU_DEP_1) | instskip(NEXT) | instid1(VALU_DEP_1)
	v_fmac_f64_e32 v[8:9], v[8:9], v[10:11]
	v_fma_f64 v[10:11], -v[6:7], v[8:9], 1.0
	s_delay_alu instid0(VALU_DEP_1) | instskip(NEXT) | instid1(VALU_DEP_1)
	v_fmac_f64_e32 v[8:9], v[8:9], v[10:11]
	v_mul_f64_e32 v[10:11], v[12:13], v[8:9]
	s_delay_alu instid0(VALU_DEP_1) | instskip(NEXT) | instid1(VALU_DEP_1)
	v_fma_f64 v[6:7], -v[6:7], v[10:11], v[12:13]
	v_div_fmas_f64 v[6:7], v[6:7], v[8:9], v[10:11]
	s_delay_alu instid0(VALU_DEP_1) | instskip(NEXT) | instid1(VALU_DEP_1)
	v_div_fixup_f64 v[8:9], v[6:7], v[2:3], v[4:5]
	v_fmac_f64_e32 v[2:3], v[4:5], v[8:9]
	s_delay_alu instid0(VALU_DEP_1) | instskip(NEXT) | instid1(VALU_DEP_1)
	v_div_scale_f64 v[4:5], null, v[2:3], v[2:3], 1.0
	v_rcp_f64_e32 v[6:7], v[4:5]
	v_nop
	s_delay_alu instid0(TRANS32_DEP_1) | instskip(NEXT) | instid1(VALU_DEP_1)
	v_fma_f64 v[10:11], -v[4:5], v[6:7], 1.0
	v_fmac_f64_e32 v[6:7], v[6:7], v[10:11]
	s_delay_alu instid0(VALU_DEP_1) | instskip(NEXT) | instid1(VALU_DEP_1)
	v_fma_f64 v[10:11], -v[4:5], v[6:7], 1.0
	v_fmac_f64_e32 v[6:7], v[6:7], v[10:11]
	v_div_scale_f64 v[10:11], vcc_lo, 1.0, v[2:3], 1.0
	s_delay_alu instid0(VALU_DEP_1) | instskip(NEXT) | instid1(VALU_DEP_1)
	v_mul_f64_e32 v[12:13], v[10:11], v[6:7]
	v_fma_f64 v[4:5], -v[4:5], v[12:13], v[10:11]
	s_delay_alu instid0(VALU_DEP_1) | instskip(NEXT) | instid1(VALU_DEP_1)
	v_div_fmas_f64 v[4:5], v[4:5], v[6:7], v[12:13]
	v_div_fixup_f64 v[6:7], v[4:5], v[2:3], 1.0
	s_delay_alu instid0(VALU_DEP_1)
	v_mul_f64_e64 v[8:9], v[8:9], -v[6:7]
	v_xor_b32_e32 v11, 0x80000000, v7
	v_mov_b32_e32 v10, v6
.LBB74_17:
	s_or_b32 exec_lo, exec_lo, s3
	s_clause 0x1
	scratch_store_b128 v19, v[6:9], off
	scratch_load_b128 v[2:5], off, s21
	v_xor_b32_e32 v13, 0x80000000, v9
	v_mov_b32_e32 v12, v8
	s_wait_xcnt 0x1
	v_add_nc_u32_e32 v6, 0xb0, v36
	ds_store_b128 v36, v[10:13]
	s_wait_loadcnt 0x0
	ds_store_b128 v36, v[2:5] offset:176
	s_wait_storecnt_dscnt 0x0
	s_barrier_signal -1
	s_barrier_wait -1
	s_wait_xcnt 0x0
	s_and_saveexec_b32 s3, s2
	s_cbranch_execz .LBB74_19
; %bb.18:
	scratch_load_b128 v[2:5], v19, off
	ds_load_b128 v[8:11], v6
	v_mov_b32_e32 v7, 0
	ds_load_b128 v[38:41], v7 offset:16
	s_wait_loadcnt_dscnt 0x1
	v_mul_f64_e32 v[12:13], v[8:9], v[4:5]
	v_mul_f64_e32 v[4:5], v[10:11], v[4:5]
	s_delay_alu instid0(VALU_DEP_2) | instskip(NEXT) | instid1(VALU_DEP_2)
	v_fmac_f64_e32 v[12:13], v[10:11], v[2:3]
	v_fma_f64 v[2:3], v[8:9], v[2:3], -v[4:5]
	s_delay_alu instid0(VALU_DEP_2) | instskip(NEXT) | instid1(VALU_DEP_2)
	v_add_f64_e32 v[8:9], 0, v[12:13]
	v_add_f64_e32 v[2:3], 0, v[2:3]
	s_wait_dscnt 0x0
	s_delay_alu instid0(VALU_DEP_2) | instskip(NEXT) | instid1(VALU_DEP_2)
	v_mul_f64_e32 v[10:11], v[8:9], v[40:41]
	v_mul_f64_e32 v[4:5], v[2:3], v[40:41]
	s_delay_alu instid0(VALU_DEP_2) | instskip(NEXT) | instid1(VALU_DEP_2)
	v_fma_f64 v[2:3], v[2:3], v[38:39], -v[10:11]
	v_fmac_f64_e32 v[4:5], v[8:9], v[38:39]
	scratch_store_b128 off, v[2:5], off offset:16
.LBB74_19:
	s_wait_xcnt 0x0
	s_or_b32 exec_lo, exec_lo, s3
	s_wait_storecnt 0x0
	s_barrier_signal -1
	s_barrier_wait -1
	scratch_load_b128 v[2:5], off, s20
	s_mov_b32 s3, exec_lo
	s_wait_loadcnt 0x0
	ds_store_b128 v6, v[2:5]
	s_wait_dscnt 0x0
	s_barrier_signal -1
	s_barrier_wait -1
	v_cmpx_gt_u32_e32 2, v1
	s_cbranch_execz .LBB74_23
; %bb.20:
	scratch_load_b128 v[2:5], v19, off
	ds_load_b128 v[8:11], v6
	s_wait_loadcnt_dscnt 0x0
	v_mul_f64_e32 v[12:13], v[10:11], v[4:5]
	v_mul_f64_e32 v[38:39], v[8:9], v[4:5]
	s_delay_alu instid0(VALU_DEP_2) | instskip(NEXT) | instid1(VALU_DEP_2)
	v_fma_f64 v[4:5], v[8:9], v[2:3], -v[12:13]
	v_fmac_f64_e32 v[38:39], v[10:11], v[2:3]
	s_delay_alu instid0(VALU_DEP_2) | instskip(NEXT) | instid1(VALU_DEP_2)
	v_add_f64_e32 v[4:5], 0, v[4:5]
	v_add_f64_e32 v[2:3], 0, v[38:39]
	s_and_saveexec_b32 s23, s2
	s_cbranch_execz .LBB74_22
; %bb.21:
	scratch_load_b128 v[8:11], off, off offset:16
	v_mov_b32_e32 v7, 0
	ds_load_b128 v[38:41], v7 offset:192
	s_wait_loadcnt_dscnt 0x0
	v_mul_f64_e32 v[12:13], v[38:39], v[10:11]
	v_mul_f64_e32 v[10:11], v[40:41], v[10:11]
	s_delay_alu instid0(VALU_DEP_2) | instskip(NEXT) | instid1(VALU_DEP_2)
	v_fmac_f64_e32 v[12:13], v[40:41], v[8:9]
	v_fma_f64 v[8:9], v[38:39], v[8:9], -v[10:11]
	s_delay_alu instid0(VALU_DEP_2) | instskip(NEXT) | instid1(VALU_DEP_2)
	v_add_f64_e32 v[2:3], v[2:3], v[12:13]
	v_add_f64_e32 v[4:5], v[4:5], v[8:9]
.LBB74_22:
	s_or_b32 exec_lo, exec_lo, s23
	v_mov_b32_e32 v7, 0
	ds_load_b128 v[8:11], v7 offset:32
	s_wait_dscnt 0x0
	v_mul_f64_e32 v[38:39], v[2:3], v[10:11]
	v_mul_f64_e32 v[12:13], v[4:5], v[10:11]
	s_delay_alu instid0(VALU_DEP_2) | instskip(NEXT) | instid1(VALU_DEP_2)
	v_fma_f64 v[10:11], v[4:5], v[8:9], -v[38:39]
	v_fmac_f64_e32 v[12:13], v[2:3], v[8:9]
	scratch_store_b128 off, v[10:13], off offset:32
.LBB74_23:
	s_wait_xcnt 0x0
	s_or_b32 exec_lo, exec_lo, s3
	s_wait_storecnt 0x0
	s_barrier_signal -1
	s_barrier_wait -1
	scratch_load_b128 v[2:5], off, s16
	v_add_nc_u32_e32 v7, -1, v1
	s_mov_b32 s2, exec_lo
	s_wait_loadcnt 0x0
	ds_store_b128 v6, v[2:5]
	s_wait_dscnt 0x0
	s_barrier_signal -1
	s_barrier_wait -1
	v_cmpx_gt_u32_e32 3, v1
	s_cbranch_execz .LBB74_27
; %bb.24:
	v_dual_mov_b32 v10, v36 :: v_dual_add_nc_u32 v8, -1, v1
	v_mov_b64_e32 v[2:3], 0
	v_mov_b64_e32 v[4:5], 0
	v_add_nc_u32_e32 v9, 0xb0, v36
	s_delay_alu instid0(VALU_DEP_4)
	v_or_b32_e32 v10, 8, v10
	s_mov_b32 s3, 0
.LBB74_25:                              ; =>This Inner Loop Header: Depth=1
	scratch_load_b128 v[38:41], v10, off offset:-8
	ds_load_b128 v[42:45], v9
	s_wait_xcnt 0x0
	v_dual_add_nc_u32 v9, 16, v9 :: v_dual_add_nc_u32 v10, 16, v10
	v_add_nc_u32_e32 v8, 1, v8
	s_delay_alu instid0(VALU_DEP_1) | instskip(SKIP_4) | instid1(VALU_DEP_2)
	v_cmp_lt_u32_e32 vcc_lo, 1, v8
	s_or_b32 s3, vcc_lo, s3
	s_wait_loadcnt_dscnt 0x0
	v_mul_f64_e32 v[12:13], v[44:45], v[40:41]
	v_mul_f64_e32 v[40:41], v[42:43], v[40:41]
	v_fma_f64 v[12:13], v[42:43], v[38:39], -v[12:13]
	s_delay_alu instid0(VALU_DEP_2) | instskip(NEXT) | instid1(VALU_DEP_2)
	v_fmac_f64_e32 v[40:41], v[44:45], v[38:39]
	v_add_f64_e32 v[4:5], v[4:5], v[12:13]
	s_delay_alu instid0(VALU_DEP_2)
	v_add_f64_e32 v[2:3], v[2:3], v[40:41]
	s_and_not1_b32 exec_lo, exec_lo, s3
	s_cbranch_execnz .LBB74_25
; %bb.26:
	s_or_b32 exec_lo, exec_lo, s3
	v_mov_b32_e32 v8, 0
	ds_load_b128 v[8:11], v8 offset:48
	s_wait_dscnt 0x0
	v_mul_f64_e32 v[38:39], v[2:3], v[10:11]
	v_mul_f64_e32 v[12:13], v[4:5], v[10:11]
	s_delay_alu instid0(VALU_DEP_2) | instskip(NEXT) | instid1(VALU_DEP_2)
	v_fma_f64 v[10:11], v[4:5], v[8:9], -v[38:39]
	v_fmac_f64_e32 v[12:13], v[2:3], v[8:9]
	scratch_store_b128 off, v[10:13], off offset:48
.LBB74_27:
	s_wait_xcnt 0x0
	s_or_b32 exec_lo, exec_lo, s2
	s_wait_storecnt 0x0
	s_barrier_signal -1
	s_barrier_wait -1
	scratch_load_b128 v[2:5], off, s12
	s_mov_b32 s2, exec_lo
	s_wait_loadcnt 0x0
	ds_store_b128 v6, v[2:5]
	s_wait_dscnt 0x0
	s_barrier_signal -1
	s_barrier_wait -1
	v_cmpx_gt_u32_e32 4, v1
	s_cbranch_execz .LBB74_31
; %bb.28:
	v_dual_mov_b32 v10, v36 :: v_dual_add_nc_u32 v8, -1, v1
	v_mov_b64_e32 v[2:3], 0
	v_mov_b64_e32 v[4:5], 0
	v_add_nc_u32_e32 v9, 0xb0, v36
	s_delay_alu instid0(VALU_DEP_4)
	v_or_b32_e32 v10, 8, v10
	s_mov_b32 s3, 0
.LBB74_29:                              ; =>This Inner Loop Header: Depth=1
	scratch_load_b128 v[38:41], v10, off offset:-8
	ds_load_b128 v[42:45], v9
	s_wait_xcnt 0x0
	v_dual_add_nc_u32 v9, 16, v9 :: v_dual_add_nc_u32 v10, 16, v10
	v_add_nc_u32_e32 v8, 1, v8
	s_delay_alu instid0(VALU_DEP_1) | instskip(SKIP_4) | instid1(VALU_DEP_2)
	v_cmp_lt_u32_e32 vcc_lo, 2, v8
	s_or_b32 s3, vcc_lo, s3
	s_wait_loadcnt_dscnt 0x0
	v_mul_f64_e32 v[12:13], v[44:45], v[40:41]
	v_mul_f64_e32 v[40:41], v[42:43], v[40:41]
	v_fma_f64 v[12:13], v[42:43], v[38:39], -v[12:13]
	s_delay_alu instid0(VALU_DEP_2) | instskip(NEXT) | instid1(VALU_DEP_2)
	v_fmac_f64_e32 v[40:41], v[44:45], v[38:39]
	v_add_f64_e32 v[4:5], v[4:5], v[12:13]
	s_delay_alu instid0(VALU_DEP_2)
	v_add_f64_e32 v[2:3], v[2:3], v[40:41]
	s_and_not1_b32 exec_lo, exec_lo, s3
	s_cbranch_execnz .LBB74_29
; %bb.30:
	s_or_b32 exec_lo, exec_lo, s3
	v_mov_b32_e32 v8, 0
	ds_load_b128 v[8:11], v8 offset:64
	s_wait_dscnt 0x0
	v_mul_f64_e32 v[38:39], v[2:3], v[10:11]
	v_mul_f64_e32 v[12:13], v[4:5], v[10:11]
	s_delay_alu instid0(VALU_DEP_2) | instskip(NEXT) | instid1(VALU_DEP_2)
	v_fma_f64 v[10:11], v[4:5], v[8:9], -v[38:39]
	v_fmac_f64_e32 v[12:13], v[2:3], v[8:9]
	scratch_store_b128 off, v[10:13], off offset:64
.LBB74_31:
	s_wait_xcnt 0x0
	s_or_b32 exec_lo, exec_lo, s2
	s_wait_storecnt 0x0
	s_barrier_signal -1
	s_barrier_wait -1
	scratch_load_b128 v[2:5], off, s17
	;; [unrolled: 54-line block ×7, first 2 shown]
	s_mov_b32 s2, exec_lo
	s_wait_loadcnt 0x0
	ds_store_b128 v6, v[2:5]
	s_wait_dscnt 0x0
	s_barrier_signal -1
	s_barrier_wait -1
	v_cmpx_ne_u32_e32 10, v1
	s_cbranch_execz .LBB74_55
; %bb.52:
	v_mov_b32_e32 v8, v36
	v_mov_b64_e32 v[2:3], 0
	v_mov_b64_e32 v[4:5], 0
	s_mov_b32 s3, 0
	s_delay_alu instid0(VALU_DEP_3)
	v_or_b32_e32 v8, 8, v8
.LBB74_53:                              ; =>This Inner Loop Header: Depth=1
	scratch_load_b128 v[10:13], v8, off offset:-8
	ds_load_b128 v[36:39], v6
	v_dual_add_nc_u32 v7, 1, v7 :: v_dual_add_nc_u32 v6, 16, v6
	s_wait_xcnt 0x0
	v_add_nc_u32_e32 v8, 16, v8
	s_delay_alu instid0(VALU_DEP_2) | instskip(SKIP_4) | instid1(VALU_DEP_2)
	v_cmp_lt_u32_e32 vcc_lo, 8, v7
	s_or_b32 s3, vcc_lo, s3
	s_wait_loadcnt_dscnt 0x0
	v_mul_f64_e32 v[40:41], v[38:39], v[12:13]
	v_mul_f64_e32 v[12:13], v[36:37], v[12:13]
	v_fma_f64 v[36:37], v[36:37], v[10:11], -v[40:41]
	s_delay_alu instid0(VALU_DEP_2) | instskip(NEXT) | instid1(VALU_DEP_2)
	v_fmac_f64_e32 v[12:13], v[38:39], v[10:11]
	v_add_f64_e32 v[4:5], v[4:5], v[36:37]
	s_delay_alu instid0(VALU_DEP_2)
	v_add_f64_e32 v[2:3], v[2:3], v[12:13]
	s_and_not1_b32 exec_lo, exec_lo, s3
	s_cbranch_execnz .LBB74_53
; %bb.54:
	s_or_b32 exec_lo, exec_lo, s3
	v_mov_b32_e32 v6, 0
	ds_load_b128 v[6:9], v6 offset:160
	s_wait_dscnt 0x0
	v_mul_f64_e32 v[12:13], v[2:3], v[8:9]
	v_mul_f64_e32 v[10:11], v[4:5], v[8:9]
	s_delay_alu instid0(VALU_DEP_2) | instskip(NEXT) | instid1(VALU_DEP_2)
	v_fma_f64 v[8:9], v[4:5], v[6:7], -v[12:13]
	v_fmac_f64_e32 v[10:11], v[2:3], v[6:7]
	scratch_store_b128 off, v[8:11], off offset:160
.LBB74_55:
	s_wait_xcnt 0x0
	s_or_b32 exec_lo, exec_lo, s2
	s_mov_b32 s3, -1
	s_wait_storecnt 0x0
	s_barrier_signal -1
	s_barrier_wait -1
.LBB74_56:
	s_and_b32 vcc_lo, exec_lo, s3
	s_cbranch_vccz .LBB74_58
; %bb.57:
	s_wait_xcnt 0x0
	v_mov_b32_e32 v2, 0
	s_lshl_b64 s[2:3], s[10:11], 2
	s_delay_alu instid0(SALU_CYCLE_1)
	s_add_nc_u64 s[2:3], s[6:7], s[2:3]
	global_load_b32 v2, v2, s[2:3]
	s_wait_loadcnt 0x0
	v_cmp_ne_u32_e32 vcc_lo, 0, v2
	s_cbranch_vccz .LBB74_59
.LBB74_58:
	s_sendmsg sendmsg(MSG_DEALLOC_VGPRS)
	s_endpgm
.LBB74_59:
	v_lshl_add_u32 v6, v1, 4, 0xb0
	s_wait_xcnt 0x0
	s_mov_b32 s2, exec_lo
	v_cmpx_eq_u32_e32 10, v1
	s_cbranch_execz .LBB74_61
; %bb.60:
	scratch_load_b128 v[2:5], off, s19
	v_mov_b32_e32 v8, 0
	s_delay_alu instid0(VALU_DEP_1)
	v_dual_mov_b32 v9, v8 :: v_dual_mov_b32 v10, v8
	v_mov_b32_e32 v11, v8
	scratch_store_b128 off, v[8:11], off offset:144
	s_wait_loadcnt 0x0
	ds_store_b128 v6, v[2:5]
.LBB74_61:
	s_wait_xcnt 0x0
	s_or_b32 exec_lo, exec_lo, s2
	s_wait_storecnt_dscnt 0x0
	s_barrier_signal -1
	s_barrier_wait -1
	s_clause 0x1
	scratch_load_b128 v[8:11], off, off offset:160
	scratch_load_b128 v[36:39], off, off offset:144
	v_mov_b32_e32 v2, 0
	s_mov_b32 s2, exec_lo
	ds_load_b128 v[40:43], v2 offset:336
	s_wait_loadcnt_dscnt 0x100
	v_mul_f64_e32 v[4:5], v[42:43], v[10:11]
	v_mul_f64_e32 v[10:11], v[40:41], v[10:11]
	s_delay_alu instid0(VALU_DEP_2) | instskip(NEXT) | instid1(VALU_DEP_2)
	v_fma_f64 v[4:5], v[40:41], v[8:9], -v[4:5]
	v_fmac_f64_e32 v[10:11], v[42:43], v[8:9]
	s_delay_alu instid0(VALU_DEP_2) | instskip(NEXT) | instid1(VALU_DEP_2)
	v_add_f64_e32 v[4:5], 0, v[4:5]
	v_add_f64_e32 v[10:11], 0, v[10:11]
	s_wait_loadcnt 0x0
	s_delay_alu instid0(VALU_DEP_2) | instskip(NEXT) | instid1(VALU_DEP_2)
	v_add_f64_e64 v[8:9], v[36:37], -v[4:5]
	v_add_f64_e64 v[10:11], v[38:39], -v[10:11]
	scratch_store_b128 off, v[8:11], off offset:144
	s_wait_xcnt 0x0
	v_cmpx_lt_u32_e32 8, v1
	s_cbranch_execz .LBB74_63
; %bb.62:
	scratch_load_b128 v[8:11], off, s14
	v_dual_mov_b32 v3, v2 :: v_dual_mov_b32 v4, v2
	v_mov_b32_e32 v5, v2
	scratch_store_b128 off, v[2:5], off offset:128
	s_wait_loadcnt 0x0
	ds_store_b128 v6, v[8:11]
.LBB74_63:
	s_wait_xcnt 0x0
	s_or_b32 exec_lo, exec_lo, s2
	s_wait_storecnt_dscnt 0x0
	s_barrier_signal -1
	s_barrier_wait -1
	s_clause 0x2
	scratch_load_b128 v[8:11], off, off offset:144
	scratch_load_b128 v[36:39], off, off offset:160
	;; [unrolled: 1-line block ×3, first 2 shown]
	ds_load_b128 v[44:47], v2 offset:320
	ds_load_b128 v[2:5], v2 offset:336
	s_mov_b32 s2, exec_lo
	s_wait_loadcnt_dscnt 0x201
	v_mul_f64_e32 v[12:13], v[46:47], v[10:11]
	v_mul_f64_e32 v[10:11], v[44:45], v[10:11]
	s_wait_loadcnt_dscnt 0x100
	v_mul_f64_e32 v[48:49], v[2:3], v[38:39]
	v_mul_f64_e32 v[38:39], v[4:5], v[38:39]
	s_delay_alu instid0(VALU_DEP_4) | instskip(NEXT) | instid1(VALU_DEP_4)
	v_fma_f64 v[12:13], v[44:45], v[8:9], -v[12:13]
	v_fmac_f64_e32 v[10:11], v[46:47], v[8:9]
	s_delay_alu instid0(VALU_DEP_4) | instskip(NEXT) | instid1(VALU_DEP_4)
	v_fmac_f64_e32 v[48:49], v[4:5], v[36:37]
	v_fma_f64 v[2:3], v[2:3], v[36:37], -v[38:39]
	s_delay_alu instid0(VALU_DEP_4) | instskip(NEXT) | instid1(VALU_DEP_4)
	v_add_f64_e32 v[4:5], 0, v[12:13]
	v_add_f64_e32 v[8:9], 0, v[10:11]
	s_delay_alu instid0(VALU_DEP_2) | instskip(NEXT) | instid1(VALU_DEP_2)
	v_add_f64_e32 v[2:3], v[4:5], v[2:3]
	v_add_f64_e32 v[4:5], v[8:9], v[48:49]
	s_wait_loadcnt 0x0
	s_delay_alu instid0(VALU_DEP_2) | instskip(NEXT) | instid1(VALU_DEP_2)
	v_add_f64_e64 v[2:3], v[40:41], -v[2:3]
	v_add_f64_e64 v[4:5], v[42:43], -v[4:5]
	scratch_store_b128 off, v[2:5], off offset:128
	s_wait_xcnt 0x0
	v_cmpx_lt_u32_e32 7, v1
	s_cbranch_execz .LBB74_65
; %bb.64:
	scratch_load_b128 v[2:5], off, s18
	v_mov_b32_e32 v8, 0
	s_delay_alu instid0(VALU_DEP_1)
	v_dual_mov_b32 v9, v8 :: v_dual_mov_b32 v10, v8
	v_mov_b32_e32 v11, v8
	scratch_store_b128 off, v[8:11], off offset:112
	s_wait_loadcnt 0x0
	ds_store_b128 v6, v[2:5]
.LBB74_65:
	s_wait_xcnt 0x0
	s_or_b32 exec_lo, exec_lo, s2
	s_wait_storecnt_dscnt 0x0
	s_barrier_signal -1
	s_barrier_wait -1
	s_clause 0x3
	scratch_load_b128 v[8:11], off, off offset:128
	scratch_load_b128 v[36:39], off, off offset:144
	;; [unrolled: 1-line block ×4, first 2 shown]
	v_mov_b32_e32 v2, 0
	ds_load_b128 v[48:51], v2 offset:304
	ds_load_b128 v[52:55], v2 offset:320
	s_mov_b32 s2, exec_lo
	s_wait_loadcnt_dscnt 0x301
	v_mul_f64_e32 v[4:5], v[50:51], v[10:11]
	v_mul_f64_e32 v[12:13], v[48:49], v[10:11]
	s_wait_loadcnt_dscnt 0x200
	v_mul_f64_e32 v[56:57], v[52:53], v[38:39]
	v_mul_f64_e32 v[38:39], v[54:55], v[38:39]
	s_delay_alu instid0(VALU_DEP_4) | instskip(NEXT) | instid1(VALU_DEP_4)
	v_fma_f64 v[4:5], v[48:49], v[8:9], -v[4:5]
	v_fmac_f64_e32 v[12:13], v[50:51], v[8:9]
	ds_load_b128 v[8:11], v2 offset:336
	v_fmac_f64_e32 v[56:57], v[54:55], v[36:37]
	v_fma_f64 v[36:37], v[52:53], v[36:37], -v[38:39]
	s_wait_loadcnt_dscnt 0x100
	v_mul_f64_e32 v[48:49], v[8:9], v[42:43]
	v_mul_f64_e32 v[42:43], v[10:11], v[42:43]
	v_add_f64_e32 v[4:5], 0, v[4:5]
	v_add_f64_e32 v[12:13], 0, v[12:13]
	s_delay_alu instid0(VALU_DEP_4) | instskip(NEXT) | instid1(VALU_DEP_4)
	v_fmac_f64_e32 v[48:49], v[10:11], v[40:41]
	v_fma_f64 v[8:9], v[8:9], v[40:41], -v[42:43]
	s_delay_alu instid0(VALU_DEP_4) | instskip(NEXT) | instid1(VALU_DEP_4)
	v_add_f64_e32 v[4:5], v[4:5], v[36:37]
	v_add_f64_e32 v[10:11], v[12:13], v[56:57]
	s_delay_alu instid0(VALU_DEP_2) | instskip(NEXT) | instid1(VALU_DEP_2)
	v_add_f64_e32 v[4:5], v[4:5], v[8:9]
	v_add_f64_e32 v[10:11], v[10:11], v[48:49]
	s_wait_loadcnt 0x0
	s_delay_alu instid0(VALU_DEP_2) | instskip(NEXT) | instid1(VALU_DEP_2)
	v_add_f64_e64 v[8:9], v[44:45], -v[4:5]
	v_add_f64_e64 v[10:11], v[46:47], -v[10:11]
	scratch_store_b128 off, v[8:11], off offset:112
	s_wait_xcnt 0x0
	v_cmpx_lt_u32_e32 6, v1
	s_cbranch_execz .LBB74_67
; %bb.66:
	scratch_load_b128 v[8:11], off, s13
	v_dual_mov_b32 v3, v2 :: v_dual_mov_b32 v4, v2
	v_mov_b32_e32 v5, v2
	scratch_store_b128 off, v[2:5], off offset:96
	s_wait_loadcnt 0x0
	ds_store_b128 v6, v[8:11]
.LBB74_67:
	s_wait_xcnt 0x0
	s_or_b32 exec_lo, exec_lo, s2
	s_wait_storecnt_dscnt 0x0
	s_barrier_signal -1
	s_barrier_wait -1
	s_clause 0x4
	scratch_load_b128 v[8:11], off, off offset:112
	scratch_load_b128 v[36:39], off, off offset:128
	;; [unrolled: 1-line block ×5, first 2 shown]
	ds_load_b128 v[52:55], v2 offset:288
	ds_load_b128 v[56:59], v2 offset:304
	s_mov_b32 s2, exec_lo
	s_wait_loadcnt_dscnt 0x401
	v_mul_f64_e32 v[4:5], v[54:55], v[10:11]
	v_mul_f64_e32 v[12:13], v[52:53], v[10:11]
	s_wait_loadcnt_dscnt 0x300
	v_mul_f64_e32 v[60:61], v[56:57], v[38:39]
	v_mul_f64_e32 v[38:39], v[58:59], v[38:39]
	s_delay_alu instid0(VALU_DEP_4) | instskip(NEXT) | instid1(VALU_DEP_4)
	v_fma_f64 v[52:53], v[52:53], v[8:9], -v[4:5]
	v_fmac_f64_e32 v[12:13], v[54:55], v[8:9]
	ds_load_b128 v[8:11], v2 offset:320
	ds_load_b128 v[2:5], v2 offset:336
	v_fmac_f64_e32 v[60:61], v[58:59], v[36:37]
	v_fma_f64 v[36:37], v[56:57], v[36:37], -v[38:39]
	s_wait_loadcnt_dscnt 0x201
	v_mul_f64_e32 v[54:55], v[8:9], v[42:43]
	v_mul_f64_e32 v[42:43], v[10:11], v[42:43]
	v_add_f64_e32 v[38:39], 0, v[52:53]
	v_add_f64_e32 v[12:13], 0, v[12:13]
	s_wait_loadcnt_dscnt 0x100
	v_mul_f64_e32 v[52:53], v[2:3], v[46:47]
	v_mul_f64_e32 v[46:47], v[4:5], v[46:47]
	v_fmac_f64_e32 v[54:55], v[10:11], v[40:41]
	v_fma_f64 v[8:9], v[8:9], v[40:41], -v[42:43]
	v_add_f64_e32 v[10:11], v[38:39], v[36:37]
	v_add_f64_e32 v[12:13], v[12:13], v[60:61]
	v_fmac_f64_e32 v[52:53], v[4:5], v[44:45]
	v_fma_f64 v[2:3], v[2:3], v[44:45], -v[46:47]
	s_delay_alu instid0(VALU_DEP_4) | instskip(NEXT) | instid1(VALU_DEP_4)
	v_add_f64_e32 v[4:5], v[10:11], v[8:9]
	v_add_f64_e32 v[8:9], v[12:13], v[54:55]
	s_delay_alu instid0(VALU_DEP_2) | instskip(NEXT) | instid1(VALU_DEP_2)
	v_add_f64_e32 v[2:3], v[4:5], v[2:3]
	v_add_f64_e32 v[4:5], v[8:9], v[52:53]
	s_wait_loadcnt 0x0
	s_delay_alu instid0(VALU_DEP_2) | instskip(NEXT) | instid1(VALU_DEP_2)
	v_add_f64_e64 v[2:3], v[48:49], -v[2:3]
	v_add_f64_e64 v[4:5], v[50:51], -v[4:5]
	scratch_store_b128 off, v[2:5], off offset:96
	s_wait_xcnt 0x0
	v_cmpx_lt_u32_e32 5, v1
	s_cbranch_execz .LBB74_69
; %bb.68:
	scratch_load_b128 v[2:5], off, s17
	v_mov_b32_e32 v8, 0
	s_delay_alu instid0(VALU_DEP_1)
	v_dual_mov_b32 v9, v8 :: v_dual_mov_b32 v10, v8
	v_mov_b32_e32 v11, v8
	scratch_store_b128 off, v[8:11], off offset:80
	s_wait_loadcnt 0x0
	ds_store_b128 v6, v[2:5]
.LBB74_69:
	s_wait_xcnt 0x0
	s_or_b32 exec_lo, exec_lo, s2
	s_wait_storecnt_dscnt 0x0
	s_barrier_signal -1
	s_barrier_wait -1
	s_clause 0x5
	scratch_load_b128 v[8:11], off, off offset:96
	scratch_load_b128 v[36:39], off, off offset:112
	;; [unrolled: 1-line block ×6, first 2 shown]
	v_mov_b32_e32 v2, 0
	ds_load_b128 v[56:59], v2 offset:272
	ds_load_b128 v[60:63], v2 offset:288
	s_mov_b32 s2, exec_lo
	s_wait_loadcnt_dscnt 0x501
	v_mul_f64_e32 v[4:5], v[58:59], v[10:11]
	v_mul_f64_e32 v[12:13], v[56:57], v[10:11]
	s_wait_loadcnt_dscnt 0x400
	v_mul_f64_e32 v[64:65], v[60:61], v[38:39]
	v_mul_f64_e32 v[38:39], v[62:63], v[38:39]
	s_delay_alu instid0(VALU_DEP_4) | instskip(NEXT) | instid1(VALU_DEP_4)
	v_fma_f64 v[4:5], v[56:57], v[8:9], -v[4:5]
	v_fmac_f64_e32 v[12:13], v[58:59], v[8:9]
	ds_load_b128 v[8:11], v2 offset:304
	ds_load_b128 v[56:59], v2 offset:320
	v_fmac_f64_e32 v[64:65], v[62:63], v[36:37]
	v_fma_f64 v[36:37], v[60:61], v[36:37], -v[38:39]
	s_wait_loadcnt_dscnt 0x301
	v_mul_f64_e32 v[66:67], v[8:9], v[42:43]
	v_mul_f64_e32 v[42:43], v[10:11], v[42:43]
	s_wait_loadcnt_dscnt 0x200
	v_mul_f64_e32 v[38:39], v[56:57], v[46:47]
	v_mul_f64_e32 v[46:47], v[58:59], v[46:47]
	v_add_f64_e32 v[4:5], 0, v[4:5]
	v_add_f64_e32 v[12:13], 0, v[12:13]
	v_fmac_f64_e32 v[66:67], v[10:11], v[40:41]
	v_fma_f64 v[40:41], v[8:9], v[40:41], -v[42:43]
	ds_load_b128 v[8:11], v2 offset:336
	v_fmac_f64_e32 v[38:39], v[58:59], v[44:45]
	v_fma_f64 v[44:45], v[56:57], v[44:45], -v[46:47]
	v_add_f64_e32 v[4:5], v[4:5], v[36:37]
	v_add_f64_e32 v[12:13], v[12:13], v[64:65]
	s_wait_loadcnt_dscnt 0x100
	v_mul_f64_e32 v[36:37], v[8:9], v[50:51]
	v_mul_f64_e32 v[42:43], v[10:11], v[50:51]
	s_delay_alu instid0(VALU_DEP_4) | instskip(NEXT) | instid1(VALU_DEP_4)
	v_add_f64_e32 v[4:5], v[4:5], v[40:41]
	v_add_f64_e32 v[12:13], v[12:13], v[66:67]
	s_delay_alu instid0(VALU_DEP_4) | instskip(NEXT) | instid1(VALU_DEP_4)
	v_fmac_f64_e32 v[36:37], v[10:11], v[48:49]
	v_fma_f64 v[8:9], v[8:9], v[48:49], -v[42:43]
	s_delay_alu instid0(VALU_DEP_4) | instskip(NEXT) | instid1(VALU_DEP_4)
	v_add_f64_e32 v[4:5], v[4:5], v[44:45]
	v_add_f64_e32 v[10:11], v[12:13], v[38:39]
	s_delay_alu instid0(VALU_DEP_2) | instskip(NEXT) | instid1(VALU_DEP_2)
	v_add_f64_e32 v[4:5], v[4:5], v[8:9]
	v_add_f64_e32 v[10:11], v[10:11], v[36:37]
	s_wait_loadcnt 0x0
	s_delay_alu instid0(VALU_DEP_2) | instskip(NEXT) | instid1(VALU_DEP_2)
	v_add_f64_e64 v[8:9], v[52:53], -v[4:5]
	v_add_f64_e64 v[10:11], v[54:55], -v[10:11]
	scratch_store_b128 off, v[8:11], off offset:80
	s_wait_xcnt 0x0
	v_cmpx_lt_u32_e32 4, v1
	s_cbranch_execz .LBB74_71
; %bb.70:
	scratch_load_b128 v[8:11], off, s12
	v_dual_mov_b32 v3, v2 :: v_dual_mov_b32 v4, v2
	v_mov_b32_e32 v5, v2
	scratch_store_b128 off, v[2:5], off offset:64
	s_wait_loadcnt 0x0
	ds_store_b128 v6, v[8:11]
.LBB74_71:
	s_wait_xcnt 0x0
	s_or_b32 exec_lo, exec_lo, s2
	s_wait_storecnt_dscnt 0x0
	s_barrier_signal -1
	s_barrier_wait -1
	s_clause 0x6
	scratch_load_b128 v[8:11], off, off offset:80
	scratch_load_b128 v[36:39], off, off offset:96
	;; [unrolled: 1-line block ×7, first 2 shown]
	ds_load_b128 v[60:63], v2 offset:256
	ds_load_b128 v[64:67], v2 offset:272
	s_mov_b32 s2, exec_lo
	s_wait_loadcnt_dscnt 0x601
	v_mul_f64_e32 v[4:5], v[62:63], v[10:11]
	v_mul_f64_e32 v[12:13], v[60:61], v[10:11]
	s_wait_loadcnt_dscnt 0x500
	v_mul_f64_e32 v[68:69], v[64:65], v[38:39]
	v_mul_f64_e32 v[38:39], v[66:67], v[38:39]
	s_delay_alu instid0(VALU_DEP_4) | instskip(NEXT) | instid1(VALU_DEP_4)
	v_fma_f64 v[4:5], v[60:61], v[8:9], -v[4:5]
	v_fmac_f64_e32 v[12:13], v[62:63], v[8:9]
	ds_load_b128 v[8:11], v2 offset:288
	ds_load_b128 v[60:63], v2 offset:304
	v_fmac_f64_e32 v[68:69], v[66:67], v[36:37]
	v_fma_f64 v[36:37], v[64:65], v[36:37], -v[38:39]
	s_wait_loadcnt_dscnt 0x401
	v_mul_f64_e32 v[70:71], v[8:9], v[42:43]
	v_mul_f64_e32 v[42:43], v[10:11], v[42:43]
	s_wait_loadcnt_dscnt 0x300
	v_mul_f64_e32 v[38:39], v[60:61], v[46:47]
	v_mul_f64_e32 v[46:47], v[62:63], v[46:47]
	v_add_f64_e32 v[4:5], 0, v[4:5]
	v_add_f64_e32 v[12:13], 0, v[12:13]
	v_fmac_f64_e32 v[70:71], v[10:11], v[40:41]
	v_fma_f64 v[40:41], v[8:9], v[40:41], -v[42:43]
	v_fmac_f64_e32 v[38:39], v[62:63], v[44:45]
	v_fma_f64 v[44:45], v[60:61], v[44:45], -v[46:47]
	v_add_f64_e32 v[36:37], v[4:5], v[36:37]
	v_add_f64_e32 v[12:13], v[12:13], v[68:69]
	ds_load_b128 v[8:11], v2 offset:320
	ds_load_b128 v[2:5], v2 offset:336
	s_wait_loadcnt_dscnt 0x201
	v_mul_f64_e32 v[42:43], v[8:9], v[50:51]
	v_mul_f64_e32 v[50:51], v[10:11], v[50:51]
	s_wait_loadcnt_dscnt 0x100
	v_mul_f64_e32 v[46:47], v[4:5], v[54:55]
	v_add_f64_e32 v[36:37], v[36:37], v[40:41]
	v_add_f64_e32 v[12:13], v[12:13], v[70:71]
	v_mul_f64_e32 v[40:41], v[2:3], v[54:55]
	v_fmac_f64_e32 v[42:43], v[10:11], v[48:49]
	v_fma_f64 v[8:9], v[8:9], v[48:49], -v[50:51]
	v_fma_f64 v[2:3], v[2:3], v[52:53], -v[46:47]
	v_add_f64_e32 v[10:11], v[36:37], v[44:45]
	v_add_f64_e32 v[12:13], v[12:13], v[38:39]
	v_fmac_f64_e32 v[40:41], v[4:5], v[52:53]
	s_delay_alu instid0(VALU_DEP_3) | instskip(NEXT) | instid1(VALU_DEP_3)
	v_add_f64_e32 v[4:5], v[10:11], v[8:9]
	v_add_f64_e32 v[8:9], v[12:13], v[42:43]
	s_delay_alu instid0(VALU_DEP_2) | instskip(NEXT) | instid1(VALU_DEP_2)
	v_add_f64_e32 v[2:3], v[4:5], v[2:3]
	v_add_f64_e32 v[4:5], v[8:9], v[40:41]
	s_wait_loadcnt 0x0
	s_delay_alu instid0(VALU_DEP_2) | instskip(NEXT) | instid1(VALU_DEP_2)
	v_add_f64_e64 v[2:3], v[56:57], -v[2:3]
	v_add_f64_e64 v[4:5], v[58:59], -v[4:5]
	scratch_store_b128 off, v[2:5], off offset:64
	s_wait_xcnt 0x0
	v_cmpx_lt_u32_e32 3, v1
	s_cbranch_execz .LBB74_73
; %bb.72:
	scratch_load_b128 v[2:5], off, s16
	v_mov_b32_e32 v8, 0
	s_delay_alu instid0(VALU_DEP_1)
	v_dual_mov_b32 v9, v8 :: v_dual_mov_b32 v10, v8
	v_mov_b32_e32 v11, v8
	scratch_store_b128 off, v[8:11], off offset:48
	s_wait_loadcnt 0x0
	ds_store_b128 v6, v[2:5]
.LBB74_73:
	s_wait_xcnt 0x0
	s_or_b32 exec_lo, exec_lo, s2
	s_wait_storecnt_dscnt 0x0
	s_barrier_signal -1
	s_barrier_wait -1
	s_clause 0x7
	scratch_load_b128 v[8:11], off, off offset:64
	scratch_load_b128 v[36:39], off, off offset:80
	;; [unrolled: 1-line block ×8, first 2 shown]
	v_mov_b32_e32 v2, 0
	ds_load_b128 v[64:67], v2 offset:240
	ds_load_b128 v[68:71], v2 offset:256
	s_mov_b32 s2, exec_lo
	s_wait_loadcnt_dscnt 0x701
	v_mul_f64_e32 v[4:5], v[66:67], v[10:11]
	v_mul_f64_e32 v[12:13], v[64:65], v[10:11]
	s_wait_loadcnt_dscnt 0x600
	v_mul_f64_e32 v[72:73], v[68:69], v[38:39]
	v_mul_f64_e32 v[38:39], v[70:71], v[38:39]
	s_delay_alu instid0(VALU_DEP_4) | instskip(NEXT) | instid1(VALU_DEP_4)
	v_fma_f64 v[4:5], v[64:65], v[8:9], -v[4:5]
	v_fmac_f64_e32 v[12:13], v[66:67], v[8:9]
	ds_load_b128 v[8:11], v2 offset:272
	ds_load_b128 v[64:67], v2 offset:288
	v_fmac_f64_e32 v[72:73], v[70:71], v[36:37]
	v_fma_f64 v[36:37], v[68:69], v[36:37], -v[38:39]
	s_wait_loadcnt_dscnt 0x501
	v_mul_f64_e32 v[74:75], v[8:9], v[42:43]
	v_mul_f64_e32 v[42:43], v[10:11], v[42:43]
	s_wait_loadcnt_dscnt 0x400
	v_mul_f64_e32 v[68:69], v[64:65], v[46:47]
	v_mul_f64_e32 v[46:47], v[66:67], v[46:47]
	v_add_f64_e32 v[4:5], 0, v[4:5]
	v_add_f64_e32 v[12:13], 0, v[12:13]
	v_fmac_f64_e32 v[74:75], v[10:11], v[40:41]
	v_fma_f64 v[40:41], v[8:9], v[40:41], -v[42:43]
	v_fmac_f64_e32 v[68:69], v[66:67], v[44:45]
	v_fma_f64 v[44:45], v[64:65], v[44:45], -v[46:47]
	v_add_f64_e32 v[4:5], v[4:5], v[36:37]
	v_add_f64_e32 v[12:13], v[12:13], v[72:73]
	ds_load_b128 v[8:11], v2 offset:304
	ds_load_b128 v[36:39], v2 offset:320
	s_wait_loadcnt_dscnt 0x301
	v_mul_f64_e32 v[42:43], v[8:9], v[50:51]
	v_mul_f64_e32 v[50:51], v[10:11], v[50:51]
	s_wait_loadcnt_dscnt 0x200
	v_mul_f64_e32 v[46:47], v[38:39], v[54:55]
	v_add_f64_e32 v[4:5], v[4:5], v[40:41]
	v_add_f64_e32 v[12:13], v[12:13], v[74:75]
	v_mul_f64_e32 v[40:41], v[36:37], v[54:55]
	v_fmac_f64_e32 v[42:43], v[10:11], v[48:49]
	v_fma_f64 v[48:49], v[8:9], v[48:49], -v[50:51]
	ds_load_b128 v[8:11], v2 offset:336
	v_fma_f64 v[36:37], v[36:37], v[52:53], -v[46:47]
	v_add_f64_e32 v[4:5], v[4:5], v[44:45]
	v_add_f64_e32 v[12:13], v[12:13], v[68:69]
	v_fmac_f64_e32 v[40:41], v[38:39], v[52:53]
	s_wait_loadcnt_dscnt 0x100
	v_mul_f64_e32 v[44:45], v[8:9], v[58:59]
	v_mul_f64_e32 v[50:51], v[10:11], v[58:59]
	v_add_f64_e32 v[4:5], v[4:5], v[48:49]
	v_add_f64_e32 v[12:13], v[12:13], v[42:43]
	s_delay_alu instid0(VALU_DEP_4) | instskip(NEXT) | instid1(VALU_DEP_4)
	v_fmac_f64_e32 v[44:45], v[10:11], v[56:57]
	v_fma_f64 v[8:9], v[8:9], v[56:57], -v[50:51]
	s_delay_alu instid0(VALU_DEP_4) | instskip(NEXT) | instid1(VALU_DEP_4)
	v_add_f64_e32 v[4:5], v[4:5], v[36:37]
	v_add_f64_e32 v[10:11], v[12:13], v[40:41]
	s_delay_alu instid0(VALU_DEP_2) | instskip(NEXT) | instid1(VALU_DEP_2)
	v_add_f64_e32 v[4:5], v[4:5], v[8:9]
	v_add_f64_e32 v[10:11], v[10:11], v[44:45]
	s_wait_loadcnt 0x0
	s_delay_alu instid0(VALU_DEP_2) | instskip(NEXT) | instid1(VALU_DEP_2)
	v_add_f64_e64 v[8:9], v[60:61], -v[4:5]
	v_add_f64_e64 v[10:11], v[62:63], -v[10:11]
	scratch_store_b128 off, v[8:11], off offset:48
	s_wait_xcnt 0x0
	v_cmpx_lt_u32_e32 2, v1
	s_cbranch_execz .LBB74_75
; %bb.74:
	scratch_load_b128 v[8:11], off, s20
	v_dual_mov_b32 v3, v2 :: v_dual_mov_b32 v4, v2
	v_mov_b32_e32 v5, v2
	scratch_store_b128 off, v[2:5], off offset:32
	s_wait_loadcnt 0x0
	ds_store_b128 v6, v[8:11]
.LBB74_75:
	s_wait_xcnt 0x0
	s_or_b32 exec_lo, exec_lo, s2
	s_wait_storecnt_dscnt 0x0
	s_barrier_signal -1
	s_barrier_wait -1
	s_clause 0x7
	scratch_load_b128 v[8:11], off, off offset:48
	scratch_load_b128 v[36:39], off, off offset:64
	;; [unrolled: 1-line block ×8, first 2 shown]
	ds_load_b128 v[64:67], v2 offset:224
	ds_load_b128 v[68:71], v2 offset:240
	scratch_load_b128 v[72:75], off, off offset:32
	s_mov_b32 s2, exec_lo
	v_ashrrev_i32_e32 v21, 31, v20
	v_ashrrev_i32_e32 v25, 31, v24
	;; [unrolled: 1-line block ×3, first 2 shown]
	v_dual_ashrrev_i32 v33, 31, v32 :: v_dual_ashrrev_i32 v19, 31, v18
	v_ashrrev_i32_e32 v23, 31, v22
	v_ashrrev_i32_e32 v27, 31, v26
	;; [unrolled: 1-line block ×4, first 2 shown]
	s_wait_loadcnt_dscnt 0x801
	v_mul_f64_e32 v[4:5], v[66:67], v[10:11]
	v_mul_f64_e32 v[12:13], v[64:65], v[10:11]
	s_wait_loadcnt_dscnt 0x700
	v_mul_f64_e32 v[76:77], v[68:69], v[38:39]
	v_mul_f64_e32 v[38:39], v[70:71], v[38:39]
	s_delay_alu instid0(VALU_DEP_4) | instskip(NEXT) | instid1(VALU_DEP_4)
	v_fma_f64 v[4:5], v[64:65], v[8:9], -v[4:5]
	v_fmac_f64_e32 v[12:13], v[66:67], v[8:9]
	ds_load_b128 v[8:11], v2 offset:256
	ds_load_b128 v[64:67], v2 offset:272
	v_fmac_f64_e32 v[76:77], v[70:71], v[36:37]
	v_fma_f64 v[36:37], v[68:69], v[36:37], -v[38:39]
	s_wait_loadcnt_dscnt 0x601
	v_mul_f64_e32 v[68:69], v[8:9], v[42:43]
	v_mul_f64_e32 v[38:39], v[10:11], v[42:43]
	s_wait_loadcnt_dscnt 0x500
	v_mul_f64_e32 v[42:43], v[64:65], v[46:47]
	v_mul_f64_e32 v[46:47], v[66:67], v[46:47]
	v_add_f64_e32 v[4:5], 0, v[4:5]
	v_add_f64_e32 v[12:13], 0, v[12:13]
	v_fmac_f64_e32 v[68:69], v[10:11], v[40:41]
	v_fma_f64 v[40:41], v[8:9], v[40:41], -v[38:39]
	v_fmac_f64_e32 v[42:43], v[66:67], v[44:45]
	v_fma_f64 v[44:45], v[64:65], v[44:45], -v[46:47]
	v_add_f64_e32 v[4:5], v[4:5], v[36:37]
	v_add_f64_e32 v[12:13], v[12:13], v[76:77]
	ds_load_b128 v[8:11], v2 offset:288
	ds_load_b128 v[36:39], v2 offset:304
	s_wait_loadcnt_dscnt 0x401
	v_mul_f64_e32 v[70:71], v[8:9], v[50:51]
	v_mul_f64_e32 v[50:51], v[10:11], v[50:51]
	s_wait_loadcnt_dscnt 0x300
	v_mul_f64_e32 v[46:47], v[38:39], v[54:55]
	v_add_f64_e32 v[4:5], v[4:5], v[40:41]
	v_add_f64_e32 v[12:13], v[12:13], v[68:69]
	v_mul_f64_e32 v[40:41], v[36:37], v[54:55]
	v_fmac_f64_e32 v[70:71], v[10:11], v[48:49]
	v_fma_f64 v[48:49], v[8:9], v[48:49], -v[50:51]
	v_fma_f64 v[36:37], v[36:37], v[52:53], -v[46:47]
	v_add_f64_e32 v[44:45], v[4:5], v[44:45]
	v_add_f64_e32 v[12:13], v[12:13], v[42:43]
	ds_load_b128 v[8:11], v2 offset:320
	ds_load_b128 v[2:5], v2 offset:336
	v_fmac_f64_e32 v[40:41], v[38:39], v[52:53]
	s_wait_loadcnt_dscnt 0x201
	v_mul_f64_e32 v[42:43], v[8:9], v[58:59]
	v_mul_f64_e32 v[50:51], v[10:11], v[58:59]
	s_wait_loadcnt_dscnt 0x100
	v_mul_f64_e32 v[46:47], v[4:5], v[62:63]
	v_add_f64_e32 v[38:39], v[44:45], v[48:49]
	v_add_f64_e32 v[12:13], v[12:13], v[70:71]
	v_mul_f64_e32 v[44:45], v[2:3], v[62:63]
	v_fmac_f64_e32 v[42:43], v[10:11], v[56:57]
	v_fma_f64 v[8:9], v[8:9], v[56:57], -v[50:51]
	v_fma_f64 v[2:3], v[2:3], v[60:61], -v[46:47]
	v_add_f64_e32 v[10:11], v[38:39], v[36:37]
	v_add_f64_e32 v[12:13], v[12:13], v[40:41]
	v_fmac_f64_e32 v[44:45], v[4:5], v[60:61]
	s_delay_alu instid0(VALU_DEP_3) | instskip(NEXT) | instid1(VALU_DEP_3)
	v_add_f64_e32 v[4:5], v[10:11], v[8:9]
	v_add_f64_e32 v[8:9], v[12:13], v[42:43]
	s_delay_alu instid0(VALU_DEP_2) | instskip(NEXT) | instid1(VALU_DEP_2)
	v_add_f64_e32 v[2:3], v[4:5], v[2:3]
	v_add_f64_e32 v[4:5], v[8:9], v[44:45]
	s_wait_loadcnt 0x0
	s_delay_alu instid0(VALU_DEP_2) | instskip(NEXT) | instid1(VALU_DEP_2)
	v_add_f64_e64 v[2:3], v[72:73], -v[2:3]
	v_add_f64_e64 v[4:5], v[74:75], -v[4:5]
	scratch_store_b128 off, v[2:5], off offset:32
	s_wait_xcnt 0x0
	v_cmpx_lt_u32_e32 1, v1
	s_cbranch_execz .LBB74_77
; %bb.76:
	scratch_load_b128 v[2:5], off, s21
	v_mov_b32_e32 v8, 0
	s_delay_alu instid0(VALU_DEP_1)
	v_dual_mov_b32 v9, v8 :: v_dual_mov_b32 v10, v8
	v_mov_b32_e32 v11, v8
	scratch_store_b128 off, v[8:11], off offset:16
	s_wait_loadcnt 0x0
	ds_store_b128 v6, v[2:5]
.LBB74_77:
	s_wait_xcnt 0x0
	s_or_b32 exec_lo, exec_lo, s2
	s_wait_storecnt_dscnt 0x0
	s_barrier_signal -1
	s_barrier_wait -1
	s_clause 0x8
	scratch_load_b128 v[8:11], off, off offset:32
	scratch_load_b128 v[36:39], off, off offset:48
	;; [unrolled: 1-line block ×9, first 2 shown]
	v_mov_b32_e32 v2, 0
	scratch_load_b128 v[72:75], off, off offset:16
	s_mov_b32 s2, exec_lo
	ds_load_b128 v[68:71], v2 offset:208
	s_wait_loadcnt_dscnt 0x900
	v_mul_f64_e32 v[4:5], v[70:71], v[10:11]
	v_mul_f64_e32 v[76:77], v[68:69], v[10:11]
	ds_load_b128 v[10:13], v2 offset:224
	v_fma_f64 v[4:5], v[68:69], v[8:9], -v[4:5]
	v_fmac_f64_e32 v[76:77], v[70:71], v[8:9]
	ds_load_b128 v[68:71], v2 offset:240
	s_wait_loadcnt_dscnt 0x801
	v_mul_f64_e32 v[78:79], v[10:11], v[38:39]
	v_mul_f64_e32 v[38:39], v[12:13], v[38:39]
	s_wait_loadcnt_dscnt 0x700
	v_mul_f64_e32 v[80:81], v[68:69], v[42:43]
	v_mul_f64_e32 v[42:43], v[70:71], v[42:43]
	v_add_f64_e32 v[4:5], 0, v[4:5]
	v_fmac_f64_e32 v[78:79], v[12:13], v[36:37]
	v_fma_f64 v[12:13], v[10:11], v[36:37], -v[38:39]
	v_add_f64_e32 v[36:37], 0, v[76:77]
	ds_load_b128 v[8:11], v2 offset:256
	v_fmac_f64_e32 v[80:81], v[70:71], v[40:41]
	v_fma_f64 v[40:41], v[68:69], v[40:41], -v[42:43]
	v_add_f64_e32 v[4:5], v[4:5], v[12:13]
	v_add_f64_e32 v[12:13], v[36:37], v[78:79]
	ds_load_b128 v[36:39], v2 offset:272
	s_wait_loadcnt_dscnt 0x601
	v_mul_f64_e32 v[76:77], v[8:9], v[46:47]
	v_mul_f64_e32 v[46:47], v[10:11], v[46:47]
	s_wait_loadcnt_dscnt 0x500
	v_mul_f64_e32 v[42:43], v[36:37], v[50:51]
	v_mul_f64_e32 v[50:51], v[38:39], v[50:51]
	v_add_f64_e32 v[4:5], v[4:5], v[40:41]
	v_add_f64_e32 v[12:13], v[12:13], v[80:81]
	v_fmac_f64_e32 v[76:77], v[10:11], v[44:45]
	v_fma_f64 v[44:45], v[8:9], v[44:45], -v[46:47]
	ds_load_b128 v[8:11], v2 offset:288
	v_fmac_f64_e32 v[42:43], v[38:39], v[48:49]
	v_fma_f64 v[48:49], v[36:37], v[48:49], -v[50:51]
	ds_load_b128 v[36:39], v2 offset:304
	s_wait_loadcnt_dscnt 0x401
	v_mul_f64_e32 v[40:41], v[8:9], v[54:55]
	v_mul_f64_e32 v[46:47], v[10:11], v[54:55]
	v_add_f64_e32 v[12:13], v[12:13], v[76:77]
	v_add_f64_e32 v[4:5], v[4:5], v[44:45]
	s_wait_loadcnt_dscnt 0x300
	v_mul_f64_e32 v[44:45], v[36:37], v[58:59]
	v_mul_f64_e32 v[50:51], v[38:39], v[58:59]
	v_fmac_f64_e32 v[40:41], v[10:11], v[52:53]
	v_fma_f64 v[46:47], v[8:9], v[52:53], -v[46:47]
	ds_load_b128 v[8:11], v2 offset:320
	v_add_f64_e32 v[12:13], v[12:13], v[42:43]
	v_add_f64_e32 v[4:5], v[4:5], v[48:49]
	v_fmac_f64_e32 v[44:45], v[38:39], v[56:57]
	v_fma_f64 v[50:51], v[36:37], v[56:57], -v[50:51]
	ds_load_b128 v[36:39], v2 offset:336
	s_wait_loadcnt_dscnt 0x201
	v_mul_f64_e32 v[42:43], v[8:9], v[62:63]
	v_mul_f64_e32 v[48:49], v[10:11], v[62:63]
	v_add_f64_e32 v[12:13], v[12:13], v[40:41]
	v_add_f64_e32 v[4:5], v[4:5], v[46:47]
	s_wait_loadcnt_dscnt 0x100
	v_mul_f64_e32 v[40:41], v[36:37], v[66:67]
	v_mul_f64_e32 v[46:47], v[38:39], v[66:67]
	v_fmac_f64_e32 v[42:43], v[10:11], v[60:61]
	v_fma_f64 v[8:9], v[8:9], v[60:61], -v[48:49]
	v_add_f64_e32 v[10:11], v[12:13], v[44:45]
	v_add_f64_e32 v[4:5], v[4:5], v[50:51]
	v_fmac_f64_e32 v[40:41], v[38:39], v[64:65]
	v_fma_f64 v[12:13], v[36:37], v[64:65], -v[46:47]
	s_delay_alu instid0(VALU_DEP_3) | instskip(SKIP_1) | instid1(VALU_DEP_2)
	v_add_f64_e32 v[4:5], v[4:5], v[8:9]
	v_add_f64_e32 v[8:9], v[10:11], v[42:43]
	;; [unrolled: 1-line block ×3, first 2 shown]
	s_delay_alu instid0(VALU_DEP_2) | instskip(SKIP_1) | instid1(VALU_DEP_2)
	v_add_f64_e32 v[10:11], v[8:9], v[40:41]
	s_wait_loadcnt 0x0
	v_add_f64_e64 v[8:9], v[72:73], -v[4:5]
	s_delay_alu instid0(VALU_DEP_2)
	v_add_f64_e64 v[10:11], v[74:75], -v[10:11]
	scratch_store_b128 off, v[8:11], off offset:16
	s_wait_xcnt 0x0
	v_cmpx_ne_u32_e32 0, v1
	s_cbranch_execz .LBB74_79
; %bb.78:
	scratch_load_b128 v[8:11], off, off
	v_dual_mov_b32 v3, v2 :: v_dual_mov_b32 v4, v2
	v_mov_b32_e32 v5, v2
	scratch_store_b128 off, v[2:5], off
	s_wait_loadcnt 0x0
	ds_store_b128 v6, v[8:11]
.LBB74_79:
	s_wait_xcnt 0x0
	s_or_b32 exec_lo, exec_lo, s2
	s_wait_storecnt_dscnt 0x0
	s_barrier_signal -1
	s_barrier_wait -1
	s_clause 0x5
	scratch_load_b128 v[4:7], off, off offset:16
	scratch_load_b128 v[8:11], off, off offset:32
	;; [unrolled: 1-line block ×6, first 2 shown]
	ds_load_b128 v[52:55], v2 offset:192
	ds_load_b128 v[60:63], v2 offset:208
	s_clause 0x1
	scratch_load_b128 v[56:59], off, off offset:112
	scratch_load_b128 v[64:67], off, off
	v_lshl_add_u64 v[20:21], v[20:21], 4, s[4:5]
	s_and_b32 vcc_lo, exec_lo, s22
	s_wait_loadcnt_dscnt 0x701
	v_mul_f64_e32 v[68:69], v[54:55], v[6:7]
	v_mul_f64_e32 v[70:71], v[52:53], v[6:7]
	s_wait_loadcnt_dscnt 0x600
	v_mul_f64_e32 v[72:73], v[60:61], v[10:11]
	v_mul_f64_e32 v[74:75], v[62:63], v[10:11]
	scratch_load_b128 v[10:13], off, off offset:128
	v_fma_f64 v[68:69], v[52:53], v[4:5], -v[68:69]
	v_fmac_f64_e32 v[70:71], v[54:55], v[4:5]
	ds_load_b128 v[4:7], v2 offset:224
	ds_load_b128 v[52:55], v2 offset:240
	v_fmac_f64_e32 v[72:73], v[62:63], v[8:9]
	v_fma_f64 v[8:9], v[60:61], v[8:9], -v[74:75]
	scratch_load_b128 v[60:63], off, off offset:144
	s_wait_loadcnt_dscnt 0x701
	v_mul_f64_e32 v[76:77], v[4:5], v[38:39]
	v_mul_f64_e32 v[38:39], v[6:7], v[38:39]
	s_delay_alu instid0(VALU_DEP_2) | instskip(NEXT) | instid1(VALU_DEP_2)
	v_fmac_f64_e32 v[76:77], v[6:7], v[36:37]
	v_fma_f64 v[74:75], v[4:5], v[36:37], -v[38:39]
	scratch_load_b128 v[4:7], off, off offset:160
	v_add_f64_e32 v[36:37], 0, v[68:69]
	v_add_f64_e32 v[38:39], 0, v[70:71]
	s_wait_loadcnt_dscnt 0x700
	v_mul_f64_e32 v[68:69], v[52:53], v[42:43]
	v_mul_f64_e32 v[42:43], v[54:55], v[42:43]
	s_delay_alu instid0(VALU_DEP_4) | instskip(NEXT) | instid1(VALU_DEP_4)
	v_add_f64_e32 v[8:9], v[36:37], v[8:9]
	v_add_f64_e32 v[70:71], v[38:39], v[72:73]
	ds_load_b128 v[36:39], v2 offset:256
	v_fmac_f64_e32 v[68:69], v[54:55], v[40:41]
	v_fma_f64 v[52:53], v[52:53], v[40:41], -v[42:43]
	ds_load_b128 v[40:43], v2 offset:272
	s_wait_loadcnt_dscnt 0x601
	v_mul_f64_e32 v[54:55], v[36:37], v[46:47]
	v_mul_f64_e32 v[46:47], v[38:39], v[46:47]
	s_wait_loadcnt_dscnt 0x500
	v_mul_f64_e32 v[72:73], v[40:41], v[50:51]
	v_mul_f64_e32 v[50:51], v[42:43], v[50:51]
	v_add_f64_e32 v[8:9], v[8:9], v[74:75]
	v_add_f64_e32 v[70:71], v[70:71], v[76:77]
	v_fmac_f64_e32 v[54:55], v[38:39], v[44:45]
	v_fma_f64 v[74:75], v[36:37], v[44:45], -v[46:47]
	ds_load_b128 v[36:39], v2 offset:288
	ds_load_b128 v[44:47], v2 offset:304
	v_fmac_f64_e32 v[72:73], v[42:43], v[48:49]
	v_fma_f64 v[40:41], v[40:41], v[48:49], -v[50:51]
	v_add_f64_e32 v[8:9], v[8:9], v[52:53]
	v_add_f64_e32 v[52:53], v[70:71], v[68:69]
	s_wait_loadcnt_dscnt 0x401
	v_mul_f64_e32 v[68:69], v[36:37], v[58:59]
	v_mul_f64_e32 v[58:59], v[38:39], v[58:59]
	s_delay_alu instid0(VALU_DEP_4) | instskip(NEXT) | instid1(VALU_DEP_4)
	v_add_f64_e32 v[8:9], v[8:9], v[74:75]
	v_add_f64_e32 v[42:43], v[52:53], v[54:55]
	s_delay_alu instid0(VALU_DEP_4) | instskip(NEXT) | instid1(VALU_DEP_4)
	v_fmac_f64_e32 v[68:69], v[38:39], v[56:57]
	v_fma_f64 v[50:51], v[36:37], v[56:57], -v[58:59]
	s_delay_alu instid0(VALU_DEP_4) | instskip(NEXT) | instid1(VALU_DEP_4)
	v_add_f64_e32 v[8:9], v[8:9], v[40:41]
	v_add_f64_e32 v[52:53], v[42:43], v[72:73]
	ds_load_b128 v[36:39], v2 offset:320
	ds_load_b128 v[40:43], v2 offset:336
	v_add_f64_e32 v[8:9], v[8:9], v[50:51]
	s_wait_loadcnt_dscnt 0x202
	v_mul_f64_e32 v[48:49], v[44:45], v[12:13]
	v_mul_f64_e32 v[12:13], v[46:47], v[12:13]
	s_delay_alu instid0(VALU_DEP_2) | instskip(SKIP_3) | instid1(VALU_DEP_4)
	v_fmac_f64_e32 v[48:49], v[46:47], v[10:11]
	s_wait_loadcnt_dscnt 0x101
	v_mul_f64_e32 v[2:3], v[36:37], v[62:63]
	v_mul_f64_e32 v[54:55], v[38:39], v[62:63]
	v_fma_f64 v[10:11], v[44:45], v[10:11], -v[12:13]
	v_add_f64_e32 v[12:13], v[52:53], v[68:69]
	s_delay_alu instid0(VALU_DEP_4) | instskip(NEXT) | instid1(VALU_DEP_4)
	v_fmac_f64_e32 v[2:3], v[38:39], v[60:61]
	v_fma_f64 v[36:37], v[36:37], v[60:61], -v[54:55]
	s_delay_alu instid0(VALU_DEP_4) | instskip(NEXT) | instid1(VALU_DEP_4)
	v_add_f64_e32 v[8:9], v[8:9], v[10:11]
	v_add_f64_e32 v[10:11], v[12:13], v[48:49]
	v_lshl_add_u64 v[12:13], v[24:25], 4, s[4:5]
	s_wait_loadcnt_dscnt 0x0
	v_mul_f64_e32 v[44:45], v[40:41], v[6:7]
	v_mul_f64_e32 v[6:7], v[42:43], v[6:7]
	s_delay_alu instid0(VALU_DEP_4) | instskip(SKIP_1) | instid1(VALU_DEP_4)
	v_add_f64_e32 v[2:3], v[10:11], v[2:3]
	v_lshl_add_u64 v[10:11], v[26:27], 4, s[4:5]
	v_fmac_f64_e32 v[44:45], v[42:43], v[4:5]
	s_delay_alu instid0(VALU_DEP_4)
	v_fma_f64 v[4:5], v[40:41], v[4:5], -v[6:7]
	v_add_f64_e32 v[6:7], v[8:9], v[36:37]
	v_lshl_add_u64 v[36:37], v[18:19], 4, s[4:5]
	v_lshl_add_u64 v[18:19], v[22:23], 4, s[4:5]
	;; [unrolled: 1-line block ×3, first 2 shown]
	v_add_f64_e32 v[2:3], v[2:3], v[44:45]
	v_add_f64_e32 v[4:5], v[6:7], v[4:5]
	v_lshl_add_u64 v[6:7], v[30:31], 4, s[4:5]
	s_delay_alu instid0(VALU_DEP_3) | instskip(SKIP_1) | instid1(VALU_DEP_4)
	v_add_f64_e64 v[40:41], v[66:67], -v[2:3]
	v_lshl_add_u64 v[2:3], v[34:35], 4, s[4:5]
	v_add_f64_e64 v[38:39], v[64:65], -v[4:5]
	v_lshl_add_u64 v[4:5], v[32:33], 4, s[4:5]
	scratch_store_b128 off, v[38:41], off
	s_cbranch_vccz .LBB74_100
; %bb.80:
	v_mov_b32_e32 v22, 0
	s_load_b64 s[2:3], s[0:1], 0x4
	v_bfe_u32 v24, v0, 10, 10
	v_bfe_u32 v0, v0, 20, 10
	global_load_b32 v23, v22, s[8:9] offset:36
	s_wait_kmcnt 0x0
	s_lshr_b32 s0, s2, 16
	v_mul_u32_u24_e32 v24, s3, v24
	s_mul_i32 s0, s0, s3
	s_delay_alu instid0(SALU_CYCLE_1) | instskip(NEXT) | instid1(VALU_DEP_1)
	v_mul_u32_u24_e32 v1, s0, v1
	v_add3_u32 v0, v1, v24, v0
	s_delay_alu instid0(VALU_DEP_1)
	v_lshl_add_u32 v0, v0, 4, 0x168
	s_wait_loadcnt 0x0
	v_cmp_ne_u32_e32 vcc_lo, 10, v23
	s_cbranch_vccz .LBB74_82
; %bb.81:
	v_lshlrev_b32_e32 v1, 4, v23
	s_clause 0x1
	scratch_load_b128 v[24:27], off, s19
	scratch_load_b128 v[28:31], v1, off offset:-16
	s_wait_loadcnt 0x1
	ds_store_2addr_b64 v0, v[24:25], v[26:27] offset1:1
	s_wait_loadcnt 0x0
	s_clause 0x1
	scratch_store_b128 off, v[28:31], s19
	scratch_store_b128 v1, v[24:27], off offset:-16
.LBB74_82:
	global_load_b32 v1, v22, s[8:9] offset:32
	s_wait_loadcnt 0x0
	v_cmp_eq_u32_e32 vcc_lo, 9, v1
	s_cbranch_vccnz .LBB74_84
; %bb.83:
	v_lshlrev_b32_e32 v1, 4, v1
	s_clause 0x1
	scratch_load_b128 v[22:25], off, s14
	scratch_load_b128 v[26:29], v1, off offset:-16
	s_wait_loadcnt 0x1
	ds_store_2addr_b64 v0, v[22:23], v[24:25] offset1:1
	s_wait_loadcnt 0x0
	s_clause 0x1
	scratch_store_b128 off, v[26:29], s14
	scratch_store_b128 v1, v[22:25], off offset:-16
.LBB74_84:
	s_wait_xcnt 0x0
	v_mov_b32_e32 v1, 0
	global_load_b32 v22, v1, s[8:9] offset:28
	s_wait_loadcnt 0x0
	v_cmp_eq_u32_e32 vcc_lo, 8, v22
	s_cbranch_vccnz .LBB74_86
; %bb.85:
	v_lshlrev_b32_e32 v22, 4, v22
	s_delay_alu instid0(VALU_DEP_1)
	v_mov_b32_e32 v30, v22
	s_clause 0x1
	scratch_load_b128 v[22:25], off, s18
	scratch_load_b128 v[26:29], v30, off offset:-16
	s_wait_loadcnt 0x1
	ds_store_2addr_b64 v0, v[22:23], v[24:25] offset1:1
	s_wait_loadcnt 0x0
	s_clause 0x1
	scratch_store_b128 off, v[26:29], s18
	scratch_store_b128 v30, v[22:25], off offset:-16
.LBB74_86:
	global_load_b32 v1, v1, s[8:9] offset:24
	s_wait_loadcnt 0x0
	v_cmp_eq_u32_e32 vcc_lo, 7, v1
	s_cbranch_vccnz .LBB74_88
; %bb.87:
	s_wait_xcnt 0x0
	v_lshlrev_b32_e32 v1, 4, v1
	s_clause 0x1
	scratch_load_b128 v[22:25], off, s13
	scratch_load_b128 v[26:29], v1, off offset:-16
	s_wait_loadcnt 0x1
	ds_store_2addr_b64 v0, v[22:23], v[24:25] offset1:1
	s_wait_loadcnt 0x0
	s_clause 0x1
	scratch_store_b128 off, v[26:29], s13
	scratch_store_b128 v1, v[22:25], off offset:-16
.LBB74_88:
	s_wait_xcnt 0x0
	v_mov_b32_e32 v1, 0
	global_load_b32 v22, v1, s[8:9] offset:20
	s_wait_loadcnt 0x0
	v_cmp_eq_u32_e32 vcc_lo, 6, v22
	s_cbranch_vccnz .LBB74_90
; %bb.89:
	v_lshlrev_b32_e32 v22, 4, v22
	s_delay_alu instid0(VALU_DEP_1)
	v_mov_b32_e32 v30, v22
	s_clause 0x1
	scratch_load_b128 v[22:25], off, s17
	scratch_load_b128 v[26:29], v30, off offset:-16
	s_wait_loadcnt 0x1
	ds_store_2addr_b64 v0, v[22:23], v[24:25] offset1:1
	s_wait_loadcnt 0x0
	s_clause 0x1
	scratch_store_b128 off, v[26:29], s17
	scratch_store_b128 v30, v[22:25], off offset:-16
.LBB74_90:
	global_load_b32 v1, v1, s[8:9] offset:16
	s_wait_loadcnt 0x0
	v_cmp_eq_u32_e32 vcc_lo, 5, v1
	s_cbranch_vccnz .LBB74_92
; %bb.91:
	s_wait_xcnt 0x0
	v_lshlrev_b32_e32 v1, 4, v1
	s_clause 0x1
	scratch_load_b128 v[22:25], off, s12
	scratch_load_b128 v[26:29], v1, off offset:-16
	s_wait_loadcnt 0x1
	ds_store_2addr_b64 v0, v[22:23], v[24:25] offset1:1
	s_wait_loadcnt 0x0
	s_clause 0x1
	scratch_store_b128 off, v[26:29], s12
	scratch_store_b128 v1, v[22:25], off offset:-16
.LBB74_92:
	;; [unrolled: 37-line block ×3, first 2 shown]
	s_wait_xcnt 0x0
	v_mov_b32_e32 v1, 0
	global_load_b32 v22, v1, s[8:9] offset:4
	s_wait_loadcnt 0x0
	v_cmp_eq_u32_e32 vcc_lo, 2, v22
	s_cbranch_vccnz .LBB74_98
; %bb.97:
	v_lshlrev_b32_e32 v22, 4, v22
	s_delay_alu instid0(VALU_DEP_1)
	v_mov_b32_e32 v30, v22
	s_clause 0x1
	scratch_load_b128 v[22:25], off, s21
	scratch_load_b128 v[26:29], v30, off offset:-16
	s_wait_loadcnt 0x1
	ds_store_2addr_b64 v0, v[22:23], v[24:25] offset1:1
	s_wait_loadcnt 0x0
	s_clause 0x1
	scratch_store_b128 off, v[26:29], s21
	scratch_store_b128 v30, v[22:25], off offset:-16
.LBB74_98:
	global_load_b32 v1, v1, s[8:9]
	s_wait_loadcnt 0x0
	v_cmp_eq_u32_e32 vcc_lo, 1, v1
	s_cbranch_vccnz .LBB74_100
; %bb.99:
	s_wait_xcnt 0x0
	v_lshlrev_b32_e32 v1, 4, v1
	scratch_load_b128 v[22:25], off, off
	scratch_load_b128 v[26:29], v1, off offset:-16
	s_wait_loadcnt 0x1
	ds_store_2addr_b64 v0, v[22:23], v[24:25] offset1:1
	s_wait_loadcnt 0x0
	scratch_store_b128 off, v[26:29], off
	scratch_store_b128 v1, v[22:25], off offset:-16
.LBB74_100:
	scratch_load_b128 v[22:25], off, off
	s_wait_loadcnt 0x0
	flat_store_b128 v[14:15], v[22:25]
	scratch_load_b128 v[22:25], off, s21
	s_wait_loadcnt 0x0
	flat_store_b128 v[16:17], v[22:25]
	scratch_load_b128 v[14:17], off, s20
	;; [unrolled: 3-line block ×10, first 2 shown]
	s_wait_loadcnt 0x0
	flat_store_b128 v[2:3], v[4:7]
	s_sendmsg sendmsg(MSG_DEALLOC_VGPRS)
	s_endpgm
	.section	.rodata,"a",@progbits
	.p2align	6, 0x0
	.amdhsa_kernel _ZN9rocsolver6v33100L18getri_kernel_smallILi11E19rocblas_complex_numIdEPKPS3_EEvT1_iilPiilS8_bb
		.amdhsa_group_segment_fixed_size 1384
		.amdhsa_private_segment_fixed_size 192
		.amdhsa_kernarg_size 60
		.amdhsa_user_sgpr_count 4
		.amdhsa_user_sgpr_dispatch_ptr 1
		.amdhsa_user_sgpr_queue_ptr 0
		.amdhsa_user_sgpr_kernarg_segment_ptr 1
		.amdhsa_user_sgpr_dispatch_id 0
		.amdhsa_user_sgpr_kernarg_preload_length 0
		.amdhsa_user_sgpr_kernarg_preload_offset 0
		.amdhsa_user_sgpr_private_segment_size 0
		.amdhsa_wavefront_size32 1
		.amdhsa_uses_dynamic_stack 0
		.amdhsa_enable_private_segment 1
		.amdhsa_system_sgpr_workgroup_id_x 1
		.amdhsa_system_sgpr_workgroup_id_y 0
		.amdhsa_system_sgpr_workgroup_id_z 0
		.amdhsa_system_sgpr_workgroup_info 0
		.amdhsa_system_vgpr_workitem_id 2
		.amdhsa_next_free_vgpr 82
		.amdhsa_next_free_sgpr 26
		.amdhsa_named_barrier_count 0
		.amdhsa_reserve_vcc 1
		.amdhsa_float_round_mode_32 0
		.amdhsa_float_round_mode_16_64 0
		.amdhsa_float_denorm_mode_32 3
		.amdhsa_float_denorm_mode_16_64 3
		.amdhsa_fp16_overflow 0
		.amdhsa_memory_ordered 1
		.amdhsa_forward_progress 1
		.amdhsa_inst_pref_size 80
		.amdhsa_round_robin_scheduling 0
		.amdhsa_exception_fp_ieee_invalid_op 0
		.amdhsa_exception_fp_denorm_src 0
		.amdhsa_exception_fp_ieee_div_zero 0
		.amdhsa_exception_fp_ieee_overflow 0
		.amdhsa_exception_fp_ieee_underflow 0
		.amdhsa_exception_fp_ieee_inexact 0
		.amdhsa_exception_int_div_zero 0
	.end_amdhsa_kernel
	.section	.text._ZN9rocsolver6v33100L18getri_kernel_smallILi11E19rocblas_complex_numIdEPKPS3_EEvT1_iilPiilS8_bb,"axG",@progbits,_ZN9rocsolver6v33100L18getri_kernel_smallILi11E19rocblas_complex_numIdEPKPS3_EEvT1_iilPiilS8_bb,comdat
.Lfunc_end74:
	.size	_ZN9rocsolver6v33100L18getri_kernel_smallILi11E19rocblas_complex_numIdEPKPS3_EEvT1_iilPiilS8_bb, .Lfunc_end74-_ZN9rocsolver6v33100L18getri_kernel_smallILi11E19rocblas_complex_numIdEPKPS3_EEvT1_iilPiilS8_bb
                                        ; -- End function
	.set _ZN9rocsolver6v33100L18getri_kernel_smallILi11E19rocblas_complex_numIdEPKPS3_EEvT1_iilPiilS8_bb.num_vgpr, 82
	.set _ZN9rocsolver6v33100L18getri_kernel_smallILi11E19rocblas_complex_numIdEPKPS3_EEvT1_iilPiilS8_bb.num_agpr, 0
	.set _ZN9rocsolver6v33100L18getri_kernel_smallILi11E19rocblas_complex_numIdEPKPS3_EEvT1_iilPiilS8_bb.numbered_sgpr, 26
	.set _ZN9rocsolver6v33100L18getri_kernel_smallILi11E19rocblas_complex_numIdEPKPS3_EEvT1_iilPiilS8_bb.num_named_barrier, 0
	.set _ZN9rocsolver6v33100L18getri_kernel_smallILi11E19rocblas_complex_numIdEPKPS3_EEvT1_iilPiilS8_bb.private_seg_size, 192
	.set _ZN9rocsolver6v33100L18getri_kernel_smallILi11E19rocblas_complex_numIdEPKPS3_EEvT1_iilPiilS8_bb.uses_vcc, 1
	.set _ZN9rocsolver6v33100L18getri_kernel_smallILi11E19rocblas_complex_numIdEPKPS3_EEvT1_iilPiilS8_bb.uses_flat_scratch, 1
	.set _ZN9rocsolver6v33100L18getri_kernel_smallILi11E19rocblas_complex_numIdEPKPS3_EEvT1_iilPiilS8_bb.has_dyn_sized_stack, 0
	.set _ZN9rocsolver6v33100L18getri_kernel_smallILi11E19rocblas_complex_numIdEPKPS3_EEvT1_iilPiilS8_bb.has_recursion, 0
	.set _ZN9rocsolver6v33100L18getri_kernel_smallILi11E19rocblas_complex_numIdEPKPS3_EEvT1_iilPiilS8_bb.has_indirect_call, 0
	.section	.AMDGPU.csdata,"",@progbits
; Kernel info:
; codeLenInByte = 10168
; TotalNumSgprs: 28
; NumVgprs: 82
; ScratchSize: 192
; MemoryBound: 0
; FloatMode: 240
; IeeeMode: 1
; LDSByteSize: 1384 bytes/workgroup (compile time only)
; SGPRBlocks: 0
; VGPRBlocks: 5
; NumSGPRsForWavesPerEU: 28
; NumVGPRsForWavesPerEU: 82
; NamedBarCnt: 0
; Occupancy: 10
; WaveLimiterHint : 1
; COMPUTE_PGM_RSRC2:SCRATCH_EN: 1
; COMPUTE_PGM_RSRC2:USER_SGPR: 4
; COMPUTE_PGM_RSRC2:TRAP_HANDLER: 0
; COMPUTE_PGM_RSRC2:TGID_X_EN: 1
; COMPUTE_PGM_RSRC2:TGID_Y_EN: 0
; COMPUTE_PGM_RSRC2:TGID_Z_EN: 0
; COMPUTE_PGM_RSRC2:TIDIG_COMP_CNT: 2
	.section	.text._ZN9rocsolver6v33100L18getri_kernel_smallILi12E19rocblas_complex_numIdEPKPS3_EEvT1_iilPiilS8_bb,"axG",@progbits,_ZN9rocsolver6v33100L18getri_kernel_smallILi12E19rocblas_complex_numIdEPKPS3_EEvT1_iilPiilS8_bb,comdat
	.globl	_ZN9rocsolver6v33100L18getri_kernel_smallILi12E19rocblas_complex_numIdEPKPS3_EEvT1_iilPiilS8_bb ; -- Begin function _ZN9rocsolver6v33100L18getri_kernel_smallILi12E19rocblas_complex_numIdEPKPS3_EEvT1_iilPiilS8_bb
	.p2align	8
	.type	_ZN9rocsolver6v33100L18getri_kernel_smallILi12E19rocblas_complex_numIdEPKPS3_EEvT1_iilPiilS8_bb,@function
_ZN9rocsolver6v33100L18getri_kernel_smallILi12E19rocblas_complex_numIdEPKPS3_EEvT1_iilPiilS8_bb: ; @_ZN9rocsolver6v33100L18getri_kernel_smallILi12E19rocblas_complex_numIdEPKPS3_EEvT1_iilPiilS8_bb
; %bb.0:
	v_and_b32_e32 v1, 0x3ff, v0
	s_mov_b32 s4, exec_lo
	s_delay_alu instid0(VALU_DEP_1)
	v_cmpx_gt_u32_e32 12, v1
	s_cbranch_execz .LBB75_62
; %bb.1:
	s_clause 0x1
	s_load_b32 s14, s[2:3], 0x38
	s_load_b64 s[8:9], s[2:3], 0x0
	s_getreg_b32 s6, hwreg(HW_REG_IB_STS2, 6, 4)
	s_wait_kmcnt 0x0
	s_bitcmp1_b32 s14, 8
	s_cselect_b32 s23, -1, 0
	s_bfe_u32 s4, ttmp6, 0x4000c
	s_and_b32 s5, ttmp6, 15
	s_add_co_i32 s4, s4, 1
	s_delay_alu instid0(SALU_CYCLE_1) | instskip(NEXT) | instid1(SALU_CYCLE_1)
	s_mul_i32 s4, ttmp9, s4
	s_add_co_i32 s5, s5, s4
	s_cmp_eq_u32 s6, 0
	s_cselect_b32 s10, ttmp9, s5
	s_load_b128 s[4:7], s[2:3], 0x28
	s_ashr_i32 s11, s10, 31
	s_delay_alu instid0(SALU_CYCLE_1) | instskip(NEXT) | instid1(SALU_CYCLE_1)
	s_lshl_b64 s[12:13], s[10:11], 3
	s_add_nc_u64 s[8:9], s[8:9], s[12:13]
	s_load_b64 s[12:13], s[8:9], 0x0
	s_wait_xcnt 0x0
	s_bfe_u32 s8, s14, 0x10008
	s_delay_alu instid0(SALU_CYCLE_1)
	s_cmp_eq_u32 s8, 0
                                        ; implicit-def: $sgpr8_sgpr9
	s_cbranch_scc1 .LBB75_3
; %bb.2:
	s_load_b96 s[16:18], s[2:3], 0x18
	s_wait_kmcnt 0x0
	s_mul_u64 s[4:5], s[4:5], s[10:11]
	s_delay_alu instid0(SALU_CYCLE_1) | instskip(SKIP_4) | instid1(SALU_CYCLE_1)
	s_lshl_b64 s[4:5], s[4:5], 2
	s_ashr_i32 s9, s18, 31
	s_mov_b32 s8, s18
	s_add_nc_u64 s[4:5], s[16:17], s[4:5]
	s_lshl_b64 s[8:9], s[8:9], 2
	s_add_nc_u64 s[8:9], s[4:5], s[8:9]
.LBB75_3:
	s_clause 0x1
	s_load_b64 s[14:15], s[2:3], 0x8
	s_load_b32 s24, s[2:3], 0x38
	v_dual_mov_b32 v39, 0 :: v_dual_lshlrev_b32 v38, 4, v1
	s_mov_b32 s22, 16
	s_mov_b32 s21, 32
	s_mov_b32 s16, 48
	s_mov_b32 s17, 64
	s_movk_i32 s18, 0x60
	s_movk_i32 s19, 0x80
	;; [unrolled: 1-line block ×3, first 2 shown]
	s_wait_kmcnt 0x0
	s_ashr_i32 s3, s14, 31
	s_mov_b32 s2, s14
	v_add3_u32 v18, s15, s15, v1
	s_lshl_b64 s[2:3], s[2:3], 4
	s_movk_i32 s14, 0x90
	s_add_nc_u64 s[4:5], s[12:13], s[2:3]
	s_ashr_i32 s3, s15, 31
	flat_load_b128 v[2:5], v1, s[4:5] scale_offset
	v_add_nc_u64_e32 v[14:15], s[4:5], v[38:39]
	s_mov_b32 s2, s15
	v_add_nc_u32_e32 v20, s15, v18
	s_movk_i32 s12, 0x50
	s_movk_i32 s13, 0x70
	s_bitcmp0_b32 s24, 0
	s_delay_alu instid0(VALU_DEP_2) | instskip(SKIP_2) | instid1(VALU_DEP_1)
	v_lshl_add_u64 v[16:17], s[2:3], 4, v[14:15]
	v_add_nc_u32_e32 v22, s15, v20
	s_mov_b32 s3, -1
	v_add_nc_u32_e32 v24, s15, v22
	s_delay_alu instid0(VALU_DEP_1) | instskip(NEXT) | instid1(VALU_DEP_1)
	v_add_nc_u32_e32 v26, s15, v24
	v_add_nc_u32_e32 v28, s15, v26
	s_delay_alu instid0(VALU_DEP_1) | instskip(NEXT) | instid1(VALU_DEP_1)
	v_add_nc_u32_e32 v30, s15, v28
	;; [unrolled: 3-line block ×3, first 2 shown]
	v_add_nc_u32_e32 v36, s15, v34
	s_movk_i32 s15, 0xb0
	s_wait_loadcnt_dscnt 0x0
	scratch_store_b128 off, v[2:5], off
	flat_load_b128 v[2:5], v[16:17]
	s_wait_loadcnt_dscnt 0x0
	scratch_store_b128 off, v[2:5], off offset:16
	flat_load_b128 v[2:5], v18, s[4:5] scale_offset
	s_wait_loadcnt_dscnt 0x0
	scratch_store_b128 off, v[2:5], off offset:32
	flat_load_b128 v[2:5], v20, s[4:5] scale_offset
	;; [unrolled: 3-line block ×10, first 2 shown]
	s_wait_loadcnt_dscnt 0x0
	scratch_store_b128 off, v[2:5], off offset:176
	s_cbranch_scc1 .LBB75_60
; %bb.4:
	v_cmp_eq_u32_e64 s2, 0, v1
	s_wait_xcnt 0x0
	s_and_saveexec_b32 s3, s2
; %bb.5:
	v_mov_b32_e32 v2, 0
	ds_store_b32 v2, v2 offset:384
; %bb.6:
	s_or_b32 exec_lo, exec_lo, s3
	s_wait_storecnt_dscnt 0x0
	s_barrier_signal -1
	s_barrier_wait -1
	scratch_load_b128 v[2:5], v1, off scale_offset
	s_wait_loadcnt 0x0
	v_cmp_eq_f64_e32 vcc_lo, 0, v[2:3]
	v_cmp_eq_f64_e64 s3, 0, v[4:5]
	s_and_b32 s3, vcc_lo, s3
	s_delay_alu instid0(SALU_CYCLE_1)
	s_and_saveexec_b32 s24, s3
	s_cbranch_execz .LBB75_10
; %bb.7:
	v_mov_b32_e32 v2, 0
	s_mov_b32 s25, 0
	ds_load_b32 v3, v2 offset:384
	s_wait_dscnt 0x0
	v_readfirstlane_b32 s3, v3
	v_add_nc_u32_e32 v3, 1, v1
	s_cmp_eq_u32 s3, 0
	s_delay_alu instid0(VALU_DEP_1) | instskip(SKIP_1) | instid1(SALU_CYCLE_1)
	v_cmp_gt_i32_e32 vcc_lo, s3, v3
	s_cselect_b32 s26, -1, 0
	s_or_b32 s26, s26, vcc_lo
	s_delay_alu instid0(SALU_CYCLE_1)
	s_and_b32 exec_lo, exec_lo, s26
	s_cbranch_execz .LBB75_10
; %bb.8:
	v_mov_b32_e32 v4, s3
.LBB75_9:                               ; =>This Inner Loop Header: Depth=1
	ds_cmpstore_rtn_b32 v4, v2, v3, v4 offset:384
	s_wait_dscnt 0x0
	v_cmp_ne_u32_e32 vcc_lo, 0, v4
	v_cmp_le_i32_e64 s3, v4, v3
	s_and_b32 s3, vcc_lo, s3
	s_delay_alu instid0(SALU_CYCLE_1) | instskip(NEXT) | instid1(SALU_CYCLE_1)
	s_and_b32 s3, exec_lo, s3
	s_or_b32 s25, s3, s25
	s_delay_alu instid0(SALU_CYCLE_1)
	s_and_not1_b32 exec_lo, exec_lo, s25
	s_cbranch_execnz .LBB75_9
.LBB75_10:
	s_or_b32 exec_lo, exec_lo, s24
	v_mov_b32_e32 v2, 0
	s_barrier_signal -1
	s_barrier_wait -1
	ds_load_b32 v3, v2 offset:384
	s_and_saveexec_b32 s3, s2
	s_cbranch_execz .LBB75_12
; %bb.11:
	s_lshl_b64 s[24:25], s[10:11], 2
	s_delay_alu instid0(SALU_CYCLE_1)
	s_add_nc_u64 s[24:25], s[6:7], s[24:25]
	s_wait_dscnt 0x0
	global_store_b32 v2, v3, s[24:25]
.LBB75_12:
	s_wait_xcnt 0x0
	s_or_b32 exec_lo, exec_lo, s3
	s_wait_dscnt 0x0
	v_cmp_ne_u32_e32 vcc_lo, 0, v3
	s_mov_b32 s3, 0
	s_cbranch_vccnz .LBB75_60
; %bb.13:
	v_lshl_add_u32 v19, v1, 4, 0
                                        ; implicit-def: $vgpr6_vgpr7
                                        ; implicit-def: $vgpr10_vgpr11
	scratch_load_b128 v[2:5], v19, off
	s_wait_loadcnt 0x0
	v_cmp_ngt_f64_e64 s3, |v[2:3]|, |v[4:5]|
	s_wait_xcnt 0x0
	s_and_saveexec_b32 s24, s3
	s_delay_alu instid0(SALU_CYCLE_1)
	s_xor_b32 s3, exec_lo, s24
	s_cbranch_execz .LBB75_15
; %bb.14:
	v_div_scale_f64 v[6:7], null, v[4:5], v[4:5], v[2:3]
	v_div_scale_f64 v[12:13], vcc_lo, v[2:3], v[4:5], v[2:3]
	s_delay_alu instid0(VALU_DEP_2) | instskip(SKIP_1) | instid1(TRANS32_DEP_1)
	v_rcp_f64_e32 v[8:9], v[6:7]
	v_nop
	v_fma_f64 v[10:11], -v[6:7], v[8:9], 1.0
	s_delay_alu instid0(VALU_DEP_1) | instskip(NEXT) | instid1(VALU_DEP_1)
	v_fmac_f64_e32 v[8:9], v[8:9], v[10:11]
	v_fma_f64 v[10:11], -v[6:7], v[8:9], 1.0
	s_delay_alu instid0(VALU_DEP_1) | instskip(NEXT) | instid1(VALU_DEP_1)
	v_fmac_f64_e32 v[8:9], v[8:9], v[10:11]
	v_mul_f64_e32 v[10:11], v[12:13], v[8:9]
	s_delay_alu instid0(VALU_DEP_1) | instskip(NEXT) | instid1(VALU_DEP_1)
	v_fma_f64 v[6:7], -v[6:7], v[10:11], v[12:13]
	v_div_fmas_f64 v[6:7], v[6:7], v[8:9], v[10:11]
	s_delay_alu instid0(VALU_DEP_1) | instskip(NEXT) | instid1(VALU_DEP_1)
	v_div_fixup_f64 v[6:7], v[6:7], v[4:5], v[2:3]
	v_fmac_f64_e32 v[4:5], v[2:3], v[6:7]
	s_delay_alu instid0(VALU_DEP_1) | instskip(SKIP_1) | instid1(VALU_DEP_2)
	v_div_scale_f64 v[2:3], null, v[4:5], v[4:5], 1.0
	v_div_scale_f64 v[12:13], vcc_lo, 1.0, v[4:5], 1.0
	v_rcp_f64_e32 v[8:9], v[2:3]
	v_nop
	s_delay_alu instid0(TRANS32_DEP_1) | instskip(NEXT) | instid1(VALU_DEP_1)
	v_fma_f64 v[10:11], -v[2:3], v[8:9], 1.0
	v_fmac_f64_e32 v[8:9], v[8:9], v[10:11]
	s_delay_alu instid0(VALU_DEP_1) | instskip(NEXT) | instid1(VALU_DEP_1)
	v_fma_f64 v[10:11], -v[2:3], v[8:9], 1.0
	v_fmac_f64_e32 v[8:9], v[8:9], v[10:11]
	s_delay_alu instid0(VALU_DEP_1) | instskip(NEXT) | instid1(VALU_DEP_1)
	v_mul_f64_e32 v[10:11], v[12:13], v[8:9]
	v_fma_f64 v[2:3], -v[2:3], v[10:11], v[12:13]
	s_delay_alu instid0(VALU_DEP_1) | instskip(NEXT) | instid1(VALU_DEP_1)
	v_div_fmas_f64 v[2:3], v[2:3], v[8:9], v[10:11]
	v_div_fixup_f64 v[8:9], v[2:3], v[4:5], 1.0
                                        ; implicit-def: $vgpr2_vgpr3
	s_delay_alu instid0(VALU_DEP_1) | instskip(SKIP_1) | instid1(VALU_DEP_2)
	v_mul_f64_e32 v[6:7], v[6:7], v[8:9]
	v_xor_b32_e32 v9, 0x80000000, v9
	v_xor_b32_e32 v11, 0x80000000, v7
	s_delay_alu instid0(VALU_DEP_3)
	v_mov_b32_e32 v10, v6
.LBB75_15:
	s_and_not1_saveexec_b32 s3, s3
	s_cbranch_execz .LBB75_17
; %bb.16:
	v_div_scale_f64 v[6:7], null, v[2:3], v[2:3], v[4:5]
	v_div_scale_f64 v[12:13], vcc_lo, v[4:5], v[2:3], v[4:5]
	s_delay_alu instid0(VALU_DEP_2) | instskip(SKIP_1) | instid1(TRANS32_DEP_1)
	v_rcp_f64_e32 v[8:9], v[6:7]
	v_nop
	v_fma_f64 v[10:11], -v[6:7], v[8:9], 1.0
	s_delay_alu instid0(VALU_DEP_1) | instskip(NEXT) | instid1(VALU_DEP_1)
	v_fmac_f64_e32 v[8:9], v[8:9], v[10:11]
	v_fma_f64 v[10:11], -v[6:7], v[8:9], 1.0
	s_delay_alu instid0(VALU_DEP_1) | instskip(NEXT) | instid1(VALU_DEP_1)
	v_fmac_f64_e32 v[8:9], v[8:9], v[10:11]
	v_mul_f64_e32 v[10:11], v[12:13], v[8:9]
	s_delay_alu instid0(VALU_DEP_1) | instskip(NEXT) | instid1(VALU_DEP_1)
	v_fma_f64 v[6:7], -v[6:7], v[10:11], v[12:13]
	v_div_fmas_f64 v[6:7], v[6:7], v[8:9], v[10:11]
	s_delay_alu instid0(VALU_DEP_1) | instskip(NEXT) | instid1(VALU_DEP_1)
	v_div_fixup_f64 v[8:9], v[6:7], v[2:3], v[4:5]
	v_fmac_f64_e32 v[2:3], v[4:5], v[8:9]
	s_delay_alu instid0(VALU_DEP_1) | instskip(NEXT) | instid1(VALU_DEP_1)
	v_div_scale_f64 v[4:5], null, v[2:3], v[2:3], 1.0
	v_rcp_f64_e32 v[6:7], v[4:5]
	v_nop
	s_delay_alu instid0(TRANS32_DEP_1) | instskip(NEXT) | instid1(VALU_DEP_1)
	v_fma_f64 v[10:11], -v[4:5], v[6:7], 1.0
	v_fmac_f64_e32 v[6:7], v[6:7], v[10:11]
	s_delay_alu instid0(VALU_DEP_1) | instskip(NEXT) | instid1(VALU_DEP_1)
	v_fma_f64 v[10:11], -v[4:5], v[6:7], 1.0
	v_fmac_f64_e32 v[6:7], v[6:7], v[10:11]
	v_div_scale_f64 v[10:11], vcc_lo, 1.0, v[2:3], 1.0
	s_delay_alu instid0(VALU_DEP_1) | instskip(NEXT) | instid1(VALU_DEP_1)
	v_mul_f64_e32 v[12:13], v[10:11], v[6:7]
	v_fma_f64 v[4:5], -v[4:5], v[12:13], v[10:11]
	s_delay_alu instid0(VALU_DEP_1) | instskip(NEXT) | instid1(VALU_DEP_1)
	v_div_fmas_f64 v[4:5], v[4:5], v[6:7], v[12:13]
	v_div_fixup_f64 v[6:7], v[4:5], v[2:3], 1.0
	s_delay_alu instid0(VALU_DEP_1)
	v_mul_f64_e64 v[8:9], v[8:9], -v[6:7]
	v_xor_b32_e32 v11, 0x80000000, v7
	v_mov_b32_e32 v10, v6
.LBB75_17:
	s_or_b32 exec_lo, exec_lo, s3
	s_clause 0x1
	scratch_store_b128 v19, v[6:9], off
	scratch_load_b128 v[2:5], off, s22
	v_xor_b32_e32 v13, 0x80000000, v9
	v_mov_b32_e32 v12, v8
	s_wait_xcnt 0x1
	v_add_nc_u32_e32 v6, 0xc0, v38
	ds_store_b128 v38, v[10:13]
	s_wait_loadcnt 0x0
	ds_store_b128 v38, v[2:5] offset:192
	s_wait_storecnt_dscnt 0x0
	s_barrier_signal -1
	s_barrier_wait -1
	s_wait_xcnt 0x0
	s_and_saveexec_b32 s3, s2
	s_cbranch_execz .LBB75_19
; %bb.18:
	scratch_load_b128 v[2:5], v19, off
	ds_load_b128 v[8:11], v6
	v_mov_b32_e32 v7, 0
	ds_load_b128 v[40:43], v7 offset:16
	s_wait_loadcnt_dscnt 0x1
	v_mul_f64_e32 v[12:13], v[8:9], v[4:5]
	v_mul_f64_e32 v[4:5], v[10:11], v[4:5]
	s_delay_alu instid0(VALU_DEP_2) | instskip(NEXT) | instid1(VALU_DEP_2)
	v_fmac_f64_e32 v[12:13], v[10:11], v[2:3]
	v_fma_f64 v[2:3], v[8:9], v[2:3], -v[4:5]
	s_delay_alu instid0(VALU_DEP_2) | instskip(NEXT) | instid1(VALU_DEP_2)
	v_add_f64_e32 v[8:9], 0, v[12:13]
	v_add_f64_e32 v[2:3], 0, v[2:3]
	s_wait_dscnt 0x0
	s_delay_alu instid0(VALU_DEP_2) | instskip(NEXT) | instid1(VALU_DEP_2)
	v_mul_f64_e32 v[10:11], v[8:9], v[42:43]
	v_mul_f64_e32 v[4:5], v[2:3], v[42:43]
	s_delay_alu instid0(VALU_DEP_2) | instskip(NEXT) | instid1(VALU_DEP_2)
	v_fma_f64 v[2:3], v[2:3], v[40:41], -v[10:11]
	v_fmac_f64_e32 v[4:5], v[8:9], v[40:41]
	scratch_store_b128 off, v[2:5], off offset:16
.LBB75_19:
	s_wait_xcnt 0x0
	s_or_b32 exec_lo, exec_lo, s3
	s_wait_storecnt 0x0
	s_barrier_signal -1
	s_barrier_wait -1
	scratch_load_b128 v[2:5], off, s21
	s_mov_b32 s3, exec_lo
	s_wait_loadcnt 0x0
	ds_store_b128 v6, v[2:5]
	s_wait_dscnt 0x0
	s_barrier_signal -1
	s_barrier_wait -1
	v_cmpx_gt_u32_e32 2, v1
	s_cbranch_execz .LBB75_23
; %bb.20:
	scratch_load_b128 v[2:5], v19, off
	ds_load_b128 v[8:11], v6
	s_wait_loadcnt_dscnt 0x0
	v_mul_f64_e32 v[12:13], v[10:11], v[4:5]
	v_mul_f64_e32 v[40:41], v[8:9], v[4:5]
	s_delay_alu instid0(VALU_DEP_2) | instskip(NEXT) | instid1(VALU_DEP_2)
	v_fma_f64 v[4:5], v[8:9], v[2:3], -v[12:13]
	v_fmac_f64_e32 v[40:41], v[10:11], v[2:3]
	s_delay_alu instid0(VALU_DEP_2) | instskip(NEXT) | instid1(VALU_DEP_2)
	v_add_f64_e32 v[4:5], 0, v[4:5]
	v_add_f64_e32 v[2:3], 0, v[40:41]
	s_and_saveexec_b32 s24, s2
	s_cbranch_execz .LBB75_22
; %bb.21:
	scratch_load_b128 v[8:11], off, off offset:16
	v_mov_b32_e32 v7, 0
	ds_load_b128 v[40:43], v7 offset:208
	s_wait_loadcnt_dscnt 0x0
	v_mul_f64_e32 v[12:13], v[40:41], v[10:11]
	v_mul_f64_e32 v[10:11], v[42:43], v[10:11]
	s_delay_alu instid0(VALU_DEP_2) | instskip(NEXT) | instid1(VALU_DEP_2)
	v_fmac_f64_e32 v[12:13], v[42:43], v[8:9]
	v_fma_f64 v[8:9], v[40:41], v[8:9], -v[10:11]
	s_delay_alu instid0(VALU_DEP_2) | instskip(NEXT) | instid1(VALU_DEP_2)
	v_add_f64_e32 v[2:3], v[2:3], v[12:13]
	v_add_f64_e32 v[4:5], v[4:5], v[8:9]
.LBB75_22:
	s_or_b32 exec_lo, exec_lo, s24
	v_mov_b32_e32 v7, 0
	ds_load_b128 v[8:11], v7 offset:32
	s_wait_dscnt 0x0
	v_mul_f64_e32 v[40:41], v[2:3], v[10:11]
	v_mul_f64_e32 v[12:13], v[4:5], v[10:11]
	s_delay_alu instid0(VALU_DEP_2) | instskip(NEXT) | instid1(VALU_DEP_2)
	v_fma_f64 v[10:11], v[4:5], v[8:9], -v[40:41]
	v_fmac_f64_e32 v[12:13], v[2:3], v[8:9]
	scratch_store_b128 off, v[10:13], off offset:32
.LBB75_23:
	s_wait_xcnt 0x0
	s_or_b32 exec_lo, exec_lo, s3
	s_wait_storecnt 0x0
	s_barrier_signal -1
	s_barrier_wait -1
	scratch_load_b128 v[2:5], off, s16
	v_add_nc_u32_e32 v7, -1, v1
	s_mov_b32 s2, exec_lo
	s_wait_loadcnt 0x0
	ds_store_b128 v6, v[2:5]
	s_wait_dscnt 0x0
	s_barrier_signal -1
	s_barrier_wait -1
	v_cmpx_gt_u32_e32 3, v1
	s_cbranch_execz .LBB75_27
; %bb.24:
	v_dual_mov_b32 v10, v38 :: v_dual_add_nc_u32 v8, -1, v1
	v_mov_b64_e32 v[2:3], 0
	v_mov_b64_e32 v[4:5], 0
	v_add_nc_u32_e32 v9, 0xc0, v38
	s_delay_alu instid0(VALU_DEP_4)
	v_or_b32_e32 v10, 8, v10
	s_mov_b32 s3, 0
.LBB75_25:                              ; =>This Inner Loop Header: Depth=1
	scratch_load_b128 v[40:43], v10, off offset:-8
	ds_load_b128 v[44:47], v9
	v_dual_add_nc_u32 v8, 1, v8 :: v_dual_add_nc_u32 v9, 16, v9
	s_wait_xcnt 0x0
	v_add_nc_u32_e32 v10, 16, v10
	s_delay_alu instid0(VALU_DEP_2) | instskip(SKIP_4) | instid1(VALU_DEP_2)
	v_cmp_lt_u32_e32 vcc_lo, 1, v8
	s_or_b32 s3, vcc_lo, s3
	s_wait_loadcnt_dscnt 0x0
	v_mul_f64_e32 v[12:13], v[46:47], v[42:43]
	v_mul_f64_e32 v[42:43], v[44:45], v[42:43]
	v_fma_f64 v[12:13], v[44:45], v[40:41], -v[12:13]
	s_delay_alu instid0(VALU_DEP_2) | instskip(NEXT) | instid1(VALU_DEP_2)
	v_fmac_f64_e32 v[42:43], v[46:47], v[40:41]
	v_add_f64_e32 v[4:5], v[4:5], v[12:13]
	s_delay_alu instid0(VALU_DEP_2)
	v_add_f64_e32 v[2:3], v[2:3], v[42:43]
	s_and_not1_b32 exec_lo, exec_lo, s3
	s_cbranch_execnz .LBB75_25
; %bb.26:
	s_or_b32 exec_lo, exec_lo, s3
	v_mov_b32_e32 v8, 0
	ds_load_b128 v[8:11], v8 offset:48
	s_wait_dscnt 0x0
	v_mul_f64_e32 v[40:41], v[2:3], v[10:11]
	v_mul_f64_e32 v[12:13], v[4:5], v[10:11]
	s_delay_alu instid0(VALU_DEP_2) | instskip(NEXT) | instid1(VALU_DEP_2)
	v_fma_f64 v[10:11], v[4:5], v[8:9], -v[40:41]
	v_fmac_f64_e32 v[12:13], v[2:3], v[8:9]
	scratch_store_b128 off, v[10:13], off offset:48
.LBB75_27:
	s_wait_xcnt 0x0
	s_or_b32 exec_lo, exec_lo, s2
	s_wait_storecnt 0x0
	s_barrier_signal -1
	s_barrier_wait -1
	scratch_load_b128 v[2:5], off, s17
	s_mov_b32 s2, exec_lo
	s_wait_loadcnt 0x0
	ds_store_b128 v6, v[2:5]
	s_wait_dscnt 0x0
	s_barrier_signal -1
	s_barrier_wait -1
	v_cmpx_gt_u32_e32 4, v1
	s_cbranch_execz .LBB75_31
; %bb.28:
	v_dual_mov_b32 v10, v38 :: v_dual_add_nc_u32 v8, -1, v1
	v_mov_b64_e32 v[2:3], 0
	v_mov_b64_e32 v[4:5], 0
	v_add_nc_u32_e32 v9, 0xc0, v38
	s_delay_alu instid0(VALU_DEP_4)
	v_or_b32_e32 v10, 8, v10
	s_mov_b32 s3, 0
.LBB75_29:                              ; =>This Inner Loop Header: Depth=1
	scratch_load_b128 v[40:43], v10, off offset:-8
	ds_load_b128 v[44:47], v9
	v_dual_add_nc_u32 v8, 1, v8 :: v_dual_add_nc_u32 v9, 16, v9
	s_wait_xcnt 0x0
	v_add_nc_u32_e32 v10, 16, v10
	s_delay_alu instid0(VALU_DEP_2) | instskip(SKIP_4) | instid1(VALU_DEP_2)
	v_cmp_lt_u32_e32 vcc_lo, 2, v8
	s_or_b32 s3, vcc_lo, s3
	s_wait_loadcnt_dscnt 0x0
	v_mul_f64_e32 v[12:13], v[46:47], v[42:43]
	v_mul_f64_e32 v[42:43], v[44:45], v[42:43]
	v_fma_f64 v[12:13], v[44:45], v[40:41], -v[12:13]
	s_delay_alu instid0(VALU_DEP_2) | instskip(NEXT) | instid1(VALU_DEP_2)
	v_fmac_f64_e32 v[42:43], v[46:47], v[40:41]
	v_add_f64_e32 v[4:5], v[4:5], v[12:13]
	s_delay_alu instid0(VALU_DEP_2)
	v_add_f64_e32 v[2:3], v[2:3], v[42:43]
	s_and_not1_b32 exec_lo, exec_lo, s3
	s_cbranch_execnz .LBB75_29
; %bb.30:
	s_or_b32 exec_lo, exec_lo, s3
	v_mov_b32_e32 v8, 0
	ds_load_b128 v[8:11], v8 offset:64
	s_wait_dscnt 0x0
	v_mul_f64_e32 v[40:41], v[2:3], v[10:11]
	v_mul_f64_e32 v[12:13], v[4:5], v[10:11]
	s_delay_alu instid0(VALU_DEP_2) | instskip(NEXT) | instid1(VALU_DEP_2)
	v_fma_f64 v[10:11], v[4:5], v[8:9], -v[40:41]
	v_fmac_f64_e32 v[12:13], v[2:3], v[8:9]
	scratch_store_b128 off, v[10:13], off offset:64
.LBB75_31:
	s_wait_xcnt 0x0
	s_or_b32 exec_lo, exec_lo, s2
	s_wait_storecnt 0x0
	s_barrier_signal -1
	s_barrier_wait -1
	scratch_load_b128 v[2:5], off, s12
	;; [unrolled: 54-line block ×8, first 2 shown]
	s_mov_b32 s2, exec_lo
	s_wait_loadcnt 0x0
	ds_store_b128 v6, v[2:5]
	s_wait_dscnt 0x0
	s_barrier_signal -1
	s_barrier_wait -1
	v_cmpx_ne_u32_e32 11, v1
	s_cbranch_execz .LBB75_59
; %bb.56:
	v_mov_b32_e32 v8, v38
	v_mov_b64_e32 v[2:3], 0
	v_mov_b64_e32 v[4:5], 0
	s_mov_b32 s3, 0
	s_delay_alu instid0(VALU_DEP_3)
	v_or_b32_e32 v8, 8, v8
.LBB75_57:                              ; =>This Inner Loop Header: Depth=1
	scratch_load_b128 v[10:13], v8, off offset:-8
	ds_load_b128 v[38:41], v6
	v_dual_add_nc_u32 v7, 1, v7 :: v_dual_add_nc_u32 v6, 16, v6
	s_wait_xcnt 0x0
	v_add_nc_u32_e32 v8, 16, v8
	s_delay_alu instid0(VALU_DEP_2) | instskip(SKIP_4) | instid1(VALU_DEP_2)
	v_cmp_lt_u32_e32 vcc_lo, 9, v7
	s_or_b32 s3, vcc_lo, s3
	s_wait_loadcnt_dscnt 0x0
	v_mul_f64_e32 v[42:43], v[40:41], v[12:13]
	v_mul_f64_e32 v[12:13], v[38:39], v[12:13]
	v_fma_f64 v[38:39], v[38:39], v[10:11], -v[42:43]
	s_delay_alu instid0(VALU_DEP_2) | instskip(NEXT) | instid1(VALU_DEP_2)
	v_fmac_f64_e32 v[12:13], v[40:41], v[10:11]
	v_add_f64_e32 v[4:5], v[4:5], v[38:39]
	s_delay_alu instid0(VALU_DEP_2)
	v_add_f64_e32 v[2:3], v[2:3], v[12:13]
	s_and_not1_b32 exec_lo, exec_lo, s3
	s_cbranch_execnz .LBB75_57
; %bb.58:
	s_or_b32 exec_lo, exec_lo, s3
	v_mov_b32_e32 v6, 0
	ds_load_b128 v[6:9], v6 offset:176
	s_wait_dscnt 0x0
	v_mul_f64_e32 v[12:13], v[2:3], v[8:9]
	v_mul_f64_e32 v[10:11], v[4:5], v[8:9]
	s_delay_alu instid0(VALU_DEP_2) | instskip(NEXT) | instid1(VALU_DEP_2)
	v_fma_f64 v[8:9], v[4:5], v[6:7], -v[12:13]
	v_fmac_f64_e32 v[10:11], v[2:3], v[6:7]
	scratch_store_b128 off, v[8:11], off offset:176
.LBB75_59:
	s_wait_xcnt 0x0
	s_or_b32 exec_lo, exec_lo, s2
	s_mov_b32 s3, -1
	s_wait_storecnt 0x0
	s_barrier_signal -1
	s_barrier_wait -1
.LBB75_60:
	s_and_b32 vcc_lo, exec_lo, s3
	s_cbranch_vccz .LBB75_62
; %bb.61:
	s_wait_xcnt 0x0
	v_mov_b32_e32 v2, 0
	s_lshl_b64 s[2:3], s[10:11], 2
	s_delay_alu instid0(SALU_CYCLE_1)
	s_add_nc_u64 s[2:3], s[6:7], s[2:3]
	global_load_b32 v2, v2, s[2:3]
	s_wait_loadcnt 0x0
	v_cmp_ne_u32_e32 vcc_lo, 0, v2
	s_cbranch_vccz .LBB75_63
.LBB75_62:
	s_sendmsg sendmsg(MSG_DEALLOC_VGPRS)
	s_endpgm
.LBB75_63:
	v_lshl_add_u32 v6, v1, 4, 0xc0
	s_wait_xcnt 0x0
	s_mov_b32 s2, exec_lo
	v_cmpx_eq_u32_e32 11, v1
	s_cbranch_execz .LBB75_65
; %bb.64:
	scratch_load_b128 v[2:5], off, s20
	v_mov_b32_e32 v8, 0
	s_delay_alu instid0(VALU_DEP_1)
	v_dual_mov_b32 v9, v8 :: v_dual_mov_b32 v10, v8
	v_mov_b32_e32 v11, v8
	scratch_store_b128 off, v[8:11], off offset:160
	s_wait_loadcnt 0x0
	ds_store_b128 v6, v[2:5]
.LBB75_65:
	s_wait_xcnt 0x0
	s_or_b32 exec_lo, exec_lo, s2
	s_wait_storecnt_dscnt 0x0
	s_barrier_signal -1
	s_barrier_wait -1
	s_clause 0x1
	scratch_load_b128 v[8:11], off, off offset:176
	scratch_load_b128 v[38:41], off, off offset:160
	v_mov_b32_e32 v2, 0
	s_mov_b32 s2, exec_lo
	ds_load_b128 v[42:45], v2 offset:368
	s_wait_loadcnt_dscnt 0x100
	v_mul_f64_e32 v[4:5], v[44:45], v[10:11]
	v_mul_f64_e32 v[10:11], v[42:43], v[10:11]
	s_delay_alu instid0(VALU_DEP_2) | instskip(NEXT) | instid1(VALU_DEP_2)
	v_fma_f64 v[4:5], v[42:43], v[8:9], -v[4:5]
	v_fmac_f64_e32 v[10:11], v[44:45], v[8:9]
	s_delay_alu instid0(VALU_DEP_2) | instskip(NEXT) | instid1(VALU_DEP_2)
	v_add_f64_e32 v[4:5], 0, v[4:5]
	v_add_f64_e32 v[10:11], 0, v[10:11]
	s_wait_loadcnt 0x0
	s_delay_alu instid0(VALU_DEP_2) | instskip(NEXT) | instid1(VALU_DEP_2)
	v_add_f64_e64 v[8:9], v[38:39], -v[4:5]
	v_add_f64_e64 v[10:11], v[40:41], -v[10:11]
	scratch_store_b128 off, v[8:11], off offset:160
	s_wait_xcnt 0x0
	v_cmpx_lt_u32_e32 9, v1
	s_cbranch_execz .LBB75_67
; %bb.66:
	scratch_load_b128 v[8:11], off, s14
	v_dual_mov_b32 v3, v2 :: v_dual_mov_b32 v4, v2
	v_mov_b32_e32 v5, v2
	scratch_store_b128 off, v[2:5], off offset:144
	s_wait_loadcnt 0x0
	ds_store_b128 v6, v[8:11]
.LBB75_67:
	s_wait_xcnt 0x0
	s_or_b32 exec_lo, exec_lo, s2
	s_wait_storecnt_dscnt 0x0
	s_barrier_signal -1
	s_barrier_wait -1
	s_clause 0x2
	scratch_load_b128 v[8:11], off, off offset:160
	scratch_load_b128 v[38:41], off, off offset:176
	;; [unrolled: 1-line block ×3, first 2 shown]
	ds_load_b128 v[46:49], v2 offset:352
	ds_load_b128 v[2:5], v2 offset:368
	s_mov_b32 s2, exec_lo
	s_wait_loadcnt_dscnt 0x201
	v_mul_f64_e32 v[12:13], v[48:49], v[10:11]
	v_mul_f64_e32 v[10:11], v[46:47], v[10:11]
	s_wait_loadcnt_dscnt 0x100
	v_mul_f64_e32 v[50:51], v[2:3], v[40:41]
	v_mul_f64_e32 v[40:41], v[4:5], v[40:41]
	s_delay_alu instid0(VALU_DEP_4) | instskip(NEXT) | instid1(VALU_DEP_4)
	v_fma_f64 v[12:13], v[46:47], v[8:9], -v[12:13]
	v_fmac_f64_e32 v[10:11], v[48:49], v[8:9]
	s_delay_alu instid0(VALU_DEP_4) | instskip(NEXT) | instid1(VALU_DEP_4)
	v_fmac_f64_e32 v[50:51], v[4:5], v[38:39]
	v_fma_f64 v[2:3], v[2:3], v[38:39], -v[40:41]
	s_delay_alu instid0(VALU_DEP_4) | instskip(NEXT) | instid1(VALU_DEP_4)
	v_add_f64_e32 v[4:5], 0, v[12:13]
	v_add_f64_e32 v[8:9], 0, v[10:11]
	s_delay_alu instid0(VALU_DEP_2) | instskip(NEXT) | instid1(VALU_DEP_2)
	v_add_f64_e32 v[2:3], v[4:5], v[2:3]
	v_add_f64_e32 v[4:5], v[8:9], v[50:51]
	s_wait_loadcnt 0x0
	s_delay_alu instid0(VALU_DEP_2) | instskip(NEXT) | instid1(VALU_DEP_2)
	v_add_f64_e64 v[2:3], v[42:43], -v[2:3]
	v_add_f64_e64 v[4:5], v[44:45], -v[4:5]
	scratch_store_b128 off, v[2:5], off offset:144
	s_wait_xcnt 0x0
	v_cmpx_lt_u32_e32 8, v1
	s_cbranch_execz .LBB75_69
; %bb.68:
	scratch_load_b128 v[2:5], off, s19
	v_mov_b32_e32 v8, 0
	s_delay_alu instid0(VALU_DEP_1)
	v_dual_mov_b32 v9, v8 :: v_dual_mov_b32 v10, v8
	v_mov_b32_e32 v11, v8
	scratch_store_b128 off, v[8:11], off offset:128
	s_wait_loadcnt 0x0
	ds_store_b128 v6, v[2:5]
.LBB75_69:
	s_wait_xcnt 0x0
	s_or_b32 exec_lo, exec_lo, s2
	s_wait_storecnt_dscnt 0x0
	s_barrier_signal -1
	s_barrier_wait -1
	s_clause 0x3
	scratch_load_b128 v[8:11], off, off offset:144
	scratch_load_b128 v[38:41], off, off offset:160
	;; [unrolled: 1-line block ×4, first 2 shown]
	v_mov_b32_e32 v2, 0
	ds_load_b128 v[50:53], v2 offset:336
	ds_load_b128 v[54:57], v2 offset:352
	s_mov_b32 s2, exec_lo
	s_wait_loadcnt_dscnt 0x301
	v_mul_f64_e32 v[4:5], v[52:53], v[10:11]
	v_mul_f64_e32 v[12:13], v[50:51], v[10:11]
	s_wait_loadcnt_dscnt 0x200
	v_mul_f64_e32 v[58:59], v[54:55], v[40:41]
	v_mul_f64_e32 v[40:41], v[56:57], v[40:41]
	s_delay_alu instid0(VALU_DEP_4) | instskip(NEXT) | instid1(VALU_DEP_4)
	v_fma_f64 v[4:5], v[50:51], v[8:9], -v[4:5]
	v_fmac_f64_e32 v[12:13], v[52:53], v[8:9]
	ds_load_b128 v[8:11], v2 offset:368
	v_fmac_f64_e32 v[58:59], v[56:57], v[38:39]
	v_fma_f64 v[38:39], v[54:55], v[38:39], -v[40:41]
	s_wait_loadcnt_dscnt 0x100
	v_mul_f64_e32 v[50:51], v[8:9], v[44:45]
	v_mul_f64_e32 v[44:45], v[10:11], v[44:45]
	v_add_f64_e32 v[4:5], 0, v[4:5]
	v_add_f64_e32 v[12:13], 0, v[12:13]
	s_delay_alu instid0(VALU_DEP_4) | instskip(NEXT) | instid1(VALU_DEP_4)
	v_fmac_f64_e32 v[50:51], v[10:11], v[42:43]
	v_fma_f64 v[8:9], v[8:9], v[42:43], -v[44:45]
	s_delay_alu instid0(VALU_DEP_4) | instskip(NEXT) | instid1(VALU_DEP_4)
	v_add_f64_e32 v[4:5], v[4:5], v[38:39]
	v_add_f64_e32 v[10:11], v[12:13], v[58:59]
	s_delay_alu instid0(VALU_DEP_2) | instskip(NEXT) | instid1(VALU_DEP_2)
	v_add_f64_e32 v[4:5], v[4:5], v[8:9]
	v_add_f64_e32 v[10:11], v[10:11], v[50:51]
	s_wait_loadcnt 0x0
	s_delay_alu instid0(VALU_DEP_2) | instskip(NEXT) | instid1(VALU_DEP_2)
	v_add_f64_e64 v[8:9], v[46:47], -v[4:5]
	v_add_f64_e64 v[10:11], v[48:49], -v[10:11]
	scratch_store_b128 off, v[8:11], off offset:128
	s_wait_xcnt 0x0
	v_cmpx_lt_u32_e32 7, v1
	s_cbranch_execz .LBB75_71
; %bb.70:
	scratch_load_b128 v[8:11], off, s13
	v_dual_mov_b32 v3, v2 :: v_dual_mov_b32 v4, v2
	v_mov_b32_e32 v5, v2
	scratch_store_b128 off, v[2:5], off offset:112
	s_wait_loadcnt 0x0
	ds_store_b128 v6, v[8:11]
.LBB75_71:
	s_wait_xcnt 0x0
	s_or_b32 exec_lo, exec_lo, s2
	s_wait_storecnt_dscnt 0x0
	s_barrier_signal -1
	s_barrier_wait -1
	s_clause 0x4
	scratch_load_b128 v[8:11], off, off offset:128
	scratch_load_b128 v[38:41], off, off offset:144
	scratch_load_b128 v[42:45], off, off offset:160
	scratch_load_b128 v[46:49], off, off offset:176
	scratch_load_b128 v[50:53], off, off offset:112
	ds_load_b128 v[54:57], v2 offset:320
	ds_load_b128 v[58:61], v2 offset:336
	s_mov_b32 s2, exec_lo
	s_wait_loadcnt_dscnt 0x401
	v_mul_f64_e32 v[4:5], v[56:57], v[10:11]
	v_mul_f64_e32 v[12:13], v[54:55], v[10:11]
	s_wait_loadcnt_dscnt 0x300
	v_mul_f64_e32 v[62:63], v[58:59], v[40:41]
	v_mul_f64_e32 v[40:41], v[60:61], v[40:41]
	s_delay_alu instid0(VALU_DEP_4) | instskip(NEXT) | instid1(VALU_DEP_4)
	v_fma_f64 v[54:55], v[54:55], v[8:9], -v[4:5]
	v_fmac_f64_e32 v[12:13], v[56:57], v[8:9]
	ds_load_b128 v[8:11], v2 offset:352
	ds_load_b128 v[2:5], v2 offset:368
	v_fmac_f64_e32 v[62:63], v[60:61], v[38:39]
	v_fma_f64 v[38:39], v[58:59], v[38:39], -v[40:41]
	s_wait_loadcnt_dscnt 0x201
	v_mul_f64_e32 v[56:57], v[8:9], v[44:45]
	v_mul_f64_e32 v[44:45], v[10:11], v[44:45]
	v_add_f64_e32 v[40:41], 0, v[54:55]
	v_add_f64_e32 v[12:13], 0, v[12:13]
	s_wait_loadcnt_dscnt 0x100
	v_mul_f64_e32 v[54:55], v[2:3], v[48:49]
	v_mul_f64_e32 v[48:49], v[4:5], v[48:49]
	v_fmac_f64_e32 v[56:57], v[10:11], v[42:43]
	v_fma_f64 v[8:9], v[8:9], v[42:43], -v[44:45]
	v_add_f64_e32 v[10:11], v[40:41], v[38:39]
	v_add_f64_e32 v[12:13], v[12:13], v[62:63]
	v_fmac_f64_e32 v[54:55], v[4:5], v[46:47]
	v_fma_f64 v[2:3], v[2:3], v[46:47], -v[48:49]
	s_delay_alu instid0(VALU_DEP_4) | instskip(NEXT) | instid1(VALU_DEP_4)
	v_add_f64_e32 v[4:5], v[10:11], v[8:9]
	v_add_f64_e32 v[8:9], v[12:13], v[56:57]
	s_delay_alu instid0(VALU_DEP_2) | instskip(NEXT) | instid1(VALU_DEP_2)
	v_add_f64_e32 v[2:3], v[4:5], v[2:3]
	v_add_f64_e32 v[4:5], v[8:9], v[54:55]
	s_wait_loadcnt 0x0
	s_delay_alu instid0(VALU_DEP_2) | instskip(NEXT) | instid1(VALU_DEP_2)
	v_add_f64_e64 v[2:3], v[50:51], -v[2:3]
	v_add_f64_e64 v[4:5], v[52:53], -v[4:5]
	scratch_store_b128 off, v[2:5], off offset:112
	s_wait_xcnt 0x0
	v_cmpx_lt_u32_e32 6, v1
	s_cbranch_execz .LBB75_73
; %bb.72:
	scratch_load_b128 v[2:5], off, s18
	v_mov_b32_e32 v8, 0
	s_delay_alu instid0(VALU_DEP_1)
	v_dual_mov_b32 v9, v8 :: v_dual_mov_b32 v10, v8
	v_mov_b32_e32 v11, v8
	scratch_store_b128 off, v[8:11], off offset:96
	s_wait_loadcnt 0x0
	ds_store_b128 v6, v[2:5]
.LBB75_73:
	s_wait_xcnt 0x0
	s_or_b32 exec_lo, exec_lo, s2
	s_wait_storecnt_dscnt 0x0
	s_barrier_signal -1
	s_barrier_wait -1
	s_clause 0x5
	scratch_load_b128 v[8:11], off, off offset:112
	scratch_load_b128 v[38:41], off, off offset:128
	;; [unrolled: 1-line block ×6, first 2 shown]
	v_mov_b32_e32 v2, 0
	ds_load_b128 v[58:61], v2 offset:304
	ds_load_b128 v[62:65], v2 offset:320
	s_mov_b32 s2, exec_lo
	s_wait_loadcnt_dscnt 0x501
	v_mul_f64_e32 v[4:5], v[60:61], v[10:11]
	v_mul_f64_e32 v[12:13], v[58:59], v[10:11]
	s_wait_loadcnt_dscnt 0x400
	v_mul_f64_e32 v[66:67], v[62:63], v[40:41]
	v_mul_f64_e32 v[40:41], v[64:65], v[40:41]
	s_delay_alu instid0(VALU_DEP_4) | instskip(NEXT) | instid1(VALU_DEP_4)
	v_fma_f64 v[4:5], v[58:59], v[8:9], -v[4:5]
	v_fmac_f64_e32 v[12:13], v[60:61], v[8:9]
	ds_load_b128 v[8:11], v2 offset:336
	ds_load_b128 v[58:61], v2 offset:352
	v_fmac_f64_e32 v[66:67], v[64:65], v[38:39]
	v_fma_f64 v[38:39], v[62:63], v[38:39], -v[40:41]
	s_wait_loadcnt_dscnt 0x301
	v_mul_f64_e32 v[68:69], v[8:9], v[44:45]
	v_mul_f64_e32 v[44:45], v[10:11], v[44:45]
	s_wait_loadcnt_dscnt 0x200
	v_mul_f64_e32 v[40:41], v[58:59], v[48:49]
	v_mul_f64_e32 v[48:49], v[60:61], v[48:49]
	v_add_f64_e32 v[4:5], 0, v[4:5]
	v_add_f64_e32 v[12:13], 0, v[12:13]
	v_fmac_f64_e32 v[68:69], v[10:11], v[42:43]
	v_fma_f64 v[42:43], v[8:9], v[42:43], -v[44:45]
	ds_load_b128 v[8:11], v2 offset:368
	v_fmac_f64_e32 v[40:41], v[60:61], v[46:47]
	v_fma_f64 v[46:47], v[58:59], v[46:47], -v[48:49]
	v_add_f64_e32 v[4:5], v[4:5], v[38:39]
	v_add_f64_e32 v[12:13], v[12:13], v[66:67]
	s_wait_loadcnt_dscnt 0x100
	v_mul_f64_e32 v[38:39], v[8:9], v[52:53]
	v_mul_f64_e32 v[44:45], v[10:11], v[52:53]
	s_delay_alu instid0(VALU_DEP_4) | instskip(NEXT) | instid1(VALU_DEP_4)
	v_add_f64_e32 v[4:5], v[4:5], v[42:43]
	v_add_f64_e32 v[12:13], v[12:13], v[68:69]
	s_delay_alu instid0(VALU_DEP_4) | instskip(NEXT) | instid1(VALU_DEP_4)
	v_fmac_f64_e32 v[38:39], v[10:11], v[50:51]
	v_fma_f64 v[8:9], v[8:9], v[50:51], -v[44:45]
	s_delay_alu instid0(VALU_DEP_4) | instskip(NEXT) | instid1(VALU_DEP_4)
	v_add_f64_e32 v[4:5], v[4:5], v[46:47]
	v_add_f64_e32 v[10:11], v[12:13], v[40:41]
	s_delay_alu instid0(VALU_DEP_2) | instskip(NEXT) | instid1(VALU_DEP_2)
	v_add_f64_e32 v[4:5], v[4:5], v[8:9]
	v_add_f64_e32 v[10:11], v[10:11], v[38:39]
	s_wait_loadcnt 0x0
	s_delay_alu instid0(VALU_DEP_2) | instskip(NEXT) | instid1(VALU_DEP_2)
	v_add_f64_e64 v[8:9], v[54:55], -v[4:5]
	v_add_f64_e64 v[10:11], v[56:57], -v[10:11]
	scratch_store_b128 off, v[8:11], off offset:96
	s_wait_xcnt 0x0
	v_cmpx_lt_u32_e32 5, v1
	s_cbranch_execz .LBB75_75
; %bb.74:
	scratch_load_b128 v[8:11], off, s12
	v_dual_mov_b32 v3, v2 :: v_dual_mov_b32 v4, v2
	v_mov_b32_e32 v5, v2
	scratch_store_b128 off, v[2:5], off offset:80
	s_wait_loadcnt 0x0
	ds_store_b128 v6, v[8:11]
.LBB75_75:
	s_wait_xcnt 0x0
	s_or_b32 exec_lo, exec_lo, s2
	s_wait_storecnt_dscnt 0x0
	s_barrier_signal -1
	s_barrier_wait -1
	s_clause 0x6
	scratch_load_b128 v[8:11], off, off offset:96
	scratch_load_b128 v[38:41], off, off offset:112
	;; [unrolled: 1-line block ×7, first 2 shown]
	ds_load_b128 v[62:65], v2 offset:288
	ds_load_b128 v[66:69], v2 offset:304
	s_mov_b32 s2, exec_lo
	s_wait_loadcnt_dscnt 0x601
	v_mul_f64_e32 v[4:5], v[64:65], v[10:11]
	v_mul_f64_e32 v[12:13], v[62:63], v[10:11]
	s_wait_loadcnt_dscnt 0x500
	v_mul_f64_e32 v[70:71], v[66:67], v[40:41]
	v_mul_f64_e32 v[40:41], v[68:69], v[40:41]
	s_delay_alu instid0(VALU_DEP_4) | instskip(NEXT) | instid1(VALU_DEP_4)
	v_fma_f64 v[4:5], v[62:63], v[8:9], -v[4:5]
	v_fmac_f64_e32 v[12:13], v[64:65], v[8:9]
	ds_load_b128 v[8:11], v2 offset:320
	ds_load_b128 v[62:65], v2 offset:336
	v_fmac_f64_e32 v[70:71], v[68:69], v[38:39]
	v_fma_f64 v[38:39], v[66:67], v[38:39], -v[40:41]
	s_wait_loadcnt_dscnt 0x401
	v_mul_f64_e32 v[72:73], v[8:9], v[44:45]
	v_mul_f64_e32 v[44:45], v[10:11], v[44:45]
	s_wait_loadcnt_dscnt 0x300
	v_mul_f64_e32 v[40:41], v[62:63], v[48:49]
	v_mul_f64_e32 v[48:49], v[64:65], v[48:49]
	v_add_f64_e32 v[4:5], 0, v[4:5]
	v_add_f64_e32 v[12:13], 0, v[12:13]
	v_fmac_f64_e32 v[72:73], v[10:11], v[42:43]
	v_fma_f64 v[42:43], v[8:9], v[42:43], -v[44:45]
	v_fmac_f64_e32 v[40:41], v[64:65], v[46:47]
	v_fma_f64 v[46:47], v[62:63], v[46:47], -v[48:49]
	v_add_f64_e32 v[38:39], v[4:5], v[38:39]
	v_add_f64_e32 v[12:13], v[12:13], v[70:71]
	ds_load_b128 v[8:11], v2 offset:352
	ds_load_b128 v[2:5], v2 offset:368
	s_wait_loadcnt_dscnt 0x201
	v_mul_f64_e32 v[44:45], v[8:9], v[52:53]
	v_mul_f64_e32 v[52:53], v[10:11], v[52:53]
	s_wait_loadcnt_dscnt 0x100
	v_mul_f64_e32 v[48:49], v[4:5], v[56:57]
	v_add_f64_e32 v[38:39], v[38:39], v[42:43]
	v_add_f64_e32 v[12:13], v[12:13], v[72:73]
	v_mul_f64_e32 v[42:43], v[2:3], v[56:57]
	v_fmac_f64_e32 v[44:45], v[10:11], v[50:51]
	v_fma_f64 v[8:9], v[8:9], v[50:51], -v[52:53]
	v_fma_f64 v[2:3], v[2:3], v[54:55], -v[48:49]
	v_add_f64_e32 v[10:11], v[38:39], v[46:47]
	v_add_f64_e32 v[12:13], v[12:13], v[40:41]
	v_fmac_f64_e32 v[42:43], v[4:5], v[54:55]
	s_delay_alu instid0(VALU_DEP_3) | instskip(NEXT) | instid1(VALU_DEP_3)
	v_add_f64_e32 v[4:5], v[10:11], v[8:9]
	v_add_f64_e32 v[8:9], v[12:13], v[44:45]
	s_delay_alu instid0(VALU_DEP_2) | instskip(NEXT) | instid1(VALU_DEP_2)
	v_add_f64_e32 v[2:3], v[4:5], v[2:3]
	v_add_f64_e32 v[4:5], v[8:9], v[42:43]
	s_wait_loadcnt 0x0
	s_delay_alu instid0(VALU_DEP_2) | instskip(NEXT) | instid1(VALU_DEP_2)
	v_add_f64_e64 v[2:3], v[58:59], -v[2:3]
	v_add_f64_e64 v[4:5], v[60:61], -v[4:5]
	scratch_store_b128 off, v[2:5], off offset:80
	s_wait_xcnt 0x0
	v_cmpx_lt_u32_e32 4, v1
	s_cbranch_execz .LBB75_77
; %bb.76:
	scratch_load_b128 v[2:5], off, s17
	v_mov_b32_e32 v8, 0
	s_delay_alu instid0(VALU_DEP_1)
	v_dual_mov_b32 v9, v8 :: v_dual_mov_b32 v10, v8
	v_mov_b32_e32 v11, v8
	scratch_store_b128 off, v[8:11], off offset:64
	s_wait_loadcnt 0x0
	ds_store_b128 v6, v[2:5]
.LBB75_77:
	s_wait_xcnt 0x0
	s_or_b32 exec_lo, exec_lo, s2
	s_wait_storecnt_dscnt 0x0
	s_barrier_signal -1
	s_barrier_wait -1
	s_clause 0x7
	scratch_load_b128 v[8:11], off, off offset:80
	scratch_load_b128 v[38:41], off, off offset:96
	;; [unrolled: 1-line block ×8, first 2 shown]
	v_mov_b32_e32 v2, 0
	ds_load_b128 v[66:69], v2 offset:272
	ds_load_b128 v[70:73], v2 offset:288
	s_mov_b32 s2, exec_lo
	s_wait_loadcnt_dscnt 0x701
	v_mul_f64_e32 v[4:5], v[68:69], v[10:11]
	v_mul_f64_e32 v[12:13], v[66:67], v[10:11]
	s_wait_loadcnt_dscnt 0x600
	v_mul_f64_e32 v[74:75], v[70:71], v[40:41]
	v_mul_f64_e32 v[40:41], v[72:73], v[40:41]
	s_delay_alu instid0(VALU_DEP_4) | instskip(NEXT) | instid1(VALU_DEP_4)
	v_fma_f64 v[4:5], v[66:67], v[8:9], -v[4:5]
	v_fmac_f64_e32 v[12:13], v[68:69], v[8:9]
	ds_load_b128 v[8:11], v2 offset:304
	ds_load_b128 v[66:69], v2 offset:320
	v_fmac_f64_e32 v[74:75], v[72:73], v[38:39]
	v_fma_f64 v[38:39], v[70:71], v[38:39], -v[40:41]
	s_wait_loadcnt_dscnt 0x501
	v_mul_f64_e32 v[76:77], v[8:9], v[44:45]
	v_mul_f64_e32 v[44:45], v[10:11], v[44:45]
	s_wait_loadcnt_dscnt 0x400
	v_mul_f64_e32 v[70:71], v[66:67], v[48:49]
	v_mul_f64_e32 v[48:49], v[68:69], v[48:49]
	v_add_f64_e32 v[4:5], 0, v[4:5]
	v_add_f64_e32 v[12:13], 0, v[12:13]
	v_fmac_f64_e32 v[76:77], v[10:11], v[42:43]
	v_fma_f64 v[42:43], v[8:9], v[42:43], -v[44:45]
	v_fmac_f64_e32 v[70:71], v[68:69], v[46:47]
	v_fma_f64 v[46:47], v[66:67], v[46:47], -v[48:49]
	v_add_f64_e32 v[4:5], v[4:5], v[38:39]
	v_add_f64_e32 v[12:13], v[12:13], v[74:75]
	ds_load_b128 v[8:11], v2 offset:336
	ds_load_b128 v[38:41], v2 offset:352
	s_wait_loadcnt_dscnt 0x301
	v_mul_f64_e32 v[44:45], v[8:9], v[52:53]
	v_mul_f64_e32 v[52:53], v[10:11], v[52:53]
	s_wait_loadcnt_dscnt 0x200
	v_mul_f64_e32 v[48:49], v[40:41], v[56:57]
	v_add_f64_e32 v[4:5], v[4:5], v[42:43]
	v_add_f64_e32 v[12:13], v[12:13], v[76:77]
	v_mul_f64_e32 v[42:43], v[38:39], v[56:57]
	v_fmac_f64_e32 v[44:45], v[10:11], v[50:51]
	v_fma_f64 v[50:51], v[8:9], v[50:51], -v[52:53]
	ds_load_b128 v[8:11], v2 offset:368
	v_fma_f64 v[38:39], v[38:39], v[54:55], -v[48:49]
	v_add_f64_e32 v[4:5], v[4:5], v[46:47]
	v_add_f64_e32 v[12:13], v[12:13], v[70:71]
	v_fmac_f64_e32 v[42:43], v[40:41], v[54:55]
	s_wait_loadcnt_dscnt 0x100
	v_mul_f64_e32 v[46:47], v[8:9], v[60:61]
	v_mul_f64_e32 v[52:53], v[10:11], v[60:61]
	v_add_f64_e32 v[4:5], v[4:5], v[50:51]
	v_add_f64_e32 v[12:13], v[12:13], v[44:45]
	s_delay_alu instid0(VALU_DEP_4) | instskip(NEXT) | instid1(VALU_DEP_4)
	v_fmac_f64_e32 v[46:47], v[10:11], v[58:59]
	v_fma_f64 v[8:9], v[8:9], v[58:59], -v[52:53]
	s_delay_alu instid0(VALU_DEP_4) | instskip(NEXT) | instid1(VALU_DEP_4)
	v_add_f64_e32 v[4:5], v[4:5], v[38:39]
	v_add_f64_e32 v[10:11], v[12:13], v[42:43]
	s_delay_alu instid0(VALU_DEP_2) | instskip(NEXT) | instid1(VALU_DEP_2)
	v_add_f64_e32 v[4:5], v[4:5], v[8:9]
	v_add_f64_e32 v[10:11], v[10:11], v[46:47]
	s_wait_loadcnt 0x0
	s_delay_alu instid0(VALU_DEP_2) | instskip(NEXT) | instid1(VALU_DEP_2)
	v_add_f64_e64 v[8:9], v[62:63], -v[4:5]
	v_add_f64_e64 v[10:11], v[64:65], -v[10:11]
	scratch_store_b128 off, v[8:11], off offset:64
	s_wait_xcnt 0x0
	v_cmpx_lt_u32_e32 3, v1
	s_cbranch_execz .LBB75_79
; %bb.78:
	scratch_load_b128 v[8:11], off, s16
	v_dual_mov_b32 v3, v2 :: v_dual_mov_b32 v4, v2
	v_mov_b32_e32 v5, v2
	scratch_store_b128 off, v[2:5], off offset:48
	s_wait_loadcnt 0x0
	ds_store_b128 v6, v[8:11]
.LBB75_79:
	s_wait_xcnt 0x0
	s_or_b32 exec_lo, exec_lo, s2
	s_wait_storecnt_dscnt 0x0
	s_barrier_signal -1
	s_barrier_wait -1
	s_clause 0x7
	scratch_load_b128 v[8:11], off, off offset:64
	scratch_load_b128 v[38:41], off, off offset:80
	;; [unrolled: 1-line block ×8, first 2 shown]
	ds_load_b128 v[66:69], v2 offset:256
	ds_load_b128 v[70:73], v2 offset:272
	scratch_load_b128 v[74:77], off, off offset:48
	s_mov_b32 s2, exec_lo
	s_wait_loadcnt_dscnt 0x801
	v_mul_f64_e32 v[4:5], v[68:69], v[10:11]
	v_mul_f64_e32 v[12:13], v[66:67], v[10:11]
	s_wait_loadcnt_dscnt 0x700
	v_mul_f64_e32 v[78:79], v[70:71], v[40:41]
	v_mul_f64_e32 v[40:41], v[72:73], v[40:41]
	s_delay_alu instid0(VALU_DEP_4) | instskip(NEXT) | instid1(VALU_DEP_4)
	v_fma_f64 v[4:5], v[66:67], v[8:9], -v[4:5]
	v_fmac_f64_e32 v[12:13], v[68:69], v[8:9]
	ds_load_b128 v[8:11], v2 offset:288
	ds_load_b128 v[66:69], v2 offset:304
	v_fmac_f64_e32 v[78:79], v[72:73], v[38:39]
	v_fma_f64 v[38:39], v[70:71], v[38:39], -v[40:41]
	s_wait_loadcnt_dscnt 0x601
	v_mul_f64_e32 v[80:81], v[8:9], v[44:45]
	v_mul_f64_e32 v[44:45], v[10:11], v[44:45]
	s_wait_loadcnt_dscnt 0x500
	v_mul_f64_e32 v[70:71], v[66:67], v[48:49]
	v_mul_f64_e32 v[48:49], v[68:69], v[48:49]
	v_add_f64_e32 v[4:5], 0, v[4:5]
	v_add_f64_e32 v[12:13], 0, v[12:13]
	v_fmac_f64_e32 v[80:81], v[10:11], v[42:43]
	v_fma_f64 v[42:43], v[8:9], v[42:43], -v[44:45]
	v_fmac_f64_e32 v[70:71], v[68:69], v[46:47]
	v_fma_f64 v[46:47], v[66:67], v[46:47], -v[48:49]
	v_add_f64_e32 v[4:5], v[4:5], v[38:39]
	v_add_f64_e32 v[12:13], v[12:13], v[78:79]
	ds_load_b128 v[8:11], v2 offset:320
	ds_load_b128 v[38:41], v2 offset:336
	s_wait_loadcnt_dscnt 0x401
	v_mul_f64_e32 v[44:45], v[8:9], v[52:53]
	v_mul_f64_e32 v[52:53], v[10:11], v[52:53]
	s_wait_loadcnt_dscnt 0x300
	v_mul_f64_e32 v[48:49], v[40:41], v[56:57]
	v_add_f64_e32 v[4:5], v[4:5], v[42:43]
	v_add_f64_e32 v[12:13], v[12:13], v[80:81]
	v_mul_f64_e32 v[42:43], v[38:39], v[56:57]
	v_fmac_f64_e32 v[44:45], v[10:11], v[50:51]
	v_fma_f64 v[50:51], v[8:9], v[50:51], -v[52:53]
	v_fma_f64 v[38:39], v[38:39], v[54:55], -v[48:49]
	v_add_f64_e32 v[46:47], v[4:5], v[46:47]
	v_add_f64_e32 v[12:13], v[12:13], v[70:71]
	ds_load_b128 v[8:11], v2 offset:352
	ds_load_b128 v[2:5], v2 offset:368
	v_fmac_f64_e32 v[42:43], v[40:41], v[54:55]
	s_wait_loadcnt_dscnt 0x201
	v_mul_f64_e32 v[52:53], v[8:9], v[60:61]
	v_mul_f64_e32 v[56:57], v[10:11], v[60:61]
	v_add_f64_e32 v[40:41], v[46:47], v[50:51]
	v_add_f64_e32 v[12:13], v[12:13], v[44:45]
	s_wait_loadcnt_dscnt 0x100
	v_mul_f64_e32 v[44:45], v[2:3], v[64:65]
	v_mul_f64_e32 v[46:47], v[4:5], v[64:65]
	v_fmac_f64_e32 v[52:53], v[10:11], v[58:59]
	v_fma_f64 v[8:9], v[8:9], v[58:59], -v[56:57]
	v_add_f64_e32 v[10:11], v[40:41], v[38:39]
	v_add_f64_e32 v[12:13], v[12:13], v[42:43]
	v_fmac_f64_e32 v[44:45], v[4:5], v[62:63]
	v_fma_f64 v[2:3], v[2:3], v[62:63], -v[46:47]
	s_delay_alu instid0(VALU_DEP_4) | instskip(NEXT) | instid1(VALU_DEP_4)
	v_add_f64_e32 v[4:5], v[10:11], v[8:9]
	v_add_f64_e32 v[8:9], v[12:13], v[52:53]
	s_delay_alu instid0(VALU_DEP_2) | instskip(NEXT) | instid1(VALU_DEP_2)
	v_add_f64_e32 v[2:3], v[4:5], v[2:3]
	v_add_f64_e32 v[4:5], v[8:9], v[44:45]
	s_wait_loadcnt 0x0
	s_delay_alu instid0(VALU_DEP_2) | instskip(NEXT) | instid1(VALU_DEP_2)
	v_add_f64_e64 v[2:3], v[74:75], -v[2:3]
	v_add_f64_e64 v[4:5], v[76:77], -v[4:5]
	scratch_store_b128 off, v[2:5], off offset:48
	s_wait_xcnt 0x0
	v_cmpx_lt_u32_e32 2, v1
	s_cbranch_execz .LBB75_81
; %bb.80:
	scratch_load_b128 v[2:5], off, s21
	v_mov_b32_e32 v8, 0
	s_delay_alu instid0(VALU_DEP_1)
	v_dual_mov_b32 v9, v8 :: v_dual_mov_b32 v10, v8
	v_mov_b32_e32 v11, v8
	scratch_store_b128 off, v[8:11], off offset:32
	s_wait_loadcnt 0x0
	ds_store_b128 v6, v[2:5]
.LBB75_81:
	s_wait_xcnt 0x0
	s_or_b32 exec_lo, exec_lo, s2
	s_wait_storecnt_dscnt 0x0
	s_barrier_signal -1
	s_barrier_wait -1
	s_clause 0x8
	scratch_load_b128 v[8:11], off, off offset:48
	scratch_load_b128 v[38:41], off, off offset:64
	;; [unrolled: 1-line block ×9, first 2 shown]
	v_mov_b32_e32 v2, 0
	scratch_load_b128 v[74:77], off, off offset:32
	s_mov_b32 s2, exec_lo
	v_dual_ashrrev_i32 v21, 31, v20 :: v_dual_ashrrev_i32 v19, 31, v18
	ds_load_b128 v[70:73], v2 offset:240
	ds_load_b128 v[78:81], v2 offset:256
	v_ashrrev_i32_e32 v23, 31, v22
	v_dual_ashrrev_i32 v27, 31, v26 :: v_dual_ashrrev_i32 v25, 31, v24
	v_ashrrev_i32_e32 v31, 31, v30
	v_dual_ashrrev_i32 v35, 31, v34 :: v_dual_ashrrev_i32 v29, 31, v28
	v_ashrrev_i32_e32 v33, 31, v32
	s_wait_loadcnt_dscnt 0x901
	v_dual_mul_f64 v[4:5], v[72:73], v[10:11] :: v_dual_ashrrev_i32 v37, 31, v36
	v_mul_f64_e32 v[12:13], v[70:71], v[10:11]
	s_wait_loadcnt_dscnt 0x800
	v_mul_f64_e32 v[82:83], v[78:79], v[40:41]
	v_mul_f64_e32 v[40:41], v[80:81], v[40:41]
	s_delay_alu instid0(VALU_DEP_4) | instskip(NEXT) | instid1(VALU_DEP_4)
	v_fma_f64 v[4:5], v[70:71], v[8:9], -v[4:5]
	v_fmac_f64_e32 v[12:13], v[72:73], v[8:9]
	ds_load_b128 v[8:11], v2 offset:272
	ds_load_b128 v[70:73], v2 offset:288
	v_fmac_f64_e32 v[82:83], v[80:81], v[38:39]
	v_fma_f64 v[38:39], v[78:79], v[38:39], -v[40:41]
	s_wait_loadcnt_dscnt 0x701
	v_mul_f64_e32 v[84:85], v[8:9], v[44:45]
	v_mul_f64_e32 v[44:45], v[10:11], v[44:45]
	s_wait_loadcnt_dscnt 0x600
	v_mul_f64_e32 v[78:79], v[70:71], v[48:49]
	v_mul_f64_e32 v[48:49], v[72:73], v[48:49]
	v_add_f64_e32 v[4:5], 0, v[4:5]
	v_add_f64_e32 v[12:13], 0, v[12:13]
	v_fmac_f64_e32 v[84:85], v[10:11], v[42:43]
	v_fma_f64 v[42:43], v[8:9], v[42:43], -v[44:45]
	v_fmac_f64_e32 v[78:79], v[72:73], v[46:47]
	v_fma_f64 v[46:47], v[70:71], v[46:47], -v[48:49]
	v_add_f64_e32 v[4:5], v[4:5], v[38:39]
	v_add_f64_e32 v[12:13], v[12:13], v[82:83]
	ds_load_b128 v[8:11], v2 offset:304
	ds_load_b128 v[38:41], v2 offset:320
	s_wait_loadcnt_dscnt 0x501
	v_mul_f64_e32 v[80:81], v[8:9], v[52:53]
	v_mul_f64_e32 v[44:45], v[10:11], v[52:53]
	s_wait_loadcnt_dscnt 0x400
	v_mul_f64_e32 v[48:49], v[38:39], v[56:57]
	v_mul_f64_e32 v[52:53], v[40:41], v[56:57]
	v_add_f64_e32 v[4:5], v[4:5], v[42:43]
	v_add_f64_e32 v[12:13], v[12:13], v[84:85]
	v_fmac_f64_e32 v[80:81], v[10:11], v[50:51]
	v_fma_f64 v[50:51], v[8:9], v[50:51], -v[44:45]
	ds_load_b128 v[8:11], v2 offset:336
	ds_load_b128 v[42:45], v2 offset:352
	v_fmac_f64_e32 v[48:49], v[40:41], v[54:55]
	v_fma_f64 v[38:39], v[38:39], v[54:55], -v[52:53]
	v_add_f64_e32 v[4:5], v[4:5], v[46:47]
	v_add_f64_e32 v[12:13], v[12:13], v[78:79]
	s_wait_loadcnt_dscnt 0x301
	v_mul_f64_e32 v[46:47], v[8:9], v[60:61]
	v_mul_f64_e32 v[56:57], v[10:11], v[60:61]
	s_wait_loadcnt_dscnt 0x200
	v_mul_f64_e32 v[40:41], v[42:43], v[64:65]
	v_add_f64_e32 v[4:5], v[4:5], v[50:51]
	v_add_f64_e32 v[12:13], v[12:13], v[80:81]
	v_mul_f64_e32 v[50:51], v[44:45], v[64:65]
	v_fmac_f64_e32 v[46:47], v[10:11], v[58:59]
	v_fma_f64 v[52:53], v[8:9], v[58:59], -v[56:57]
	ds_load_b128 v[8:11], v2 offset:368
	v_fmac_f64_e32 v[40:41], v[44:45], v[62:63]
	v_add_f64_e32 v[4:5], v[4:5], v[38:39]
	v_add_f64_e32 v[12:13], v[12:13], v[48:49]
	s_wait_loadcnt_dscnt 0x100
	v_mul_f64_e32 v[38:39], v[8:9], v[68:69]
	v_mul_f64_e32 v[48:49], v[10:11], v[68:69]
	v_fma_f64 v[42:43], v[42:43], v[62:63], -v[50:51]
	v_add_f64_e32 v[4:5], v[4:5], v[52:53]
	v_add_f64_e32 v[12:13], v[12:13], v[46:47]
	v_fmac_f64_e32 v[38:39], v[10:11], v[66:67]
	v_fma_f64 v[8:9], v[8:9], v[66:67], -v[48:49]
	s_delay_alu instid0(VALU_DEP_4) | instskip(NEXT) | instid1(VALU_DEP_4)
	v_add_f64_e32 v[4:5], v[4:5], v[42:43]
	v_add_f64_e32 v[10:11], v[12:13], v[40:41]
	s_delay_alu instid0(VALU_DEP_2) | instskip(NEXT) | instid1(VALU_DEP_2)
	v_add_f64_e32 v[4:5], v[4:5], v[8:9]
	v_add_f64_e32 v[10:11], v[10:11], v[38:39]
	s_wait_loadcnt 0x0
	s_delay_alu instid0(VALU_DEP_2) | instskip(NEXT) | instid1(VALU_DEP_2)
	v_add_f64_e64 v[8:9], v[74:75], -v[4:5]
	v_add_f64_e64 v[10:11], v[76:77], -v[10:11]
	scratch_store_b128 off, v[8:11], off offset:32
	s_wait_xcnt 0x0
	v_cmpx_lt_u32_e32 1, v1
	s_cbranch_execz .LBB75_83
; %bb.82:
	scratch_load_b128 v[8:11], off, s22
	v_dual_mov_b32 v3, v2 :: v_dual_mov_b32 v4, v2
	v_mov_b32_e32 v5, v2
	scratch_store_b128 off, v[2:5], off offset:16
	s_wait_loadcnt 0x0
	ds_store_b128 v6, v[8:11]
.LBB75_83:
	s_wait_xcnt 0x0
	s_or_b32 exec_lo, exec_lo, s2
	s_wait_storecnt_dscnt 0x0
	s_barrier_signal -1
	s_barrier_wait -1
	s_clause 0x9
	scratch_load_b128 v[8:11], off, off offset:32
	scratch_load_b128 v[38:41], off, off offset:48
	;; [unrolled: 1-line block ×10, first 2 shown]
	ds_load_b128 v[74:77], v2 offset:224
	ds_load_b128 v[78:81], v2 offset:240
	scratch_load_b128 v[82:85], off, off offset:16
	s_mov_b32 s2, exec_lo
	s_wait_loadcnt_dscnt 0xa01
	v_mul_f64_e32 v[4:5], v[76:77], v[10:11]
	v_mul_f64_e32 v[12:13], v[74:75], v[10:11]
	s_wait_loadcnt_dscnt 0x900
	v_mul_f64_e32 v[86:87], v[78:79], v[40:41]
	v_mul_f64_e32 v[40:41], v[80:81], v[40:41]
	s_delay_alu instid0(VALU_DEP_4) | instskip(NEXT) | instid1(VALU_DEP_4)
	v_fma_f64 v[4:5], v[74:75], v[8:9], -v[4:5]
	v_fmac_f64_e32 v[12:13], v[76:77], v[8:9]
	ds_load_b128 v[8:11], v2 offset:256
	ds_load_b128 v[74:77], v2 offset:272
	v_fmac_f64_e32 v[86:87], v[80:81], v[38:39]
	v_fma_f64 v[38:39], v[78:79], v[38:39], -v[40:41]
	s_wait_loadcnt_dscnt 0x801
	v_mul_f64_e32 v[88:89], v[8:9], v[44:45]
	v_mul_f64_e32 v[44:45], v[10:11], v[44:45]
	s_wait_loadcnt_dscnt 0x700
	v_mul_f64_e32 v[78:79], v[74:75], v[48:49]
	v_mul_f64_e32 v[48:49], v[76:77], v[48:49]
	v_add_f64_e32 v[4:5], 0, v[4:5]
	v_add_f64_e32 v[12:13], 0, v[12:13]
	v_fmac_f64_e32 v[88:89], v[10:11], v[42:43]
	v_fma_f64 v[42:43], v[8:9], v[42:43], -v[44:45]
	v_fmac_f64_e32 v[78:79], v[76:77], v[46:47]
	v_fma_f64 v[46:47], v[74:75], v[46:47], -v[48:49]
	v_add_f64_e32 v[4:5], v[4:5], v[38:39]
	v_add_f64_e32 v[12:13], v[12:13], v[86:87]
	ds_load_b128 v[8:11], v2 offset:288
	ds_load_b128 v[38:41], v2 offset:304
	s_wait_loadcnt_dscnt 0x601
	v_mul_f64_e32 v[80:81], v[8:9], v[52:53]
	v_mul_f64_e32 v[44:45], v[10:11], v[52:53]
	s_wait_loadcnt_dscnt 0x500
	v_mul_f64_e32 v[48:49], v[38:39], v[56:57]
	v_mul_f64_e32 v[52:53], v[40:41], v[56:57]
	v_add_f64_e32 v[4:5], v[4:5], v[42:43]
	v_add_f64_e32 v[12:13], v[12:13], v[88:89]
	v_fmac_f64_e32 v[80:81], v[10:11], v[50:51]
	v_fma_f64 v[50:51], v[8:9], v[50:51], -v[44:45]
	ds_load_b128 v[8:11], v2 offset:320
	ds_load_b128 v[42:45], v2 offset:336
	v_fmac_f64_e32 v[48:49], v[40:41], v[54:55]
	v_fma_f64 v[38:39], v[38:39], v[54:55], -v[52:53]
	v_add_f64_e32 v[4:5], v[4:5], v[46:47]
	v_add_f64_e32 v[12:13], v[12:13], v[78:79]
	s_wait_loadcnt_dscnt 0x401
	v_mul_f64_e32 v[46:47], v[8:9], v[60:61]
	v_mul_f64_e32 v[56:57], v[10:11], v[60:61]
	s_wait_loadcnt_dscnt 0x300
	v_mul_f64_e32 v[40:41], v[42:43], v[64:65]
	v_add_f64_e32 v[4:5], v[4:5], v[50:51]
	v_add_f64_e32 v[12:13], v[12:13], v[80:81]
	v_mul_f64_e32 v[50:51], v[44:45], v[64:65]
	v_fmac_f64_e32 v[46:47], v[10:11], v[58:59]
	v_fma_f64 v[52:53], v[8:9], v[58:59], -v[56:57]
	v_fmac_f64_e32 v[40:41], v[44:45], v[62:63]
	v_add_f64_e32 v[38:39], v[4:5], v[38:39]
	v_add_f64_e32 v[12:13], v[12:13], v[48:49]
	ds_load_b128 v[8:11], v2 offset:352
	ds_load_b128 v[2:5], v2 offset:368
	v_fma_f64 v[42:43], v[42:43], v[62:63], -v[50:51]
	s_wait_loadcnt_dscnt 0x201
	v_mul_f64_e32 v[48:49], v[8:9], v[68:69]
	v_mul_f64_e32 v[54:55], v[10:11], v[68:69]
	s_wait_loadcnt_dscnt 0x100
	v_mul_f64_e32 v[44:45], v[2:3], v[72:73]
	v_add_f64_e32 v[38:39], v[38:39], v[52:53]
	v_add_f64_e32 v[12:13], v[12:13], v[46:47]
	v_mul_f64_e32 v[46:47], v[4:5], v[72:73]
	v_fmac_f64_e32 v[48:49], v[10:11], v[66:67]
	v_fma_f64 v[8:9], v[8:9], v[66:67], -v[54:55]
	v_fmac_f64_e32 v[44:45], v[4:5], v[70:71]
	v_add_f64_e32 v[10:11], v[38:39], v[42:43]
	v_add_f64_e32 v[12:13], v[12:13], v[40:41]
	v_fma_f64 v[2:3], v[2:3], v[70:71], -v[46:47]
	s_delay_alu instid0(VALU_DEP_3) | instskip(NEXT) | instid1(VALU_DEP_3)
	v_add_f64_e32 v[4:5], v[10:11], v[8:9]
	v_add_f64_e32 v[8:9], v[12:13], v[48:49]
	s_delay_alu instid0(VALU_DEP_2) | instskip(NEXT) | instid1(VALU_DEP_2)
	v_add_f64_e32 v[2:3], v[4:5], v[2:3]
	v_add_f64_e32 v[4:5], v[8:9], v[44:45]
	s_wait_loadcnt 0x0
	s_delay_alu instid0(VALU_DEP_2) | instskip(NEXT) | instid1(VALU_DEP_2)
	v_add_f64_e64 v[2:3], v[82:83], -v[2:3]
	v_add_f64_e64 v[4:5], v[84:85], -v[4:5]
	scratch_store_b128 off, v[2:5], off offset:16
	s_wait_xcnt 0x0
	v_cmpx_ne_u32_e32 0, v1
	s_cbranch_execz .LBB75_85
; %bb.84:
	scratch_load_b128 v[2:5], off, off
	v_mov_b32_e32 v8, 0
	s_delay_alu instid0(VALU_DEP_1)
	v_dual_mov_b32 v9, v8 :: v_dual_mov_b32 v10, v8
	v_mov_b32_e32 v11, v8
	scratch_store_b128 off, v[8:11], off
	s_wait_loadcnt 0x0
	ds_store_b128 v6, v[2:5]
.LBB75_85:
	s_wait_xcnt 0x0
	s_or_b32 exec_lo, exec_lo, s2
	s_wait_storecnt_dscnt 0x0
	s_barrier_signal -1
	s_barrier_wait -1
	s_clause 0x9
	scratch_load_b128 v[2:5], off, off offset:16
	scratch_load_b128 v[6:9], off, off offset:32
	;; [unrolled: 1-line block ×10, first 2 shown]
	v_mov_b32_e32 v42, 0
	s_and_b32 vcc_lo, exec_lo, s23
	ds_load_b128 v[68:71], v42 offset:208
	s_clause 0x1
	scratch_load_b128 v[72:75], off, off offset:176
	scratch_load_b128 v[76:79], off, off
	s_wait_loadcnt_dscnt 0xb00
	v_mul_f64_e32 v[84:85], v[70:71], v[4:5]
	v_mul_f64_e32 v[86:87], v[68:69], v[4:5]
	ds_load_b128 v[80:83], v42 offset:224
	s_wait_loadcnt_dscnt 0xa00
	v_mul_f64_e32 v[88:89], v[80:81], v[8:9]
	v_mul_f64_e32 v[8:9], v[82:83], v[8:9]
	v_fma_f64 v[84:85], v[68:69], v[2:3], -v[84:85]
	v_fmac_f64_e32 v[86:87], v[70:71], v[2:3]
	ds_load_b128 v[2:5], v42 offset:240
	ds_load_b128 v[68:71], v42 offset:256
	s_wait_loadcnt_dscnt 0x901
	v_mul_f64_e32 v[90:91], v[2:3], v[12:13]
	v_mul_f64_e32 v[12:13], v[4:5], v[12:13]
	v_fmac_f64_e32 v[88:89], v[82:83], v[6:7]
	v_fma_f64 v[6:7], v[80:81], v[6:7], -v[8:9]
	s_wait_loadcnt_dscnt 0x800
	v_mul_f64_e32 v[82:83], v[68:69], v[40:41]
	v_mul_f64_e32 v[40:41], v[70:71], v[40:41]
	v_add_f64_e32 v[8:9], 0, v[84:85]
	v_add_f64_e32 v[80:81], 0, v[86:87]
	v_fmac_f64_e32 v[90:91], v[4:5], v[10:11]
	v_fma_f64 v[10:11], v[2:3], v[10:11], -v[12:13]
	v_fmac_f64_e32 v[82:83], v[70:71], v[38:39]
	v_fma_f64 v[38:39], v[68:69], v[38:39], -v[40:41]
	v_add_f64_e32 v[12:13], v[8:9], v[6:7]
	v_add_f64_e32 v[80:81], v[80:81], v[88:89]
	ds_load_b128 v[2:5], v42 offset:272
	ds_load_b128 v[6:9], v42 offset:288
	s_wait_loadcnt_dscnt 0x701
	v_mul_f64_e32 v[84:85], v[2:3], v[46:47]
	v_mul_f64_e32 v[46:47], v[4:5], v[46:47]
	s_wait_loadcnt_dscnt 0x600
	v_mul_f64_e32 v[40:41], v[6:7], v[50:51]
	v_mul_f64_e32 v[50:51], v[8:9], v[50:51]
	v_add_f64_e32 v[10:11], v[12:13], v[10:11]
	v_add_f64_e32 v[12:13], v[80:81], v[90:91]
	v_fmac_f64_e32 v[84:85], v[4:5], v[44:45]
	v_fma_f64 v[44:45], v[2:3], v[44:45], -v[46:47]
	v_fmac_f64_e32 v[40:41], v[8:9], v[48:49]
	v_fma_f64 v[6:7], v[6:7], v[48:49], -v[50:51]
	v_add_f64_e32 v[38:39], v[10:11], v[38:39]
	v_add_f64_e32 v[46:47], v[12:13], v[82:83]
	ds_load_b128 v[2:5], v42 offset:304
	ds_load_b128 v[10:13], v42 offset:320
	s_wait_loadcnt_dscnt 0x501
	v_mul_f64_e32 v[68:69], v[2:3], v[54:55]
	v_mul_f64_e32 v[54:55], v[4:5], v[54:55]
	v_add_f64_e32 v[8:9], v[38:39], v[44:45]
	v_add_f64_e32 v[38:39], v[46:47], v[84:85]
	s_wait_loadcnt_dscnt 0x400
	v_mul_f64_e32 v[44:45], v[10:11], v[58:59]
	v_mul_f64_e32 v[46:47], v[12:13], v[58:59]
	v_fmac_f64_e32 v[68:69], v[4:5], v[52:53]
	v_fma_f64 v[48:49], v[2:3], v[52:53], -v[54:55]
	v_add_f64_e32 v[50:51], v[8:9], v[6:7]
	v_add_f64_e32 v[38:39], v[38:39], v[40:41]
	ds_load_b128 v[2:5], v42 offset:336
	ds_load_b128 v[6:9], v42 offset:352
	v_fmac_f64_e32 v[44:45], v[12:13], v[56:57]
	v_fma_f64 v[10:11], v[10:11], v[56:57], -v[46:47]
	s_wait_loadcnt_dscnt 0x301
	v_mul_f64_e32 v[40:41], v[2:3], v[62:63]
	v_mul_f64_e32 v[52:53], v[4:5], v[62:63]
	s_wait_loadcnt_dscnt 0x200
	v_mul_f64_e32 v[46:47], v[6:7], v[66:67]
	v_add_f64_e32 v[12:13], v[50:51], v[48:49]
	v_add_f64_e32 v[38:39], v[38:39], v[68:69]
	v_mul_f64_e32 v[48:49], v[8:9], v[66:67]
	v_fmac_f64_e32 v[40:41], v[4:5], v[60:61]
	v_fma_f64 v[50:51], v[2:3], v[60:61], -v[52:53]
	ds_load_b128 v[2:5], v42 offset:368
	v_fmac_f64_e32 v[46:47], v[8:9], v[64:65]
	v_add_f64_e32 v[10:11], v[12:13], v[10:11]
	v_add_f64_e32 v[12:13], v[38:39], v[44:45]
	v_fma_f64 v[6:7], v[6:7], v[64:65], -v[48:49]
	s_wait_loadcnt_dscnt 0x100
	v_mul_f64_e32 v[38:39], v[2:3], v[74:75]
	v_mul_f64_e32 v[44:45], v[4:5], v[74:75]
	v_add_f64_e32 v[8:9], v[10:11], v[50:51]
	v_add_f64_e32 v[10:11], v[12:13], v[40:41]
	v_lshl_add_u64 v[40:41], v[18:19], 4, s[4:5]
	v_lshl_add_u64 v[18:19], v[24:25], 4, s[4:5]
	;; [unrolled: 1-line block ×3, first 2 shown]
	v_fmac_f64_e32 v[38:39], v[4:5], v[72:73]
	v_fma_f64 v[2:3], v[2:3], v[72:73], -v[44:45]
	v_add_f64_e32 v[4:5], v[8:9], v[6:7]
	v_add_f64_e32 v[6:7], v[10:11], v[46:47]
	v_lshl_add_u64 v[10:11], v[28:29], 4, s[4:5]
	v_lshl_add_u64 v[8:9], v[30:31], 4, s[4:5]
	s_delay_alu instid0(VALU_DEP_4) | instskip(NEXT) | instid1(VALU_DEP_4)
	v_add_f64_e32 v[2:3], v[4:5], v[2:3]
	v_add_f64_e32 v[4:5], v[6:7], v[38:39]
	v_lshl_add_u64 v[38:39], v[20:21], 4, s[4:5]
	v_lshl_add_u64 v[20:21], v[22:23], 4, s[4:5]
	;; [unrolled: 1-line block ×3, first 2 shown]
	s_wait_loadcnt 0x0
	v_add_f64_e64 v[44:45], v[76:77], -v[2:3]
	v_add_f64_e64 v[46:47], v[78:79], -v[4:5]
	v_lshl_add_u64 v[4:5], v[34:35], 4, s[4:5]
	v_lshl_add_u64 v[2:3], v[36:37], 4, s[4:5]
	scratch_store_b128 off, v[44:47], off
	s_cbranch_vccz .LBB75_108
; %bb.86:
	global_load_b32 v22, v42, s[8:9] offset:40
	s_load_b64 s[2:3], s[0:1], 0x4
	v_bfe_u32 v23, v0, 10, 10
	v_bfe_u32 v0, v0, 20, 10
	s_wait_kmcnt 0x0
	s_lshr_b32 s0, s2, 16
	s_delay_alu instid0(VALU_DEP_2) | instskip(SKIP_1) | instid1(SALU_CYCLE_1)
	v_mul_u32_u24_e32 v23, s3, v23
	s_mul_i32 s0, s0, s3
	v_mul_u32_u24_e32 v1, s0, v1
	s_delay_alu instid0(VALU_DEP_1) | instskip(NEXT) | instid1(VALU_DEP_1)
	v_add3_u32 v0, v1, v23, v0
	v_lshl_add_u32 v0, v0, 4, 0x188
	s_wait_loadcnt 0x0
	v_cmp_ne_u32_e32 vcc_lo, 11, v22
	s_cbranch_vccz .LBB75_88
; %bb.87:
	v_lshlrev_b32_e32 v1, 4, v22
	s_clause 0x1
	scratch_load_b128 v[22:25], off, s20
	scratch_load_b128 v[26:29], v1, off offset:-16
	s_wait_loadcnt 0x1
	ds_store_2addr_b64 v0, v[22:23], v[24:25] offset1:1
	s_wait_loadcnt 0x0
	s_clause 0x1
	scratch_store_b128 off, v[26:29], s20
	scratch_store_b128 v1, v[22:25], off offset:-16
.LBB75_88:
	s_wait_xcnt 0x0
	v_mov_b32_e32 v1, 0
	global_load_b32 v22, v1, s[8:9] offset:36
	s_wait_loadcnt 0x0
	v_cmp_eq_u32_e32 vcc_lo, 10, v22
	s_cbranch_vccnz .LBB75_90
; %bb.89:
	v_lshlrev_b32_e32 v22, 4, v22
	s_delay_alu instid0(VALU_DEP_1)
	v_mov_b32_e32 v30, v22
	s_clause 0x1
	scratch_load_b128 v[22:25], off, s14
	scratch_load_b128 v[26:29], v30, off offset:-16
	s_wait_loadcnt 0x1
	ds_store_2addr_b64 v0, v[22:23], v[24:25] offset1:1
	s_wait_loadcnt 0x0
	s_clause 0x1
	scratch_store_b128 off, v[26:29], s14
	scratch_store_b128 v30, v[22:25], off offset:-16
.LBB75_90:
	global_load_b32 v1, v1, s[8:9] offset:32
	s_wait_loadcnt 0x0
	v_cmp_eq_u32_e32 vcc_lo, 9, v1
	s_cbranch_vccnz .LBB75_92
; %bb.91:
	s_wait_xcnt 0x0
	v_lshlrev_b32_e32 v1, 4, v1
	s_clause 0x1
	scratch_load_b128 v[22:25], off, s19
	scratch_load_b128 v[26:29], v1, off offset:-16
	s_wait_loadcnt 0x1
	ds_store_2addr_b64 v0, v[22:23], v[24:25] offset1:1
	s_wait_loadcnt 0x0
	s_clause 0x1
	scratch_store_b128 off, v[26:29], s19
	scratch_store_b128 v1, v[22:25], off offset:-16
.LBB75_92:
	s_wait_xcnt 0x0
	v_mov_b32_e32 v1, 0
	global_load_b32 v22, v1, s[8:9] offset:28
	s_wait_loadcnt 0x0
	v_cmp_eq_u32_e32 vcc_lo, 8, v22
	s_cbranch_vccnz .LBB75_94
; %bb.93:
	v_lshlrev_b32_e32 v22, 4, v22
	s_delay_alu instid0(VALU_DEP_1)
	v_mov_b32_e32 v30, v22
	s_clause 0x1
	scratch_load_b128 v[22:25], off, s13
	scratch_load_b128 v[26:29], v30, off offset:-16
	s_wait_loadcnt 0x1
	ds_store_2addr_b64 v0, v[22:23], v[24:25] offset1:1
	s_wait_loadcnt 0x0
	s_clause 0x1
	scratch_store_b128 off, v[26:29], s13
	scratch_store_b128 v30, v[22:25], off offset:-16
.LBB75_94:
	global_load_b32 v1, v1, s[8:9] offset:24
	s_wait_loadcnt 0x0
	v_cmp_eq_u32_e32 vcc_lo, 7, v1
	s_cbranch_vccnz .LBB75_96
; %bb.95:
	s_wait_xcnt 0x0
	v_lshlrev_b32_e32 v1, 4, v1
	s_clause 0x1
	scratch_load_b128 v[22:25], off, s18
	scratch_load_b128 v[26:29], v1, off offset:-16
	s_wait_loadcnt 0x1
	ds_store_2addr_b64 v0, v[22:23], v[24:25] offset1:1
	s_wait_loadcnt 0x0
	s_clause 0x1
	scratch_store_b128 off, v[26:29], s18
	scratch_store_b128 v1, v[22:25], off offset:-16
.LBB75_96:
	;; [unrolled: 37-line block ×4, first 2 shown]
	s_wait_xcnt 0x0
	v_mov_b32_e32 v1, 0
	global_load_b32 v22, v1, s[8:9] offset:4
	s_wait_loadcnt 0x0
	v_cmp_eq_u32_e32 vcc_lo, 2, v22
	s_cbranch_vccnz .LBB75_106
; %bb.105:
	v_lshlrev_b32_e32 v22, 4, v22
	s_delay_alu instid0(VALU_DEP_1)
	v_mov_b32_e32 v30, v22
	s_clause 0x1
	scratch_load_b128 v[22:25], off, s22
	scratch_load_b128 v[26:29], v30, off offset:-16
	s_wait_loadcnt 0x1
	ds_store_2addr_b64 v0, v[22:23], v[24:25] offset1:1
	s_wait_loadcnt 0x0
	s_clause 0x1
	scratch_store_b128 off, v[26:29], s22
	scratch_store_b128 v30, v[22:25], off offset:-16
.LBB75_106:
	global_load_b32 v1, v1, s[8:9]
	s_wait_loadcnt 0x0
	v_cmp_eq_u32_e32 vcc_lo, 1, v1
	s_cbranch_vccnz .LBB75_108
; %bb.107:
	s_wait_xcnt 0x0
	v_lshlrev_b32_e32 v1, 4, v1
	scratch_load_b128 v[22:25], off, off
	scratch_load_b128 v[26:29], v1, off offset:-16
	s_wait_loadcnt 0x1
	ds_store_2addr_b64 v0, v[22:23], v[24:25] offset1:1
	s_wait_loadcnt 0x0
	scratch_store_b128 off, v[26:29], off
	scratch_store_b128 v1, v[22:25], off offset:-16
.LBB75_108:
	scratch_load_b128 v[22:25], off, off
	s_wait_loadcnt 0x0
	flat_store_b128 v[14:15], v[22:25]
	scratch_load_b128 v[22:25], off, s22
	s_wait_loadcnt 0x0
	flat_store_b128 v[16:17], v[22:25]
	scratch_load_b128 v[14:17], off, s21
	;; [unrolled: 3-line block ×11, first 2 shown]
	s_wait_loadcnt 0x0
	flat_store_b128 v[2:3], v[4:7]
	s_sendmsg sendmsg(MSG_DEALLOC_VGPRS)
	s_endpgm
	.section	.rodata,"a",@progbits
	.p2align	6, 0x0
	.amdhsa_kernel _ZN9rocsolver6v33100L18getri_kernel_smallILi12E19rocblas_complex_numIdEPKPS3_EEvT1_iilPiilS8_bb
		.amdhsa_group_segment_fixed_size 1416
		.amdhsa_private_segment_fixed_size 208
		.amdhsa_kernarg_size 60
		.amdhsa_user_sgpr_count 4
		.amdhsa_user_sgpr_dispatch_ptr 1
		.amdhsa_user_sgpr_queue_ptr 0
		.amdhsa_user_sgpr_kernarg_segment_ptr 1
		.amdhsa_user_sgpr_dispatch_id 0
		.amdhsa_user_sgpr_kernarg_preload_length 0
		.amdhsa_user_sgpr_kernarg_preload_offset 0
		.amdhsa_user_sgpr_private_segment_size 0
		.amdhsa_wavefront_size32 1
		.amdhsa_uses_dynamic_stack 0
		.amdhsa_enable_private_segment 1
		.amdhsa_system_sgpr_workgroup_id_x 1
		.amdhsa_system_sgpr_workgroup_id_y 0
		.amdhsa_system_sgpr_workgroup_id_z 0
		.amdhsa_system_sgpr_workgroup_info 0
		.amdhsa_system_vgpr_workitem_id 2
		.amdhsa_next_free_vgpr 92
		.amdhsa_next_free_sgpr 27
		.amdhsa_named_barrier_count 0
		.amdhsa_reserve_vcc 1
		.amdhsa_float_round_mode_32 0
		.amdhsa_float_round_mode_16_64 0
		.amdhsa_float_denorm_mode_32 3
		.amdhsa_float_denorm_mode_16_64 3
		.amdhsa_fp16_overflow 0
		.amdhsa_memory_ordered 1
		.amdhsa_forward_progress 1
		.amdhsa_inst_pref_size 89
		.amdhsa_round_robin_scheduling 0
		.amdhsa_exception_fp_ieee_invalid_op 0
		.amdhsa_exception_fp_denorm_src 0
		.amdhsa_exception_fp_ieee_div_zero 0
		.amdhsa_exception_fp_ieee_overflow 0
		.amdhsa_exception_fp_ieee_underflow 0
		.amdhsa_exception_fp_ieee_inexact 0
		.amdhsa_exception_int_div_zero 0
	.end_amdhsa_kernel
	.section	.text._ZN9rocsolver6v33100L18getri_kernel_smallILi12E19rocblas_complex_numIdEPKPS3_EEvT1_iilPiilS8_bb,"axG",@progbits,_ZN9rocsolver6v33100L18getri_kernel_smallILi12E19rocblas_complex_numIdEPKPS3_EEvT1_iilPiilS8_bb,comdat
.Lfunc_end75:
	.size	_ZN9rocsolver6v33100L18getri_kernel_smallILi12E19rocblas_complex_numIdEPKPS3_EEvT1_iilPiilS8_bb, .Lfunc_end75-_ZN9rocsolver6v33100L18getri_kernel_smallILi12E19rocblas_complex_numIdEPKPS3_EEvT1_iilPiilS8_bb
                                        ; -- End function
	.set _ZN9rocsolver6v33100L18getri_kernel_smallILi12E19rocblas_complex_numIdEPKPS3_EEvT1_iilPiilS8_bb.num_vgpr, 92
	.set _ZN9rocsolver6v33100L18getri_kernel_smallILi12E19rocblas_complex_numIdEPKPS3_EEvT1_iilPiilS8_bb.num_agpr, 0
	.set _ZN9rocsolver6v33100L18getri_kernel_smallILi12E19rocblas_complex_numIdEPKPS3_EEvT1_iilPiilS8_bb.numbered_sgpr, 27
	.set _ZN9rocsolver6v33100L18getri_kernel_smallILi12E19rocblas_complex_numIdEPKPS3_EEvT1_iilPiilS8_bb.num_named_barrier, 0
	.set _ZN9rocsolver6v33100L18getri_kernel_smallILi12E19rocblas_complex_numIdEPKPS3_EEvT1_iilPiilS8_bb.private_seg_size, 208
	.set _ZN9rocsolver6v33100L18getri_kernel_smallILi12E19rocblas_complex_numIdEPKPS3_EEvT1_iilPiilS8_bb.uses_vcc, 1
	.set _ZN9rocsolver6v33100L18getri_kernel_smallILi12E19rocblas_complex_numIdEPKPS3_EEvT1_iilPiilS8_bb.uses_flat_scratch, 1
	.set _ZN9rocsolver6v33100L18getri_kernel_smallILi12E19rocblas_complex_numIdEPKPS3_EEvT1_iilPiilS8_bb.has_dyn_sized_stack, 0
	.set _ZN9rocsolver6v33100L18getri_kernel_smallILi12E19rocblas_complex_numIdEPKPS3_EEvT1_iilPiilS8_bb.has_recursion, 0
	.set _ZN9rocsolver6v33100L18getri_kernel_smallILi12E19rocblas_complex_numIdEPKPS3_EEvT1_iilPiilS8_bb.has_indirect_call, 0
	.section	.AMDGPU.csdata,"",@progbits
; Kernel info:
; codeLenInByte = 11336
; TotalNumSgprs: 29
; NumVgprs: 92
; ScratchSize: 208
; MemoryBound: 0
; FloatMode: 240
; IeeeMode: 1
; LDSByteSize: 1416 bytes/workgroup (compile time only)
; SGPRBlocks: 0
; VGPRBlocks: 5
; NumSGPRsForWavesPerEU: 29
; NumVGPRsForWavesPerEU: 92
; NamedBarCnt: 0
; Occupancy: 10
; WaveLimiterHint : 1
; COMPUTE_PGM_RSRC2:SCRATCH_EN: 1
; COMPUTE_PGM_RSRC2:USER_SGPR: 4
; COMPUTE_PGM_RSRC2:TRAP_HANDLER: 0
; COMPUTE_PGM_RSRC2:TGID_X_EN: 1
; COMPUTE_PGM_RSRC2:TGID_Y_EN: 0
; COMPUTE_PGM_RSRC2:TGID_Z_EN: 0
; COMPUTE_PGM_RSRC2:TIDIG_COMP_CNT: 2
	.section	.text._ZN9rocsolver6v33100L18getri_kernel_smallILi13E19rocblas_complex_numIdEPKPS3_EEvT1_iilPiilS8_bb,"axG",@progbits,_ZN9rocsolver6v33100L18getri_kernel_smallILi13E19rocblas_complex_numIdEPKPS3_EEvT1_iilPiilS8_bb,comdat
	.globl	_ZN9rocsolver6v33100L18getri_kernel_smallILi13E19rocblas_complex_numIdEPKPS3_EEvT1_iilPiilS8_bb ; -- Begin function _ZN9rocsolver6v33100L18getri_kernel_smallILi13E19rocblas_complex_numIdEPKPS3_EEvT1_iilPiilS8_bb
	.p2align	8
	.type	_ZN9rocsolver6v33100L18getri_kernel_smallILi13E19rocblas_complex_numIdEPKPS3_EEvT1_iilPiilS8_bb,@function
_ZN9rocsolver6v33100L18getri_kernel_smallILi13E19rocblas_complex_numIdEPKPS3_EEvT1_iilPiilS8_bb: ; @_ZN9rocsolver6v33100L18getri_kernel_smallILi13E19rocblas_complex_numIdEPKPS3_EEvT1_iilPiilS8_bb
; %bb.0:
	v_and_b32_e32 v1, 0x3ff, v0
	s_mov_b32 s4, exec_lo
	s_delay_alu instid0(VALU_DEP_1)
	v_cmpx_gt_u32_e32 13, v1
	s_cbranch_execz .LBB76_66
; %bb.1:
	s_clause 0x1
	s_load_b32 s14, s[2:3], 0x38
	s_load_b64 s[8:9], s[2:3], 0x0
	s_getreg_b32 s6, hwreg(HW_REG_IB_STS2, 6, 4)
	s_wait_kmcnt 0x0
	s_bitcmp1_b32 s14, 8
	s_cselect_b32 s24, -1, 0
	s_bfe_u32 s4, ttmp6, 0x4000c
	s_and_b32 s5, ttmp6, 15
	s_add_co_i32 s4, s4, 1
	s_delay_alu instid0(SALU_CYCLE_1) | instskip(NEXT) | instid1(SALU_CYCLE_1)
	s_mul_i32 s4, ttmp9, s4
	s_add_co_i32 s5, s5, s4
	s_cmp_eq_u32 s6, 0
	s_cselect_b32 s10, ttmp9, s5
	s_load_b128 s[4:7], s[2:3], 0x28
	s_ashr_i32 s11, s10, 31
	s_delay_alu instid0(SALU_CYCLE_1) | instskip(NEXT) | instid1(SALU_CYCLE_1)
	s_lshl_b64 s[12:13], s[10:11], 3
	s_add_nc_u64 s[8:9], s[8:9], s[12:13]
	s_load_b64 s[12:13], s[8:9], 0x0
	s_wait_xcnt 0x0
	s_bfe_u32 s8, s14, 0x10008
	s_delay_alu instid0(SALU_CYCLE_1)
	s_cmp_eq_u32 s8, 0
                                        ; implicit-def: $sgpr8_sgpr9
	s_cbranch_scc1 .LBB76_3
; %bb.2:
	s_load_b96 s[16:18], s[2:3], 0x18
	s_wait_kmcnt 0x0
	s_mul_u64 s[4:5], s[4:5], s[10:11]
	s_delay_alu instid0(SALU_CYCLE_1) | instskip(SKIP_4) | instid1(SALU_CYCLE_1)
	s_lshl_b64 s[4:5], s[4:5], 2
	s_ashr_i32 s9, s18, 31
	s_mov_b32 s8, s18
	s_add_nc_u64 s[4:5], s[16:17], s[4:5]
	s_lshl_b64 s[8:9], s[8:9], 2
	s_add_nc_u64 s[8:9], s[4:5], s[8:9]
.LBB76_3:
	s_clause 0x1
	s_load_b64 s[14:15], s[2:3], 0x8
	s_load_b32 s25, s[2:3], 0x38
	v_dual_mov_b32 v41, 0 :: v_dual_lshlrev_b32 v40, 4, v1
	s_mov_b32 s23, 16
	s_mov_b32 s22, 32
	;; [unrolled: 1-line block ×3, first 2 shown]
	s_movk_i32 s18, 0x50
	s_movk_i32 s19, 0x70
	s_movk_i32 s20, 0x90
	s_movk_i32 s21, 0xb0
	s_movk_i32 s16, 0xc0
	s_wait_kmcnt 0x0
	s_ashr_i32 s3, s14, 31
	s_mov_b32 s2, s14
	v_add3_u32 v18, s15, s15, v1
	s_lshl_b64 s[2:3], s[2:3], 4
	s_movk_i32 s14, 0x80
	s_add_nc_u64 s[4:5], s[12:13], s[2:3]
	s_ashr_i32 s3, s15, 31
	flat_load_b128 v[2:5], v1, s[4:5] scale_offset
	v_add_nc_u64_e32 v[14:15], s[4:5], v[40:41]
	s_mov_b32 s2, s15
	v_add_nc_u32_e32 v20, s15, v18
	s_mov_b32 s12, 64
	s_movk_i32 s13, 0x60
	s_bitcmp0_b32 s25, 0
	s_delay_alu instid0(VALU_DEP_2) | instskip(SKIP_2) | instid1(VALU_DEP_1)
	v_lshl_add_u64 v[16:17], s[2:3], 4, v[14:15]
	v_add_nc_u32_e32 v22, s15, v20
	s_mov_b32 s3, -1
	v_add_nc_u32_e32 v24, s15, v22
	s_delay_alu instid0(VALU_DEP_1) | instskip(NEXT) | instid1(VALU_DEP_1)
	v_add_nc_u32_e32 v26, s15, v24
	v_add_nc_u32_e32 v28, s15, v26
	s_delay_alu instid0(VALU_DEP_1) | instskip(NEXT) | instid1(VALU_DEP_1)
	v_add_nc_u32_e32 v30, s15, v28
	;; [unrolled: 3-line block ×3, first 2 shown]
	v_add_nc_u32_e32 v36, s15, v34
	s_delay_alu instid0(VALU_DEP_1)
	v_add_nc_u32_e32 v38, s15, v36
	s_movk_i32 s15, 0xa0
	s_wait_loadcnt_dscnt 0x0
	scratch_store_b128 off, v[2:5], off
	flat_load_b128 v[2:5], v[16:17]
	s_wait_loadcnt_dscnt 0x0
	scratch_store_b128 off, v[2:5], off offset:16
	flat_load_b128 v[2:5], v18, s[4:5] scale_offset
	s_wait_loadcnt_dscnt 0x0
	scratch_store_b128 off, v[2:5], off offset:32
	flat_load_b128 v[2:5], v20, s[4:5] scale_offset
	;; [unrolled: 3-line block ×11, first 2 shown]
	s_wait_loadcnt_dscnt 0x0
	scratch_store_b128 off, v[2:5], off offset:192
	s_cbranch_scc1 .LBB76_64
; %bb.4:
	v_cmp_eq_u32_e64 s2, 0, v1
	s_wait_xcnt 0x0
	s_and_saveexec_b32 s3, s2
; %bb.5:
	v_mov_b32_e32 v2, 0
	ds_store_b32 v2, v2 offset:416
; %bb.6:
	s_or_b32 exec_lo, exec_lo, s3
	s_wait_storecnt_dscnt 0x0
	s_barrier_signal -1
	s_barrier_wait -1
	scratch_load_b128 v[2:5], v1, off scale_offset
	s_wait_loadcnt 0x0
	v_cmp_eq_f64_e32 vcc_lo, 0, v[2:3]
	v_cmp_eq_f64_e64 s3, 0, v[4:5]
	s_and_b32 s3, vcc_lo, s3
	s_delay_alu instid0(SALU_CYCLE_1)
	s_and_saveexec_b32 s25, s3
	s_cbranch_execz .LBB76_10
; %bb.7:
	v_mov_b32_e32 v2, 0
	s_mov_b32 s26, 0
	ds_load_b32 v3, v2 offset:416
	s_wait_dscnt 0x0
	v_readfirstlane_b32 s3, v3
	v_add_nc_u32_e32 v3, 1, v1
	s_cmp_eq_u32 s3, 0
	s_delay_alu instid0(VALU_DEP_1) | instskip(SKIP_1) | instid1(SALU_CYCLE_1)
	v_cmp_gt_i32_e32 vcc_lo, s3, v3
	s_cselect_b32 s27, -1, 0
	s_or_b32 s27, s27, vcc_lo
	s_delay_alu instid0(SALU_CYCLE_1)
	s_and_b32 exec_lo, exec_lo, s27
	s_cbranch_execz .LBB76_10
; %bb.8:
	v_mov_b32_e32 v4, s3
.LBB76_9:                               ; =>This Inner Loop Header: Depth=1
	ds_cmpstore_rtn_b32 v4, v2, v3, v4 offset:416
	s_wait_dscnt 0x0
	v_cmp_ne_u32_e32 vcc_lo, 0, v4
	v_cmp_le_i32_e64 s3, v4, v3
	s_and_b32 s3, vcc_lo, s3
	s_delay_alu instid0(SALU_CYCLE_1) | instskip(NEXT) | instid1(SALU_CYCLE_1)
	s_and_b32 s3, exec_lo, s3
	s_or_b32 s26, s3, s26
	s_delay_alu instid0(SALU_CYCLE_1)
	s_and_not1_b32 exec_lo, exec_lo, s26
	s_cbranch_execnz .LBB76_9
.LBB76_10:
	s_or_b32 exec_lo, exec_lo, s25
	v_mov_b32_e32 v2, 0
	s_barrier_signal -1
	s_barrier_wait -1
	ds_load_b32 v3, v2 offset:416
	s_and_saveexec_b32 s3, s2
	s_cbranch_execz .LBB76_12
; %bb.11:
	s_lshl_b64 s[26:27], s[10:11], 2
	s_delay_alu instid0(SALU_CYCLE_1)
	s_add_nc_u64 s[26:27], s[6:7], s[26:27]
	s_wait_dscnt 0x0
	global_store_b32 v2, v3, s[26:27]
.LBB76_12:
	s_wait_xcnt 0x0
	s_or_b32 exec_lo, exec_lo, s3
	s_wait_dscnt 0x0
	v_cmp_ne_u32_e32 vcc_lo, 0, v3
	s_mov_b32 s3, 0
	s_cbranch_vccnz .LBB76_64
; %bb.13:
	v_lshl_add_u32 v19, v1, 4, 0
                                        ; implicit-def: $vgpr6_vgpr7
                                        ; implicit-def: $vgpr10_vgpr11
	scratch_load_b128 v[2:5], v19, off
	s_wait_loadcnt 0x0
	v_cmp_ngt_f64_e64 s3, |v[2:3]|, |v[4:5]|
	s_wait_xcnt 0x0
	s_and_saveexec_b32 s25, s3
	s_delay_alu instid0(SALU_CYCLE_1)
	s_xor_b32 s3, exec_lo, s25
	s_cbranch_execz .LBB76_15
; %bb.14:
	v_div_scale_f64 v[6:7], null, v[4:5], v[4:5], v[2:3]
	v_div_scale_f64 v[12:13], vcc_lo, v[2:3], v[4:5], v[2:3]
	s_delay_alu instid0(VALU_DEP_2) | instskip(SKIP_1) | instid1(TRANS32_DEP_1)
	v_rcp_f64_e32 v[8:9], v[6:7]
	v_nop
	v_fma_f64 v[10:11], -v[6:7], v[8:9], 1.0
	s_delay_alu instid0(VALU_DEP_1) | instskip(NEXT) | instid1(VALU_DEP_1)
	v_fmac_f64_e32 v[8:9], v[8:9], v[10:11]
	v_fma_f64 v[10:11], -v[6:7], v[8:9], 1.0
	s_delay_alu instid0(VALU_DEP_1) | instskip(NEXT) | instid1(VALU_DEP_1)
	v_fmac_f64_e32 v[8:9], v[8:9], v[10:11]
	v_mul_f64_e32 v[10:11], v[12:13], v[8:9]
	s_delay_alu instid0(VALU_DEP_1) | instskip(NEXT) | instid1(VALU_DEP_1)
	v_fma_f64 v[6:7], -v[6:7], v[10:11], v[12:13]
	v_div_fmas_f64 v[6:7], v[6:7], v[8:9], v[10:11]
	s_delay_alu instid0(VALU_DEP_1) | instskip(NEXT) | instid1(VALU_DEP_1)
	v_div_fixup_f64 v[6:7], v[6:7], v[4:5], v[2:3]
	v_fmac_f64_e32 v[4:5], v[2:3], v[6:7]
	s_delay_alu instid0(VALU_DEP_1) | instskip(SKIP_1) | instid1(VALU_DEP_2)
	v_div_scale_f64 v[2:3], null, v[4:5], v[4:5], 1.0
	v_div_scale_f64 v[12:13], vcc_lo, 1.0, v[4:5], 1.0
	v_rcp_f64_e32 v[8:9], v[2:3]
	v_nop
	s_delay_alu instid0(TRANS32_DEP_1) | instskip(NEXT) | instid1(VALU_DEP_1)
	v_fma_f64 v[10:11], -v[2:3], v[8:9], 1.0
	v_fmac_f64_e32 v[8:9], v[8:9], v[10:11]
	s_delay_alu instid0(VALU_DEP_1) | instskip(NEXT) | instid1(VALU_DEP_1)
	v_fma_f64 v[10:11], -v[2:3], v[8:9], 1.0
	v_fmac_f64_e32 v[8:9], v[8:9], v[10:11]
	s_delay_alu instid0(VALU_DEP_1) | instskip(NEXT) | instid1(VALU_DEP_1)
	v_mul_f64_e32 v[10:11], v[12:13], v[8:9]
	v_fma_f64 v[2:3], -v[2:3], v[10:11], v[12:13]
	s_delay_alu instid0(VALU_DEP_1) | instskip(NEXT) | instid1(VALU_DEP_1)
	v_div_fmas_f64 v[2:3], v[2:3], v[8:9], v[10:11]
	v_div_fixup_f64 v[8:9], v[2:3], v[4:5], 1.0
                                        ; implicit-def: $vgpr2_vgpr3
	s_delay_alu instid0(VALU_DEP_1) | instskip(SKIP_1) | instid1(VALU_DEP_2)
	v_mul_f64_e32 v[6:7], v[6:7], v[8:9]
	v_xor_b32_e32 v9, 0x80000000, v9
	v_xor_b32_e32 v11, 0x80000000, v7
	s_delay_alu instid0(VALU_DEP_3)
	v_mov_b32_e32 v10, v6
.LBB76_15:
	s_and_not1_saveexec_b32 s3, s3
	s_cbranch_execz .LBB76_17
; %bb.16:
	v_div_scale_f64 v[6:7], null, v[2:3], v[2:3], v[4:5]
	v_div_scale_f64 v[12:13], vcc_lo, v[4:5], v[2:3], v[4:5]
	s_delay_alu instid0(VALU_DEP_2) | instskip(SKIP_1) | instid1(TRANS32_DEP_1)
	v_rcp_f64_e32 v[8:9], v[6:7]
	v_nop
	v_fma_f64 v[10:11], -v[6:7], v[8:9], 1.0
	s_delay_alu instid0(VALU_DEP_1) | instskip(NEXT) | instid1(VALU_DEP_1)
	v_fmac_f64_e32 v[8:9], v[8:9], v[10:11]
	v_fma_f64 v[10:11], -v[6:7], v[8:9], 1.0
	s_delay_alu instid0(VALU_DEP_1) | instskip(NEXT) | instid1(VALU_DEP_1)
	v_fmac_f64_e32 v[8:9], v[8:9], v[10:11]
	v_mul_f64_e32 v[10:11], v[12:13], v[8:9]
	s_delay_alu instid0(VALU_DEP_1) | instskip(NEXT) | instid1(VALU_DEP_1)
	v_fma_f64 v[6:7], -v[6:7], v[10:11], v[12:13]
	v_div_fmas_f64 v[6:7], v[6:7], v[8:9], v[10:11]
	s_delay_alu instid0(VALU_DEP_1) | instskip(NEXT) | instid1(VALU_DEP_1)
	v_div_fixup_f64 v[8:9], v[6:7], v[2:3], v[4:5]
	v_fmac_f64_e32 v[2:3], v[4:5], v[8:9]
	s_delay_alu instid0(VALU_DEP_1) | instskip(NEXT) | instid1(VALU_DEP_1)
	v_div_scale_f64 v[4:5], null, v[2:3], v[2:3], 1.0
	v_rcp_f64_e32 v[6:7], v[4:5]
	v_nop
	s_delay_alu instid0(TRANS32_DEP_1) | instskip(NEXT) | instid1(VALU_DEP_1)
	v_fma_f64 v[10:11], -v[4:5], v[6:7], 1.0
	v_fmac_f64_e32 v[6:7], v[6:7], v[10:11]
	s_delay_alu instid0(VALU_DEP_1) | instskip(NEXT) | instid1(VALU_DEP_1)
	v_fma_f64 v[10:11], -v[4:5], v[6:7], 1.0
	v_fmac_f64_e32 v[6:7], v[6:7], v[10:11]
	v_div_scale_f64 v[10:11], vcc_lo, 1.0, v[2:3], 1.0
	s_delay_alu instid0(VALU_DEP_1) | instskip(NEXT) | instid1(VALU_DEP_1)
	v_mul_f64_e32 v[12:13], v[10:11], v[6:7]
	v_fma_f64 v[4:5], -v[4:5], v[12:13], v[10:11]
	s_delay_alu instid0(VALU_DEP_1) | instskip(NEXT) | instid1(VALU_DEP_1)
	v_div_fmas_f64 v[4:5], v[4:5], v[6:7], v[12:13]
	v_div_fixup_f64 v[6:7], v[4:5], v[2:3], 1.0
	s_delay_alu instid0(VALU_DEP_1)
	v_mul_f64_e64 v[8:9], v[8:9], -v[6:7]
	v_xor_b32_e32 v11, 0x80000000, v7
	v_mov_b32_e32 v10, v6
.LBB76_17:
	s_or_b32 exec_lo, exec_lo, s3
	s_clause 0x1
	scratch_store_b128 v19, v[6:9], off
	scratch_load_b128 v[2:5], off, s23
	v_xor_b32_e32 v13, 0x80000000, v9
	v_mov_b32_e32 v12, v8
	s_wait_xcnt 0x1
	v_add_nc_u32_e32 v6, 0xd0, v40
	ds_store_b128 v40, v[10:13]
	s_wait_loadcnt 0x0
	ds_store_b128 v40, v[2:5] offset:208
	s_wait_storecnt_dscnt 0x0
	s_barrier_signal -1
	s_barrier_wait -1
	s_wait_xcnt 0x0
	s_and_saveexec_b32 s3, s2
	s_cbranch_execz .LBB76_19
; %bb.18:
	scratch_load_b128 v[2:5], v19, off
	ds_load_b128 v[8:11], v6
	v_mov_b32_e32 v7, 0
	ds_load_b128 v[42:45], v7 offset:16
	s_wait_loadcnt_dscnt 0x1
	v_mul_f64_e32 v[12:13], v[8:9], v[4:5]
	v_mul_f64_e32 v[4:5], v[10:11], v[4:5]
	s_delay_alu instid0(VALU_DEP_2) | instskip(NEXT) | instid1(VALU_DEP_2)
	v_fmac_f64_e32 v[12:13], v[10:11], v[2:3]
	v_fma_f64 v[2:3], v[8:9], v[2:3], -v[4:5]
	s_delay_alu instid0(VALU_DEP_2) | instskip(NEXT) | instid1(VALU_DEP_2)
	v_add_f64_e32 v[8:9], 0, v[12:13]
	v_add_f64_e32 v[2:3], 0, v[2:3]
	s_wait_dscnt 0x0
	s_delay_alu instid0(VALU_DEP_2) | instskip(NEXT) | instid1(VALU_DEP_2)
	v_mul_f64_e32 v[10:11], v[8:9], v[44:45]
	v_mul_f64_e32 v[4:5], v[2:3], v[44:45]
	s_delay_alu instid0(VALU_DEP_2) | instskip(NEXT) | instid1(VALU_DEP_2)
	v_fma_f64 v[2:3], v[2:3], v[42:43], -v[10:11]
	v_fmac_f64_e32 v[4:5], v[8:9], v[42:43]
	scratch_store_b128 off, v[2:5], off offset:16
.LBB76_19:
	s_wait_xcnt 0x0
	s_or_b32 exec_lo, exec_lo, s3
	s_wait_storecnt 0x0
	s_barrier_signal -1
	s_barrier_wait -1
	scratch_load_b128 v[2:5], off, s22
	s_mov_b32 s3, exec_lo
	s_wait_loadcnt 0x0
	ds_store_b128 v6, v[2:5]
	s_wait_dscnt 0x0
	s_barrier_signal -1
	s_barrier_wait -1
	v_cmpx_gt_u32_e32 2, v1
	s_cbranch_execz .LBB76_23
; %bb.20:
	scratch_load_b128 v[2:5], v19, off
	ds_load_b128 v[8:11], v6
	s_wait_loadcnt_dscnt 0x0
	v_mul_f64_e32 v[12:13], v[10:11], v[4:5]
	v_mul_f64_e32 v[42:43], v[8:9], v[4:5]
	s_delay_alu instid0(VALU_DEP_2) | instskip(NEXT) | instid1(VALU_DEP_2)
	v_fma_f64 v[4:5], v[8:9], v[2:3], -v[12:13]
	v_fmac_f64_e32 v[42:43], v[10:11], v[2:3]
	s_delay_alu instid0(VALU_DEP_2) | instskip(NEXT) | instid1(VALU_DEP_2)
	v_add_f64_e32 v[4:5], 0, v[4:5]
	v_add_f64_e32 v[2:3], 0, v[42:43]
	s_and_saveexec_b32 s25, s2
	s_cbranch_execz .LBB76_22
; %bb.21:
	scratch_load_b128 v[8:11], off, off offset:16
	v_mov_b32_e32 v7, 0
	ds_load_b128 v[42:45], v7 offset:224
	s_wait_loadcnt_dscnt 0x0
	v_mul_f64_e32 v[12:13], v[42:43], v[10:11]
	v_mul_f64_e32 v[10:11], v[44:45], v[10:11]
	s_delay_alu instid0(VALU_DEP_2) | instskip(NEXT) | instid1(VALU_DEP_2)
	v_fmac_f64_e32 v[12:13], v[44:45], v[8:9]
	v_fma_f64 v[8:9], v[42:43], v[8:9], -v[10:11]
	s_delay_alu instid0(VALU_DEP_2) | instskip(NEXT) | instid1(VALU_DEP_2)
	v_add_f64_e32 v[2:3], v[2:3], v[12:13]
	v_add_f64_e32 v[4:5], v[4:5], v[8:9]
.LBB76_22:
	s_or_b32 exec_lo, exec_lo, s25
	v_mov_b32_e32 v7, 0
	ds_load_b128 v[8:11], v7 offset:32
	s_wait_dscnt 0x0
	v_mul_f64_e32 v[42:43], v[2:3], v[10:11]
	v_mul_f64_e32 v[12:13], v[4:5], v[10:11]
	s_delay_alu instid0(VALU_DEP_2) | instskip(NEXT) | instid1(VALU_DEP_2)
	v_fma_f64 v[10:11], v[4:5], v[8:9], -v[42:43]
	v_fmac_f64_e32 v[12:13], v[2:3], v[8:9]
	scratch_store_b128 off, v[10:13], off offset:32
.LBB76_23:
	s_wait_xcnt 0x0
	s_or_b32 exec_lo, exec_lo, s3
	s_wait_storecnt 0x0
	s_barrier_signal -1
	s_barrier_wait -1
	scratch_load_b128 v[2:5], off, s17
	v_add_nc_u32_e32 v7, -1, v1
	s_mov_b32 s2, exec_lo
	s_wait_loadcnt 0x0
	ds_store_b128 v6, v[2:5]
	s_wait_dscnt 0x0
	s_barrier_signal -1
	s_barrier_wait -1
	v_cmpx_gt_u32_e32 3, v1
	s_cbranch_execz .LBB76_27
; %bb.24:
	v_dual_mov_b32 v10, v40 :: v_dual_add_nc_u32 v8, -1, v1
	v_mov_b64_e32 v[2:3], 0
	v_mov_b64_e32 v[4:5], 0
	v_add_nc_u32_e32 v9, 0xd0, v40
	s_delay_alu instid0(VALU_DEP_4)
	v_or_b32_e32 v10, 8, v10
	s_mov_b32 s3, 0
.LBB76_25:                              ; =>This Inner Loop Header: Depth=1
	scratch_load_b128 v[42:45], v10, off offset:-8
	ds_load_b128 v[46:49], v9
	s_wait_xcnt 0x0
	v_dual_add_nc_u32 v9, 16, v9 :: v_dual_add_nc_u32 v10, 16, v10
	v_add_nc_u32_e32 v8, 1, v8
	s_delay_alu instid0(VALU_DEP_1) | instskip(SKIP_4) | instid1(VALU_DEP_2)
	v_cmp_lt_u32_e32 vcc_lo, 1, v8
	s_or_b32 s3, vcc_lo, s3
	s_wait_loadcnt_dscnt 0x0
	v_mul_f64_e32 v[12:13], v[48:49], v[44:45]
	v_mul_f64_e32 v[44:45], v[46:47], v[44:45]
	v_fma_f64 v[12:13], v[46:47], v[42:43], -v[12:13]
	s_delay_alu instid0(VALU_DEP_2) | instskip(NEXT) | instid1(VALU_DEP_2)
	v_fmac_f64_e32 v[44:45], v[48:49], v[42:43]
	v_add_f64_e32 v[4:5], v[4:5], v[12:13]
	s_delay_alu instid0(VALU_DEP_2)
	v_add_f64_e32 v[2:3], v[2:3], v[44:45]
	s_and_not1_b32 exec_lo, exec_lo, s3
	s_cbranch_execnz .LBB76_25
; %bb.26:
	s_or_b32 exec_lo, exec_lo, s3
	v_mov_b32_e32 v8, 0
	ds_load_b128 v[8:11], v8 offset:48
	s_wait_dscnt 0x0
	v_mul_f64_e32 v[42:43], v[2:3], v[10:11]
	v_mul_f64_e32 v[12:13], v[4:5], v[10:11]
	s_delay_alu instid0(VALU_DEP_2) | instskip(NEXT) | instid1(VALU_DEP_2)
	v_fma_f64 v[10:11], v[4:5], v[8:9], -v[42:43]
	v_fmac_f64_e32 v[12:13], v[2:3], v[8:9]
	scratch_store_b128 off, v[10:13], off offset:48
.LBB76_27:
	s_wait_xcnt 0x0
	s_or_b32 exec_lo, exec_lo, s2
	s_wait_storecnt 0x0
	s_barrier_signal -1
	s_barrier_wait -1
	scratch_load_b128 v[2:5], off, s12
	s_mov_b32 s2, exec_lo
	s_wait_loadcnt 0x0
	ds_store_b128 v6, v[2:5]
	s_wait_dscnt 0x0
	s_barrier_signal -1
	s_barrier_wait -1
	v_cmpx_gt_u32_e32 4, v1
	s_cbranch_execz .LBB76_31
; %bb.28:
	v_dual_mov_b32 v10, v40 :: v_dual_add_nc_u32 v8, -1, v1
	v_mov_b64_e32 v[2:3], 0
	v_mov_b64_e32 v[4:5], 0
	v_add_nc_u32_e32 v9, 0xd0, v40
	s_delay_alu instid0(VALU_DEP_4)
	v_or_b32_e32 v10, 8, v10
	s_mov_b32 s3, 0
.LBB76_29:                              ; =>This Inner Loop Header: Depth=1
	scratch_load_b128 v[42:45], v10, off offset:-8
	ds_load_b128 v[46:49], v9
	s_wait_xcnt 0x0
	v_dual_add_nc_u32 v9, 16, v9 :: v_dual_add_nc_u32 v10, 16, v10
	v_add_nc_u32_e32 v8, 1, v8
	s_delay_alu instid0(VALU_DEP_1) | instskip(SKIP_4) | instid1(VALU_DEP_2)
	v_cmp_lt_u32_e32 vcc_lo, 2, v8
	s_or_b32 s3, vcc_lo, s3
	s_wait_loadcnt_dscnt 0x0
	v_mul_f64_e32 v[12:13], v[48:49], v[44:45]
	v_mul_f64_e32 v[44:45], v[46:47], v[44:45]
	v_fma_f64 v[12:13], v[46:47], v[42:43], -v[12:13]
	s_delay_alu instid0(VALU_DEP_2) | instskip(NEXT) | instid1(VALU_DEP_2)
	v_fmac_f64_e32 v[44:45], v[48:49], v[42:43]
	v_add_f64_e32 v[4:5], v[4:5], v[12:13]
	s_delay_alu instid0(VALU_DEP_2)
	v_add_f64_e32 v[2:3], v[2:3], v[44:45]
	s_and_not1_b32 exec_lo, exec_lo, s3
	s_cbranch_execnz .LBB76_29
; %bb.30:
	s_or_b32 exec_lo, exec_lo, s3
	v_mov_b32_e32 v8, 0
	ds_load_b128 v[8:11], v8 offset:64
	s_wait_dscnt 0x0
	v_mul_f64_e32 v[42:43], v[2:3], v[10:11]
	v_mul_f64_e32 v[12:13], v[4:5], v[10:11]
	s_delay_alu instid0(VALU_DEP_2) | instskip(NEXT) | instid1(VALU_DEP_2)
	v_fma_f64 v[10:11], v[4:5], v[8:9], -v[42:43]
	v_fmac_f64_e32 v[12:13], v[2:3], v[8:9]
	scratch_store_b128 off, v[10:13], off offset:64
.LBB76_31:
	s_wait_xcnt 0x0
	s_or_b32 exec_lo, exec_lo, s2
	s_wait_storecnt 0x0
	s_barrier_signal -1
	s_barrier_wait -1
	scratch_load_b128 v[2:5], off, s18
	;; [unrolled: 54-line block ×9, first 2 shown]
	s_mov_b32 s2, exec_lo
	s_wait_loadcnt 0x0
	ds_store_b128 v6, v[2:5]
	s_wait_dscnt 0x0
	s_barrier_signal -1
	s_barrier_wait -1
	v_cmpx_ne_u32_e32 12, v1
	s_cbranch_execz .LBB76_63
; %bb.60:
	v_mov_b32_e32 v8, v40
	v_mov_b64_e32 v[2:3], 0
	v_mov_b64_e32 v[4:5], 0
	s_mov_b32 s3, 0
	s_delay_alu instid0(VALU_DEP_3)
	v_or_b32_e32 v8, 8, v8
.LBB76_61:                              ; =>This Inner Loop Header: Depth=1
	scratch_load_b128 v[10:13], v8, off offset:-8
	ds_load_b128 v[40:43], v6
	v_dual_add_nc_u32 v7, 1, v7 :: v_dual_add_nc_u32 v6, 16, v6
	s_wait_xcnt 0x0
	v_add_nc_u32_e32 v8, 16, v8
	s_delay_alu instid0(VALU_DEP_2) | instskip(SKIP_4) | instid1(VALU_DEP_2)
	v_cmp_lt_u32_e32 vcc_lo, 10, v7
	s_or_b32 s3, vcc_lo, s3
	s_wait_loadcnt_dscnt 0x0
	v_mul_f64_e32 v[44:45], v[42:43], v[12:13]
	v_mul_f64_e32 v[12:13], v[40:41], v[12:13]
	v_fma_f64 v[40:41], v[40:41], v[10:11], -v[44:45]
	s_delay_alu instid0(VALU_DEP_2) | instskip(NEXT) | instid1(VALU_DEP_2)
	v_fmac_f64_e32 v[12:13], v[42:43], v[10:11]
	v_add_f64_e32 v[4:5], v[4:5], v[40:41]
	s_delay_alu instid0(VALU_DEP_2)
	v_add_f64_e32 v[2:3], v[2:3], v[12:13]
	s_and_not1_b32 exec_lo, exec_lo, s3
	s_cbranch_execnz .LBB76_61
; %bb.62:
	s_or_b32 exec_lo, exec_lo, s3
	v_mov_b32_e32 v6, 0
	ds_load_b128 v[6:9], v6 offset:192
	s_wait_dscnt 0x0
	v_mul_f64_e32 v[12:13], v[2:3], v[8:9]
	v_mul_f64_e32 v[10:11], v[4:5], v[8:9]
	s_delay_alu instid0(VALU_DEP_2) | instskip(NEXT) | instid1(VALU_DEP_2)
	v_fma_f64 v[8:9], v[4:5], v[6:7], -v[12:13]
	v_fmac_f64_e32 v[10:11], v[2:3], v[6:7]
	scratch_store_b128 off, v[8:11], off offset:192
.LBB76_63:
	s_wait_xcnt 0x0
	s_or_b32 exec_lo, exec_lo, s2
	s_mov_b32 s3, -1
	s_wait_storecnt 0x0
	s_barrier_signal -1
	s_barrier_wait -1
.LBB76_64:
	s_and_b32 vcc_lo, exec_lo, s3
	s_cbranch_vccz .LBB76_66
; %bb.65:
	s_wait_xcnt 0x0
	v_mov_b32_e32 v2, 0
	s_lshl_b64 s[2:3], s[10:11], 2
	s_delay_alu instid0(SALU_CYCLE_1)
	s_add_nc_u64 s[2:3], s[6:7], s[2:3]
	global_load_b32 v2, v2, s[2:3]
	s_wait_loadcnt 0x0
	v_cmp_ne_u32_e32 vcc_lo, 0, v2
	s_cbranch_vccz .LBB76_67
.LBB76_66:
	s_sendmsg sendmsg(MSG_DEALLOC_VGPRS)
	s_endpgm
.LBB76_67:
	v_lshl_add_u32 v6, v1, 4, 0xd0
	s_wait_xcnt 0x0
	s_mov_b32 s2, exec_lo
	v_cmpx_eq_u32_e32 12, v1
	s_cbranch_execz .LBB76_69
; %bb.68:
	scratch_load_b128 v[2:5], off, s21
	v_mov_b32_e32 v8, 0
	s_delay_alu instid0(VALU_DEP_1)
	v_dual_mov_b32 v9, v8 :: v_dual_mov_b32 v10, v8
	v_mov_b32_e32 v11, v8
	scratch_store_b128 off, v[8:11], off offset:176
	s_wait_loadcnt 0x0
	ds_store_b128 v6, v[2:5]
.LBB76_69:
	s_wait_xcnt 0x0
	s_or_b32 exec_lo, exec_lo, s2
	s_wait_storecnt_dscnt 0x0
	s_barrier_signal -1
	s_barrier_wait -1
	s_clause 0x1
	scratch_load_b128 v[8:11], off, off offset:192
	scratch_load_b128 v[40:43], off, off offset:176
	v_mov_b32_e32 v2, 0
	s_mov_b32 s2, exec_lo
	ds_load_b128 v[44:47], v2 offset:400
	s_wait_loadcnt_dscnt 0x100
	v_mul_f64_e32 v[4:5], v[46:47], v[10:11]
	v_mul_f64_e32 v[10:11], v[44:45], v[10:11]
	s_delay_alu instid0(VALU_DEP_2) | instskip(NEXT) | instid1(VALU_DEP_2)
	v_fma_f64 v[4:5], v[44:45], v[8:9], -v[4:5]
	v_fmac_f64_e32 v[10:11], v[46:47], v[8:9]
	s_delay_alu instid0(VALU_DEP_2) | instskip(NEXT) | instid1(VALU_DEP_2)
	v_add_f64_e32 v[4:5], 0, v[4:5]
	v_add_f64_e32 v[10:11], 0, v[10:11]
	s_wait_loadcnt 0x0
	s_delay_alu instid0(VALU_DEP_2) | instskip(NEXT) | instid1(VALU_DEP_2)
	v_add_f64_e64 v[8:9], v[40:41], -v[4:5]
	v_add_f64_e64 v[10:11], v[42:43], -v[10:11]
	scratch_store_b128 off, v[8:11], off offset:176
	s_wait_xcnt 0x0
	v_cmpx_lt_u32_e32 10, v1
	s_cbranch_execz .LBB76_71
; %bb.70:
	scratch_load_b128 v[8:11], off, s15
	v_dual_mov_b32 v3, v2 :: v_dual_mov_b32 v4, v2
	v_mov_b32_e32 v5, v2
	scratch_store_b128 off, v[2:5], off offset:160
	s_wait_loadcnt 0x0
	ds_store_b128 v6, v[8:11]
.LBB76_71:
	s_wait_xcnt 0x0
	s_or_b32 exec_lo, exec_lo, s2
	s_wait_storecnt_dscnt 0x0
	s_barrier_signal -1
	s_barrier_wait -1
	s_clause 0x2
	scratch_load_b128 v[8:11], off, off offset:176
	scratch_load_b128 v[40:43], off, off offset:192
	scratch_load_b128 v[44:47], off, off offset:160
	ds_load_b128 v[48:51], v2 offset:384
	ds_load_b128 v[2:5], v2 offset:400
	s_mov_b32 s2, exec_lo
	s_wait_loadcnt_dscnt 0x201
	v_mul_f64_e32 v[12:13], v[50:51], v[10:11]
	v_mul_f64_e32 v[10:11], v[48:49], v[10:11]
	s_wait_loadcnt_dscnt 0x100
	v_mul_f64_e32 v[52:53], v[2:3], v[42:43]
	v_mul_f64_e32 v[42:43], v[4:5], v[42:43]
	s_delay_alu instid0(VALU_DEP_4) | instskip(NEXT) | instid1(VALU_DEP_4)
	v_fma_f64 v[12:13], v[48:49], v[8:9], -v[12:13]
	v_fmac_f64_e32 v[10:11], v[50:51], v[8:9]
	s_delay_alu instid0(VALU_DEP_4) | instskip(NEXT) | instid1(VALU_DEP_4)
	v_fmac_f64_e32 v[52:53], v[4:5], v[40:41]
	v_fma_f64 v[2:3], v[2:3], v[40:41], -v[42:43]
	s_delay_alu instid0(VALU_DEP_4) | instskip(NEXT) | instid1(VALU_DEP_4)
	v_add_f64_e32 v[4:5], 0, v[12:13]
	v_add_f64_e32 v[8:9], 0, v[10:11]
	s_delay_alu instid0(VALU_DEP_2) | instskip(NEXT) | instid1(VALU_DEP_2)
	v_add_f64_e32 v[2:3], v[4:5], v[2:3]
	v_add_f64_e32 v[4:5], v[8:9], v[52:53]
	s_wait_loadcnt 0x0
	s_delay_alu instid0(VALU_DEP_2) | instskip(NEXT) | instid1(VALU_DEP_2)
	v_add_f64_e64 v[2:3], v[44:45], -v[2:3]
	v_add_f64_e64 v[4:5], v[46:47], -v[4:5]
	scratch_store_b128 off, v[2:5], off offset:160
	s_wait_xcnt 0x0
	v_cmpx_lt_u32_e32 9, v1
	s_cbranch_execz .LBB76_73
; %bb.72:
	scratch_load_b128 v[2:5], off, s20
	v_mov_b32_e32 v8, 0
	s_delay_alu instid0(VALU_DEP_1)
	v_dual_mov_b32 v9, v8 :: v_dual_mov_b32 v10, v8
	v_mov_b32_e32 v11, v8
	scratch_store_b128 off, v[8:11], off offset:144
	s_wait_loadcnt 0x0
	ds_store_b128 v6, v[2:5]
.LBB76_73:
	s_wait_xcnt 0x0
	s_or_b32 exec_lo, exec_lo, s2
	s_wait_storecnt_dscnt 0x0
	s_barrier_signal -1
	s_barrier_wait -1
	s_clause 0x3
	scratch_load_b128 v[8:11], off, off offset:160
	scratch_load_b128 v[40:43], off, off offset:176
	;; [unrolled: 1-line block ×4, first 2 shown]
	v_mov_b32_e32 v2, 0
	ds_load_b128 v[52:55], v2 offset:368
	ds_load_b128 v[56:59], v2 offset:384
	s_mov_b32 s2, exec_lo
	s_wait_loadcnt_dscnt 0x301
	v_mul_f64_e32 v[4:5], v[54:55], v[10:11]
	v_mul_f64_e32 v[12:13], v[52:53], v[10:11]
	s_wait_loadcnt_dscnt 0x200
	v_mul_f64_e32 v[60:61], v[56:57], v[42:43]
	v_mul_f64_e32 v[42:43], v[58:59], v[42:43]
	s_delay_alu instid0(VALU_DEP_4) | instskip(NEXT) | instid1(VALU_DEP_4)
	v_fma_f64 v[4:5], v[52:53], v[8:9], -v[4:5]
	v_fmac_f64_e32 v[12:13], v[54:55], v[8:9]
	ds_load_b128 v[8:11], v2 offset:400
	v_fmac_f64_e32 v[60:61], v[58:59], v[40:41]
	v_fma_f64 v[40:41], v[56:57], v[40:41], -v[42:43]
	s_wait_loadcnt_dscnt 0x100
	v_mul_f64_e32 v[52:53], v[8:9], v[46:47]
	v_mul_f64_e32 v[46:47], v[10:11], v[46:47]
	v_add_f64_e32 v[4:5], 0, v[4:5]
	v_add_f64_e32 v[12:13], 0, v[12:13]
	s_delay_alu instid0(VALU_DEP_4) | instskip(NEXT) | instid1(VALU_DEP_4)
	v_fmac_f64_e32 v[52:53], v[10:11], v[44:45]
	v_fma_f64 v[8:9], v[8:9], v[44:45], -v[46:47]
	s_delay_alu instid0(VALU_DEP_4) | instskip(NEXT) | instid1(VALU_DEP_4)
	v_add_f64_e32 v[4:5], v[4:5], v[40:41]
	v_add_f64_e32 v[10:11], v[12:13], v[60:61]
	s_delay_alu instid0(VALU_DEP_2) | instskip(NEXT) | instid1(VALU_DEP_2)
	v_add_f64_e32 v[4:5], v[4:5], v[8:9]
	v_add_f64_e32 v[10:11], v[10:11], v[52:53]
	s_wait_loadcnt 0x0
	s_delay_alu instid0(VALU_DEP_2) | instskip(NEXT) | instid1(VALU_DEP_2)
	v_add_f64_e64 v[8:9], v[48:49], -v[4:5]
	v_add_f64_e64 v[10:11], v[50:51], -v[10:11]
	scratch_store_b128 off, v[8:11], off offset:144
	s_wait_xcnt 0x0
	v_cmpx_lt_u32_e32 8, v1
	s_cbranch_execz .LBB76_75
; %bb.74:
	scratch_load_b128 v[8:11], off, s14
	v_dual_mov_b32 v3, v2 :: v_dual_mov_b32 v4, v2
	v_mov_b32_e32 v5, v2
	scratch_store_b128 off, v[2:5], off offset:128
	s_wait_loadcnt 0x0
	ds_store_b128 v6, v[8:11]
.LBB76_75:
	s_wait_xcnt 0x0
	s_or_b32 exec_lo, exec_lo, s2
	s_wait_storecnt_dscnt 0x0
	s_barrier_signal -1
	s_barrier_wait -1
	s_clause 0x4
	scratch_load_b128 v[8:11], off, off offset:144
	scratch_load_b128 v[40:43], off, off offset:160
	;; [unrolled: 1-line block ×5, first 2 shown]
	ds_load_b128 v[56:59], v2 offset:352
	ds_load_b128 v[60:63], v2 offset:368
	s_mov_b32 s2, exec_lo
	s_wait_loadcnt_dscnt 0x401
	v_mul_f64_e32 v[4:5], v[58:59], v[10:11]
	v_mul_f64_e32 v[12:13], v[56:57], v[10:11]
	s_wait_loadcnt_dscnt 0x300
	v_mul_f64_e32 v[64:65], v[60:61], v[42:43]
	v_mul_f64_e32 v[42:43], v[62:63], v[42:43]
	s_delay_alu instid0(VALU_DEP_4) | instskip(NEXT) | instid1(VALU_DEP_4)
	v_fma_f64 v[56:57], v[56:57], v[8:9], -v[4:5]
	v_fmac_f64_e32 v[12:13], v[58:59], v[8:9]
	ds_load_b128 v[8:11], v2 offset:384
	ds_load_b128 v[2:5], v2 offset:400
	v_fmac_f64_e32 v[64:65], v[62:63], v[40:41]
	v_fma_f64 v[40:41], v[60:61], v[40:41], -v[42:43]
	s_wait_loadcnt_dscnt 0x201
	v_mul_f64_e32 v[58:59], v[8:9], v[46:47]
	v_mul_f64_e32 v[46:47], v[10:11], v[46:47]
	v_add_f64_e32 v[42:43], 0, v[56:57]
	v_add_f64_e32 v[12:13], 0, v[12:13]
	s_wait_loadcnt_dscnt 0x100
	v_mul_f64_e32 v[56:57], v[2:3], v[50:51]
	v_mul_f64_e32 v[50:51], v[4:5], v[50:51]
	v_fmac_f64_e32 v[58:59], v[10:11], v[44:45]
	v_fma_f64 v[8:9], v[8:9], v[44:45], -v[46:47]
	v_add_f64_e32 v[10:11], v[42:43], v[40:41]
	v_add_f64_e32 v[12:13], v[12:13], v[64:65]
	v_fmac_f64_e32 v[56:57], v[4:5], v[48:49]
	v_fma_f64 v[2:3], v[2:3], v[48:49], -v[50:51]
	s_delay_alu instid0(VALU_DEP_4) | instskip(NEXT) | instid1(VALU_DEP_4)
	v_add_f64_e32 v[4:5], v[10:11], v[8:9]
	v_add_f64_e32 v[8:9], v[12:13], v[58:59]
	s_delay_alu instid0(VALU_DEP_2) | instskip(NEXT) | instid1(VALU_DEP_2)
	v_add_f64_e32 v[2:3], v[4:5], v[2:3]
	v_add_f64_e32 v[4:5], v[8:9], v[56:57]
	s_wait_loadcnt 0x0
	s_delay_alu instid0(VALU_DEP_2) | instskip(NEXT) | instid1(VALU_DEP_2)
	v_add_f64_e64 v[2:3], v[52:53], -v[2:3]
	v_add_f64_e64 v[4:5], v[54:55], -v[4:5]
	scratch_store_b128 off, v[2:5], off offset:128
	s_wait_xcnt 0x0
	v_cmpx_lt_u32_e32 7, v1
	s_cbranch_execz .LBB76_77
; %bb.76:
	scratch_load_b128 v[2:5], off, s19
	v_mov_b32_e32 v8, 0
	s_delay_alu instid0(VALU_DEP_1)
	v_dual_mov_b32 v9, v8 :: v_dual_mov_b32 v10, v8
	v_mov_b32_e32 v11, v8
	scratch_store_b128 off, v[8:11], off offset:112
	s_wait_loadcnt 0x0
	ds_store_b128 v6, v[2:5]
.LBB76_77:
	s_wait_xcnt 0x0
	s_or_b32 exec_lo, exec_lo, s2
	s_wait_storecnt_dscnt 0x0
	s_barrier_signal -1
	s_barrier_wait -1
	s_clause 0x5
	scratch_load_b128 v[8:11], off, off offset:128
	scratch_load_b128 v[40:43], off, off offset:144
	;; [unrolled: 1-line block ×6, first 2 shown]
	v_mov_b32_e32 v2, 0
	ds_load_b128 v[60:63], v2 offset:336
	ds_load_b128 v[64:67], v2 offset:352
	s_mov_b32 s2, exec_lo
	s_wait_loadcnt_dscnt 0x501
	v_mul_f64_e32 v[4:5], v[62:63], v[10:11]
	v_mul_f64_e32 v[12:13], v[60:61], v[10:11]
	s_wait_loadcnt_dscnt 0x400
	v_mul_f64_e32 v[68:69], v[64:65], v[42:43]
	v_mul_f64_e32 v[42:43], v[66:67], v[42:43]
	s_delay_alu instid0(VALU_DEP_4) | instskip(NEXT) | instid1(VALU_DEP_4)
	v_fma_f64 v[4:5], v[60:61], v[8:9], -v[4:5]
	v_fmac_f64_e32 v[12:13], v[62:63], v[8:9]
	ds_load_b128 v[8:11], v2 offset:368
	ds_load_b128 v[60:63], v2 offset:384
	v_fmac_f64_e32 v[68:69], v[66:67], v[40:41]
	v_fma_f64 v[40:41], v[64:65], v[40:41], -v[42:43]
	s_wait_loadcnt_dscnt 0x301
	v_mul_f64_e32 v[70:71], v[8:9], v[46:47]
	v_mul_f64_e32 v[46:47], v[10:11], v[46:47]
	s_wait_loadcnt_dscnt 0x200
	v_mul_f64_e32 v[42:43], v[60:61], v[50:51]
	v_mul_f64_e32 v[50:51], v[62:63], v[50:51]
	v_add_f64_e32 v[4:5], 0, v[4:5]
	v_add_f64_e32 v[12:13], 0, v[12:13]
	v_fmac_f64_e32 v[70:71], v[10:11], v[44:45]
	v_fma_f64 v[44:45], v[8:9], v[44:45], -v[46:47]
	ds_load_b128 v[8:11], v2 offset:400
	v_fmac_f64_e32 v[42:43], v[62:63], v[48:49]
	v_fma_f64 v[48:49], v[60:61], v[48:49], -v[50:51]
	v_add_f64_e32 v[4:5], v[4:5], v[40:41]
	v_add_f64_e32 v[12:13], v[12:13], v[68:69]
	s_wait_loadcnt_dscnt 0x100
	v_mul_f64_e32 v[40:41], v[8:9], v[54:55]
	v_mul_f64_e32 v[46:47], v[10:11], v[54:55]
	s_delay_alu instid0(VALU_DEP_4) | instskip(NEXT) | instid1(VALU_DEP_4)
	v_add_f64_e32 v[4:5], v[4:5], v[44:45]
	v_add_f64_e32 v[12:13], v[12:13], v[70:71]
	s_delay_alu instid0(VALU_DEP_4) | instskip(NEXT) | instid1(VALU_DEP_4)
	v_fmac_f64_e32 v[40:41], v[10:11], v[52:53]
	v_fma_f64 v[8:9], v[8:9], v[52:53], -v[46:47]
	s_delay_alu instid0(VALU_DEP_4) | instskip(NEXT) | instid1(VALU_DEP_4)
	v_add_f64_e32 v[4:5], v[4:5], v[48:49]
	v_add_f64_e32 v[10:11], v[12:13], v[42:43]
	s_delay_alu instid0(VALU_DEP_2) | instskip(NEXT) | instid1(VALU_DEP_2)
	v_add_f64_e32 v[4:5], v[4:5], v[8:9]
	v_add_f64_e32 v[10:11], v[10:11], v[40:41]
	s_wait_loadcnt 0x0
	s_delay_alu instid0(VALU_DEP_2) | instskip(NEXT) | instid1(VALU_DEP_2)
	v_add_f64_e64 v[8:9], v[56:57], -v[4:5]
	v_add_f64_e64 v[10:11], v[58:59], -v[10:11]
	scratch_store_b128 off, v[8:11], off offset:112
	s_wait_xcnt 0x0
	v_cmpx_lt_u32_e32 6, v1
	s_cbranch_execz .LBB76_79
; %bb.78:
	scratch_load_b128 v[8:11], off, s13
	v_dual_mov_b32 v3, v2 :: v_dual_mov_b32 v4, v2
	v_mov_b32_e32 v5, v2
	scratch_store_b128 off, v[2:5], off offset:96
	s_wait_loadcnt 0x0
	ds_store_b128 v6, v[8:11]
.LBB76_79:
	s_wait_xcnt 0x0
	s_or_b32 exec_lo, exec_lo, s2
	s_wait_storecnt_dscnt 0x0
	s_barrier_signal -1
	s_barrier_wait -1
	s_clause 0x6
	scratch_load_b128 v[8:11], off, off offset:112
	scratch_load_b128 v[40:43], off, off offset:128
	;; [unrolled: 1-line block ×7, first 2 shown]
	ds_load_b128 v[64:67], v2 offset:320
	ds_load_b128 v[68:71], v2 offset:336
	s_mov_b32 s2, exec_lo
	s_wait_loadcnt_dscnt 0x601
	v_mul_f64_e32 v[4:5], v[66:67], v[10:11]
	v_mul_f64_e32 v[12:13], v[64:65], v[10:11]
	s_wait_loadcnt_dscnt 0x500
	v_mul_f64_e32 v[72:73], v[68:69], v[42:43]
	v_mul_f64_e32 v[42:43], v[70:71], v[42:43]
	s_delay_alu instid0(VALU_DEP_4) | instskip(NEXT) | instid1(VALU_DEP_4)
	v_fma_f64 v[4:5], v[64:65], v[8:9], -v[4:5]
	v_fmac_f64_e32 v[12:13], v[66:67], v[8:9]
	ds_load_b128 v[8:11], v2 offset:352
	ds_load_b128 v[64:67], v2 offset:368
	v_fmac_f64_e32 v[72:73], v[70:71], v[40:41]
	v_fma_f64 v[40:41], v[68:69], v[40:41], -v[42:43]
	s_wait_loadcnt_dscnt 0x401
	v_mul_f64_e32 v[74:75], v[8:9], v[46:47]
	v_mul_f64_e32 v[46:47], v[10:11], v[46:47]
	s_wait_loadcnt_dscnt 0x300
	v_mul_f64_e32 v[42:43], v[64:65], v[50:51]
	v_mul_f64_e32 v[50:51], v[66:67], v[50:51]
	v_add_f64_e32 v[4:5], 0, v[4:5]
	v_add_f64_e32 v[12:13], 0, v[12:13]
	v_fmac_f64_e32 v[74:75], v[10:11], v[44:45]
	v_fma_f64 v[44:45], v[8:9], v[44:45], -v[46:47]
	v_fmac_f64_e32 v[42:43], v[66:67], v[48:49]
	v_fma_f64 v[48:49], v[64:65], v[48:49], -v[50:51]
	v_add_f64_e32 v[40:41], v[4:5], v[40:41]
	v_add_f64_e32 v[12:13], v[12:13], v[72:73]
	ds_load_b128 v[8:11], v2 offset:384
	ds_load_b128 v[2:5], v2 offset:400
	s_wait_loadcnt_dscnt 0x201
	v_mul_f64_e32 v[46:47], v[8:9], v[54:55]
	v_mul_f64_e32 v[54:55], v[10:11], v[54:55]
	s_wait_loadcnt_dscnt 0x100
	v_mul_f64_e32 v[50:51], v[4:5], v[58:59]
	v_add_f64_e32 v[40:41], v[40:41], v[44:45]
	v_add_f64_e32 v[12:13], v[12:13], v[74:75]
	v_mul_f64_e32 v[44:45], v[2:3], v[58:59]
	v_fmac_f64_e32 v[46:47], v[10:11], v[52:53]
	v_fma_f64 v[8:9], v[8:9], v[52:53], -v[54:55]
	v_fma_f64 v[2:3], v[2:3], v[56:57], -v[50:51]
	v_add_f64_e32 v[10:11], v[40:41], v[48:49]
	v_add_f64_e32 v[12:13], v[12:13], v[42:43]
	v_fmac_f64_e32 v[44:45], v[4:5], v[56:57]
	s_delay_alu instid0(VALU_DEP_3) | instskip(NEXT) | instid1(VALU_DEP_3)
	v_add_f64_e32 v[4:5], v[10:11], v[8:9]
	v_add_f64_e32 v[8:9], v[12:13], v[46:47]
	s_delay_alu instid0(VALU_DEP_2) | instskip(NEXT) | instid1(VALU_DEP_2)
	v_add_f64_e32 v[2:3], v[4:5], v[2:3]
	v_add_f64_e32 v[4:5], v[8:9], v[44:45]
	s_wait_loadcnt 0x0
	s_delay_alu instid0(VALU_DEP_2) | instskip(NEXT) | instid1(VALU_DEP_2)
	v_add_f64_e64 v[2:3], v[60:61], -v[2:3]
	v_add_f64_e64 v[4:5], v[62:63], -v[4:5]
	scratch_store_b128 off, v[2:5], off offset:96
	s_wait_xcnt 0x0
	v_cmpx_lt_u32_e32 5, v1
	s_cbranch_execz .LBB76_81
; %bb.80:
	scratch_load_b128 v[2:5], off, s18
	v_mov_b32_e32 v8, 0
	s_delay_alu instid0(VALU_DEP_1)
	v_dual_mov_b32 v9, v8 :: v_dual_mov_b32 v10, v8
	v_mov_b32_e32 v11, v8
	scratch_store_b128 off, v[8:11], off offset:80
	s_wait_loadcnt 0x0
	ds_store_b128 v6, v[2:5]
.LBB76_81:
	s_wait_xcnt 0x0
	s_or_b32 exec_lo, exec_lo, s2
	s_wait_storecnt_dscnt 0x0
	s_barrier_signal -1
	s_barrier_wait -1
	s_clause 0x7
	scratch_load_b128 v[8:11], off, off offset:96
	scratch_load_b128 v[40:43], off, off offset:112
	;; [unrolled: 1-line block ×8, first 2 shown]
	v_mov_b32_e32 v2, 0
	ds_load_b128 v[68:71], v2 offset:304
	ds_load_b128 v[72:75], v2 offset:320
	s_mov_b32 s2, exec_lo
	s_wait_loadcnt_dscnt 0x701
	v_mul_f64_e32 v[4:5], v[70:71], v[10:11]
	v_mul_f64_e32 v[12:13], v[68:69], v[10:11]
	s_wait_loadcnt_dscnt 0x600
	v_mul_f64_e32 v[76:77], v[72:73], v[42:43]
	v_mul_f64_e32 v[42:43], v[74:75], v[42:43]
	s_delay_alu instid0(VALU_DEP_4) | instskip(NEXT) | instid1(VALU_DEP_4)
	v_fma_f64 v[4:5], v[68:69], v[8:9], -v[4:5]
	v_fmac_f64_e32 v[12:13], v[70:71], v[8:9]
	ds_load_b128 v[8:11], v2 offset:336
	ds_load_b128 v[68:71], v2 offset:352
	v_fmac_f64_e32 v[76:77], v[74:75], v[40:41]
	v_fma_f64 v[40:41], v[72:73], v[40:41], -v[42:43]
	s_wait_loadcnt_dscnt 0x501
	v_mul_f64_e32 v[78:79], v[8:9], v[46:47]
	v_mul_f64_e32 v[46:47], v[10:11], v[46:47]
	s_wait_loadcnt_dscnt 0x400
	v_mul_f64_e32 v[72:73], v[68:69], v[50:51]
	v_mul_f64_e32 v[50:51], v[70:71], v[50:51]
	v_add_f64_e32 v[4:5], 0, v[4:5]
	v_add_f64_e32 v[12:13], 0, v[12:13]
	v_fmac_f64_e32 v[78:79], v[10:11], v[44:45]
	v_fma_f64 v[44:45], v[8:9], v[44:45], -v[46:47]
	v_fmac_f64_e32 v[72:73], v[70:71], v[48:49]
	v_fma_f64 v[48:49], v[68:69], v[48:49], -v[50:51]
	v_add_f64_e32 v[4:5], v[4:5], v[40:41]
	v_add_f64_e32 v[12:13], v[12:13], v[76:77]
	ds_load_b128 v[8:11], v2 offset:368
	ds_load_b128 v[40:43], v2 offset:384
	s_wait_loadcnt_dscnt 0x301
	v_mul_f64_e32 v[46:47], v[8:9], v[54:55]
	v_mul_f64_e32 v[54:55], v[10:11], v[54:55]
	s_wait_loadcnt_dscnt 0x200
	v_mul_f64_e32 v[50:51], v[42:43], v[58:59]
	v_add_f64_e32 v[4:5], v[4:5], v[44:45]
	v_add_f64_e32 v[12:13], v[12:13], v[78:79]
	v_mul_f64_e32 v[44:45], v[40:41], v[58:59]
	v_fmac_f64_e32 v[46:47], v[10:11], v[52:53]
	v_fma_f64 v[52:53], v[8:9], v[52:53], -v[54:55]
	ds_load_b128 v[8:11], v2 offset:400
	v_fma_f64 v[40:41], v[40:41], v[56:57], -v[50:51]
	v_add_f64_e32 v[4:5], v[4:5], v[48:49]
	v_add_f64_e32 v[12:13], v[12:13], v[72:73]
	v_fmac_f64_e32 v[44:45], v[42:43], v[56:57]
	s_wait_loadcnt_dscnt 0x100
	v_mul_f64_e32 v[48:49], v[8:9], v[62:63]
	v_mul_f64_e32 v[54:55], v[10:11], v[62:63]
	v_add_f64_e32 v[4:5], v[4:5], v[52:53]
	v_add_f64_e32 v[12:13], v[12:13], v[46:47]
	s_delay_alu instid0(VALU_DEP_4) | instskip(NEXT) | instid1(VALU_DEP_4)
	v_fmac_f64_e32 v[48:49], v[10:11], v[60:61]
	v_fma_f64 v[8:9], v[8:9], v[60:61], -v[54:55]
	s_delay_alu instid0(VALU_DEP_4) | instskip(NEXT) | instid1(VALU_DEP_4)
	v_add_f64_e32 v[4:5], v[4:5], v[40:41]
	v_add_f64_e32 v[10:11], v[12:13], v[44:45]
	s_delay_alu instid0(VALU_DEP_2) | instskip(NEXT) | instid1(VALU_DEP_2)
	v_add_f64_e32 v[4:5], v[4:5], v[8:9]
	v_add_f64_e32 v[10:11], v[10:11], v[48:49]
	s_wait_loadcnt 0x0
	s_delay_alu instid0(VALU_DEP_2) | instskip(NEXT) | instid1(VALU_DEP_2)
	v_add_f64_e64 v[8:9], v[64:65], -v[4:5]
	v_add_f64_e64 v[10:11], v[66:67], -v[10:11]
	scratch_store_b128 off, v[8:11], off offset:80
	s_wait_xcnt 0x0
	v_cmpx_lt_u32_e32 4, v1
	s_cbranch_execz .LBB76_83
; %bb.82:
	scratch_load_b128 v[8:11], off, s12
	v_dual_mov_b32 v3, v2 :: v_dual_mov_b32 v4, v2
	v_mov_b32_e32 v5, v2
	scratch_store_b128 off, v[2:5], off offset:64
	s_wait_loadcnt 0x0
	ds_store_b128 v6, v[8:11]
.LBB76_83:
	s_wait_xcnt 0x0
	s_or_b32 exec_lo, exec_lo, s2
	s_wait_storecnt_dscnt 0x0
	s_barrier_signal -1
	s_barrier_wait -1
	s_clause 0x7
	scratch_load_b128 v[8:11], off, off offset:80
	scratch_load_b128 v[40:43], off, off offset:96
	;; [unrolled: 1-line block ×8, first 2 shown]
	ds_load_b128 v[68:71], v2 offset:288
	ds_load_b128 v[72:75], v2 offset:304
	scratch_load_b128 v[76:79], off, off offset:64
	s_mov_b32 s2, exec_lo
	s_wait_loadcnt_dscnt 0x801
	v_mul_f64_e32 v[4:5], v[70:71], v[10:11]
	v_mul_f64_e32 v[12:13], v[68:69], v[10:11]
	s_wait_loadcnt_dscnt 0x700
	v_mul_f64_e32 v[80:81], v[72:73], v[42:43]
	v_mul_f64_e32 v[42:43], v[74:75], v[42:43]
	s_delay_alu instid0(VALU_DEP_4) | instskip(NEXT) | instid1(VALU_DEP_4)
	v_fma_f64 v[4:5], v[68:69], v[8:9], -v[4:5]
	v_fmac_f64_e32 v[12:13], v[70:71], v[8:9]
	ds_load_b128 v[8:11], v2 offset:320
	ds_load_b128 v[68:71], v2 offset:336
	v_fmac_f64_e32 v[80:81], v[74:75], v[40:41]
	v_fma_f64 v[40:41], v[72:73], v[40:41], -v[42:43]
	s_wait_loadcnt_dscnt 0x601
	v_mul_f64_e32 v[82:83], v[8:9], v[46:47]
	v_mul_f64_e32 v[46:47], v[10:11], v[46:47]
	s_wait_loadcnt_dscnt 0x500
	v_mul_f64_e32 v[72:73], v[68:69], v[50:51]
	v_mul_f64_e32 v[50:51], v[70:71], v[50:51]
	v_add_f64_e32 v[4:5], 0, v[4:5]
	v_add_f64_e32 v[12:13], 0, v[12:13]
	v_fmac_f64_e32 v[82:83], v[10:11], v[44:45]
	v_fma_f64 v[44:45], v[8:9], v[44:45], -v[46:47]
	v_fmac_f64_e32 v[72:73], v[70:71], v[48:49]
	v_fma_f64 v[48:49], v[68:69], v[48:49], -v[50:51]
	v_add_f64_e32 v[4:5], v[4:5], v[40:41]
	v_add_f64_e32 v[12:13], v[12:13], v[80:81]
	ds_load_b128 v[8:11], v2 offset:352
	ds_load_b128 v[40:43], v2 offset:368
	s_wait_loadcnt_dscnt 0x401
	v_mul_f64_e32 v[46:47], v[8:9], v[54:55]
	v_mul_f64_e32 v[54:55], v[10:11], v[54:55]
	s_wait_loadcnt_dscnt 0x300
	v_mul_f64_e32 v[50:51], v[42:43], v[58:59]
	v_add_f64_e32 v[4:5], v[4:5], v[44:45]
	v_add_f64_e32 v[12:13], v[12:13], v[82:83]
	v_mul_f64_e32 v[44:45], v[40:41], v[58:59]
	v_fmac_f64_e32 v[46:47], v[10:11], v[52:53]
	v_fma_f64 v[52:53], v[8:9], v[52:53], -v[54:55]
	v_fma_f64 v[40:41], v[40:41], v[56:57], -v[50:51]
	v_add_f64_e32 v[48:49], v[4:5], v[48:49]
	v_add_f64_e32 v[12:13], v[12:13], v[72:73]
	ds_load_b128 v[8:11], v2 offset:384
	ds_load_b128 v[2:5], v2 offset:400
	v_fmac_f64_e32 v[44:45], v[42:43], v[56:57]
	s_wait_loadcnt_dscnt 0x201
	v_mul_f64_e32 v[54:55], v[8:9], v[62:63]
	v_mul_f64_e32 v[58:59], v[10:11], v[62:63]
	v_add_f64_e32 v[42:43], v[48:49], v[52:53]
	v_add_f64_e32 v[12:13], v[12:13], v[46:47]
	s_wait_loadcnt_dscnt 0x100
	v_mul_f64_e32 v[46:47], v[2:3], v[66:67]
	v_mul_f64_e32 v[48:49], v[4:5], v[66:67]
	v_fmac_f64_e32 v[54:55], v[10:11], v[60:61]
	v_fma_f64 v[8:9], v[8:9], v[60:61], -v[58:59]
	v_add_f64_e32 v[10:11], v[42:43], v[40:41]
	v_add_f64_e32 v[12:13], v[12:13], v[44:45]
	v_fmac_f64_e32 v[46:47], v[4:5], v[64:65]
	v_fma_f64 v[2:3], v[2:3], v[64:65], -v[48:49]
	s_delay_alu instid0(VALU_DEP_4) | instskip(NEXT) | instid1(VALU_DEP_4)
	v_add_f64_e32 v[4:5], v[10:11], v[8:9]
	v_add_f64_e32 v[8:9], v[12:13], v[54:55]
	s_delay_alu instid0(VALU_DEP_2) | instskip(NEXT) | instid1(VALU_DEP_2)
	v_add_f64_e32 v[2:3], v[4:5], v[2:3]
	v_add_f64_e32 v[4:5], v[8:9], v[46:47]
	s_wait_loadcnt 0x0
	s_delay_alu instid0(VALU_DEP_2) | instskip(NEXT) | instid1(VALU_DEP_2)
	v_add_f64_e64 v[2:3], v[76:77], -v[2:3]
	v_add_f64_e64 v[4:5], v[78:79], -v[4:5]
	scratch_store_b128 off, v[2:5], off offset:64
	s_wait_xcnt 0x0
	v_cmpx_lt_u32_e32 3, v1
	s_cbranch_execz .LBB76_85
; %bb.84:
	scratch_load_b128 v[2:5], off, s17
	v_mov_b32_e32 v8, 0
	s_delay_alu instid0(VALU_DEP_1)
	v_dual_mov_b32 v9, v8 :: v_dual_mov_b32 v10, v8
	v_mov_b32_e32 v11, v8
	scratch_store_b128 off, v[8:11], off offset:48
	s_wait_loadcnt 0x0
	ds_store_b128 v6, v[2:5]
.LBB76_85:
	s_wait_xcnt 0x0
	s_or_b32 exec_lo, exec_lo, s2
	s_wait_storecnt_dscnt 0x0
	s_barrier_signal -1
	s_barrier_wait -1
	s_clause 0x8
	scratch_load_b128 v[8:11], off, off offset:64
	scratch_load_b128 v[40:43], off, off offset:80
	;; [unrolled: 1-line block ×9, first 2 shown]
	v_mov_b32_e32 v2, 0
	scratch_load_b128 v[76:79], off, off offset:48
	s_mov_b32 s2, exec_lo
	ds_load_b128 v[72:75], v2 offset:272
	ds_load_b128 v[80:83], v2 offset:288
	s_wait_loadcnt_dscnt 0x901
	v_mul_f64_e32 v[4:5], v[74:75], v[10:11]
	v_mul_f64_e32 v[12:13], v[72:73], v[10:11]
	s_wait_loadcnt_dscnt 0x800
	v_mul_f64_e32 v[84:85], v[80:81], v[42:43]
	v_mul_f64_e32 v[42:43], v[82:83], v[42:43]
	s_delay_alu instid0(VALU_DEP_4) | instskip(NEXT) | instid1(VALU_DEP_4)
	v_fma_f64 v[4:5], v[72:73], v[8:9], -v[4:5]
	v_fmac_f64_e32 v[12:13], v[74:75], v[8:9]
	ds_load_b128 v[8:11], v2 offset:304
	ds_load_b128 v[72:75], v2 offset:320
	v_fmac_f64_e32 v[84:85], v[82:83], v[40:41]
	v_fma_f64 v[40:41], v[80:81], v[40:41], -v[42:43]
	s_wait_loadcnt_dscnt 0x701
	v_mul_f64_e32 v[86:87], v[8:9], v[46:47]
	v_mul_f64_e32 v[46:47], v[10:11], v[46:47]
	s_wait_loadcnt_dscnt 0x600
	v_mul_f64_e32 v[80:81], v[72:73], v[50:51]
	v_mul_f64_e32 v[50:51], v[74:75], v[50:51]
	v_add_f64_e32 v[4:5], 0, v[4:5]
	v_add_f64_e32 v[12:13], 0, v[12:13]
	v_fmac_f64_e32 v[86:87], v[10:11], v[44:45]
	v_fma_f64 v[44:45], v[8:9], v[44:45], -v[46:47]
	v_fmac_f64_e32 v[80:81], v[74:75], v[48:49]
	v_fma_f64 v[48:49], v[72:73], v[48:49], -v[50:51]
	v_add_f64_e32 v[4:5], v[4:5], v[40:41]
	v_add_f64_e32 v[12:13], v[12:13], v[84:85]
	ds_load_b128 v[8:11], v2 offset:336
	ds_load_b128 v[40:43], v2 offset:352
	s_wait_loadcnt_dscnt 0x501
	v_mul_f64_e32 v[82:83], v[8:9], v[54:55]
	v_mul_f64_e32 v[46:47], v[10:11], v[54:55]
	s_wait_loadcnt_dscnt 0x400
	v_mul_f64_e32 v[50:51], v[40:41], v[58:59]
	v_mul_f64_e32 v[54:55], v[42:43], v[58:59]
	v_add_f64_e32 v[4:5], v[4:5], v[44:45]
	v_add_f64_e32 v[12:13], v[12:13], v[86:87]
	v_fmac_f64_e32 v[82:83], v[10:11], v[52:53]
	v_fma_f64 v[52:53], v[8:9], v[52:53], -v[46:47]
	ds_load_b128 v[8:11], v2 offset:368
	ds_load_b128 v[44:47], v2 offset:384
	v_fmac_f64_e32 v[50:51], v[42:43], v[56:57]
	v_fma_f64 v[40:41], v[40:41], v[56:57], -v[54:55]
	v_add_f64_e32 v[4:5], v[4:5], v[48:49]
	v_add_f64_e32 v[12:13], v[12:13], v[80:81]
	s_wait_loadcnt_dscnt 0x301
	v_mul_f64_e32 v[48:49], v[8:9], v[62:63]
	v_mul_f64_e32 v[58:59], v[10:11], v[62:63]
	s_wait_loadcnt_dscnt 0x200
	v_mul_f64_e32 v[42:43], v[44:45], v[66:67]
	v_add_f64_e32 v[4:5], v[4:5], v[52:53]
	v_add_f64_e32 v[12:13], v[12:13], v[82:83]
	v_mul_f64_e32 v[52:53], v[46:47], v[66:67]
	v_fmac_f64_e32 v[48:49], v[10:11], v[60:61]
	v_fma_f64 v[54:55], v[8:9], v[60:61], -v[58:59]
	ds_load_b128 v[8:11], v2 offset:400
	v_fmac_f64_e32 v[42:43], v[46:47], v[64:65]
	v_add_f64_e32 v[4:5], v[4:5], v[40:41]
	v_add_f64_e32 v[12:13], v[12:13], v[50:51]
	s_wait_loadcnt_dscnt 0x100
	v_mul_f64_e32 v[40:41], v[8:9], v[70:71]
	v_mul_f64_e32 v[50:51], v[10:11], v[70:71]
	v_fma_f64 v[44:45], v[44:45], v[64:65], -v[52:53]
	v_add_f64_e32 v[4:5], v[4:5], v[54:55]
	v_add_f64_e32 v[12:13], v[12:13], v[48:49]
	v_fmac_f64_e32 v[40:41], v[10:11], v[68:69]
	v_fma_f64 v[8:9], v[8:9], v[68:69], -v[50:51]
	s_delay_alu instid0(VALU_DEP_4) | instskip(NEXT) | instid1(VALU_DEP_4)
	v_add_f64_e32 v[4:5], v[4:5], v[44:45]
	v_add_f64_e32 v[10:11], v[12:13], v[42:43]
	s_delay_alu instid0(VALU_DEP_2) | instskip(NEXT) | instid1(VALU_DEP_2)
	v_add_f64_e32 v[4:5], v[4:5], v[8:9]
	v_add_f64_e32 v[10:11], v[10:11], v[40:41]
	s_wait_loadcnt 0x0
	s_delay_alu instid0(VALU_DEP_2) | instskip(NEXT) | instid1(VALU_DEP_2)
	v_add_f64_e64 v[8:9], v[76:77], -v[4:5]
	v_add_f64_e64 v[10:11], v[78:79], -v[10:11]
	scratch_store_b128 off, v[8:11], off offset:48
	s_wait_xcnt 0x0
	v_cmpx_lt_u32_e32 2, v1
	s_cbranch_execz .LBB76_87
; %bb.86:
	scratch_load_b128 v[8:11], off, s22
	v_dual_mov_b32 v3, v2 :: v_dual_mov_b32 v4, v2
	v_mov_b32_e32 v5, v2
	scratch_store_b128 off, v[2:5], off offset:32
	s_wait_loadcnt 0x0
	ds_store_b128 v6, v[8:11]
.LBB76_87:
	s_wait_xcnt 0x0
	s_or_b32 exec_lo, exec_lo, s2
	s_wait_storecnt_dscnt 0x0
	s_barrier_signal -1
	s_barrier_wait -1
	s_clause 0x9
	scratch_load_b128 v[8:11], off, off offset:48
	scratch_load_b128 v[40:43], off, off offset:64
	;; [unrolled: 1-line block ×10, first 2 shown]
	ds_load_b128 v[76:79], v2 offset:256
	ds_load_b128 v[80:83], v2 offset:272
	scratch_load_b128 v[84:87], off, off offset:32
	s_mov_b32 s2, exec_lo
	v_ashrrev_i32_e32 v21, 31, v20
	v_ashrrev_i32_e32 v25, 31, v24
	;; [unrolled: 1-line block ×3, first 2 shown]
	v_dual_ashrrev_i32 v33, 31, v32 :: v_dual_ashrrev_i32 v19, 31, v18
	v_dual_ashrrev_i32 v23, 31, v22 :: v_dual_ashrrev_i32 v37, 31, v36
	v_ashrrev_i32_e32 v27, 31, v26
	v_ashrrev_i32_e32 v31, 31, v30
	v_ashrrev_i32_e32 v35, 31, v34
	v_ashrrev_i32_e32 v39, 31, v38
	s_wait_loadcnt_dscnt 0xa01
	v_mul_f64_e32 v[4:5], v[78:79], v[10:11]
	v_mul_f64_e32 v[12:13], v[76:77], v[10:11]
	s_wait_loadcnt_dscnt 0x900
	v_mul_f64_e32 v[88:89], v[80:81], v[42:43]
	v_mul_f64_e32 v[42:43], v[82:83], v[42:43]
	s_delay_alu instid0(VALU_DEP_4) | instskip(NEXT) | instid1(VALU_DEP_4)
	v_fma_f64 v[4:5], v[76:77], v[8:9], -v[4:5]
	v_fmac_f64_e32 v[12:13], v[78:79], v[8:9]
	ds_load_b128 v[8:11], v2 offset:288
	ds_load_b128 v[76:79], v2 offset:304
	v_fmac_f64_e32 v[88:89], v[82:83], v[40:41]
	v_fma_f64 v[40:41], v[80:81], v[40:41], -v[42:43]
	s_wait_loadcnt_dscnt 0x801
	v_mul_f64_e32 v[90:91], v[8:9], v[46:47]
	v_mul_f64_e32 v[46:47], v[10:11], v[46:47]
	s_wait_loadcnt_dscnt 0x700
	v_mul_f64_e32 v[80:81], v[76:77], v[50:51]
	v_mul_f64_e32 v[50:51], v[78:79], v[50:51]
	v_add_f64_e32 v[4:5], 0, v[4:5]
	v_add_f64_e32 v[12:13], 0, v[12:13]
	v_fmac_f64_e32 v[90:91], v[10:11], v[44:45]
	v_fma_f64 v[44:45], v[8:9], v[44:45], -v[46:47]
	v_fmac_f64_e32 v[80:81], v[78:79], v[48:49]
	v_fma_f64 v[48:49], v[76:77], v[48:49], -v[50:51]
	v_add_f64_e32 v[4:5], v[4:5], v[40:41]
	v_add_f64_e32 v[12:13], v[12:13], v[88:89]
	ds_load_b128 v[8:11], v2 offset:320
	ds_load_b128 v[40:43], v2 offset:336
	s_wait_loadcnt_dscnt 0x601
	v_mul_f64_e32 v[82:83], v[8:9], v[54:55]
	v_mul_f64_e32 v[46:47], v[10:11], v[54:55]
	s_wait_loadcnt_dscnt 0x500
	v_mul_f64_e32 v[50:51], v[40:41], v[58:59]
	v_mul_f64_e32 v[54:55], v[42:43], v[58:59]
	v_add_f64_e32 v[4:5], v[4:5], v[44:45]
	v_add_f64_e32 v[12:13], v[12:13], v[90:91]
	v_fmac_f64_e32 v[82:83], v[10:11], v[52:53]
	v_fma_f64 v[52:53], v[8:9], v[52:53], -v[46:47]
	ds_load_b128 v[8:11], v2 offset:352
	ds_load_b128 v[44:47], v2 offset:368
	v_fmac_f64_e32 v[50:51], v[42:43], v[56:57]
	v_fma_f64 v[40:41], v[40:41], v[56:57], -v[54:55]
	v_add_f64_e32 v[4:5], v[4:5], v[48:49]
	v_add_f64_e32 v[12:13], v[12:13], v[80:81]
	s_wait_loadcnt_dscnt 0x401
	v_mul_f64_e32 v[48:49], v[8:9], v[62:63]
	v_mul_f64_e32 v[58:59], v[10:11], v[62:63]
	s_wait_loadcnt_dscnt 0x300
	v_mul_f64_e32 v[42:43], v[44:45], v[66:67]
	v_add_f64_e32 v[4:5], v[4:5], v[52:53]
	v_add_f64_e32 v[12:13], v[12:13], v[82:83]
	v_mul_f64_e32 v[52:53], v[46:47], v[66:67]
	v_fmac_f64_e32 v[48:49], v[10:11], v[60:61]
	v_fma_f64 v[54:55], v[8:9], v[60:61], -v[58:59]
	v_fmac_f64_e32 v[42:43], v[46:47], v[64:65]
	v_add_f64_e32 v[40:41], v[4:5], v[40:41]
	v_add_f64_e32 v[12:13], v[12:13], v[50:51]
	ds_load_b128 v[8:11], v2 offset:384
	ds_load_b128 v[2:5], v2 offset:400
	v_fma_f64 v[44:45], v[44:45], v[64:65], -v[52:53]
	s_wait_loadcnt_dscnt 0x201
	v_mul_f64_e32 v[50:51], v[8:9], v[70:71]
	v_mul_f64_e32 v[56:57], v[10:11], v[70:71]
	s_wait_loadcnt_dscnt 0x100
	v_mul_f64_e32 v[46:47], v[2:3], v[74:75]
	v_add_f64_e32 v[40:41], v[40:41], v[54:55]
	v_add_f64_e32 v[12:13], v[12:13], v[48:49]
	v_mul_f64_e32 v[48:49], v[4:5], v[74:75]
	v_fmac_f64_e32 v[50:51], v[10:11], v[68:69]
	v_fma_f64 v[8:9], v[8:9], v[68:69], -v[56:57]
	v_fmac_f64_e32 v[46:47], v[4:5], v[72:73]
	v_add_f64_e32 v[10:11], v[40:41], v[44:45]
	v_add_f64_e32 v[12:13], v[12:13], v[42:43]
	v_fma_f64 v[2:3], v[2:3], v[72:73], -v[48:49]
	s_delay_alu instid0(VALU_DEP_3) | instskip(NEXT) | instid1(VALU_DEP_3)
	v_add_f64_e32 v[4:5], v[10:11], v[8:9]
	v_add_f64_e32 v[8:9], v[12:13], v[50:51]
	s_delay_alu instid0(VALU_DEP_2) | instskip(NEXT) | instid1(VALU_DEP_2)
	v_add_f64_e32 v[2:3], v[4:5], v[2:3]
	v_add_f64_e32 v[4:5], v[8:9], v[46:47]
	s_wait_loadcnt 0x0
	s_delay_alu instid0(VALU_DEP_2) | instskip(NEXT) | instid1(VALU_DEP_2)
	v_add_f64_e64 v[2:3], v[84:85], -v[2:3]
	v_add_f64_e64 v[4:5], v[86:87], -v[4:5]
	scratch_store_b128 off, v[2:5], off offset:32
	s_wait_xcnt 0x0
	v_cmpx_lt_u32_e32 1, v1
	s_cbranch_execz .LBB76_89
; %bb.88:
	scratch_load_b128 v[2:5], off, s23
	v_mov_b32_e32 v8, 0
	s_delay_alu instid0(VALU_DEP_1)
	v_dual_mov_b32 v9, v8 :: v_dual_mov_b32 v10, v8
	v_mov_b32_e32 v11, v8
	scratch_store_b128 off, v[8:11], off offset:16
	s_wait_loadcnt 0x0
	ds_store_b128 v6, v[2:5]
.LBB76_89:
	s_wait_xcnt 0x0
	s_or_b32 exec_lo, exec_lo, s2
	s_wait_storecnt_dscnt 0x0
	s_barrier_signal -1
	s_barrier_wait -1
	s_clause 0x9
	scratch_load_b128 v[8:11], off, off offset:32
	scratch_load_b128 v[40:43], off, off offset:48
	;; [unrolled: 1-line block ×10, first 2 shown]
	v_mov_b32_e32 v2, 0
	s_mov_b32 s2, exec_lo
	ds_load_b128 v[76:79], v2 offset:240
	s_clause 0x1
	scratch_load_b128 v[80:83], off, off offset:192
	scratch_load_b128 v[84:87], off, off offset:16
	s_wait_loadcnt_dscnt 0xb00
	v_mul_f64_e32 v[4:5], v[78:79], v[10:11]
	v_mul_f64_e32 v[12:13], v[76:77], v[10:11]
	ds_load_b128 v[88:91], v2 offset:256
	s_wait_loadcnt_dscnt 0xa00
	v_mul_f64_e32 v[92:93], v[88:89], v[42:43]
	v_mul_f64_e32 v[42:43], v[90:91], v[42:43]
	v_fma_f64 v[4:5], v[76:77], v[8:9], -v[4:5]
	v_fmac_f64_e32 v[12:13], v[78:79], v[8:9]
	ds_load_b128 v[8:11], v2 offset:272
	ds_load_b128 v[76:79], v2 offset:288
	s_wait_loadcnt_dscnt 0x901
	v_mul_f64_e32 v[94:95], v[8:9], v[46:47]
	v_mul_f64_e32 v[46:47], v[10:11], v[46:47]
	v_fmac_f64_e32 v[92:93], v[90:91], v[40:41]
	v_fma_f64 v[40:41], v[88:89], v[40:41], -v[42:43]
	s_wait_loadcnt_dscnt 0x800
	v_mul_f64_e32 v[88:89], v[76:77], v[50:51]
	v_mul_f64_e32 v[50:51], v[78:79], v[50:51]
	v_add_f64_e32 v[4:5], 0, v[4:5]
	v_add_f64_e32 v[12:13], 0, v[12:13]
	v_fmac_f64_e32 v[94:95], v[10:11], v[44:45]
	v_fma_f64 v[44:45], v[8:9], v[44:45], -v[46:47]
	v_fmac_f64_e32 v[88:89], v[78:79], v[48:49]
	v_fma_f64 v[48:49], v[76:77], v[48:49], -v[50:51]
	v_add_f64_e32 v[4:5], v[4:5], v[40:41]
	v_add_f64_e32 v[12:13], v[12:13], v[92:93]
	ds_load_b128 v[8:11], v2 offset:304
	ds_load_b128 v[40:43], v2 offset:320
	s_wait_loadcnt_dscnt 0x701
	v_mul_f64_e32 v[90:91], v[8:9], v[54:55]
	v_mul_f64_e32 v[46:47], v[10:11], v[54:55]
	s_wait_loadcnt_dscnt 0x600
	v_mul_f64_e32 v[50:51], v[40:41], v[58:59]
	v_mul_f64_e32 v[54:55], v[42:43], v[58:59]
	v_add_f64_e32 v[4:5], v[4:5], v[44:45]
	v_add_f64_e32 v[12:13], v[12:13], v[94:95]
	v_fmac_f64_e32 v[90:91], v[10:11], v[52:53]
	v_fma_f64 v[52:53], v[8:9], v[52:53], -v[46:47]
	ds_load_b128 v[8:11], v2 offset:336
	ds_load_b128 v[44:47], v2 offset:352
	v_fmac_f64_e32 v[50:51], v[42:43], v[56:57]
	v_fma_f64 v[40:41], v[40:41], v[56:57], -v[54:55]
	v_add_f64_e32 v[4:5], v[4:5], v[48:49]
	v_add_f64_e32 v[12:13], v[12:13], v[88:89]
	s_wait_loadcnt_dscnt 0x501
	v_mul_f64_e32 v[48:49], v[8:9], v[62:63]
	v_mul_f64_e32 v[58:59], v[10:11], v[62:63]
	s_wait_loadcnt_dscnt 0x400
	v_mul_f64_e32 v[54:55], v[46:47], v[66:67]
	v_add_f64_e32 v[4:5], v[4:5], v[52:53]
	v_add_f64_e32 v[12:13], v[12:13], v[90:91]
	v_mul_f64_e32 v[52:53], v[44:45], v[66:67]
	v_fmac_f64_e32 v[48:49], v[10:11], v[60:61]
	v_fma_f64 v[56:57], v[8:9], v[60:61], -v[58:59]
	v_fma_f64 v[44:45], v[44:45], v[64:65], -v[54:55]
	v_add_f64_e32 v[4:5], v[4:5], v[40:41]
	v_add_f64_e32 v[12:13], v[12:13], v[50:51]
	ds_load_b128 v[8:11], v2 offset:368
	ds_load_b128 v[40:43], v2 offset:384
	v_fmac_f64_e32 v[52:53], v[46:47], v[64:65]
	s_wait_loadcnt_dscnt 0x301
	v_mul_f64_e32 v[50:51], v[8:9], v[70:71]
	v_mul_f64_e32 v[58:59], v[10:11], v[70:71]
	s_wait_loadcnt_dscnt 0x200
	v_mul_f64_e32 v[46:47], v[40:41], v[74:75]
	v_add_f64_e32 v[4:5], v[4:5], v[56:57]
	v_add_f64_e32 v[12:13], v[12:13], v[48:49]
	v_mul_f64_e32 v[48:49], v[42:43], v[74:75]
	v_fmac_f64_e32 v[50:51], v[10:11], v[68:69]
	v_fma_f64 v[54:55], v[8:9], v[68:69], -v[58:59]
	ds_load_b128 v[8:11], v2 offset:400
	v_fmac_f64_e32 v[46:47], v[42:43], v[72:73]
	v_add_f64_e32 v[4:5], v[4:5], v[44:45]
	v_add_f64_e32 v[12:13], v[12:13], v[52:53]
	v_fma_f64 v[40:41], v[40:41], v[72:73], -v[48:49]
	s_wait_loadcnt_dscnt 0x100
	v_mul_f64_e32 v[44:45], v[8:9], v[82:83]
	v_mul_f64_e32 v[52:53], v[10:11], v[82:83]
	v_add_f64_e32 v[4:5], v[4:5], v[54:55]
	v_add_f64_e32 v[12:13], v[12:13], v[50:51]
	s_delay_alu instid0(VALU_DEP_4) | instskip(NEXT) | instid1(VALU_DEP_4)
	v_fmac_f64_e32 v[44:45], v[10:11], v[80:81]
	v_fma_f64 v[8:9], v[8:9], v[80:81], -v[52:53]
	s_delay_alu instid0(VALU_DEP_4) | instskip(NEXT) | instid1(VALU_DEP_4)
	v_add_f64_e32 v[4:5], v[4:5], v[40:41]
	v_add_f64_e32 v[10:11], v[12:13], v[46:47]
	s_delay_alu instid0(VALU_DEP_2) | instskip(NEXT) | instid1(VALU_DEP_2)
	v_add_f64_e32 v[4:5], v[4:5], v[8:9]
	v_add_f64_e32 v[10:11], v[10:11], v[44:45]
	s_wait_loadcnt 0x0
	s_delay_alu instid0(VALU_DEP_2) | instskip(NEXT) | instid1(VALU_DEP_2)
	v_add_f64_e64 v[8:9], v[84:85], -v[4:5]
	v_add_f64_e64 v[10:11], v[86:87], -v[10:11]
	scratch_store_b128 off, v[8:11], off offset:16
	s_wait_xcnt 0x0
	v_cmpx_ne_u32_e32 0, v1
	s_cbranch_execz .LBB76_91
; %bb.90:
	scratch_load_b128 v[8:11], off, off
	v_dual_mov_b32 v3, v2 :: v_dual_mov_b32 v4, v2
	v_mov_b32_e32 v5, v2
	scratch_store_b128 off, v[2:5], off
	s_wait_loadcnt 0x0
	ds_store_b128 v6, v[8:11]
.LBB76_91:
	s_wait_xcnt 0x0
	s_or_b32 exec_lo, exec_lo, s2
	s_wait_storecnt_dscnt 0x0
	s_barrier_signal -1
	s_barrier_wait -1
	s_clause 0x9
	scratch_load_b128 v[4:7], off, off offset:16
	scratch_load_b128 v[8:11], off, off offset:32
	scratch_load_b128 v[40:43], off, off offset:48
	scratch_load_b128 v[44:47], off, off offset:64
	scratch_load_b128 v[48:51], off, off offset:80
	scratch_load_b128 v[52:55], off, off offset:96
	scratch_load_b128 v[56:59], off, off offset:112
	scratch_load_b128 v[60:63], off, off offset:128
	scratch_load_b128 v[64:67], off, off offset:144
	scratch_load_b128 v[68:71], off, off offset:160
	ds_load_b128 v[72:75], v2 offset:224
	ds_load_b128 v[76:79], v2 offset:240
	s_clause 0x1
	scratch_load_b128 v[80:83], off, off
	scratch_load_b128 v[84:87], off, off offset:176
	v_lshl_add_u64 v[22:23], v[22:23], 4, s[4:5]
	s_and_b32 vcc_lo, exec_lo, s24
	s_wait_loadcnt_dscnt 0xb01
	v_mul_f64_e32 v[88:89], v[72:73], v[6:7]
	v_mul_f64_e32 v[6:7], v[74:75], v[6:7]
	s_wait_loadcnt_dscnt 0xa00
	v_mul_f64_e32 v[90:91], v[76:77], v[10:11]
	v_mul_f64_e32 v[92:93], v[78:79], v[10:11]
	ds_load_b128 v[10:13], v2 offset:256
	v_fmac_f64_e32 v[88:89], v[74:75], v[4:5]
	v_fma_f64 v[94:95], v[72:73], v[4:5], -v[6:7]
	scratch_load_b128 v[4:7], off, off offset:192
	v_fmac_f64_e32 v[90:91], v[78:79], v[8:9]
	v_fma_f64 v[8:9], v[76:77], v[8:9], -v[92:93]
	ds_load_b128 v[72:75], v2 offset:272
	s_wait_loadcnt_dscnt 0xa01
	v_mul_f64_e32 v[76:77], v[10:11], v[42:43]
	v_mul_f64_e32 v[42:43], v[12:13], v[42:43]
	s_wait_loadcnt_dscnt 0x900
	v_mul_f64_e32 v[92:93], v[72:73], v[46:47]
	v_mul_f64_e32 v[46:47], v[74:75], v[46:47]
	v_add_f64_e32 v[88:89], 0, v[88:89]
	v_add_f64_e32 v[78:79], 0, v[94:95]
	v_fmac_f64_e32 v[76:77], v[12:13], v[40:41]
	v_fma_f64 v[12:13], v[10:11], v[40:41], -v[42:43]
	v_fmac_f64_e32 v[92:93], v[74:75], v[44:45]
	v_fma_f64 v[44:45], v[72:73], v[44:45], -v[46:47]
	v_add_f64_e32 v[88:89], v[88:89], v[90:91]
	v_add_f64_e32 v[78:79], v[78:79], v[8:9]
	ds_load_b128 v[8:11], v2 offset:288
	ds_load_b128 v[40:43], v2 offset:304
	s_wait_loadcnt_dscnt 0x801
	v_mul_f64_e32 v[90:91], v[8:9], v[50:51]
	v_mul_f64_e32 v[46:47], v[10:11], v[50:51]
	s_wait_loadcnt_dscnt 0x700
	v_mul_f64_e32 v[72:73], v[40:41], v[54:55]
	v_mul_f64_e32 v[54:55], v[42:43], v[54:55]
	v_add_f64_e32 v[50:51], v[88:89], v[76:77]
	v_add_f64_e32 v[12:13], v[78:79], v[12:13]
	v_fmac_f64_e32 v[90:91], v[10:11], v[48:49]
	v_fma_f64 v[48:49], v[8:9], v[48:49], -v[46:47]
	v_fmac_f64_e32 v[72:73], v[42:43], v[52:53]
	v_fma_f64 v[40:41], v[40:41], v[52:53], -v[54:55]
	v_add_f64_e32 v[50:51], v[50:51], v[92:93]
	v_add_f64_e32 v[12:13], v[12:13], v[44:45]
	ds_load_b128 v[8:11], v2 offset:320
	ds_load_b128 v[44:47], v2 offset:336
	s_wait_loadcnt_dscnt 0x601
	v_mul_f64_e32 v[74:75], v[8:9], v[58:59]
	v_mul_f64_e32 v[58:59], v[10:11], v[58:59]
	v_add_f64_e32 v[42:43], v[50:51], v[90:91]
	v_add_f64_e32 v[12:13], v[12:13], v[48:49]
	s_wait_loadcnt_dscnt 0x500
	v_mul_f64_e32 v[48:49], v[44:45], v[62:63]
	v_mul_f64_e32 v[50:51], v[46:47], v[62:63]
	v_fmac_f64_e32 v[74:75], v[10:11], v[56:57]
	v_fma_f64 v[52:53], v[8:9], v[56:57], -v[58:59]
	v_add_f64_e32 v[54:55], v[42:43], v[72:73]
	v_add_f64_e32 v[12:13], v[12:13], v[40:41]
	ds_load_b128 v[8:11], v2 offset:352
	ds_load_b128 v[40:43], v2 offset:368
	v_fmac_f64_e32 v[48:49], v[46:47], v[60:61]
	v_fma_f64 v[44:45], v[44:45], v[60:61], -v[50:51]
	s_wait_loadcnt_dscnt 0x401
	v_mul_f64_e32 v[56:57], v[8:9], v[66:67]
	v_mul_f64_e32 v[58:59], v[10:11], v[66:67]
	s_wait_loadcnt_dscnt 0x300
	v_mul_f64_e32 v[50:51], v[40:41], v[70:71]
	v_add_f64_e32 v[46:47], v[54:55], v[74:75]
	v_add_f64_e32 v[12:13], v[12:13], v[52:53]
	v_mul_f64_e32 v[52:53], v[42:43], v[70:71]
	v_fmac_f64_e32 v[56:57], v[10:11], v[64:65]
	v_fma_f64 v[54:55], v[8:9], v[64:65], -v[58:59]
	v_fmac_f64_e32 v[50:51], v[42:43], v[68:69]
	v_add_f64_e32 v[48:49], v[46:47], v[48:49]
	v_add_f64_e32 v[12:13], v[12:13], v[44:45]
	ds_load_b128 v[8:11], v2 offset:384
	ds_load_b128 v[44:47], v2 offset:400
	v_fma_f64 v[40:41], v[40:41], v[68:69], -v[52:53]
	s_wait_loadcnt_dscnt 0x101
	v_mul_f64_e32 v[2:3], v[8:9], v[86:87]
	v_mul_f64_e32 v[58:59], v[10:11], v[86:87]
	v_add_f64_e32 v[42:43], v[48:49], v[56:57]
	v_add_f64_e32 v[12:13], v[12:13], v[54:55]
	s_delay_alu instid0(VALU_DEP_4) | instskip(NEXT) | instid1(VALU_DEP_4)
	v_fmac_f64_e32 v[2:3], v[10:11], v[84:85]
	v_fma_f64 v[8:9], v[8:9], v[84:85], -v[58:59]
	s_delay_alu instid0(VALU_DEP_3)
	v_add_f64_e32 v[10:11], v[12:13], v[40:41]
	s_wait_loadcnt_dscnt 0x0
	v_mul_f64_e32 v[48:49], v[44:45], v[6:7]
	v_mul_f64_e32 v[6:7], v[46:47], v[6:7]
	v_add_f64_e32 v[12:13], v[42:43], v[50:51]
	v_lshl_add_u64 v[42:43], v[18:19], 4, s[4:5]
	v_lshl_add_u64 v[40:41], v[20:21], 4, s[4:5]
	;; [unrolled: 1-line block ×4, first 2 shown]
	v_fmac_f64_e32 v[48:49], v[46:47], v[4:5]
	v_fma_f64 v[4:5], v[44:45], v[4:5], -v[6:7]
	v_add_f64_e32 v[6:7], v[10:11], v[8:9]
	v_add_f64_e32 v[2:3], v[12:13], v[2:3]
	v_lshl_add_u64 v[12:13], v[28:29], 4, s[4:5]
	v_lshl_add_u64 v[10:11], v[30:31], 4, s[4:5]
	;; [unrolled: 1-line block ×3, first 2 shown]
	v_add_f64_e32 v[4:5], v[6:7], v[4:5]
	v_add_f64_e32 v[2:3], v[2:3], v[48:49]
	v_lshl_add_u64 v[6:7], v[34:35], 4, s[4:5]
	s_delay_alu instid0(VALU_DEP_3) | instskip(NEXT) | instid1(VALU_DEP_3)
	v_add_f64_e64 v[44:45], v[80:81], -v[4:5]
	v_add_f64_e64 v[46:47], v[82:83], -v[2:3]
	v_lshl_add_u64 v[4:5], v[36:37], 4, s[4:5]
	v_lshl_add_u64 v[2:3], v[38:39], 4, s[4:5]
	scratch_store_b128 off, v[44:47], off
	s_cbranch_vccz .LBB76_116
; %bb.92:
	v_mov_b32_e32 v24, 0
	s_load_b64 s[2:3], s[0:1], 0x4
	v_bfe_u32 v26, v0, 10, 10
	v_bfe_u32 v0, v0, 20, 10
	global_load_b32 v25, v24, s[8:9] offset:44
	s_wait_kmcnt 0x0
	s_lshr_b32 s0, s2, 16
	v_mul_u32_u24_e32 v26, s3, v26
	s_mul_i32 s0, s0, s3
	s_delay_alu instid0(SALU_CYCLE_1) | instskip(NEXT) | instid1(VALU_DEP_1)
	v_mul_u32_u24_e32 v1, s0, v1
	v_add3_u32 v0, v1, v26, v0
	s_delay_alu instid0(VALU_DEP_1)
	v_lshl_add_u32 v0, v0, 4, 0x1a8
	s_wait_loadcnt 0x0
	v_cmp_ne_u32_e32 vcc_lo, 12, v25
	s_cbranch_vccz .LBB76_94
; %bb.93:
	v_lshlrev_b32_e32 v1, 4, v25
	s_clause 0x1
	scratch_load_b128 v[26:29], off, s21
	scratch_load_b128 v[30:33], v1, off offset:-16
	s_wait_loadcnt 0x1
	ds_store_2addr_b64 v0, v[26:27], v[28:29] offset1:1
	s_wait_loadcnt 0x0
	s_clause 0x1
	scratch_store_b128 off, v[30:33], s21
	scratch_store_b128 v1, v[26:29], off offset:-16
.LBB76_94:
	global_load_b32 v1, v24, s[8:9] offset:40
	s_wait_loadcnt 0x0
	v_cmp_eq_u32_e32 vcc_lo, 11, v1
	s_cbranch_vccnz .LBB76_96
; %bb.95:
	v_lshlrev_b32_e32 v1, 4, v1
	s_clause 0x1
	scratch_load_b128 v[24:27], off, s15
	scratch_load_b128 v[28:31], v1, off offset:-16
	s_wait_loadcnt 0x1
	ds_store_2addr_b64 v0, v[24:25], v[26:27] offset1:1
	s_wait_loadcnt 0x0
	s_clause 0x1
	scratch_store_b128 off, v[28:31], s15
	scratch_store_b128 v1, v[24:27], off offset:-16
.LBB76_96:
	s_wait_xcnt 0x0
	v_mov_b32_e32 v1, 0
	global_load_b32 v24, v1, s[8:9] offset:36
	s_wait_loadcnt 0x0
	v_cmp_eq_u32_e32 vcc_lo, 10, v24
	s_cbranch_vccnz .LBB76_98
; %bb.97:
	v_lshlrev_b32_e32 v24, 4, v24
	s_delay_alu instid0(VALU_DEP_1)
	v_mov_b32_e32 v32, v24
	s_clause 0x1
	scratch_load_b128 v[24:27], off, s20
	scratch_load_b128 v[28:31], v32, off offset:-16
	s_wait_loadcnt 0x1
	ds_store_2addr_b64 v0, v[24:25], v[26:27] offset1:1
	s_wait_loadcnt 0x0
	s_clause 0x1
	scratch_store_b128 off, v[28:31], s20
	scratch_store_b128 v32, v[24:27], off offset:-16
.LBB76_98:
	global_load_b32 v1, v1, s[8:9] offset:32
	s_wait_loadcnt 0x0
	v_cmp_eq_u32_e32 vcc_lo, 9, v1
	s_cbranch_vccnz .LBB76_100
; %bb.99:
	s_wait_xcnt 0x0
	v_lshlrev_b32_e32 v1, 4, v1
	s_clause 0x1
	scratch_load_b128 v[24:27], off, s14
	scratch_load_b128 v[28:31], v1, off offset:-16
	s_wait_loadcnt 0x1
	ds_store_2addr_b64 v0, v[24:25], v[26:27] offset1:1
	s_wait_loadcnt 0x0
	s_clause 0x1
	scratch_store_b128 off, v[28:31], s14
	scratch_store_b128 v1, v[24:27], off offset:-16
.LBB76_100:
	s_wait_xcnt 0x0
	v_mov_b32_e32 v1, 0
	global_load_b32 v24, v1, s[8:9] offset:28
	s_wait_loadcnt 0x0
	v_cmp_eq_u32_e32 vcc_lo, 8, v24
	s_cbranch_vccnz .LBB76_102
; %bb.101:
	v_lshlrev_b32_e32 v24, 4, v24
	s_delay_alu instid0(VALU_DEP_1)
	v_mov_b32_e32 v32, v24
	s_clause 0x1
	scratch_load_b128 v[24:27], off, s19
	scratch_load_b128 v[28:31], v32, off offset:-16
	s_wait_loadcnt 0x1
	ds_store_2addr_b64 v0, v[24:25], v[26:27] offset1:1
	s_wait_loadcnt 0x0
	s_clause 0x1
	scratch_store_b128 off, v[28:31], s19
	scratch_store_b128 v32, v[24:27], off offset:-16
.LBB76_102:
	global_load_b32 v1, v1, s[8:9] offset:24
	s_wait_loadcnt 0x0
	v_cmp_eq_u32_e32 vcc_lo, 7, v1
	s_cbranch_vccnz .LBB76_104
; %bb.103:
	s_wait_xcnt 0x0
	v_lshlrev_b32_e32 v1, 4, v1
	s_clause 0x1
	scratch_load_b128 v[24:27], off, s13
	scratch_load_b128 v[28:31], v1, off offset:-16
	s_wait_loadcnt 0x1
	ds_store_2addr_b64 v0, v[24:25], v[26:27] offset1:1
	s_wait_loadcnt 0x0
	s_clause 0x1
	scratch_store_b128 off, v[28:31], s13
	scratch_store_b128 v1, v[24:27], off offset:-16
.LBB76_104:
	;; [unrolled: 37-line block ×4, first 2 shown]
	s_wait_xcnt 0x0
	v_mov_b32_e32 v1, 0
	global_load_b32 v24, v1, s[8:9] offset:4
	s_wait_loadcnt 0x0
	v_cmp_eq_u32_e32 vcc_lo, 2, v24
	s_cbranch_vccnz .LBB76_114
; %bb.113:
	v_lshlrev_b32_e32 v24, 4, v24
	s_delay_alu instid0(VALU_DEP_1)
	v_mov_b32_e32 v32, v24
	s_clause 0x1
	scratch_load_b128 v[24:27], off, s23
	scratch_load_b128 v[28:31], v32, off offset:-16
	s_wait_loadcnt 0x1
	ds_store_2addr_b64 v0, v[24:25], v[26:27] offset1:1
	s_wait_loadcnt 0x0
	s_clause 0x1
	scratch_store_b128 off, v[28:31], s23
	scratch_store_b128 v32, v[24:27], off offset:-16
.LBB76_114:
	global_load_b32 v1, v1, s[8:9]
	s_wait_loadcnt 0x0
	v_cmp_eq_u32_e32 vcc_lo, 1, v1
	s_cbranch_vccnz .LBB76_116
; %bb.115:
	s_wait_xcnt 0x0
	v_lshlrev_b32_e32 v1, 4, v1
	scratch_load_b128 v[24:27], off, off
	scratch_load_b128 v[28:31], v1, off offset:-16
	s_wait_loadcnt 0x1
	ds_store_2addr_b64 v0, v[24:25], v[26:27] offset1:1
	s_wait_loadcnt 0x0
	scratch_store_b128 off, v[28:31], off
	scratch_store_b128 v1, v[24:27], off offset:-16
.LBB76_116:
	scratch_load_b128 v[24:27], off, off
	s_wait_loadcnt 0x0
	flat_store_b128 v[14:15], v[24:27]
	scratch_load_b128 v[24:27], off, s23
	s_wait_loadcnt 0x0
	flat_store_b128 v[16:17], v[24:27]
	scratch_load_b128 v[14:17], off, s22
	;; [unrolled: 3-line block ×12, first 2 shown]
	s_wait_loadcnt 0x0
	flat_store_b128 v[2:3], v[4:7]
	s_sendmsg sendmsg(MSG_DEALLOC_VGPRS)
	s_endpgm
	.section	.rodata,"a",@progbits
	.p2align	6, 0x0
	.amdhsa_kernel _ZN9rocsolver6v33100L18getri_kernel_smallILi13E19rocblas_complex_numIdEPKPS3_EEvT1_iilPiilS8_bb
		.amdhsa_group_segment_fixed_size 1448
		.amdhsa_private_segment_fixed_size 224
		.amdhsa_kernarg_size 60
		.amdhsa_user_sgpr_count 4
		.amdhsa_user_sgpr_dispatch_ptr 1
		.amdhsa_user_sgpr_queue_ptr 0
		.amdhsa_user_sgpr_kernarg_segment_ptr 1
		.amdhsa_user_sgpr_dispatch_id 0
		.amdhsa_user_sgpr_kernarg_preload_length 0
		.amdhsa_user_sgpr_kernarg_preload_offset 0
		.amdhsa_user_sgpr_private_segment_size 0
		.amdhsa_wavefront_size32 1
		.amdhsa_uses_dynamic_stack 0
		.amdhsa_enable_private_segment 1
		.amdhsa_system_sgpr_workgroup_id_x 1
		.amdhsa_system_sgpr_workgroup_id_y 0
		.amdhsa_system_sgpr_workgroup_id_z 0
		.amdhsa_system_sgpr_workgroup_info 0
		.amdhsa_system_vgpr_workitem_id 2
		.amdhsa_next_free_vgpr 96
		.amdhsa_next_free_sgpr 28
		.amdhsa_named_barrier_count 0
		.amdhsa_reserve_vcc 1
		.amdhsa_float_round_mode_32 0
		.amdhsa_float_round_mode_16_64 0
		.amdhsa_float_denorm_mode_32 3
		.amdhsa_float_denorm_mode_16_64 3
		.amdhsa_fp16_overflow 0
		.amdhsa_memory_ordered 1
		.amdhsa_forward_progress 1
		.amdhsa_inst_pref_size 99
		.amdhsa_round_robin_scheduling 0
		.amdhsa_exception_fp_ieee_invalid_op 0
		.amdhsa_exception_fp_denorm_src 0
		.amdhsa_exception_fp_ieee_div_zero 0
		.amdhsa_exception_fp_ieee_overflow 0
		.amdhsa_exception_fp_ieee_underflow 0
		.amdhsa_exception_fp_ieee_inexact 0
		.amdhsa_exception_int_div_zero 0
	.end_amdhsa_kernel
	.section	.text._ZN9rocsolver6v33100L18getri_kernel_smallILi13E19rocblas_complex_numIdEPKPS3_EEvT1_iilPiilS8_bb,"axG",@progbits,_ZN9rocsolver6v33100L18getri_kernel_smallILi13E19rocblas_complex_numIdEPKPS3_EEvT1_iilPiilS8_bb,comdat
.Lfunc_end76:
	.size	_ZN9rocsolver6v33100L18getri_kernel_smallILi13E19rocblas_complex_numIdEPKPS3_EEvT1_iilPiilS8_bb, .Lfunc_end76-_ZN9rocsolver6v33100L18getri_kernel_smallILi13E19rocblas_complex_numIdEPKPS3_EEvT1_iilPiilS8_bb
                                        ; -- End function
	.set _ZN9rocsolver6v33100L18getri_kernel_smallILi13E19rocblas_complex_numIdEPKPS3_EEvT1_iilPiilS8_bb.num_vgpr, 96
	.set _ZN9rocsolver6v33100L18getri_kernel_smallILi13E19rocblas_complex_numIdEPKPS3_EEvT1_iilPiilS8_bb.num_agpr, 0
	.set _ZN9rocsolver6v33100L18getri_kernel_smallILi13E19rocblas_complex_numIdEPKPS3_EEvT1_iilPiilS8_bb.numbered_sgpr, 28
	.set _ZN9rocsolver6v33100L18getri_kernel_smallILi13E19rocblas_complex_numIdEPKPS3_EEvT1_iilPiilS8_bb.num_named_barrier, 0
	.set _ZN9rocsolver6v33100L18getri_kernel_smallILi13E19rocblas_complex_numIdEPKPS3_EEvT1_iilPiilS8_bb.private_seg_size, 224
	.set _ZN9rocsolver6v33100L18getri_kernel_smallILi13E19rocblas_complex_numIdEPKPS3_EEvT1_iilPiilS8_bb.uses_vcc, 1
	.set _ZN9rocsolver6v33100L18getri_kernel_smallILi13E19rocblas_complex_numIdEPKPS3_EEvT1_iilPiilS8_bb.uses_flat_scratch, 1
	.set _ZN9rocsolver6v33100L18getri_kernel_smallILi13E19rocblas_complex_numIdEPKPS3_EEvT1_iilPiilS8_bb.has_dyn_sized_stack, 0
	.set _ZN9rocsolver6v33100L18getri_kernel_smallILi13E19rocblas_complex_numIdEPKPS3_EEvT1_iilPiilS8_bb.has_recursion, 0
	.set _ZN9rocsolver6v33100L18getri_kernel_smallILi13E19rocblas_complex_numIdEPKPS3_EEvT1_iilPiilS8_bb.has_indirect_call, 0
	.section	.AMDGPU.csdata,"",@progbits
; Kernel info:
; codeLenInByte = 12556
; TotalNumSgprs: 30
; NumVgprs: 96
; ScratchSize: 224
; MemoryBound: 0
; FloatMode: 240
; IeeeMode: 1
; LDSByteSize: 1448 bytes/workgroup (compile time only)
; SGPRBlocks: 0
; VGPRBlocks: 5
; NumSGPRsForWavesPerEU: 30
; NumVGPRsForWavesPerEU: 96
; NamedBarCnt: 0
; Occupancy: 10
; WaveLimiterHint : 1
; COMPUTE_PGM_RSRC2:SCRATCH_EN: 1
; COMPUTE_PGM_RSRC2:USER_SGPR: 4
; COMPUTE_PGM_RSRC2:TRAP_HANDLER: 0
; COMPUTE_PGM_RSRC2:TGID_X_EN: 1
; COMPUTE_PGM_RSRC2:TGID_Y_EN: 0
; COMPUTE_PGM_RSRC2:TGID_Z_EN: 0
; COMPUTE_PGM_RSRC2:TIDIG_COMP_CNT: 2
	.section	.text._ZN9rocsolver6v33100L18getri_kernel_smallILi14E19rocblas_complex_numIdEPKPS3_EEvT1_iilPiilS8_bb,"axG",@progbits,_ZN9rocsolver6v33100L18getri_kernel_smallILi14E19rocblas_complex_numIdEPKPS3_EEvT1_iilPiilS8_bb,comdat
	.globl	_ZN9rocsolver6v33100L18getri_kernel_smallILi14E19rocblas_complex_numIdEPKPS3_EEvT1_iilPiilS8_bb ; -- Begin function _ZN9rocsolver6v33100L18getri_kernel_smallILi14E19rocblas_complex_numIdEPKPS3_EEvT1_iilPiilS8_bb
	.p2align	8
	.type	_ZN9rocsolver6v33100L18getri_kernel_smallILi14E19rocblas_complex_numIdEPKPS3_EEvT1_iilPiilS8_bb,@function
_ZN9rocsolver6v33100L18getri_kernel_smallILi14E19rocblas_complex_numIdEPKPS3_EEvT1_iilPiilS8_bb: ; @_ZN9rocsolver6v33100L18getri_kernel_smallILi14E19rocblas_complex_numIdEPKPS3_EEvT1_iilPiilS8_bb
; %bb.0:
	v_and_b32_e32 v1, 0x3ff, v0
	s_mov_b32 s4, exec_lo
	s_delay_alu instid0(VALU_DEP_1)
	v_cmpx_gt_u32_e32 14, v1
	s_cbranch_execz .LBB77_70
; %bb.1:
	s_clause 0x1
	s_load_b32 s14, s[2:3], 0x38
	s_load_b64 s[8:9], s[2:3], 0x0
	s_getreg_b32 s6, hwreg(HW_REG_IB_STS2, 6, 4)
	s_wait_kmcnt 0x0
	s_bitcmp1_b32 s14, 8
	s_cselect_b32 s25, -1, 0
	s_bfe_u32 s4, ttmp6, 0x4000c
	s_and_b32 s5, ttmp6, 15
	s_add_co_i32 s4, s4, 1
	s_delay_alu instid0(SALU_CYCLE_1) | instskip(NEXT) | instid1(SALU_CYCLE_1)
	s_mul_i32 s4, ttmp9, s4
	s_add_co_i32 s5, s5, s4
	s_cmp_eq_u32 s6, 0
	s_cselect_b32 s10, ttmp9, s5
	s_load_b128 s[4:7], s[2:3], 0x28
	s_ashr_i32 s11, s10, 31
	s_delay_alu instid0(SALU_CYCLE_1) | instskip(NEXT) | instid1(SALU_CYCLE_1)
	s_lshl_b64 s[12:13], s[10:11], 3
	s_add_nc_u64 s[8:9], s[8:9], s[12:13]
	s_load_b64 s[12:13], s[8:9], 0x0
	s_wait_xcnt 0x0
	s_bfe_u32 s8, s14, 0x10008
	s_delay_alu instid0(SALU_CYCLE_1)
	s_cmp_eq_u32 s8, 0
                                        ; implicit-def: $sgpr8_sgpr9
	s_cbranch_scc1 .LBB77_3
; %bb.2:
	s_load_b96 s[16:18], s[2:3], 0x18
	s_wait_kmcnt 0x0
	s_mul_u64 s[4:5], s[4:5], s[10:11]
	s_delay_alu instid0(SALU_CYCLE_1) | instskip(SKIP_4) | instid1(SALU_CYCLE_1)
	s_lshl_b64 s[4:5], s[4:5], 2
	s_ashr_i32 s9, s18, 31
	s_mov_b32 s8, s18
	s_add_nc_u64 s[4:5], s[16:17], s[4:5]
	s_lshl_b64 s[8:9], s[8:9], 2
	s_add_nc_u64 s[8:9], s[4:5], s[8:9]
.LBB77_3:
	s_clause 0x1
	s_load_b64 s[14:15], s[2:3], 0x8
	s_load_b32 s26, s[2:3], 0x38
	v_dual_mov_b32 v43, 0 :: v_dual_lshlrev_b32 v42, 4, v1
	s_mov_b32 s24, 16
	s_mov_b32 s23, 32
	;; [unrolled: 1-line block ×4, first 2 shown]
	s_movk_i32 s19, 0x60
	s_movk_i32 s20, 0x80
	;; [unrolled: 1-line block ×5, first 2 shown]
	s_wait_kmcnt 0x0
	s_ashr_i32 s3, s14, 31
	s_mov_b32 s2, s14
	v_add3_u32 v18, s15, s15, v1
	s_lshl_b64 s[2:3], s[2:3], 4
	s_movk_i32 s14, 0x90
	s_add_nc_u64 s[4:5], s[12:13], s[2:3]
	s_ashr_i32 s3, s15, 31
	flat_load_b128 v[2:5], v1, s[4:5] scale_offset
	v_add_nc_u64_e32 v[14:15], s[4:5], v[42:43]
	s_mov_b32 s2, s15
	v_add_nc_u32_e32 v20, s15, v18
	s_movk_i32 s12, 0x50
	s_movk_i32 s13, 0x70
	s_bitcmp0_b32 s26, 0
	s_delay_alu instid0(VALU_DEP_2) | instskip(SKIP_2) | instid1(VALU_DEP_1)
	v_lshl_add_u64 v[16:17], s[2:3], 4, v[14:15]
	v_add_nc_u32_e32 v22, s15, v20
	s_mov_b32 s3, -1
	v_add_nc_u32_e32 v24, s15, v22
	s_delay_alu instid0(VALU_DEP_1) | instskip(NEXT) | instid1(VALU_DEP_1)
	v_add_nc_u32_e32 v26, s15, v24
	v_add_nc_u32_e32 v28, s15, v26
	s_delay_alu instid0(VALU_DEP_1) | instskip(NEXT) | instid1(VALU_DEP_1)
	v_add_nc_u32_e32 v30, s15, v28
	v_add_nc_u32_e32 v32, s15, v30
	s_delay_alu instid0(VALU_DEP_1) | instskip(NEXT) | instid1(VALU_DEP_1)
	v_add_nc_u32_e32 v34, s15, v32
	v_add_nc_u32_e32 v36, s15, v34
	s_delay_alu instid0(VALU_DEP_1) | instskip(NEXT) | instid1(VALU_DEP_1)
	v_add_nc_u32_e32 v38, s15, v36
	v_add_nc_u32_e32 v40, s15, v38
	s_movk_i32 s15, 0xb0
	s_wait_loadcnt_dscnt 0x0
	scratch_store_b128 off, v[2:5], off
	flat_load_b128 v[2:5], v[16:17]
	s_wait_loadcnt_dscnt 0x0
	scratch_store_b128 off, v[2:5], off offset:16
	flat_load_b128 v[2:5], v18, s[4:5] scale_offset
	s_wait_loadcnt_dscnt 0x0
	scratch_store_b128 off, v[2:5], off offset:32
	flat_load_b128 v[2:5], v20, s[4:5] scale_offset
	;; [unrolled: 3-line block ×12, first 2 shown]
	s_wait_loadcnt_dscnt 0x0
	scratch_store_b128 off, v[2:5], off offset:208
	s_cbranch_scc1 .LBB77_68
; %bb.4:
	v_cmp_eq_u32_e64 s2, 0, v1
	s_wait_xcnt 0x0
	s_and_saveexec_b32 s3, s2
; %bb.5:
	v_mov_b32_e32 v2, 0
	ds_store_b32 v2, v2 offset:448
; %bb.6:
	s_or_b32 exec_lo, exec_lo, s3
	s_wait_storecnt_dscnt 0x0
	s_barrier_signal -1
	s_barrier_wait -1
	scratch_load_b128 v[2:5], v1, off scale_offset
	s_wait_loadcnt 0x0
	v_cmp_eq_f64_e32 vcc_lo, 0, v[2:3]
	v_cmp_eq_f64_e64 s3, 0, v[4:5]
	s_and_b32 s3, vcc_lo, s3
	s_delay_alu instid0(SALU_CYCLE_1)
	s_and_saveexec_b32 s26, s3
	s_cbranch_execz .LBB77_10
; %bb.7:
	v_mov_b32_e32 v2, 0
	s_mov_b32 s27, 0
	ds_load_b32 v3, v2 offset:448
	s_wait_dscnt 0x0
	v_readfirstlane_b32 s3, v3
	v_add_nc_u32_e32 v3, 1, v1
	s_cmp_eq_u32 s3, 0
	s_delay_alu instid0(VALU_DEP_1) | instskip(SKIP_1) | instid1(SALU_CYCLE_1)
	v_cmp_gt_i32_e32 vcc_lo, s3, v3
	s_cselect_b32 s28, -1, 0
	s_or_b32 s28, s28, vcc_lo
	s_delay_alu instid0(SALU_CYCLE_1)
	s_and_b32 exec_lo, exec_lo, s28
	s_cbranch_execz .LBB77_10
; %bb.8:
	v_mov_b32_e32 v4, s3
.LBB77_9:                               ; =>This Inner Loop Header: Depth=1
	ds_cmpstore_rtn_b32 v4, v2, v3, v4 offset:448
	s_wait_dscnt 0x0
	v_cmp_ne_u32_e32 vcc_lo, 0, v4
	v_cmp_le_i32_e64 s3, v4, v3
	s_and_b32 s3, vcc_lo, s3
	s_delay_alu instid0(SALU_CYCLE_1) | instskip(NEXT) | instid1(SALU_CYCLE_1)
	s_and_b32 s3, exec_lo, s3
	s_or_b32 s27, s3, s27
	s_delay_alu instid0(SALU_CYCLE_1)
	s_and_not1_b32 exec_lo, exec_lo, s27
	s_cbranch_execnz .LBB77_9
.LBB77_10:
	s_or_b32 exec_lo, exec_lo, s26
	v_mov_b32_e32 v2, 0
	s_barrier_signal -1
	s_barrier_wait -1
	ds_load_b32 v3, v2 offset:448
	s_and_saveexec_b32 s3, s2
	s_cbranch_execz .LBB77_12
; %bb.11:
	s_lshl_b64 s[26:27], s[10:11], 2
	s_delay_alu instid0(SALU_CYCLE_1)
	s_add_nc_u64 s[26:27], s[6:7], s[26:27]
	s_wait_dscnt 0x0
	global_store_b32 v2, v3, s[26:27]
.LBB77_12:
	s_wait_xcnt 0x0
	s_or_b32 exec_lo, exec_lo, s3
	s_wait_dscnt 0x0
	v_cmp_ne_u32_e32 vcc_lo, 0, v3
	s_mov_b32 s3, 0
	s_cbranch_vccnz .LBB77_68
; %bb.13:
	v_lshl_add_u32 v19, v1, 4, 0
                                        ; implicit-def: $vgpr6_vgpr7
                                        ; implicit-def: $vgpr10_vgpr11
	scratch_load_b128 v[2:5], v19, off
	s_wait_loadcnt 0x0
	v_cmp_ngt_f64_e64 s3, |v[2:3]|, |v[4:5]|
	s_wait_xcnt 0x0
	s_and_saveexec_b32 s26, s3
	s_delay_alu instid0(SALU_CYCLE_1)
	s_xor_b32 s3, exec_lo, s26
	s_cbranch_execz .LBB77_15
; %bb.14:
	v_div_scale_f64 v[6:7], null, v[4:5], v[4:5], v[2:3]
	v_div_scale_f64 v[12:13], vcc_lo, v[2:3], v[4:5], v[2:3]
	s_delay_alu instid0(VALU_DEP_2) | instskip(SKIP_1) | instid1(TRANS32_DEP_1)
	v_rcp_f64_e32 v[8:9], v[6:7]
	v_nop
	v_fma_f64 v[10:11], -v[6:7], v[8:9], 1.0
	s_delay_alu instid0(VALU_DEP_1) | instskip(NEXT) | instid1(VALU_DEP_1)
	v_fmac_f64_e32 v[8:9], v[8:9], v[10:11]
	v_fma_f64 v[10:11], -v[6:7], v[8:9], 1.0
	s_delay_alu instid0(VALU_DEP_1) | instskip(NEXT) | instid1(VALU_DEP_1)
	v_fmac_f64_e32 v[8:9], v[8:9], v[10:11]
	v_mul_f64_e32 v[10:11], v[12:13], v[8:9]
	s_delay_alu instid0(VALU_DEP_1) | instskip(NEXT) | instid1(VALU_DEP_1)
	v_fma_f64 v[6:7], -v[6:7], v[10:11], v[12:13]
	v_div_fmas_f64 v[6:7], v[6:7], v[8:9], v[10:11]
	s_delay_alu instid0(VALU_DEP_1) | instskip(NEXT) | instid1(VALU_DEP_1)
	v_div_fixup_f64 v[6:7], v[6:7], v[4:5], v[2:3]
	v_fmac_f64_e32 v[4:5], v[2:3], v[6:7]
	s_delay_alu instid0(VALU_DEP_1) | instskip(SKIP_1) | instid1(VALU_DEP_2)
	v_div_scale_f64 v[2:3], null, v[4:5], v[4:5], 1.0
	v_div_scale_f64 v[12:13], vcc_lo, 1.0, v[4:5], 1.0
	v_rcp_f64_e32 v[8:9], v[2:3]
	v_nop
	s_delay_alu instid0(TRANS32_DEP_1) | instskip(NEXT) | instid1(VALU_DEP_1)
	v_fma_f64 v[10:11], -v[2:3], v[8:9], 1.0
	v_fmac_f64_e32 v[8:9], v[8:9], v[10:11]
	s_delay_alu instid0(VALU_DEP_1) | instskip(NEXT) | instid1(VALU_DEP_1)
	v_fma_f64 v[10:11], -v[2:3], v[8:9], 1.0
	v_fmac_f64_e32 v[8:9], v[8:9], v[10:11]
	s_delay_alu instid0(VALU_DEP_1) | instskip(NEXT) | instid1(VALU_DEP_1)
	v_mul_f64_e32 v[10:11], v[12:13], v[8:9]
	v_fma_f64 v[2:3], -v[2:3], v[10:11], v[12:13]
	s_delay_alu instid0(VALU_DEP_1) | instskip(NEXT) | instid1(VALU_DEP_1)
	v_div_fmas_f64 v[2:3], v[2:3], v[8:9], v[10:11]
	v_div_fixup_f64 v[8:9], v[2:3], v[4:5], 1.0
                                        ; implicit-def: $vgpr2_vgpr3
	s_delay_alu instid0(VALU_DEP_1) | instskip(SKIP_1) | instid1(VALU_DEP_2)
	v_mul_f64_e32 v[6:7], v[6:7], v[8:9]
	v_xor_b32_e32 v9, 0x80000000, v9
	v_xor_b32_e32 v11, 0x80000000, v7
	s_delay_alu instid0(VALU_DEP_3)
	v_mov_b32_e32 v10, v6
.LBB77_15:
	s_and_not1_saveexec_b32 s3, s3
	s_cbranch_execz .LBB77_17
; %bb.16:
	v_div_scale_f64 v[6:7], null, v[2:3], v[2:3], v[4:5]
	v_div_scale_f64 v[12:13], vcc_lo, v[4:5], v[2:3], v[4:5]
	s_delay_alu instid0(VALU_DEP_2) | instskip(SKIP_1) | instid1(TRANS32_DEP_1)
	v_rcp_f64_e32 v[8:9], v[6:7]
	v_nop
	v_fma_f64 v[10:11], -v[6:7], v[8:9], 1.0
	s_delay_alu instid0(VALU_DEP_1) | instskip(NEXT) | instid1(VALU_DEP_1)
	v_fmac_f64_e32 v[8:9], v[8:9], v[10:11]
	v_fma_f64 v[10:11], -v[6:7], v[8:9], 1.0
	s_delay_alu instid0(VALU_DEP_1) | instskip(NEXT) | instid1(VALU_DEP_1)
	v_fmac_f64_e32 v[8:9], v[8:9], v[10:11]
	v_mul_f64_e32 v[10:11], v[12:13], v[8:9]
	s_delay_alu instid0(VALU_DEP_1) | instskip(NEXT) | instid1(VALU_DEP_1)
	v_fma_f64 v[6:7], -v[6:7], v[10:11], v[12:13]
	v_div_fmas_f64 v[6:7], v[6:7], v[8:9], v[10:11]
	s_delay_alu instid0(VALU_DEP_1) | instskip(NEXT) | instid1(VALU_DEP_1)
	v_div_fixup_f64 v[8:9], v[6:7], v[2:3], v[4:5]
	v_fmac_f64_e32 v[2:3], v[4:5], v[8:9]
	s_delay_alu instid0(VALU_DEP_1) | instskip(NEXT) | instid1(VALU_DEP_1)
	v_div_scale_f64 v[4:5], null, v[2:3], v[2:3], 1.0
	v_rcp_f64_e32 v[6:7], v[4:5]
	v_nop
	s_delay_alu instid0(TRANS32_DEP_1) | instskip(NEXT) | instid1(VALU_DEP_1)
	v_fma_f64 v[10:11], -v[4:5], v[6:7], 1.0
	v_fmac_f64_e32 v[6:7], v[6:7], v[10:11]
	s_delay_alu instid0(VALU_DEP_1) | instskip(NEXT) | instid1(VALU_DEP_1)
	v_fma_f64 v[10:11], -v[4:5], v[6:7], 1.0
	v_fmac_f64_e32 v[6:7], v[6:7], v[10:11]
	v_div_scale_f64 v[10:11], vcc_lo, 1.0, v[2:3], 1.0
	s_delay_alu instid0(VALU_DEP_1) | instskip(NEXT) | instid1(VALU_DEP_1)
	v_mul_f64_e32 v[12:13], v[10:11], v[6:7]
	v_fma_f64 v[4:5], -v[4:5], v[12:13], v[10:11]
	s_delay_alu instid0(VALU_DEP_1) | instskip(NEXT) | instid1(VALU_DEP_1)
	v_div_fmas_f64 v[4:5], v[4:5], v[6:7], v[12:13]
	v_div_fixup_f64 v[6:7], v[4:5], v[2:3], 1.0
	s_delay_alu instid0(VALU_DEP_1)
	v_mul_f64_e64 v[8:9], v[8:9], -v[6:7]
	v_xor_b32_e32 v11, 0x80000000, v7
	v_mov_b32_e32 v10, v6
.LBB77_17:
	s_or_b32 exec_lo, exec_lo, s3
	s_clause 0x1
	scratch_store_b128 v19, v[6:9], off
	scratch_load_b128 v[2:5], off, s24
	v_xor_b32_e32 v13, 0x80000000, v9
	v_mov_b32_e32 v12, v8
	s_wait_xcnt 0x1
	v_add_nc_u32_e32 v6, 0xe0, v42
	ds_store_b128 v42, v[10:13]
	s_wait_loadcnt 0x0
	ds_store_b128 v42, v[2:5] offset:224
	s_wait_storecnt_dscnt 0x0
	s_barrier_signal -1
	s_barrier_wait -1
	s_wait_xcnt 0x0
	s_and_saveexec_b32 s3, s2
	s_cbranch_execz .LBB77_19
; %bb.18:
	scratch_load_b128 v[2:5], v19, off
	ds_load_b128 v[8:11], v6
	v_mov_b32_e32 v7, 0
	ds_load_b128 v[44:47], v7 offset:16
	s_wait_loadcnt_dscnt 0x1
	v_mul_f64_e32 v[12:13], v[8:9], v[4:5]
	v_mul_f64_e32 v[4:5], v[10:11], v[4:5]
	s_delay_alu instid0(VALU_DEP_2) | instskip(NEXT) | instid1(VALU_DEP_2)
	v_fmac_f64_e32 v[12:13], v[10:11], v[2:3]
	v_fma_f64 v[2:3], v[8:9], v[2:3], -v[4:5]
	s_delay_alu instid0(VALU_DEP_2) | instskip(NEXT) | instid1(VALU_DEP_2)
	v_add_f64_e32 v[8:9], 0, v[12:13]
	v_add_f64_e32 v[2:3], 0, v[2:3]
	s_wait_dscnt 0x0
	s_delay_alu instid0(VALU_DEP_2) | instskip(NEXT) | instid1(VALU_DEP_2)
	v_mul_f64_e32 v[10:11], v[8:9], v[46:47]
	v_mul_f64_e32 v[4:5], v[2:3], v[46:47]
	s_delay_alu instid0(VALU_DEP_2) | instskip(NEXT) | instid1(VALU_DEP_2)
	v_fma_f64 v[2:3], v[2:3], v[44:45], -v[10:11]
	v_fmac_f64_e32 v[4:5], v[8:9], v[44:45]
	scratch_store_b128 off, v[2:5], off offset:16
.LBB77_19:
	s_wait_xcnt 0x0
	s_or_b32 exec_lo, exec_lo, s3
	s_wait_storecnt 0x0
	s_barrier_signal -1
	s_barrier_wait -1
	scratch_load_b128 v[2:5], off, s23
	s_mov_b32 s3, exec_lo
	s_wait_loadcnt 0x0
	ds_store_b128 v6, v[2:5]
	s_wait_dscnt 0x0
	s_barrier_signal -1
	s_barrier_wait -1
	v_cmpx_gt_u32_e32 2, v1
	s_cbranch_execz .LBB77_23
; %bb.20:
	scratch_load_b128 v[2:5], v19, off
	ds_load_b128 v[8:11], v6
	s_wait_loadcnt_dscnt 0x0
	v_mul_f64_e32 v[12:13], v[10:11], v[4:5]
	v_mul_f64_e32 v[44:45], v[8:9], v[4:5]
	s_delay_alu instid0(VALU_DEP_2) | instskip(NEXT) | instid1(VALU_DEP_2)
	v_fma_f64 v[4:5], v[8:9], v[2:3], -v[12:13]
	v_fmac_f64_e32 v[44:45], v[10:11], v[2:3]
	s_delay_alu instid0(VALU_DEP_2) | instskip(NEXT) | instid1(VALU_DEP_2)
	v_add_f64_e32 v[4:5], 0, v[4:5]
	v_add_f64_e32 v[2:3], 0, v[44:45]
	s_and_saveexec_b32 s26, s2
	s_cbranch_execz .LBB77_22
; %bb.21:
	scratch_load_b128 v[8:11], off, off offset:16
	v_mov_b32_e32 v7, 0
	ds_load_b128 v[44:47], v7 offset:240
	s_wait_loadcnt_dscnt 0x0
	v_mul_f64_e32 v[12:13], v[44:45], v[10:11]
	v_mul_f64_e32 v[10:11], v[46:47], v[10:11]
	s_delay_alu instid0(VALU_DEP_2) | instskip(NEXT) | instid1(VALU_DEP_2)
	v_fmac_f64_e32 v[12:13], v[46:47], v[8:9]
	v_fma_f64 v[8:9], v[44:45], v[8:9], -v[10:11]
	s_delay_alu instid0(VALU_DEP_2) | instskip(NEXT) | instid1(VALU_DEP_2)
	v_add_f64_e32 v[2:3], v[2:3], v[12:13]
	v_add_f64_e32 v[4:5], v[4:5], v[8:9]
.LBB77_22:
	s_or_b32 exec_lo, exec_lo, s26
	v_mov_b32_e32 v7, 0
	ds_load_b128 v[8:11], v7 offset:32
	s_wait_dscnt 0x0
	v_mul_f64_e32 v[44:45], v[2:3], v[10:11]
	v_mul_f64_e32 v[12:13], v[4:5], v[10:11]
	s_delay_alu instid0(VALU_DEP_2) | instskip(NEXT) | instid1(VALU_DEP_2)
	v_fma_f64 v[10:11], v[4:5], v[8:9], -v[44:45]
	v_fmac_f64_e32 v[12:13], v[2:3], v[8:9]
	scratch_store_b128 off, v[10:13], off offset:32
.LBB77_23:
	s_wait_xcnt 0x0
	s_or_b32 exec_lo, exec_lo, s3
	s_wait_storecnt 0x0
	s_barrier_signal -1
	s_barrier_wait -1
	scratch_load_b128 v[2:5], off, s17
	v_add_nc_u32_e32 v7, -1, v1
	s_mov_b32 s2, exec_lo
	s_wait_loadcnt 0x0
	ds_store_b128 v6, v[2:5]
	s_wait_dscnt 0x0
	s_barrier_signal -1
	s_barrier_wait -1
	v_cmpx_gt_u32_e32 3, v1
	s_cbranch_execz .LBB77_27
; %bb.24:
	v_dual_mov_b32 v10, v42 :: v_dual_add_nc_u32 v8, -1, v1
	v_mov_b64_e32 v[2:3], 0
	v_mov_b64_e32 v[4:5], 0
	v_add_nc_u32_e32 v9, 0xe0, v42
	s_delay_alu instid0(VALU_DEP_4)
	v_or_b32_e32 v10, 8, v10
	s_mov_b32 s3, 0
.LBB77_25:                              ; =>This Inner Loop Header: Depth=1
	scratch_load_b128 v[44:47], v10, off offset:-8
	ds_load_b128 v[48:51], v9
	v_dual_add_nc_u32 v8, 1, v8 :: v_dual_add_nc_u32 v9, 16, v9
	s_wait_xcnt 0x0
	v_add_nc_u32_e32 v10, 16, v10
	s_delay_alu instid0(VALU_DEP_2) | instskip(SKIP_4) | instid1(VALU_DEP_2)
	v_cmp_lt_u32_e32 vcc_lo, 1, v8
	s_or_b32 s3, vcc_lo, s3
	s_wait_loadcnt_dscnt 0x0
	v_mul_f64_e32 v[12:13], v[50:51], v[46:47]
	v_mul_f64_e32 v[46:47], v[48:49], v[46:47]
	v_fma_f64 v[12:13], v[48:49], v[44:45], -v[12:13]
	s_delay_alu instid0(VALU_DEP_2) | instskip(NEXT) | instid1(VALU_DEP_2)
	v_fmac_f64_e32 v[46:47], v[50:51], v[44:45]
	v_add_f64_e32 v[4:5], v[4:5], v[12:13]
	s_delay_alu instid0(VALU_DEP_2)
	v_add_f64_e32 v[2:3], v[2:3], v[46:47]
	s_and_not1_b32 exec_lo, exec_lo, s3
	s_cbranch_execnz .LBB77_25
; %bb.26:
	s_or_b32 exec_lo, exec_lo, s3
	v_mov_b32_e32 v8, 0
	ds_load_b128 v[8:11], v8 offset:48
	s_wait_dscnt 0x0
	v_mul_f64_e32 v[44:45], v[2:3], v[10:11]
	v_mul_f64_e32 v[12:13], v[4:5], v[10:11]
	s_delay_alu instid0(VALU_DEP_2) | instskip(NEXT) | instid1(VALU_DEP_2)
	v_fma_f64 v[10:11], v[4:5], v[8:9], -v[44:45]
	v_fmac_f64_e32 v[12:13], v[2:3], v[8:9]
	scratch_store_b128 off, v[10:13], off offset:48
.LBB77_27:
	s_wait_xcnt 0x0
	s_or_b32 exec_lo, exec_lo, s2
	s_wait_storecnt 0x0
	s_barrier_signal -1
	s_barrier_wait -1
	scratch_load_b128 v[2:5], off, s18
	s_mov_b32 s2, exec_lo
	s_wait_loadcnt 0x0
	ds_store_b128 v6, v[2:5]
	s_wait_dscnt 0x0
	s_barrier_signal -1
	s_barrier_wait -1
	v_cmpx_gt_u32_e32 4, v1
	s_cbranch_execz .LBB77_31
; %bb.28:
	v_dual_mov_b32 v10, v42 :: v_dual_add_nc_u32 v8, -1, v1
	v_mov_b64_e32 v[2:3], 0
	v_mov_b64_e32 v[4:5], 0
	v_add_nc_u32_e32 v9, 0xe0, v42
	s_delay_alu instid0(VALU_DEP_4)
	v_or_b32_e32 v10, 8, v10
	s_mov_b32 s3, 0
.LBB77_29:                              ; =>This Inner Loop Header: Depth=1
	scratch_load_b128 v[44:47], v10, off offset:-8
	ds_load_b128 v[48:51], v9
	v_dual_add_nc_u32 v8, 1, v8 :: v_dual_add_nc_u32 v9, 16, v9
	s_wait_xcnt 0x0
	v_add_nc_u32_e32 v10, 16, v10
	s_delay_alu instid0(VALU_DEP_2) | instskip(SKIP_4) | instid1(VALU_DEP_2)
	v_cmp_lt_u32_e32 vcc_lo, 2, v8
	s_or_b32 s3, vcc_lo, s3
	s_wait_loadcnt_dscnt 0x0
	v_mul_f64_e32 v[12:13], v[50:51], v[46:47]
	v_mul_f64_e32 v[46:47], v[48:49], v[46:47]
	v_fma_f64 v[12:13], v[48:49], v[44:45], -v[12:13]
	s_delay_alu instid0(VALU_DEP_2) | instskip(NEXT) | instid1(VALU_DEP_2)
	v_fmac_f64_e32 v[46:47], v[50:51], v[44:45]
	v_add_f64_e32 v[4:5], v[4:5], v[12:13]
	s_delay_alu instid0(VALU_DEP_2)
	v_add_f64_e32 v[2:3], v[2:3], v[46:47]
	s_and_not1_b32 exec_lo, exec_lo, s3
	s_cbranch_execnz .LBB77_29
; %bb.30:
	s_or_b32 exec_lo, exec_lo, s3
	v_mov_b32_e32 v8, 0
	ds_load_b128 v[8:11], v8 offset:64
	s_wait_dscnt 0x0
	v_mul_f64_e32 v[44:45], v[2:3], v[10:11]
	v_mul_f64_e32 v[12:13], v[4:5], v[10:11]
	s_delay_alu instid0(VALU_DEP_2) | instskip(NEXT) | instid1(VALU_DEP_2)
	v_fma_f64 v[10:11], v[4:5], v[8:9], -v[44:45]
	v_fmac_f64_e32 v[12:13], v[2:3], v[8:9]
	scratch_store_b128 off, v[10:13], off offset:64
.LBB77_31:
	s_wait_xcnt 0x0
	s_or_b32 exec_lo, exec_lo, s2
	s_wait_storecnt 0x0
	s_barrier_signal -1
	s_barrier_wait -1
	scratch_load_b128 v[2:5], off, s12
	s_mov_b32 s2, exec_lo
	s_wait_loadcnt 0x0
	ds_store_b128 v6, v[2:5]
	s_wait_dscnt 0x0
	s_barrier_signal -1
	s_barrier_wait -1
	v_cmpx_gt_u32_e32 5, v1
	s_cbranch_execz .LBB77_35
; %bb.32:
	v_dual_mov_b32 v10, v42 :: v_dual_add_nc_u32 v8, -1, v1
	v_mov_b64_e32 v[2:3], 0
	v_mov_b64_e32 v[4:5], 0
	v_add_nc_u32_e32 v9, 0xe0, v42
	s_delay_alu instid0(VALU_DEP_4)
	v_or_b32_e32 v10, 8, v10
	s_mov_b32 s3, 0
.LBB77_33:                              ; =>This Inner Loop Header: Depth=1
	scratch_load_b128 v[44:47], v10, off offset:-8
	ds_load_b128 v[48:51], v9
	v_dual_add_nc_u32 v8, 1, v8 :: v_dual_add_nc_u32 v9, 16, v9
	s_wait_xcnt 0x0
	v_add_nc_u32_e32 v10, 16, v10
	s_delay_alu instid0(VALU_DEP_2) | instskip(SKIP_4) | instid1(VALU_DEP_2)
	v_cmp_lt_u32_e32 vcc_lo, 3, v8
	s_or_b32 s3, vcc_lo, s3
	s_wait_loadcnt_dscnt 0x0
	v_mul_f64_e32 v[12:13], v[50:51], v[46:47]
	v_mul_f64_e32 v[46:47], v[48:49], v[46:47]
	v_fma_f64 v[12:13], v[48:49], v[44:45], -v[12:13]
	s_delay_alu instid0(VALU_DEP_2) | instskip(NEXT) | instid1(VALU_DEP_2)
	v_fmac_f64_e32 v[46:47], v[50:51], v[44:45]
	v_add_f64_e32 v[4:5], v[4:5], v[12:13]
	s_delay_alu instid0(VALU_DEP_2)
	v_add_f64_e32 v[2:3], v[2:3], v[46:47]
	s_and_not1_b32 exec_lo, exec_lo, s3
	s_cbranch_execnz .LBB77_33
; %bb.34:
	s_or_b32 exec_lo, exec_lo, s3
	v_mov_b32_e32 v8, 0
	ds_load_b128 v[8:11], v8 offset:80
	s_wait_dscnt 0x0
	v_mul_f64_e32 v[44:45], v[2:3], v[10:11]
	v_mul_f64_e32 v[12:13], v[4:5], v[10:11]
	s_delay_alu instid0(VALU_DEP_2) | instskip(NEXT) | instid1(VALU_DEP_2)
	v_fma_f64 v[10:11], v[4:5], v[8:9], -v[44:45]
	v_fmac_f64_e32 v[12:13], v[2:3], v[8:9]
	scratch_store_b128 off, v[10:13], off offset:80
.LBB77_35:
	s_wait_xcnt 0x0
	s_or_b32 exec_lo, exec_lo, s2
	s_wait_storecnt 0x0
	s_barrier_signal -1
	s_barrier_wait -1
	scratch_load_b128 v[2:5], off, s19
	s_mov_b32 s2, exec_lo
	s_wait_loadcnt 0x0
	ds_store_b128 v6, v[2:5]
	s_wait_dscnt 0x0
	s_barrier_signal -1
	s_barrier_wait -1
	v_cmpx_gt_u32_e32 6, v1
	s_cbranch_execz .LBB77_39
; %bb.36:
	v_dual_mov_b32 v10, v42 :: v_dual_add_nc_u32 v8, -1, v1
	v_mov_b64_e32 v[2:3], 0
	v_mov_b64_e32 v[4:5], 0
	v_add_nc_u32_e32 v9, 0xe0, v42
	s_delay_alu instid0(VALU_DEP_4)
	v_or_b32_e32 v10, 8, v10
	s_mov_b32 s3, 0
.LBB77_37:                              ; =>This Inner Loop Header: Depth=1
	scratch_load_b128 v[44:47], v10, off offset:-8
	ds_load_b128 v[48:51], v9
	v_dual_add_nc_u32 v8, 1, v8 :: v_dual_add_nc_u32 v9, 16, v9
	s_wait_xcnt 0x0
	v_add_nc_u32_e32 v10, 16, v10
	s_delay_alu instid0(VALU_DEP_2) | instskip(SKIP_4) | instid1(VALU_DEP_2)
	v_cmp_lt_u32_e32 vcc_lo, 4, v8
	s_or_b32 s3, vcc_lo, s3
	s_wait_loadcnt_dscnt 0x0
	v_mul_f64_e32 v[12:13], v[50:51], v[46:47]
	v_mul_f64_e32 v[46:47], v[48:49], v[46:47]
	v_fma_f64 v[12:13], v[48:49], v[44:45], -v[12:13]
	s_delay_alu instid0(VALU_DEP_2) | instskip(NEXT) | instid1(VALU_DEP_2)
	v_fmac_f64_e32 v[46:47], v[50:51], v[44:45]
	v_add_f64_e32 v[4:5], v[4:5], v[12:13]
	s_delay_alu instid0(VALU_DEP_2)
	v_add_f64_e32 v[2:3], v[2:3], v[46:47]
	s_and_not1_b32 exec_lo, exec_lo, s3
	s_cbranch_execnz .LBB77_37
; %bb.38:
	s_or_b32 exec_lo, exec_lo, s3
	v_mov_b32_e32 v8, 0
	ds_load_b128 v[8:11], v8 offset:96
	s_wait_dscnt 0x0
	v_mul_f64_e32 v[44:45], v[2:3], v[10:11]
	v_mul_f64_e32 v[12:13], v[4:5], v[10:11]
	s_delay_alu instid0(VALU_DEP_2) | instskip(NEXT) | instid1(VALU_DEP_2)
	v_fma_f64 v[10:11], v[4:5], v[8:9], -v[44:45]
	v_fmac_f64_e32 v[12:13], v[2:3], v[8:9]
	scratch_store_b128 off, v[10:13], off offset:96
.LBB77_39:
	s_wait_xcnt 0x0
	s_or_b32 exec_lo, exec_lo, s2
	s_wait_storecnt 0x0
	s_barrier_signal -1
	s_barrier_wait -1
	scratch_load_b128 v[2:5], off, s13
	s_mov_b32 s2, exec_lo
	s_wait_loadcnt 0x0
	ds_store_b128 v6, v[2:5]
	s_wait_dscnt 0x0
	s_barrier_signal -1
	s_barrier_wait -1
	v_cmpx_gt_u32_e32 7, v1
	s_cbranch_execz .LBB77_43
; %bb.40:
	v_dual_mov_b32 v10, v42 :: v_dual_add_nc_u32 v8, -1, v1
	v_mov_b64_e32 v[2:3], 0
	v_mov_b64_e32 v[4:5], 0
	v_add_nc_u32_e32 v9, 0xe0, v42
	s_delay_alu instid0(VALU_DEP_4)
	v_or_b32_e32 v10, 8, v10
	s_mov_b32 s3, 0
.LBB77_41:                              ; =>This Inner Loop Header: Depth=1
	scratch_load_b128 v[44:47], v10, off offset:-8
	ds_load_b128 v[48:51], v9
	v_dual_add_nc_u32 v8, 1, v8 :: v_dual_add_nc_u32 v9, 16, v9
	s_wait_xcnt 0x0
	v_add_nc_u32_e32 v10, 16, v10
	s_delay_alu instid0(VALU_DEP_2) | instskip(SKIP_4) | instid1(VALU_DEP_2)
	v_cmp_lt_u32_e32 vcc_lo, 5, v8
	s_or_b32 s3, vcc_lo, s3
	s_wait_loadcnt_dscnt 0x0
	v_mul_f64_e32 v[12:13], v[50:51], v[46:47]
	v_mul_f64_e32 v[46:47], v[48:49], v[46:47]
	v_fma_f64 v[12:13], v[48:49], v[44:45], -v[12:13]
	s_delay_alu instid0(VALU_DEP_2) | instskip(NEXT) | instid1(VALU_DEP_2)
	v_fmac_f64_e32 v[46:47], v[50:51], v[44:45]
	v_add_f64_e32 v[4:5], v[4:5], v[12:13]
	s_delay_alu instid0(VALU_DEP_2)
	v_add_f64_e32 v[2:3], v[2:3], v[46:47]
	s_and_not1_b32 exec_lo, exec_lo, s3
	s_cbranch_execnz .LBB77_41
; %bb.42:
	s_or_b32 exec_lo, exec_lo, s3
	v_mov_b32_e32 v8, 0
	ds_load_b128 v[8:11], v8 offset:112
	s_wait_dscnt 0x0
	v_mul_f64_e32 v[44:45], v[2:3], v[10:11]
	v_mul_f64_e32 v[12:13], v[4:5], v[10:11]
	s_delay_alu instid0(VALU_DEP_2) | instskip(NEXT) | instid1(VALU_DEP_2)
	v_fma_f64 v[10:11], v[4:5], v[8:9], -v[44:45]
	v_fmac_f64_e32 v[12:13], v[2:3], v[8:9]
	scratch_store_b128 off, v[10:13], off offset:112
.LBB77_43:
	s_wait_xcnt 0x0
	s_or_b32 exec_lo, exec_lo, s2
	s_wait_storecnt 0x0
	s_barrier_signal -1
	s_barrier_wait -1
	scratch_load_b128 v[2:5], off, s20
	s_mov_b32 s2, exec_lo
	s_wait_loadcnt 0x0
	ds_store_b128 v6, v[2:5]
	s_wait_dscnt 0x0
	s_barrier_signal -1
	s_barrier_wait -1
	v_cmpx_gt_u32_e32 8, v1
	s_cbranch_execz .LBB77_47
; %bb.44:
	v_dual_mov_b32 v10, v42 :: v_dual_add_nc_u32 v8, -1, v1
	v_mov_b64_e32 v[2:3], 0
	v_mov_b64_e32 v[4:5], 0
	v_add_nc_u32_e32 v9, 0xe0, v42
	s_delay_alu instid0(VALU_DEP_4)
	v_or_b32_e32 v10, 8, v10
	s_mov_b32 s3, 0
.LBB77_45:                              ; =>This Inner Loop Header: Depth=1
	scratch_load_b128 v[44:47], v10, off offset:-8
	ds_load_b128 v[48:51], v9
	v_dual_add_nc_u32 v8, 1, v8 :: v_dual_add_nc_u32 v9, 16, v9
	s_wait_xcnt 0x0
	v_add_nc_u32_e32 v10, 16, v10
	s_delay_alu instid0(VALU_DEP_2) | instskip(SKIP_4) | instid1(VALU_DEP_2)
	v_cmp_lt_u32_e32 vcc_lo, 6, v8
	s_or_b32 s3, vcc_lo, s3
	s_wait_loadcnt_dscnt 0x0
	v_mul_f64_e32 v[12:13], v[50:51], v[46:47]
	v_mul_f64_e32 v[46:47], v[48:49], v[46:47]
	v_fma_f64 v[12:13], v[48:49], v[44:45], -v[12:13]
	s_delay_alu instid0(VALU_DEP_2) | instskip(NEXT) | instid1(VALU_DEP_2)
	v_fmac_f64_e32 v[46:47], v[50:51], v[44:45]
	v_add_f64_e32 v[4:5], v[4:5], v[12:13]
	s_delay_alu instid0(VALU_DEP_2)
	v_add_f64_e32 v[2:3], v[2:3], v[46:47]
	s_and_not1_b32 exec_lo, exec_lo, s3
	s_cbranch_execnz .LBB77_45
; %bb.46:
	s_or_b32 exec_lo, exec_lo, s3
	v_mov_b32_e32 v8, 0
	ds_load_b128 v[8:11], v8 offset:128
	s_wait_dscnt 0x0
	v_mul_f64_e32 v[44:45], v[2:3], v[10:11]
	v_mul_f64_e32 v[12:13], v[4:5], v[10:11]
	s_delay_alu instid0(VALU_DEP_2) | instskip(NEXT) | instid1(VALU_DEP_2)
	v_fma_f64 v[10:11], v[4:5], v[8:9], -v[44:45]
	v_fmac_f64_e32 v[12:13], v[2:3], v[8:9]
	scratch_store_b128 off, v[10:13], off offset:128
.LBB77_47:
	s_wait_xcnt 0x0
	s_or_b32 exec_lo, exec_lo, s2
	s_wait_storecnt 0x0
	s_barrier_signal -1
	s_barrier_wait -1
	scratch_load_b128 v[2:5], off, s14
	s_mov_b32 s2, exec_lo
	s_wait_loadcnt 0x0
	ds_store_b128 v6, v[2:5]
	s_wait_dscnt 0x0
	s_barrier_signal -1
	s_barrier_wait -1
	v_cmpx_gt_u32_e32 9, v1
	s_cbranch_execz .LBB77_51
; %bb.48:
	v_dual_mov_b32 v10, v42 :: v_dual_add_nc_u32 v8, -1, v1
	v_mov_b64_e32 v[2:3], 0
	v_mov_b64_e32 v[4:5], 0
	v_add_nc_u32_e32 v9, 0xe0, v42
	s_delay_alu instid0(VALU_DEP_4)
	v_or_b32_e32 v10, 8, v10
	s_mov_b32 s3, 0
.LBB77_49:                              ; =>This Inner Loop Header: Depth=1
	scratch_load_b128 v[44:47], v10, off offset:-8
	ds_load_b128 v[48:51], v9
	v_dual_add_nc_u32 v8, 1, v8 :: v_dual_add_nc_u32 v9, 16, v9
	s_wait_xcnt 0x0
	v_add_nc_u32_e32 v10, 16, v10
	s_delay_alu instid0(VALU_DEP_2) | instskip(SKIP_4) | instid1(VALU_DEP_2)
	v_cmp_lt_u32_e32 vcc_lo, 7, v8
	s_or_b32 s3, vcc_lo, s3
	s_wait_loadcnt_dscnt 0x0
	v_mul_f64_e32 v[12:13], v[50:51], v[46:47]
	v_mul_f64_e32 v[46:47], v[48:49], v[46:47]
	v_fma_f64 v[12:13], v[48:49], v[44:45], -v[12:13]
	s_delay_alu instid0(VALU_DEP_2) | instskip(NEXT) | instid1(VALU_DEP_2)
	v_fmac_f64_e32 v[46:47], v[50:51], v[44:45]
	v_add_f64_e32 v[4:5], v[4:5], v[12:13]
	s_delay_alu instid0(VALU_DEP_2)
	v_add_f64_e32 v[2:3], v[2:3], v[46:47]
	s_and_not1_b32 exec_lo, exec_lo, s3
	s_cbranch_execnz .LBB77_49
; %bb.50:
	s_or_b32 exec_lo, exec_lo, s3
	v_mov_b32_e32 v8, 0
	ds_load_b128 v[8:11], v8 offset:144
	s_wait_dscnt 0x0
	v_mul_f64_e32 v[44:45], v[2:3], v[10:11]
	v_mul_f64_e32 v[12:13], v[4:5], v[10:11]
	s_delay_alu instid0(VALU_DEP_2) | instskip(NEXT) | instid1(VALU_DEP_2)
	v_fma_f64 v[10:11], v[4:5], v[8:9], -v[44:45]
	v_fmac_f64_e32 v[12:13], v[2:3], v[8:9]
	scratch_store_b128 off, v[10:13], off offset:144
.LBB77_51:
	s_wait_xcnt 0x0
	s_or_b32 exec_lo, exec_lo, s2
	s_wait_storecnt 0x0
	s_barrier_signal -1
	s_barrier_wait -1
	scratch_load_b128 v[2:5], off, s21
	s_mov_b32 s2, exec_lo
	s_wait_loadcnt 0x0
	ds_store_b128 v6, v[2:5]
	s_wait_dscnt 0x0
	s_barrier_signal -1
	s_barrier_wait -1
	v_cmpx_gt_u32_e32 10, v1
	s_cbranch_execz .LBB77_55
; %bb.52:
	v_dual_mov_b32 v10, v42 :: v_dual_add_nc_u32 v8, -1, v1
	v_mov_b64_e32 v[2:3], 0
	v_mov_b64_e32 v[4:5], 0
	v_add_nc_u32_e32 v9, 0xe0, v42
	s_delay_alu instid0(VALU_DEP_4)
	v_or_b32_e32 v10, 8, v10
	s_mov_b32 s3, 0
.LBB77_53:                              ; =>This Inner Loop Header: Depth=1
	scratch_load_b128 v[44:47], v10, off offset:-8
	ds_load_b128 v[48:51], v9
	v_dual_add_nc_u32 v8, 1, v8 :: v_dual_add_nc_u32 v9, 16, v9
	s_wait_xcnt 0x0
	v_add_nc_u32_e32 v10, 16, v10
	s_delay_alu instid0(VALU_DEP_2) | instskip(SKIP_4) | instid1(VALU_DEP_2)
	v_cmp_lt_u32_e32 vcc_lo, 8, v8
	s_or_b32 s3, vcc_lo, s3
	s_wait_loadcnt_dscnt 0x0
	v_mul_f64_e32 v[12:13], v[50:51], v[46:47]
	v_mul_f64_e32 v[46:47], v[48:49], v[46:47]
	v_fma_f64 v[12:13], v[48:49], v[44:45], -v[12:13]
	s_delay_alu instid0(VALU_DEP_2) | instskip(NEXT) | instid1(VALU_DEP_2)
	v_fmac_f64_e32 v[46:47], v[50:51], v[44:45]
	v_add_f64_e32 v[4:5], v[4:5], v[12:13]
	s_delay_alu instid0(VALU_DEP_2)
	v_add_f64_e32 v[2:3], v[2:3], v[46:47]
	s_and_not1_b32 exec_lo, exec_lo, s3
	s_cbranch_execnz .LBB77_53
; %bb.54:
	s_or_b32 exec_lo, exec_lo, s3
	v_mov_b32_e32 v8, 0
	ds_load_b128 v[8:11], v8 offset:160
	s_wait_dscnt 0x0
	v_mul_f64_e32 v[44:45], v[2:3], v[10:11]
	v_mul_f64_e32 v[12:13], v[4:5], v[10:11]
	s_delay_alu instid0(VALU_DEP_2) | instskip(NEXT) | instid1(VALU_DEP_2)
	v_fma_f64 v[10:11], v[4:5], v[8:9], -v[44:45]
	v_fmac_f64_e32 v[12:13], v[2:3], v[8:9]
	scratch_store_b128 off, v[10:13], off offset:160
.LBB77_55:
	s_wait_xcnt 0x0
	s_or_b32 exec_lo, exec_lo, s2
	s_wait_storecnt 0x0
	s_barrier_signal -1
	s_barrier_wait -1
	scratch_load_b128 v[2:5], off, s15
	s_mov_b32 s2, exec_lo
	s_wait_loadcnt 0x0
	ds_store_b128 v6, v[2:5]
	s_wait_dscnt 0x0
	s_barrier_signal -1
	s_barrier_wait -1
	v_cmpx_gt_u32_e32 11, v1
	s_cbranch_execz .LBB77_59
; %bb.56:
	v_dual_mov_b32 v10, v42 :: v_dual_add_nc_u32 v8, -1, v1
	v_mov_b64_e32 v[2:3], 0
	v_mov_b64_e32 v[4:5], 0
	v_add_nc_u32_e32 v9, 0xe0, v42
	s_delay_alu instid0(VALU_DEP_4)
	v_or_b32_e32 v10, 8, v10
	s_mov_b32 s3, 0
.LBB77_57:                              ; =>This Inner Loop Header: Depth=1
	scratch_load_b128 v[44:47], v10, off offset:-8
	ds_load_b128 v[48:51], v9
	v_dual_add_nc_u32 v8, 1, v8 :: v_dual_add_nc_u32 v9, 16, v9
	s_wait_xcnt 0x0
	v_add_nc_u32_e32 v10, 16, v10
	s_delay_alu instid0(VALU_DEP_2) | instskip(SKIP_4) | instid1(VALU_DEP_2)
	v_cmp_lt_u32_e32 vcc_lo, 9, v8
	s_or_b32 s3, vcc_lo, s3
	s_wait_loadcnt_dscnt 0x0
	v_mul_f64_e32 v[12:13], v[50:51], v[46:47]
	v_mul_f64_e32 v[46:47], v[48:49], v[46:47]
	v_fma_f64 v[12:13], v[48:49], v[44:45], -v[12:13]
	s_delay_alu instid0(VALU_DEP_2) | instskip(NEXT) | instid1(VALU_DEP_2)
	v_fmac_f64_e32 v[46:47], v[50:51], v[44:45]
	v_add_f64_e32 v[4:5], v[4:5], v[12:13]
	s_delay_alu instid0(VALU_DEP_2)
	v_add_f64_e32 v[2:3], v[2:3], v[46:47]
	s_and_not1_b32 exec_lo, exec_lo, s3
	s_cbranch_execnz .LBB77_57
; %bb.58:
	s_or_b32 exec_lo, exec_lo, s3
	v_mov_b32_e32 v8, 0
	ds_load_b128 v[8:11], v8 offset:176
	s_wait_dscnt 0x0
	v_mul_f64_e32 v[44:45], v[2:3], v[10:11]
	v_mul_f64_e32 v[12:13], v[4:5], v[10:11]
	s_delay_alu instid0(VALU_DEP_2) | instskip(NEXT) | instid1(VALU_DEP_2)
	v_fma_f64 v[10:11], v[4:5], v[8:9], -v[44:45]
	v_fmac_f64_e32 v[12:13], v[2:3], v[8:9]
	scratch_store_b128 off, v[10:13], off offset:176
.LBB77_59:
	s_wait_xcnt 0x0
	s_or_b32 exec_lo, exec_lo, s2
	s_wait_storecnt 0x0
	s_barrier_signal -1
	s_barrier_wait -1
	scratch_load_b128 v[2:5], off, s22
	s_mov_b32 s2, exec_lo
	s_wait_loadcnt 0x0
	ds_store_b128 v6, v[2:5]
	s_wait_dscnt 0x0
	s_barrier_signal -1
	s_barrier_wait -1
	v_cmpx_gt_u32_e32 12, v1
	s_cbranch_execz .LBB77_63
; %bb.60:
	v_dual_mov_b32 v10, v42 :: v_dual_add_nc_u32 v8, -1, v1
	v_mov_b64_e32 v[2:3], 0
	v_mov_b64_e32 v[4:5], 0
	v_add_nc_u32_e32 v9, 0xe0, v42
	s_delay_alu instid0(VALU_DEP_4)
	v_or_b32_e32 v10, 8, v10
	s_mov_b32 s3, 0
.LBB77_61:                              ; =>This Inner Loop Header: Depth=1
	scratch_load_b128 v[44:47], v10, off offset:-8
	ds_load_b128 v[48:51], v9
	v_dual_add_nc_u32 v8, 1, v8 :: v_dual_add_nc_u32 v9, 16, v9
	s_wait_xcnt 0x0
	v_add_nc_u32_e32 v10, 16, v10
	s_delay_alu instid0(VALU_DEP_2) | instskip(SKIP_4) | instid1(VALU_DEP_2)
	v_cmp_lt_u32_e32 vcc_lo, 10, v8
	s_or_b32 s3, vcc_lo, s3
	s_wait_loadcnt_dscnt 0x0
	v_mul_f64_e32 v[12:13], v[50:51], v[46:47]
	v_mul_f64_e32 v[46:47], v[48:49], v[46:47]
	v_fma_f64 v[12:13], v[48:49], v[44:45], -v[12:13]
	s_delay_alu instid0(VALU_DEP_2) | instskip(NEXT) | instid1(VALU_DEP_2)
	v_fmac_f64_e32 v[46:47], v[50:51], v[44:45]
	v_add_f64_e32 v[4:5], v[4:5], v[12:13]
	s_delay_alu instid0(VALU_DEP_2)
	v_add_f64_e32 v[2:3], v[2:3], v[46:47]
	s_and_not1_b32 exec_lo, exec_lo, s3
	s_cbranch_execnz .LBB77_61
; %bb.62:
	s_or_b32 exec_lo, exec_lo, s3
	v_mov_b32_e32 v8, 0
	ds_load_b128 v[8:11], v8 offset:192
	s_wait_dscnt 0x0
	v_mul_f64_e32 v[44:45], v[2:3], v[10:11]
	v_mul_f64_e32 v[12:13], v[4:5], v[10:11]
	s_delay_alu instid0(VALU_DEP_2) | instskip(NEXT) | instid1(VALU_DEP_2)
	v_fma_f64 v[10:11], v[4:5], v[8:9], -v[44:45]
	v_fmac_f64_e32 v[12:13], v[2:3], v[8:9]
	scratch_store_b128 off, v[10:13], off offset:192
.LBB77_63:
	s_wait_xcnt 0x0
	s_or_b32 exec_lo, exec_lo, s2
	s_wait_storecnt 0x0
	s_barrier_signal -1
	s_barrier_wait -1
	scratch_load_b128 v[2:5], off, s16
	s_mov_b32 s2, exec_lo
	s_wait_loadcnt 0x0
	ds_store_b128 v6, v[2:5]
	s_wait_dscnt 0x0
	s_barrier_signal -1
	s_barrier_wait -1
	v_cmpx_ne_u32_e32 13, v1
	s_cbranch_execz .LBB77_67
; %bb.64:
	v_mov_b32_e32 v8, v42
	v_mov_b64_e32 v[2:3], 0
	v_mov_b64_e32 v[4:5], 0
	s_mov_b32 s3, 0
	s_delay_alu instid0(VALU_DEP_3)
	v_or_b32_e32 v8, 8, v8
.LBB77_65:                              ; =>This Inner Loop Header: Depth=1
	scratch_load_b128 v[10:13], v8, off offset:-8
	ds_load_b128 v[42:45], v6
	v_dual_add_nc_u32 v7, 1, v7 :: v_dual_add_nc_u32 v6, 16, v6
	s_wait_xcnt 0x0
	v_add_nc_u32_e32 v8, 16, v8
	s_delay_alu instid0(VALU_DEP_2) | instskip(SKIP_4) | instid1(VALU_DEP_2)
	v_cmp_lt_u32_e32 vcc_lo, 11, v7
	s_or_b32 s3, vcc_lo, s3
	s_wait_loadcnt_dscnt 0x0
	v_mul_f64_e32 v[46:47], v[44:45], v[12:13]
	v_mul_f64_e32 v[12:13], v[42:43], v[12:13]
	v_fma_f64 v[42:43], v[42:43], v[10:11], -v[46:47]
	s_delay_alu instid0(VALU_DEP_2) | instskip(NEXT) | instid1(VALU_DEP_2)
	v_fmac_f64_e32 v[12:13], v[44:45], v[10:11]
	v_add_f64_e32 v[4:5], v[4:5], v[42:43]
	s_delay_alu instid0(VALU_DEP_2)
	v_add_f64_e32 v[2:3], v[2:3], v[12:13]
	s_and_not1_b32 exec_lo, exec_lo, s3
	s_cbranch_execnz .LBB77_65
; %bb.66:
	s_or_b32 exec_lo, exec_lo, s3
	v_mov_b32_e32 v6, 0
	ds_load_b128 v[6:9], v6 offset:208
	s_wait_dscnt 0x0
	v_mul_f64_e32 v[12:13], v[2:3], v[8:9]
	v_mul_f64_e32 v[10:11], v[4:5], v[8:9]
	s_delay_alu instid0(VALU_DEP_2) | instskip(NEXT) | instid1(VALU_DEP_2)
	v_fma_f64 v[8:9], v[4:5], v[6:7], -v[12:13]
	v_fmac_f64_e32 v[10:11], v[2:3], v[6:7]
	scratch_store_b128 off, v[8:11], off offset:208
.LBB77_67:
	s_wait_xcnt 0x0
	s_or_b32 exec_lo, exec_lo, s2
	s_mov_b32 s3, -1
	s_wait_storecnt 0x0
	s_barrier_signal -1
	s_barrier_wait -1
.LBB77_68:
	s_and_b32 vcc_lo, exec_lo, s3
	s_cbranch_vccz .LBB77_70
; %bb.69:
	s_wait_xcnt 0x0
	v_mov_b32_e32 v2, 0
	s_lshl_b64 s[2:3], s[10:11], 2
	s_delay_alu instid0(SALU_CYCLE_1)
	s_add_nc_u64 s[2:3], s[6:7], s[2:3]
	global_load_b32 v2, v2, s[2:3]
	s_wait_loadcnt 0x0
	v_cmp_ne_u32_e32 vcc_lo, 0, v2
	s_cbranch_vccz .LBB77_71
.LBB77_70:
	s_sendmsg sendmsg(MSG_DEALLOC_VGPRS)
	s_endpgm
.LBB77_71:
	v_lshl_add_u32 v6, v1, 4, 0xe0
	s_wait_xcnt 0x0
	s_mov_b32 s2, exec_lo
	v_cmpx_eq_u32_e32 13, v1
	s_cbranch_execz .LBB77_73
; %bb.72:
	scratch_load_b128 v[2:5], off, s22
	v_mov_b32_e32 v8, 0
	s_delay_alu instid0(VALU_DEP_1)
	v_dual_mov_b32 v9, v8 :: v_dual_mov_b32 v10, v8
	v_mov_b32_e32 v11, v8
	scratch_store_b128 off, v[8:11], off offset:192
	s_wait_loadcnt 0x0
	ds_store_b128 v6, v[2:5]
.LBB77_73:
	s_wait_xcnt 0x0
	s_or_b32 exec_lo, exec_lo, s2
	s_wait_storecnt_dscnt 0x0
	s_barrier_signal -1
	s_barrier_wait -1
	s_clause 0x1
	scratch_load_b128 v[8:11], off, off offset:208
	scratch_load_b128 v[42:45], off, off offset:192
	v_mov_b32_e32 v2, 0
	s_mov_b32 s2, exec_lo
	ds_load_b128 v[46:49], v2 offset:432
	s_wait_loadcnt_dscnt 0x100
	v_mul_f64_e32 v[4:5], v[48:49], v[10:11]
	v_mul_f64_e32 v[10:11], v[46:47], v[10:11]
	s_delay_alu instid0(VALU_DEP_2) | instskip(NEXT) | instid1(VALU_DEP_2)
	v_fma_f64 v[4:5], v[46:47], v[8:9], -v[4:5]
	v_fmac_f64_e32 v[10:11], v[48:49], v[8:9]
	s_delay_alu instid0(VALU_DEP_2) | instskip(NEXT) | instid1(VALU_DEP_2)
	v_add_f64_e32 v[4:5], 0, v[4:5]
	v_add_f64_e32 v[10:11], 0, v[10:11]
	s_wait_loadcnt 0x0
	s_delay_alu instid0(VALU_DEP_2) | instskip(NEXT) | instid1(VALU_DEP_2)
	v_add_f64_e64 v[8:9], v[42:43], -v[4:5]
	v_add_f64_e64 v[10:11], v[44:45], -v[10:11]
	scratch_store_b128 off, v[8:11], off offset:192
	s_wait_xcnt 0x0
	v_cmpx_lt_u32_e32 11, v1
	s_cbranch_execz .LBB77_75
; %bb.74:
	scratch_load_b128 v[8:11], off, s15
	v_dual_mov_b32 v3, v2 :: v_dual_mov_b32 v4, v2
	v_mov_b32_e32 v5, v2
	scratch_store_b128 off, v[2:5], off offset:176
	s_wait_loadcnt 0x0
	ds_store_b128 v6, v[8:11]
.LBB77_75:
	s_wait_xcnt 0x0
	s_or_b32 exec_lo, exec_lo, s2
	s_wait_storecnt_dscnt 0x0
	s_barrier_signal -1
	s_barrier_wait -1
	s_clause 0x2
	scratch_load_b128 v[8:11], off, off offset:192
	scratch_load_b128 v[42:45], off, off offset:208
	;; [unrolled: 1-line block ×3, first 2 shown]
	ds_load_b128 v[50:53], v2 offset:416
	ds_load_b128 v[2:5], v2 offset:432
	s_mov_b32 s2, exec_lo
	s_wait_loadcnt_dscnt 0x201
	v_mul_f64_e32 v[12:13], v[52:53], v[10:11]
	v_mul_f64_e32 v[10:11], v[50:51], v[10:11]
	s_wait_loadcnt_dscnt 0x100
	v_mul_f64_e32 v[54:55], v[2:3], v[44:45]
	v_mul_f64_e32 v[44:45], v[4:5], v[44:45]
	s_delay_alu instid0(VALU_DEP_4) | instskip(NEXT) | instid1(VALU_DEP_4)
	v_fma_f64 v[12:13], v[50:51], v[8:9], -v[12:13]
	v_fmac_f64_e32 v[10:11], v[52:53], v[8:9]
	s_delay_alu instid0(VALU_DEP_4) | instskip(NEXT) | instid1(VALU_DEP_4)
	v_fmac_f64_e32 v[54:55], v[4:5], v[42:43]
	v_fma_f64 v[2:3], v[2:3], v[42:43], -v[44:45]
	s_delay_alu instid0(VALU_DEP_4) | instskip(NEXT) | instid1(VALU_DEP_4)
	v_add_f64_e32 v[4:5], 0, v[12:13]
	v_add_f64_e32 v[8:9], 0, v[10:11]
	s_delay_alu instid0(VALU_DEP_2) | instskip(NEXT) | instid1(VALU_DEP_2)
	v_add_f64_e32 v[2:3], v[4:5], v[2:3]
	v_add_f64_e32 v[4:5], v[8:9], v[54:55]
	s_wait_loadcnt 0x0
	s_delay_alu instid0(VALU_DEP_2) | instskip(NEXT) | instid1(VALU_DEP_2)
	v_add_f64_e64 v[2:3], v[46:47], -v[2:3]
	v_add_f64_e64 v[4:5], v[48:49], -v[4:5]
	scratch_store_b128 off, v[2:5], off offset:176
	s_wait_xcnt 0x0
	v_cmpx_lt_u32_e32 10, v1
	s_cbranch_execz .LBB77_77
; %bb.76:
	scratch_load_b128 v[2:5], off, s21
	v_mov_b32_e32 v8, 0
	s_delay_alu instid0(VALU_DEP_1)
	v_dual_mov_b32 v9, v8 :: v_dual_mov_b32 v10, v8
	v_mov_b32_e32 v11, v8
	scratch_store_b128 off, v[8:11], off offset:160
	s_wait_loadcnt 0x0
	ds_store_b128 v6, v[2:5]
.LBB77_77:
	s_wait_xcnt 0x0
	s_or_b32 exec_lo, exec_lo, s2
	s_wait_storecnt_dscnt 0x0
	s_barrier_signal -1
	s_barrier_wait -1
	s_clause 0x3
	scratch_load_b128 v[8:11], off, off offset:176
	scratch_load_b128 v[42:45], off, off offset:192
	;; [unrolled: 1-line block ×4, first 2 shown]
	v_mov_b32_e32 v2, 0
	ds_load_b128 v[54:57], v2 offset:400
	ds_load_b128 v[58:61], v2 offset:416
	s_mov_b32 s2, exec_lo
	s_wait_loadcnt_dscnt 0x301
	v_mul_f64_e32 v[4:5], v[56:57], v[10:11]
	v_mul_f64_e32 v[12:13], v[54:55], v[10:11]
	s_wait_loadcnt_dscnt 0x200
	v_mul_f64_e32 v[62:63], v[58:59], v[44:45]
	v_mul_f64_e32 v[44:45], v[60:61], v[44:45]
	s_delay_alu instid0(VALU_DEP_4) | instskip(NEXT) | instid1(VALU_DEP_4)
	v_fma_f64 v[4:5], v[54:55], v[8:9], -v[4:5]
	v_fmac_f64_e32 v[12:13], v[56:57], v[8:9]
	ds_load_b128 v[8:11], v2 offset:432
	v_fmac_f64_e32 v[62:63], v[60:61], v[42:43]
	v_fma_f64 v[42:43], v[58:59], v[42:43], -v[44:45]
	s_wait_loadcnt_dscnt 0x100
	v_mul_f64_e32 v[54:55], v[8:9], v[48:49]
	v_mul_f64_e32 v[48:49], v[10:11], v[48:49]
	v_add_f64_e32 v[4:5], 0, v[4:5]
	v_add_f64_e32 v[12:13], 0, v[12:13]
	s_delay_alu instid0(VALU_DEP_4) | instskip(NEXT) | instid1(VALU_DEP_4)
	v_fmac_f64_e32 v[54:55], v[10:11], v[46:47]
	v_fma_f64 v[8:9], v[8:9], v[46:47], -v[48:49]
	s_delay_alu instid0(VALU_DEP_4) | instskip(NEXT) | instid1(VALU_DEP_4)
	v_add_f64_e32 v[4:5], v[4:5], v[42:43]
	v_add_f64_e32 v[10:11], v[12:13], v[62:63]
	s_delay_alu instid0(VALU_DEP_2) | instskip(NEXT) | instid1(VALU_DEP_2)
	v_add_f64_e32 v[4:5], v[4:5], v[8:9]
	v_add_f64_e32 v[10:11], v[10:11], v[54:55]
	s_wait_loadcnt 0x0
	s_delay_alu instid0(VALU_DEP_2) | instskip(NEXT) | instid1(VALU_DEP_2)
	v_add_f64_e64 v[8:9], v[50:51], -v[4:5]
	v_add_f64_e64 v[10:11], v[52:53], -v[10:11]
	scratch_store_b128 off, v[8:11], off offset:160
	s_wait_xcnt 0x0
	v_cmpx_lt_u32_e32 9, v1
	s_cbranch_execz .LBB77_79
; %bb.78:
	scratch_load_b128 v[8:11], off, s14
	v_dual_mov_b32 v3, v2 :: v_dual_mov_b32 v4, v2
	v_mov_b32_e32 v5, v2
	scratch_store_b128 off, v[2:5], off offset:144
	s_wait_loadcnt 0x0
	ds_store_b128 v6, v[8:11]
.LBB77_79:
	s_wait_xcnt 0x0
	s_or_b32 exec_lo, exec_lo, s2
	s_wait_storecnt_dscnt 0x0
	s_barrier_signal -1
	s_barrier_wait -1
	s_clause 0x4
	scratch_load_b128 v[8:11], off, off offset:160
	scratch_load_b128 v[42:45], off, off offset:176
	;; [unrolled: 1-line block ×5, first 2 shown]
	ds_load_b128 v[58:61], v2 offset:384
	ds_load_b128 v[62:65], v2 offset:400
	s_mov_b32 s2, exec_lo
	s_wait_loadcnt_dscnt 0x401
	v_mul_f64_e32 v[4:5], v[60:61], v[10:11]
	v_mul_f64_e32 v[12:13], v[58:59], v[10:11]
	s_wait_loadcnt_dscnt 0x300
	v_mul_f64_e32 v[66:67], v[62:63], v[44:45]
	v_mul_f64_e32 v[44:45], v[64:65], v[44:45]
	s_delay_alu instid0(VALU_DEP_4) | instskip(NEXT) | instid1(VALU_DEP_4)
	v_fma_f64 v[58:59], v[58:59], v[8:9], -v[4:5]
	v_fmac_f64_e32 v[12:13], v[60:61], v[8:9]
	ds_load_b128 v[8:11], v2 offset:416
	ds_load_b128 v[2:5], v2 offset:432
	v_fmac_f64_e32 v[66:67], v[64:65], v[42:43]
	v_fma_f64 v[42:43], v[62:63], v[42:43], -v[44:45]
	s_wait_loadcnt_dscnt 0x201
	v_mul_f64_e32 v[60:61], v[8:9], v[48:49]
	v_mul_f64_e32 v[48:49], v[10:11], v[48:49]
	v_add_f64_e32 v[44:45], 0, v[58:59]
	v_add_f64_e32 v[12:13], 0, v[12:13]
	s_wait_loadcnt_dscnt 0x100
	v_mul_f64_e32 v[58:59], v[2:3], v[52:53]
	v_mul_f64_e32 v[52:53], v[4:5], v[52:53]
	v_fmac_f64_e32 v[60:61], v[10:11], v[46:47]
	v_fma_f64 v[8:9], v[8:9], v[46:47], -v[48:49]
	v_add_f64_e32 v[10:11], v[44:45], v[42:43]
	v_add_f64_e32 v[12:13], v[12:13], v[66:67]
	v_fmac_f64_e32 v[58:59], v[4:5], v[50:51]
	v_fma_f64 v[2:3], v[2:3], v[50:51], -v[52:53]
	s_delay_alu instid0(VALU_DEP_4) | instskip(NEXT) | instid1(VALU_DEP_4)
	v_add_f64_e32 v[4:5], v[10:11], v[8:9]
	v_add_f64_e32 v[8:9], v[12:13], v[60:61]
	s_delay_alu instid0(VALU_DEP_2) | instskip(NEXT) | instid1(VALU_DEP_2)
	v_add_f64_e32 v[2:3], v[4:5], v[2:3]
	v_add_f64_e32 v[4:5], v[8:9], v[58:59]
	s_wait_loadcnt 0x0
	s_delay_alu instid0(VALU_DEP_2) | instskip(NEXT) | instid1(VALU_DEP_2)
	v_add_f64_e64 v[2:3], v[54:55], -v[2:3]
	v_add_f64_e64 v[4:5], v[56:57], -v[4:5]
	scratch_store_b128 off, v[2:5], off offset:144
	s_wait_xcnt 0x0
	v_cmpx_lt_u32_e32 8, v1
	s_cbranch_execz .LBB77_81
; %bb.80:
	scratch_load_b128 v[2:5], off, s20
	v_mov_b32_e32 v8, 0
	s_delay_alu instid0(VALU_DEP_1)
	v_dual_mov_b32 v9, v8 :: v_dual_mov_b32 v10, v8
	v_mov_b32_e32 v11, v8
	scratch_store_b128 off, v[8:11], off offset:128
	s_wait_loadcnt 0x0
	ds_store_b128 v6, v[2:5]
.LBB77_81:
	s_wait_xcnt 0x0
	s_or_b32 exec_lo, exec_lo, s2
	s_wait_storecnt_dscnt 0x0
	s_barrier_signal -1
	s_barrier_wait -1
	s_clause 0x5
	scratch_load_b128 v[8:11], off, off offset:144
	scratch_load_b128 v[42:45], off, off offset:160
	;; [unrolled: 1-line block ×6, first 2 shown]
	v_mov_b32_e32 v2, 0
	ds_load_b128 v[62:65], v2 offset:368
	ds_load_b128 v[66:69], v2 offset:384
	s_mov_b32 s2, exec_lo
	s_wait_loadcnt_dscnt 0x501
	v_mul_f64_e32 v[4:5], v[64:65], v[10:11]
	v_mul_f64_e32 v[12:13], v[62:63], v[10:11]
	s_wait_loadcnt_dscnt 0x400
	v_mul_f64_e32 v[70:71], v[66:67], v[44:45]
	v_mul_f64_e32 v[44:45], v[68:69], v[44:45]
	s_delay_alu instid0(VALU_DEP_4) | instskip(NEXT) | instid1(VALU_DEP_4)
	v_fma_f64 v[4:5], v[62:63], v[8:9], -v[4:5]
	v_fmac_f64_e32 v[12:13], v[64:65], v[8:9]
	ds_load_b128 v[8:11], v2 offset:400
	ds_load_b128 v[62:65], v2 offset:416
	v_fmac_f64_e32 v[70:71], v[68:69], v[42:43]
	v_fma_f64 v[42:43], v[66:67], v[42:43], -v[44:45]
	s_wait_loadcnt_dscnt 0x301
	v_mul_f64_e32 v[72:73], v[8:9], v[48:49]
	v_mul_f64_e32 v[48:49], v[10:11], v[48:49]
	s_wait_loadcnt_dscnt 0x200
	v_mul_f64_e32 v[44:45], v[62:63], v[52:53]
	v_mul_f64_e32 v[52:53], v[64:65], v[52:53]
	v_add_f64_e32 v[4:5], 0, v[4:5]
	v_add_f64_e32 v[12:13], 0, v[12:13]
	v_fmac_f64_e32 v[72:73], v[10:11], v[46:47]
	v_fma_f64 v[46:47], v[8:9], v[46:47], -v[48:49]
	ds_load_b128 v[8:11], v2 offset:432
	v_fmac_f64_e32 v[44:45], v[64:65], v[50:51]
	v_fma_f64 v[50:51], v[62:63], v[50:51], -v[52:53]
	v_add_f64_e32 v[4:5], v[4:5], v[42:43]
	v_add_f64_e32 v[12:13], v[12:13], v[70:71]
	s_wait_loadcnt_dscnt 0x100
	v_mul_f64_e32 v[42:43], v[8:9], v[56:57]
	v_mul_f64_e32 v[48:49], v[10:11], v[56:57]
	s_delay_alu instid0(VALU_DEP_4) | instskip(NEXT) | instid1(VALU_DEP_4)
	v_add_f64_e32 v[4:5], v[4:5], v[46:47]
	v_add_f64_e32 v[12:13], v[12:13], v[72:73]
	s_delay_alu instid0(VALU_DEP_4) | instskip(NEXT) | instid1(VALU_DEP_4)
	v_fmac_f64_e32 v[42:43], v[10:11], v[54:55]
	v_fma_f64 v[8:9], v[8:9], v[54:55], -v[48:49]
	s_delay_alu instid0(VALU_DEP_4) | instskip(NEXT) | instid1(VALU_DEP_4)
	v_add_f64_e32 v[4:5], v[4:5], v[50:51]
	v_add_f64_e32 v[10:11], v[12:13], v[44:45]
	s_delay_alu instid0(VALU_DEP_2) | instskip(NEXT) | instid1(VALU_DEP_2)
	v_add_f64_e32 v[4:5], v[4:5], v[8:9]
	v_add_f64_e32 v[10:11], v[10:11], v[42:43]
	s_wait_loadcnt 0x0
	s_delay_alu instid0(VALU_DEP_2) | instskip(NEXT) | instid1(VALU_DEP_2)
	v_add_f64_e64 v[8:9], v[58:59], -v[4:5]
	v_add_f64_e64 v[10:11], v[60:61], -v[10:11]
	scratch_store_b128 off, v[8:11], off offset:128
	s_wait_xcnt 0x0
	v_cmpx_lt_u32_e32 7, v1
	s_cbranch_execz .LBB77_83
; %bb.82:
	scratch_load_b128 v[8:11], off, s13
	v_dual_mov_b32 v3, v2 :: v_dual_mov_b32 v4, v2
	v_mov_b32_e32 v5, v2
	scratch_store_b128 off, v[2:5], off offset:112
	s_wait_loadcnt 0x0
	ds_store_b128 v6, v[8:11]
.LBB77_83:
	s_wait_xcnt 0x0
	s_or_b32 exec_lo, exec_lo, s2
	s_wait_storecnt_dscnt 0x0
	s_barrier_signal -1
	s_barrier_wait -1
	s_clause 0x6
	scratch_load_b128 v[8:11], off, off offset:128
	scratch_load_b128 v[42:45], off, off offset:144
	;; [unrolled: 1-line block ×7, first 2 shown]
	ds_load_b128 v[66:69], v2 offset:352
	ds_load_b128 v[70:73], v2 offset:368
	s_mov_b32 s2, exec_lo
	s_wait_loadcnt_dscnt 0x601
	v_mul_f64_e32 v[4:5], v[68:69], v[10:11]
	v_mul_f64_e32 v[12:13], v[66:67], v[10:11]
	s_wait_loadcnt_dscnt 0x500
	v_mul_f64_e32 v[74:75], v[70:71], v[44:45]
	v_mul_f64_e32 v[44:45], v[72:73], v[44:45]
	s_delay_alu instid0(VALU_DEP_4) | instskip(NEXT) | instid1(VALU_DEP_4)
	v_fma_f64 v[4:5], v[66:67], v[8:9], -v[4:5]
	v_fmac_f64_e32 v[12:13], v[68:69], v[8:9]
	ds_load_b128 v[8:11], v2 offset:384
	ds_load_b128 v[66:69], v2 offset:400
	v_fmac_f64_e32 v[74:75], v[72:73], v[42:43]
	v_fma_f64 v[42:43], v[70:71], v[42:43], -v[44:45]
	s_wait_loadcnt_dscnt 0x401
	v_mul_f64_e32 v[76:77], v[8:9], v[48:49]
	v_mul_f64_e32 v[48:49], v[10:11], v[48:49]
	s_wait_loadcnt_dscnt 0x300
	v_mul_f64_e32 v[44:45], v[66:67], v[52:53]
	v_mul_f64_e32 v[52:53], v[68:69], v[52:53]
	v_add_f64_e32 v[4:5], 0, v[4:5]
	v_add_f64_e32 v[12:13], 0, v[12:13]
	v_fmac_f64_e32 v[76:77], v[10:11], v[46:47]
	v_fma_f64 v[46:47], v[8:9], v[46:47], -v[48:49]
	v_fmac_f64_e32 v[44:45], v[68:69], v[50:51]
	v_fma_f64 v[50:51], v[66:67], v[50:51], -v[52:53]
	v_add_f64_e32 v[42:43], v[4:5], v[42:43]
	v_add_f64_e32 v[12:13], v[12:13], v[74:75]
	ds_load_b128 v[8:11], v2 offset:416
	ds_load_b128 v[2:5], v2 offset:432
	s_wait_loadcnt_dscnt 0x201
	v_mul_f64_e32 v[48:49], v[8:9], v[56:57]
	v_mul_f64_e32 v[56:57], v[10:11], v[56:57]
	s_wait_loadcnt_dscnt 0x100
	v_mul_f64_e32 v[52:53], v[4:5], v[60:61]
	v_add_f64_e32 v[42:43], v[42:43], v[46:47]
	v_add_f64_e32 v[12:13], v[12:13], v[76:77]
	v_mul_f64_e32 v[46:47], v[2:3], v[60:61]
	v_fmac_f64_e32 v[48:49], v[10:11], v[54:55]
	v_fma_f64 v[8:9], v[8:9], v[54:55], -v[56:57]
	v_fma_f64 v[2:3], v[2:3], v[58:59], -v[52:53]
	v_add_f64_e32 v[10:11], v[42:43], v[50:51]
	v_add_f64_e32 v[12:13], v[12:13], v[44:45]
	v_fmac_f64_e32 v[46:47], v[4:5], v[58:59]
	s_delay_alu instid0(VALU_DEP_3) | instskip(NEXT) | instid1(VALU_DEP_3)
	v_add_f64_e32 v[4:5], v[10:11], v[8:9]
	v_add_f64_e32 v[8:9], v[12:13], v[48:49]
	s_delay_alu instid0(VALU_DEP_2) | instskip(NEXT) | instid1(VALU_DEP_2)
	v_add_f64_e32 v[2:3], v[4:5], v[2:3]
	v_add_f64_e32 v[4:5], v[8:9], v[46:47]
	s_wait_loadcnt 0x0
	s_delay_alu instid0(VALU_DEP_2) | instskip(NEXT) | instid1(VALU_DEP_2)
	v_add_f64_e64 v[2:3], v[62:63], -v[2:3]
	v_add_f64_e64 v[4:5], v[64:65], -v[4:5]
	scratch_store_b128 off, v[2:5], off offset:112
	s_wait_xcnt 0x0
	v_cmpx_lt_u32_e32 6, v1
	s_cbranch_execz .LBB77_85
; %bb.84:
	scratch_load_b128 v[2:5], off, s19
	v_mov_b32_e32 v8, 0
	s_delay_alu instid0(VALU_DEP_1)
	v_dual_mov_b32 v9, v8 :: v_dual_mov_b32 v10, v8
	v_mov_b32_e32 v11, v8
	scratch_store_b128 off, v[8:11], off offset:96
	s_wait_loadcnt 0x0
	ds_store_b128 v6, v[2:5]
.LBB77_85:
	s_wait_xcnt 0x0
	s_or_b32 exec_lo, exec_lo, s2
	s_wait_storecnt_dscnt 0x0
	s_barrier_signal -1
	s_barrier_wait -1
	s_clause 0x7
	scratch_load_b128 v[8:11], off, off offset:112
	scratch_load_b128 v[42:45], off, off offset:128
	;; [unrolled: 1-line block ×8, first 2 shown]
	v_mov_b32_e32 v2, 0
	ds_load_b128 v[70:73], v2 offset:336
	ds_load_b128 v[74:77], v2 offset:352
	s_mov_b32 s2, exec_lo
	s_wait_loadcnt_dscnt 0x701
	v_mul_f64_e32 v[4:5], v[72:73], v[10:11]
	v_mul_f64_e32 v[12:13], v[70:71], v[10:11]
	s_wait_loadcnt_dscnt 0x600
	v_mul_f64_e32 v[78:79], v[74:75], v[44:45]
	v_mul_f64_e32 v[44:45], v[76:77], v[44:45]
	s_delay_alu instid0(VALU_DEP_4) | instskip(NEXT) | instid1(VALU_DEP_4)
	v_fma_f64 v[4:5], v[70:71], v[8:9], -v[4:5]
	v_fmac_f64_e32 v[12:13], v[72:73], v[8:9]
	ds_load_b128 v[8:11], v2 offset:368
	ds_load_b128 v[70:73], v2 offset:384
	v_fmac_f64_e32 v[78:79], v[76:77], v[42:43]
	v_fma_f64 v[42:43], v[74:75], v[42:43], -v[44:45]
	s_wait_loadcnt_dscnt 0x501
	v_mul_f64_e32 v[80:81], v[8:9], v[48:49]
	v_mul_f64_e32 v[48:49], v[10:11], v[48:49]
	s_wait_loadcnt_dscnt 0x400
	v_mul_f64_e32 v[74:75], v[70:71], v[52:53]
	v_mul_f64_e32 v[52:53], v[72:73], v[52:53]
	v_add_f64_e32 v[4:5], 0, v[4:5]
	v_add_f64_e32 v[12:13], 0, v[12:13]
	v_fmac_f64_e32 v[80:81], v[10:11], v[46:47]
	v_fma_f64 v[46:47], v[8:9], v[46:47], -v[48:49]
	v_fmac_f64_e32 v[74:75], v[72:73], v[50:51]
	v_fma_f64 v[50:51], v[70:71], v[50:51], -v[52:53]
	v_add_f64_e32 v[4:5], v[4:5], v[42:43]
	v_add_f64_e32 v[12:13], v[12:13], v[78:79]
	ds_load_b128 v[8:11], v2 offset:400
	ds_load_b128 v[42:45], v2 offset:416
	s_wait_loadcnt_dscnt 0x301
	v_mul_f64_e32 v[48:49], v[8:9], v[56:57]
	v_mul_f64_e32 v[56:57], v[10:11], v[56:57]
	s_wait_loadcnt_dscnt 0x200
	v_mul_f64_e32 v[52:53], v[44:45], v[60:61]
	v_add_f64_e32 v[4:5], v[4:5], v[46:47]
	v_add_f64_e32 v[12:13], v[12:13], v[80:81]
	v_mul_f64_e32 v[46:47], v[42:43], v[60:61]
	v_fmac_f64_e32 v[48:49], v[10:11], v[54:55]
	v_fma_f64 v[54:55], v[8:9], v[54:55], -v[56:57]
	ds_load_b128 v[8:11], v2 offset:432
	v_fma_f64 v[42:43], v[42:43], v[58:59], -v[52:53]
	v_add_f64_e32 v[4:5], v[4:5], v[50:51]
	v_add_f64_e32 v[12:13], v[12:13], v[74:75]
	v_fmac_f64_e32 v[46:47], v[44:45], v[58:59]
	s_wait_loadcnt_dscnt 0x100
	v_mul_f64_e32 v[50:51], v[8:9], v[64:65]
	v_mul_f64_e32 v[56:57], v[10:11], v[64:65]
	v_add_f64_e32 v[4:5], v[4:5], v[54:55]
	v_add_f64_e32 v[12:13], v[12:13], v[48:49]
	s_delay_alu instid0(VALU_DEP_4) | instskip(NEXT) | instid1(VALU_DEP_4)
	v_fmac_f64_e32 v[50:51], v[10:11], v[62:63]
	v_fma_f64 v[8:9], v[8:9], v[62:63], -v[56:57]
	s_delay_alu instid0(VALU_DEP_4) | instskip(NEXT) | instid1(VALU_DEP_4)
	v_add_f64_e32 v[4:5], v[4:5], v[42:43]
	v_add_f64_e32 v[10:11], v[12:13], v[46:47]
	s_delay_alu instid0(VALU_DEP_2) | instskip(NEXT) | instid1(VALU_DEP_2)
	v_add_f64_e32 v[4:5], v[4:5], v[8:9]
	v_add_f64_e32 v[10:11], v[10:11], v[50:51]
	s_wait_loadcnt 0x0
	s_delay_alu instid0(VALU_DEP_2) | instskip(NEXT) | instid1(VALU_DEP_2)
	v_add_f64_e64 v[8:9], v[66:67], -v[4:5]
	v_add_f64_e64 v[10:11], v[68:69], -v[10:11]
	scratch_store_b128 off, v[8:11], off offset:96
	s_wait_xcnt 0x0
	v_cmpx_lt_u32_e32 5, v1
	s_cbranch_execz .LBB77_87
; %bb.86:
	scratch_load_b128 v[8:11], off, s12
	v_dual_mov_b32 v3, v2 :: v_dual_mov_b32 v4, v2
	v_mov_b32_e32 v5, v2
	scratch_store_b128 off, v[2:5], off offset:80
	s_wait_loadcnt 0x0
	ds_store_b128 v6, v[8:11]
.LBB77_87:
	s_wait_xcnt 0x0
	s_or_b32 exec_lo, exec_lo, s2
	s_wait_storecnt_dscnt 0x0
	s_barrier_signal -1
	s_barrier_wait -1
	s_clause 0x7
	scratch_load_b128 v[8:11], off, off offset:96
	scratch_load_b128 v[42:45], off, off offset:112
	;; [unrolled: 1-line block ×8, first 2 shown]
	ds_load_b128 v[70:73], v2 offset:320
	ds_load_b128 v[74:77], v2 offset:336
	scratch_load_b128 v[78:81], off, off offset:80
	s_mov_b32 s2, exec_lo
	s_wait_loadcnt_dscnt 0x801
	v_mul_f64_e32 v[4:5], v[72:73], v[10:11]
	v_mul_f64_e32 v[12:13], v[70:71], v[10:11]
	s_wait_loadcnt_dscnt 0x700
	v_mul_f64_e32 v[82:83], v[74:75], v[44:45]
	v_mul_f64_e32 v[44:45], v[76:77], v[44:45]
	s_delay_alu instid0(VALU_DEP_4) | instskip(NEXT) | instid1(VALU_DEP_4)
	v_fma_f64 v[4:5], v[70:71], v[8:9], -v[4:5]
	v_fmac_f64_e32 v[12:13], v[72:73], v[8:9]
	ds_load_b128 v[8:11], v2 offset:352
	ds_load_b128 v[70:73], v2 offset:368
	v_fmac_f64_e32 v[82:83], v[76:77], v[42:43]
	v_fma_f64 v[42:43], v[74:75], v[42:43], -v[44:45]
	s_wait_loadcnt_dscnt 0x601
	v_mul_f64_e32 v[84:85], v[8:9], v[48:49]
	v_mul_f64_e32 v[48:49], v[10:11], v[48:49]
	s_wait_loadcnt_dscnt 0x500
	v_mul_f64_e32 v[74:75], v[70:71], v[52:53]
	v_mul_f64_e32 v[52:53], v[72:73], v[52:53]
	v_add_f64_e32 v[4:5], 0, v[4:5]
	v_add_f64_e32 v[12:13], 0, v[12:13]
	v_fmac_f64_e32 v[84:85], v[10:11], v[46:47]
	v_fma_f64 v[46:47], v[8:9], v[46:47], -v[48:49]
	v_fmac_f64_e32 v[74:75], v[72:73], v[50:51]
	v_fma_f64 v[50:51], v[70:71], v[50:51], -v[52:53]
	v_add_f64_e32 v[4:5], v[4:5], v[42:43]
	v_add_f64_e32 v[12:13], v[12:13], v[82:83]
	ds_load_b128 v[8:11], v2 offset:384
	ds_load_b128 v[42:45], v2 offset:400
	s_wait_loadcnt_dscnt 0x401
	v_mul_f64_e32 v[48:49], v[8:9], v[56:57]
	v_mul_f64_e32 v[56:57], v[10:11], v[56:57]
	s_wait_loadcnt_dscnt 0x300
	v_mul_f64_e32 v[52:53], v[44:45], v[60:61]
	v_add_f64_e32 v[4:5], v[4:5], v[46:47]
	v_add_f64_e32 v[12:13], v[12:13], v[84:85]
	v_mul_f64_e32 v[46:47], v[42:43], v[60:61]
	v_fmac_f64_e32 v[48:49], v[10:11], v[54:55]
	v_fma_f64 v[54:55], v[8:9], v[54:55], -v[56:57]
	v_fma_f64 v[42:43], v[42:43], v[58:59], -v[52:53]
	v_add_f64_e32 v[50:51], v[4:5], v[50:51]
	v_add_f64_e32 v[12:13], v[12:13], v[74:75]
	ds_load_b128 v[8:11], v2 offset:416
	ds_load_b128 v[2:5], v2 offset:432
	v_fmac_f64_e32 v[46:47], v[44:45], v[58:59]
	s_wait_loadcnt_dscnt 0x201
	v_mul_f64_e32 v[56:57], v[8:9], v[64:65]
	v_mul_f64_e32 v[60:61], v[10:11], v[64:65]
	v_add_f64_e32 v[44:45], v[50:51], v[54:55]
	v_add_f64_e32 v[12:13], v[12:13], v[48:49]
	s_wait_loadcnt_dscnt 0x100
	v_mul_f64_e32 v[48:49], v[2:3], v[68:69]
	v_mul_f64_e32 v[50:51], v[4:5], v[68:69]
	v_fmac_f64_e32 v[56:57], v[10:11], v[62:63]
	v_fma_f64 v[8:9], v[8:9], v[62:63], -v[60:61]
	v_add_f64_e32 v[10:11], v[44:45], v[42:43]
	v_add_f64_e32 v[12:13], v[12:13], v[46:47]
	v_fmac_f64_e32 v[48:49], v[4:5], v[66:67]
	v_fma_f64 v[2:3], v[2:3], v[66:67], -v[50:51]
	s_delay_alu instid0(VALU_DEP_4) | instskip(NEXT) | instid1(VALU_DEP_4)
	v_add_f64_e32 v[4:5], v[10:11], v[8:9]
	v_add_f64_e32 v[8:9], v[12:13], v[56:57]
	s_delay_alu instid0(VALU_DEP_2) | instskip(NEXT) | instid1(VALU_DEP_2)
	v_add_f64_e32 v[2:3], v[4:5], v[2:3]
	v_add_f64_e32 v[4:5], v[8:9], v[48:49]
	s_wait_loadcnt 0x0
	s_delay_alu instid0(VALU_DEP_2) | instskip(NEXT) | instid1(VALU_DEP_2)
	v_add_f64_e64 v[2:3], v[78:79], -v[2:3]
	v_add_f64_e64 v[4:5], v[80:81], -v[4:5]
	scratch_store_b128 off, v[2:5], off offset:80
	s_wait_xcnt 0x0
	v_cmpx_lt_u32_e32 4, v1
	s_cbranch_execz .LBB77_89
; %bb.88:
	scratch_load_b128 v[2:5], off, s18
	v_mov_b32_e32 v8, 0
	s_delay_alu instid0(VALU_DEP_1)
	v_dual_mov_b32 v9, v8 :: v_dual_mov_b32 v10, v8
	v_mov_b32_e32 v11, v8
	scratch_store_b128 off, v[8:11], off offset:64
	s_wait_loadcnt 0x0
	ds_store_b128 v6, v[2:5]
.LBB77_89:
	s_wait_xcnt 0x0
	s_or_b32 exec_lo, exec_lo, s2
	s_wait_storecnt_dscnt 0x0
	s_barrier_signal -1
	s_barrier_wait -1
	s_clause 0x8
	scratch_load_b128 v[8:11], off, off offset:80
	scratch_load_b128 v[42:45], off, off offset:96
	;; [unrolled: 1-line block ×9, first 2 shown]
	v_mov_b32_e32 v2, 0
	scratch_load_b128 v[78:81], off, off offset:64
	s_mov_b32 s2, exec_lo
	ds_load_b128 v[74:77], v2 offset:304
	ds_load_b128 v[82:85], v2 offset:320
	s_wait_loadcnt_dscnt 0x901
	v_mul_f64_e32 v[4:5], v[76:77], v[10:11]
	v_mul_f64_e32 v[12:13], v[74:75], v[10:11]
	s_wait_loadcnt_dscnt 0x800
	v_mul_f64_e32 v[86:87], v[82:83], v[44:45]
	v_mul_f64_e32 v[44:45], v[84:85], v[44:45]
	s_delay_alu instid0(VALU_DEP_4) | instskip(NEXT) | instid1(VALU_DEP_4)
	v_fma_f64 v[4:5], v[74:75], v[8:9], -v[4:5]
	v_fmac_f64_e32 v[12:13], v[76:77], v[8:9]
	ds_load_b128 v[8:11], v2 offset:336
	ds_load_b128 v[74:77], v2 offset:352
	v_fmac_f64_e32 v[86:87], v[84:85], v[42:43]
	v_fma_f64 v[42:43], v[82:83], v[42:43], -v[44:45]
	s_wait_loadcnt_dscnt 0x701
	v_mul_f64_e32 v[88:89], v[8:9], v[48:49]
	v_mul_f64_e32 v[48:49], v[10:11], v[48:49]
	s_wait_loadcnt_dscnt 0x600
	v_mul_f64_e32 v[82:83], v[74:75], v[52:53]
	v_mul_f64_e32 v[52:53], v[76:77], v[52:53]
	v_add_f64_e32 v[4:5], 0, v[4:5]
	v_add_f64_e32 v[12:13], 0, v[12:13]
	v_fmac_f64_e32 v[88:89], v[10:11], v[46:47]
	v_fma_f64 v[46:47], v[8:9], v[46:47], -v[48:49]
	v_fmac_f64_e32 v[82:83], v[76:77], v[50:51]
	v_fma_f64 v[50:51], v[74:75], v[50:51], -v[52:53]
	v_add_f64_e32 v[4:5], v[4:5], v[42:43]
	v_add_f64_e32 v[12:13], v[12:13], v[86:87]
	ds_load_b128 v[8:11], v2 offset:368
	ds_load_b128 v[42:45], v2 offset:384
	s_wait_loadcnt_dscnt 0x501
	v_mul_f64_e32 v[84:85], v[8:9], v[56:57]
	v_mul_f64_e32 v[48:49], v[10:11], v[56:57]
	s_wait_loadcnt_dscnt 0x400
	v_mul_f64_e32 v[52:53], v[42:43], v[60:61]
	v_mul_f64_e32 v[56:57], v[44:45], v[60:61]
	v_add_f64_e32 v[4:5], v[4:5], v[46:47]
	v_add_f64_e32 v[12:13], v[12:13], v[88:89]
	v_fmac_f64_e32 v[84:85], v[10:11], v[54:55]
	v_fma_f64 v[54:55], v[8:9], v[54:55], -v[48:49]
	ds_load_b128 v[8:11], v2 offset:400
	ds_load_b128 v[46:49], v2 offset:416
	v_fmac_f64_e32 v[52:53], v[44:45], v[58:59]
	v_fma_f64 v[42:43], v[42:43], v[58:59], -v[56:57]
	v_add_f64_e32 v[4:5], v[4:5], v[50:51]
	v_add_f64_e32 v[12:13], v[12:13], v[82:83]
	s_wait_loadcnt_dscnt 0x301
	v_mul_f64_e32 v[50:51], v[8:9], v[64:65]
	v_mul_f64_e32 v[60:61], v[10:11], v[64:65]
	s_wait_loadcnt_dscnt 0x200
	v_mul_f64_e32 v[44:45], v[46:47], v[68:69]
	v_add_f64_e32 v[4:5], v[4:5], v[54:55]
	v_add_f64_e32 v[12:13], v[12:13], v[84:85]
	v_mul_f64_e32 v[54:55], v[48:49], v[68:69]
	v_fmac_f64_e32 v[50:51], v[10:11], v[62:63]
	v_fma_f64 v[56:57], v[8:9], v[62:63], -v[60:61]
	ds_load_b128 v[8:11], v2 offset:432
	v_fmac_f64_e32 v[44:45], v[48:49], v[66:67]
	v_add_f64_e32 v[4:5], v[4:5], v[42:43]
	v_add_f64_e32 v[12:13], v[12:13], v[52:53]
	s_wait_loadcnt_dscnt 0x100
	v_mul_f64_e32 v[42:43], v[8:9], v[72:73]
	v_mul_f64_e32 v[52:53], v[10:11], v[72:73]
	v_fma_f64 v[46:47], v[46:47], v[66:67], -v[54:55]
	v_add_f64_e32 v[4:5], v[4:5], v[56:57]
	v_add_f64_e32 v[12:13], v[12:13], v[50:51]
	v_fmac_f64_e32 v[42:43], v[10:11], v[70:71]
	v_fma_f64 v[8:9], v[8:9], v[70:71], -v[52:53]
	s_delay_alu instid0(VALU_DEP_4) | instskip(NEXT) | instid1(VALU_DEP_4)
	v_add_f64_e32 v[4:5], v[4:5], v[46:47]
	v_add_f64_e32 v[10:11], v[12:13], v[44:45]
	s_delay_alu instid0(VALU_DEP_2) | instskip(NEXT) | instid1(VALU_DEP_2)
	v_add_f64_e32 v[4:5], v[4:5], v[8:9]
	v_add_f64_e32 v[10:11], v[10:11], v[42:43]
	s_wait_loadcnt 0x0
	s_delay_alu instid0(VALU_DEP_2) | instskip(NEXT) | instid1(VALU_DEP_2)
	v_add_f64_e64 v[8:9], v[78:79], -v[4:5]
	v_add_f64_e64 v[10:11], v[80:81], -v[10:11]
	scratch_store_b128 off, v[8:11], off offset:64
	s_wait_xcnt 0x0
	v_cmpx_lt_u32_e32 3, v1
	s_cbranch_execz .LBB77_91
; %bb.90:
	scratch_load_b128 v[8:11], off, s17
	v_dual_mov_b32 v3, v2 :: v_dual_mov_b32 v4, v2
	v_mov_b32_e32 v5, v2
	scratch_store_b128 off, v[2:5], off offset:48
	s_wait_loadcnt 0x0
	ds_store_b128 v6, v[8:11]
.LBB77_91:
	s_wait_xcnt 0x0
	s_or_b32 exec_lo, exec_lo, s2
	s_wait_storecnt_dscnt 0x0
	s_barrier_signal -1
	s_barrier_wait -1
	s_clause 0x9
	scratch_load_b128 v[8:11], off, off offset:64
	scratch_load_b128 v[42:45], off, off offset:80
	;; [unrolled: 1-line block ×10, first 2 shown]
	ds_load_b128 v[78:81], v2 offset:288
	ds_load_b128 v[82:85], v2 offset:304
	scratch_load_b128 v[86:89], off, off offset:48
	s_mov_b32 s2, exec_lo
	s_wait_loadcnt_dscnt 0xa01
	v_mul_f64_e32 v[4:5], v[80:81], v[10:11]
	v_mul_f64_e32 v[12:13], v[78:79], v[10:11]
	s_wait_loadcnt_dscnt 0x900
	v_mul_f64_e32 v[90:91], v[82:83], v[44:45]
	v_mul_f64_e32 v[44:45], v[84:85], v[44:45]
	s_delay_alu instid0(VALU_DEP_4) | instskip(NEXT) | instid1(VALU_DEP_4)
	v_fma_f64 v[4:5], v[78:79], v[8:9], -v[4:5]
	v_fmac_f64_e32 v[12:13], v[80:81], v[8:9]
	ds_load_b128 v[8:11], v2 offset:320
	ds_load_b128 v[78:81], v2 offset:336
	v_fmac_f64_e32 v[90:91], v[84:85], v[42:43]
	v_fma_f64 v[42:43], v[82:83], v[42:43], -v[44:45]
	s_wait_loadcnt_dscnt 0x801
	v_mul_f64_e32 v[92:93], v[8:9], v[48:49]
	v_mul_f64_e32 v[48:49], v[10:11], v[48:49]
	s_wait_loadcnt_dscnt 0x700
	v_mul_f64_e32 v[82:83], v[78:79], v[52:53]
	v_mul_f64_e32 v[52:53], v[80:81], v[52:53]
	v_add_f64_e32 v[4:5], 0, v[4:5]
	v_add_f64_e32 v[12:13], 0, v[12:13]
	v_fmac_f64_e32 v[92:93], v[10:11], v[46:47]
	v_fma_f64 v[46:47], v[8:9], v[46:47], -v[48:49]
	v_fmac_f64_e32 v[82:83], v[80:81], v[50:51]
	v_fma_f64 v[50:51], v[78:79], v[50:51], -v[52:53]
	v_add_f64_e32 v[4:5], v[4:5], v[42:43]
	v_add_f64_e32 v[12:13], v[12:13], v[90:91]
	ds_load_b128 v[8:11], v2 offset:352
	ds_load_b128 v[42:45], v2 offset:368
	s_wait_loadcnt_dscnt 0x601
	v_mul_f64_e32 v[84:85], v[8:9], v[56:57]
	v_mul_f64_e32 v[48:49], v[10:11], v[56:57]
	s_wait_loadcnt_dscnt 0x500
	v_mul_f64_e32 v[52:53], v[42:43], v[60:61]
	v_mul_f64_e32 v[56:57], v[44:45], v[60:61]
	v_add_f64_e32 v[4:5], v[4:5], v[46:47]
	v_add_f64_e32 v[12:13], v[12:13], v[92:93]
	v_fmac_f64_e32 v[84:85], v[10:11], v[54:55]
	v_fma_f64 v[54:55], v[8:9], v[54:55], -v[48:49]
	ds_load_b128 v[8:11], v2 offset:384
	ds_load_b128 v[46:49], v2 offset:400
	v_fmac_f64_e32 v[52:53], v[44:45], v[58:59]
	v_fma_f64 v[42:43], v[42:43], v[58:59], -v[56:57]
	v_add_f64_e32 v[4:5], v[4:5], v[50:51]
	v_add_f64_e32 v[12:13], v[12:13], v[82:83]
	s_wait_loadcnt_dscnt 0x401
	v_mul_f64_e32 v[50:51], v[8:9], v[64:65]
	v_mul_f64_e32 v[60:61], v[10:11], v[64:65]
	s_wait_loadcnt_dscnt 0x300
	v_mul_f64_e32 v[44:45], v[46:47], v[68:69]
	v_add_f64_e32 v[4:5], v[4:5], v[54:55]
	v_add_f64_e32 v[12:13], v[12:13], v[84:85]
	v_mul_f64_e32 v[54:55], v[48:49], v[68:69]
	v_fmac_f64_e32 v[50:51], v[10:11], v[62:63]
	v_fma_f64 v[56:57], v[8:9], v[62:63], -v[60:61]
	v_fmac_f64_e32 v[44:45], v[48:49], v[66:67]
	v_add_f64_e32 v[42:43], v[4:5], v[42:43]
	v_add_f64_e32 v[12:13], v[12:13], v[52:53]
	ds_load_b128 v[8:11], v2 offset:416
	ds_load_b128 v[2:5], v2 offset:432
	v_fma_f64 v[46:47], v[46:47], v[66:67], -v[54:55]
	s_wait_loadcnt_dscnt 0x201
	v_mul_f64_e32 v[52:53], v[8:9], v[72:73]
	v_mul_f64_e32 v[58:59], v[10:11], v[72:73]
	s_wait_loadcnt_dscnt 0x100
	v_mul_f64_e32 v[48:49], v[2:3], v[76:77]
	v_add_f64_e32 v[42:43], v[42:43], v[56:57]
	v_add_f64_e32 v[12:13], v[12:13], v[50:51]
	v_mul_f64_e32 v[50:51], v[4:5], v[76:77]
	v_fmac_f64_e32 v[52:53], v[10:11], v[70:71]
	v_fma_f64 v[8:9], v[8:9], v[70:71], -v[58:59]
	v_fmac_f64_e32 v[48:49], v[4:5], v[74:75]
	v_add_f64_e32 v[10:11], v[42:43], v[46:47]
	v_add_f64_e32 v[12:13], v[12:13], v[44:45]
	v_fma_f64 v[2:3], v[2:3], v[74:75], -v[50:51]
	s_delay_alu instid0(VALU_DEP_3) | instskip(NEXT) | instid1(VALU_DEP_3)
	v_add_f64_e32 v[4:5], v[10:11], v[8:9]
	v_add_f64_e32 v[8:9], v[12:13], v[52:53]
	s_delay_alu instid0(VALU_DEP_2) | instskip(NEXT) | instid1(VALU_DEP_2)
	v_add_f64_e32 v[2:3], v[4:5], v[2:3]
	v_add_f64_e32 v[4:5], v[8:9], v[48:49]
	s_wait_loadcnt 0x0
	s_delay_alu instid0(VALU_DEP_2) | instskip(NEXT) | instid1(VALU_DEP_2)
	v_add_f64_e64 v[2:3], v[86:87], -v[2:3]
	v_add_f64_e64 v[4:5], v[88:89], -v[4:5]
	scratch_store_b128 off, v[2:5], off offset:48
	s_wait_xcnt 0x0
	v_cmpx_lt_u32_e32 2, v1
	s_cbranch_execz .LBB77_93
; %bb.92:
	scratch_load_b128 v[2:5], off, s23
	v_mov_b32_e32 v8, 0
	s_delay_alu instid0(VALU_DEP_1)
	v_dual_mov_b32 v9, v8 :: v_dual_mov_b32 v10, v8
	v_mov_b32_e32 v11, v8
	scratch_store_b128 off, v[8:11], off offset:32
	s_wait_loadcnt 0x0
	ds_store_b128 v6, v[2:5]
.LBB77_93:
	s_wait_xcnt 0x0
	s_or_b32 exec_lo, exec_lo, s2
	s_wait_storecnt_dscnt 0x0
	s_barrier_signal -1
	s_barrier_wait -1
	s_clause 0x9
	scratch_load_b128 v[8:11], off, off offset:48
	scratch_load_b128 v[42:45], off, off offset:64
	;; [unrolled: 1-line block ×10, first 2 shown]
	v_mov_b32_e32 v2, 0
	scratch_load_b128 v[82:85], off, off offset:32
	s_mov_b32 s2, exec_lo
	v_dual_ashrrev_i32 v21, 31, v20 :: v_dual_ashrrev_i32 v19, 31, v18
	ds_load_b128 v[78:81], v2 offset:272
	ds_load_b128 v[86:89], v2 offset:288
	v_ashrrev_i32_e32 v27, 31, v26
	v_dual_ashrrev_i32 v23, 31, v22 :: v_dual_ashrrev_i32 v25, 31, v24
	v_ashrrev_i32_e32 v31, 31, v30
	v_ashrrev_i32_e32 v35, 31, v34
	v_dual_ashrrev_i32 v39, 31, v38 :: v_dual_ashrrev_i32 v29, 31, v28
	v_ashrrev_i32_e32 v37, 31, v36
	v_ashrrev_i32_e32 v33, 31, v32
	s_wait_loadcnt_dscnt 0xa01
	v_dual_mul_f64 v[4:5], v[78:79], v[10:11] :: v_dual_ashrrev_i32 v41, 31, v40
	v_mul_f64_e32 v[90:91], v[80:81], v[10:11]
	scratch_load_b128 v[10:13], off, off offset:208
	s_wait_loadcnt_dscnt 0xa00
	v_mul_f64_e32 v[92:93], v[86:87], v[44:45]
	v_mul_f64_e32 v[44:45], v[88:89], v[44:45]
	v_fmac_f64_e32 v[4:5], v[80:81], v[8:9]
	v_fma_f64 v[8:9], v[78:79], v[8:9], -v[90:91]
	ds_load_b128 v[78:81], v2 offset:304
	v_fmac_f64_e32 v[92:93], v[88:89], v[42:43]
	v_fma_f64 v[86:87], v[86:87], v[42:43], -v[44:45]
	ds_load_b128 v[42:45], v2 offset:320
	s_wait_loadcnt_dscnt 0x901
	v_mul_f64_e32 v[88:89], v[78:79], v[48:49]
	v_mul_f64_e32 v[48:49], v[80:81], v[48:49]
	s_wait_loadcnt_dscnt 0x800
	v_mul_f64_e32 v[90:91], v[42:43], v[52:53]
	v_mul_f64_e32 v[52:53], v[44:45], v[52:53]
	v_add_f64_e32 v[4:5], 0, v[4:5]
	v_add_f64_e32 v[8:9], 0, v[8:9]
	v_fmac_f64_e32 v[88:89], v[80:81], v[46:47]
	v_fma_f64 v[94:95], v[78:79], v[46:47], -v[48:49]
	ds_load_b128 v[46:49], v2 offset:336
	ds_load_b128 v[78:81], v2 offset:352
	v_fmac_f64_e32 v[90:91], v[44:45], v[50:51]
	v_fma_f64 v[42:43], v[42:43], v[50:51], -v[52:53]
	v_add_f64_e32 v[4:5], v[4:5], v[92:93]
	v_add_f64_e32 v[8:9], v[8:9], v[86:87]
	s_wait_loadcnt_dscnt 0x701
	v_mul_f64_e32 v[86:87], v[46:47], v[56:57]
	v_mul_f64_e32 v[44:45], v[48:49], v[56:57]
	s_wait_loadcnt_dscnt 0x600
	v_mul_f64_e32 v[50:51], v[78:79], v[60:61]
	v_mul_f64_e32 v[52:53], v[80:81], v[60:61]
	v_add_f64_e32 v[4:5], v[4:5], v[88:89]
	v_add_f64_e32 v[8:9], v[8:9], v[94:95]
	v_fmac_f64_e32 v[86:87], v[48:49], v[54:55]
	v_fma_f64 v[54:55], v[46:47], v[54:55], -v[44:45]
	v_fmac_f64_e32 v[50:51], v[80:81], v[58:59]
	v_fma_f64 v[52:53], v[78:79], v[58:59], -v[52:53]
	v_add_f64_e32 v[4:5], v[4:5], v[90:91]
	v_add_f64_e32 v[8:9], v[8:9], v[42:43]
	ds_load_b128 v[42:45], v2 offset:368
	ds_load_b128 v[46:49], v2 offset:384
	s_wait_loadcnt_dscnt 0x501
	v_mul_f64_e32 v[56:57], v[42:43], v[64:65]
	v_mul_f64_e32 v[60:61], v[44:45], v[64:65]
	s_wait_loadcnt_dscnt 0x400
	v_mul_f64_e32 v[58:59], v[48:49], v[68:69]
	v_add_f64_e32 v[4:5], v[4:5], v[86:87]
	v_add_f64_e32 v[8:9], v[8:9], v[54:55]
	v_mul_f64_e32 v[54:55], v[46:47], v[68:69]
	v_fmac_f64_e32 v[56:57], v[44:45], v[62:63]
	v_fma_f64 v[60:61], v[42:43], v[62:63], -v[60:61]
	v_fma_f64 v[46:47], v[46:47], v[66:67], -v[58:59]
	v_add_f64_e32 v[4:5], v[4:5], v[50:51]
	v_add_f64_e32 v[8:9], v[8:9], v[52:53]
	ds_load_b128 v[42:45], v2 offset:400
	ds_load_b128 v[50:53], v2 offset:416
	v_fmac_f64_e32 v[54:55], v[48:49], v[66:67]
	s_wait_loadcnt_dscnt 0x301
	v_mul_f64_e32 v[62:63], v[42:43], v[72:73]
	v_mul_f64_e32 v[64:65], v[44:45], v[72:73]
	s_wait_loadcnt_dscnt 0x200
	v_mul_f64_e32 v[48:49], v[50:51], v[76:77]
	v_add_f64_e32 v[4:5], v[4:5], v[56:57]
	v_add_f64_e32 v[8:9], v[8:9], v[60:61]
	v_mul_f64_e32 v[56:57], v[52:53], v[76:77]
	v_fmac_f64_e32 v[62:63], v[44:45], v[70:71]
	v_fma_f64 v[58:59], v[42:43], v[70:71], -v[64:65]
	ds_load_b128 v[42:45], v2 offset:432
	v_fmac_f64_e32 v[48:49], v[52:53], v[74:75]
	v_add_f64_e32 v[4:5], v[4:5], v[54:55]
	v_add_f64_e32 v[8:9], v[8:9], v[46:47]
	v_fma_f64 v[50:51], v[50:51], v[74:75], -v[56:57]
	s_delay_alu instid0(VALU_DEP_3) | instskip(NEXT) | instid1(VALU_DEP_3)
	v_add_f64_e32 v[4:5], v[4:5], v[62:63]
	v_add_f64_e32 v[8:9], v[8:9], v[58:59]
	s_wait_loadcnt_dscnt 0x0
	v_mul_f64_e32 v[46:47], v[42:43], v[12:13]
	v_mul_f64_e32 v[12:13], v[44:45], v[12:13]
	s_delay_alu instid0(VALU_DEP_4) | instskip(NEXT) | instid1(VALU_DEP_4)
	v_add_f64_e32 v[4:5], v[4:5], v[48:49]
	v_add_f64_e32 v[8:9], v[8:9], v[50:51]
	s_delay_alu instid0(VALU_DEP_4) | instskip(NEXT) | instid1(VALU_DEP_4)
	v_fmac_f64_e32 v[46:47], v[44:45], v[10:11]
	v_fma_f64 v[10:11], v[42:43], v[10:11], -v[12:13]
	s_delay_alu instid0(VALU_DEP_2) | instskip(NEXT) | instid1(VALU_DEP_2)
	v_add_f64_e32 v[4:5], v[4:5], v[46:47]
	v_add_f64_e32 v[8:9], v[8:9], v[10:11]
	s_delay_alu instid0(VALU_DEP_2) | instskip(NEXT) | instid1(VALU_DEP_2)
	v_add_f64_e64 v[10:11], v[84:85], -v[4:5]
	v_add_f64_e64 v[8:9], v[82:83], -v[8:9]
	scratch_store_b128 off, v[8:11], off offset:32
	s_wait_xcnt 0x0
	v_cmpx_lt_u32_e32 1, v1
	s_cbranch_execz .LBB77_95
; %bb.94:
	scratch_load_b128 v[8:11], off, s24
	v_dual_mov_b32 v3, v2 :: v_dual_mov_b32 v4, v2
	v_mov_b32_e32 v5, v2
	scratch_store_b128 off, v[2:5], off offset:16
	s_wait_loadcnt 0x0
	ds_store_b128 v6, v[8:11]
.LBB77_95:
	s_wait_xcnt 0x0
	s_or_b32 exec_lo, exec_lo, s2
	s_wait_storecnt_dscnt 0x0
	s_barrier_signal -1
	s_barrier_wait -1
	s_clause 0x9
	scratch_load_b128 v[8:11], off, off offset:32
	scratch_load_b128 v[42:45], off, off offset:48
	;; [unrolled: 1-line block ×10, first 2 shown]
	ds_load_b128 v[78:81], v2 offset:256
	s_clause 0x1
	scratch_load_b128 v[82:85], off, off offset:192
	scratch_load_b128 v[86:89], off, off offset:208
	s_mov_b32 s2, exec_lo
	s_wait_loadcnt_dscnt 0xb00
	v_mul_f64_e32 v[4:5], v[80:81], v[10:11]
	v_mul_f64_e32 v[90:91], v[78:79], v[10:11]
	ds_load_b128 v[10:13], v2 offset:272
	v_fma_f64 v[4:5], v[78:79], v[8:9], -v[4:5]
	v_fmac_f64_e32 v[90:91], v[80:81], v[8:9]
	ds_load_b128 v[78:81], v2 offset:288
	s_wait_loadcnt_dscnt 0xa01
	v_mul_f64_e32 v[92:93], v[10:11], v[44:45]
	v_mul_f64_e32 v[44:45], v[12:13], v[44:45]
	s_wait_loadcnt_dscnt 0x900
	v_mul_f64_e32 v[94:95], v[78:79], v[48:49]
	v_mul_f64_e32 v[48:49], v[80:81], v[48:49]
	v_add_f64_e32 v[4:5], 0, v[4:5]
	v_fmac_f64_e32 v[92:93], v[12:13], v[42:43]
	v_fma_f64 v[12:13], v[10:11], v[42:43], -v[44:45]
	v_add_f64_e32 v[42:43], 0, v[90:91]
	ds_load_b128 v[8:11], v2 offset:304
	v_fmac_f64_e32 v[94:95], v[80:81], v[46:47]
	v_fma_f64 v[78:79], v[78:79], v[46:47], -v[48:49]
	scratch_load_b128 v[46:49], off, off offset:16
	v_add_f64_e32 v[4:5], v[4:5], v[12:13]
	v_add_f64_e32 v[12:13], v[42:43], v[92:93]
	ds_load_b128 v[42:45], v2 offset:320
	s_wait_loadcnt_dscnt 0x901
	v_mul_f64_e32 v[90:91], v[8:9], v[52:53]
	v_mul_f64_e32 v[52:53], v[10:11], v[52:53]
	s_wait_loadcnt_dscnt 0x800
	v_mul_f64_e32 v[80:81], v[42:43], v[56:57]
	v_mul_f64_e32 v[56:57], v[44:45], v[56:57]
	v_add_f64_e32 v[4:5], v[4:5], v[78:79]
	v_add_f64_e32 v[12:13], v[12:13], v[94:95]
	v_fmac_f64_e32 v[90:91], v[10:11], v[50:51]
	v_fma_f64 v[50:51], v[8:9], v[50:51], -v[52:53]
	ds_load_b128 v[8:11], v2 offset:336
	v_fmac_f64_e32 v[80:81], v[44:45], v[54:55]
	v_fma_f64 v[54:55], v[42:43], v[54:55], -v[56:57]
	ds_load_b128 v[42:45], v2 offset:352
	s_wait_loadcnt_dscnt 0x701
	v_mul_f64_e32 v[52:53], v[8:9], v[60:61]
	v_mul_f64_e32 v[60:61], v[10:11], v[60:61]
	v_add_f64_e32 v[12:13], v[12:13], v[90:91]
	v_add_f64_e32 v[4:5], v[4:5], v[50:51]
	s_wait_loadcnt_dscnt 0x600
	v_mul_f64_e32 v[50:51], v[42:43], v[64:65]
	v_mul_f64_e32 v[56:57], v[44:45], v[64:65]
	v_fmac_f64_e32 v[52:53], v[10:11], v[58:59]
	v_fma_f64 v[58:59], v[8:9], v[58:59], -v[60:61]
	ds_load_b128 v[8:11], v2 offset:368
	v_add_f64_e32 v[12:13], v[12:13], v[80:81]
	v_add_f64_e32 v[4:5], v[4:5], v[54:55]
	v_fmac_f64_e32 v[50:51], v[44:45], v[62:63]
	v_fma_f64 v[56:57], v[42:43], v[62:63], -v[56:57]
	ds_load_b128 v[42:45], v2 offset:384
	s_wait_loadcnt_dscnt 0x501
	v_mul_f64_e32 v[54:55], v[8:9], v[68:69]
	v_mul_f64_e32 v[60:61], v[10:11], v[68:69]
	v_add_f64_e32 v[12:13], v[12:13], v[52:53]
	v_add_f64_e32 v[4:5], v[4:5], v[58:59]
	s_wait_loadcnt_dscnt 0x400
	v_mul_f64_e32 v[52:53], v[42:43], v[72:73]
	v_mul_f64_e32 v[58:59], v[44:45], v[72:73]
	v_fmac_f64_e32 v[54:55], v[10:11], v[66:67]
	v_fma_f64 v[60:61], v[8:9], v[66:67], -v[60:61]
	ds_load_b128 v[8:11], v2 offset:400
	v_add_f64_e32 v[12:13], v[12:13], v[50:51]
	v_add_f64_e32 v[4:5], v[4:5], v[56:57]
	v_fmac_f64_e32 v[52:53], v[44:45], v[70:71]
	v_fma_f64 v[58:59], v[42:43], v[70:71], -v[58:59]
	ds_load_b128 v[42:45], v2 offset:416
	s_wait_loadcnt_dscnt 0x301
	v_mul_f64_e32 v[50:51], v[8:9], v[76:77]
	v_mul_f64_e32 v[56:57], v[10:11], v[76:77]
	v_add_f64_e32 v[12:13], v[12:13], v[54:55]
	v_add_f64_e32 v[4:5], v[4:5], v[60:61]
	s_wait_loadcnt_dscnt 0x200
	v_mul_f64_e32 v[54:55], v[42:43], v[84:85]
	v_mul_f64_e32 v[60:61], v[44:45], v[84:85]
	v_fmac_f64_e32 v[50:51], v[10:11], v[74:75]
	v_fma_f64 v[8:9], v[8:9], v[74:75], -v[56:57]
	v_add_f64_e32 v[12:13], v[12:13], v[52:53]
	v_add_f64_e32 v[10:11], v[4:5], v[58:59]
	ds_load_b128 v[2:5], v2 offset:432
	v_fmac_f64_e32 v[54:55], v[44:45], v[82:83]
	v_fma_f64 v[42:43], v[42:43], v[82:83], -v[60:61]
	s_wait_loadcnt_dscnt 0x100
	v_mul_f64_e32 v[52:53], v[2:3], v[88:89]
	v_mul_f64_e32 v[56:57], v[4:5], v[88:89]
	v_add_f64_e32 v[8:9], v[10:11], v[8:9]
	v_add_f64_e32 v[10:11], v[12:13], v[50:51]
	s_delay_alu instid0(VALU_DEP_4) | instskip(NEXT) | instid1(VALU_DEP_4)
	v_fmac_f64_e32 v[52:53], v[4:5], v[86:87]
	v_fma_f64 v[2:3], v[2:3], v[86:87], -v[56:57]
	s_delay_alu instid0(VALU_DEP_4) | instskip(NEXT) | instid1(VALU_DEP_4)
	v_add_f64_e32 v[4:5], v[8:9], v[42:43]
	v_add_f64_e32 v[8:9], v[10:11], v[54:55]
	s_delay_alu instid0(VALU_DEP_2) | instskip(NEXT) | instid1(VALU_DEP_2)
	v_add_f64_e32 v[2:3], v[4:5], v[2:3]
	v_add_f64_e32 v[4:5], v[8:9], v[52:53]
	s_wait_loadcnt 0x0
	s_delay_alu instid0(VALU_DEP_2) | instskip(NEXT) | instid1(VALU_DEP_2)
	v_add_f64_e64 v[2:3], v[46:47], -v[2:3]
	v_add_f64_e64 v[4:5], v[48:49], -v[4:5]
	scratch_store_b128 off, v[2:5], off offset:16
	s_wait_xcnt 0x0
	v_cmpx_ne_u32_e32 0, v1
	s_cbranch_execz .LBB77_97
; %bb.96:
	scratch_load_b128 v[2:5], off, off
	v_mov_b32_e32 v8, 0
	s_delay_alu instid0(VALU_DEP_1)
	v_dual_mov_b32 v9, v8 :: v_dual_mov_b32 v10, v8
	v_mov_b32_e32 v11, v8
	scratch_store_b128 off, v[8:11], off
	s_wait_loadcnt 0x0
	ds_store_b128 v6, v[2:5]
.LBB77_97:
	s_wait_xcnt 0x0
	s_or_b32 exec_lo, exec_lo, s2
	s_wait_storecnt_dscnt 0x0
	s_barrier_signal -1
	s_barrier_wait -1
	s_clause 0x8
	scratch_load_b128 v[2:5], off, off offset:16
	scratch_load_b128 v[6:9], off, off offset:32
	scratch_load_b128 v[10:13], off, off offset:48
	scratch_load_b128 v[42:45], off, off offset:64
	scratch_load_b128 v[50:53], off, off offset:80
	scratch_load_b128 v[54:57], off, off offset:96
	scratch_load_b128 v[58:61], off, off offset:112
	scratch_load_b128 v[62:65], off, off offset:128
	scratch_load_b128 v[66:69], off, off offset:144
	v_mov_b32_e32 v48, 0
	s_and_b32 vcc_lo, exec_lo, s25
	ds_load_b128 v[70:73], v48 offset:240
	s_clause 0x2
	scratch_load_b128 v[74:77], off, off offset:160
	scratch_load_b128 v[78:81], off, off
	scratch_load_b128 v[86:89], off, off offset:176
	s_wait_loadcnt_dscnt 0xb00
	v_mul_f64_e32 v[46:47], v[72:73], v[4:5]
	ds_load_b128 v[82:85], v48 offset:256
	v_mul_f64_e32 v[90:91], v[70:71], v[4:5]
	s_wait_loadcnt_dscnt 0xa00
	v_mul_f64_e32 v[92:93], v[82:83], v[8:9]
	v_mul_f64_e32 v[8:9], v[84:85], v[8:9]
	v_fma_f64 v[46:47], v[70:71], v[2:3], -v[46:47]
	s_delay_alu instid0(VALU_DEP_4)
	v_fmac_f64_e32 v[90:91], v[72:73], v[2:3]
	ds_load_b128 v[2:5], v48 offset:272
	ds_load_b128 v[70:73], v48 offset:288
	v_fmac_f64_e32 v[92:93], v[84:85], v[6:7]
	s_wait_loadcnt_dscnt 0x901
	v_mul_f64_e32 v[94:95], v[2:3], v[12:13]
	v_fma_f64 v[82:83], v[82:83], v[6:7], -v[8:9]
	v_mul_f64_e32 v[12:13], v[4:5], v[12:13]
	scratch_load_b128 v[6:9], off, off offset:192
	v_fmac_f64_e32 v[94:95], v[4:5], v[10:11]
	v_fma_f64 v[84:85], v[2:3], v[10:11], -v[12:13]
	scratch_load_b128 v[2:5], off, off offset:208
	v_add_f64_e32 v[10:11], 0, v[46:47]
	v_add_f64_e32 v[12:13], 0, v[90:91]
	s_wait_loadcnt_dscnt 0xa00
	v_mul_f64_e32 v[46:47], v[70:71], v[44:45]
	v_mul_f64_e32 v[44:45], v[72:73], v[44:45]
	s_delay_alu instid0(VALU_DEP_4) | instskip(NEXT) | instid1(VALU_DEP_4)
	v_add_f64_e32 v[82:83], v[10:11], v[82:83]
	v_add_f64_e32 v[90:91], v[12:13], v[92:93]
	ds_load_b128 v[10:13], v48 offset:304
	v_fmac_f64_e32 v[46:47], v[72:73], v[42:43]
	v_fma_f64 v[70:71], v[70:71], v[42:43], -v[44:45]
	ds_load_b128 v[42:45], v48 offset:320
	s_wait_loadcnt_dscnt 0x901
	v_mul_f64_e32 v[72:73], v[10:11], v[52:53]
	v_mul_f64_e32 v[52:53], v[12:13], v[52:53]
	v_add_f64_e32 v[82:83], v[82:83], v[84:85]
	v_add_f64_e32 v[84:85], v[90:91], v[94:95]
	s_wait_loadcnt_dscnt 0x800
	v_mul_f64_e32 v[90:91], v[42:43], v[56:57]
	v_mul_f64_e32 v[56:57], v[44:45], v[56:57]
	v_fmac_f64_e32 v[72:73], v[12:13], v[50:51]
	v_fma_f64 v[92:93], v[10:11], v[50:51], -v[52:53]
	ds_load_b128 v[10:13], v48 offset:336
	ds_load_b128 v[50:53], v48 offset:352
	v_add_f64_e32 v[70:71], v[82:83], v[70:71]
	v_add_f64_e32 v[46:47], v[84:85], v[46:47]
	v_fmac_f64_e32 v[90:91], v[44:45], v[54:55]
	v_fma_f64 v[42:43], v[42:43], v[54:55], -v[56:57]
	s_wait_loadcnt_dscnt 0x701
	v_mul_f64_e32 v[82:83], v[10:11], v[60:61]
	v_mul_f64_e32 v[60:61], v[12:13], v[60:61]
	s_wait_loadcnt_dscnt 0x600
	v_mul_f64_e32 v[54:55], v[50:51], v[64:65]
	v_mul_f64_e32 v[56:57], v[52:53], v[64:65]
	v_add_f64_e32 v[44:45], v[70:71], v[92:93]
	v_add_f64_e32 v[46:47], v[46:47], v[72:73]
	v_fmac_f64_e32 v[82:83], v[12:13], v[58:59]
	v_fma_f64 v[58:59], v[10:11], v[58:59], -v[60:61]
	v_fmac_f64_e32 v[54:55], v[52:53], v[62:63]
	v_fma_f64 v[50:51], v[50:51], v[62:63], -v[56:57]
	v_add_f64_e32 v[60:61], v[44:45], v[42:43]
	v_add_f64_e32 v[46:47], v[46:47], v[90:91]
	ds_load_b128 v[10:13], v48 offset:368
	ds_load_b128 v[42:45], v48 offset:384
	s_wait_loadcnt_dscnt 0x501
	v_mul_f64_e32 v[64:65], v[10:11], v[68:69]
	v_mul_f64_e32 v[68:69], v[12:13], v[68:69]
	s_wait_loadcnt_dscnt 0x400
	v_mul_f64_e32 v[56:57], v[42:43], v[76:77]
	v_add_f64_e32 v[52:53], v[60:61], v[58:59]
	v_add_f64_e32 v[46:47], v[46:47], v[82:83]
	v_mul_f64_e32 v[58:59], v[44:45], v[76:77]
	v_fmac_f64_e32 v[64:65], v[12:13], v[66:67]
	v_fma_f64 v[60:61], v[10:11], v[66:67], -v[68:69]
	v_fmac_f64_e32 v[56:57], v[44:45], v[74:75]
	v_add_f64_e32 v[62:63], v[52:53], v[50:51]
	v_add_f64_e32 v[46:47], v[46:47], v[54:55]
	ds_load_b128 v[10:13], v48 offset:400
	ds_load_b128 v[50:53], v48 offset:416
	v_fma_f64 v[42:43], v[42:43], v[74:75], -v[58:59]
	s_wait_loadcnt_dscnt 0x201
	v_mul_f64_e32 v[54:55], v[10:11], v[88:89]
	v_mul_f64_e32 v[66:67], v[12:13], v[88:89]
	v_add_f64_e32 v[44:45], v[62:63], v[60:61]
	v_add_f64_e32 v[46:47], v[46:47], v[64:65]
	s_delay_alu instid0(VALU_DEP_4) | instskip(NEXT) | instid1(VALU_DEP_4)
	v_fmac_f64_e32 v[54:55], v[12:13], v[86:87]
	v_fma_f64 v[12:13], v[10:11], v[86:87], -v[66:67]
	s_wait_loadcnt_dscnt 0x100
	v_mul_f64_e32 v[58:59], v[50:51], v[8:9]
	v_mul_f64_e32 v[60:61], v[52:53], v[8:9]
	v_add_f64_e32 v[42:43], v[44:45], v[42:43]
	v_add_f64_e32 v[44:45], v[46:47], v[56:57]
	ds_load_b128 v[8:11], v48 offset:432
	s_wait_loadcnt_dscnt 0x0
	v_mul_f64_e32 v[46:47], v[8:9], v[4:5]
	v_mul_f64_e32 v[4:5], v[10:11], v[4:5]
	v_fmac_f64_e32 v[58:59], v[52:53], v[6:7]
	v_fma_f64 v[6:7], v[50:51], v[6:7], -v[60:61]
	v_add_f64_e32 v[12:13], v[42:43], v[12:13]
	v_add_f64_e32 v[42:43], v[44:45], v[54:55]
	v_lshl_add_u64 v[44:45], v[20:21], 4, s[4:5]
	v_lshl_add_u64 v[20:21], v[26:27], 4, s[4:5]
	v_fmac_f64_e32 v[46:47], v[10:11], v[2:3]
	v_fma_f64 v[2:3], v[8:9], v[2:3], -v[4:5]
	v_lshl_add_u64 v[10:11], v[32:33], 4, s[4:5]
	v_lshl_add_u64 v[8:9], v[34:35], 4, s[4:5]
	v_add_f64_e32 v[4:5], v[12:13], v[6:7]
	v_add_f64_e32 v[6:7], v[42:43], v[58:59]
	v_lshl_add_u64 v[42:43], v[22:23], 4, s[4:5]
	v_lshl_add_u64 v[22:23], v[24:25], 4, s[4:5]
	;; [unrolled: 1-line block ×3, first 2 shown]
	v_add_f64_e32 v[2:3], v[4:5], v[2:3]
	v_add_f64_e32 v[4:5], v[6:7], v[46:47]
	v_lshl_add_u64 v[46:47], v[18:19], 4, s[4:5]
	v_lshl_add_u64 v[18:19], v[28:29], 4, s[4:5]
	;; [unrolled: 1-line block ×3, first 2 shown]
	v_add_f64_e64 v[50:51], v[78:79], -v[2:3]
	v_add_f64_e64 v[52:53], v[80:81], -v[4:5]
	v_lshl_add_u64 v[4:5], v[38:39], 4, s[4:5]
	v_lshl_add_u64 v[2:3], v[40:41], 4, s[4:5]
	scratch_store_b128 off, v[50:53], off
	s_cbranch_vccz .LBB77_124
; %bb.98:
	global_load_b32 v24, v48, s[8:9] offset:48
	s_load_b64 s[2:3], s[0:1], 0x4
	v_bfe_u32 v25, v0, 10, 10
	v_bfe_u32 v0, v0, 20, 10
	s_wait_kmcnt 0x0
	s_lshr_b32 s0, s2, 16
	s_delay_alu instid0(VALU_DEP_2) | instskip(SKIP_1) | instid1(SALU_CYCLE_1)
	v_mul_u32_u24_e32 v25, s3, v25
	s_mul_i32 s0, s0, s3
	v_mul_u32_u24_e32 v1, s0, v1
	s_delay_alu instid0(VALU_DEP_1) | instskip(NEXT) | instid1(VALU_DEP_1)
	v_add3_u32 v0, v1, v25, v0
	v_lshl_add_u32 v0, v0, 4, 0x1c8
	s_wait_loadcnt 0x0
	v_cmp_ne_u32_e32 vcc_lo, 13, v24
	s_cbranch_vccz .LBB77_100
; %bb.99:
	v_lshlrev_b32_e32 v1, 4, v24
	s_clause 0x1
	scratch_load_b128 v[24:27], off, s22
	scratch_load_b128 v[28:31], v1, off offset:-16
	s_wait_loadcnt 0x1
	ds_store_2addr_b64 v0, v[24:25], v[26:27] offset1:1
	s_wait_loadcnt 0x0
	s_clause 0x1
	scratch_store_b128 off, v[28:31], s22
	scratch_store_b128 v1, v[24:27], off offset:-16
.LBB77_100:
	s_wait_xcnt 0x0
	v_mov_b32_e32 v1, 0
	global_load_b32 v24, v1, s[8:9] offset:44
	s_wait_loadcnt 0x0
	v_cmp_eq_u32_e32 vcc_lo, 12, v24
	s_cbranch_vccnz .LBB77_102
; %bb.101:
	v_lshlrev_b32_e32 v24, 4, v24
	s_delay_alu instid0(VALU_DEP_1)
	v_mov_b32_e32 v32, v24
	s_clause 0x1
	scratch_load_b128 v[24:27], off, s15
	scratch_load_b128 v[28:31], v32, off offset:-16
	s_wait_loadcnt 0x1
	ds_store_2addr_b64 v0, v[24:25], v[26:27] offset1:1
	s_wait_loadcnt 0x0
	s_clause 0x1
	scratch_store_b128 off, v[28:31], s15
	scratch_store_b128 v32, v[24:27], off offset:-16
.LBB77_102:
	global_load_b32 v1, v1, s[8:9] offset:40
	s_wait_loadcnt 0x0
	v_cmp_eq_u32_e32 vcc_lo, 11, v1
	s_cbranch_vccnz .LBB77_104
; %bb.103:
	s_wait_xcnt 0x0
	v_lshlrev_b32_e32 v1, 4, v1
	s_clause 0x1
	scratch_load_b128 v[24:27], off, s21
	scratch_load_b128 v[28:31], v1, off offset:-16
	s_wait_loadcnt 0x1
	ds_store_2addr_b64 v0, v[24:25], v[26:27] offset1:1
	s_wait_loadcnt 0x0
	s_clause 0x1
	scratch_store_b128 off, v[28:31], s21
	scratch_store_b128 v1, v[24:27], off offset:-16
.LBB77_104:
	s_wait_xcnt 0x0
	v_mov_b32_e32 v1, 0
	global_load_b32 v24, v1, s[8:9] offset:36
	s_wait_loadcnt 0x0
	v_cmp_eq_u32_e32 vcc_lo, 10, v24
	s_cbranch_vccnz .LBB77_106
; %bb.105:
	v_lshlrev_b32_e32 v24, 4, v24
	s_delay_alu instid0(VALU_DEP_1)
	v_mov_b32_e32 v32, v24
	s_clause 0x1
	scratch_load_b128 v[24:27], off, s14
	scratch_load_b128 v[28:31], v32, off offset:-16
	s_wait_loadcnt 0x1
	ds_store_2addr_b64 v0, v[24:25], v[26:27] offset1:1
	s_wait_loadcnt 0x0
	s_clause 0x1
	scratch_store_b128 off, v[28:31], s14
	scratch_store_b128 v32, v[24:27], off offset:-16
.LBB77_106:
	global_load_b32 v1, v1, s[8:9] offset:32
	s_wait_loadcnt 0x0
	v_cmp_eq_u32_e32 vcc_lo, 9, v1
	s_cbranch_vccnz .LBB77_108
; %bb.107:
	s_wait_xcnt 0x0
	v_lshlrev_b32_e32 v1, 4, v1
	s_clause 0x1
	scratch_load_b128 v[24:27], off, s20
	scratch_load_b128 v[28:31], v1, off offset:-16
	s_wait_loadcnt 0x1
	ds_store_2addr_b64 v0, v[24:25], v[26:27] offset1:1
	s_wait_loadcnt 0x0
	s_clause 0x1
	scratch_store_b128 off, v[28:31], s20
	scratch_store_b128 v1, v[24:27], off offset:-16
.LBB77_108:
	s_wait_xcnt 0x0
	v_mov_b32_e32 v1, 0
	global_load_b32 v24, v1, s[8:9] offset:28
	s_wait_loadcnt 0x0
	v_cmp_eq_u32_e32 vcc_lo, 8, v24
	s_cbranch_vccnz .LBB77_110
; %bb.109:
	v_lshlrev_b32_e32 v24, 4, v24
	s_delay_alu instid0(VALU_DEP_1)
	v_mov_b32_e32 v32, v24
	s_clause 0x1
	scratch_load_b128 v[24:27], off, s13
	scratch_load_b128 v[28:31], v32, off offset:-16
	s_wait_loadcnt 0x1
	ds_store_2addr_b64 v0, v[24:25], v[26:27] offset1:1
	s_wait_loadcnt 0x0
	s_clause 0x1
	scratch_store_b128 off, v[28:31], s13
	scratch_store_b128 v32, v[24:27], off offset:-16
.LBB77_110:
	global_load_b32 v1, v1, s[8:9] offset:24
	s_wait_loadcnt 0x0
	v_cmp_eq_u32_e32 vcc_lo, 7, v1
	s_cbranch_vccnz .LBB77_112
; %bb.111:
	s_wait_xcnt 0x0
	v_lshlrev_b32_e32 v1, 4, v1
	s_clause 0x1
	scratch_load_b128 v[24:27], off, s19
	scratch_load_b128 v[28:31], v1, off offset:-16
	s_wait_loadcnt 0x1
	ds_store_2addr_b64 v0, v[24:25], v[26:27] offset1:1
	s_wait_loadcnt 0x0
	s_clause 0x1
	scratch_store_b128 off, v[28:31], s19
	scratch_store_b128 v1, v[24:27], off offset:-16
.LBB77_112:
	s_wait_xcnt 0x0
	v_mov_b32_e32 v1, 0
	global_load_b32 v24, v1, s[8:9] offset:20
	s_wait_loadcnt 0x0
	v_cmp_eq_u32_e32 vcc_lo, 6, v24
	s_cbranch_vccnz .LBB77_114
; %bb.113:
	v_lshlrev_b32_e32 v24, 4, v24
	s_delay_alu instid0(VALU_DEP_1)
	v_mov_b32_e32 v32, v24
	s_clause 0x1
	scratch_load_b128 v[24:27], off, s12
	scratch_load_b128 v[28:31], v32, off offset:-16
	s_wait_loadcnt 0x1
	ds_store_2addr_b64 v0, v[24:25], v[26:27] offset1:1
	s_wait_loadcnt 0x0
	s_clause 0x1
	scratch_store_b128 off, v[28:31], s12
	scratch_store_b128 v32, v[24:27], off offset:-16
.LBB77_114:
	global_load_b32 v1, v1, s[8:9] offset:16
	s_wait_loadcnt 0x0
	v_cmp_eq_u32_e32 vcc_lo, 5, v1
	s_cbranch_vccnz .LBB77_116
; %bb.115:
	s_wait_xcnt 0x0
	v_lshlrev_b32_e32 v1, 4, v1
	s_clause 0x1
	scratch_load_b128 v[24:27], off, s18
	scratch_load_b128 v[28:31], v1, off offset:-16
	s_wait_loadcnt 0x1
	ds_store_2addr_b64 v0, v[24:25], v[26:27] offset1:1
	s_wait_loadcnt 0x0
	s_clause 0x1
	scratch_store_b128 off, v[28:31], s18
	scratch_store_b128 v1, v[24:27], off offset:-16
.LBB77_116:
	s_wait_xcnt 0x0
	v_mov_b32_e32 v1, 0
	global_load_b32 v24, v1, s[8:9] offset:12
	s_wait_loadcnt 0x0
	v_cmp_eq_u32_e32 vcc_lo, 4, v24
	s_cbranch_vccnz .LBB77_118
; %bb.117:
	v_lshlrev_b32_e32 v24, 4, v24
	s_delay_alu instid0(VALU_DEP_1)
	v_mov_b32_e32 v32, v24
	s_clause 0x1
	scratch_load_b128 v[24:27], off, s17
	scratch_load_b128 v[28:31], v32, off offset:-16
	s_wait_loadcnt 0x1
	ds_store_2addr_b64 v0, v[24:25], v[26:27] offset1:1
	s_wait_loadcnt 0x0
	s_clause 0x1
	scratch_store_b128 off, v[28:31], s17
	scratch_store_b128 v32, v[24:27], off offset:-16
.LBB77_118:
	global_load_b32 v1, v1, s[8:9] offset:8
	s_wait_loadcnt 0x0
	v_cmp_eq_u32_e32 vcc_lo, 3, v1
	s_cbranch_vccnz .LBB77_120
; %bb.119:
	s_wait_xcnt 0x0
	v_lshlrev_b32_e32 v1, 4, v1
	s_clause 0x1
	scratch_load_b128 v[24:27], off, s23
	scratch_load_b128 v[28:31], v1, off offset:-16
	s_wait_loadcnt 0x1
	ds_store_2addr_b64 v0, v[24:25], v[26:27] offset1:1
	s_wait_loadcnt 0x0
	s_clause 0x1
	scratch_store_b128 off, v[28:31], s23
	scratch_store_b128 v1, v[24:27], off offset:-16
.LBB77_120:
	s_wait_xcnt 0x0
	v_mov_b32_e32 v1, 0
	global_load_b32 v24, v1, s[8:9] offset:4
	s_wait_loadcnt 0x0
	v_cmp_eq_u32_e32 vcc_lo, 2, v24
	s_cbranch_vccnz .LBB77_122
; %bb.121:
	v_lshlrev_b32_e32 v24, 4, v24
	s_delay_alu instid0(VALU_DEP_1)
	v_mov_b32_e32 v32, v24
	s_clause 0x1
	scratch_load_b128 v[24:27], off, s24
	scratch_load_b128 v[28:31], v32, off offset:-16
	s_wait_loadcnt 0x1
	ds_store_2addr_b64 v0, v[24:25], v[26:27] offset1:1
	s_wait_loadcnt 0x0
	s_clause 0x1
	scratch_store_b128 off, v[28:31], s24
	scratch_store_b128 v32, v[24:27], off offset:-16
.LBB77_122:
	global_load_b32 v1, v1, s[8:9]
	s_wait_loadcnt 0x0
	v_cmp_eq_u32_e32 vcc_lo, 1, v1
	s_cbranch_vccnz .LBB77_124
; %bb.123:
	s_wait_xcnt 0x0
	v_lshlrev_b32_e32 v1, 4, v1
	scratch_load_b128 v[24:27], off, off
	scratch_load_b128 v[28:31], v1, off offset:-16
	s_wait_loadcnt 0x1
	ds_store_2addr_b64 v0, v[24:25], v[26:27] offset1:1
	s_wait_loadcnt 0x0
	scratch_store_b128 off, v[28:31], off
	scratch_store_b128 v1, v[24:27], off offset:-16
.LBB77_124:
	scratch_load_b128 v[24:27], off, off
	s_wait_loadcnt 0x0
	flat_store_b128 v[14:15], v[24:27]
	scratch_load_b128 v[24:27], off, s24
	s_wait_loadcnt 0x0
	flat_store_b128 v[16:17], v[24:27]
	scratch_load_b128 v[14:17], off, s23
	s_wait_loadcnt 0x0
	flat_store_b128 v[46:47], v[14:17]
	scratch_load_b128 v[14:17], off, s17
	s_wait_loadcnt 0x0
	flat_store_b128 v[44:45], v[14:17]
	scratch_load_b128 v[14:17], off, s18
	s_wait_loadcnt 0x0
	flat_store_b128 v[42:43], v[14:17]
	scratch_load_b128 v[14:17], off, s12
	s_wait_loadcnt 0x0
	flat_store_b128 v[22:23], v[14:17]
	scratch_load_b128 v[14:17], off, s19
	s_wait_loadcnt 0x0
	flat_store_b128 v[20:21], v[14:17]
	scratch_load_b128 v[14:17], off, s13
	s_wait_loadcnt 0x0
	flat_store_b128 v[18:19], v[14:17]
	scratch_load_b128 v[14:17], off, s20
	s_wait_loadcnt 0x0
	flat_store_b128 v[12:13], v[14:17]
	scratch_load_b128 v[12:15], off, s14
	s_wait_loadcnt 0x0
	flat_store_b128 v[10:11], v[12:15]
	scratch_load_b128 v[10:13], off, s21
	s_wait_loadcnt 0x0
	flat_store_b128 v[8:9], v[10:13]
	scratch_load_b128 v[8:11], off, s15
	s_wait_loadcnt 0x0
	flat_store_b128 v[6:7], v[8:11]
	scratch_load_b128 v[6:9], off, s22
	s_wait_loadcnt 0x0
	flat_store_b128 v[4:5], v[6:9]
	scratch_load_b128 v[4:7], off, s16
	s_wait_loadcnt 0x0
	flat_store_b128 v[2:3], v[4:7]
	s_sendmsg sendmsg(MSG_DEALLOC_VGPRS)
	s_endpgm
	.section	.rodata,"a",@progbits
	.p2align	6, 0x0
	.amdhsa_kernel _ZN9rocsolver6v33100L18getri_kernel_smallILi14E19rocblas_complex_numIdEPKPS3_EEvT1_iilPiilS8_bb
		.amdhsa_group_segment_fixed_size 1480
		.amdhsa_private_segment_fixed_size 240
		.amdhsa_kernarg_size 60
		.amdhsa_user_sgpr_count 4
		.amdhsa_user_sgpr_dispatch_ptr 1
		.amdhsa_user_sgpr_queue_ptr 0
		.amdhsa_user_sgpr_kernarg_segment_ptr 1
		.amdhsa_user_sgpr_dispatch_id 0
		.amdhsa_user_sgpr_kernarg_preload_length 0
		.amdhsa_user_sgpr_kernarg_preload_offset 0
		.amdhsa_user_sgpr_private_segment_size 0
		.amdhsa_wavefront_size32 1
		.amdhsa_uses_dynamic_stack 0
		.amdhsa_enable_private_segment 1
		.amdhsa_system_sgpr_workgroup_id_x 1
		.amdhsa_system_sgpr_workgroup_id_y 0
		.amdhsa_system_sgpr_workgroup_id_z 0
		.amdhsa_system_sgpr_workgroup_info 0
		.amdhsa_system_vgpr_workitem_id 2
		.amdhsa_next_free_vgpr 96
		.amdhsa_next_free_sgpr 29
		.amdhsa_named_barrier_count 0
		.amdhsa_reserve_vcc 1
		.amdhsa_float_round_mode_32 0
		.amdhsa_float_round_mode_16_64 0
		.amdhsa_float_denorm_mode_32 3
		.amdhsa_float_denorm_mode_16_64 3
		.amdhsa_fp16_overflow 0
		.amdhsa_memory_ordered 1
		.amdhsa_forward_progress 1
		.amdhsa_inst_pref_size 109
		.amdhsa_round_robin_scheduling 0
		.amdhsa_exception_fp_ieee_invalid_op 0
		.amdhsa_exception_fp_denorm_src 0
		.amdhsa_exception_fp_ieee_div_zero 0
		.amdhsa_exception_fp_ieee_overflow 0
		.amdhsa_exception_fp_ieee_underflow 0
		.amdhsa_exception_fp_ieee_inexact 0
		.amdhsa_exception_int_div_zero 0
	.end_amdhsa_kernel
	.section	.text._ZN9rocsolver6v33100L18getri_kernel_smallILi14E19rocblas_complex_numIdEPKPS3_EEvT1_iilPiilS8_bb,"axG",@progbits,_ZN9rocsolver6v33100L18getri_kernel_smallILi14E19rocblas_complex_numIdEPKPS3_EEvT1_iilPiilS8_bb,comdat
.Lfunc_end77:
	.size	_ZN9rocsolver6v33100L18getri_kernel_smallILi14E19rocblas_complex_numIdEPKPS3_EEvT1_iilPiilS8_bb, .Lfunc_end77-_ZN9rocsolver6v33100L18getri_kernel_smallILi14E19rocblas_complex_numIdEPKPS3_EEvT1_iilPiilS8_bb
                                        ; -- End function
	.set _ZN9rocsolver6v33100L18getri_kernel_smallILi14E19rocblas_complex_numIdEPKPS3_EEvT1_iilPiilS8_bb.num_vgpr, 96
	.set _ZN9rocsolver6v33100L18getri_kernel_smallILi14E19rocblas_complex_numIdEPKPS3_EEvT1_iilPiilS8_bb.num_agpr, 0
	.set _ZN9rocsolver6v33100L18getri_kernel_smallILi14E19rocblas_complex_numIdEPKPS3_EEvT1_iilPiilS8_bb.numbered_sgpr, 29
	.set _ZN9rocsolver6v33100L18getri_kernel_smallILi14E19rocblas_complex_numIdEPKPS3_EEvT1_iilPiilS8_bb.num_named_barrier, 0
	.set _ZN9rocsolver6v33100L18getri_kernel_smallILi14E19rocblas_complex_numIdEPKPS3_EEvT1_iilPiilS8_bb.private_seg_size, 240
	.set _ZN9rocsolver6v33100L18getri_kernel_smallILi14E19rocblas_complex_numIdEPKPS3_EEvT1_iilPiilS8_bb.uses_vcc, 1
	.set _ZN9rocsolver6v33100L18getri_kernel_smallILi14E19rocblas_complex_numIdEPKPS3_EEvT1_iilPiilS8_bb.uses_flat_scratch, 1
	.set _ZN9rocsolver6v33100L18getri_kernel_smallILi14E19rocblas_complex_numIdEPKPS3_EEvT1_iilPiilS8_bb.has_dyn_sized_stack, 0
	.set _ZN9rocsolver6v33100L18getri_kernel_smallILi14E19rocblas_complex_numIdEPKPS3_EEvT1_iilPiilS8_bb.has_recursion, 0
	.set _ZN9rocsolver6v33100L18getri_kernel_smallILi14E19rocblas_complex_numIdEPKPS3_EEvT1_iilPiilS8_bb.has_indirect_call, 0
	.section	.AMDGPU.csdata,"",@progbits
; Kernel info:
; codeLenInByte = 13856
; TotalNumSgprs: 31
; NumVgprs: 96
; ScratchSize: 240
; MemoryBound: 0
; FloatMode: 240
; IeeeMode: 1
; LDSByteSize: 1480 bytes/workgroup (compile time only)
; SGPRBlocks: 0
; VGPRBlocks: 5
; NumSGPRsForWavesPerEU: 31
; NumVGPRsForWavesPerEU: 96
; NamedBarCnt: 0
; Occupancy: 10
; WaveLimiterHint : 1
; COMPUTE_PGM_RSRC2:SCRATCH_EN: 1
; COMPUTE_PGM_RSRC2:USER_SGPR: 4
; COMPUTE_PGM_RSRC2:TRAP_HANDLER: 0
; COMPUTE_PGM_RSRC2:TGID_X_EN: 1
; COMPUTE_PGM_RSRC2:TGID_Y_EN: 0
; COMPUTE_PGM_RSRC2:TGID_Z_EN: 0
; COMPUTE_PGM_RSRC2:TIDIG_COMP_CNT: 2
	.section	.text._ZN9rocsolver6v33100L18getri_kernel_smallILi15E19rocblas_complex_numIdEPKPS3_EEvT1_iilPiilS8_bb,"axG",@progbits,_ZN9rocsolver6v33100L18getri_kernel_smallILi15E19rocblas_complex_numIdEPKPS3_EEvT1_iilPiilS8_bb,comdat
	.globl	_ZN9rocsolver6v33100L18getri_kernel_smallILi15E19rocblas_complex_numIdEPKPS3_EEvT1_iilPiilS8_bb ; -- Begin function _ZN9rocsolver6v33100L18getri_kernel_smallILi15E19rocblas_complex_numIdEPKPS3_EEvT1_iilPiilS8_bb
	.p2align	8
	.type	_ZN9rocsolver6v33100L18getri_kernel_smallILi15E19rocblas_complex_numIdEPKPS3_EEvT1_iilPiilS8_bb,@function
_ZN9rocsolver6v33100L18getri_kernel_smallILi15E19rocblas_complex_numIdEPKPS3_EEvT1_iilPiilS8_bb: ; @_ZN9rocsolver6v33100L18getri_kernel_smallILi15E19rocblas_complex_numIdEPKPS3_EEvT1_iilPiilS8_bb
; %bb.0:
	v_and_b32_e32 v1, 0x3ff, v0
	s_mov_b32 s4, exec_lo
	s_delay_alu instid0(VALU_DEP_1)
	v_cmpx_gt_u32_e32 15, v1
	s_cbranch_execz .LBB78_74
; %bb.1:
	s_clause 0x1
	s_load_b32 s14, s[2:3], 0x38
	s_load_b64 s[8:9], s[2:3], 0x0
	s_getreg_b32 s6, hwreg(HW_REG_IB_STS2, 6, 4)
	s_wait_kmcnt 0x0
	s_bitcmp1_b32 s14, 8
	s_cselect_b32 s26, -1, 0
	s_bfe_u32 s4, ttmp6, 0x4000c
	s_and_b32 s5, ttmp6, 15
	s_add_co_i32 s4, s4, 1
	s_delay_alu instid0(SALU_CYCLE_1) | instskip(NEXT) | instid1(SALU_CYCLE_1)
	s_mul_i32 s4, ttmp9, s4
	s_add_co_i32 s5, s5, s4
	s_cmp_eq_u32 s6, 0
	s_cselect_b32 s10, ttmp9, s5
	s_load_b128 s[4:7], s[2:3], 0x28
	s_ashr_i32 s11, s10, 31
	s_delay_alu instid0(SALU_CYCLE_1) | instskip(NEXT) | instid1(SALU_CYCLE_1)
	s_lshl_b64 s[12:13], s[10:11], 3
	s_add_nc_u64 s[8:9], s[8:9], s[12:13]
	s_load_b64 s[12:13], s[8:9], 0x0
	s_wait_xcnt 0x0
	s_bfe_u32 s8, s14, 0x10008
	s_delay_alu instid0(SALU_CYCLE_1)
	s_cmp_eq_u32 s8, 0
                                        ; implicit-def: $sgpr8_sgpr9
	s_cbranch_scc1 .LBB78_3
; %bb.2:
	s_load_b96 s[16:18], s[2:3], 0x18
	s_wait_kmcnt 0x0
	s_mul_u64 s[4:5], s[4:5], s[10:11]
	s_delay_alu instid0(SALU_CYCLE_1) | instskip(SKIP_4) | instid1(SALU_CYCLE_1)
	s_lshl_b64 s[4:5], s[4:5], 2
	s_ashr_i32 s9, s18, 31
	s_mov_b32 s8, s18
	s_add_nc_u64 s[4:5], s[16:17], s[4:5]
	s_lshl_b64 s[8:9], s[8:9], 2
	s_add_nc_u64 s[8:9], s[4:5], s[8:9]
.LBB78_3:
	s_clause 0x1
	s_load_b64 s[14:15], s[2:3], 0x8
	s_load_b32 s27, s[2:3], 0x38
	v_dual_mov_b32 v45, 0 :: v_dual_lshlrev_b32 v44, 4, v1
	s_mov_b32 s25, 16
	s_mov_b32 s24, 32
	;; [unrolled: 1-line block ×3, first 2 shown]
	s_movk_i32 s19, 0x50
	s_movk_i32 s20, 0x70
	s_movk_i32 s21, 0x90
	s_movk_i32 s22, 0xb0
	s_movk_i32 s16, 0xc0
	s_movk_i32 s23, 0xd0
	s_movk_i32 s17, 0xe0
	s_wait_kmcnt 0x0
	s_ashr_i32 s3, s14, 31
	s_mov_b32 s2, s14
	v_add3_u32 v18, s15, s15, v1
	s_lshl_b64 s[2:3], s[2:3], 4
	s_movk_i32 s14, 0x80
	s_add_nc_u64 s[4:5], s[12:13], s[2:3]
	s_ashr_i32 s3, s15, 31
	flat_load_b128 v[2:5], v1, s[4:5] scale_offset
	v_add_nc_u64_e32 v[14:15], s[4:5], v[44:45]
	s_mov_b32 s2, s15
	v_add_nc_u32_e32 v20, s15, v18
	s_mov_b32 s12, 64
	s_movk_i32 s13, 0x60
	s_bitcmp0_b32 s27, 0
	s_delay_alu instid0(VALU_DEP_2) | instskip(SKIP_2) | instid1(VALU_DEP_1)
	v_lshl_add_u64 v[16:17], s[2:3], 4, v[14:15]
	v_add_nc_u32_e32 v22, s15, v20
	s_mov_b32 s3, -1
	v_add_nc_u32_e32 v24, s15, v22
	s_delay_alu instid0(VALU_DEP_1) | instskip(NEXT) | instid1(VALU_DEP_1)
	v_add_nc_u32_e32 v26, s15, v24
	v_add_nc_u32_e32 v28, s15, v26
	s_delay_alu instid0(VALU_DEP_1) | instskip(NEXT) | instid1(VALU_DEP_1)
	v_add_nc_u32_e32 v30, s15, v28
	;; [unrolled: 3-line block ×4, first 2 shown]
	v_add_nc_u32_e32 v40, s15, v38
	s_delay_alu instid0(VALU_DEP_1)
	v_add_nc_u32_e32 v42, s15, v40
	s_movk_i32 s15, 0xa0
	s_wait_loadcnt_dscnt 0x0
	scratch_store_b128 off, v[2:5], off
	flat_load_b128 v[2:5], v[16:17]
	s_wait_loadcnt_dscnt 0x0
	scratch_store_b128 off, v[2:5], off offset:16
	flat_load_b128 v[2:5], v18, s[4:5] scale_offset
	s_wait_loadcnt_dscnt 0x0
	scratch_store_b128 off, v[2:5], off offset:32
	flat_load_b128 v[2:5], v20, s[4:5] scale_offset
	;; [unrolled: 3-line block ×13, first 2 shown]
	s_wait_loadcnt_dscnt 0x0
	scratch_store_b128 off, v[2:5], off offset:224
	s_cbranch_scc1 .LBB78_72
; %bb.4:
	v_cmp_eq_u32_e64 s2, 0, v1
	s_wait_xcnt 0x0
	s_and_saveexec_b32 s3, s2
; %bb.5:
	v_mov_b32_e32 v2, 0
	ds_store_b32 v2, v2 offset:480
; %bb.6:
	s_or_b32 exec_lo, exec_lo, s3
	s_wait_storecnt_dscnt 0x0
	s_barrier_signal -1
	s_barrier_wait -1
	scratch_load_b128 v[2:5], v1, off scale_offset
	s_wait_loadcnt 0x0
	v_cmp_eq_f64_e32 vcc_lo, 0, v[2:3]
	v_cmp_eq_f64_e64 s3, 0, v[4:5]
	s_and_b32 s3, vcc_lo, s3
	s_delay_alu instid0(SALU_CYCLE_1)
	s_and_saveexec_b32 s27, s3
	s_cbranch_execz .LBB78_10
; %bb.7:
	v_mov_b32_e32 v2, 0
	s_mov_b32 s28, 0
	ds_load_b32 v3, v2 offset:480
	s_wait_dscnt 0x0
	v_readfirstlane_b32 s3, v3
	v_add_nc_u32_e32 v3, 1, v1
	s_cmp_eq_u32 s3, 0
	s_delay_alu instid0(VALU_DEP_1) | instskip(SKIP_1) | instid1(SALU_CYCLE_1)
	v_cmp_gt_i32_e32 vcc_lo, s3, v3
	s_cselect_b32 s29, -1, 0
	s_or_b32 s29, s29, vcc_lo
	s_delay_alu instid0(SALU_CYCLE_1)
	s_and_b32 exec_lo, exec_lo, s29
	s_cbranch_execz .LBB78_10
; %bb.8:
	v_mov_b32_e32 v4, s3
.LBB78_9:                               ; =>This Inner Loop Header: Depth=1
	ds_cmpstore_rtn_b32 v4, v2, v3, v4 offset:480
	s_wait_dscnt 0x0
	v_cmp_ne_u32_e32 vcc_lo, 0, v4
	v_cmp_le_i32_e64 s3, v4, v3
	s_and_b32 s3, vcc_lo, s3
	s_delay_alu instid0(SALU_CYCLE_1) | instskip(NEXT) | instid1(SALU_CYCLE_1)
	s_and_b32 s3, exec_lo, s3
	s_or_b32 s28, s3, s28
	s_delay_alu instid0(SALU_CYCLE_1)
	s_and_not1_b32 exec_lo, exec_lo, s28
	s_cbranch_execnz .LBB78_9
.LBB78_10:
	s_or_b32 exec_lo, exec_lo, s27
	v_mov_b32_e32 v2, 0
	s_barrier_signal -1
	s_barrier_wait -1
	ds_load_b32 v3, v2 offset:480
	s_and_saveexec_b32 s3, s2
	s_cbranch_execz .LBB78_12
; %bb.11:
	s_lshl_b64 s[28:29], s[10:11], 2
	s_delay_alu instid0(SALU_CYCLE_1)
	s_add_nc_u64 s[28:29], s[6:7], s[28:29]
	s_wait_dscnt 0x0
	global_store_b32 v2, v3, s[28:29]
.LBB78_12:
	s_wait_xcnt 0x0
	s_or_b32 exec_lo, exec_lo, s3
	s_wait_dscnt 0x0
	v_cmp_ne_u32_e32 vcc_lo, 0, v3
	s_mov_b32 s3, 0
	s_cbranch_vccnz .LBB78_72
; %bb.13:
	v_lshl_add_u32 v19, v1, 4, 0
                                        ; implicit-def: $vgpr6_vgpr7
                                        ; implicit-def: $vgpr10_vgpr11
	scratch_load_b128 v[2:5], v19, off
	s_wait_loadcnt 0x0
	v_cmp_ngt_f64_e64 s3, |v[2:3]|, |v[4:5]|
	s_wait_xcnt 0x0
	s_and_saveexec_b32 s27, s3
	s_delay_alu instid0(SALU_CYCLE_1)
	s_xor_b32 s3, exec_lo, s27
	s_cbranch_execz .LBB78_15
; %bb.14:
	v_div_scale_f64 v[6:7], null, v[4:5], v[4:5], v[2:3]
	v_div_scale_f64 v[12:13], vcc_lo, v[2:3], v[4:5], v[2:3]
	s_delay_alu instid0(VALU_DEP_2) | instskip(SKIP_1) | instid1(TRANS32_DEP_1)
	v_rcp_f64_e32 v[8:9], v[6:7]
	v_nop
	v_fma_f64 v[10:11], -v[6:7], v[8:9], 1.0
	s_delay_alu instid0(VALU_DEP_1) | instskip(NEXT) | instid1(VALU_DEP_1)
	v_fmac_f64_e32 v[8:9], v[8:9], v[10:11]
	v_fma_f64 v[10:11], -v[6:7], v[8:9], 1.0
	s_delay_alu instid0(VALU_DEP_1) | instskip(NEXT) | instid1(VALU_DEP_1)
	v_fmac_f64_e32 v[8:9], v[8:9], v[10:11]
	v_mul_f64_e32 v[10:11], v[12:13], v[8:9]
	s_delay_alu instid0(VALU_DEP_1) | instskip(NEXT) | instid1(VALU_DEP_1)
	v_fma_f64 v[6:7], -v[6:7], v[10:11], v[12:13]
	v_div_fmas_f64 v[6:7], v[6:7], v[8:9], v[10:11]
	s_delay_alu instid0(VALU_DEP_1) | instskip(NEXT) | instid1(VALU_DEP_1)
	v_div_fixup_f64 v[6:7], v[6:7], v[4:5], v[2:3]
	v_fmac_f64_e32 v[4:5], v[2:3], v[6:7]
	s_delay_alu instid0(VALU_DEP_1) | instskip(SKIP_1) | instid1(VALU_DEP_2)
	v_div_scale_f64 v[2:3], null, v[4:5], v[4:5], 1.0
	v_div_scale_f64 v[12:13], vcc_lo, 1.0, v[4:5], 1.0
	v_rcp_f64_e32 v[8:9], v[2:3]
	v_nop
	s_delay_alu instid0(TRANS32_DEP_1) | instskip(NEXT) | instid1(VALU_DEP_1)
	v_fma_f64 v[10:11], -v[2:3], v[8:9], 1.0
	v_fmac_f64_e32 v[8:9], v[8:9], v[10:11]
	s_delay_alu instid0(VALU_DEP_1) | instskip(NEXT) | instid1(VALU_DEP_1)
	v_fma_f64 v[10:11], -v[2:3], v[8:9], 1.0
	v_fmac_f64_e32 v[8:9], v[8:9], v[10:11]
	s_delay_alu instid0(VALU_DEP_1) | instskip(NEXT) | instid1(VALU_DEP_1)
	v_mul_f64_e32 v[10:11], v[12:13], v[8:9]
	v_fma_f64 v[2:3], -v[2:3], v[10:11], v[12:13]
	s_delay_alu instid0(VALU_DEP_1) | instskip(NEXT) | instid1(VALU_DEP_1)
	v_div_fmas_f64 v[2:3], v[2:3], v[8:9], v[10:11]
	v_div_fixup_f64 v[8:9], v[2:3], v[4:5], 1.0
                                        ; implicit-def: $vgpr2_vgpr3
	s_delay_alu instid0(VALU_DEP_1) | instskip(SKIP_1) | instid1(VALU_DEP_2)
	v_mul_f64_e32 v[6:7], v[6:7], v[8:9]
	v_xor_b32_e32 v9, 0x80000000, v9
	v_xor_b32_e32 v11, 0x80000000, v7
	s_delay_alu instid0(VALU_DEP_3)
	v_mov_b32_e32 v10, v6
.LBB78_15:
	s_and_not1_saveexec_b32 s3, s3
	s_cbranch_execz .LBB78_17
; %bb.16:
	v_div_scale_f64 v[6:7], null, v[2:3], v[2:3], v[4:5]
	v_div_scale_f64 v[12:13], vcc_lo, v[4:5], v[2:3], v[4:5]
	s_delay_alu instid0(VALU_DEP_2) | instskip(SKIP_1) | instid1(TRANS32_DEP_1)
	v_rcp_f64_e32 v[8:9], v[6:7]
	v_nop
	v_fma_f64 v[10:11], -v[6:7], v[8:9], 1.0
	s_delay_alu instid0(VALU_DEP_1) | instskip(NEXT) | instid1(VALU_DEP_1)
	v_fmac_f64_e32 v[8:9], v[8:9], v[10:11]
	v_fma_f64 v[10:11], -v[6:7], v[8:9], 1.0
	s_delay_alu instid0(VALU_DEP_1) | instskip(NEXT) | instid1(VALU_DEP_1)
	v_fmac_f64_e32 v[8:9], v[8:9], v[10:11]
	v_mul_f64_e32 v[10:11], v[12:13], v[8:9]
	s_delay_alu instid0(VALU_DEP_1) | instskip(NEXT) | instid1(VALU_DEP_1)
	v_fma_f64 v[6:7], -v[6:7], v[10:11], v[12:13]
	v_div_fmas_f64 v[6:7], v[6:7], v[8:9], v[10:11]
	s_delay_alu instid0(VALU_DEP_1) | instskip(NEXT) | instid1(VALU_DEP_1)
	v_div_fixup_f64 v[8:9], v[6:7], v[2:3], v[4:5]
	v_fmac_f64_e32 v[2:3], v[4:5], v[8:9]
	s_delay_alu instid0(VALU_DEP_1) | instskip(NEXT) | instid1(VALU_DEP_1)
	v_div_scale_f64 v[4:5], null, v[2:3], v[2:3], 1.0
	v_rcp_f64_e32 v[6:7], v[4:5]
	v_nop
	s_delay_alu instid0(TRANS32_DEP_1) | instskip(NEXT) | instid1(VALU_DEP_1)
	v_fma_f64 v[10:11], -v[4:5], v[6:7], 1.0
	v_fmac_f64_e32 v[6:7], v[6:7], v[10:11]
	s_delay_alu instid0(VALU_DEP_1) | instskip(NEXT) | instid1(VALU_DEP_1)
	v_fma_f64 v[10:11], -v[4:5], v[6:7], 1.0
	v_fmac_f64_e32 v[6:7], v[6:7], v[10:11]
	v_div_scale_f64 v[10:11], vcc_lo, 1.0, v[2:3], 1.0
	s_delay_alu instid0(VALU_DEP_1) | instskip(NEXT) | instid1(VALU_DEP_1)
	v_mul_f64_e32 v[12:13], v[10:11], v[6:7]
	v_fma_f64 v[4:5], -v[4:5], v[12:13], v[10:11]
	s_delay_alu instid0(VALU_DEP_1) | instskip(NEXT) | instid1(VALU_DEP_1)
	v_div_fmas_f64 v[4:5], v[4:5], v[6:7], v[12:13]
	v_div_fixup_f64 v[6:7], v[4:5], v[2:3], 1.0
	s_delay_alu instid0(VALU_DEP_1)
	v_mul_f64_e64 v[8:9], v[8:9], -v[6:7]
	v_xor_b32_e32 v11, 0x80000000, v7
	v_mov_b32_e32 v10, v6
.LBB78_17:
	s_or_b32 exec_lo, exec_lo, s3
	s_clause 0x1
	scratch_store_b128 v19, v[6:9], off
	scratch_load_b128 v[2:5], off, s25
	v_xor_b32_e32 v13, 0x80000000, v9
	v_mov_b32_e32 v12, v8
	s_wait_xcnt 0x1
	v_add_nc_u32_e32 v6, 0xf0, v44
	ds_store_b128 v44, v[10:13]
	s_wait_loadcnt 0x0
	ds_store_b128 v44, v[2:5] offset:240
	s_wait_storecnt_dscnt 0x0
	s_barrier_signal -1
	s_barrier_wait -1
	s_wait_xcnt 0x0
	s_and_saveexec_b32 s3, s2
	s_cbranch_execz .LBB78_19
; %bb.18:
	scratch_load_b128 v[2:5], v19, off
	ds_load_b128 v[8:11], v6
	v_mov_b32_e32 v7, 0
	ds_load_b128 v[46:49], v7 offset:16
	s_wait_loadcnt_dscnt 0x1
	v_mul_f64_e32 v[12:13], v[8:9], v[4:5]
	v_mul_f64_e32 v[4:5], v[10:11], v[4:5]
	s_delay_alu instid0(VALU_DEP_2) | instskip(NEXT) | instid1(VALU_DEP_2)
	v_fmac_f64_e32 v[12:13], v[10:11], v[2:3]
	v_fma_f64 v[2:3], v[8:9], v[2:3], -v[4:5]
	s_delay_alu instid0(VALU_DEP_2) | instskip(NEXT) | instid1(VALU_DEP_2)
	v_add_f64_e32 v[8:9], 0, v[12:13]
	v_add_f64_e32 v[2:3], 0, v[2:3]
	s_wait_dscnt 0x0
	s_delay_alu instid0(VALU_DEP_2) | instskip(NEXT) | instid1(VALU_DEP_2)
	v_mul_f64_e32 v[10:11], v[8:9], v[48:49]
	v_mul_f64_e32 v[4:5], v[2:3], v[48:49]
	s_delay_alu instid0(VALU_DEP_2) | instskip(NEXT) | instid1(VALU_DEP_2)
	v_fma_f64 v[2:3], v[2:3], v[46:47], -v[10:11]
	v_fmac_f64_e32 v[4:5], v[8:9], v[46:47]
	scratch_store_b128 off, v[2:5], off offset:16
.LBB78_19:
	s_wait_xcnt 0x0
	s_or_b32 exec_lo, exec_lo, s3
	s_wait_storecnt 0x0
	s_barrier_signal -1
	s_barrier_wait -1
	scratch_load_b128 v[2:5], off, s24
	s_mov_b32 s3, exec_lo
	s_wait_loadcnt 0x0
	ds_store_b128 v6, v[2:5]
	s_wait_dscnt 0x0
	s_barrier_signal -1
	s_barrier_wait -1
	v_cmpx_gt_u32_e32 2, v1
	s_cbranch_execz .LBB78_23
; %bb.20:
	scratch_load_b128 v[2:5], v19, off
	ds_load_b128 v[8:11], v6
	s_wait_loadcnt_dscnt 0x0
	v_mul_f64_e32 v[12:13], v[10:11], v[4:5]
	v_mul_f64_e32 v[46:47], v[8:9], v[4:5]
	s_delay_alu instid0(VALU_DEP_2) | instskip(NEXT) | instid1(VALU_DEP_2)
	v_fma_f64 v[4:5], v[8:9], v[2:3], -v[12:13]
	v_fmac_f64_e32 v[46:47], v[10:11], v[2:3]
	s_delay_alu instid0(VALU_DEP_2) | instskip(NEXT) | instid1(VALU_DEP_2)
	v_add_f64_e32 v[4:5], 0, v[4:5]
	v_add_f64_e32 v[2:3], 0, v[46:47]
	s_and_saveexec_b32 s27, s2
	s_cbranch_execz .LBB78_22
; %bb.21:
	scratch_load_b128 v[8:11], off, off offset:16
	v_mov_b32_e32 v7, 0
	ds_load_b128 v[46:49], v7 offset:256
	s_wait_loadcnt_dscnt 0x0
	v_mul_f64_e32 v[12:13], v[46:47], v[10:11]
	v_mul_f64_e32 v[10:11], v[48:49], v[10:11]
	s_delay_alu instid0(VALU_DEP_2) | instskip(NEXT) | instid1(VALU_DEP_2)
	v_fmac_f64_e32 v[12:13], v[48:49], v[8:9]
	v_fma_f64 v[8:9], v[46:47], v[8:9], -v[10:11]
	s_delay_alu instid0(VALU_DEP_2) | instskip(NEXT) | instid1(VALU_DEP_2)
	v_add_f64_e32 v[2:3], v[2:3], v[12:13]
	v_add_f64_e32 v[4:5], v[4:5], v[8:9]
.LBB78_22:
	s_or_b32 exec_lo, exec_lo, s27
	v_mov_b32_e32 v7, 0
	ds_load_b128 v[8:11], v7 offset:32
	s_wait_dscnt 0x0
	v_mul_f64_e32 v[46:47], v[2:3], v[10:11]
	v_mul_f64_e32 v[12:13], v[4:5], v[10:11]
	s_delay_alu instid0(VALU_DEP_2) | instskip(NEXT) | instid1(VALU_DEP_2)
	v_fma_f64 v[10:11], v[4:5], v[8:9], -v[46:47]
	v_fmac_f64_e32 v[12:13], v[2:3], v[8:9]
	scratch_store_b128 off, v[10:13], off offset:32
.LBB78_23:
	s_wait_xcnt 0x0
	s_or_b32 exec_lo, exec_lo, s3
	s_wait_storecnt 0x0
	s_barrier_signal -1
	s_barrier_wait -1
	scratch_load_b128 v[2:5], off, s18
	v_add_nc_u32_e32 v7, -1, v1
	s_mov_b32 s2, exec_lo
	s_wait_loadcnt 0x0
	ds_store_b128 v6, v[2:5]
	s_wait_dscnt 0x0
	s_barrier_signal -1
	s_barrier_wait -1
	v_cmpx_gt_u32_e32 3, v1
	s_cbranch_execz .LBB78_27
; %bb.24:
	v_dual_mov_b32 v10, v44 :: v_dual_add_nc_u32 v8, -1, v1
	v_mov_b64_e32 v[2:3], 0
	v_mov_b64_e32 v[4:5], 0
	v_add_nc_u32_e32 v9, 0xf0, v44
	s_delay_alu instid0(VALU_DEP_4)
	v_or_b32_e32 v10, 8, v10
	s_mov_b32 s3, 0
.LBB78_25:                              ; =>This Inner Loop Header: Depth=1
	scratch_load_b128 v[46:49], v10, off offset:-8
	ds_load_b128 v[50:53], v9
	s_wait_xcnt 0x0
	v_dual_add_nc_u32 v9, 16, v9 :: v_dual_add_nc_u32 v10, 16, v10
	v_add_nc_u32_e32 v8, 1, v8
	s_delay_alu instid0(VALU_DEP_1) | instskip(SKIP_4) | instid1(VALU_DEP_2)
	v_cmp_lt_u32_e32 vcc_lo, 1, v8
	s_or_b32 s3, vcc_lo, s3
	s_wait_loadcnt_dscnt 0x0
	v_mul_f64_e32 v[12:13], v[52:53], v[48:49]
	v_mul_f64_e32 v[48:49], v[50:51], v[48:49]
	v_fma_f64 v[12:13], v[50:51], v[46:47], -v[12:13]
	s_delay_alu instid0(VALU_DEP_2) | instskip(NEXT) | instid1(VALU_DEP_2)
	v_fmac_f64_e32 v[48:49], v[52:53], v[46:47]
	v_add_f64_e32 v[4:5], v[4:5], v[12:13]
	s_delay_alu instid0(VALU_DEP_2)
	v_add_f64_e32 v[2:3], v[2:3], v[48:49]
	s_and_not1_b32 exec_lo, exec_lo, s3
	s_cbranch_execnz .LBB78_25
; %bb.26:
	s_or_b32 exec_lo, exec_lo, s3
	v_mov_b32_e32 v8, 0
	ds_load_b128 v[8:11], v8 offset:48
	s_wait_dscnt 0x0
	v_mul_f64_e32 v[46:47], v[2:3], v[10:11]
	v_mul_f64_e32 v[12:13], v[4:5], v[10:11]
	s_delay_alu instid0(VALU_DEP_2) | instskip(NEXT) | instid1(VALU_DEP_2)
	v_fma_f64 v[10:11], v[4:5], v[8:9], -v[46:47]
	v_fmac_f64_e32 v[12:13], v[2:3], v[8:9]
	scratch_store_b128 off, v[10:13], off offset:48
.LBB78_27:
	s_wait_xcnt 0x0
	s_or_b32 exec_lo, exec_lo, s2
	s_wait_storecnt 0x0
	s_barrier_signal -1
	s_barrier_wait -1
	scratch_load_b128 v[2:5], off, s12
	s_mov_b32 s2, exec_lo
	s_wait_loadcnt 0x0
	ds_store_b128 v6, v[2:5]
	s_wait_dscnt 0x0
	s_barrier_signal -1
	s_barrier_wait -1
	v_cmpx_gt_u32_e32 4, v1
	s_cbranch_execz .LBB78_31
; %bb.28:
	v_dual_mov_b32 v10, v44 :: v_dual_add_nc_u32 v8, -1, v1
	v_mov_b64_e32 v[2:3], 0
	v_mov_b64_e32 v[4:5], 0
	v_add_nc_u32_e32 v9, 0xf0, v44
	s_delay_alu instid0(VALU_DEP_4)
	v_or_b32_e32 v10, 8, v10
	s_mov_b32 s3, 0
.LBB78_29:                              ; =>This Inner Loop Header: Depth=1
	scratch_load_b128 v[46:49], v10, off offset:-8
	ds_load_b128 v[50:53], v9
	s_wait_xcnt 0x0
	v_dual_add_nc_u32 v9, 16, v9 :: v_dual_add_nc_u32 v10, 16, v10
	v_add_nc_u32_e32 v8, 1, v8
	s_delay_alu instid0(VALU_DEP_1) | instskip(SKIP_4) | instid1(VALU_DEP_2)
	v_cmp_lt_u32_e32 vcc_lo, 2, v8
	s_or_b32 s3, vcc_lo, s3
	s_wait_loadcnt_dscnt 0x0
	v_mul_f64_e32 v[12:13], v[52:53], v[48:49]
	v_mul_f64_e32 v[48:49], v[50:51], v[48:49]
	v_fma_f64 v[12:13], v[50:51], v[46:47], -v[12:13]
	s_delay_alu instid0(VALU_DEP_2) | instskip(NEXT) | instid1(VALU_DEP_2)
	v_fmac_f64_e32 v[48:49], v[52:53], v[46:47]
	v_add_f64_e32 v[4:5], v[4:5], v[12:13]
	s_delay_alu instid0(VALU_DEP_2)
	v_add_f64_e32 v[2:3], v[2:3], v[48:49]
	s_and_not1_b32 exec_lo, exec_lo, s3
	s_cbranch_execnz .LBB78_29
; %bb.30:
	s_or_b32 exec_lo, exec_lo, s3
	v_mov_b32_e32 v8, 0
	ds_load_b128 v[8:11], v8 offset:64
	s_wait_dscnt 0x0
	v_mul_f64_e32 v[46:47], v[2:3], v[10:11]
	v_mul_f64_e32 v[12:13], v[4:5], v[10:11]
	s_delay_alu instid0(VALU_DEP_2) | instskip(NEXT) | instid1(VALU_DEP_2)
	v_fma_f64 v[10:11], v[4:5], v[8:9], -v[46:47]
	v_fmac_f64_e32 v[12:13], v[2:3], v[8:9]
	scratch_store_b128 off, v[10:13], off offset:64
.LBB78_31:
	s_wait_xcnt 0x0
	s_or_b32 exec_lo, exec_lo, s2
	s_wait_storecnt 0x0
	s_barrier_signal -1
	s_barrier_wait -1
	scratch_load_b128 v[2:5], off, s19
	;; [unrolled: 54-line block ×11, first 2 shown]
	s_mov_b32 s2, exec_lo
	s_wait_loadcnt 0x0
	ds_store_b128 v6, v[2:5]
	s_wait_dscnt 0x0
	s_barrier_signal -1
	s_barrier_wait -1
	v_cmpx_ne_u32_e32 14, v1
	s_cbranch_execz .LBB78_71
; %bb.68:
	v_mov_b32_e32 v8, v44
	v_mov_b64_e32 v[2:3], 0
	v_mov_b64_e32 v[4:5], 0
	s_mov_b32 s3, 0
	s_delay_alu instid0(VALU_DEP_3)
	v_or_b32_e32 v8, 8, v8
.LBB78_69:                              ; =>This Inner Loop Header: Depth=1
	scratch_load_b128 v[10:13], v8, off offset:-8
	ds_load_b128 v[44:47], v6
	v_dual_add_nc_u32 v7, 1, v7 :: v_dual_add_nc_u32 v6, 16, v6
	s_wait_xcnt 0x0
	v_add_nc_u32_e32 v8, 16, v8
	s_delay_alu instid0(VALU_DEP_2) | instskip(SKIP_4) | instid1(VALU_DEP_2)
	v_cmp_lt_u32_e32 vcc_lo, 12, v7
	s_or_b32 s3, vcc_lo, s3
	s_wait_loadcnt_dscnt 0x0
	v_mul_f64_e32 v[48:49], v[46:47], v[12:13]
	v_mul_f64_e32 v[12:13], v[44:45], v[12:13]
	v_fma_f64 v[44:45], v[44:45], v[10:11], -v[48:49]
	s_delay_alu instid0(VALU_DEP_2) | instskip(NEXT) | instid1(VALU_DEP_2)
	v_fmac_f64_e32 v[12:13], v[46:47], v[10:11]
	v_add_f64_e32 v[4:5], v[4:5], v[44:45]
	s_delay_alu instid0(VALU_DEP_2)
	v_add_f64_e32 v[2:3], v[2:3], v[12:13]
	s_and_not1_b32 exec_lo, exec_lo, s3
	s_cbranch_execnz .LBB78_69
; %bb.70:
	s_or_b32 exec_lo, exec_lo, s3
	v_mov_b32_e32 v6, 0
	ds_load_b128 v[6:9], v6 offset:224
	s_wait_dscnt 0x0
	v_mul_f64_e32 v[12:13], v[2:3], v[8:9]
	v_mul_f64_e32 v[10:11], v[4:5], v[8:9]
	s_delay_alu instid0(VALU_DEP_2) | instskip(NEXT) | instid1(VALU_DEP_2)
	v_fma_f64 v[8:9], v[4:5], v[6:7], -v[12:13]
	v_fmac_f64_e32 v[10:11], v[2:3], v[6:7]
	scratch_store_b128 off, v[8:11], off offset:224
.LBB78_71:
	s_wait_xcnt 0x0
	s_or_b32 exec_lo, exec_lo, s2
	s_mov_b32 s3, -1
	s_wait_storecnt 0x0
	s_barrier_signal -1
	s_barrier_wait -1
.LBB78_72:
	s_and_b32 vcc_lo, exec_lo, s3
	s_cbranch_vccz .LBB78_74
; %bb.73:
	s_wait_xcnt 0x0
	v_mov_b32_e32 v2, 0
	s_lshl_b64 s[2:3], s[10:11], 2
	s_delay_alu instid0(SALU_CYCLE_1)
	s_add_nc_u64 s[2:3], s[6:7], s[2:3]
	global_load_b32 v2, v2, s[2:3]
	s_wait_loadcnt 0x0
	v_cmp_ne_u32_e32 vcc_lo, 0, v2
	s_cbranch_vccz .LBB78_75
.LBB78_74:
	s_sendmsg sendmsg(MSG_DEALLOC_VGPRS)
	s_endpgm
.LBB78_75:
	v_lshl_add_u32 v6, v1, 4, 0xf0
	s_wait_xcnt 0x0
	s_mov_b32 s2, exec_lo
	v_cmpx_eq_u32_e32 14, v1
	s_cbranch_execz .LBB78_77
; %bb.76:
	scratch_load_b128 v[2:5], off, s23
	v_mov_b32_e32 v8, 0
	s_delay_alu instid0(VALU_DEP_1)
	v_dual_mov_b32 v9, v8 :: v_dual_mov_b32 v10, v8
	v_mov_b32_e32 v11, v8
	scratch_store_b128 off, v[8:11], off offset:208
	s_wait_loadcnt 0x0
	ds_store_b128 v6, v[2:5]
.LBB78_77:
	s_wait_xcnt 0x0
	s_or_b32 exec_lo, exec_lo, s2
	s_wait_storecnt_dscnt 0x0
	s_barrier_signal -1
	s_barrier_wait -1
	s_clause 0x1
	scratch_load_b128 v[8:11], off, off offset:224
	scratch_load_b128 v[44:47], off, off offset:208
	v_mov_b32_e32 v2, 0
	s_mov_b32 s2, exec_lo
	ds_load_b128 v[48:51], v2 offset:464
	s_wait_loadcnt_dscnt 0x100
	v_mul_f64_e32 v[4:5], v[50:51], v[10:11]
	v_mul_f64_e32 v[10:11], v[48:49], v[10:11]
	s_delay_alu instid0(VALU_DEP_2) | instskip(NEXT) | instid1(VALU_DEP_2)
	v_fma_f64 v[4:5], v[48:49], v[8:9], -v[4:5]
	v_fmac_f64_e32 v[10:11], v[50:51], v[8:9]
	s_delay_alu instid0(VALU_DEP_2) | instskip(NEXT) | instid1(VALU_DEP_2)
	v_add_f64_e32 v[4:5], 0, v[4:5]
	v_add_f64_e32 v[10:11], 0, v[10:11]
	s_wait_loadcnt 0x0
	s_delay_alu instid0(VALU_DEP_2) | instskip(NEXT) | instid1(VALU_DEP_2)
	v_add_f64_e64 v[8:9], v[44:45], -v[4:5]
	v_add_f64_e64 v[10:11], v[46:47], -v[10:11]
	scratch_store_b128 off, v[8:11], off offset:208
	s_wait_xcnt 0x0
	v_cmpx_lt_u32_e32 12, v1
	s_cbranch_execz .LBB78_79
; %bb.78:
	scratch_load_b128 v[8:11], off, s16
	v_dual_mov_b32 v3, v2 :: v_dual_mov_b32 v4, v2
	v_mov_b32_e32 v5, v2
	scratch_store_b128 off, v[2:5], off offset:192
	s_wait_loadcnt 0x0
	ds_store_b128 v6, v[8:11]
.LBB78_79:
	s_wait_xcnt 0x0
	s_or_b32 exec_lo, exec_lo, s2
	s_wait_storecnt_dscnt 0x0
	s_barrier_signal -1
	s_barrier_wait -1
	s_clause 0x2
	scratch_load_b128 v[8:11], off, off offset:208
	scratch_load_b128 v[44:47], off, off offset:224
	scratch_load_b128 v[48:51], off, off offset:192
	ds_load_b128 v[52:55], v2 offset:448
	ds_load_b128 v[2:5], v2 offset:464
	s_mov_b32 s2, exec_lo
	s_wait_loadcnt_dscnt 0x201
	v_mul_f64_e32 v[12:13], v[54:55], v[10:11]
	v_mul_f64_e32 v[10:11], v[52:53], v[10:11]
	s_wait_loadcnt_dscnt 0x100
	v_mul_f64_e32 v[56:57], v[2:3], v[46:47]
	v_mul_f64_e32 v[46:47], v[4:5], v[46:47]
	s_delay_alu instid0(VALU_DEP_4) | instskip(NEXT) | instid1(VALU_DEP_4)
	v_fma_f64 v[12:13], v[52:53], v[8:9], -v[12:13]
	v_fmac_f64_e32 v[10:11], v[54:55], v[8:9]
	s_delay_alu instid0(VALU_DEP_4) | instskip(NEXT) | instid1(VALU_DEP_4)
	v_fmac_f64_e32 v[56:57], v[4:5], v[44:45]
	v_fma_f64 v[2:3], v[2:3], v[44:45], -v[46:47]
	s_delay_alu instid0(VALU_DEP_4) | instskip(NEXT) | instid1(VALU_DEP_4)
	v_add_f64_e32 v[4:5], 0, v[12:13]
	v_add_f64_e32 v[8:9], 0, v[10:11]
	s_delay_alu instid0(VALU_DEP_2) | instskip(NEXT) | instid1(VALU_DEP_2)
	v_add_f64_e32 v[2:3], v[4:5], v[2:3]
	v_add_f64_e32 v[4:5], v[8:9], v[56:57]
	s_wait_loadcnt 0x0
	s_delay_alu instid0(VALU_DEP_2) | instskip(NEXT) | instid1(VALU_DEP_2)
	v_add_f64_e64 v[2:3], v[48:49], -v[2:3]
	v_add_f64_e64 v[4:5], v[50:51], -v[4:5]
	scratch_store_b128 off, v[2:5], off offset:192
	s_wait_xcnt 0x0
	v_cmpx_lt_u32_e32 11, v1
	s_cbranch_execz .LBB78_81
; %bb.80:
	scratch_load_b128 v[2:5], off, s22
	v_mov_b32_e32 v8, 0
	s_delay_alu instid0(VALU_DEP_1)
	v_dual_mov_b32 v9, v8 :: v_dual_mov_b32 v10, v8
	v_mov_b32_e32 v11, v8
	scratch_store_b128 off, v[8:11], off offset:176
	s_wait_loadcnt 0x0
	ds_store_b128 v6, v[2:5]
.LBB78_81:
	s_wait_xcnt 0x0
	s_or_b32 exec_lo, exec_lo, s2
	s_wait_storecnt_dscnt 0x0
	s_barrier_signal -1
	s_barrier_wait -1
	s_clause 0x3
	scratch_load_b128 v[8:11], off, off offset:192
	scratch_load_b128 v[44:47], off, off offset:208
	;; [unrolled: 1-line block ×4, first 2 shown]
	v_mov_b32_e32 v2, 0
	ds_load_b128 v[56:59], v2 offset:432
	ds_load_b128 v[60:63], v2 offset:448
	s_mov_b32 s2, exec_lo
	s_wait_loadcnt_dscnt 0x301
	v_mul_f64_e32 v[4:5], v[58:59], v[10:11]
	v_mul_f64_e32 v[12:13], v[56:57], v[10:11]
	s_wait_loadcnt_dscnt 0x200
	v_mul_f64_e32 v[64:65], v[60:61], v[46:47]
	v_mul_f64_e32 v[46:47], v[62:63], v[46:47]
	s_delay_alu instid0(VALU_DEP_4) | instskip(NEXT) | instid1(VALU_DEP_4)
	v_fma_f64 v[4:5], v[56:57], v[8:9], -v[4:5]
	v_fmac_f64_e32 v[12:13], v[58:59], v[8:9]
	ds_load_b128 v[8:11], v2 offset:464
	v_fmac_f64_e32 v[64:65], v[62:63], v[44:45]
	v_fma_f64 v[44:45], v[60:61], v[44:45], -v[46:47]
	s_wait_loadcnt_dscnt 0x100
	v_mul_f64_e32 v[56:57], v[8:9], v[50:51]
	v_mul_f64_e32 v[50:51], v[10:11], v[50:51]
	v_add_f64_e32 v[4:5], 0, v[4:5]
	v_add_f64_e32 v[12:13], 0, v[12:13]
	s_delay_alu instid0(VALU_DEP_4) | instskip(NEXT) | instid1(VALU_DEP_4)
	v_fmac_f64_e32 v[56:57], v[10:11], v[48:49]
	v_fma_f64 v[8:9], v[8:9], v[48:49], -v[50:51]
	s_delay_alu instid0(VALU_DEP_4) | instskip(NEXT) | instid1(VALU_DEP_4)
	v_add_f64_e32 v[4:5], v[4:5], v[44:45]
	v_add_f64_e32 v[10:11], v[12:13], v[64:65]
	s_delay_alu instid0(VALU_DEP_2) | instskip(NEXT) | instid1(VALU_DEP_2)
	v_add_f64_e32 v[4:5], v[4:5], v[8:9]
	v_add_f64_e32 v[10:11], v[10:11], v[56:57]
	s_wait_loadcnt 0x0
	s_delay_alu instid0(VALU_DEP_2) | instskip(NEXT) | instid1(VALU_DEP_2)
	v_add_f64_e64 v[8:9], v[52:53], -v[4:5]
	v_add_f64_e64 v[10:11], v[54:55], -v[10:11]
	scratch_store_b128 off, v[8:11], off offset:176
	s_wait_xcnt 0x0
	v_cmpx_lt_u32_e32 10, v1
	s_cbranch_execz .LBB78_83
; %bb.82:
	scratch_load_b128 v[8:11], off, s15
	v_dual_mov_b32 v3, v2 :: v_dual_mov_b32 v4, v2
	v_mov_b32_e32 v5, v2
	scratch_store_b128 off, v[2:5], off offset:160
	s_wait_loadcnt 0x0
	ds_store_b128 v6, v[8:11]
.LBB78_83:
	s_wait_xcnt 0x0
	s_or_b32 exec_lo, exec_lo, s2
	s_wait_storecnt_dscnt 0x0
	s_barrier_signal -1
	s_barrier_wait -1
	s_clause 0x4
	scratch_load_b128 v[8:11], off, off offset:176
	scratch_load_b128 v[44:47], off, off offset:192
	;; [unrolled: 1-line block ×5, first 2 shown]
	ds_load_b128 v[60:63], v2 offset:416
	ds_load_b128 v[64:67], v2 offset:432
	s_mov_b32 s2, exec_lo
	s_wait_loadcnt_dscnt 0x401
	v_mul_f64_e32 v[4:5], v[62:63], v[10:11]
	v_mul_f64_e32 v[12:13], v[60:61], v[10:11]
	s_wait_loadcnt_dscnt 0x300
	v_mul_f64_e32 v[68:69], v[64:65], v[46:47]
	v_mul_f64_e32 v[46:47], v[66:67], v[46:47]
	s_delay_alu instid0(VALU_DEP_4) | instskip(NEXT) | instid1(VALU_DEP_4)
	v_fma_f64 v[60:61], v[60:61], v[8:9], -v[4:5]
	v_fmac_f64_e32 v[12:13], v[62:63], v[8:9]
	ds_load_b128 v[8:11], v2 offset:448
	ds_load_b128 v[2:5], v2 offset:464
	v_fmac_f64_e32 v[68:69], v[66:67], v[44:45]
	v_fma_f64 v[44:45], v[64:65], v[44:45], -v[46:47]
	s_wait_loadcnt_dscnt 0x201
	v_mul_f64_e32 v[62:63], v[8:9], v[50:51]
	v_mul_f64_e32 v[50:51], v[10:11], v[50:51]
	v_add_f64_e32 v[46:47], 0, v[60:61]
	v_add_f64_e32 v[12:13], 0, v[12:13]
	s_wait_loadcnt_dscnt 0x100
	v_mul_f64_e32 v[60:61], v[2:3], v[54:55]
	v_mul_f64_e32 v[54:55], v[4:5], v[54:55]
	v_fmac_f64_e32 v[62:63], v[10:11], v[48:49]
	v_fma_f64 v[8:9], v[8:9], v[48:49], -v[50:51]
	v_add_f64_e32 v[10:11], v[46:47], v[44:45]
	v_add_f64_e32 v[12:13], v[12:13], v[68:69]
	v_fmac_f64_e32 v[60:61], v[4:5], v[52:53]
	v_fma_f64 v[2:3], v[2:3], v[52:53], -v[54:55]
	s_delay_alu instid0(VALU_DEP_4) | instskip(NEXT) | instid1(VALU_DEP_4)
	v_add_f64_e32 v[4:5], v[10:11], v[8:9]
	v_add_f64_e32 v[8:9], v[12:13], v[62:63]
	s_delay_alu instid0(VALU_DEP_2) | instskip(NEXT) | instid1(VALU_DEP_2)
	v_add_f64_e32 v[2:3], v[4:5], v[2:3]
	v_add_f64_e32 v[4:5], v[8:9], v[60:61]
	s_wait_loadcnt 0x0
	s_delay_alu instid0(VALU_DEP_2) | instskip(NEXT) | instid1(VALU_DEP_2)
	v_add_f64_e64 v[2:3], v[56:57], -v[2:3]
	v_add_f64_e64 v[4:5], v[58:59], -v[4:5]
	scratch_store_b128 off, v[2:5], off offset:160
	s_wait_xcnt 0x0
	v_cmpx_lt_u32_e32 9, v1
	s_cbranch_execz .LBB78_85
; %bb.84:
	scratch_load_b128 v[2:5], off, s21
	v_mov_b32_e32 v8, 0
	s_delay_alu instid0(VALU_DEP_1)
	v_dual_mov_b32 v9, v8 :: v_dual_mov_b32 v10, v8
	v_mov_b32_e32 v11, v8
	scratch_store_b128 off, v[8:11], off offset:144
	s_wait_loadcnt 0x0
	ds_store_b128 v6, v[2:5]
.LBB78_85:
	s_wait_xcnt 0x0
	s_or_b32 exec_lo, exec_lo, s2
	s_wait_storecnt_dscnt 0x0
	s_barrier_signal -1
	s_barrier_wait -1
	s_clause 0x5
	scratch_load_b128 v[8:11], off, off offset:160
	scratch_load_b128 v[44:47], off, off offset:176
	;; [unrolled: 1-line block ×6, first 2 shown]
	v_mov_b32_e32 v2, 0
	ds_load_b128 v[64:67], v2 offset:400
	ds_load_b128 v[68:71], v2 offset:416
	s_mov_b32 s2, exec_lo
	s_wait_loadcnt_dscnt 0x501
	v_mul_f64_e32 v[4:5], v[66:67], v[10:11]
	v_mul_f64_e32 v[12:13], v[64:65], v[10:11]
	s_wait_loadcnt_dscnt 0x400
	v_mul_f64_e32 v[72:73], v[68:69], v[46:47]
	v_mul_f64_e32 v[46:47], v[70:71], v[46:47]
	s_delay_alu instid0(VALU_DEP_4) | instskip(NEXT) | instid1(VALU_DEP_4)
	v_fma_f64 v[4:5], v[64:65], v[8:9], -v[4:5]
	v_fmac_f64_e32 v[12:13], v[66:67], v[8:9]
	ds_load_b128 v[8:11], v2 offset:432
	ds_load_b128 v[64:67], v2 offset:448
	v_fmac_f64_e32 v[72:73], v[70:71], v[44:45]
	v_fma_f64 v[44:45], v[68:69], v[44:45], -v[46:47]
	s_wait_loadcnt_dscnt 0x301
	v_mul_f64_e32 v[74:75], v[8:9], v[50:51]
	v_mul_f64_e32 v[50:51], v[10:11], v[50:51]
	s_wait_loadcnt_dscnt 0x200
	v_mul_f64_e32 v[46:47], v[64:65], v[54:55]
	v_mul_f64_e32 v[54:55], v[66:67], v[54:55]
	v_add_f64_e32 v[4:5], 0, v[4:5]
	v_add_f64_e32 v[12:13], 0, v[12:13]
	v_fmac_f64_e32 v[74:75], v[10:11], v[48:49]
	v_fma_f64 v[48:49], v[8:9], v[48:49], -v[50:51]
	ds_load_b128 v[8:11], v2 offset:464
	v_fmac_f64_e32 v[46:47], v[66:67], v[52:53]
	v_fma_f64 v[52:53], v[64:65], v[52:53], -v[54:55]
	v_add_f64_e32 v[4:5], v[4:5], v[44:45]
	v_add_f64_e32 v[12:13], v[12:13], v[72:73]
	s_wait_loadcnt_dscnt 0x100
	v_mul_f64_e32 v[44:45], v[8:9], v[58:59]
	v_mul_f64_e32 v[50:51], v[10:11], v[58:59]
	s_delay_alu instid0(VALU_DEP_4) | instskip(NEXT) | instid1(VALU_DEP_4)
	v_add_f64_e32 v[4:5], v[4:5], v[48:49]
	v_add_f64_e32 v[12:13], v[12:13], v[74:75]
	s_delay_alu instid0(VALU_DEP_4) | instskip(NEXT) | instid1(VALU_DEP_4)
	v_fmac_f64_e32 v[44:45], v[10:11], v[56:57]
	v_fma_f64 v[8:9], v[8:9], v[56:57], -v[50:51]
	s_delay_alu instid0(VALU_DEP_4) | instskip(NEXT) | instid1(VALU_DEP_4)
	v_add_f64_e32 v[4:5], v[4:5], v[52:53]
	v_add_f64_e32 v[10:11], v[12:13], v[46:47]
	s_delay_alu instid0(VALU_DEP_2) | instskip(NEXT) | instid1(VALU_DEP_2)
	v_add_f64_e32 v[4:5], v[4:5], v[8:9]
	v_add_f64_e32 v[10:11], v[10:11], v[44:45]
	s_wait_loadcnt 0x0
	s_delay_alu instid0(VALU_DEP_2) | instskip(NEXT) | instid1(VALU_DEP_2)
	v_add_f64_e64 v[8:9], v[60:61], -v[4:5]
	v_add_f64_e64 v[10:11], v[62:63], -v[10:11]
	scratch_store_b128 off, v[8:11], off offset:144
	s_wait_xcnt 0x0
	v_cmpx_lt_u32_e32 8, v1
	s_cbranch_execz .LBB78_87
; %bb.86:
	scratch_load_b128 v[8:11], off, s14
	v_dual_mov_b32 v3, v2 :: v_dual_mov_b32 v4, v2
	v_mov_b32_e32 v5, v2
	scratch_store_b128 off, v[2:5], off offset:128
	s_wait_loadcnt 0x0
	ds_store_b128 v6, v[8:11]
.LBB78_87:
	s_wait_xcnt 0x0
	s_or_b32 exec_lo, exec_lo, s2
	s_wait_storecnt_dscnt 0x0
	s_barrier_signal -1
	s_barrier_wait -1
	s_clause 0x6
	scratch_load_b128 v[8:11], off, off offset:144
	scratch_load_b128 v[44:47], off, off offset:160
	;; [unrolled: 1-line block ×7, first 2 shown]
	ds_load_b128 v[68:71], v2 offset:384
	ds_load_b128 v[72:75], v2 offset:400
	s_mov_b32 s2, exec_lo
	s_wait_loadcnt_dscnt 0x601
	v_mul_f64_e32 v[4:5], v[70:71], v[10:11]
	v_mul_f64_e32 v[12:13], v[68:69], v[10:11]
	s_wait_loadcnt_dscnt 0x500
	v_mul_f64_e32 v[76:77], v[72:73], v[46:47]
	v_mul_f64_e32 v[46:47], v[74:75], v[46:47]
	s_delay_alu instid0(VALU_DEP_4) | instskip(NEXT) | instid1(VALU_DEP_4)
	v_fma_f64 v[4:5], v[68:69], v[8:9], -v[4:5]
	v_fmac_f64_e32 v[12:13], v[70:71], v[8:9]
	ds_load_b128 v[8:11], v2 offset:416
	ds_load_b128 v[68:71], v2 offset:432
	v_fmac_f64_e32 v[76:77], v[74:75], v[44:45]
	v_fma_f64 v[44:45], v[72:73], v[44:45], -v[46:47]
	s_wait_loadcnt_dscnt 0x401
	v_mul_f64_e32 v[78:79], v[8:9], v[50:51]
	v_mul_f64_e32 v[50:51], v[10:11], v[50:51]
	s_wait_loadcnt_dscnt 0x300
	v_mul_f64_e32 v[46:47], v[68:69], v[54:55]
	v_mul_f64_e32 v[54:55], v[70:71], v[54:55]
	v_add_f64_e32 v[4:5], 0, v[4:5]
	v_add_f64_e32 v[12:13], 0, v[12:13]
	v_fmac_f64_e32 v[78:79], v[10:11], v[48:49]
	v_fma_f64 v[48:49], v[8:9], v[48:49], -v[50:51]
	v_fmac_f64_e32 v[46:47], v[70:71], v[52:53]
	v_fma_f64 v[52:53], v[68:69], v[52:53], -v[54:55]
	v_add_f64_e32 v[44:45], v[4:5], v[44:45]
	v_add_f64_e32 v[12:13], v[12:13], v[76:77]
	ds_load_b128 v[8:11], v2 offset:448
	ds_load_b128 v[2:5], v2 offset:464
	s_wait_loadcnt_dscnt 0x201
	v_mul_f64_e32 v[50:51], v[8:9], v[58:59]
	v_mul_f64_e32 v[58:59], v[10:11], v[58:59]
	s_wait_loadcnt_dscnt 0x100
	v_mul_f64_e32 v[54:55], v[4:5], v[62:63]
	v_add_f64_e32 v[44:45], v[44:45], v[48:49]
	v_add_f64_e32 v[12:13], v[12:13], v[78:79]
	v_mul_f64_e32 v[48:49], v[2:3], v[62:63]
	v_fmac_f64_e32 v[50:51], v[10:11], v[56:57]
	v_fma_f64 v[8:9], v[8:9], v[56:57], -v[58:59]
	v_fma_f64 v[2:3], v[2:3], v[60:61], -v[54:55]
	v_add_f64_e32 v[10:11], v[44:45], v[52:53]
	v_add_f64_e32 v[12:13], v[12:13], v[46:47]
	v_fmac_f64_e32 v[48:49], v[4:5], v[60:61]
	s_delay_alu instid0(VALU_DEP_3) | instskip(NEXT) | instid1(VALU_DEP_3)
	v_add_f64_e32 v[4:5], v[10:11], v[8:9]
	v_add_f64_e32 v[8:9], v[12:13], v[50:51]
	s_delay_alu instid0(VALU_DEP_2) | instskip(NEXT) | instid1(VALU_DEP_2)
	v_add_f64_e32 v[2:3], v[4:5], v[2:3]
	v_add_f64_e32 v[4:5], v[8:9], v[48:49]
	s_wait_loadcnt 0x0
	s_delay_alu instid0(VALU_DEP_2) | instskip(NEXT) | instid1(VALU_DEP_2)
	v_add_f64_e64 v[2:3], v[64:65], -v[2:3]
	v_add_f64_e64 v[4:5], v[66:67], -v[4:5]
	scratch_store_b128 off, v[2:5], off offset:128
	s_wait_xcnt 0x0
	v_cmpx_lt_u32_e32 7, v1
	s_cbranch_execz .LBB78_89
; %bb.88:
	scratch_load_b128 v[2:5], off, s20
	v_mov_b32_e32 v8, 0
	s_delay_alu instid0(VALU_DEP_1)
	v_dual_mov_b32 v9, v8 :: v_dual_mov_b32 v10, v8
	v_mov_b32_e32 v11, v8
	scratch_store_b128 off, v[8:11], off offset:112
	s_wait_loadcnt 0x0
	ds_store_b128 v6, v[2:5]
.LBB78_89:
	s_wait_xcnt 0x0
	s_or_b32 exec_lo, exec_lo, s2
	s_wait_storecnt_dscnt 0x0
	s_barrier_signal -1
	s_barrier_wait -1
	s_clause 0x7
	scratch_load_b128 v[8:11], off, off offset:128
	scratch_load_b128 v[44:47], off, off offset:144
	;; [unrolled: 1-line block ×8, first 2 shown]
	v_mov_b32_e32 v2, 0
	ds_load_b128 v[72:75], v2 offset:368
	ds_load_b128 v[76:79], v2 offset:384
	s_mov_b32 s2, exec_lo
	s_wait_loadcnt_dscnt 0x701
	v_mul_f64_e32 v[4:5], v[74:75], v[10:11]
	v_mul_f64_e32 v[12:13], v[72:73], v[10:11]
	s_wait_loadcnt_dscnt 0x600
	v_mul_f64_e32 v[80:81], v[76:77], v[46:47]
	v_mul_f64_e32 v[46:47], v[78:79], v[46:47]
	s_delay_alu instid0(VALU_DEP_4) | instskip(NEXT) | instid1(VALU_DEP_4)
	v_fma_f64 v[4:5], v[72:73], v[8:9], -v[4:5]
	v_fmac_f64_e32 v[12:13], v[74:75], v[8:9]
	ds_load_b128 v[8:11], v2 offset:400
	ds_load_b128 v[72:75], v2 offset:416
	v_fmac_f64_e32 v[80:81], v[78:79], v[44:45]
	v_fma_f64 v[44:45], v[76:77], v[44:45], -v[46:47]
	s_wait_loadcnt_dscnt 0x501
	v_mul_f64_e32 v[82:83], v[8:9], v[50:51]
	v_mul_f64_e32 v[50:51], v[10:11], v[50:51]
	s_wait_loadcnt_dscnt 0x400
	v_mul_f64_e32 v[76:77], v[72:73], v[54:55]
	v_mul_f64_e32 v[54:55], v[74:75], v[54:55]
	v_add_f64_e32 v[4:5], 0, v[4:5]
	v_add_f64_e32 v[12:13], 0, v[12:13]
	v_fmac_f64_e32 v[82:83], v[10:11], v[48:49]
	v_fma_f64 v[48:49], v[8:9], v[48:49], -v[50:51]
	v_fmac_f64_e32 v[76:77], v[74:75], v[52:53]
	v_fma_f64 v[52:53], v[72:73], v[52:53], -v[54:55]
	v_add_f64_e32 v[4:5], v[4:5], v[44:45]
	v_add_f64_e32 v[12:13], v[12:13], v[80:81]
	ds_load_b128 v[8:11], v2 offset:432
	ds_load_b128 v[44:47], v2 offset:448
	s_wait_loadcnt_dscnt 0x301
	v_mul_f64_e32 v[50:51], v[8:9], v[58:59]
	v_mul_f64_e32 v[58:59], v[10:11], v[58:59]
	s_wait_loadcnt_dscnt 0x200
	v_mul_f64_e32 v[54:55], v[46:47], v[62:63]
	v_add_f64_e32 v[4:5], v[4:5], v[48:49]
	v_add_f64_e32 v[12:13], v[12:13], v[82:83]
	v_mul_f64_e32 v[48:49], v[44:45], v[62:63]
	v_fmac_f64_e32 v[50:51], v[10:11], v[56:57]
	v_fma_f64 v[56:57], v[8:9], v[56:57], -v[58:59]
	ds_load_b128 v[8:11], v2 offset:464
	v_fma_f64 v[44:45], v[44:45], v[60:61], -v[54:55]
	v_add_f64_e32 v[4:5], v[4:5], v[52:53]
	v_add_f64_e32 v[12:13], v[12:13], v[76:77]
	v_fmac_f64_e32 v[48:49], v[46:47], v[60:61]
	s_wait_loadcnt_dscnt 0x100
	v_mul_f64_e32 v[52:53], v[8:9], v[66:67]
	v_mul_f64_e32 v[58:59], v[10:11], v[66:67]
	v_add_f64_e32 v[4:5], v[4:5], v[56:57]
	v_add_f64_e32 v[12:13], v[12:13], v[50:51]
	s_delay_alu instid0(VALU_DEP_4) | instskip(NEXT) | instid1(VALU_DEP_4)
	v_fmac_f64_e32 v[52:53], v[10:11], v[64:65]
	v_fma_f64 v[8:9], v[8:9], v[64:65], -v[58:59]
	s_delay_alu instid0(VALU_DEP_4) | instskip(NEXT) | instid1(VALU_DEP_4)
	v_add_f64_e32 v[4:5], v[4:5], v[44:45]
	v_add_f64_e32 v[10:11], v[12:13], v[48:49]
	s_delay_alu instid0(VALU_DEP_2) | instskip(NEXT) | instid1(VALU_DEP_2)
	v_add_f64_e32 v[4:5], v[4:5], v[8:9]
	v_add_f64_e32 v[10:11], v[10:11], v[52:53]
	s_wait_loadcnt 0x0
	s_delay_alu instid0(VALU_DEP_2) | instskip(NEXT) | instid1(VALU_DEP_2)
	v_add_f64_e64 v[8:9], v[68:69], -v[4:5]
	v_add_f64_e64 v[10:11], v[70:71], -v[10:11]
	scratch_store_b128 off, v[8:11], off offset:112
	s_wait_xcnt 0x0
	v_cmpx_lt_u32_e32 6, v1
	s_cbranch_execz .LBB78_91
; %bb.90:
	scratch_load_b128 v[8:11], off, s13
	v_dual_mov_b32 v3, v2 :: v_dual_mov_b32 v4, v2
	v_mov_b32_e32 v5, v2
	scratch_store_b128 off, v[2:5], off offset:96
	s_wait_loadcnt 0x0
	ds_store_b128 v6, v[8:11]
.LBB78_91:
	s_wait_xcnt 0x0
	s_or_b32 exec_lo, exec_lo, s2
	s_wait_storecnt_dscnt 0x0
	s_barrier_signal -1
	s_barrier_wait -1
	s_clause 0x7
	scratch_load_b128 v[8:11], off, off offset:112
	scratch_load_b128 v[44:47], off, off offset:128
	;; [unrolled: 1-line block ×8, first 2 shown]
	ds_load_b128 v[72:75], v2 offset:352
	ds_load_b128 v[76:79], v2 offset:368
	scratch_load_b128 v[80:83], off, off offset:96
	s_mov_b32 s2, exec_lo
	s_wait_loadcnt_dscnt 0x801
	v_mul_f64_e32 v[4:5], v[74:75], v[10:11]
	v_mul_f64_e32 v[12:13], v[72:73], v[10:11]
	s_wait_loadcnt_dscnt 0x700
	v_mul_f64_e32 v[84:85], v[76:77], v[46:47]
	v_mul_f64_e32 v[46:47], v[78:79], v[46:47]
	s_delay_alu instid0(VALU_DEP_4) | instskip(NEXT) | instid1(VALU_DEP_4)
	v_fma_f64 v[4:5], v[72:73], v[8:9], -v[4:5]
	v_fmac_f64_e32 v[12:13], v[74:75], v[8:9]
	ds_load_b128 v[8:11], v2 offset:384
	ds_load_b128 v[72:75], v2 offset:400
	v_fmac_f64_e32 v[84:85], v[78:79], v[44:45]
	v_fma_f64 v[44:45], v[76:77], v[44:45], -v[46:47]
	s_wait_loadcnt_dscnt 0x601
	v_mul_f64_e32 v[86:87], v[8:9], v[50:51]
	v_mul_f64_e32 v[50:51], v[10:11], v[50:51]
	s_wait_loadcnt_dscnt 0x500
	v_mul_f64_e32 v[76:77], v[72:73], v[54:55]
	v_mul_f64_e32 v[54:55], v[74:75], v[54:55]
	v_add_f64_e32 v[4:5], 0, v[4:5]
	v_add_f64_e32 v[12:13], 0, v[12:13]
	v_fmac_f64_e32 v[86:87], v[10:11], v[48:49]
	v_fma_f64 v[48:49], v[8:9], v[48:49], -v[50:51]
	v_fmac_f64_e32 v[76:77], v[74:75], v[52:53]
	v_fma_f64 v[52:53], v[72:73], v[52:53], -v[54:55]
	v_add_f64_e32 v[4:5], v[4:5], v[44:45]
	v_add_f64_e32 v[12:13], v[12:13], v[84:85]
	ds_load_b128 v[8:11], v2 offset:416
	ds_load_b128 v[44:47], v2 offset:432
	s_wait_loadcnt_dscnt 0x401
	v_mul_f64_e32 v[50:51], v[8:9], v[58:59]
	v_mul_f64_e32 v[58:59], v[10:11], v[58:59]
	s_wait_loadcnt_dscnt 0x300
	v_mul_f64_e32 v[54:55], v[46:47], v[62:63]
	v_add_f64_e32 v[4:5], v[4:5], v[48:49]
	v_add_f64_e32 v[12:13], v[12:13], v[86:87]
	v_mul_f64_e32 v[48:49], v[44:45], v[62:63]
	v_fmac_f64_e32 v[50:51], v[10:11], v[56:57]
	v_fma_f64 v[56:57], v[8:9], v[56:57], -v[58:59]
	v_fma_f64 v[44:45], v[44:45], v[60:61], -v[54:55]
	v_add_f64_e32 v[52:53], v[4:5], v[52:53]
	v_add_f64_e32 v[12:13], v[12:13], v[76:77]
	ds_load_b128 v[8:11], v2 offset:448
	ds_load_b128 v[2:5], v2 offset:464
	v_fmac_f64_e32 v[48:49], v[46:47], v[60:61]
	s_wait_loadcnt_dscnt 0x201
	v_mul_f64_e32 v[58:59], v[8:9], v[66:67]
	v_mul_f64_e32 v[62:63], v[10:11], v[66:67]
	v_add_f64_e32 v[46:47], v[52:53], v[56:57]
	v_add_f64_e32 v[12:13], v[12:13], v[50:51]
	s_wait_loadcnt_dscnt 0x100
	v_mul_f64_e32 v[50:51], v[2:3], v[70:71]
	v_mul_f64_e32 v[52:53], v[4:5], v[70:71]
	v_fmac_f64_e32 v[58:59], v[10:11], v[64:65]
	v_fma_f64 v[8:9], v[8:9], v[64:65], -v[62:63]
	v_add_f64_e32 v[10:11], v[46:47], v[44:45]
	v_add_f64_e32 v[12:13], v[12:13], v[48:49]
	v_fmac_f64_e32 v[50:51], v[4:5], v[68:69]
	v_fma_f64 v[2:3], v[2:3], v[68:69], -v[52:53]
	s_delay_alu instid0(VALU_DEP_4) | instskip(NEXT) | instid1(VALU_DEP_4)
	v_add_f64_e32 v[4:5], v[10:11], v[8:9]
	v_add_f64_e32 v[8:9], v[12:13], v[58:59]
	s_delay_alu instid0(VALU_DEP_2) | instskip(NEXT) | instid1(VALU_DEP_2)
	v_add_f64_e32 v[2:3], v[4:5], v[2:3]
	v_add_f64_e32 v[4:5], v[8:9], v[50:51]
	s_wait_loadcnt 0x0
	s_delay_alu instid0(VALU_DEP_2) | instskip(NEXT) | instid1(VALU_DEP_2)
	v_add_f64_e64 v[2:3], v[80:81], -v[2:3]
	v_add_f64_e64 v[4:5], v[82:83], -v[4:5]
	scratch_store_b128 off, v[2:5], off offset:96
	s_wait_xcnt 0x0
	v_cmpx_lt_u32_e32 5, v1
	s_cbranch_execz .LBB78_93
; %bb.92:
	scratch_load_b128 v[2:5], off, s19
	v_mov_b32_e32 v8, 0
	s_delay_alu instid0(VALU_DEP_1)
	v_dual_mov_b32 v9, v8 :: v_dual_mov_b32 v10, v8
	v_mov_b32_e32 v11, v8
	scratch_store_b128 off, v[8:11], off offset:80
	s_wait_loadcnt 0x0
	ds_store_b128 v6, v[2:5]
.LBB78_93:
	s_wait_xcnt 0x0
	s_or_b32 exec_lo, exec_lo, s2
	s_wait_storecnt_dscnt 0x0
	s_barrier_signal -1
	s_barrier_wait -1
	s_clause 0x8
	scratch_load_b128 v[8:11], off, off offset:96
	scratch_load_b128 v[44:47], off, off offset:112
	;; [unrolled: 1-line block ×9, first 2 shown]
	v_mov_b32_e32 v2, 0
	scratch_load_b128 v[80:83], off, off offset:80
	s_mov_b32 s2, exec_lo
	ds_load_b128 v[76:79], v2 offset:336
	ds_load_b128 v[84:87], v2 offset:352
	s_wait_loadcnt_dscnt 0x901
	v_mul_f64_e32 v[4:5], v[78:79], v[10:11]
	v_mul_f64_e32 v[12:13], v[76:77], v[10:11]
	s_wait_loadcnt_dscnt 0x800
	v_mul_f64_e32 v[88:89], v[84:85], v[46:47]
	v_mul_f64_e32 v[46:47], v[86:87], v[46:47]
	s_delay_alu instid0(VALU_DEP_4) | instskip(NEXT) | instid1(VALU_DEP_4)
	v_fma_f64 v[4:5], v[76:77], v[8:9], -v[4:5]
	v_fmac_f64_e32 v[12:13], v[78:79], v[8:9]
	ds_load_b128 v[8:11], v2 offset:368
	ds_load_b128 v[76:79], v2 offset:384
	v_fmac_f64_e32 v[88:89], v[86:87], v[44:45]
	v_fma_f64 v[44:45], v[84:85], v[44:45], -v[46:47]
	s_wait_loadcnt_dscnt 0x701
	v_mul_f64_e32 v[90:91], v[8:9], v[50:51]
	v_mul_f64_e32 v[50:51], v[10:11], v[50:51]
	s_wait_loadcnt_dscnt 0x600
	v_mul_f64_e32 v[84:85], v[76:77], v[54:55]
	v_mul_f64_e32 v[54:55], v[78:79], v[54:55]
	v_add_f64_e32 v[4:5], 0, v[4:5]
	v_add_f64_e32 v[12:13], 0, v[12:13]
	v_fmac_f64_e32 v[90:91], v[10:11], v[48:49]
	v_fma_f64 v[48:49], v[8:9], v[48:49], -v[50:51]
	v_fmac_f64_e32 v[84:85], v[78:79], v[52:53]
	v_fma_f64 v[52:53], v[76:77], v[52:53], -v[54:55]
	v_add_f64_e32 v[4:5], v[4:5], v[44:45]
	v_add_f64_e32 v[12:13], v[12:13], v[88:89]
	ds_load_b128 v[8:11], v2 offset:400
	ds_load_b128 v[44:47], v2 offset:416
	s_wait_loadcnt_dscnt 0x501
	v_mul_f64_e32 v[86:87], v[8:9], v[58:59]
	v_mul_f64_e32 v[50:51], v[10:11], v[58:59]
	s_wait_loadcnt_dscnt 0x400
	v_mul_f64_e32 v[54:55], v[44:45], v[62:63]
	v_mul_f64_e32 v[58:59], v[46:47], v[62:63]
	v_add_f64_e32 v[4:5], v[4:5], v[48:49]
	v_add_f64_e32 v[12:13], v[12:13], v[90:91]
	v_fmac_f64_e32 v[86:87], v[10:11], v[56:57]
	v_fma_f64 v[56:57], v[8:9], v[56:57], -v[50:51]
	ds_load_b128 v[8:11], v2 offset:432
	ds_load_b128 v[48:51], v2 offset:448
	v_fmac_f64_e32 v[54:55], v[46:47], v[60:61]
	v_fma_f64 v[44:45], v[44:45], v[60:61], -v[58:59]
	v_add_f64_e32 v[4:5], v[4:5], v[52:53]
	v_add_f64_e32 v[12:13], v[12:13], v[84:85]
	s_wait_loadcnt_dscnt 0x301
	v_mul_f64_e32 v[52:53], v[8:9], v[66:67]
	v_mul_f64_e32 v[62:63], v[10:11], v[66:67]
	s_wait_loadcnt_dscnt 0x200
	v_mul_f64_e32 v[46:47], v[48:49], v[70:71]
	v_add_f64_e32 v[4:5], v[4:5], v[56:57]
	v_add_f64_e32 v[12:13], v[12:13], v[86:87]
	v_mul_f64_e32 v[56:57], v[50:51], v[70:71]
	v_fmac_f64_e32 v[52:53], v[10:11], v[64:65]
	v_fma_f64 v[58:59], v[8:9], v[64:65], -v[62:63]
	ds_load_b128 v[8:11], v2 offset:464
	v_fmac_f64_e32 v[46:47], v[50:51], v[68:69]
	v_add_f64_e32 v[4:5], v[4:5], v[44:45]
	v_add_f64_e32 v[12:13], v[12:13], v[54:55]
	s_wait_loadcnt_dscnt 0x100
	v_mul_f64_e32 v[44:45], v[8:9], v[74:75]
	v_mul_f64_e32 v[54:55], v[10:11], v[74:75]
	v_fma_f64 v[48:49], v[48:49], v[68:69], -v[56:57]
	v_add_f64_e32 v[4:5], v[4:5], v[58:59]
	v_add_f64_e32 v[12:13], v[12:13], v[52:53]
	v_fmac_f64_e32 v[44:45], v[10:11], v[72:73]
	v_fma_f64 v[8:9], v[8:9], v[72:73], -v[54:55]
	s_delay_alu instid0(VALU_DEP_4) | instskip(NEXT) | instid1(VALU_DEP_4)
	v_add_f64_e32 v[4:5], v[4:5], v[48:49]
	v_add_f64_e32 v[10:11], v[12:13], v[46:47]
	s_delay_alu instid0(VALU_DEP_2) | instskip(NEXT) | instid1(VALU_DEP_2)
	v_add_f64_e32 v[4:5], v[4:5], v[8:9]
	v_add_f64_e32 v[10:11], v[10:11], v[44:45]
	s_wait_loadcnt 0x0
	s_delay_alu instid0(VALU_DEP_2) | instskip(NEXT) | instid1(VALU_DEP_2)
	v_add_f64_e64 v[8:9], v[80:81], -v[4:5]
	v_add_f64_e64 v[10:11], v[82:83], -v[10:11]
	scratch_store_b128 off, v[8:11], off offset:80
	s_wait_xcnt 0x0
	v_cmpx_lt_u32_e32 4, v1
	s_cbranch_execz .LBB78_95
; %bb.94:
	scratch_load_b128 v[8:11], off, s12
	v_dual_mov_b32 v3, v2 :: v_dual_mov_b32 v4, v2
	v_mov_b32_e32 v5, v2
	scratch_store_b128 off, v[2:5], off offset:64
	s_wait_loadcnt 0x0
	ds_store_b128 v6, v[8:11]
.LBB78_95:
	s_wait_xcnt 0x0
	s_or_b32 exec_lo, exec_lo, s2
	s_wait_storecnt_dscnt 0x0
	s_barrier_signal -1
	s_barrier_wait -1
	s_clause 0x9
	scratch_load_b128 v[8:11], off, off offset:80
	scratch_load_b128 v[44:47], off, off offset:96
	scratch_load_b128 v[48:51], off, off offset:112
	scratch_load_b128 v[52:55], off, off offset:128
	scratch_load_b128 v[56:59], off, off offset:144
	scratch_load_b128 v[60:63], off, off offset:160
	scratch_load_b128 v[64:67], off, off offset:176
	scratch_load_b128 v[68:71], off, off offset:192
	scratch_load_b128 v[72:75], off, off offset:208
	scratch_load_b128 v[76:79], off, off offset:224
	ds_load_b128 v[80:83], v2 offset:320
	ds_load_b128 v[84:87], v2 offset:336
	scratch_load_b128 v[88:91], off, off offset:64
	s_mov_b32 s2, exec_lo
	s_wait_loadcnt_dscnt 0xa01
	v_mul_f64_e32 v[4:5], v[82:83], v[10:11]
	v_mul_f64_e32 v[12:13], v[80:81], v[10:11]
	s_wait_loadcnt_dscnt 0x900
	v_mul_f64_e32 v[92:93], v[84:85], v[46:47]
	v_mul_f64_e32 v[46:47], v[86:87], v[46:47]
	s_delay_alu instid0(VALU_DEP_4) | instskip(NEXT) | instid1(VALU_DEP_4)
	v_fma_f64 v[4:5], v[80:81], v[8:9], -v[4:5]
	v_fmac_f64_e32 v[12:13], v[82:83], v[8:9]
	ds_load_b128 v[8:11], v2 offset:352
	ds_load_b128 v[80:83], v2 offset:368
	v_fmac_f64_e32 v[92:93], v[86:87], v[44:45]
	v_fma_f64 v[44:45], v[84:85], v[44:45], -v[46:47]
	s_wait_loadcnt_dscnt 0x801
	v_mul_f64_e32 v[94:95], v[8:9], v[50:51]
	v_mul_f64_e32 v[50:51], v[10:11], v[50:51]
	s_wait_loadcnt_dscnt 0x700
	v_mul_f64_e32 v[84:85], v[80:81], v[54:55]
	v_mul_f64_e32 v[54:55], v[82:83], v[54:55]
	v_add_f64_e32 v[4:5], 0, v[4:5]
	v_add_f64_e32 v[12:13], 0, v[12:13]
	v_fmac_f64_e32 v[94:95], v[10:11], v[48:49]
	v_fma_f64 v[48:49], v[8:9], v[48:49], -v[50:51]
	v_fmac_f64_e32 v[84:85], v[82:83], v[52:53]
	v_fma_f64 v[52:53], v[80:81], v[52:53], -v[54:55]
	v_add_f64_e32 v[4:5], v[4:5], v[44:45]
	v_add_f64_e32 v[12:13], v[12:13], v[92:93]
	ds_load_b128 v[8:11], v2 offset:384
	ds_load_b128 v[44:47], v2 offset:400
	s_wait_loadcnt_dscnt 0x601
	v_mul_f64_e32 v[86:87], v[8:9], v[58:59]
	v_mul_f64_e32 v[50:51], v[10:11], v[58:59]
	s_wait_loadcnt_dscnt 0x500
	v_mul_f64_e32 v[54:55], v[44:45], v[62:63]
	v_mul_f64_e32 v[58:59], v[46:47], v[62:63]
	v_add_f64_e32 v[4:5], v[4:5], v[48:49]
	v_add_f64_e32 v[12:13], v[12:13], v[94:95]
	v_fmac_f64_e32 v[86:87], v[10:11], v[56:57]
	v_fma_f64 v[56:57], v[8:9], v[56:57], -v[50:51]
	ds_load_b128 v[8:11], v2 offset:416
	ds_load_b128 v[48:51], v2 offset:432
	v_fmac_f64_e32 v[54:55], v[46:47], v[60:61]
	v_fma_f64 v[44:45], v[44:45], v[60:61], -v[58:59]
	v_add_f64_e32 v[4:5], v[4:5], v[52:53]
	v_add_f64_e32 v[12:13], v[12:13], v[84:85]
	s_wait_loadcnt_dscnt 0x401
	v_mul_f64_e32 v[52:53], v[8:9], v[66:67]
	v_mul_f64_e32 v[62:63], v[10:11], v[66:67]
	s_wait_loadcnt_dscnt 0x300
	v_mul_f64_e32 v[46:47], v[48:49], v[70:71]
	v_add_f64_e32 v[4:5], v[4:5], v[56:57]
	v_add_f64_e32 v[12:13], v[12:13], v[86:87]
	v_mul_f64_e32 v[56:57], v[50:51], v[70:71]
	v_fmac_f64_e32 v[52:53], v[10:11], v[64:65]
	v_fma_f64 v[58:59], v[8:9], v[64:65], -v[62:63]
	v_fmac_f64_e32 v[46:47], v[50:51], v[68:69]
	v_add_f64_e32 v[44:45], v[4:5], v[44:45]
	v_add_f64_e32 v[12:13], v[12:13], v[54:55]
	ds_load_b128 v[8:11], v2 offset:448
	ds_load_b128 v[2:5], v2 offset:464
	v_fma_f64 v[48:49], v[48:49], v[68:69], -v[56:57]
	s_wait_loadcnt_dscnt 0x201
	v_mul_f64_e32 v[54:55], v[8:9], v[74:75]
	v_mul_f64_e32 v[60:61], v[10:11], v[74:75]
	s_wait_loadcnt_dscnt 0x100
	v_mul_f64_e32 v[50:51], v[2:3], v[78:79]
	v_add_f64_e32 v[44:45], v[44:45], v[58:59]
	v_add_f64_e32 v[12:13], v[12:13], v[52:53]
	v_mul_f64_e32 v[52:53], v[4:5], v[78:79]
	v_fmac_f64_e32 v[54:55], v[10:11], v[72:73]
	v_fma_f64 v[8:9], v[8:9], v[72:73], -v[60:61]
	v_fmac_f64_e32 v[50:51], v[4:5], v[76:77]
	v_add_f64_e32 v[10:11], v[44:45], v[48:49]
	v_add_f64_e32 v[12:13], v[12:13], v[46:47]
	v_fma_f64 v[2:3], v[2:3], v[76:77], -v[52:53]
	s_delay_alu instid0(VALU_DEP_3) | instskip(NEXT) | instid1(VALU_DEP_3)
	v_add_f64_e32 v[4:5], v[10:11], v[8:9]
	v_add_f64_e32 v[8:9], v[12:13], v[54:55]
	s_delay_alu instid0(VALU_DEP_2) | instskip(NEXT) | instid1(VALU_DEP_2)
	v_add_f64_e32 v[2:3], v[4:5], v[2:3]
	v_add_f64_e32 v[4:5], v[8:9], v[50:51]
	s_wait_loadcnt 0x0
	s_delay_alu instid0(VALU_DEP_2) | instskip(NEXT) | instid1(VALU_DEP_2)
	v_add_f64_e64 v[2:3], v[88:89], -v[2:3]
	v_add_f64_e64 v[4:5], v[90:91], -v[4:5]
	scratch_store_b128 off, v[2:5], off offset:64
	s_wait_xcnt 0x0
	v_cmpx_lt_u32_e32 3, v1
	s_cbranch_execz .LBB78_97
; %bb.96:
	scratch_load_b128 v[2:5], off, s18
	v_mov_b32_e32 v8, 0
	s_delay_alu instid0(VALU_DEP_1)
	v_dual_mov_b32 v9, v8 :: v_dual_mov_b32 v10, v8
	v_mov_b32_e32 v11, v8
	scratch_store_b128 off, v[8:11], off offset:48
	s_wait_loadcnt 0x0
	ds_store_b128 v6, v[2:5]
.LBB78_97:
	s_wait_xcnt 0x0
	s_or_b32 exec_lo, exec_lo, s2
	s_wait_storecnt_dscnt 0x0
	s_barrier_signal -1
	s_barrier_wait -1
	s_clause 0x9
	scratch_load_b128 v[8:11], off, off offset:64
	scratch_load_b128 v[44:47], off, off offset:80
	;; [unrolled: 1-line block ×10, first 2 shown]
	v_mov_b32_e32 v2, 0
	s_mov_b32 s2, exec_lo
	ds_load_b128 v[80:83], v2 offset:304
	s_clause 0x1
	scratch_load_b128 v[84:87], off, off offset:224
	scratch_load_b128 v[88:91], off, off offset:48
	s_wait_loadcnt_dscnt 0xb00
	v_mul_f64_e32 v[4:5], v[82:83], v[10:11]
	v_mul_f64_e32 v[12:13], v[80:81], v[10:11]
	ds_load_b128 v[92:95], v2 offset:320
	s_wait_loadcnt_dscnt 0xa00
	v_mul_f64_e32 v[96:97], v[92:93], v[46:47]
	v_mul_f64_e32 v[46:47], v[94:95], v[46:47]
	v_fma_f64 v[4:5], v[80:81], v[8:9], -v[4:5]
	v_fmac_f64_e32 v[12:13], v[82:83], v[8:9]
	ds_load_b128 v[8:11], v2 offset:336
	ds_load_b128 v[80:83], v2 offset:352
	s_wait_loadcnt_dscnt 0x901
	v_mul_f64_e32 v[98:99], v[8:9], v[50:51]
	v_mul_f64_e32 v[50:51], v[10:11], v[50:51]
	v_fmac_f64_e32 v[96:97], v[94:95], v[44:45]
	v_fma_f64 v[44:45], v[92:93], v[44:45], -v[46:47]
	s_wait_loadcnt_dscnt 0x800
	v_mul_f64_e32 v[92:93], v[80:81], v[54:55]
	v_mul_f64_e32 v[54:55], v[82:83], v[54:55]
	v_add_f64_e32 v[4:5], 0, v[4:5]
	v_add_f64_e32 v[12:13], 0, v[12:13]
	v_fmac_f64_e32 v[98:99], v[10:11], v[48:49]
	v_fma_f64 v[48:49], v[8:9], v[48:49], -v[50:51]
	v_fmac_f64_e32 v[92:93], v[82:83], v[52:53]
	v_fma_f64 v[52:53], v[80:81], v[52:53], -v[54:55]
	v_add_f64_e32 v[4:5], v[4:5], v[44:45]
	v_add_f64_e32 v[12:13], v[12:13], v[96:97]
	ds_load_b128 v[8:11], v2 offset:368
	ds_load_b128 v[44:47], v2 offset:384
	s_wait_loadcnt_dscnt 0x701
	v_mul_f64_e32 v[94:95], v[8:9], v[58:59]
	v_mul_f64_e32 v[50:51], v[10:11], v[58:59]
	s_wait_loadcnt_dscnt 0x600
	v_mul_f64_e32 v[54:55], v[44:45], v[62:63]
	v_mul_f64_e32 v[58:59], v[46:47], v[62:63]
	v_add_f64_e32 v[4:5], v[4:5], v[48:49]
	v_add_f64_e32 v[12:13], v[12:13], v[98:99]
	v_fmac_f64_e32 v[94:95], v[10:11], v[56:57]
	v_fma_f64 v[56:57], v[8:9], v[56:57], -v[50:51]
	ds_load_b128 v[8:11], v2 offset:400
	ds_load_b128 v[48:51], v2 offset:416
	v_fmac_f64_e32 v[54:55], v[46:47], v[60:61]
	v_fma_f64 v[44:45], v[44:45], v[60:61], -v[58:59]
	v_add_f64_e32 v[4:5], v[4:5], v[52:53]
	v_add_f64_e32 v[12:13], v[12:13], v[92:93]
	s_wait_loadcnt_dscnt 0x501
	v_mul_f64_e32 v[52:53], v[8:9], v[66:67]
	v_mul_f64_e32 v[62:63], v[10:11], v[66:67]
	s_wait_loadcnt_dscnt 0x400
	v_mul_f64_e32 v[58:59], v[50:51], v[70:71]
	v_add_f64_e32 v[4:5], v[4:5], v[56:57]
	v_add_f64_e32 v[12:13], v[12:13], v[94:95]
	v_mul_f64_e32 v[56:57], v[48:49], v[70:71]
	v_fmac_f64_e32 v[52:53], v[10:11], v[64:65]
	v_fma_f64 v[60:61], v[8:9], v[64:65], -v[62:63]
	v_fma_f64 v[48:49], v[48:49], v[68:69], -v[58:59]
	v_add_f64_e32 v[4:5], v[4:5], v[44:45]
	v_add_f64_e32 v[12:13], v[12:13], v[54:55]
	ds_load_b128 v[8:11], v2 offset:432
	ds_load_b128 v[44:47], v2 offset:448
	v_fmac_f64_e32 v[56:57], v[50:51], v[68:69]
	s_wait_loadcnt_dscnt 0x301
	v_mul_f64_e32 v[54:55], v[8:9], v[74:75]
	v_mul_f64_e32 v[62:63], v[10:11], v[74:75]
	s_wait_loadcnt_dscnt 0x200
	v_mul_f64_e32 v[50:51], v[44:45], v[78:79]
	v_add_f64_e32 v[4:5], v[4:5], v[60:61]
	v_add_f64_e32 v[12:13], v[12:13], v[52:53]
	v_mul_f64_e32 v[52:53], v[46:47], v[78:79]
	v_fmac_f64_e32 v[54:55], v[10:11], v[72:73]
	v_fma_f64 v[58:59], v[8:9], v[72:73], -v[62:63]
	ds_load_b128 v[8:11], v2 offset:464
	v_fmac_f64_e32 v[50:51], v[46:47], v[76:77]
	v_add_f64_e32 v[4:5], v[4:5], v[48:49]
	v_add_f64_e32 v[12:13], v[12:13], v[56:57]
	v_fma_f64 v[44:45], v[44:45], v[76:77], -v[52:53]
	s_wait_loadcnt_dscnt 0x100
	v_mul_f64_e32 v[48:49], v[8:9], v[86:87]
	v_mul_f64_e32 v[56:57], v[10:11], v[86:87]
	v_add_f64_e32 v[4:5], v[4:5], v[58:59]
	v_add_f64_e32 v[12:13], v[12:13], v[54:55]
	s_delay_alu instid0(VALU_DEP_4) | instskip(NEXT) | instid1(VALU_DEP_4)
	v_fmac_f64_e32 v[48:49], v[10:11], v[84:85]
	v_fma_f64 v[8:9], v[8:9], v[84:85], -v[56:57]
	s_delay_alu instid0(VALU_DEP_4) | instskip(NEXT) | instid1(VALU_DEP_4)
	v_add_f64_e32 v[4:5], v[4:5], v[44:45]
	v_add_f64_e32 v[10:11], v[12:13], v[50:51]
	s_delay_alu instid0(VALU_DEP_2) | instskip(NEXT) | instid1(VALU_DEP_2)
	v_add_f64_e32 v[4:5], v[4:5], v[8:9]
	v_add_f64_e32 v[10:11], v[10:11], v[48:49]
	s_wait_loadcnt 0x0
	s_delay_alu instid0(VALU_DEP_2) | instskip(NEXT) | instid1(VALU_DEP_2)
	v_add_f64_e64 v[8:9], v[88:89], -v[4:5]
	v_add_f64_e64 v[10:11], v[90:91], -v[10:11]
	scratch_store_b128 off, v[8:11], off offset:48
	s_wait_xcnt 0x0
	v_cmpx_lt_u32_e32 2, v1
	s_cbranch_execz .LBB78_99
; %bb.98:
	scratch_load_b128 v[8:11], off, s24
	v_dual_mov_b32 v3, v2 :: v_dual_mov_b32 v4, v2
	v_mov_b32_e32 v5, v2
	scratch_store_b128 off, v[2:5], off offset:32
	s_wait_loadcnt 0x0
	ds_store_b128 v6, v[8:11]
.LBB78_99:
	s_wait_xcnt 0x0
	s_or_b32 exec_lo, exec_lo, s2
	s_wait_storecnt_dscnt 0x0
	s_barrier_signal -1
	s_barrier_wait -1
	s_clause 0x9
	scratch_load_b128 v[8:11], off, off offset:48
	scratch_load_b128 v[44:47], off, off offset:64
	;; [unrolled: 1-line block ×10, first 2 shown]
	ds_load_b128 v[80:83], v2 offset:288
	ds_load_b128 v[88:91], v2 offset:304
	s_clause 0x1
	scratch_load_b128 v[84:87], off, off offset:208
	scratch_load_b128 v[92:95], off, off offset:32
	s_mov_b32 s2, exec_lo
	v_ashrrev_i32_e32 v21, 31, v20
	v_ashrrev_i32_e32 v25, 31, v24
	;; [unrolled: 1-line block ×3, first 2 shown]
	v_dual_ashrrev_i32 v33, 31, v32 :: v_dual_ashrrev_i32 v19, 31, v18
	v_dual_ashrrev_i32 v23, 31, v22 :: v_dual_ashrrev_i32 v37, 31, v36
	;; [unrolled: 1-line block ×3, first 2 shown]
	v_ashrrev_i32_e32 v31, 31, v30
	v_ashrrev_i32_e32 v35, 31, v34
	;; [unrolled: 1-line block ×4, first 2 shown]
	s_wait_loadcnt_dscnt 0xb01
	v_mul_f64_e32 v[4:5], v[82:83], v[10:11]
	v_mul_f64_e32 v[100:101], v[80:81], v[10:11]
	scratch_load_b128 v[10:13], off, off offset:224
	s_wait_loadcnt_dscnt 0xb00
	v_mul_f64_e32 v[102:103], v[88:89], v[46:47]
	v_mul_f64_e32 v[46:47], v[90:91], v[46:47]
	v_fma_f64 v[4:5], v[80:81], v[8:9], -v[4:5]
	v_fmac_f64_e32 v[100:101], v[82:83], v[8:9]
	ds_load_b128 v[80:83], v2 offset:320
	ds_load_b128 v[96:99], v2 offset:336
	v_fmac_f64_e32 v[102:103], v[90:91], v[44:45]
	v_fma_f64 v[44:45], v[88:89], v[44:45], -v[46:47]
	s_wait_loadcnt_dscnt 0xa01
	v_mul_f64_e32 v[8:9], v[80:81], v[50:51]
	v_mul_f64_e32 v[50:51], v[82:83], v[50:51]
	s_wait_loadcnt_dscnt 0x900
	v_mul_f64_e32 v[88:89], v[96:97], v[54:55]
	v_mul_f64_e32 v[54:55], v[98:99], v[54:55]
	v_add_f64_e32 v[4:5], 0, v[4:5]
	v_add_f64_e32 v[46:47], 0, v[100:101]
	v_fmac_f64_e32 v[8:9], v[82:83], v[48:49]
	v_fma_f64 v[80:81], v[80:81], v[48:49], -v[50:51]
	v_fmac_f64_e32 v[88:89], v[98:99], v[52:53]
	v_fma_f64 v[52:53], v[96:97], v[52:53], -v[54:55]
	v_add_f64_e32 v[4:5], v[4:5], v[44:45]
	v_add_f64_e32 v[82:83], v[46:47], v[102:103]
	ds_load_b128 v[44:47], v2 offset:352
	ds_load_b128 v[48:51], v2 offset:368
	s_wait_loadcnt_dscnt 0x801
	v_mul_f64_e32 v[90:91], v[44:45], v[58:59]
	v_mul_f64_e32 v[58:59], v[46:47], v[58:59]
	v_add_f64_e32 v[4:5], v[4:5], v[80:81]
	v_add_f64_e32 v[8:9], v[82:83], v[8:9]
	s_wait_loadcnt_dscnt 0x700
	v_mul_f64_e32 v[80:81], v[48:49], v[62:63]
	v_mul_f64_e32 v[62:63], v[50:51], v[62:63]
	v_fmac_f64_e32 v[90:91], v[46:47], v[56:57]
	v_fma_f64 v[56:57], v[44:45], v[56:57], -v[58:59]
	v_add_f64_e32 v[4:5], v[4:5], v[52:53]
	v_add_f64_e32 v[8:9], v[8:9], v[88:89]
	ds_load_b128 v[44:47], v2 offset:384
	ds_load_b128 v[52:55], v2 offset:400
	v_fmac_f64_e32 v[80:81], v[50:51], v[60:61]
	v_fma_f64 v[48:49], v[48:49], v[60:61], -v[62:63]
	s_wait_loadcnt_dscnt 0x601
	v_mul_f64_e32 v[58:59], v[44:45], v[66:67]
	v_mul_f64_e32 v[66:67], v[46:47], v[66:67]
	s_wait_loadcnt_dscnt 0x500
	v_mul_f64_e32 v[60:61], v[54:55], v[70:71]
	v_add_f64_e32 v[4:5], v[4:5], v[56:57]
	v_add_f64_e32 v[8:9], v[8:9], v[90:91]
	v_mul_f64_e32 v[56:57], v[52:53], v[70:71]
	v_fmac_f64_e32 v[58:59], v[46:47], v[64:65]
	v_fma_f64 v[62:63], v[44:45], v[64:65], -v[66:67]
	v_fma_f64 v[52:53], v[52:53], v[68:69], -v[60:61]
	v_add_f64_e32 v[4:5], v[4:5], v[48:49]
	v_add_f64_e32 v[8:9], v[8:9], v[80:81]
	ds_load_b128 v[44:47], v2 offset:416
	ds_load_b128 v[48:51], v2 offset:432
	v_fmac_f64_e32 v[56:57], v[54:55], v[68:69]
	s_wait_loadcnt_dscnt 0x401
	v_mul_f64_e32 v[64:65], v[44:45], v[74:75]
	v_mul_f64_e32 v[66:67], v[46:47], v[74:75]
	s_wait_loadcnt_dscnt 0x300
	v_mul_f64_e32 v[54:55], v[48:49], v[78:79]
	v_add_f64_e32 v[4:5], v[4:5], v[62:63]
	v_add_f64_e32 v[8:9], v[8:9], v[58:59]
	v_mul_f64_e32 v[58:59], v[50:51], v[78:79]
	v_fmac_f64_e32 v[64:65], v[46:47], v[72:73]
	v_fma_f64 v[60:61], v[44:45], v[72:73], -v[66:67]
	v_fmac_f64_e32 v[54:55], v[50:51], v[76:77]
	v_add_f64_e32 v[52:53], v[4:5], v[52:53]
	v_add_f64_e32 v[8:9], v[8:9], v[56:57]
	ds_load_b128 v[44:47], v2 offset:448
	ds_load_b128 v[2:5], v2 offset:464
	v_fma_f64 v[48:49], v[48:49], v[76:77], -v[58:59]
	s_wait_loadcnt_dscnt 0x201
	v_mul_f64_e32 v[56:57], v[44:45], v[86:87]
	v_mul_f64_e32 v[62:63], v[46:47], v[86:87]
	v_add_f64_e32 v[50:51], v[52:53], v[60:61]
	v_add_f64_e32 v[8:9], v[8:9], v[64:65]
	s_wait_loadcnt_dscnt 0x0
	v_mul_f64_e32 v[52:53], v[2:3], v[12:13]
	v_mul_f64_e32 v[12:13], v[4:5], v[12:13]
	v_fmac_f64_e32 v[56:57], v[46:47], v[84:85]
	v_fma_f64 v[44:45], v[44:45], v[84:85], -v[62:63]
	v_add_f64_e32 v[46:47], v[50:51], v[48:49]
	v_add_f64_e32 v[8:9], v[8:9], v[54:55]
	v_fmac_f64_e32 v[52:53], v[4:5], v[10:11]
	v_fma_f64 v[2:3], v[2:3], v[10:11], -v[12:13]
	s_delay_alu instid0(VALU_DEP_4) | instskip(NEXT) | instid1(VALU_DEP_4)
	v_add_f64_e32 v[4:5], v[46:47], v[44:45]
	v_add_f64_e32 v[8:9], v[8:9], v[56:57]
	s_delay_alu instid0(VALU_DEP_2) | instskip(NEXT) | instid1(VALU_DEP_2)
	v_add_f64_e32 v[2:3], v[4:5], v[2:3]
	v_add_f64_e32 v[4:5], v[8:9], v[52:53]
	s_delay_alu instid0(VALU_DEP_2) | instskip(NEXT) | instid1(VALU_DEP_2)
	v_add_f64_e64 v[2:3], v[92:93], -v[2:3]
	v_add_f64_e64 v[4:5], v[94:95], -v[4:5]
	scratch_store_b128 off, v[2:5], off offset:32
	s_wait_xcnt 0x0
	v_cmpx_lt_u32_e32 1, v1
	s_cbranch_execz .LBB78_101
; %bb.100:
	scratch_load_b128 v[2:5], off, s25
	v_mov_b32_e32 v8, 0
	s_delay_alu instid0(VALU_DEP_1)
	v_dual_mov_b32 v9, v8 :: v_dual_mov_b32 v10, v8
	v_mov_b32_e32 v11, v8
	scratch_store_b128 off, v[8:11], off offset:16
	s_wait_loadcnt 0x0
	ds_store_b128 v6, v[2:5]
.LBB78_101:
	s_wait_xcnt 0x0
	s_or_b32 exec_lo, exec_lo, s2
	s_wait_storecnt_dscnt 0x0
	s_barrier_signal -1
	s_barrier_wait -1
	s_clause 0x9
	scratch_load_b128 v[8:11], off, off offset:32
	scratch_load_b128 v[44:47], off, off offset:48
	;; [unrolled: 1-line block ×10, first 2 shown]
	v_mov_b32_e32 v2, 0
	s_clause 0x2
	scratch_load_b128 v[84:87], off, off offset:192
	scratch_load_b128 v[88:91], off, off offset:208
	;; [unrolled: 1-line block ×3, first 2 shown]
	s_mov_b32 s2, exec_lo
	ds_load_b128 v[80:83], v2 offset:272
	s_wait_loadcnt_dscnt 0xc00
	v_mul_f64_e32 v[4:5], v[82:83], v[10:11]
	v_mul_f64_e32 v[96:97], v[80:81], v[10:11]
	ds_load_b128 v[10:13], v2 offset:288
	v_fma_f64 v[4:5], v[80:81], v[8:9], -v[4:5]
	v_fmac_f64_e32 v[96:97], v[82:83], v[8:9]
	ds_load_b128 v[80:83], v2 offset:304
	s_wait_loadcnt_dscnt 0xb01
	v_mul_f64_e32 v[98:99], v[10:11], v[46:47]
	v_mul_f64_e32 v[46:47], v[12:13], v[46:47]
	s_wait_loadcnt_dscnt 0xa00
	v_mul_f64_e32 v[100:101], v[80:81], v[50:51]
	v_mul_f64_e32 v[50:51], v[82:83], v[50:51]
	v_add_f64_e32 v[4:5], 0, v[4:5]
	v_fmac_f64_e32 v[98:99], v[12:13], v[44:45]
	v_fma_f64 v[12:13], v[10:11], v[44:45], -v[46:47]
	v_add_f64_e32 v[44:45], 0, v[96:97]
	ds_load_b128 v[8:11], v2 offset:320
	v_fmac_f64_e32 v[100:101], v[82:83], v[48:49]
	v_fma_f64 v[48:49], v[80:81], v[48:49], -v[50:51]
	v_add_f64_e32 v[4:5], v[4:5], v[12:13]
	v_add_f64_e32 v[12:13], v[44:45], v[98:99]
	ds_load_b128 v[44:47], v2 offset:336
	s_wait_loadcnt_dscnt 0x901
	v_mul_f64_e32 v[96:97], v[8:9], v[54:55]
	v_mul_f64_e32 v[54:55], v[10:11], v[54:55]
	s_wait_loadcnt_dscnt 0x800
	v_mul_f64_e32 v[80:81], v[44:45], v[58:59]
	v_mul_f64_e32 v[58:59], v[46:47], v[58:59]
	v_add_f64_e32 v[4:5], v[4:5], v[48:49]
	v_add_f64_e32 v[12:13], v[12:13], v[100:101]
	scratch_load_b128 v[48:51], off, off offset:16
	v_fmac_f64_e32 v[96:97], v[10:11], v[52:53]
	v_fma_f64 v[52:53], v[8:9], v[52:53], -v[54:55]
	ds_load_b128 v[8:11], v2 offset:352
	v_fmac_f64_e32 v[80:81], v[46:47], v[56:57]
	v_fma_f64 v[56:57], v[44:45], v[56:57], -v[58:59]
	ds_load_b128 v[44:47], v2 offset:368
	s_wait_loadcnt_dscnt 0x801
	v_mul_f64_e32 v[54:55], v[8:9], v[62:63]
	v_mul_f64_e32 v[62:63], v[10:11], v[62:63]
	v_add_f64_e32 v[12:13], v[12:13], v[96:97]
	v_add_f64_e32 v[4:5], v[4:5], v[52:53]
	s_wait_loadcnt_dscnt 0x700
	v_mul_f64_e32 v[52:53], v[44:45], v[66:67]
	v_mul_f64_e32 v[58:59], v[46:47], v[66:67]
	v_fmac_f64_e32 v[54:55], v[10:11], v[60:61]
	v_fma_f64 v[60:61], v[8:9], v[60:61], -v[62:63]
	ds_load_b128 v[8:11], v2 offset:384
	v_add_f64_e32 v[12:13], v[12:13], v[80:81]
	v_add_f64_e32 v[4:5], v[4:5], v[56:57]
	v_fmac_f64_e32 v[52:53], v[46:47], v[64:65]
	v_fma_f64 v[58:59], v[44:45], v[64:65], -v[58:59]
	ds_load_b128 v[44:47], v2 offset:400
	s_wait_loadcnt_dscnt 0x601
	v_mul_f64_e32 v[56:57], v[8:9], v[70:71]
	v_mul_f64_e32 v[62:63], v[10:11], v[70:71]
	v_add_f64_e32 v[12:13], v[12:13], v[54:55]
	v_add_f64_e32 v[4:5], v[4:5], v[60:61]
	s_wait_loadcnt_dscnt 0x500
	v_mul_f64_e32 v[54:55], v[44:45], v[74:75]
	v_mul_f64_e32 v[60:61], v[46:47], v[74:75]
	v_fmac_f64_e32 v[56:57], v[10:11], v[68:69]
	v_fma_f64 v[62:63], v[8:9], v[68:69], -v[62:63]
	ds_load_b128 v[8:11], v2 offset:416
	v_add_f64_e32 v[12:13], v[12:13], v[52:53]
	v_add_f64_e32 v[4:5], v[4:5], v[58:59]
	;; [unrolled: 16-line block ×3, first 2 shown]
	v_fmac_f64_e32 v[56:57], v[46:47], v[84:85]
	v_fma_f64 v[62:63], v[44:45], v[84:85], -v[62:63]
	ds_load_b128 v[44:47], v2 offset:464
	s_wait_loadcnt_dscnt 0x201
	v_mul_f64_e32 v[54:55], v[8:9], v[90:91]
	v_mul_f64_e32 v[60:61], v[10:11], v[90:91]
	v_add_f64_e32 v[12:13], v[12:13], v[52:53]
	v_add_f64_e32 v[4:5], v[4:5], v[58:59]
	s_wait_loadcnt_dscnt 0x100
	v_mul_f64_e32 v[52:53], v[44:45], v[94:95]
	v_mul_f64_e32 v[58:59], v[46:47], v[94:95]
	v_fmac_f64_e32 v[54:55], v[10:11], v[88:89]
	v_fma_f64 v[8:9], v[8:9], v[88:89], -v[60:61]
	v_add_f64_e32 v[10:11], v[12:13], v[56:57]
	v_add_f64_e32 v[4:5], v[4:5], v[62:63]
	v_fmac_f64_e32 v[52:53], v[46:47], v[92:93]
	v_fma_f64 v[12:13], v[44:45], v[92:93], -v[58:59]
	s_delay_alu instid0(VALU_DEP_3) | instskip(SKIP_1) | instid1(VALU_DEP_2)
	v_add_f64_e32 v[4:5], v[4:5], v[8:9]
	v_add_f64_e32 v[8:9], v[10:11], v[54:55]
	;; [unrolled: 1-line block ×3, first 2 shown]
	s_delay_alu instid0(VALU_DEP_2) | instskip(SKIP_1) | instid1(VALU_DEP_2)
	v_add_f64_e32 v[10:11], v[8:9], v[52:53]
	s_wait_loadcnt 0x0
	v_add_f64_e64 v[8:9], v[48:49], -v[4:5]
	s_delay_alu instid0(VALU_DEP_2)
	v_add_f64_e64 v[10:11], v[50:51], -v[10:11]
	scratch_store_b128 off, v[8:11], off offset:16
	s_wait_xcnt 0x0
	v_cmpx_ne_u32_e32 0, v1
	s_cbranch_execz .LBB78_103
; %bb.102:
	scratch_load_b128 v[8:11], off, off
	v_dual_mov_b32 v3, v2 :: v_dual_mov_b32 v4, v2
	v_mov_b32_e32 v5, v2
	scratch_store_b128 off, v[2:5], off
	s_wait_loadcnt 0x0
	ds_store_b128 v6, v[8:11]
.LBB78_103:
	s_wait_xcnt 0x0
	s_or_b32 exec_lo, exec_lo, s2
	s_wait_storecnt_dscnt 0x0
	s_barrier_signal -1
	s_barrier_wait -1
	s_clause 0x9
	scratch_load_b128 v[4:7], off, off offset:16
	scratch_load_b128 v[8:11], off, off offset:32
	scratch_load_b128 v[44:47], off, off offset:48
	scratch_load_b128 v[48:51], off, off offset:64
	scratch_load_b128 v[52:55], off, off offset:80
	scratch_load_b128 v[56:59], off, off offset:96
	scratch_load_b128 v[60:63], off, off offset:112
	scratch_load_b128 v[64:67], off, off offset:128
	scratch_load_b128 v[68:71], off, off offset:144
	scratch_load_b128 v[72:75], off, off offset:160
	ds_load_b128 v[76:79], v2 offset:256
	ds_load_b128 v[84:87], v2 offset:272
	s_clause 0x2
	scratch_load_b128 v[80:83], off, off offset:176
	scratch_load_b128 v[88:91], off, off
	scratch_load_b128 v[92:95], off, off offset:192
	v_lshl_add_u64 v[24:25], v[24:25], 4, s[4:5]
	s_and_b32 vcc_lo, exec_lo, s26
	s_wait_loadcnt_dscnt 0xc01
	v_mul_f64_e32 v[12:13], v[78:79], v[6:7]
	v_mul_f64_e32 v[96:97], v[76:77], v[6:7]
	s_wait_loadcnt_dscnt 0xb00
	v_mul_f64_e32 v[98:99], v[84:85], v[10:11]
	v_mul_f64_e32 v[100:101], v[86:87], v[10:11]
	s_delay_alu instid0(VALU_DEP_4) | instskip(NEXT) | instid1(VALU_DEP_4)
	v_fma_f64 v[102:103], v[76:77], v[4:5], -v[12:13]
	v_fmac_f64_e32 v[96:97], v[78:79], v[4:5]
	ds_load_b128 v[4:7], v2 offset:288
	ds_load_b128 v[10:13], v2 offset:304
	scratch_load_b128 v[76:79], off, off offset:208
	v_fmac_f64_e32 v[98:99], v[86:87], v[8:9]
	v_fma_f64 v[8:9], v[84:85], v[8:9], -v[100:101]
	scratch_load_b128 v[84:87], off, off offset:224
	s_wait_loadcnt_dscnt 0xc01
	v_mul_f64_e32 v[104:105], v[4:5], v[46:47]
	v_mul_f64_e32 v[46:47], v[6:7], v[46:47]
	v_add_f64_e32 v[100:101], 0, v[102:103]
	v_add_f64_e32 v[96:97], 0, v[96:97]
	s_wait_loadcnt_dscnt 0xb00
	v_mul_f64_e32 v[102:103], v[10:11], v[50:51]
	v_mul_f64_e32 v[50:51], v[12:13], v[50:51]
	v_fmac_f64_e32 v[104:105], v[6:7], v[44:45]
	v_fma_f64 v[106:107], v[4:5], v[44:45], -v[46:47]
	ds_load_b128 v[4:7], v2 offset:320
	ds_load_b128 v[44:47], v2 offset:336
	v_add_f64_e32 v[8:9], v[100:101], v[8:9]
	v_add_f64_e32 v[96:97], v[96:97], v[98:99]
	v_fmac_f64_e32 v[102:103], v[12:13], v[48:49]
	v_fma_f64 v[10:11], v[10:11], v[48:49], -v[50:51]
	s_wait_loadcnt_dscnt 0xa01
	v_mul_f64_e32 v[98:99], v[4:5], v[54:55]
	v_mul_f64_e32 v[54:55], v[6:7], v[54:55]
	s_wait_loadcnt_dscnt 0x900
	v_mul_f64_e32 v[48:49], v[44:45], v[58:59]
	v_mul_f64_e32 v[50:51], v[46:47], v[58:59]
	v_add_f64_e32 v[8:9], v[8:9], v[106:107]
	v_add_f64_e32 v[12:13], v[96:97], v[104:105]
	v_fmac_f64_e32 v[98:99], v[6:7], v[52:53]
	v_fma_f64 v[52:53], v[4:5], v[52:53], -v[54:55]
	v_fmac_f64_e32 v[48:49], v[46:47], v[56:57]
	v_fma_f64 v[44:45], v[44:45], v[56:57], -v[50:51]
	v_add_f64_e32 v[54:55], v[8:9], v[10:11]
	v_add_f64_e32 v[12:13], v[12:13], v[102:103]
	ds_load_b128 v[4:7], v2 offset:352
	ds_load_b128 v[8:11], v2 offset:368
	s_wait_loadcnt_dscnt 0x801
	v_mul_f64_e32 v[58:59], v[4:5], v[62:63]
	v_mul_f64_e32 v[62:63], v[6:7], v[62:63]
	s_wait_loadcnt_dscnt 0x700
	v_mul_f64_e32 v[50:51], v[8:9], v[66:67]
	v_add_f64_e32 v[46:47], v[54:55], v[52:53]
	v_add_f64_e32 v[12:13], v[12:13], v[98:99]
	v_mul_f64_e32 v[52:53], v[10:11], v[66:67]
	v_fmac_f64_e32 v[58:59], v[6:7], v[60:61]
	v_fma_f64 v[54:55], v[4:5], v[60:61], -v[62:63]
	v_fmac_f64_e32 v[50:51], v[10:11], v[64:65]
	v_add_f64_e32 v[56:57], v[46:47], v[44:45]
	v_add_f64_e32 v[12:13], v[12:13], v[48:49]
	ds_load_b128 v[4:7], v2 offset:384
	ds_load_b128 v[44:47], v2 offset:400
	v_fma_f64 v[8:9], v[8:9], v[64:65], -v[52:53]
	s_wait_loadcnt_dscnt 0x601
	v_mul_f64_e32 v[48:49], v[4:5], v[70:71]
	v_mul_f64_e32 v[60:61], v[6:7], v[70:71]
	s_wait_loadcnt_dscnt 0x500
	v_mul_f64_e32 v[52:53], v[44:45], v[74:75]
	v_add_f64_e32 v[10:11], v[56:57], v[54:55]
	v_add_f64_e32 v[12:13], v[12:13], v[58:59]
	v_mul_f64_e32 v[54:55], v[46:47], v[74:75]
	v_fmac_f64_e32 v[48:49], v[6:7], v[68:69]
	v_fma_f64 v[56:57], v[4:5], v[68:69], -v[60:61]
	v_fmac_f64_e32 v[52:53], v[46:47], v[72:73]
	v_add_f64_e32 v[58:59], v[10:11], v[8:9]
	v_add_f64_e32 v[12:13], v[12:13], v[50:51]
	ds_load_b128 v[4:7], v2 offset:416
	ds_load_b128 v[8:11], v2 offset:432
	v_fma_f64 v[44:45], v[44:45], v[72:73], -v[54:55]
	s_wait_loadcnt_dscnt 0x401
	v_mul_f64_e32 v[50:51], v[4:5], v[82:83]
	v_mul_f64_e32 v[60:61], v[6:7], v[82:83]
	s_wait_loadcnt_dscnt 0x200
	v_mul_f64_e32 v[54:55], v[10:11], v[94:95]
	v_add_f64_e32 v[46:47], v[58:59], v[56:57]
	v_add_f64_e32 v[12:13], v[12:13], v[48:49]
	v_mul_f64_e32 v[48:49], v[8:9], v[94:95]
	v_fmac_f64_e32 v[50:51], v[6:7], v[80:81]
	v_fma_f64 v[56:57], v[4:5], v[80:81], -v[60:61]
	v_fma_f64 v[8:9], v[8:9], v[92:93], -v[54:55]
	v_add_f64_e32 v[58:59], v[46:47], v[44:45]
	v_add_f64_e32 v[12:13], v[12:13], v[52:53]
	ds_load_b128 v[4:7], v2 offset:448
	ds_load_b128 v[44:47], v2 offset:464
	v_fmac_f64_e32 v[48:49], v[10:11], v[92:93]
	s_wait_loadcnt_dscnt 0x101
	v_mul_f64_e32 v[2:3], v[4:5], v[78:79]
	v_mul_f64_e32 v[52:53], v[6:7], v[78:79]
	s_wait_loadcnt_dscnt 0x0
	v_mul_f64_e32 v[54:55], v[46:47], v[86:87]
	v_add_f64_e32 v[10:11], v[58:59], v[56:57]
	v_add_f64_e32 v[12:13], v[12:13], v[50:51]
	v_mul_f64_e32 v[50:51], v[44:45], v[86:87]
	v_fmac_f64_e32 v[2:3], v[6:7], v[76:77]
	v_fma_f64 v[4:5], v[4:5], v[76:77], -v[52:53]
	v_add_f64_e32 v[6:7], v[10:11], v[8:9]
	v_add_f64_e32 v[8:9], v[12:13], v[48:49]
	v_fmac_f64_e32 v[50:51], v[46:47], v[84:85]
	v_fma_f64 v[10:11], v[44:45], v[84:85], -v[54:55]
	v_lshl_add_u64 v[48:49], v[18:19], 4, s[4:5]
	v_lshl_add_u64 v[46:47], v[20:21], 4, s[4:5]
	;; [unrolled: 1-line block ×7, first 2 shown]
	v_add_f64_e32 v[4:5], v[6:7], v[4:5]
	v_add_f64_e32 v[2:3], v[8:9], v[2:3]
	v_lshl_add_u64 v[8:9], v[36:37], 4, s[4:5]
	v_lshl_add_u64 v[6:7], v[38:39], 4, s[4:5]
	s_delay_alu instid0(VALU_DEP_4) | instskip(NEXT) | instid1(VALU_DEP_4)
	v_add_f64_e32 v[4:5], v[4:5], v[10:11]
	v_add_f64_e32 v[2:3], v[2:3], v[50:51]
	v_lshl_add_u64 v[10:11], v[34:35], 4, s[4:5]
	s_delay_alu instid0(VALU_DEP_3) | instskip(NEXT) | instid1(VALU_DEP_3)
	v_add_f64_e64 v[50:51], v[88:89], -v[4:5]
	v_add_f64_e64 v[52:53], v[90:91], -v[2:3]
	v_lshl_add_u64 v[4:5], v[40:41], 4, s[4:5]
	v_lshl_add_u64 v[2:3], v[42:43], 4, s[4:5]
	scratch_store_b128 off, v[50:53], off
	s_cbranch_vccz .LBB78_132
; %bb.104:
	v_mov_b32_e32 v26, 0
	s_load_b64 s[2:3], s[0:1], 0x4
	v_bfe_u32 v28, v0, 10, 10
	v_bfe_u32 v0, v0, 20, 10
	global_load_b32 v27, v26, s[8:9] offset:52
	s_wait_kmcnt 0x0
	s_lshr_b32 s0, s2, 16
	v_mul_u32_u24_e32 v28, s3, v28
	s_mul_i32 s0, s0, s3
	s_delay_alu instid0(SALU_CYCLE_1) | instskip(NEXT) | instid1(VALU_DEP_1)
	v_mul_u32_u24_e32 v1, s0, v1
	v_add3_u32 v0, v1, v28, v0
	s_delay_alu instid0(VALU_DEP_1)
	v_lshl_add_u32 v0, v0, 4, 0x1e8
	s_wait_loadcnt 0x0
	v_cmp_ne_u32_e32 vcc_lo, 14, v27
	s_cbranch_vccz .LBB78_106
; %bb.105:
	v_lshlrev_b32_e32 v1, 4, v27
	s_clause 0x1
	scratch_load_b128 v[28:31], off, s23
	scratch_load_b128 v[32:35], v1, off offset:-16
	s_wait_loadcnt 0x1
	ds_store_2addr_b64 v0, v[28:29], v[30:31] offset1:1
	s_wait_loadcnt 0x0
	s_clause 0x1
	scratch_store_b128 off, v[32:35], s23
	scratch_store_b128 v1, v[28:31], off offset:-16
.LBB78_106:
	global_load_b32 v1, v26, s[8:9] offset:48
	s_wait_loadcnt 0x0
	v_cmp_eq_u32_e32 vcc_lo, 13, v1
	s_cbranch_vccnz .LBB78_108
; %bb.107:
	v_lshlrev_b32_e32 v1, 4, v1
	s_clause 0x1
	scratch_load_b128 v[26:29], off, s16
	scratch_load_b128 v[30:33], v1, off offset:-16
	s_wait_loadcnt 0x1
	ds_store_2addr_b64 v0, v[26:27], v[28:29] offset1:1
	s_wait_loadcnt 0x0
	s_clause 0x1
	scratch_store_b128 off, v[30:33], s16
	scratch_store_b128 v1, v[26:29], off offset:-16
.LBB78_108:
	s_wait_xcnt 0x0
	v_mov_b32_e32 v1, 0
	global_load_b32 v26, v1, s[8:9] offset:44
	s_wait_loadcnt 0x0
	v_cmp_eq_u32_e32 vcc_lo, 12, v26
	s_cbranch_vccnz .LBB78_110
; %bb.109:
	v_lshlrev_b32_e32 v26, 4, v26
	s_delay_alu instid0(VALU_DEP_1)
	v_mov_b32_e32 v34, v26
	s_clause 0x1
	scratch_load_b128 v[26:29], off, s22
	scratch_load_b128 v[30:33], v34, off offset:-16
	s_wait_loadcnt 0x1
	ds_store_2addr_b64 v0, v[26:27], v[28:29] offset1:1
	s_wait_loadcnt 0x0
	s_clause 0x1
	scratch_store_b128 off, v[30:33], s22
	scratch_store_b128 v34, v[26:29], off offset:-16
.LBB78_110:
	global_load_b32 v1, v1, s[8:9] offset:40
	s_wait_loadcnt 0x0
	v_cmp_eq_u32_e32 vcc_lo, 11, v1
	s_cbranch_vccnz .LBB78_112
; %bb.111:
	s_wait_xcnt 0x0
	v_lshlrev_b32_e32 v1, 4, v1
	s_clause 0x1
	scratch_load_b128 v[26:29], off, s15
	scratch_load_b128 v[30:33], v1, off offset:-16
	s_wait_loadcnt 0x1
	ds_store_2addr_b64 v0, v[26:27], v[28:29] offset1:1
	s_wait_loadcnt 0x0
	s_clause 0x1
	scratch_store_b128 off, v[30:33], s15
	scratch_store_b128 v1, v[26:29], off offset:-16
.LBB78_112:
	s_wait_xcnt 0x0
	v_mov_b32_e32 v1, 0
	global_load_b32 v26, v1, s[8:9] offset:36
	s_wait_loadcnt 0x0
	v_cmp_eq_u32_e32 vcc_lo, 10, v26
	s_cbranch_vccnz .LBB78_114
; %bb.113:
	v_lshlrev_b32_e32 v26, 4, v26
	s_delay_alu instid0(VALU_DEP_1)
	v_mov_b32_e32 v34, v26
	s_clause 0x1
	scratch_load_b128 v[26:29], off, s21
	scratch_load_b128 v[30:33], v34, off offset:-16
	s_wait_loadcnt 0x1
	ds_store_2addr_b64 v0, v[26:27], v[28:29] offset1:1
	s_wait_loadcnt 0x0
	s_clause 0x1
	scratch_store_b128 off, v[30:33], s21
	scratch_store_b128 v34, v[26:29], off offset:-16
.LBB78_114:
	global_load_b32 v1, v1, s[8:9] offset:32
	s_wait_loadcnt 0x0
	v_cmp_eq_u32_e32 vcc_lo, 9, v1
	s_cbranch_vccnz .LBB78_116
; %bb.115:
	s_wait_xcnt 0x0
	v_lshlrev_b32_e32 v1, 4, v1
	s_clause 0x1
	scratch_load_b128 v[26:29], off, s14
	scratch_load_b128 v[30:33], v1, off offset:-16
	s_wait_loadcnt 0x1
	ds_store_2addr_b64 v0, v[26:27], v[28:29] offset1:1
	s_wait_loadcnt 0x0
	s_clause 0x1
	scratch_store_b128 off, v[30:33], s14
	scratch_store_b128 v1, v[26:29], off offset:-16
.LBB78_116:
	;; [unrolled: 37-line block ×5, first 2 shown]
	s_wait_xcnt 0x0
	v_mov_b32_e32 v1, 0
	global_load_b32 v26, v1, s[8:9] offset:4
	s_wait_loadcnt 0x0
	v_cmp_eq_u32_e32 vcc_lo, 2, v26
	s_cbranch_vccnz .LBB78_130
; %bb.129:
	v_lshlrev_b32_e32 v26, 4, v26
	s_delay_alu instid0(VALU_DEP_1)
	v_mov_b32_e32 v34, v26
	s_clause 0x1
	scratch_load_b128 v[26:29], off, s25
	scratch_load_b128 v[30:33], v34, off offset:-16
	s_wait_loadcnt 0x1
	ds_store_2addr_b64 v0, v[26:27], v[28:29] offset1:1
	s_wait_loadcnt 0x0
	s_clause 0x1
	scratch_store_b128 off, v[30:33], s25
	scratch_store_b128 v34, v[26:29], off offset:-16
.LBB78_130:
	global_load_b32 v1, v1, s[8:9]
	s_wait_loadcnt 0x0
	v_cmp_eq_u32_e32 vcc_lo, 1, v1
	s_cbranch_vccnz .LBB78_132
; %bb.131:
	s_wait_xcnt 0x0
	v_lshlrev_b32_e32 v1, 4, v1
	scratch_load_b128 v[26:29], off, off
	scratch_load_b128 v[30:33], v1, off offset:-16
	s_wait_loadcnt 0x1
	ds_store_2addr_b64 v0, v[26:27], v[28:29] offset1:1
	s_wait_loadcnt 0x0
	scratch_store_b128 off, v[30:33], off
	scratch_store_b128 v1, v[26:29], off offset:-16
.LBB78_132:
	scratch_load_b128 v[26:29], off, off
	s_wait_loadcnt 0x0
	flat_store_b128 v[14:15], v[26:29]
	scratch_load_b128 v[26:29], off, s25
	s_wait_loadcnt 0x0
	flat_store_b128 v[16:17], v[26:29]
	scratch_load_b128 v[14:17], off, s24
	;; [unrolled: 3-line block ×14, first 2 shown]
	s_wait_loadcnt 0x0
	flat_store_b128 v[2:3], v[4:7]
	s_sendmsg sendmsg(MSG_DEALLOC_VGPRS)
	s_endpgm
	.section	.rodata,"a",@progbits
	.p2align	6, 0x0
	.amdhsa_kernel _ZN9rocsolver6v33100L18getri_kernel_smallILi15E19rocblas_complex_numIdEPKPS3_EEvT1_iilPiilS8_bb
		.amdhsa_group_segment_fixed_size 1512
		.amdhsa_private_segment_fixed_size 256
		.amdhsa_kernarg_size 60
		.amdhsa_user_sgpr_count 4
		.amdhsa_user_sgpr_dispatch_ptr 1
		.amdhsa_user_sgpr_queue_ptr 0
		.amdhsa_user_sgpr_kernarg_segment_ptr 1
		.amdhsa_user_sgpr_dispatch_id 0
		.amdhsa_user_sgpr_kernarg_preload_length 0
		.amdhsa_user_sgpr_kernarg_preload_offset 0
		.amdhsa_user_sgpr_private_segment_size 0
		.amdhsa_wavefront_size32 1
		.amdhsa_uses_dynamic_stack 0
		.amdhsa_enable_private_segment 1
		.amdhsa_system_sgpr_workgroup_id_x 1
		.amdhsa_system_sgpr_workgroup_id_y 0
		.amdhsa_system_sgpr_workgroup_id_z 0
		.amdhsa_system_sgpr_workgroup_info 0
		.amdhsa_system_vgpr_workitem_id 2
		.amdhsa_next_free_vgpr 108
		.amdhsa_next_free_sgpr 30
		.amdhsa_named_barrier_count 0
		.amdhsa_reserve_vcc 1
		.amdhsa_float_round_mode_32 0
		.amdhsa_float_round_mode_16_64 0
		.amdhsa_float_denorm_mode_32 3
		.amdhsa_float_denorm_mode_16_64 3
		.amdhsa_fp16_overflow 0
		.amdhsa_memory_ordered 1
		.amdhsa_forward_progress 1
		.amdhsa_inst_pref_size 119
		.amdhsa_round_robin_scheduling 0
		.amdhsa_exception_fp_ieee_invalid_op 0
		.amdhsa_exception_fp_denorm_src 0
		.amdhsa_exception_fp_ieee_div_zero 0
		.amdhsa_exception_fp_ieee_overflow 0
		.amdhsa_exception_fp_ieee_underflow 0
		.amdhsa_exception_fp_ieee_inexact 0
		.amdhsa_exception_int_div_zero 0
	.end_amdhsa_kernel
	.section	.text._ZN9rocsolver6v33100L18getri_kernel_smallILi15E19rocblas_complex_numIdEPKPS3_EEvT1_iilPiilS8_bb,"axG",@progbits,_ZN9rocsolver6v33100L18getri_kernel_smallILi15E19rocblas_complex_numIdEPKPS3_EEvT1_iilPiilS8_bb,comdat
.Lfunc_end78:
	.size	_ZN9rocsolver6v33100L18getri_kernel_smallILi15E19rocblas_complex_numIdEPKPS3_EEvT1_iilPiilS8_bb, .Lfunc_end78-_ZN9rocsolver6v33100L18getri_kernel_smallILi15E19rocblas_complex_numIdEPKPS3_EEvT1_iilPiilS8_bb
                                        ; -- End function
	.set _ZN9rocsolver6v33100L18getri_kernel_smallILi15E19rocblas_complex_numIdEPKPS3_EEvT1_iilPiilS8_bb.num_vgpr, 108
	.set _ZN9rocsolver6v33100L18getri_kernel_smallILi15E19rocblas_complex_numIdEPKPS3_EEvT1_iilPiilS8_bb.num_agpr, 0
	.set _ZN9rocsolver6v33100L18getri_kernel_smallILi15E19rocblas_complex_numIdEPKPS3_EEvT1_iilPiilS8_bb.numbered_sgpr, 30
	.set _ZN9rocsolver6v33100L18getri_kernel_smallILi15E19rocblas_complex_numIdEPKPS3_EEvT1_iilPiilS8_bb.num_named_barrier, 0
	.set _ZN9rocsolver6v33100L18getri_kernel_smallILi15E19rocblas_complex_numIdEPKPS3_EEvT1_iilPiilS8_bb.private_seg_size, 256
	.set _ZN9rocsolver6v33100L18getri_kernel_smallILi15E19rocblas_complex_numIdEPKPS3_EEvT1_iilPiilS8_bb.uses_vcc, 1
	.set _ZN9rocsolver6v33100L18getri_kernel_smallILi15E19rocblas_complex_numIdEPKPS3_EEvT1_iilPiilS8_bb.uses_flat_scratch, 1
	.set _ZN9rocsolver6v33100L18getri_kernel_smallILi15E19rocblas_complex_numIdEPKPS3_EEvT1_iilPiilS8_bb.has_dyn_sized_stack, 0
	.set _ZN9rocsolver6v33100L18getri_kernel_smallILi15E19rocblas_complex_numIdEPKPS3_EEvT1_iilPiilS8_bb.has_recursion, 0
	.set _ZN9rocsolver6v33100L18getri_kernel_smallILi15E19rocblas_complex_numIdEPKPS3_EEvT1_iilPiilS8_bb.has_indirect_call, 0
	.section	.AMDGPU.csdata,"",@progbits
; Kernel info:
; codeLenInByte = 15172
; TotalNumSgprs: 32
; NumVgprs: 108
; ScratchSize: 256
; MemoryBound: 0
; FloatMode: 240
; IeeeMode: 1
; LDSByteSize: 1512 bytes/workgroup (compile time only)
; SGPRBlocks: 0
; VGPRBlocks: 6
; NumSGPRsForWavesPerEU: 32
; NumVGPRsForWavesPerEU: 108
; NamedBarCnt: 0
; Occupancy: 9
; WaveLimiterHint : 1
; COMPUTE_PGM_RSRC2:SCRATCH_EN: 1
; COMPUTE_PGM_RSRC2:USER_SGPR: 4
; COMPUTE_PGM_RSRC2:TRAP_HANDLER: 0
; COMPUTE_PGM_RSRC2:TGID_X_EN: 1
; COMPUTE_PGM_RSRC2:TGID_Y_EN: 0
; COMPUTE_PGM_RSRC2:TGID_Z_EN: 0
; COMPUTE_PGM_RSRC2:TIDIG_COMP_CNT: 2
	.section	.text._ZN9rocsolver6v33100L18getri_kernel_smallILi16E19rocblas_complex_numIdEPKPS3_EEvT1_iilPiilS8_bb,"axG",@progbits,_ZN9rocsolver6v33100L18getri_kernel_smallILi16E19rocblas_complex_numIdEPKPS3_EEvT1_iilPiilS8_bb,comdat
	.globl	_ZN9rocsolver6v33100L18getri_kernel_smallILi16E19rocblas_complex_numIdEPKPS3_EEvT1_iilPiilS8_bb ; -- Begin function _ZN9rocsolver6v33100L18getri_kernel_smallILi16E19rocblas_complex_numIdEPKPS3_EEvT1_iilPiilS8_bb
	.p2align	8
	.type	_ZN9rocsolver6v33100L18getri_kernel_smallILi16E19rocblas_complex_numIdEPKPS3_EEvT1_iilPiilS8_bb,@function
_ZN9rocsolver6v33100L18getri_kernel_smallILi16E19rocblas_complex_numIdEPKPS3_EEvT1_iilPiilS8_bb: ; @_ZN9rocsolver6v33100L18getri_kernel_smallILi16E19rocblas_complex_numIdEPKPS3_EEvT1_iilPiilS8_bb
; %bb.0:
	v_and_b32_e32 v1, 0x3ff, v0
	s_mov_b32 s4, exec_lo
	s_delay_alu instid0(VALU_DEP_1)
	v_cmpx_gt_u32_e32 16, v1
	s_cbranch_execz .LBB79_78
; %bb.1:
	s_clause 0x1
	s_load_b32 s14, s[2:3], 0x38
	s_load_b64 s[8:9], s[2:3], 0x0
	s_getreg_b32 s6, hwreg(HW_REG_IB_STS2, 6, 4)
	s_wait_kmcnt 0x0
	s_bitcmp1_b32 s14, 8
	s_cselect_b32 s27, -1, 0
	s_bfe_u32 s4, ttmp6, 0x4000c
	s_and_b32 s5, ttmp6, 15
	s_add_co_i32 s4, s4, 1
	s_delay_alu instid0(SALU_CYCLE_1) | instskip(NEXT) | instid1(SALU_CYCLE_1)
	s_mul_i32 s4, ttmp9, s4
	s_add_co_i32 s5, s5, s4
	s_cmp_eq_u32 s6, 0
	s_cselect_b32 s10, ttmp9, s5
	s_load_b128 s[4:7], s[2:3], 0x28
	s_ashr_i32 s11, s10, 31
	s_delay_alu instid0(SALU_CYCLE_1) | instskip(NEXT) | instid1(SALU_CYCLE_1)
	s_lshl_b64 s[12:13], s[10:11], 3
	s_add_nc_u64 s[8:9], s[8:9], s[12:13]
	s_load_b64 s[12:13], s[8:9], 0x0
	s_wait_xcnt 0x0
	s_bfe_u32 s8, s14, 0x10008
	s_delay_alu instid0(SALU_CYCLE_1)
	s_cmp_eq_u32 s8, 0
                                        ; implicit-def: $sgpr8_sgpr9
	s_cbranch_scc1 .LBB79_3
; %bb.2:
	s_load_b96 s[16:18], s[2:3], 0x18
	s_wait_kmcnt 0x0
	s_mul_u64 s[4:5], s[4:5], s[10:11]
	s_delay_alu instid0(SALU_CYCLE_1) | instskip(SKIP_4) | instid1(SALU_CYCLE_1)
	s_lshl_b64 s[4:5], s[4:5], 2
	s_ashr_i32 s9, s18, 31
	s_mov_b32 s8, s18
	s_add_nc_u64 s[4:5], s[16:17], s[4:5]
	s_lshl_b64 s[8:9], s[8:9], 2
	s_add_nc_u64 s[8:9], s[4:5], s[8:9]
.LBB79_3:
	s_clause 0x1
	s_load_b64 s[14:15], s[2:3], 0x8
	s_load_b32 s28, s[2:3], 0x38
	v_dual_mov_b32 v47, 0 :: v_dual_lshlrev_b32 v46, 4, v1
	s_mov_b32 s26, 16
	s_mov_b32 s25, 32
	;; [unrolled: 1-line block ×4, first 2 shown]
	s_movk_i32 s20, 0x60
	s_movk_i32 s21, 0x80
	;; [unrolled: 1-line block ×7, first 2 shown]
	s_wait_kmcnt 0x0
	s_ashr_i32 s3, s14, 31
	s_mov_b32 s2, s14
	v_add3_u32 v18, s15, s15, v1
	s_lshl_b64 s[2:3], s[2:3], 4
	s_movk_i32 s14, 0x90
	s_add_nc_u64 s[4:5], s[12:13], s[2:3]
	s_ashr_i32 s3, s15, 31
	flat_load_b128 v[2:5], v1, s[4:5] scale_offset
	v_add_nc_u64_e32 v[14:15], s[4:5], v[46:47]
	s_mov_b32 s2, s15
	v_add_nc_u32_e32 v20, s15, v18
	s_movk_i32 s12, 0x50
	s_movk_i32 s13, 0x70
	s_bitcmp0_b32 s28, 0
	s_delay_alu instid0(VALU_DEP_2) | instskip(SKIP_2) | instid1(VALU_DEP_1)
	v_lshl_add_u64 v[16:17], s[2:3], 4, v[14:15]
	v_add_nc_u32_e32 v22, s15, v20
	s_mov_b32 s3, -1
	v_add_nc_u32_e32 v24, s15, v22
	s_delay_alu instid0(VALU_DEP_1) | instskip(NEXT) | instid1(VALU_DEP_1)
	v_add_nc_u32_e32 v26, s15, v24
	v_add_nc_u32_e32 v28, s15, v26
	s_delay_alu instid0(VALU_DEP_1) | instskip(NEXT) | instid1(VALU_DEP_1)
	v_add_nc_u32_e32 v30, s15, v28
	v_add_nc_u32_e32 v32, s15, v30
	s_delay_alu instid0(VALU_DEP_1) | instskip(NEXT) | instid1(VALU_DEP_1)
	v_add_nc_u32_e32 v34, s15, v32
	v_add_nc_u32_e32 v36, s15, v34
	s_delay_alu instid0(VALU_DEP_1) | instskip(NEXT) | instid1(VALU_DEP_1)
	v_add_nc_u32_e32 v38, s15, v36
	v_add_nc_u32_e32 v40, s15, v38
	s_delay_alu instid0(VALU_DEP_1) | instskip(NEXT) | instid1(VALU_DEP_1)
	v_add_nc_u32_e32 v42, s15, v40
	v_add_nc_u32_e32 v44, s15, v42
	s_movk_i32 s15, 0xb0
	s_wait_loadcnt_dscnt 0x0
	scratch_store_b128 off, v[2:5], off
	flat_load_b128 v[2:5], v[16:17]
	s_wait_loadcnt_dscnt 0x0
	scratch_store_b128 off, v[2:5], off offset:16
	flat_load_b128 v[2:5], v18, s[4:5] scale_offset
	s_wait_loadcnt_dscnt 0x0
	scratch_store_b128 off, v[2:5], off offset:32
	flat_load_b128 v[2:5], v20, s[4:5] scale_offset
	;; [unrolled: 3-line block ×14, first 2 shown]
	s_wait_loadcnt_dscnt 0x0
	scratch_store_b128 off, v[2:5], off offset:240
	s_cbranch_scc1 .LBB79_76
; %bb.4:
	v_cmp_eq_u32_e64 s2, 0, v1
	s_wait_xcnt 0x0
	s_and_saveexec_b32 s3, s2
; %bb.5:
	v_mov_b32_e32 v2, 0
	ds_store_b32 v2, v2 offset:512
; %bb.6:
	s_or_b32 exec_lo, exec_lo, s3
	s_wait_storecnt_dscnt 0x0
	s_barrier_signal -1
	s_barrier_wait -1
	scratch_load_b128 v[2:5], v1, off scale_offset
	s_wait_loadcnt 0x0
	v_cmp_eq_f64_e32 vcc_lo, 0, v[2:3]
	v_cmp_eq_f64_e64 s3, 0, v[4:5]
	s_and_b32 s3, vcc_lo, s3
	s_delay_alu instid0(SALU_CYCLE_1)
	s_and_saveexec_b32 s28, s3
	s_cbranch_execz .LBB79_10
; %bb.7:
	v_mov_b32_e32 v2, 0
	s_mov_b32 s29, 0
	ds_load_b32 v3, v2 offset:512
	s_wait_dscnt 0x0
	v_readfirstlane_b32 s3, v3
	v_add_nc_u32_e32 v3, 1, v1
	s_cmp_eq_u32 s3, 0
	s_delay_alu instid0(VALU_DEP_1) | instskip(SKIP_1) | instid1(SALU_CYCLE_1)
	v_cmp_gt_i32_e32 vcc_lo, s3, v3
	s_cselect_b32 s30, -1, 0
	s_or_b32 s30, s30, vcc_lo
	s_delay_alu instid0(SALU_CYCLE_1)
	s_and_b32 exec_lo, exec_lo, s30
	s_cbranch_execz .LBB79_10
; %bb.8:
	v_mov_b32_e32 v4, s3
.LBB79_9:                               ; =>This Inner Loop Header: Depth=1
	ds_cmpstore_rtn_b32 v4, v2, v3, v4 offset:512
	s_wait_dscnt 0x0
	v_cmp_ne_u32_e32 vcc_lo, 0, v4
	v_cmp_le_i32_e64 s3, v4, v3
	s_and_b32 s3, vcc_lo, s3
	s_delay_alu instid0(SALU_CYCLE_1) | instskip(NEXT) | instid1(SALU_CYCLE_1)
	s_and_b32 s3, exec_lo, s3
	s_or_b32 s29, s3, s29
	s_delay_alu instid0(SALU_CYCLE_1)
	s_and_not1_b32 exec_lo, exec_lo, s29
	s_cbranch_execnz .LBB79_9
.LBB79_10:
	s_or_b32 exec_lo, exec_lo, s28
	v_mov_b32_e32 v2, 0
	s_barrier_signal -1
	s_barrier_wait -1
	ds_load_b32 v3, v2 offset:512
	s_and_saveexec_b32 s3, s2
	s_cbranch_execz .LBB79_12
; %bb.11:
	s_lshl_b64 s[28:29], s[10:11], 2
	s_delay_alu instid0(SALU_CYCLE_1)
	s_add_nc_u64 s[28:29], s[6:7], s[28:29]
	s_wait_dscnt 0x0
	global_store_b32 v2, v3, s[28:29]
.LBB79_12:
	s_wait_xcnt 0x0
	s_or_b32 exec_lo, exec_lo, s3
	s_wait_dscnt 0x0
	v_cmp_ne_u32_e32 vcc_lo, 0, v3
	s_mov_b32 s3, 0
	s_cbranch_vccnz .LBB79_76
; %bb.13:
	v_lshl_add_u32 v19, v1, 4, 0
                                        ; implicit-def: $vgpr6_vgpr7
                                        ; implicit-def: $vgpr10_vgpr11
	scratch_load_b128 v[2:5], v19, off
	s_wait_loadcnt 0x0
	v_cmp_ngt_f64_e64 s3, |v[2:3]|, |v[4:5]|
	s_wait_xcnt 0x0
	s_and_saveexec_b32 s28, s3
	s_delay_alu instid0(SALU_CYCLE_1)
	s_xor_b32 s3, exec_lo, s28
	s_cbranch_execz .LBB79_15
; %bb.14:
	v_div_scale_f64 v[6:7], null, v[4:5], v[4:5], v[2:3]
	v_div_scale_f64 v[12:13], vcc_lo, v[2:3], v[4:5], v[2:3]
	s_delay_alu instid0(VALU_DEP_2) | instskip(SKIP_1) | instid1(TRANS32_DEP_1)
	v_rcp_f64_e32 v[8:9], v[6:7]
	v_nop
	v_fma_f64 v[10:11], -v[6:7], v[8:9], 1.0
	s_delay_alu instid0(VALU_DEP_1) | instskip(NEXT) | instid1(VALU_DEP_1)
	v_fmac_f64_e32 v[8:9], v[8:9], v[10:11]
	v_fma_f64 v[10:11], -v[6:7], v[8:9], 1.0
	s_delay_alu instid0(VALU_DEP_1) | instskip(NEXT) | instid1(VALU_DEP_1)
	v_fmac_f64_e32 v[8:9], v[8:9], v[10:11]
	v_mul_f64_e32 v[10:11], v[12:13], v[8:9]
	s_delay_alu instid0(VALU_DEP_1) | instskip(NEXT) | instid1(VALU_DEP_1)
	v_fma_f64 v[6:7], -v[6:7], v[10:11], v[12:13]
	v_div_fmas_f64 v[6:7], v[6:7], v[8:9], v[10:11]
	s_delay_alu instid0(VALU_DEP_1) | instskip(NEXT) | instid1(VALU_DEP_1)
	v_div_fixup_f64 v[6:7], v[6:7], v[4:5], v[2:3]
	v_fmac_f64_e32 v[4:5], v[2:3], v[6:7]
	s_delay_alu instid0(VALU_DEP_1) | instskip(SKIP_1) | instid1(VALU_DEP_2)
	v_div_scale_f64 v[2:3], null, v[4:5], v[4:5], 1.0
	v_div_scale_f64 v[12:13], vcc_lo, 1.0, v[4:5], 1.0
	v_rcp_f64_e32 v[8:9], v[2:3]
	v_nop
	s_delay_alu instid0(TRANS32_DEP_1) | instskip(NEXT) | instid1(VALU_DEP_1)
	v_fma_f64 v[10:11], -v[2:3], v[8:9], 1.0
	v_fmac_f64_e32 v[8:9], v[8:9], v[10:11]
	s_delay_alu instid0(VALU_DEP_1) | instskip(NEXT) | instid1(VALU_DEP_1)
	v_fma_f64 v[10:11], -v[2:3], v[8:9], 1.0
	v_fmac_f64_e32 v[8:9], v[8:9], v[10:11]
	s_delay_alu instid0(VALU_DEP_1) | instskip(NEXT) | instid1(VALU_DEP_1)
	v_mul_f64_e32 v[10:11], v[12:13], v[8:9]
	v_fma_f64 v[2:3], -v[2:3], v[10:11], v[12:13]
	s_delay_alu instid0(VALU_DEP_1) | instskip(NEXT) | instid1(VALU_DEP_1)
	v_div_fmas_f64 v[2:3], v[2:3], v[8:9], v[10:11]
	v_div_fixup_f64 v[8:9], v[2:3], v[4:5], 1.0
                                        ; implicit-def: $vgpr2_vgpr3
	s_delay_alu instid0(VALU_DEP_1) | instskip(SKIP_1) | instid1(VALU_DEP_2)
	v_mul_f64_e32 v[6:7], v[6:7], v[8:9]
	v_xor_b32_e32 v9, 0x80000000, v9
	v_xor_b32_e32 v11, 0x80000000, v7
	s_delay_alu instid0(VALU_DEP_3)
	v_mov_b32_e32 v10, v6
.LBB79_15:
	s_and_not1_saveexec_b32 s3, s3
	s_cbranch_execz .LBB79_17
; %bb.16:
	v_div_scale_f64 v[6:7], null, v[2:3], v[2:3], v[4:5]
	v_div_scale_f64 v[12:13], vcc_lo, v[4:5], v[2:3], v[4:5]
	s_delay_alu instid0(VALU_DEP_2) | instskip(SKIP_1) | instid1(TRANS32_DEP_1)
	v_rcp_f64_e32 v[8:9], v[6:7]
	v_nop
	v_fma_f64 v[10:11], -v[6:7], v[8:9], 1.0
	s_delay_alu instid0(VALU_DEP_1) | instskip(NEXT) | instid1(VALU_DEP_1)
	v_fmac_f64_e32 v[8:9], v[8:9], v[10:11]
	v_fma_f64 v[10:11], -v[6:7], v[8:9], 1.0
	s_delay_alu instid0(VALU_DEP_1) | instskip(NEXT) | instid1(VALU_DEP_1)
	v_fmac_f64_e32 v[8:9], v[8:9], v[10:11]
	v_mul_f64_e32 v[10:11], v[12:13], v[8:9]
	s_delay_alu instid0(VALU_DEP_1) | instskip(NEXT) | instid1(VALU_DEP_1)
	v_fma_f64 v[6:7], -v[6:7], v[10:11], v[12:13]
	v_div_fmas_f64 v[6:7], v[6:7], v[8:9], v[10:11]
	s_delay_alu instid0(VALU_DEP_1) | instskip(NEXT) | instid1(VALU_DEP_1)
	v_div_fixup_f64 v[8:9], v[6:7], v[2:3], v[4:5]
	v_fmac_f64_e32 v[2:3], v[4:5], v[8:9]
	s_delay_alu instid0(VALU_DEP_1) | instskip(NEXT) | instid1(VALU_DEP_1)
	v_div_scale_f64 v[4:5], null, v[2:3], v[2:3], 1.0
	v_rcp_f64_e32 v[6:7], v[4:5]
	v_nop
	s_delay_alu instid0(TRANS32_DEP_1) | instskip(NEXT) | instid1(VALU_DEP_1)
	v_fma_f64 v[10:11], -v[4:5], v[6:7], 1.0
	v_fmac_f64_e32 v[6:7], v[6:7], v[10:11]
	s_delay_alu instid0(VALU_DEP_1) | instskip(NEXT) | instid1(VALU_DEP_1)
	v_fma_f64 v[10:11], -v[4:5], v[6:7], 1.0
	v_fmac_f64_e32 v[6:7], v[6:7], v[10:11]
	v_div_scale_f64 v[10:11], vcc_lo, 1.0, v[2:3], 1.0
	s_delay_alu instid0(VALU_DEP_1) | instskip(NEXT) | instid1(VALU_DEP_1)
	v_mul_f64_e32 v[12:13], v[10:11], v[6:7]
	v_fma_f64 v[4:5], -v[4:5], v[12:13], v[10:11]
	s_delay_alu instid0(VALU_DEP_1) | instskip(NEXT) | instid1(VALU_DEP_1)
	v_div_fmas_f64 v[4:5], v[4:5], v[6:7], v[12:13]
	v_div_fixup_f64 v[6:7], v[4:5], v[2:3], 1.0
	s_delay_alu instid0(VALU_DEP_1)
	v_mul_f64_e64 v[8:9], v[8:9], -v[6:7]
	v_xor_b32_e32 v11, 0x80000000, v7
	v_mov_b32_e32 v10, v6
.LBB79_17:
	s_or_b32 exec_lo, exec_lo, s3
	s_clause 0x1
	scratch_store_b128 v19, v[6:9], off
	scratch_load_b128 v[2:5], off, s26
	v_xor_b32_e32 v13, 0x80000000, v9
	v_mov_b32_e32 v12, v8
	s_wait_xcnt 0x1
	v_add_nc_u32_e32 v6, 0x100, v46
	ds_store_b128 v46, v[10:13]
	s_wait_loadcnt 0x0
	ds_store_b128 v46, v[2:5] offset:256
	s_wait_storecnt_dscnt 0x0
	s_barrier_signal -1
	s_barrier_wait -1
	s_wait_xcnt 0x0
	s_and_saveexec_b32 s3, s2
	s_cbranch_execz .LBB79_19
; %bb.18:
	scratch_load_b128 v[2:5], v19, off
	ds_load_b128 v[8:11], v6
	v_mov_b32_e32 v7, 0
	ds_load_b128 v[48:51], v7 offset:16
	s_wait_loadcnt_dscnt 0x1
	v_mul_f64_e32 v[12:13], v[8:9], v[4:5]
	v_mul_f64_e32 v[4:5], v[10:11], v[4:5]
	s_delay_alu instid0(VALU_DEP_2) | instskip(NEXT) | instid1(VALU_DEP_2)
	v_fmac_f64_e32 v[12:13], v[10:11], v[2:3]
	v_fma_f64 v[2:3], v[8:9], v[2:3], -v[4:5]
	s_delay_alu instid0(VALU_DEP_2) | instskip(NEXT) | instid1(VALU_DEP_2)
	v_add_f64_e32 v[8:9], 0, v[12:13]
	v_add_f64_e32 v[2:3], 0, v[2:3]
	s_wait_dscnt 0x0
	s_delay_alu instid0(VALU_DEP_2) | instskip(NEXT) | instid1(VALU_DEP_2)
	v_mul_f64_e32 v[10:11], v[8:9], v[50:51]
	v_mul_f64_e32 v[4:5], v[2:3], v[50:51]
	s_delay_alu instid0(VALU_DEP_2) | instskip(NEXT) | instid1(VALU_DEP_2)
	v_fma_f64 v[2:3], v[2:3], v[48:49], -v[10:11]
	v_fmac_f64_e32 v[4:5], v[8:9], v[48:49]
	scratch_store_b128 off, v[2:5], off offset:16
.LBB79_19:
	s_wait_xcnt 0x0
	s_or_b32 exec_lo, exec_lo, s3
	s_wait_storecnt 0x0
	s_barrier_signal -1
	s_barrier_wait -1
	scratch_load_b128 v[2:5], off, s25
	s_mov_b32 s3, exec_lo
	s_wait_loadcnt 0x0
	ds_store_b128 v6, v[2:5]
	s_wait_dscnt 0x0
	s_barrier_signal -1
	s_barrier_wait -1
	v_cmpx_gt_u32_e32 2, v1
	s_cbranch_execz .LBB79_23
; %bb.20:
	scratch_load_b128 v[2:5], v19, off
	ds_load_b128 v[8:11], v6
	s_wait_loadcnt_dscnt 0x0
	v_mul_f64_e32 v[12:13], v[10:11], v[4:5]
	v_mul_f64_e32 v[48:49], v[8:9], v[4:5]
	s_delay_alu instid0(VALU_DEP_2) | instskip(NEXT) | instid1(VALU_DEP_2)
	v_fma_f64 v[4:5], v[8:9], v[2:3], -v[12:13]
	v_fmac_f64_e32 v[48:49], v[10:11], v[2:3]
	s_delay_alu instid0(VALU_DEP_2) | instskip(NEXT) | instid1(VALU_DEP_2)
	v_add_f64_e32 v[4:5], 0, v[4:5]
	v_add_f64_e32 v[2:3], 0, v[48:49]
	s_and_saveexec_b32 s28, s2
	s_cbranch_execz .LBB79_22
; %bb.21:
	scratch_load_b128 v[8:11], off, off offset:16
	v_mov_b32_e32 v7, 0
	ds_load_b128 v[48:51], v7 offset:272
	s_wait_loadcnt_dscnt 0x0
	v_mul_f64_e32 v[12:13], v[48:49], v[10:11]
	v_mul_f64_e32 v[10:11], v[50:51], v[10:11]
	s_delay_alu instid0(VALU_DEP_2) | instskip(NEXT) | instid1(VALU_DEP_2)
	v_fmac_f64_e32 v[12:13], v[50:51], v[8:9]
	v_fma_f64 v[8:9], v[48:49], v[8:9], -v[10:11]
	s_delay_alu instid0(VALU_DEP_2) | instskip(NEXT) | instid1(VALU_DEP_2)
	v_add_f64_e32 v[2:3], v[2:3], v[12:13]
	v_add_f64_e32 v[4:5], v[4:5], v[8:9]
.LBB79_22:
	s_or_b32 exec_lo, exec_lo, s28
	v_mov_b32_e32 v7, 0
	ds_load_b128 v[8:11], v7 offset:32
	s_wait_dscnt 0x0
	v_mul_f64_e32 v[48:49], v[2:3], v[10:11]
	v_mul_f64_e32 v[12:13], v[4:5], v[10:11]
	s_delay_alu instid0(VALU_DEP_2) | instskip(NEXT) | instid1(VALU_DEP_2)
	v_fma_f64 v[10:11], v[4:5], v[8:9], -v[48:49]
	v_fmac_f64_e32 v[12:13], v[2:3], v[8:9]
	scratch_store_b128 off, v[10:13], off offset:32
.LBB79_23:
	s_wait_xcnt 0x0
	s_or_b32 exec_lo, exec_lo, s3
	s_wait_storecnt 0x0
	s_barrier_signal -1
	s_barrier_wait -1
	scratch_load_b128 v[2:5], off, s18
	v_add_nc_u32_e32 v7, -1, v1
	s_mov_b32 s2, exec_lo
	s_wait_loadcnt 0x0
	ds_store_b128 v6, v[2:5]
	s_wait_dscnt 0x0
	s_barrier_signal -1
	s_barrier_wait -1
	v_cmpx_gt_u32_e32 3, v1
	s_cbranch_execz .LBB79_27
; %bb.24:
	v_dual_mov_b32 v10, v46 :: v_dual_add_nc_u32 v8, -1, v1
	v_mov_b64_e32 v[2:3], 0
	v_mov_b64_e32 v[4:5], 0
	v_add_nc_u32_e32 v9, 0x100, v46
	s_delay_alu instid0(VALU_DEP_4)
	v_or_b32_e32 v10, 8, v10
	s_mov_b32 s3, 0
.LBB79_25:                              ; =>This Inner Loop Header: Depth=1
	scratch_load_b128 v[48:51], v10, off offset:-8
	ds_load_b128 v[52:55], v9
	v_dual_add_nc_u32 v8, 1, v8 :: v_dual_add_nc_u32 v9, 16, v9
	s_wait_xcnt 0x0
	v_add_nc_u32_e32 v10, 16, v10
	s_delay_alu instid0(VALU_DEP_2) | instskip(SKIP_4) | instid1(VALU_DEP_2)
	v_cmp_lt_u32_e32 vcc_lo, 1, v8
	s_or_b32 s3, vcc_lo, s3
	s_wait_loadcnt_dscnt 0x0
	v_mul_f64_e32 v[12:13], v[54:55], v[50:51]
	v_mul_f64_e32 v[50:51], v[52:53], v[50:51]
	v_fma_f64 v[12:13], v[52:53], v[48:49], -v[12:13]
	s_delay_alu instid0(VALU_DEP_2) | instskip(NEXT) | instid1(VALU_DEP_2)
	v_fmac_f64_e32 v[50:51], v[54:55], v[48:49]
	v_add_f64_e32 v[4:5], v[4:5], v[12:13]
	s_delay_alu instid0(VALU_DEP_2)
	v_add_f64_e32 v[2:3], v[2:3], v[50:51]
	s_and_not1_b32 exec_lo, exec_lo, s3
	s_cbranch_execnz .LBB79_25
; %bb.26:
	s_or_b32 exec_lo, exec_lo, s3
	v_mov_b32_e32 v8, 0
	ds_load_b128 v[8:11], v8 offset:48
	s_wait_dscnt 0x0
	v_mul_f64_e32 v[48:49], v[2:3], v[10:11]
	v_mul_f64_e32 v[12:13], v[4:5], v[10:11]
	s_delay_alu instid0(VALU_DEP_2) | instskip(NEXT) | instid1(VALU_DEP_2)
	v_fma_f64 v[10:11], v[4:5], v[8:9], -v[48:49]
	v_fmac_f64_e32 v[12:13], v[2:3], v[8:9]
	scratch_store_b128 off, v[10:13], off offset:48
.LBB79_27:
	s_wait_xcnt 0x0
	s_or_b32 exec_lo, exec_lo, s2
	s_wait_storecnt 0x0
	s_barrier_signal -1
	s_barrier_wait -1
	scratch_load_b128 v[2:5], off, s19
	s_mov_b32 s2, exec_lo
	s_wait_loadcnt 0x0
	ds_store_b128 v6, v[2:5]
	s_wait_dscnt 0x0
	s_barrier_signal -1
	s_barrier_wait -1
	v_cmpx_gt_u32_e32 4, v1
	s_cbranch_execz .LBB79_31
; %bb.28:
	v_dual_mov_b32 v10, v46 :: v_dual_add_nc_u32 v8, -1, v1
	v_mov_b64_e32 v[2:3], 0
	v_mov_b64_e32 v[4:5], 0
	v_add_nc_u32_e32 v9, 0x100, v46
	s_delay_alu instid0(VALU_DEP_4)
	v_or_b32_e32 v10, 8, v10
	s_mov_b32 s3, 0
.LBB79_29:                              ; =>This Inner Loop Header: Depth=1
	scratch_load_b128 v[48:51], v10, off offset:-8
	ds_load_b128 v[52:55], v9
	v_dual_add_nc_u32 v8, 1, v8 :: v_dual_add_nc_u32 v9, 16, v9
	s_wait_xcnt 0x0
	v_add_nc_u32_e32 v10, 16, v10
	s_delay_alu instid0(VALU_DEP_2) | instskip(SKIP_4) | instid1(VALU_DEP_2)
	v_cmp_lt_u32_e32 vcc_lo, 2, v8
	s_or_b32 s3, vcc_lo, s3
	s_wait_loadcnt_dscnt 0x0
	v_mul_f64_e32 v[12:13], v[54:55], v[50:51]
	v_mul_f64_e32 v[50:51], v[52:53], v[50:51]
	v_fma_f64 v[12:13], v[52:53], v[48:49], -v[12:13]
	s_delay_alu instid0(VALU_DEP_2) | instskip(NEXT) | instid1(VALU_DEP_2)
	v_fmac_f64_e32 v[50:51], v[54:55], v[48:49]
	v_add_f64_e32 v[4:5], v[4:5], v[12:13]
	s_delay_alu instid0(VALU_DEP_2)
	v_add_f64_e32 v[2:3], v[2:3], v[50:51]
	s_and_not1_b32 exec_lo, exec_lo, s3
	s_cbranch_execnz .LBB79_29
; %bb.30:
	s_or_b32 exec_lo, exec_lo, s3
	v_mov_b32_e32 v8, 0
	ds_load_b128 v[8:11], v8 offset:64
	s_wait_dscnt 0x0
	v_mul_f64_e32 v[48:49], v[2:3], v[10:11]
	v_mul_f64_e32 v[12:13], v[4:5], v[10:11]
	s_delay_alu instid0(VALU_DEP_2) | instskip(NEXT) | instid1(VALU_DEP_2)
	v_fma_f64 v[10:11], v[4:5], v[8:9], -v[48:49]
	v_fmac_f64_e32 v[12:13], v[2:3], v[8:9]
	scratch_store_b128 off, v[10:13], off offset:64
.LBB79_31:
	s_wait_xcnt 0x0
	s_or_b32 exec_lo, exec_lo, s2
	s_wait_storecnt 0x0
	s_barrier_signal -1
	s_barrier_wait -1
	scratch_load_b128 v[2:5], off, s12
	;; [unrolled: 54-line block ×12, first 2 shown]
	s_mov_b32 s2, exec_lo
	s_wait_loadcnt 0x0
	ds_store_b128 v6, v[2:5]
	s_wait_dscnt 0x0
	s_barrier_signal -1
	s_barrier_wait -1
	v_cmpx_ne_u32_e32 15, v1
	s_cbranch_execz .LBB79_75
; %bb.72:
	v_mov_b32_e32 v8, v46
	v_mov_b64_e32 v[2:3], 0
	v_mov_b64_e32 v[4:5], 0
	s_mov_b32 s3, 0
	s_delay_alu instid0(VALU_DEP_3)
	v_or_b32_e32 v8, 8, v8
.LBB79_73:                              ; =>This Inner Loop Header: Depth=1
	scratch_load_b128 v[10:13], v8, off offset:-8
	ds_load_b128 v[46:49], v6
	v_dual_add_nc_u32 v7, 1, v7 :: v_dual_add_nc_u32 v6, 16, v6
	s_wait_xcnt 0x0
	v_add_nc_u32_e32 v8, 16, v8
	s_delay_alu instid0(VALU_DEP_2) | instskip(SKIP_4) | instid1(VALU_DEP_2)
	v_cmp_lt_u32_e32 vcc_lo, 13, v7
	s_or_b32 s3, vcc_lo, s3
	s_wait_loadcnt_dscnt 0x0
	v_mul_f64_e32 v[50:51], v[48:49], v[12:13]
	v_mul_f64_e32 v[12:13], v[46:47], v[12:13]
	v_fma_f64 v[46:47], v[46:47], v[10:11], -v[50:51]
	s_delay_alu instid0(VALU_DEP_2) | instskip(NEXT) | instid1(VALU_DEP_2)
	v_fmac_f64_e32 v[12:13], v[48:49], v[10:11]
	v_add_f64_e32 v[4:5], v[4:5], v[46:47]
	s_delay_alu instid0(VALU_DEP_2)
	v_add_f64_e32 v[2:3], v[2:3], v[12:13]
	s_and_not1_b32 exec_lo, exec_lo, s3
	s_cbranch_execnz .LBB79_73
; %bb.74:
	s_or_b32 exec_lo, exec_lo, s3
	v_mov_b32_e32 v6, 0
	ds_load_b128 v[6:9], v6 offset:240
	s_wait_dscnt 0x0
	v_mul_f64_e32 v[12:13], v[2:3], v[8:9]
	v_mul_f64_e32 v[10:11], v[4:5], v[8:9]
	s_delay_alu instid0(VALU_DEP_2) | instskip(NEXT) | instid1(VALU_DEP_2)
	v_fma_f64 v[8:9], v[4:5], v[6:7], -v[12:13]
	v_fmac_f64_e32 v[10:11], v[2:3], v[6:7]
	scratch_store_b128 off, v[8:11], off offset:240
.LBB79_75:
	s_wait_xcnt 0x0
	s_or_b32 exec_lo, exec_lo, s2
	s_mov_b32 s3, -1
	s_wait_storecnt 0x0
	s_barrier_signal -1
	s_barrier_wait -1
.LBB79_76:
	s_and_b32 vcc_lo, exec_lo, s3
	s_cbranch_vccz .LBB79_78
; %bb.77:
	s_wait_xcnt 0x0
	v_mov_b32_e32 v2, 0
	s_lshl_b64 s[2:3], s[10:11], 2
	s_delay_alu instid0(SALU_CYCLE_1)
	s_add_nc_u64 s[2:3], s[6:7], s[2:3]
	global_load_b32 v2, v2, s[2:3]
	s_wait_loadcnt 0x0
	v_cmp_ne_u32_e32 vcc_lo, 0, v2
	s_cbranch_vccz .LBB79_79
.LBB79_78:
	s_sendmsg sendmsg(MSG_DEALLOC_VGPRS)
	s_endpgm
.LBB79_79:
	v_lshl_add_u32 v6, v1, 4, 0x100
	s_wait_xcnt 0x0
	s_mov_b32 s2, exec_lo
	v_cmpx_eq_u32_e32 15, v1
	s_cbranch_execz .LBB79_81
; %bb.80:
	scratch_load_b128 v[2:5], off, s24
	v_mov_b32_e32 v8, 0
	s_delay_alu instid0(VALU_DEP_1)
	v_dual_mov_b32 v9, v8 :: v_dual_mov_b32 v10, v8
	v_mov_b32_e32 v11, v8
	scratch_store_b128 off, v[8:11], off offset:224
	s_wait_loadcnt 0x0
	ds_store_b128 v6, v[2:5]
.LBB79_81:
	s_wait_xcnt 0x0
	s_or_b32 exec_lo, exec_lo, s2
	s_wait_storecnt_dscnt 0x0
	s_barrier_signal -1
	s_barrier_wait -1
	s_clause 0x1
	scratch_load_b128 v[8:11], off, off offset:240
	scratch_load_b128 v[46:49], off, off offset:224
	v_mov_b32_e32 v2, 0
	s_mov_b32 s2, exec_lo
	ds_load_b128 v[50:53], v2 offset:496
	s_wait_loadcnt_dscnt 0x100
	v_mul_f64_e32 v[4:5], v[52:53], v[10:11]
	v_mul_f64_e32 v[10:11], v[50:51], v[10:11]
	s_delay_alu instid0(VALU_DEP_2) | instskip(NEXT) | instid1(VALU_DEP_2)
	v_fma_f64 v[4:5], v[50:51], v[8:9], -v[4:5]
	v_fmac_f64_e32 v[10:11], v[52:53], v[8:9]
	s_delay_alu instid0(VALU_DEP_2) | instskip(NEXT) | instid1(VALU_DEP_2)
	v_add_f64_e32 v[4:5], 0, v[4:5]
	v_add_f64_e32 v[10:11], 0, v[10:11]
	s_wait_loadcnt 0x0
	s_delay_alu instid0(VALU_DEP_2) | instskip(NEXT) | instid1(VALU_DEP_2)
	v_add_f64_e64 v[8:9], v[46:47], -v[4:5]
	v_add_f64_e64 v[10:11], v[48:49], -v[10:11]
	scratch_store_b128 off, v[8:11], off offset:224
	s_wait_xcnt 0x0
	v_cmpx_lt_u32_e32 13, v1
	s_cbranch_execz .LBB79_83
; %bb.82:
	scratch_load_b128 v[8:11], off, s16
	v_dual_mov_b32 v3, v2 :: v_dual_mov_b32 v4, v2
	v_mov_b32_e32 v5, v2
	scratch_store_b128 off, v[2:5], off offset:208
	s_wait_loadcnt 0x0
	ds_store_b128 v6, v[8:11]
.LBB79_83:
	s_wait_xcnt 0x0
	s_or_b32 exec_lo, exec_lo, s2
	s_wait_storecnt_dscnt 0x0
	s_barrier_signal -1
	s_barrier_wait -1
	s_clause 0x2
	scratch_load_b128 v[8:11], off, off offset:224
	scratch_load_b128 v[46:49], off, off offset:240
	;; [unrolled: 1-line block ×3, first 2 shown]
	ds_load_b128 v[54:57], v2 offset:480
	ds_load_b128 v[2:5], v2 offset:496
	s_mov_b32 s2, exec_lo
	s_wait_loadcnt_dscnt 0x201
	v_mul_f64_e32 v[12:13], v[56:57], v[10:11]
	v_mul_f64_e32 v[10:11], v[54:55], v[10:11]
	s_wait_loadcnt_dscnt 0x100
	v_mul_f64_e32 v[58:59], v[2:3], v[48:49]
	v_mul_f64_e32 v[48:49], v[4:5], v[48:49]
	s_delay_alu instid0(VALU_DEP_4) | instskip(NEXT) | instid1(VALU_DEP_4)
	v_fma_f64 v[12:13], v[54:55], v[8:9], -v[12:13]
	v_fmac_f64_e32 v[10:11], v[56:57], v[8:9]
	s_delay_alu instid0(VALU_DEP_4) | instskip(NEXT) | instid1(VALU_DEP_4)
	v_fmac_f64_e32 v[58:59], v[4:5], v[46:47]
	v_fma_f64 v[2:3], v[2:3], v[46:47], -v[48:49]
	s_delay_alu instid0(VALU_DEP_4) | instskip(NEXT) | instid1(VALU_DEP_4)
	v_add_f64_e32 v[4:5], 0, v[12:13]
	v_add_f64_e32 v[8:9], 0, v[10:11]
	s_delay_alu instid0(VALU_DEP_2) | instskip(NEXT) | instid1(VALU_DEP_2)
	v_add_f64_e32 v[2:3], v[4:5], v[2:3]
	v_add_f64_e32 v[4:5], v[8:9], v[58:59]
	s_wait_loadcnt 0x0
	s_delay_alu instid0(VALU_DEP_2) | instskip(NEXT) | instid1(VALU_DEP_2)
	v_add_f64_e64 v[2:3], v[50:51], -v[2:3]
	v_add_f64_e64 v[4:5], v[52:53], -v[4:5]
	scratch_store_b128 off, v[2:5], off offset:208
	s_wait_xcnt 0x0
	v_cmpx_lt_u32_e32 12, v1
	s_cbranch_execz .LBB79_85
; %bb.84:
	scratch_load_b128 v[2:5], off, s23
	v_mov_b32_e32 v8, 0
	s_delay_alu instid0(VALU_DEP_1)
	v_dual_mov_b32 v9, v8 :: v_dual_mov_b32 v10, v8
	v_mov_b32_e32 v11, v8
	scratch_store_b128 off, v[8:11], off offset:192
	s_wait_loadcnt 0x0
	ds_store_b128 v6, v[2:5]
.LBB79_85:
	s_wait_xcnt 0x0
	s_or_b32 exec_lo, exec_lo, s2
	s_wait_storecnt_dscnt 0x0
	s_barrier_signal -1
	s_barrier_wait -1
	s_clause 0x3
	scratch_load_b128 v[8:11], off, off offset:208
	scratch_load_b128 v[46:49], off, off offset:224
	;; [unrolled: 1-line block ×4, first 2 shown]
	v_mov_b32_e32 v2, 0
	ds_load_b128 v[58:61], v2 offset:464
	ds_load_b128 v[62:65], v2 offset:480
	s_mov_b32 s2, exec_lo
	s_wait_loadcnt_dscnt 0x301
	v_mul_f64_e32 v[4:5], v[60:61], v[10:11]
	v_mul_f64_e32 v[12:13], v[58:59], v[10:11]
	s_wait_loadcnt_dscnt 0x200
	v_mul_f64_e32 v[66:67], v[62:63], v[48:49]
	v_mul_f64_e32 v[48:49], v[64:65], v[48:49]
	s_delay_alu instid0(VALU_DEP_4) | instskip(NEXT) | instid1(VALU_DEP_4)
	v_fma_f64 v[4:5], v[58:59], v[8:9], -v[4:5]
	v_fmac_f64_e32 v[12:13], v[60:61], v[8:9]
	ds_load_b128 v[8:11], v2 offset:496
	v_fmac_f64_e32 v[66:67], v[64:65], v[46:47]
	v_fma_f64 v[46:47], v[62:63], v[46:47], -v[48:49]
	s_wait_loadcnt_dscnt 0x100
	v_mul_f64_e32 v[58:59], v[8:9], v[52:53]
	v_mul_f64_e32 v[52:53], v[10:11], v[52:53]
	v_add_f64_e32 v[4:5], 0, v[4:5]
	v_add_f64_e32 v[12:13], 0, v[12:13]
	s_delay_alu instid0(VALU_DEP_4) | instskip(NEXT) | instid1(VALU_DEP_4)
	v_fmac_f64_e32 v[58:59], v[10:11], v[50:51]
	v_fma_f64 v[8:9], v[8:9], v[50:51], -v[52:53]
	s_delay_alu instid0(VALU_DEP_4) | instskip(NEXT) | instid1(VALU_DEP_4)
	v_add_f64_e32 v[4:5], v[4:5], v[46:47]
	v_add_f64_e32 v[10:11], v[12:13], v[66:67]
	s_delay_alu instid0(VALU_DEP_2) | instskip(NEXT) | instid1(VALU_DEP_2)
	v_add_f64_e32 v[4:5], v[4:5], v[8:9]
	v_add_f64_e32 v[10:11], v[10:11], v[58:59]
	s_wait_loadcnt 0x0
	s_delay_alu instid0(VALU_DEP_2) | instskip(NEXT) | instid1(VALU_DEP_2)
	v_add_f64_e64 v[8:9], v[54:55], -v[4:5]
	v_add_f64_e64 v[10:11], v[56:57], -v[10:11]
	scratch_store_b128 off, v[8:11], off offset:192
	s_wait_xcnt 0x0
	v_cmpx_lt_u32_e32 11, v1
	s_cbranch_execz .LBB79_87
; %bb.86:
	scratch_load_b128 v[8:11], off, s15
	v_dual_mov_b32 v3, v2 :: v_dual_mov_b32 v4, v2
	v_mov_b32_e32 v5, v2
	scratch_store_b128 off, v[2:5], off offset:176
	s_wait_loadcnt 0x0
	ds_store_b128 v6, v[8:11]
.LBB79_87:
	s_wait_xcnt 0x0
	s_or_b32 exec_lo, exec_lo, s2
	s_wait_storecnt_dscnt 0x0
	s_barrier_signal -1
	s_barrier_wait -1
	s_clause 0x4
	scratch_load_b128 v[8:11], off, off offset:192
	scratch_load_b128 v[46:49], off, off offset:208
	;; [unrolled: 1-line block ×5, first 2 shown]
	ds_load_b128 v[62:65], v2 offset:448
	ds_load_b128 v[66:69], v2 offset:464
	s_mov_b32 s2, exec_lo
	s_wait_loadcnt_dscnt 0x401
	v_mul_f64_e32 v[4:5], v[64:65], v[10:11]
	v_mul_f64_e32 v[12:13], v[62:63], v[10:11]
	s_wait_loadcnt_dscnt 0x300
	v_mul_f64_e32 v[70:71], v[66:67], v[48:49]
	v_mul_f64_e32 v[48:49], v[68:69], v[48:49]
	s_delay_alu instid0(VALU_DEP_4) | instskip(NEXT) | instid1(VALU_DEP_4)
	v_fma_f64 v[62:63], v[62:63], v[8:9], -v[4:5]
	v_fmac_f64_e32 v[12:13], v[64:65], v[8:9]
	ds_load_b128 v[8:11], v2 offset:480
	ds_load_b128 v[2:5], v2 offset:496
	v_fmac_f64_e32 v[70:71], v[68:69], v[46:47]
	v_fma_f64 v[46:47], v[66:67], v[46:47], -v[48:49]
	s_wait_loadcnt_dscnt 0x201
	v_mul_f64_e32 v[64:65], v[8:9], v[52:53]
	v_mul_f64_e32 v[52:53], v[10:11], v[52:53]
	v_add_f64_e32 v[48:49], 0, v[62:63]
	v_add_f64_e32 v[12:13], 0, v[12:13]
	s_wait_loadcnt_dscnt 0x100
	v_mul_f64_e32 v[62:63], v[2:3], v[56:57]
	v_mul_f64_e32 v[56:57], v[4:5], v[56:57]
	v_fmac_f64_e32 v[64:65], v[10:11], v[50:51]
	v_fma_f64 v[8:9], v[8:9], v[50:51], -v[52:53]
	v_add_f64_e32 v[10:11], v[48:49], v[46:47]
	v_add_f64_e32 v[12:13], v[12:13], v[70:71]
	v_fmac_f64_e32 v[62:63], v[4:5], v[54:55]
	v_fma_f64 v[2:3], v[2:3], v[54:55], -v[56:57]
	s_delay_alu instid0(VALU_DEP_4) | instskip(NEXT) | instid1(VALU_DEP_4)
	v_add_f64_e32 v[4:5], v[10:11], v[8:9]
	v_add_f64_e32 v[8:9], v[12:13], v[64:65]
	s_delay_alu instid0(VALU_DEP_2) | instskip(NEXT) | instid1(VALU_DEP_2)
	v_add_f64_e32 v[2:3], v[4:5], v[2:3]
	v_add_f64_e32 v[4:5], v[8:9], v[62:63]
	s_wait_loadcnt 0x0
	s_delay_alu instid0(VALU_DEP_2) | instskip(NEXT) | instid1(VALU_DEP_2)
	v_add_f64_e64 v[2:3], v[58:59], -v[2:3]
	v_add_f64_e64 v[4:5], v[60:61], -v[4:5]
	scratch_store_b128 off, v[2:5], off offset:176
	s_wait_xcnt 0x0
	v_cmpx_lt_u32_e32 10, v1
	s_cbranch_execz .LBB79_89
; %bb.88:
	scratch_load_b128 v[2:5], off, s22
	v_mov_b32_e32 v8, 0
	s_delay_alu instid0(VALU_DEP_1)
	v_dual_mov_b32 v9, v8 :: v_dual_mov_b32 v10, v8
	v_mov_b32_e32 v11, v8
	scratch_store_b128 off, v[8:11], off offset:160
	s_wait_loadcnt 0x0
	ds_store_b128 v6, v[2:5]
.LBB79_89:
	s_wait_xcnt 0x0
	s_or_b32 exec_lo, exec_lo, s2
	s_wait_storecnt_dscnt 0x0
	s_barrier_signal -1
	s_barrier_wait -1
	s_clause 0x5
	scratch_load_b128 v[8:11], off, off offset:176
	scratch_load_b128 v[46:49], off, off offset:192
	;; [unrolled: 1-line block ×6, first 2 shown]
	v_mov_b32_e32 v2, 0
	ds_load_b128 v[66:69], v2 offset:432
	ds_load_b128 v[70:73], v2 offset:448
	s_mov_b32 s2, exec_lo
	s_wait_loadcnt_dscnt 0x501
	v_mul_f64_e32 v[4:5], v[68:69], v[10:11]
	v_mul_f64_e32 v[12:13], v[66:67], v[10:11]
	s_wait_loadcnt_dscnt 0x400
	v_mul_f64_e32 v[74:75], v[70:71], v[48:49]
	v_mul_f64_e32 v[48:49], v[72:73], v[48:49]
	s_delay_alu instid0(VALU_DEP_4) | instskip(NEXT) | instid1(VALU_DEP_4)
	v_fma_f64 v[4:5], v[66:67], v[8:9], -v[4:5]
	v_fmac_f64_e32 v[12:13], v[68:69], v[8:9]
	ds_load_b128 v[8:11], v2 offset:464
	ds_load_b128 v[66:69], v2 offset:480
	v_fmac_f64_e32 v[74:75], v[72:73], v[46:47]
	v_fma_f64 v[46:47], v[70:71], v[46:47], -v[48:49]
	s_wait_loadcnt_dscnt 0x301
	v_mul_f64_e32 v[76:77], v[8:9], v[52:53]
	v_mul_f64_e32 v[52:53], v[10:11], v[52:53]
	s_wait_loadcnt_dscnt 0x200
	v_mul_f64_e32 v[48:49], v[66:67], v[56:57]
	v_mul_f64_e32 v[56:57], v[68:69], v[56:57]
	v_add_f64_e32 v[4:5], 0, v[4:5]
	v_add_f64_e32 v[12:13], 0, v[12:13]
	v_fmac_f64_e32 v[76:77], v[10:11], v[50:51]
	v_fma_f64 v[50:51], v[8:9], v[50:51], -v[52:53]
	ds_load_b128 v[8:11], v2 offset:496
	v_fmac_f64_e32 v[48:49], v[68:69], v[54:55]
	v_fma_f64 v[54:55], v[66:67], v[54:55], -v[56:57]
	v_add_f64_e32 v[4:5], v[4:5], v[46:47]
	v_add_f64_e32 v[12:13], v[12:13], v[74:75]
	s_wait_loadcnt_dscnt 0x100
	v_mul_f64_e32 v[46:47], v[8:9], v[60:61]
	v_mul_f64_e32 v[52:53], v[10:11], v[60:61]
	s_delay_alu instid0(VALU_DEP_4) | instskip(NEXT) | instid1(VALU_DEP_4)
	v_add_f64_e32 v[4:5], v[4:5], v[50:51]
	v_add_f64_e32 v[12:13], v[12:13], v[76:77]
	s_delay_alu instid0(VALU_DEP_4) | instskip(NEXT) | instid1(VALU_DEP_4)
	v_fmac_f64_e32 v[46:47], v[10:11], v[58:59]
	v_fma_f64 v[8:9], v[8:9], v[58:59], -v[52:53]
	s_delay_alu instid0(VALU_DEP_4) | instskip(NEXT) | instid1(VALU_DEP_4)
	v_add_f64_e32 v[4:5], v[4:5], v[54:55]
	v_add_f64_e32 v[10:11], v[12:13], v[48:49]
	s_delay_alu instid0(VALU_DEP_2) | instskip(NEXT) | instid1(VALU_DEP_2)
	v_add_f64_e32 v[4:5], v[4:5], v[8:9]
	v_add_f64_e32 v[10:11], v[10:11], v[46:47]
	s_wait_loadcnt 0x0
	s_delay_alu instid0(VALU_DEP_2) | instskip(NEXT) | instid1(VALU_DEP_2)
	v_add_f64_e64 v[8:9], v[62:63], -v[4:5]
	v_add_f64_e64 v[10:11], v[64:65], -v[10:11]
	scratch_store_b128 off, v[8:11], off offset:160
	s_wait_xcnt 0x0
	v_cmpx_lt_u32_e32 9, v1
	s_cbranch_execz .LBB79_91
; %bb.90:
	scratch_load_b128 v[8:11], off, s14
	v_dual_mov_b32 v3, v2 :: v_dual_mov_b32 v4, v2
	v_mov_b32_e32 v5, v2
	scratch_store_b128 off, v[2:5], off offset:144
	s_wait_loadcnt 0x0
	ds_store_b128 v6, v[8:11]
.LBB79_91:
	s_wait_xcnt 0x0
	s_or_b32 exec_lo, exec_lo, s2
	s_wait_storecnt_dscnt 0x0
	s_barrier_signal -1
	s_barrier_wait -1
	s_clause 0x6
	scratch_load_b128 v[8:11], off, off offset:160
	scratch_load_b128 v[46:49], off, off offset:176
	;; [unrolled: 1-line block ×7, first 2 shown]
	ds_load_b128 v[70:73], v2 offset:416
	ds_load_b128 v[74:77], v2 offset:432
	s_mov_b32 s2, exec_lo
	s_wait_loadcnt_dscnt 0x601
	v_mul_f64_e32 v[4:5], v[72:73], v[10:11]
	v_mul_f64_e32 v[12:13], v[70:71], v[10:11]
	s_wait_loadcnt_dscnt 0x500
	v_mul_f64_e32 v[78:79], v[74:75], v[48:49]
	v_mul_f64_e32 v[48:49], v[76:77], v[48:49]
	s_delay_alu instid0(VALU_DEP_4) | instskip(NEXT) | instid1(VALU_DEP_4)
	v_fma_f64 v[4:5], v[70:71], v[8:9], -v[4:5]
	v_fmac_f64_e32 v[12:13], v[72:73], v[8:9]
	ds_load_b128 v[8:11], v2 offset:448
	ds_load_b128 v[70:73], v2 offset:464
	v_fmac_f64_e32 v[78:79], v[76:77], v[46:47]
	v_fma_f64 v[46:47], v[74:75], v[46:47], -v[48:49]
	s_wait_loadcnt_dscnt 0x401
	v_mul_f64_e32 v[80:81], v[8:9], v[52:53]
	v_mul_f64_e32 v[52:53], v[10:11], v[52:53]
	s_wait_loadcnt_dscnt 0x300
	v_mul_f64_e32 v[48:49], v[70:71], v[56:57]
	v_mul_f64_e32 v[56:57], v[72:73], v[56:57]
	v_add_f64_e32 v[4:5], 0, v[4:5]
	v_add_f64_e32 v[12:13], 0, v[12:13]
	v_fmac_f64_e32 v[80:81], v[10:11], v[50:51]
	v_fma_f64 v[50:51], v[8:9], v[50:51], -v[52:53]
	v_fmac_f64_e32 v[48:49], v[72:73], v[54:55]
	v_fma_f64 v[54:55], v[70:71], v[54:55], -v[56:57]
	v_add_f64_e32 v[46:47], v[4:5], v[46:47]
	v_add_f64_e32 v[12:13], v[12:13], v[78:79]
	ds_load_b128 v[8:11], v2 offset:480
	ds_load_b128 v[2:5], v2 offset:496
	s_wait_loadcnt_dscnt 0x201
	v_mul_f64_e32 v[52:53], v[8:9], v[60:61]
	v_mul_f64_e32 v[60:61], v[10:11], v[60:61]
	s_wait_loadcnt_dscnt 0x100
	v_mul_f64_e32 v[56:57], v[4:5], v[64:65]
	v_add_f64_e32 v[46:47], v[46:47], v[50:51]
	v_add_f64_e32 v[12:13], v[12:13], v[80:81]
	v_mul_f64_e32 v[50:51], v[2:3], v[64:65]
	v_fmac_f64_e32 v[52:53], v[10:11], v[58:59]
	v_fma_f64 v[8:9], v[8:9], v[58:59], -v[60:61]
	v_fma_f64 v[2:3], v[2:3], v[62:63], -v[56:57]
	v_add_f64_e32 v[10:11], v[46:47], v[54:55]
	v_add_f64_e32 v[12:13], v[12:13], v[48:49]
	v_fmac_f64_e32 v[50:51], v[4:5], v[62:63]
	s_delay_alu instid0(VALU_DEP_3) | instskip(NEXT) | instid1(VALU_DEP_3)
	v_add_f64_e32 v[4:5], v[10:11], v[8:9]
	v_add_f64_e32 v[8:9], v[12:13], v[52:53]
	s_delay_alu instid0(VALU_DEP_2) | instskip(NEXT) | instid1(VALU_DEP_2)
	v_add_f64_e32 v[2:3], v[4:5], v[2:3]
	v_add_f64_e32 v[4:5], v[8:9], v[50:51]
	s_wait_loadcnt 0x0
	s_delay_alu instid0(VALU_DEP_2) | instskip(NEXT) | instid1(VALU_DEP_2)
	v_add_f64_e64 v[2:3], v[66:67], -v[2:3]
	v_add_f64_e64 v[4:5], v[68:69], -v[4:5]
	scratch_store_b128 off, v[2:5], off offset:144
	s_wait_xcnt 0x0
	v_cmpx_lt_u32_e32 8, v1
	s_cbranch_execz .LBB79_93
; %bb.92:
	scratch_load_b128 v[2:5], off, s21
	v_mov_b32_e32 v8, 0
	s_delay_alu instid0(VALU_DEP_1)
	v_dual_mov_b32 v9, v8 :: v_dual_mov_b32 v10, v8
	v_mov_b32_e32 v11, v8
	scratch_store_b128 off, v[8:11], off offset:128
	s_wait_loadcnt 0x0
	ds_store_b128 v6, v[2:5]
.LBB79_93:
	s_wait_xcnt 0x0
	s_or_b32 exec_lo, exec_lo, s2
	s_wait_storecnt_dscnt 0x0
	s_barrier_signal -1
	s_barrier_wait -1
	s_clause 0x7
	scratch_load_b128 v[8:11], off, off offset:144
	scratch_load_b128 v[46:49], off, off offset:160
	;; [unrolled: 1-line block ×8, first 2 shown]
	v_mov_b32_e32 v2, 0
	ds_load_b128 v[74:77], v2 offset:400
	ds_load_b128 v[78:81], v2 offset:416
	s_mov_b32 s2, exec_lo
	s_wait_loadcnt_dscnt 0x701
	v_mul_f64_e32 v[4:5], v[76:77], v[10:11]
	v_mul_f64_e32 v[12:13], v[74:75], v[10:11]
	s_wait_loadcnt_dscnt 0x600
	v_mul_f64_e32 v[82:83], v[78:79], v[48:49]
	v_mul_f64_e32 v[48:49], v[80:81], v[48:49]
	s_delay_alu instid0(VALU_DEP_4) | instskip(NEXT) | instid1(VALU_DEP_4)
	v_fma_f64 v[4:5], v[74:75], v[8:9], -v[4:5]
	v_fmac_f64_e32 v[12:13], v[76:77], v[8:9]
	ds_load_b128 v[8:11], v2 offset:432
	ds_load_b128 v[74:77], v2 offset:448
	v_fmac_f64_e32 v[82:83], v[80:81], v[46:47]
	v_fma_f64 v[46:47], v[78:79], v[46:47], -v[48:49]
	s_wait_loadcnt_dscnt 0x501
	v_mul_f64_e32 v[84:85], v[8:9], v[52:53]
	v_mul_f64_e32 v[52:53], v[10:11], v[52:53]
	s_wait_loadcnt_dscnt 0x400
	v_mul_f64_e32 v[78:79], v[74:75], v[56:57]
	v_mul_f64_e32 v[56:57], v[76:77], v[56:57]
	v_add_f64_e32 v[4:5], 0, v[4:5]
	v_add_f64_e32 v[12:13], 0, v[12:13]
	v_fmac_f64_e32 v[84:85], v[10:11], v[50:51]
	v_fma_f64 v[50:51], v[8:9], v[50:51], -v[52:53]
	v_fmac_f64_e32 v[78:79], v[76:77], v[54:55]
	v_fma_f64 v[54:55], v[74:75], v[54:55], -v[56:57]
	v_add_f64_e32 v[4:5], v[4:5], v[46:47]
	v_add_f64_e32 v[12:13], v[12:13], v[82:83]
	ds_load_b128 v[8:11], v2 offset:464
	ds_load_b128 v[46:49], v2 offset:480
	s_wait_loadcnt_dscnt 0x301
	v_mul_f64_e32 v[52:53], v[8:9], v[60:61]
	v_mul_f64_e32 v[60:61], v[10:11], v[60:61]
	s_wait_loadcnt_dscnt 0x200
	v_mul_f64_e32 v[56:57], v[48:49], v[64:65]
	v_add_f64_e32 v[4:5], v[4:5], v[50:51]
	v_add_f64_e32 v[12:13], v[12:13], v[84:85]
	v_mul_f64_e32 v[50:51], v[46:47], v[64:65]
	v_fmac_f64_e32 v[52:53], v[10:11], v[58:59]
	v_fma_f64 v[58:59], v[8:9], v[58:59], -v[60:61]
	ds_load_b128 v[8:11], v2 offset:496
	v_fma_f64 v[46:47], v[46:47], v[62:63], -v[56:57]
	v_add_f64_e32 v[4:5], v[4:5], v[54:55]
	v_add_f64_e32 v[12:13], v[12:13], v[78:79]
	v_fmac_f64_e32 v[50:51], v[48:49], v[62:63]
	s_wait_loadcnt_dscnt 0x100
	v_mul_f64_e32 v[54:55], v[8:9], v[68:69]
	v_mul_f64_e32 v[60:61], v[10:11], v[68:69]
	v_add_f64_e32 v[4:5], v[4:5], v[58:59]
	v_add_f64_e32 v[12:13], v[12:13], v[52:53]
	s_delay_alu instid0(VALU_DEP_4) | instskip(NEXT) | instid1(VALU_DEP_4)
	v_fmac_f64_e32 v[54:55], v[10:11], v[66:67]
	v_fma_f64 v[8:9], v[8:9], v[66:67], -v[60:61]
	s_delay_alu instid0(VALU_DEP_4) | instskip(NEXT) | instid1(VALU_DEP_4)
	v_add_f64_e32 v[4:5], v[4:5], v[46:47]
	v_add_f64_e32 v[10:11], v[12:13], v[50:51]
	s_delay_alu instid0(VALU_DEP_2) | instskip(NEXT) | instid1(VALU_DEP_2)
	v_add_f64_e32 v[4:5], v[4:5], v[8:9]
	v_add_f64_e32 v[10:11], v[10:11], v[54:55]
	s_wait_loadcnt 0x0
	s_delay_alu instid0(VALU_DEP_2) | instskip(NEXT) | instid1(VALU_DEP_2)
	v_add_f64_e64 v[8:9], v[70:71], -v[4:5]
	v_add_f64_e64 v[10:11], v[72:73], -v[10:11]
	scratch_store_b128 off, v[8:11], off offset:128
	s_wait_xcnt 0x0
	v_cmpx_lt_u32_e32 7, v1
	s_cbranch_execz .LBB79_95
; %bb.94:
	scratch_load_b128 v[8:11], off, s13
	v_dual_mov_b32 v3, v2 :: v_dual_mov_b32 v4, v2
	v_mov_b32_e32 v5, v2
	scratch_store_b128 off, v[2:5], off offset:112
	s_wait_loadcnt 0x0
	ds_store_b128 v6, v[8:11]
.LBB79_95:
	s_wait_xcnt 0x0
	s_or_b32 exec_lo, exec_lo, s2
	s_wait_storecnt_dscnt 0x0
	s_barrier_signal -1
	s_barrier_wait -1
	s_clause 0x7
	scratch_load_b128 v[8:11], off, off offset:128
	scratch_load_b128 v[46:49], off, off offset:144
	;; [unrolled: 1-line block ×8, first 2 shown]
	ds_load_b128 v[74:77], v2 offset:384
	ds_load_b128 v[78:81], v2 offset:400
	scratch_load_b128 v[82:85], off, off offset:112
	s_mov_b32 s2, exec_lo
	s_wait_loadcnt_dscnt 0x801
	v_mul_f64_e32 v[4:5], v[76:77], v[10:11]
	v_mul_f64_e32 v[12:13], v[74:75], v[10:11]
	s_wait_loadcnt_dscnt 0x700
	v_mul_f64_e32 v[86:87], v[78:79], v[48:49]
	v_mul_f64_e32 v[48:49], v[80:81], v[48:49]
	s_delay_alu instid0(VALU_DEP_4) | instskip(NEXT) | instid1(VALU_DEP_4)
	v_fma_f64 v[4:5], v[74:75], v[8:9], -v[4:5]
	v_fmac_f64_e32 v[12:13], v[76:77], v[8:9]
	ds_load_b128 v[8:11], v2 offset:416
	ds_load_b128 v[74:77], v2 offset:432
	v_fmac_f64_e32 v[86:87], v[80:81], v[46:47]
	v_fma_f64 v[46:47], v[78:79], v[46:47], -v[48:49]
	s_wait_loadcnt_dscnt 0x601
	v_mul_f64_e32 v[88:89], v[8:9], v[52:53]
	v_mul_f64_e32 v[52:53], v[10:11], v[52:53]
	s_wait_loadcnt_dscnt 0x500
	v_mul_f64_e32 v[78:79], v[74:75], v[56:57]
	v_mul_f64_e32 v[56:57], v[76:77], v[56:57]
	v_add_f64_e32 v[4:5], 0, v[4:5]
	v_add_f64_e32 v[12:13], 0, v[12:13]
	v_fmac_f64_e32 v[88:89], v[10:11], v[50:51]
	v_fma_f64 v[50:51], v[8:9], v[50:51], -v[52:53]
	v_fmac_f64_e32 v[78:79], v[76:77], v[54:55]
	v_fma_f64 v[54:55], v[74:75], v[54:55], -v[56:57]
	v_add_f64_e32 v[4:5], v[4:5], v[46:47]
	v_add_f64_e32 v[12:13], v[12:13], v[86:87]
	ds_load_b128 v[8:11], v2 offset:448
	ds_load_b128 v[46:49], v2 offset:464
	s_wait_loadcnt_dscnt 0x401
	v_mul_f64_e32 v[52:53], v[8:9], v[60:61]
	v_mul_f64_e32 v[60:61], v[10:11], v[60:61]
	s_wait_loadcnt_dscnt 0x300
	v_mul_f64_e32 v[56:57], v[48:49], v[64:65]
	v_add_f64_e32 v[4:5], v[4:5], v[50:51]
	v_add_f64_e32 v[12:13], v[12:13], v[88:89]
	v_mul_f64_e32 v[50:51], v[46:47], v[64:65]
	v_fmac_f64_e32 v[52:53], v[10:11], v[58:59]
	v_fma_f64 v[58:59], v[8:9], v[58:59], -v[60:61]
	v_fma_f64 v[46:47], v[46:47], v[62:63], -v[56:57]
	v_add_f64_e32 v[54:55], v[4:5], v[54:55]
	v_add_f64_e32 v[12:13], v[12:13], v[78:79]
	ds_load_b128 v[8:11], v2 offset:480
	ds_load_b128 v[2:5], v2 offset:496
	v_fmac_f64_e32 v[50:51], v[48:49], v[62:63]
	s_wait_loadcnt_dscnt 0x201
	v_mul_f64_e32 v[60:61], v[8:9], v[68:69]
	v_mul_f64_e32 v[64:65], v[10:11], v[68:69]
	v_add_f64_e32 v[48:49], v[54:55], v[58:59]
	v_add_f64_e32 v[12:13], v[12:13], v[52:53]
	s_wait_loadcnt_dscnt 0x100
	v_mul_f64_e32 v[52:53], v[2:3], v[72:73]
	v_mul_f64_e32 v[54:55], v[4:5], v[72:73]
	v_fmac_f64_e32 v[60:61], v[10:11], v[66:67]
	v_fma_f64 v[8:9], v[8:9], v[66:67], -v[64:65]
	v_add_f64_e32 v[10:11], v[48:49], v[46:47]
	v_add_f64_e32 v[12:13], v[12:13], v[50:51]
	v_fmac_f64_e32 v[52:53], v[4:5], v[70:71]
	v_fma_f64 v[2:3], v[2:3], v[70:71], -v[54:55]
	s_delay_alu instid0(VALU_DEP_4) | instskip(NEXT) | instid1(VALU_DEP_4)
	v_add_f64_e32 v[4:5], v[10:11], v[8:9]
	v_add_f64_e32 v[8:9], v[12:13], v[60:61]
	s_delay_alu instid0(VALU_DEP_2) | instskip(NEXT) | instid1(VALU_DEP_2)
	v_add_f64_e32 v[2:3], v[4:5], v[2:3]
	v_add_f64_e32 v[4:5], v[8:9], v[52:53]
	s_wait_loadcnt 0x0
	s_delay_alu instid0(VALU_DEP_2) | instskip(NEXT) | instid1(VALU_DEP_2)
	v_add_f64_e64 v[2:3], v[82:83], -v[2:3]
	v_add_f64_e64 v[4:5], v[84:85], -v[4:5]
	scratch_store_b128 off, v[2:5], off offset:112
	s_wait_xcnt 0x0
	v_cmpx_lt_u32_e32 6, v1
	s_cbranch_execz .LBB79_97
; %bb.96:
	scratch_load_b128 v[2:5], off, s20
	v_mov_b32_e32 v8, 0
	s_delay_alu instid0(VALU_DEP_1)
	v_dual_mov_b32 v9, v8 :: v_dual_mov_b32 v10, v8
	v_mov_b32_e32 v11, v8
	scratch_store_b128 off, v[8:11], off offset:96
	s_wait_loadcnt 0x0
	ds_store_b128 v6, v[2:5]
.LBB79_97:
	s_wait_xcnt 0x0
	s_or_b32 exec_lo, exec_lo, s2
	s_wait_storecnt_dscnt 0x0
	s_barrier_signal -1
	s_barrier_wait -1
	s_clause 0x8
	scratch_load_b128 v[8:11], off, off offset:112
	scratch_load_b128 v[46:49], off, off offset:128
	;; [unrolled: 1-line block ×9, first 2 shown]
	v_mov_b32_e32 v2, 0
	scratch_load_b128 v[82:85], off, off offset:96
	s_mov_b32 s2, exec_lo
	ds_load_b128 v[78:81], v2 offset:368
	ds_load_b128 v[86:89], v2 offset:384
	s_wait_loadcnt_dscnt 0x901
	v_mul_f64_e32 v[4:5], v[80:81], v[10:11]
	v_mul_f64_e32 v[12:13], v[78:79], v[10:11]
	s_wait_loadcnt_dscnt 0x800
	v_mul_f64_e32 v[90:91], v[86:87], v[48:49]
	v_mul_f64_e32 v[48:49], v[88:89], v[48:49]
	s_delay_alu instid0(VALU_DEP_4) | instskip(NEXT) | instid1(VALU_DEP_4)
	v_fma_f64 v[4:5], v[78:79], v[8:9], -v[4:5]
	v_fmac_f64_e32 v[12:13], v[80:81], v[8:9]
	ds_load_b128 v[8:11], v2 offset:400
	ds_load_b128 v[78:81], v2 offset:416
	v_fmac_f64_e32 v[90:91], v[88:89], v[46:47]
	v_fma_f64 v[46:47], v[86:87], v[46:47], -v[48:49]
	s_wait_loadcnt_dscnt 0x701
	v_mul_f64_e32 v[92:93], v[8:9], v[52:53]
	v_mul_f64_e32 v[52:53], v[10:11], v[52:53]
	s_wait_loadcnt_dscnt 0x600
	v_mul_f64_e32 v[86:87], v[78:79], v[56:57]
	v_mul_f64_e32 v[56:57], v[80:81], v[56:57]
	v_add_f64_e32 v[4:5], 0, v[4:5]
	v_add_f64_e32 v[12:13], 0, v[12:13]
	v_fmac_f64_e32 v[92:93], v[10:11], v[50:51]
	v_fma_f64 v[50:51], v[8:9], v[50:51], -v[52:53]
	v_fmac_f64_e32 v[86:87], v[80:81], v[54:55]
	v_fma_f64 v[54:55], v[78:79], v[54:55], -v[56:57]
	v_add_f64_e32 v[4:5], v[4:5], v[46:47]
	v_add_f64_e32 v[12:13], v[12:13], v[90:91]
	ds_load_b128 v[8:11], v2 offset:432
	ds_load_b128 v[46:49], v2 offset:448
	s_wait_loadcnt_dscnt 0x501
	v_mul_f64_e32 v[88:89], v[8:9], v[60:61]
	v_mul_f64_e32 v[52:53], v[10:11], v[60:61]
	s_wait_loadcnt_dscnt 0x400
	v_mul_f64_e32 v[56:57], v[46:47], v[64:65]
	v_mul_f64_e32 v[60:61], v[48:49], v[64:65]
	v_add_f64_e32 v[4:5], v[4:5], v[50:51]
	v_add_f64_e32 v[12:13], v[12:13], v[92:93]
	v_fmac_f64_e32 v[88:89], v[10:11], v[58:59]
	v_fma_f64 v[58:59], v[8:9], v[58:59], -v[52:53]
	ds_load_b128 v[8:11], v2 offset:464
	ds_load_b128 v[50:53], v2 offset:480
	v_fmac_f64_e32 v[56:57], v[48:49], v[62:63]
	v_fma_f64 v[46:47], v[46:47], v[62:63], -v[60:61]
	v_add_f64_e32 v[4:5], v[4:5], v[54:55]
	v_add_f64_e32 v[12:13], v[12:13], v[86:87]
	s_wait_loadcnt_dscnt 0x301
	v_mul_f64_e32 v[54:55], v[8:9], v[68:69]
	v_mul_f64_e32 v[64:65], v[10:11], v[68:69]
	s_wait_loadcnt_dscnt 0x200
	v_mul_f64_e32 v[48:49], v[50:51], v[72:73]
	v_add_f64_e32 v[4:5], v[4:5], v[58:59]
	v_add_f64_e32 v[12:13], v[12:13], v[88:89]
	v_mul_f64_e32 v[58:59], v[52:53], v[72:73]
	v_fmac_f64_e32 v[54:55], v[10:11], v[66:67]
	v_fma_f64 v[60:61], v[8:9], v[66:67], -v[64:65]
	ds_load_b128 v[8:11], v2 offset:496
	v_fmac_f64_e32 v[48:49], v[52:53], v[70:71]
	v_add_f64_e32 v[4:5], v[4:5], v[46:47]
	v_add_f64_e32 v[12:13], v[12:13], v[56:57]
	s_wait_loadcnt_dscnt 0x100
	v_mul_f64_e32 v[46:47], v[8:9], v[76:77]
	v_mul_f64_e32 v[56:57], v[10:11], v[76:77]
	v_fma_f64 v[50:51], v[50:51], v[70:71], -v[58:59]
	v_add_f64_e32 v[4:5], v[4:5], v[60:61]
	v_add_f64_e32 v[12:13], v[12:13], v[54:55]
	v_fmac_f64_e32 v[46:47], v[10:11], v[74:75]
	v_fma_f64 v[8:9], v[8:9], v[74:75], -v[56:57]
	s_delay_alu instid0(VALU_DEP_4) | instskip(NEXT) | instid1(VALU_DEP_4)
	v_add_f64_e32 v[4:5], v[4:5], v[50:51]
	v_add_f64_e32 v[10:11], v[12:13], v[48:49]
	s_delay_alu instid0(VALU_DEP_2) | instskip(NEXT) | instid1(VALU_DEP_2)
	v_add_f64_e32 v[4:5], v[4:5], v[8:9]
	v_add_f64_e32 v[10:11], v[10:11], v[46:47]
	s_wait_loadcnt 0x0
	s_delay_alu instid0(VALU_DEP_2) | instskip(NEXT) | instid1(VALU_DEP_2)
	v_add_f64_e64 v[8:9], v[82:83], -v[4:5]
	v_add_f64_e64 v[10:11], v[84:85], -v[10:11]
	scratch_store_b128 off, v[8:11], off offset:96
	s_wait_xcnt 0x0
	v_cmpx_lt_u32_e32 5, v1
	s_cbranch_execz .LBB79_99
; %bb.98:
	scratch_load_b128 v[8:11], off, s12
	v_dual_mov_b32 v3, v2 :: v_dual_mov_b32 v4, v2
	v_mov_b32_e32 v5, v2
	scratch_store_b128 off, v[2:5], off offset:80
	s_wait_loadcnt 0x0
	ds_store_b128 v6, v[8:11]
.LBB79_99:
	s_wait_xcnt 0x0
	s_or_b32 exec_lo, exec_lo, s2
	s_wait_storecnt_dscnt 0x0
	s_barrier_signal -1
	s_barrier_wait -1
	s_clause 0x9
	scratch_load_b128 v[8:11], off, off offset:96
	scratch_load_b128 v[46:49], off, off offset:112
	;; [unrolled: 1-line block ×10, first 2 shown]
	ds_load_b128 v[82:85], v2 offset:352
	ds_load_b128 v[86:89], v2 offset:368
	scratch_load_b128 v[90:93], off, off offset:80
	s_mov_b32 s2, exec_lo
	s_wait_loadcnt_dscnt 0xa01
	v_mul_f64_e32 v[4:5], v[84:85], v[10:11]
	v_mul_f64_e32 v[12:13], v[82:83], v[10:11]
	s_wait_loadcnt_dscnt 0x900
	v_mul_f64_e32 v[94:95], v[86:87], v[48:49]
	v_mul_f64_e32 v[48:49], v[88:89], v[48:49]
	s_delay_alu instid0(VALU_DEP_4) | instskip(NEXT) | instid1(VALU_DEP_4)
	v_fma_f64 v[4:5], v[82:83], v[8:9], -v[4:5]
	v_fmac_f64_e32 v[12:13], v[84:85], v[8:9]
	ds_load_b128 v[8:11], v2 offset:384
	ds_load_b128 v[82:85], v2 offset:400
	v_fmac_f64_e32 v[94:95], v[88:89], v[46:47]
	v_fma_f64 v[46:47], v[86:87], v[46:47], -v[48:49]
	s_wait_loadcnt_dscnt 0x801
	v_mul_f64_e32 v[96:97], v[8:9], v[52:53]
	v_mul_f64_e32 v[52:53], v[10:11], v[52:53]
	s_wait_loadcnt_dscnt 0x700
	v_mul_f64_e32 v[86:87], v[82:83], v[56:57]
	v_mul_f64_e32 v[56:57], v[84:85], v[56:57]
	v_add_f64_e32 v[4:5], 0, v[4:5]
	v_add_f64_e32 v[12:13], 0, v[12:13]
	v_fmac_f64_e32 v[96:97], v[10:11], v[50:51]
	v_fma_f64 v[50:51], v[8:9], v[50:51], -v[52:53]
	v_fmac_f64_e32 v[86:87], v[84:85], v[54:55]
	v_fma_f64 v[54:55], v[82:83], v[54:55], -v[56:57]
	v_add_f64_e32 v[4:5], v[4:5], v[46:47]
	v_add_f64_e32 v[12:13], v[12:13], v[94:95]
	ds_load_b128 v[8:11], v2 offset:416
	ds_load_b128 v[46:49], v2 offset:432
	s_wait_loadcnt_dscnt 0x601
	v_mul_f64_e32 v[88:89], v[8:9], v[60:61]
	v_mul_f64_e32 v[52:53], v[10:11], v[60:61]
	s_wait_loadcnt_dscnt 0x500
	v_mul_f64_e32 v[56:57], v[46:47], v[64:65]
	v_mul_f64_e32 v[60:61], v[48:49], v[64:65]
	v_add_f64_e32 v[4:5], v[4:5], v[50:51]
	v_add_f64_e32 v[12:13], v[12:13], v[96:97]
	v_fmac_f64_e32 v[88:89], v[10:11], v[58:59]
	v_fma_f64 v[58:59], v[8:9], v[58:59], -v[52:53]
	ds_load_b128 v[8:11], v2 offset:448
	ds_load_b128 v[50:53], v2 offset:464
	v_fmac_f64_e32 v[56:57], v[48:49], v[62:63]
	v_fma_f64 v[46:47], v[46:47], v[62:63], -v[60:61]
	v_add_f64_e32 v[4:5], v[4:5], v[54:55]
	v_add_f64_e32 v[12:13], v[12:13], v[86:87]
	s_wait_loadcnt_dscnt 0x401
	v_mul_f64_e32 v[54:55], v[8:9], v[68:69]
	v_mul_f64_e32 v[64:65], v[10:11], v[68:69]
	s_wait_loadcnt_dscnt 0x300
	v_mul_f64_e32 v[48:49], v[50:51], v[72:73]
	v_add_f64_e32 v[4:5], v[4:5], v[58:59]
	v_add_f64_e32 v[12:13], v[12:13], v[88:89]
	v_mul_f64_e32 v[58:59], v[52:53], v[72:73]
	v_fmac_f64_e32 v[54:55], v[10:11], v[66:67]
	v_fma_f64 v[60:61], v[8:9], v[66:67], -v[64:65]
	v_fmac_f64_e32 v[48:49], v[52:53], v[70:71]
	v_add_f64_e32 v[46:47], v[4:5], v[46:47]
	v_add_f64_e32 v[12:13], v[12:13], v[56:57]
	ds_load_b128 v[8:11], v2 offset:480
	ds_load_b128 v[2:5], v2 offset:496
	v_fma_f64 v[50:51], v[50:51], v[70:71], -v[58:59]
	s_wait_loadcnt_dscnt 0x201
	v_mul_f64_e32 v[56:57], v[8:9], v[76:77]
	v_mul_f64_e32 v[62:63], v[10:11], v[76:77]
	s_wait_loadcnt_dscnt 0x100
	v_mul_f64_e32 v[52:53], v[2:3], v[80:81]
	v_add_f64_e32 v[46:47], v[46:47], v[60:61]
	v_add_f64_e32 v[12:13], v[12:13], v[54:55]
	v_mul_f64_e32 v[54:55], v[4:5], v[80:81]
	v_fmac_f64_e32 v[56:57], v[10:11], v[74:75]
	v_fma_f64 v[8:9], v[8:9], v[74:75], -v[62:63]
	v_fmac_f64_e32 v[52:53], v[4:5], v[78:79]
	v_add_f64_e32 v[10:11], v[46:47], v[50:51]
	v_add_f64_e32 v[12:13], v[12:13], v[48:49]
	v_fma_f64 v[2:3], v[2:3], v[78:79], -v[54:55]
	s_delay_alu instid0(VALU_DEP_3) | instskip(NEXT) | instid1(VALU_DEP_3)
	v_add_f64_e32 v[4:5], v[10:11], v[8:9]
	v_add_f64_e32 v[8:9], v[12:13], v[56:57]
	s_delay_alu instid0(VALU_DEP_2) | instskip(NEXT) | instid1(VALU_DEP_2)
	v_add_f64_e32 v[2:3], v[4:5], v[2:3]
	v_add_f64_e32 v[4:5], v[8:9], v[52:53]
	s_wait_loadcnt 0x0
	s_delay_alu instid0(VALU_DEP_2) | instskip(NEXT) | instid1(VALU_DEP_2)
	v_add_f64_e64 v[2:3], v[90:91], -v[2:3]
	v_add_f64_e64 v[4:5], v[92:93], -v[4:5]
	scratch_store_b128 off, v[2:5], off offset:80
	s_wait_xcnt 0x0
	v_cmpx_lt_u32_e32 4, v1
	s_cbranch_execz .LBB79_101
; %bb.100:
	scratch_load_b128 v[2:5], off, s19
	v_mov_b32_e32 v8, 0
	s_delay_alu instid0(VALU_DEP_1)
	v_dual_mov_b32 v9, v8 :: v_dual_mov_b32 v10, v8
	v_mov_b32_e32 v11, v8
	scratch_store_b128 off, v[8:11], off offset:64
	s_wait_loadcnt 0x0
	ds_store_b128 v6, v[2:5]
.LBB79_101:
	s_wait_xcnt 0x0
	s_or_b32 exec_lo, exec_lo, s2
	s_wait_storecnt_dscnt 0x0
	s_barrier_signal -1
	s_barrier_wait -1
	s_clause 0x9
	scratch_load_b128 v[8:11], off, off offset:80
	scratch_load_b128 v[46:49], off, off offset:96
	;; [unrolled: 1-line block ×10, first 2 shown]
	v_mov_b32_e32 v2, 0
	s_mov_b32 s2, exec_lo
	ds_load_b128 v[82:85], v2 offset:336
	s_clause 0x1
	scratch_load_b128 v[86:89], off, off offset:240
	scratch_load_b128 v[90:93], off, off offset:64
	s_wait_loadcnt_dscnt 0xb00
	v_mul_f64_e32 v[4:5], v[84:85], v[10:11]
	v_mul_f64_e32 v[12:13], v[82:83], v[10:11]
	ds_load_b128 v[94:97], v2 offset:352
	s_wait_loadcnt_dscnt 0xa00
	v_mul_f64_e32 v[98:99], v[94:95], v[48:49]
	v_mul_f64_e32 v[48:49], v[96:97], v[48:49]
	v_fma_f64 v[4:5], v[82:83], v[8:9], -v[4:5]
	v_fmac_f64_e32 v[12:13], v[84:85], v[8:9]
	ds_load_b128 v[8:11], v2 offset:368
	ds_load_b128 v[82:85], v2 offset:384
	s_wait_loadcnt_dscnt 0x901
	v_mul_f64_e32 v[100:101], v[8:9], v[52:53]
	v_mul_f64_e32 v[52:53], v[10:11], v[52:53]
	v_fmac_f64_e32 v[98:99], v[96:97], v[46:47]
	v_fma_f64 v[46:47], v[94:95], v[46:47], -v[48:49]
	s_wait_loadcnt_dscnt 0x800
	v_mul_f64_e32 v[94:95], v[82:83], v[56:57]
	v_mul_f64_e32 v[56:57], v[84:85], v[56:57]
	v_add_f64_e32 v[4:5], 0, v[4:5]
	v_add_f64_e32 v[12:13], 0, v[12:13]
	v_fmac_f64_e32 v[100:101], v[10:11], v[50:51]
	v_fma_f64 v[50:51], v[8:9], v[50:51], -v[52:53]
	v_fmac_f64_e32 v[94:95], v[84:85], v[54:55]
	v_fma_f64 v[54:55], v[82:83], v[54:55], -v[56:57]
	v_add_f64_e32 v[4:5], v[4:5], v[46:47]
	v_add_f64_e32 v[12:13], v[12:13], v[98:99]
	ds_load_b128 v[8:11], v2 offset:400
	ds_load_b128 v[46:49], v2 offset:416
	s_wait_loadcnt_dscnt 0x701
	v_mul_f64_e32 v[96:97], v[8:9], v[60:61]
	v_mul_f64_e32 v[52:53], v[10:11], v[60:61]
	s_wait_loadcnt_dscnt 0x600
	v_mul_f64_e32 v[56:57], v[46:47], v[64:65]
	v_mul_f64_e32 v[60:61], v[48:49], v[64:65]
	v_add_f64_e32 v[4:5], v[4:5], v[50:51]
	v_add_f64_e32 v[12:13], v[12:13], v[100:101]
	v_fmac_f64_e32 v[96:97], v[10:11], v[58:59]
	v_fma_f64 v[58:59], v[8:9], v[58:59], -v[52:53]
	ds_load_b128 v[8:11], v2 offset:432
	ds_load_b128 v[50:53], v2 offset:448
	v_fmac_f64_e32 v[56:57], v[48:49], v[62:63]
	v_fma_f64 v[46:47], v[46:47], v[62:63], -v[60:61]
	v_add_f64_e32 v[4:5], v[4:5], v[54:55]
	v_add_f64_e32 v[12:13], v[12:13], v[94:95]
	s_wait_loadcnt_dscnt 0x501
	v_mul_f64_e32 v[54:55], v[8:9], v[68:69]
	v_mul_f64_e32 v[64:65], v[10:11], v[68:69]
	s_wait_loadcnt_dscnt 0x400
	v_mul_f64_e32 v[60:61], v[52:53], v[72:73]
	v_add_f64_e32 v[4:5], v[4:5], v[58:59]
	v_add_f64_e32 v[12:13], v[12:13], v[96:97]
	v_mul_f64_e32 v[58:59], v[50:51], v[72:73]
	v_fmac_f64_e32 v[54:55], v[10:11], v[66:67]
	v_fma_f64 v[62:63], v[8:9], v[66:67], -v[64:65]
	v_fma_f64 v[50:51], v[50:51], v[70:71], -v[60:61]
	v_add_f64_e32 v[4:5], v[4:5], v[46:47]
	v_add_f64_e32 v[12:13], v[12:13], v[56:57]
	ds_load_b128 v[8:11], v2 offset:464
	ds_load_b128 v[46:49], v2 offset:480
	v_fmac_f64_e32 v[58:59], v[52:53], v[70:71]
	s_wait_loadcnt_dscnt 0x301
	v_mul_f64_e32 v[56:57], v[8:9], v[76:77]
	v_mul_f64_e32 v[64:65], v[10:11], v[76:77]
	s_wait_loadcnt_dscnt 0x200
	v_mul_f64_e32 v[52:53], v[46:47], v[80:81]
	v_add_f64_e32 v[4:5], v[4:5], v[62:63]
	v_add_f64_e32 v[12:13], v[12:13], v[54:55]
	v_mul_f64_e32 v[54:55], v[48:49], v[80:81]
	v_fmac_f64_e32 v[56:57], v[10:11], v[74:75]
	v_fma_f64 v[60:61], v[8:9], v[74:75], -v[64:65]
	ds_load_b128 v[8:11], v2 offset:496
	v_fmac_f64_e32 v[52:53], v[48:49], v[78:79]
	v_add_f64_e32 v[4:5], v[4:5], v[50:51]
	v_add_f64_e32 v[12:13], v[12:13], v[58:59]
	v_fma_f64 v[46:47], v[46:47], v[78:79], -v[54:55]
	s_wait_loadcnt_dscnt 0x100
	v_mul_f64_e32 v[50:51], v[8:9], v[88:89]
	v_mul_f64_e32 v[58:59], v[10:11], v[88:89]
	v_add_f64_e32 v[4:5], v[4:5], v[60:61]
	v_add_f64_e32 v[12:13], v[12:13], v[56:57]
	s_delay_alu instid0(VALU_DEP_4) | instskip(NEXT) | instid1(VALU_DEP_4)
	v_fmac_f64_e32 v[50:51], v[10:11], v[86:87]
	v_fma_f64 v[8:9], v[8:9], v[86:87], -v[58:59]
	s_delay_alu instid0(VALU_DEP_4) | instskip(NEXT) | instid1(VALU_DEP_4)
	v_add_f64_e32 v[4:5], v[4:5], v[46:47]
	v_add_f64_e32 v[10:11], v[12:13], v[52:53]
	s_delay_alu instid0(VALU_DEP_2) | instskip(NEXT) | instid1(VALU_DEP_2)
	v_add_f64_e32 v[4:5], v[4:5], v[8:9]
	v_add_f64_e32 v[10:11], v[10:11], v[50:51]
	s_wait_loadcnt 0x0
	s_delay_alu instid0(VALU_DEP_2) | instskip(NEXT) | instid1(VALU_DEP_2)
	v_add_f64_e64 v[8:9], v[90:91], -v[4:5]
	v_add_f64_e64 v[10:11], v[92:93], -v[10:11]
	scratch_store_b128 off, v[8:11], off offset:64
	s_wait_xcnt 0x0
	v_cmpx_lt_u32_e32 3, v1
	s_cbranch_execz .LBB79_103
; %bb.102:
	scratch_load_b128 v[8:11], off, s18
	v_dual_mov_b32 v3, v2 :: v_dual_mov_b32 v4, v2
	v_mov_b32_e32 v5, v2
	scratch_store_b128 off, v[2:5], off offset:48
	s_wait_loadcnt 0x0
	ds_store_b128 v6, v[8:11]
.LBB79_103:
	s_wait_xcnt 0x0
	s_or_b32 exec_lo, exec_lo, s2
	s_wait_storecnt_dscnt 0x0
	s_barrier_signal -1
	s_barrier_wait -1
	s_clause 0x9
	scratch_load_b128 v[8:11], off, off offset:64
	scratch_load_b128 v[46:49], off, off offset:80
	scratch_load_b128 v[50:53], off, off offset:96
	scratch_load_b128 v[54:57], off, off offset:112
	scratch_load_b128 v[58:61], off, off offset:128
	scratch_load_b128 v[62:65], off, off offset:144
	scratch_load_b128 v[66:69], off, off offset:160
	scratch_load_b128 v[70:73], off, off offset:176
	scratch_load_b128 v[74:77], off, off offset:192
	scratch_load_b128 v[78:81], off, off offset:208
	ds_load_b128 v[82:85], v2 offset:320
	ds_load_b128 v[90:93], v2 offset:336
	s_clause 0x1
	scratch_load_b128 v[86:89], off, off offset:224
	scratch_load_b128 v[94:97], off, off offset:48
	s_mov_b32 s2, exec_lo
	s_wait_loadcnt_dscnt 0xb01
	v_mul_f64_e32 v[4:5], v[84:85], v[10:11]
	v_mul_f64_e32 v[102:103], v[82:83], v[10:11]
	scratch_load_b128 v[10:13], off, off offset:240
	s_wait_loadcnt_dscnt 0xb00
	v_mul_f64_e32 v[104:105], v[90:91], v[48:49]
	v_mul_f64_e32 v[48:49], v[92:93], v[48:49]
	v_fma_f64 v[4:5], v[82:83], v[8:9], -v[4:5]
	v_fmac_f64_e32 v[102:103], v[84:85], v[8:9]
	ds_load_b128 v[82:85], v2 offset:352
	ds_load_b128 v[98:101], v2 offset:368
	v_fmac_f64_e32 v[104:105], v[92:93], v[46:47]
	v_fma_f64 v[46:47], v[90:91], v[46:47], -v[48:49]
	s_wait_loadcnt_dscnt 0xa01
	v_mul_f64_e32 v[8:9], v[82:83], v[52:53]
	v_mul_f64_e32 v[52:53], v[84:85], v[52:53]
	s_wait_loadcnt_dscnt 0x900
	v_mul_f64_e32 v[90:91], v[98:99], v[56:57]
	v_mul_f64_e32 v[56:57], v[100:101], v[56:57]
	v_add_f64_e32 v[4:5], 0, v[4:5]
	v_add_f64_e32 v[48:49], 0, v[102:103]
	v_fmac_f64_e32 v[8:9], v[84:85], v[50:51]
	v_fma_f64 v[82:83], v[82:83], v[50:51], -v[52:53]
	v_fmac_f64_e32 v[90:91], v[100:101], v[54:55]
	v_fma_f64 v[54:55], v[98:99], v[54:55], -v[56:57]
	v_add_f64_e32 v[4:5], v[4:5], v[46:47]
	v_add_f64_e32 v[84:85], v[48:49], v[104:105]
	ds_load_b128 v[46:49], v2 offset:384
	ds_load_b128 v[50:53], v2 offset:400
	s_wait_loadcnt_dscnt 0x801
	v_mul_f64_e32 v[92:93], v[46:47], v[60:61]
	v_mul_f64_e32 v[60:61], v[48:49], v[60:61]
	v_add_f64_e32 v[4:5], v[4:5], v[82:83]
	v_add_f64_e32 v[8:9], v[84:85], v[8:9]
	s_wait_loadcnt_dscnt 0x700
	v_mul_f64_e32 v[82:83], v[50:51], v[64:65]
	v_mul_f64_e32 v[64:65], v[52:53], v[64:65]
	v_fmac_f64_e32 v[92:93], v[48:49], v[58:59]
	v_fma_f64 v[58:59], v[46:47], v[58:59], -v[60:61]
	v_add_f64_e32 v[4:5], v[4:5], v[54:55]
	v_add_f64_e32 v[8:9], v[8:9], v[90:91]
	ds_load_b128 v[46:49], v2 offset:416
	ds_load_b128 v[54:57], v2 offset:432
	v_fmac_f64_e32 v[82:83], v[52:53], v[62:63]
	v_fma_f64 v[50:51], v[50:51], v[62:63], -v[64:65]
	s_wait_loadcnt_dscnt 0x601
	v_mul_f64_e32 v[60:61], v[46:47], v[68:69]
	v_mul_f64_e32 v[68:69], v[48:49], v[68:69]
	s_wait_loadcnt_dscnt 0x500
	v_mul_f64_e32 v[62:63], v[56:57], v[72:73]
	v_add_f64_e32 v[4:5], v[4:5], v[58:59]
	v_add_f64_e32 v[8:9], v[8:9], v[92:93]
	v_mul_f64_e32 v[58:59], v[54:55], v[72:73]
	v_fmac_f64_e32 v[60:61], v[48:49], v[66:67]
	v_fma_f64 v[64:65], v[46:47], v[66:67], -v[68:69]
	v_fma_f64 v[54:55], v[54:55], v[70:71], -v[62:63]
	v_add_f64_e32 v[4:5], v[4:5], v[50:51]
	v_add_f64_e32 v[8:9], v[8:9], v[82:83]
	ds_load_b128 v[46:49], v2 offset:448
	ds_load_b128 v[50:53], v2 offset:464
	v_fmac_f64_e32 v[58:59], v[56:57], v[70:71]
	s_wait_loadcnt_dscnt 0x401
	v_mul_f64_e32 v[66:67], v[46:47], v[76:77]
	v_mul_f64_e32 v[68:69], v[48:49], v[76:77]
	s_wait_loadcnt_dscnt 0x300
	v_mul_f64_e32 v[56:57], v[50:51], v[80:81]
	v_add_f64_e32 v[4:5], v[4:5], v[64:65]
	v_add_f64_e32 v[8:9], v[8:9], v[60:61]
	v_mul_f64_e32 v[60:61], v[52:53], v[80:81]
	v_fmac_f64_e32 v[66:67], v[48:49], v[74:75]
	v_fma_f64 v[62:63], v[46:47], v[74:75], -v[68:69]
	v_fmac_f64_e32 v[56:57], v[52:53], v[78:79]
	v_add_f64_e32 v[54:55], v[4:5], v[54:55]
	v_add_f64_e32 v[8:9], v[8:9], v[58:59]
	ds_load_b128 v[46:49], v2 offset:480
	ds_load_b128 v[2:5], v2 offset:496
	v_fma_f64 v[50:51], v[50:51], v[78:79], -v[60:61]
	s_wait_loadcnt_dscnt 0x201
	v_mul_f64_e32 v[58:59], v[46:47], v[88:89]
	v_mul_f64_e32 v[64:65], v[48:49], v[88:89]
	v_add_f64_e32 v[52:53], v[54:55], v[62:63]
	v_add_f64_e32 v[8:9], v[8:9], v[66:67]
	s_wait_loadcnt_dscnt 0x0
	v_mul_f64_e32 v[54:55], v[2:3], v[12:13]
	v_mul_f64_e32 v[12:13], v[4:5], v[12:13]
	v_fmac_f64_e32 v[58:59], v[48:49], v[86:87]
	v_fma_f64 v[46:47], v[46:47], v[86:87], -v[64:65]
	v_add_f64_e32 v[48:49], v[52:53], v[50:51]
	v_add_f64_e32 v[8:9], v[8:9], v[56:57]
	v_fmac_f64_e32 v[54:55], v[4:5], v[10:11]
	v_fma_f64 v[2:3], v[2:3], v[10:11], -v[12:13]
	s_delay_alu instid0(VALU_DEP_4) | instskip(NEXT) | instid1(VALU_DEP_4)
	v_add_f64_e32 v[4:5], v[48:49], v[46:47]
	v_add_f64_e32 v[8:9], v[8:9], v[58:59]
	s_delay_alu instid0(VALU_DEP_2) | instskip(NEXT) | instid1(VALU_DEP_2)
	v_add_f64_e32 v[2:3], v[4:5], v[2:3]
	v_add_f64_e32 v[4:5], v[8:9], v[54:55]
	s_delay_alu instid0(VALU_DEP_2) | instskip(NEXT) | instid1(VALU_DEP_2)
	v_add_f64_e64 v[2:3], v[94:95], -v[2:3]
	v_add_f64_e64 v[4:5], v[96:97], -v[4:5]
	scratch_store_b128 off, v[2:5], off offset:48
	s_wait_xcnt 0x0
	v_cmpx_lt_u32_e32 2, v1
	s_cbranch_execz .LBB79_105
; %bb.104:
	scratch_load_b128 v[2:5], off, s25
	v_mov_b32_e32 v8, 0
	s_delay_alu instid0(VALU_DEP_1)
	v_dual_mov_b32 v9, v8 :: v_dual_mov_b32 v10, v8
	v_mov_b32_e32 v11, v8
	scratch_store_b128 off, v[8:11], off offset:32
	s_wait_loadcnt 0x0
	ds_store_b128 v6, v[2:5]
.LBB79_105:
	s_wait_xcnt 0x0
	s_or_b32 exec_lo, exec_lo, s2
	s_wait_storecnt_dscnt 0x0
	s_barrier_signal -1
	s_barrier_wait -1
	s_clause 0x9
	scratch_load_b128 v[8:11], off, off offset:48
	scratch_load_b128 v[46:49], off, off offset:64
	;; [unrolled: 1-line block ×10, first 2 shown]
	v_mov_b32_e32 v2, 0
	s_mov_b32 s2, exec_lo
	v_dual_ashrrev_i32 v21, 31, v20 :: v_dual_ashrrev_i32 v19, 31, v18
	v_ashrrev_i32_e32 v23, 31, v22
	ds_load_b128 v[82:85], v2 offset:304
	s_clause 0x2
	scratch_load_b128 v[86:89], off, off offset:208
	scratch_load_b128 v[90:93], off, off offset:32
	;; [unrolled: 1-line block ×3, first 2 shown]
	v_ashrrev_i32_e32 v27, 31, v26
	v_dual_ashrrev_i32 v31, 31, v30 :: v_dual_ashrrev_i32 v25, 31, v24
	v_dual_ashrrev_i32 v29, 31, v28 :: v_dual_ashrrev_i32 v35, 31, v34
	v_ashrrev_i32_e32 v39, 31, v38
	v_dual_ashrrev_i32 v43, 31, v42 :: v_dual_ashrrev_i32 v33, 31, v32
	v_ashrrev_i32_e32 v37, 31, v36
	v_ashrrev_i32_e32 v41, 31, v40
	s_wait_loadcnt_dscnt 0xc00
	v_dual_mul_f64 v[4:5], v[84:85], v[10:11] :: v_dual_ashrrev_i32 v45, 31, v44
	v_mul_f64_e32 v[106:107], v[82:83], v[10:11]
	ds_load_b128 v[94:97], v2 offset:320
	scratch_load_b128 v[10:13], off, off offset:224
	ds_load_b128 v[102:105], v2 offset:352
	v_fma_f64 v[4:5], v[82:83], v[8:9], -v[4:5]
	v_fmac_f64_e32 v[106:107], v[84:85], v[8:9]
	ds_load_b128 v[82:85], v2 offset:336
	s_wait_loadcnt_dscnt 0xc02
	v_mul_f64_e32 v[108:109], v[94:95], v[48:49]
	v_mul_f64_e32 v[48:49], v[96:97], v[48:49]
	s_wait_loadcnt_dscnt 0xb00
	v_mul_f64_e32 v[8:9], v[82:83], v[52:53]
	v_add_f64_e32 v[4:5], 0, v[4:5]
	s_delay_alu instid0(VALU_DEP_4) | instskip(NEXT) | instid1(VALU_DEP_4)
	v_fmac_f64_e32 v[108:109], v[96:97], v[46:47]
	v_fma_f64 v[46:47], v[94:95], v[46:47], -v[48:49]
	v_mul_f64_e32 v[48:49], v[84:85], v[52:53]
	v_add_f64_e32 v[52:53], 0, v[106:107]
	s_wait_loadcnt 0xa
	v_mul_f64_e32 v[94:95], v[102:103], v[56:57]
	v_mul_f64_e32 v[56:57], v[104:105], v[56:57]
	v_fmac_f64_e32 v[8:9], v[84:85], v[50:51]
	v_add_f64_e32 v[4:5], v[4:5], v[46:47]
	v_fma_f64 v[82:83], v[82:83], v[50:51], -v[48:49]
	v_add_f64_e32 v[84:85], v[52:53], v[108:109]
	ds_load_b128 v[46:49], v2 offset:368
	ds_load_b128 v[50:53], v2 offset:384
	v_fmac_f64_e32 v[94:95], v[104:105], v[54:55]
	v_fma_f64 v[54:55], v[102:103], v[54:55], -v[56:57]
	s_wait_loadcnt_dscnt 0x901
	v_mul_f64_e32 v[96:97], v[46:47], v[60:61]
	v_mul_f64_e32 v[60:61], v[48:49], v[60:61]
	v_add_f64_e32 v[4:5], v[4:5], v[82:83]
	v_add_f64_e32 v[8:9], v[84:85], v[8:9]
	s_wait_loadcnt_dscnt 0x800
	v_mul_f64_e32 v[82:83], v[50:51], v[64:65]
	v_mul_f64_e32 v[64:65], v[52:53], v[64:65]
	v_fmac_f64_e32 v[96:97], v[48:49], v[58:59]
	v_fma_f64 v[58:59], v[46:47], v[58:59], -v[60:61]
	v_add_f64_e32 v[4:5], v[4:5], v[54:55]
	v_add_f64_e32 v[8:9], v[8:9], v[94:95]
	ds_load_b128 v[46:49], v2 offset:400
	ds_load_b128 v[54:57], v2 offset:416
	v_fmac_f64_e32 v[82:83], v[52:53], v[62:63]
	v_fma_f64 v[50:51], v[50:51], v[62:63], -v[64:65]
	s_wait_loadcnt_dscnt 0x701
	v_mul_f64_e32 v[60:61], v[46:47], v[68:69]
	v_mul_f64_e32 v[68:69], v[48:49], v[68:69]
	s_wait_loadcnt_dscnt 0x600
	v_mul_f64_e32 v[62:63], v[56:57], v[72:73]
	v_add_f64_e32 v[4:5], v[4:5], v[58:59]
	v_add_f64_e32 v[8:9], v[8:9], v[96:97]
	v_mul_f64_e32 v[58:59], v[54:55], v[72:73]
	v_fmac_f64_e32 v[60:61], v[48:49], v[66:67]
	v_fma_f64 v[64:65], v[46:47], v[66:67], -v[68:69]
	v_fma_f64 v[54:55], v[54:55], v[70:71], -v[62:63]
	v_add_f64_e32 v[4:5], v[4:5], v[50:51]
	v_add_f64_e32 v[8:9], v[8:9], v[82:83]
	ds_load_b128 v[46:49], v2 offset:432
	ds_load_b128 v[50:53], v2 offset:448
	v_fmac_f64_e32 v[58:59], v[56:57], v[70:71]
	s_wait_loadcnt_dscnt 0x501
	v_mul_f64_e32 v[66:67], v[46:47], v[76:77]
	v_mul_f64_e32 v[68:69], v[48:49], v[76:77]
	s_wait_loadcnt_dscnt 0x400
	v_mul_f64_e32 v[62:63], v[52:53], v[80:81]
	v_add_f64_e32 v[4:5], v[4:5], v[64:65]
	v_add_f64_e32 v[8:9], v[8:9], v[60:61]
	v_mul_f64_e32 v[60:61], v[50:51], v[80:81]
	v_fmac_f64_e32 v[66:67], v[48:49], v[74:75]
	v_fma_f64 v[64:65], v[46:47], v[74:75], -v[68:69]
	v_fma_f64 v[50:51], v[50:51], v[78:79], -v[62:63]
	v_add_f64_e32 v[4:5], v[4:5], v[54:55]
	v_add_f64_e32 v[8:9], v[8:9], v[58:59]
	ds_load_b128 v[46:49], v2 offset:464
	ds_load_b128 v[54:57], v2 offset:480
	v_fmac_f64_e32 v[60:61], v[52:53], v[78:79]
	s_wait_loadcnt_dscnt 0x301
	v_mul_f64_e32 v[58:59], v[46:47], v[88:89]
	v_mul_f64_e32 v[68:69], v[48:49], v[88:89]
	s_wait_loadcnt_dscnt 0x0
	v_mul_f64_e32 v[52:53], v[54:55], v[12:13]
	v_mul_f64_e32 v[12:13], v[56:57], v[12:13]
	v_add_f64_e32 v[4:5], v[4:5], v[64:65]
	v_add_f64_e32 v[8:9], v[8:9], v[66:67]
	v_fmac_f64_e32 v[58:59], v[48:49], v[86:87]
	v_fma_f64 v[62:63], v[46:47], v[86:87], -v[68:69]
	ds_load_b128 v[46:49], v2 offset:496
	v_fmac_f64_e32 v[52:53], v[56:57], v[10:11]
	v_fma_f64 v[10:11], v[54:55], v[10:11], -v[12:13]
	v_add_f64_e32 v[4:5], v[4:5], v[50:51]
	v_add_f64_e32 v[8:9], v[8:9], v[60:61]
	s_wait_dscnt 0x0
	v_mul_f64_e32 v[50:51], v[46:47], v[100:101]
	v_mul_f64_e32 v[60:61], v[48:49], v[100:101]
	s_delay_alu instid0(VALU_DEP_4) | instskip(NEXT) | instid1(VALU_DEP_4)
	v_add_f64_e32 v[4:5], v[4:5], v[62:63]
	v_add_f64_e32 v[8:9], v[8:9], v[58:59]
	s_delay_alu instid0(VALU_DEP_4) | instskip(NEXT) | instid1(VALU_DEP_4)
	v_fmac_f64_e32 v[50:51], v[48:49], v[98:99]
	v_fma_f64 v[12:13], v[46:47], v[98:99], -v[60:61]
	s_delay_alu instid0(VALU_DEP_4) | instskip(NEXT) | instid1(VALU_DEP_4)
	v_add_f64_e32 v[4:5], v[4:5], v[10:11]
	v_add_f64_e32 v[8:9], v[8:9], v[52:53]
	s_delay_alu instid0(VALU_DEP_2) | instskip(NEXT) | instid1(VALU_DEP_2)
	v_add_f64_e32 v[4:5], v[4:5], v[12:13]
	v_add_f64_e32 v[10:11], v[8:9], v[50:51]
	s_delay_alu instid0(VALU_DEP_2) | instskip(NEXT) | instid1(VALU_DEP_2)
	v_add_f64_e64 v[8:9], v[90:91], -v[4:5]
	v_add_f64_e64 v[10:11], v[92:93], -v[10:11]
	scratch_store_b128 off, v[8:11], off offset:32
	s_wait_xcnt 0x0
	v_cmpx_lt_u32_e32 1, v1
	s_cbranch_execz .LBB79_107
; %bb.106:
	scratch_load_b128 v[8:11], off, s26
	v_dual_mov_b32 v3, v2 :: v_dual_mov_b32 v4, v2
	v_mov_b32_e32 v5, v2
	scratch_store_b128 off, v[2:5], off offset:16
	s_wait_loadcnt 0x0
	ds_store_b128 v6, v[8:11]
.LBB79_107:
	s_wait_xcnt 0x0
	s_or_b32 exec_lo, exec_lo, s2
	s_wait_storecnt_dscnt 0x0
	s_barrier_signal -1
	s_barrier_wait -1
	s_clause 0x9
	scratch_load_b128 v[8:11], off, off offset:32
	scratch_load_b128 v[46:49], off, off offset:48
	;; [unrolled: 1-line block ×10, first 2 shown]
	ds_load_b128 v[82:85], v2 offset:288
	s_clause 0x2
	scratch_load_b128 v[86:89], off, off offset:192
	scratch_load_b128 v[90:93], off, off offset:208
	;; [unrolled: 1-line block ×3, first 2 shown]
	s_mov_b32 s2, exec_lo
	s_wait_loadcnt_dscnt 0xc00
	v_mul_f64_e32 v[4:5], v[84:85], v[10:11]
	v_mul_f64_e32 v[98:99], v[82:83], v[10:11]
	ds_load_b128 v[10:13], v2 offset:304
	v_fma_f64 v[4:5], v[82:83], v[8:9], -v[4:5]
	v_fmac_f64_e32 v[98:99], v[84:85], v[8:9]
	ds_load_b128 v[82:85], v2 offset:320
	s_wait_loadcnt_dscnt 0xb01
	v_mul_f64_e32 v[100:101], v[10:11], v[48:49]
	v_mul_f64_e32 v[48:49], v[12:13], v[48:49]
	s_wait_loadcnt_dscnt 0xa00
	v_mul_f64_e32 v[102:103], v[82:83], v[52:53]
	v_mul_f64_e32 v[52:53], v[84:85], v[52:53]
	v_add_f64_e32 v[4:5], 0, v[4:5]
	v_add_f64_e32 v[98:99], 0, v[98:99]
	v_fmac_f64_e32 v[100:101], v[12:13], v[46:47]
	v_fma_f64 v[12:13], v[10:11], v[46:47], -v[48:49]
	ds_load_b128 v[8:11], v2 offset:336
	scratch_load_b128 v[46:49], off, off offset:240
	v_fmac_f64_e32 v[102:103], v[84:85], v[50:51]
	v_fma_f64 v[82:83], v[82:83], v[50:51], -v[52:53]
	ds_load_b128 v[50:53], v2 offset:352
	s_wait_loadcnt_dscnt 0xa01
	v_mul_f64_e32 v[104:105], v[8:9], v[56:57]
	v_mul_f64_e32 v[56:57], v[10:11], v[56:57]
	v_add_f64_e32 v[4:5], v[4:5], v[12:13]
	v_add_f64_e32 v[12:13], v[98:99], v[100:101]
	s_wait_loadcnt_dscnt 0x900
	v_mul_f64_e32 v[84:85], v[50:51], v[60:61]
	v_mul_f64_e32 v[60:61], v[52:53], v[60:61]
	v_fmac_f64_e32 v[104:105], v[10:11], v[54:55]
	v_fma_f64 v[54:55], v[8:9], v[54:55], -v[56:57]
	ds_load_b128 v[8:11], v2 offset:368
	v_add_f64_e32 v[4:5], v[4:5], v[82:83]
	v_add_f64_e32 v[12:13], v[12:13], v[102:103]
	v_fmac_f64_e32 v[84:85], v[52:53], v[58:59]
	v_fma_f64 v[58:59], v[50:51], v[58:59], -v[60:61]
	ds_load_b128 v[50:53], v2 offset:384
	s_wait_loadcnt_dscnt 0x801
	v_mul_f64_e32 v[82:83], v[8:9], v[64:65]
	v_mul_f64_e32 v[64:65], v[10:11], v[64:65]
	s_wait_loadcnt_dscnt 0x700
	v_mul_f64_e32 v[60:61], v[50:51], v[68:69]
	v_mul_f64_e32 v[68:69], v[52:53], v[68:69]
	v_add_f64_e32 v[4:5], v[4:5], v[54:55]
	v_add_f64_e32 v[12:13], v[12:13], v[104:105]
	scratch_load_b128 v[54:57], off, off offset:16
	v_fmac_f64_e32 v[82:83], v[10:11], v[62:63]
	v_fma_f64 v[62:63], v[8:9], v[62:63], -v[64:65]
	ds_load_b128 v[8:11], v2 offset:400
	v_fmac_f64_e32 v[60:61], v[52:53], v[66:67]
	v_fma_f64 v[66:67], v[50:51], v[66:67], -v[68:69]
	v_add_f64_e32 v[4:5], v[4:5], v[58:59]
	v_add_f64_e32 v[12:13], v[12:13], v[84:85]
	ds_load_b128 v[50:53], v2 offset:416
	s_wait_loadcnt_dscnt 0x701
	v_mul_f64_e32 v[58:59], v[8:9], v[72:73]
	v_mul_f64_e32 v[64:65], v[10:11], v[72:73]
	s_wait_loadcnt_dscnt 0x600
	v_mul_f64_e32 v[68:69], v[52:53], v[76:77]
	v_add_f64_e32 v[4:5], v[4:5], v[62:63]
	v_add_f64_e32 v[12:13], v[12:13], v[82:83]
	v_mul_f64_e32 v[62:63], v[50:51], v[76:77]
	v_fmac_f64_e32 v[58:59], v[10:11], v[70:71]
	v_fma_f64 v[64:65], v[8:9], v[70:71], -v[64:65]
	ds_load_b128 v[8:11], v2 offset:432
	v_fma_f64 v[68:69], v[50:51], v[74:75], -v[68:69]
	v_add_f64_e32 v[4:5], v[4:5], v[66:67]
	v_add_f64_e32 v[12:13], v[12:13], v[60:61]
	v_fmac_f64_e32 v[62:63], v[52:53], v[74:75]
	ds_load_b128 v[50:53], v2 offset:448
	s_wait_loadcnt_dscnt 0x501
	v_mul_f64_e32 v[60:61], v[8:9], v[80:81]
	v_mul_f64_e32 v[66:67], v[10:11], v[80:81]
	v_add_f64_e32 v[4:5], v[4:5], v[64:65]
	v_add_f64_e32 v[12:13], v[12:13], v[58:59]
	s_wait_loadcnt_dscnt 0x400
	v_mul_f64_e32 v[58:59], v[50:51], v[88:89]
	v_mul_f64_e32 v[64:65], v[52:53], v[88:89]
	v_fmac_f64_e32 v[60:61], v[10:11], v[78:79]
	v_fma_f64 v[66:67], v[8:9], v[78:79], -v[66:67]
	ds_load_b128 v[8:11], v2 offset:464
	v_add_f64_e32 v[4:5], v[4:5], v[68:69]
	v_add_f64_e32 v[12:13], v[12:13], v[62:63]
	v_fmac_f64_e32 v[58:59], v[52:53], v[86:87]
	v_fma_f64 v[64:65], v[50:51], v[86:87], -v[64:65]
	ds_load_b128 v[50:53], v2 offset:480
	s_wait_loadcnt_dscnt 0x301
	v_mul_f64_e32 v[62:63], v[8:9], v[92:93]
	v_mul_f64_e32 v[68:69], v[10:11], v[92:93]
	v_add_f64_e32 v[4:5], v[4:5], v[66:67]
	v_add_f64_e32 v[12:13], v[12:13], v[60:61]
	s_wait_loadcnt_dscnt 0x200
	v_mul_f64_e32 v[60:61], v[50:51], v[96:97]
	v_mul_f64_e32 v[66:67], v[52:53], v[96:97]
	v_fmac_f64_e32 v[62:63], v[10:11], v[90:91]
	v_fma_f64 v[8:9], v[8:9], v[90:91], -v[68:69]
	v_add_f64_e32 v[10:11], v[4:5], v[64:65]
	v_add_f64_e32 v[12:13], v[12:13], v[58:59]
	ds_load_b128 v[2:5], v2 offset:496
	v_fmac_f64_e32 v[60:61], v[52:53], v[94:95]
	v_fma_f64 v[50:51], v[50:51], v[94:95], -v[66:67]
	s_wait_loadcnt_dscnt 0x100
	v_mul_f64_e32 v[58:59], v[2:3], v[48:49]
	v_mul_f64_e32 v[48:49], v[4:5], v[48:49]
	v_add_f64_e32 v[8:9], v[10:11], v[8:9]
	v_add_f64_e32 v[10:11], v[12:13], v[62:63]
	s_delay_alu instid0(VALU_DEP_4) | instskip(NEXT) | instid1(VALU_DEP_4)
	v_fmac_f64_e32 v[58:59], v[4:5], v[46:47]
	v_fma_f64 v[2:3], v[2:3], v[46:47], -v[48:49]
	s_delay_alu instid0(VALU_DEP_4) | instskip(NEXT) | instid1(VALU_DEP_4)
	v_add_f64_e32 v[4:5], v[8:9], v[50:51]
	v_add_f64_e32 v[8:9], v[10:11], v[60:61]
	s_delay_alu instid0(VALU_DEP_2) | instskip(NEXT) | instid1(VALU_DEP_2)
	v_add_f64_e32 v[2:3], v[4:5], v[2:3]
	v_add_f64_e32 v[4:5], v[8:9], v[58:59]
	s_wait_loadcnt 0x0
	s_delay_alu instid0(VALU_DEP_2) | instskip(NEXT) | instid1(VALU_DEP_2)
	v_add_f64_e64 v[2:3], v[54:55], -v[2:3]
	v_add_f64_e64 v[4:5], v[56:57], -v[4:5]
	scratch_store_b128 off, v[2:5], off offset:16
	s_wait_xcnt 0x0
	v_cmpx_ne_u32_e32 0, v1
	s_cbranch_execz .LBB79_109
; %bb.108:
	scratch_load_b128 v[2:5], off, off
	v_mov_b32_e32 v8, 0
	s_delay_alu instid0(VALU_DEP_1)
	v_dual_mov_b32 v9, v8 :: v_dual_mov_b32 v10, v8
	v_mov_b32_e32 v11, v8
	scratch_store_b128 off, v[8:11], off
	s_wait_loadcnt 0x0
	ds_store_b128 v6, v[2:5]
.LBB79_109:
	s_wait_xcnt 0x0
	s_or_b32 exec_lo, exec_lo, s2
	s_wait_storecnt_dscnt 0x0
	s_barrier_signal -1
	s_barrier_wait -1
	s_clause 0x9
	scratch_load_b128 v[2:5], off, off offset:16
	scratch_load_b128 v[6:9], off, off offset:32
	;; [unrolled: 1-line block ×10, first 2 shown]
	v_mov_b32_e32 v54, 0
	s_and_b32 vcc_lo, exec_lo, s27
	ds_load_b128 v[76:79], v54 offset:272
	s_clause 0x2
	scratch_load_b128 v[80:83], off, off offset:176
	scratch_load_b128 v[84:87], off, off
	scratch_load_b128 v[92:95], off, off offset:192
	s_wait_loadcnt_dscnt 0xc00
	v_mul_f64_e32 v[96:97], v[78:79], v[4:5]
	v_mul_f64_e32 v[100:101], v[76:77], v[4:5]
	ds_load_b128 v[88:91], v54 offset:288
	v_fma_f64 v[104:105], v[76:77], v[2:3], -v[96:97]
	v_fmac_f64_e32 v[100:101], v[78:79], v[2:3]
	ds_load_b128 v[2:5], v54 offset:304
	s_wait_loadcnt_dscnt 0xb01
	v_mul_f64_e32 v[102:103], v[88:89], v[8:9]
	v_mul_f64_e32 v[8:9], v[90:91], v[8:9]
	scratch_load_b128 v[76:79], off, off offset:208
	ds_load_b128 v[96:99], v54 offset:320
	s_wait_loadcnt_dscnt 0xb01
	v_mul_f64_e32 v[106:107], v[2:3], v[12:13]
	v_mul_f64_e32 v[12:13], v[4:5], v[12:13]
	v_add_f64_e32 v[100:101], 0, v[100:101]
	v_fmac_f64_e32 v[102:103], v[90:91], v[6:7]
	v_fma_f64 v[88:89], v[88:89], v[6:7], -v[8:9]
	v_add_f64_e32 v[90:91], 0, v[104:105]
	scratch_load_b128 v[6:9], off, off offset:224
	v_fmac_f64_e32 v[106:107], v[4:5], v[10:11]
	v_fma_f64 v[108:109], v[2:3], v[10:11], -v[12:13]
	ds_load_b128 v[2:5], v54 offset:336
	s_wait_loadcnt_dscnt 0xb01
	v_mul_f64_e32 v[104:105], v[96:97], v[48:49]
	v_mul_f64_e32 v[48:49], v[98:99], v[48:49]
	scratch_load_b128 v[10:13], off, off offset:240
	v_add_f64_e32 v[100:101], v[100:101], v[102:103]
	v_add_f64_e32 v[110:111], v[90:91], v[88:89]
	ds_load_b128 v[88:91], v54 offset:352
	s_wait_loadcnt_dscnt 0xb01
	v_mul_f64_e32 v[102:103], v[2:3], v[52:53]
	v_fmac_f64_e32 v[104:105], v[98:99], v[46:47]
	v_fma_f64 v[46:47], v[96:97], v[46:47], -v[48:49]
	v_mul_f64_e32 v[48:49], v[4:5], v[52:53]
	s_wait_loadcnt_dscnt 0xa00
	v_mul_f64_e32 v[98:99], v[88:89], v[58:59]
	v_mul_f64_e32 v[58:59], v[90:91], v[58:59]
	v_add_f64_e32 v[96:97], v[100:101], v[106:107]
	v_add_f64_e32 v[52:53], v[110:111], v[108:109]
	v_fmac_f64_e32 v[102:103], v[4:5], v[50:51]
	v_fma_f64 v[50:51], v[2:3], v[50:51], -v[48:49]
	v_fmac_f64_e32 v[98:99], v[90:91], v[56:57]
	v_fma_f64 v[56:57], v[88:89], v[56:57], -v[58:59]
	v_add_f64_e32 v[96:97], v[96:97], v[104:105]
	v_add_f64_e32 v[52:53], v[52:53], v[46:47]
	ds_load_b128 v[2:5], v54 offset:368
	ds_load_b128 v[46:49], v54 offset:384
	s_wait_loadcnt_dscnt 0x901
	v_mul_f64_e32 v[100:101], v[2:3], v[62:63]
	v_mul_f64_e32 v[62:63], v[4:5], v[62:63]
	s_wait_loadcnt_dscnt 0x800
	v_mul_f64_e32 v[58:59], v[46:47], v[66:67]
	v_mul_f64_e32 v[66:67], v[48:49], v[66:67]
	v_add_f64_e32 v[50:51], v[52:53], v[50:51]
	v_add_f64_e32 v[52:53], v[96:97], v[102:103]
	v_fmac_f64_e32 v[100:101], v[4:5], v[60:61]
	v_fma_f64 v[60:61], v[2:3], v[60:61], -v[62:63]
	v_fmac_f64_e32 v[58:59], v[48:49], v[64:65]
	v_fma_f64 v[46:47], v[46:47], v[64:65], -v[66:67]
	v_add_f64_e32 v[56:57], v[50:51], v[56:57]
	v_add_f64_e32 v[62:63], v[52:53], v[98:99]
	ds_load_b128 v[2:5], v54 offset:400
	ds_load_b128 v[50:53], v54 offset:416
	s_wait_loadcnt_dscnt 0x701
	v_mul_f64_e32 v[88:89], v[2:3], v[70:71]
	v_mul_f64_e32 v[70:71], v[4:5], v[70:71]
	v_add_f64_e32 v[48:49], v[56:57], v[60:61]
	v_add_f64_e32 v[56:57], v[62:63], v[100:101]
	s_wait_loadcnt_dscnt 0x600
	v_mul_f64_e32 v[60:61], v[50:51], v[74:75]
	v_mul_f64_e32 v[62:63], v[52:53], v[74:75]
	v_fmac_f64_e32 v[88:89], v[4:5], v[68:69]
	v_fma_f64 v[64:65], v[2:3], v[68:69], -v[70:71]
	v_add_f64_e32 v[66:67], v[48:49], v[46:47]
	v_add_f64_e32 v[56:57], v[56:57], v[58:59]
	ds_load_b128 v[2:5], v54 offset:432
	ds_load_b128 v[46:49], v54 offset:448
	v_fmac_f64_e32 v[60:61], v[52:53], v[72:73]
	v_fma_f64 v[50:51], v[50:51], v[72:73], -v[62:63]
	s_wait_loadcnt_dscnt 0x501
	v_mul_f64_e32 v[58:59], v[2:3], v[82:83]
	v_mul_f64_e32 v[68:69], v[4:5], v[82:83]
	s_wait_loadcnt_dscnt 0x300
	v_mul_f64_e32 v[62:63], v[46:47], v[94:95]
	v_add_f64_e32 v[52:53], v[66:67], v[64:65]
	v_add_f64_e32 v[56:57], v[56:57], v[88:89]
	v_mul_f64_e32 v[64:65], v[48:49], v[94:95]
	v_fmac_f64_e32 v[58:59], v[4:5], v[80:81]
	v_fma_f64 v[66:67], v[2:3], v[80:81], -v[68:69]
	v_fmac_f64_e32 v[62:63], v[48:49], v[92:93]
	v_add_f64_e32 v[68:69], v[52:53], v[50:51]
	v_add_f64_e32 v[56:57], v[56:57], v[60:61]
	ds_load_b128 v[2:5], v54 offset:464
	ds_load_b128 v[50:53], v54 offset:480
	v_fma_f64 v[46:47], v[46:47], v[92:93], -v[64:65]
	s_wait_loadcnt_dscnt 0x201
	v_mul_f64_e32 v[60:61], v[2:3], v[78:79]
	v_mul_f64_e32 v[70:71], v[4:5], v[78:79]
	v_add_f64_e32 v[48:49], v[68:69], v[66:67]
	v_add_f64_e32 v[56:57], v[56:57], v[58:59]
	s_wait_loadcnt_dscnt 0x100
	v_mul_f64_e32 v[58:59], v[50:51], v[8:9]
	v_mul_f64_e32 v[8:9], v[52:53], v[8:9]
	v_fmac_f64_e32 v[60:61], v[4:5], v[76:77]
	v_fma_f64 v[64:65], v[2:3], v[76:77], -v[70:71]
	ds_load_b128 v[2:5], v54 offset:496
	v_add_f64_e32 v[46:47], v[48:49], v[46:47]
	v_add_f64_e32 v[48:49], v[56:57], v[62:63]
	v_fmac_f64_e32 v[58:59], v[52:53], v[6:7]
	v_fma_f64 v[6:7], v[50:51], v[6:7], -v[8:9]
	v_lshl_add_u64 v[52:53], v[18:19], 4, s[4:5]
	v_lshl_add_u64 v[50:51], v[20:21], 4, s[4:5]
	;; [unrolled: 1-line block ×4, first 2 shown]
	s_wait_loadcnt_dscnt 0x0
	v_mul_f64_e32 v[56:57], v[2:3], v[12:13]
	v_mul_f64_e32 v[12:13], v[4:5], v[12:13]
	v_add_f64_e32 v[8:9], v[46:47], v[64:65]
	v_add_f64_e32 v[46:47], v[48:49], v[60:61]
	v_lshl_add_u64 v[48:49], v[22:23], 4, s[4:5]
	v_lshl_add_u64 v[22:23], v[28:29], 4, s[4:5]
	v_fmac_f64_e32 v[56:57], v[4:5], v[10:11]
	v_fma_f64 v[2:3], v[2:3], v[10:11], -v[12:13]
	v_lshl_add_u64 v[12:13], v[34:35], 4, s[4:5]
	v_lshl_add_u64 v[10:11], v[36:37], 4, s[4:5]
	v_add_f64_e32 v[4:5], v[8:9], v[6:7]
	v_add_f64_e32 v[6:7], v[46:47], v[58:59]
	v_lshl_add_u64 v[46:47], v[24:25], 4, s[4:5]
	v_lshl_add_u64 v[24:25], v[26:27], 4, s[4:5]
	v_lshl_add_u64 v[8:9], v[38:39], 4, s[4:5]
	v_add_f64_e32 v[2:3], v[4:5], v[2:3]
	v_add_f64_e32 v[4:5], v[6:7], v[56:57]
	v_lshl_add_u64 v[6:7], v[40:41], 4, s[4:5]
	s_delay_alu instid0(VALU_DEP_3) | instskip(NEXT) | instid1(VALU_DEP_3)
	v_add_f64_e64 v[56:57], v[84:85], -v[2:3]
	v_add_f64_e64 v[58:59], v[86:87], -v[4:5]
	v_lshl_add_u64 v[4:5], v[42:43], 4, s[4:5]
	v_lshl_add_u64 v[2:3], v[44:45], 4, s[4:5]
	scratch_store_b128 off, v[56:59], off
	s_cbranch_vccz .LBB79_140
; %bb.110:
	global_load_b32 v26, v54, s[8:9] offset:56
	s_load_b64 s[2:3], s[0:1], 0x4
	v_bfe_u32 v27, v0, 10, 10
	v_bfe_u32 v0, v0, 20, 10
	s_wait_kmcnt 0x0
	s_lshr_b32 s0, s2, 16
	s_delay_alu instid0(VALU_DEP_2) | instskip(SKIP_1) | instid1(SALU_CYCLE_1)
	v_mul_u32_u24_e32 v27, s3, v27
	s_mul_i32 s0, s0, s3
	v_mul_u32_u24_e32 v1, s0, v1
	s_delay_alu instid0(VALU_DEP_1) | instskip(NEXT) | instid1(VALU_DEP_1)
	v_add3_u32 v0, v1, v27, v0
	v_lshl_add_u32 v0, v0, 4, 0x208
	s_wait_loadcnt 0x0
	v_cmp_ne_u32_e32 vcc_lo, 15, v26
	s_cbranch_vccz .LBB79_112
; %bb.111:
	v_lshlrev_b32_e32 v1, 4, v26
	s_clause 0x1
	scratch_load_b128 v[26:29], off, s24
	scratch_load_b128 v[30:33], v1, off offset:-16
	s_wait_loadcnt 0x1
	ds_store_2addr_b64 v0, v[26:27], v[28:29] offset1:1
	s_wait_loadcnt 0x0
	s_clause 0x1
	scratch_store_b128 off, v[30:33], s24
	scratch_store_b128 v1, v[26:29], off offset:-16
.LBB79_112:
	s_wait_xcnt 0x0
	v_mov_b32_e32 v1, 0
	global_load_b32 v26, v1, s[8:9] offset:52
	s_wait_loadcnt 0x0
	v_cmp_eq_u32_e32 vcc_lo, 14, v26
	s_cbranch_vccnz .LBB79_114
; %bb.113:
	v_lshlrev_b32_e32 v26, 4, v26
	s_delay_alu instid0(VALU_DEP_1)
	v_mov_b32_e32 v34, v26
	s_clause 0x1
	scratch_load_b128 v[26:29], off, s16
	scratch_load_b128 v[30:33], v34, off offset:-16
	s_wait_loadcnt 0x1
	ds_store_2addr_b64 v0, v[26:27], v[28:29] offset1:1
	s_wait_loadcnt 0x0
	s_clause 0x1
	scratch_store_b128 off, v[30:33], s16
	scratch_store_b128 v34, v[26:29], off offset:-16
.LBB79_114:
	global_load_b32 v1, v1, s[8:9] offset:48
	s_wait_loadcnt 0x0
	v_cmp_eq_u32_e32 vcc_lo, 13, v1
	s_cbranch_vccnz .LBB79_116
; %bb.115:
	s_wait_xcnt 0x0
	v_lshlrev_b32_e32 v1, 4, v1
	s_clause 0x1
	scratch_load_b128 v[26:29], off, s23
	scratch_load_b128 v[30:33], v1, off offset:-16
	s_wait_loadcnt 0x1
	ds_store_2addr_b64 v0, v[26:27], v[28:29] offset1:1
	s_wait_loadcnt 0x0
	s_clause 0x1
	scratch_store_b128 off, v[30:33], s23
	scratch_store_b128 v1, v[26:29], off offset:-16
.LBB79_116:
	s_wait_xcnt 0x0
	v_mov_b32_e32 v1, 0
	global_load_b32 v26, v1, s[8:9] offset:44
	s_wait_loadcnt 0x0
	v_cmp_eq_u32_e32 vcc_lo, 12, v26
	s_cbranch_vccnz .LBB79_118
; %bb.117:
	v_lshlrev_b32_e32 v26, 4, v26
	s_delay_alu instid0(VALU_DEP_1)
	v_mov_b32_e32 v34, v26
	s_clause 0x1
	scratch_load_b128 v[26:29], off, s15
	scratch_load_b128 v[30:33], v34, off offset:-16
	s_wait_loadcnt 0x1
	ds_store_2addr_b64 v0, v[26:27], v[28:29] offset1:1
	s_wait_loadcnt 0x0
	s_clause 0x1
	scratch_store_b128 off, v[30:33], s15
	scratch_store_b128 v34, v[26:29], off offset:-16
.LBB79_118:
	global_load_b32 v1, v1, s[8:9] offset:40
	s_wait_loadcnt 0x0
	v_cmp_eq_u32_e32 vcc_lo, 11, v1
	s_cbranch_vccnz .LBB79_120
; %bb.119:
	s_wait_xcnt 0x0
	v_lshlrev_b32_e32 v1, 4, v1
	s_clause 0x1
	scratch_load_b128 v[26:29], off, s22
	scratch_load_b128 v[30:33], v1, off offset:-16
	s_wait_loadcnt 0x1
	ds_store_2addr_b64 v0, v[26:27], v[28:29] offset1:1
	s_wait_loadcnt 0x0
	s_clause 0x1
	scratch_store_b128 off, v[30:33], s22
	scratch_store_b128 v1, v[26:29], off offset:-16
.LBB79_120:
	;; [unrolled: 37-line block ×6, first 2 shown]
	s_wait_xcnt 0x0
	v_mov_b32_e32 v1, 0
	global_load_b32 v26, v1, s[8:9] offset:4
	s_wait_loadcnt 0x0
	v_cmp_eq_u32_e32 vcc_lo, 2, v26
	s_cbranch_vccnz .LBB79_138
; %bb.137:
	v_lshlrev_b32_e32 v26, 4, v26
	s_delay_alu instid0(VALU_DEP_1)
	v_mov_b32_e32 v34, v26
	s_clause 0x1
	scratch_load_b128 v[26:29], off, s26
	scratch_load_b128 v[30:33], v34, off offset:-16
	s_wait_loadcnt 0x1
	ds_store_2addr_b64 v0, v[26:27], v[28:29] offset1:1
	s_wait_loadcnt 0x0
	s_clause 0x1
	scratch_store_b128 off, v[30:33], s26
	scratch_store_b128 v34, v[26:29], off offset:-16
.LBB79_138:
	global_load_b32 v1, v1, s[8:9]
	s_wait_loadcnt 0x0
	v_cmp_eq_u32_e32 vcc_lo, 1, v1
	s_cbranch_vccnz .LBB79_140
; %bb.139:
	s_wait_xcnt 0x0
	v_lshlrev_b32_e32 v1, 4, v1
	scratch_load_b128 v[26:29], off, off
	scratch_load_b128 v[30:33], v1, off offset:-16
	s_wait_loadcnt 0x1
	ds_store_2addr_b64 v0, v[26:27], v[28:29] offset1:1
	s_wait_loadcnt 0x0
	scratch_store_b128 off, v[30:33], off
	scratch_store_b128 v1, v[26:29], off offset:-16
.LBB79_140:
	scratch_load_b128 v[26:29], off, off
	s_wait_loadcnt 0x0
	flat_store_b128 v[14:15], v[26:29]
	scratch_load_b128 v[26:29], off, s26
	s_wait_loadcnt 0x0
	flat_store_b128 v[16:17], v[26:29]
	scratch_load_b128 v[14:17], off, s25
	;; [unrolled: 3-line block ×15, first 2 shown]
	s_wait_loadcnt 0x0
	flat_store_b128 v[2:3], v[4:7]
	s_sendmsg sendmsg(MSG_DEALLOC_VGPRS)
	s_endpgm
	.section	.rodata,"a",@progbits
	.p2align	6, 0x0
	.amdhsa_kernel _ZN9rocsolver6v33100L18getri_kernel_smallILi16E19rocblas_complex_numIdEPKPS3_EEvT1_iilPiilS8_bb
		.amdhsa_group_segment_fixed_size 1544
		.amdhsa_private_segment_fixed_size 272
		.amdhsa_kernarg_size 60
		.amdhsa_user_sgpr_count 4
		.amdhsa_user_sgpr_dispatch_ptr 1
		.amdhsa_user_sgpr_queue_ptr 0
		.amdhsa_user_sgpr_kernarg_segment_ptr 1
		.amdhsa_user_sgpr_dispatch_id 0
		.amdhsa_user_sgpr_kernarg_preload_length 0
		.amdhsa_user_sgpr_kernarg_preload_offset 0
		.amdhsa_user_sgpr_private_segment_size 0
		.amdhsa_wavefront_size32 1
		.amdhsa_uses_dynamic_stack 0
		.amdhsa_enable_private_segment 1
		.amdhsa_system_sgpr_workgroup_id_x 1
		.amdhsa_system_sgpr_workgroup_id_y 0
		.amdhsa_system_sgpr_workgroup_id_z 0
		.amdhsa_system_sgpr_workgroup_info 0
		.amdhsa_system_vgpr_workitem_id 2
		.amdhsa_next_free_vgpr 112
		.amdhsa_next_free_sgpr 31
		.amdhsa_named_barrier_count 0
		.amdhsa_reserve_vcc 1
		.amdhsa_float_round_mode_32 0
		.amdhsa_float_round_mode_16_64 0
		.amdhsa_float_denorm_mode_32 3
		.amdhsa_float_denorm_mode_16_64 3
		.amdhsa_fp16_overflow 0
		.amdhsa_memory_ordered 1
		.amdhsa_forward_progress 1
		.amdhsa_inst_pref_size 130
		.amdhsa_round_robin_scheduling 0
		.amdhsa_exception_fp_ieee_invalid_op 0
		.amdhsa_exception_fp_denorm_src 0
		.amdhsa_exception_fp_ieee_div_zero 0
		.amdhsa_exception_fp_ieee_overflow 0
		.amdhsa_exception_fp_ieee_underflow 0
		.amdhsa_exception_fp_ieee_inexact 0
		.amdhsa_exception_int_div_zero 0
	.end_amdhsa_kernel
	.section	.text._ZN9rocsolver6v33100L18getri_kernel_smallILi16E19rocblas_complex_numIdEPKPS3_EEvT1_iilPiilS8_bb,"axG",@progbits,_ZN9rocsolver6v33100L18getri_kernel_smallILi16E19rocblas_complex_numIdEPKPS3_EEvT1_iilPiilS8_bb,comdat
.Lfunc_end79:
	.size	_ZN9rocsolver6v33100L18getri_kernel_smallILi16E19rocblas_complex_numIdEPKPS3_EEvT1_iilPiilS8_bb, .Lfunc_end79-_ZN9rocsolver6v33100L18getri_kernel_smallILi16E19rocblas_complex_numIdEPKPS3_EEvT1_iilPiilS8_bb
                                        ; -- End function
	.set _ZN9rocsolver6v33100L18getri_kernel_smallILi16E19rocblas_complex_numIdEPKPS3_EEvT1_iilPiilS8_bb.num_vgpr, 112
	.set _ZN9rocsolver6v33100L18getri_kernel_smallILi16E19rocblas_complex_numIdEPKPS3_EEvT1_iilPiilS8_bb.num_agpr, 0
	.set _ZN9rocsolver6v33100L18getri_kernel_smallILi16E19rocblas_complex_numIdEPKPS3_EEvT1_iilPiilS8_bb.numbered_sgpr, 31
	.set _ZN9rocsolver6v33100L18getri_kernel_smallILi16E19rocblas_complex_numIdEPKPS3_EEvT1_iilPiilS8_bb.num_named_barrier, 0
	.set _ZN9rocsolver6v33100L18getri_kernel_smallILi16E19rocblas_complex_numIdEPKPS3_EEvT1_iilPiilS8_bb.private_seg_size, 272
	.set _ZN9rocsolver6v33100L18getri_kernel_smallILi16E19rocblas_complex_numIdEPKPS3_EEvT1_iilPiilS8_bb.uses_vcc, 1
	.set _ZN9rocsolver6v33100L18getri_kernel_smallILi16E19rocblas_complex_numIdEPKPS3_EEvT1_iilPiilS8_bb.uses_flat_scratch, 1
	.set _ZN9rocsolver6v33100L18getri_kernel_smallILi16E19rocblas_complex_numIdEPKPS3_EEvT1_iilPiilS8_bb.has_dyn_sized_stack, 0
	.set _ZN9rocsolver6v33100L18getri_kernel_smallILi16E19rocblas_complex_numIdEPKPS3_EEvT1_iilPiilS8_bb.has_recursion, 0
	.set _ZN9rocsolver6v33100L18getri_kernel_smallILi16E19rocblas_complex_numIdEPKPS3_EEvT1_iilPiilS8_bb.has_indirect_call, 0
	.section	.AMDGPU.csdata,"",@progbits
; Kernel info:
; codeLenInByte = 16580
; TotalNumSgprs: 33
; NumVgprs: 112
; ScratchSize: 272
; MemoryBound: 0
; FloatMode: 240
; IeeeMode: 1
; LDSByteSize: 1544 bytes/workgroup (compile time only)
; SGPRBlocks: 0
; VGPRBlocks: 6
; NumSGPRsForWavesPerEU: 33
; NumVGPRsForWavesPerEU: 112
; NamedBarCnt: 0
; Occupancy: 9
; WaveLimiterHint : 1
; COMPUTE_PGM_RSRC2:SCRATCH_EN: 1
; COMPUTE_PGM_RSRC2:USER_SGPR: 4
; COMPUTE_PGM_RSRC2:TRAP_HANDLER: 0
; COMPUTE_PGM_RSRC2:TGID_X_EN: 1
; COMPUTE_PGM_RSRC2:TGID_Y_EN: 0
; COMPUTE_PGM_RSRC2:TGID_Z_EN: 0
; COMPUTE_PGM_RSRC2:TIDIG_COMP_CNT: 2
	.section	.text._ZN9rocsolver6v33100L18getri_kernel_smallILi17E19rocblas_complex_numIdEPKPS3_EEvT1_iilPiilS8_bb,"axG",@progbits,_ZN9rocsolver6v33100L18getri_kernel_smallILi17E19rocblas_complex_numIdEPKPS3_EEvT1_iilPiilS8_bb,comdat
	.globl	_ZN9rocsolver6v33100L18getri_kernel_smallILi17E19rocblas_complex_numIdEPKPS3_EEvT1_iilPiilS8_bb ; -- Begin function _ZN9rocsolver6v33100L18getri_kernel_smallILi17E19rocblas_complex_numIdEPKPS3_EEvT1_iilPiilS8_bb
	.p2align	8
	.type	_ZN9rocsolver6v33100L18getri_kernel_smallILi17E19rocblas_complex_numIdEPKPS3_EEvT1_iilPiilS8_bb,@function
_ZN9rocsolver6v33100L18getri_kernel_smallILi17E19rocblas_complex_numIdEPKPS3_EEvT1_iilPiilS8_bb: ; @_ZN9rocsolver6v33100L18getri_kernel_smallILi17E19rocblas_complex_numIdEPKPS3_EEvT1_iilPiilS8_bb
; %bb.0:
	v_and_b32_e32 v1, 0x3ff, v0
	s_mov_b32 s4, exec_lo
	s_delay_alu instid0(VALU_DEP_1)
	v_cmpx_gt_u32_e32 17, v1
	s_cbranch_execz .LBB80_82
; %bb.1:
	s_clause 0x1
	s_load_b32 s16, s[2:3], 0x38
	s_load_b64 s[8:9], s[2:3], 0x0
	s_getreg_b32 s6, hwreg(HW_REG_IB_STS2, 6, 4)
	s_wait_kmcnt 0x0
	s_bitcmp1_b32 s16, 8
	s_cselect_b32 s28, -1, 0
	s_bfe_u32 s4, ttmp6, 0x4000c
	s_and_b32 s5, ttmp6, 15
	s_add_co_i32 s4, s4, 1
	s_delay_alu instid0(SALU_CYCLE_1) | instskip(NEXT) | instid1(SALU_CYCLE_1)
	s_mul_i32 s4, ttmp9, s4
	s_add_co_i32 s5, s5, s4
	s_cmp_eq_u32 s6, 0
	s_cselect_b32 s10, ttmp9, s5
	s_load_b128 s[4:7], s[2:3], 0x28
	s_ashr_i32 s11, s10, 31
	s_delay_alu instid0(SALU_CYCLE_1) | instskip(NEXT) | instid1(SALU_CYCLE_1)
	s_lshl_b64 s[12:13], s[10:11], 3
	s_add_nc_u64 s[8:9], s[8:9], s[12:13]
	s_load_b64 s[14:15], s[8:9], 0x0
	s_wait_xcnt 0x0
	s_bfe_u32 s8, s16, 0x10008
	s_delay_alu instid0(SALU_CYCLE_1)
	s_cmp_eq_u32 s8, 0
                                        ; implicit-def: $sgpr8_sgpr9
	s_cbranch_scc1 .LBB80_3
; %bb.2:
	s_load_b96 s[16:18], s[2:3], 0x18
	s_wait_kmcnt 0x0
	s_mul_u64 s[4:5], s[4:5], s[10:11]
	s_delay_alu instid0(SALU_CYCLE_1) | instskip(SKIP_4) | instid1(SALU_CYCLE_1)
	s_lshl_b64 s[4:5], s[4:5], 2
	s_ashr_i32 s9, s18, 31
	s_mov_b32 s8, s18
	s_add_nc_u64 s[4:5], s[16:17], s[4:5]
	s_lshl_b64 s[8:9], s[8:9], 2
	s_add_nc_u64 s[8:9], s[4:5], s[8:9]
.LBB80_3:
	s_clause 0x1
	s_load_b64 s[12:13], s[2:3], 0x8
	s_load_b32 s29, s[2:3], 0x38
	v_dual_mov_b32 v49, 0 :: v_dual_lshlrev_b32 v48, 4, v1
	s_mov_b32 s27, 16
	s_mov_b32 s26, 32
	s_mov_b32 s19, 48
	s_movk_i32 s20, 0x50
	s_movk_i32 s21, 0x70
	;; [unrolled: 1-line block ×9, first 2 shown]
	s_wait_kmcnt 0x0
	s_ashr_i32 s3, s12, 31
	s_mov_b32 s2, s12
	v_add3_u32 v18, s13, s13, v1
	s_lshl_b64 s[2:3], s[2:3], 4
	s_mov_b32 s12, 64
	s_add_nc_u64 s[4:5], s[14:15], s[2:3]
	s_ashr_i32 s3, s13, 31
	flat_load_b128 v[2:5], v1, s[4:5] scale_offset
	v_add_nc_u64_e32 v[14:15], s[4:5], v[48:49]
	s_mov_b32 s2, s13
	v_add_nc_u32_e32 v20, s13, v18
	s_movk_i32 s14, 0x80
	s_movk_i32 s15, 0xa0
	s_bitcmp0_b32 s29, 0
	s_delay_alu instid0(VALU_DEP_2) | instskip(SKIP_2) | instid1(VALU_DEP_1)
	v_lshl_add_u64 v[16:17], s[2:3], 4, v[14:15]
	v_add_nc_u32_e32 v22, s13, v20
	s_mov_b32 s3, -1
	v_add_nc_u32_e32 v24, s13, v22
	s_delay_alu instid0(VALU_DEP_1) | instskip(NEXT) | instid1(VALU_DEP_1)
	v_add_nc_u32_e32 v26, s13, v24
	v_add_nc_u32_e32 v28, s13, v26
	s_delay_alu instid0(VALU_DEP_1) | instskip(NEXT) | instid1(VALU_DEP_1)
	v_add_nc_u32_e32 v30, s13, v28
	;; [unrolled: 3-line block ×5, first 2 shown]
	v_add_nc_u32_e32 v44, s13, v42
	s_delay_alu instid0(VALU_DEP_1)
	v_add_nc_u32_e32 v46, s13, v44
	s_movk_i32 s13, 0x60
	s_wait_loadcnt_dscnt 0x0
	scratch_store_b128 off, v[2:5], off
	flat_load_b128 v[2:5], v[16:17]
	s_wait_loadcnt_dscnt 0x0
	scratch_store_b128 off, v[2:5], off offset:16
	flat_load_b128 v[2:5], v18, s[4:5] scale_offset
	s_wait_loadcnt_dscnt 0x0
	scratch_store_b128 off, v[2:5], off offset:32
	flat_load_b128 v[2:5], v20, s[4:5] scale_offset
	s_wait_loadcnt_dscnt 0x0
	scratch_store_b128 off, v[2:5], off offset:48
	flat_load_b128 v[2:5], v22, s[4:5] scale_offset
	s_wait_loadcnt_dscnt 0x0
	scratch_store_b128 off, v[2:5], off offset:64
	flat_load_b128 v[2:5], v24, s[4:5] scale_offset
	s_wait_loadcnt_dscnt 0x0
	scratch_store_b128 off, v[2:5], off offset:80
	flat_load_b128 v[2:5], v26, s[4:5] scale_offset
	s_wait_loadcnt_dscnt 0x0
	scratch_store_b128 off, v[2:5], off offset:96
	flat_load_b128 v[2:5], v28, s[4:5] scale_offset
	s_wait_loadcnt_dscnt 0x0
	scratch_store_b128 off, v[2:5], off offset:112
	flat_load_b128 v[2:5], v30, s[4:5] scale_offset
	s_wait_loadcnt_dscnt 0x0
	scratch_store_b128 off, v[2:5], off offset:128
	flat_load_b128 v[2:5], v32, s[4:5] scale_offset
	s_wait_loadcnt_dscnt 0x0
	scratch_store_b128 off, v[2:5], off offset:144
	flat_load_b128 v[2:5], v34, s[4:5] scale_offset
	s_wait_loadcnt_dscnt 0x0
	scratch_store_b128 off, v[2:5], off offset:160
	flat_load_b128 v[2:5], v36, s[4:5] scale_offset
	s_wait_loadcnt_dscnt 0x0
	scratch_store_b128 off, v[2:5], off offset:176
	flat_load_b128 v[2:5], v38, s[4:5] scale_offset
	s_wait_loadcnt_dscnt 0x0
	scratch_store_b128 off, v[2:5], off offset:192
	flat_load_b128 v[2:5], v40, s[4:5] scale_offset
	s_wait_loadcnt_dscnt 0x0
	scratch_store_b128 off, v[2:5], off offset:208
	flat_load_b128 v[2:5], v42, s[4:5] scale_offset
	s_wait_loadcnt_dscnt 0x0
	scratch_store_b128 off, v[2:5], off offset:224
	flat_load_b128 v[2:5], v44, s[4:5] scale_offset
	s_wait_loadcnt_dscnt 0x0
	scratch_store_b128 off, v[2:5], off offset:240
	flat_load_b128 v[2:5], v46, s[4:5] scale_offset
	s_wait_loadcnt_dscnt 0x0
	scratch_store_b128 off, v[2:5], off offset:256
	s_cbranch_scc1 .LBB80_80
; %bb.4:
	v_cmp_eq_u32_e64 s2, 0, v1
	s_wait_xcnt 0x0
	s_and_saveexec_b32 s3, s2
; %bb.5:
	v_mov_b32_e32 v2, 0
	ds_store_b32 v2, v2 offset:544
; %bb.6:
	s_or_b32 exec_lo, exec_lo, s3
	s_wait_storecnt_dscnt 0x0
	s_barrier_signal -1
	s_barrier_wait -1
	scratch_load_b128 v[2:5], v1, off scale_offset
	s_wait_loadcnt 0x0
	v_cmp_eq_f64_e32 vcc_lo, 0, v[2:3]
	v_cmp_eq_f64_e64 s3, 0, v[4:5]
	s_and_b32 s3, vcc_lo, s3
	s_delay_alu instid0(SALU_CYCLE_1)
	s_and_saveexec_b32 s29, s3
	s_cbranch_execz .LBB80_10
; %bb.7:
	v_mov_b32_e32 v2, 0
	s_mov_b32 s30, 0
	ds_load_b32 v3, v2 offset:544
	s_wait_dscnt 0x0
	v_readfirstlane_b32 s3, v3
	v_add_nc_u32_e32 v3, 1, v1
	s_cmp_eq_u32 s3, 0
	s_delay_alu instid0(VALU_DEP_1) | instskip(SKIP_1) | instid1(SALU_CYCLE_1)
	v_cmp_gt_i32_e32 vcc_lo, s3, v3
	s_cselect_b32 s31, -1, 0
	s_or_b32 s31, s31, vcc_lo
	s_delay_alu instid0(SALU_CYCLE_1)
	s_and_b32 exec_lo, exec_lo, s31
	s_cbranch_execz .LBB80_10
; %bb.8:
	v_mov_b32_e32 v4, s3
.LBB80_9:                               ; =>This Inner Loop Header: Depth=1
	ds_cmpstore_rtn_b32 v4, v2, v3, v4 offset:544
	s_wait_dscnt 0x0
	v_cmp_ne_u32_e32 vcc_lo, 0, v4
	v_cmp_le_i32_e64 s3, v4, v3
	s_and_b32 s3, vcc_lo, s3
	s_delay_alu instid0(SALU_CYCLE_1) | instskip(NEXT) | instid1(SALU_CYCLE_1)
	s_and_b32 s3, exec_lo, s3
	s_or_b32 s30, s3, s30
	s_delay_alu instid0(SALU_CYCLE_1)
	s_and_not1_b32 exec_lo, exec_lo, s30
	s_cbranch_execnz .LBB80_9
.LBB80_10:
	s_or_b32 exec_lo, exec_lo, s29
	v_mov_b32_e32 v2, 0
	s_barrier_signal -1
	s_barrier_wait -1
	ds_load_b32 v3, v2 offset:544
	s_and_saveexec_b32 s3, s2
	s_cbranch_execz .LBB80_12
; %bb.11:
	s_lshl_b64 s[30:31], s[10:11], 2
	s_delay_alu instid0(SALU_CYCLE_1)
	s_add_nc_u64 s[30:31], s[6:7], s[30:31]
	s_wait_dscnt 0x0
	global_store_b32 v2, v3, s[30:31]
.LBB80_12:
	s_wait_xcnt 0x0
	s_or_b32 exec_lo, exec_lo, s3
	s_wait_dscnt 0x0
	v_cmp_ne_u32_e32 vcc_lo, 0, v3
	s_mov_b32 s3, 0
	s_cbranch_vccnz .LBB80_80
; %bb.13:
	v_lshl_add_u32 v19, v1, 4, 0
                                        ; implicit-def: $vgpr6_vgpr7
                                        ; implicit-def: $vgpr10_vgpr11
	scratch_load_b128 v[2:5], v19, off
	s_wait_loadcnt 0x0
	v_cmp_ngt_f64_e64 s3, |v[2:3]|, |v[4:5]|
	s_wait_xcnt 0x0
	s_and_saveexec_b32 s29, s3
	s_delay_alu instid0(SALU_CYCLE_1)
	s_xor_b32 s3, exec_lo, s29
	s_cbranch_execz .LBB80_15
; %bb.14:
	v_div_scale_f64 v[6:7], null, v[4:5], v[4:5], v[2:3]
	v_div_scale_f64 v[12:13], vcc_lo, v[2:3], v[4:5], v[2:3]
	s_delay_alu instid0(VALU_DEP_2) | instskip(SKIP_1) | instid1(TRANS32_DEP_1)
	v_rcp_f64_e32 v[8:9], v[6:7]
	v_nop
	v_fma_f64 v[10:11], -v[6:7], v[8:9], 1.0
	s_delay_alu instid0(VALU_DEP_1) | instskip(NEXT) | instid1(VALU_DEP_1)
	v_fmac_f64_e32 v[8:9], v[8:9], v[10:11]
	v_fma_f64 v[10:11], -v[6:7], v[8:9], 1.0
	s_delay_alu instid0(VALU_DEP_1) | instskip(NEXT) | instid1(VALU_DEP_1)
	v_fmac_f64_e32 v[8:9], v[8:9], v[10:11]
	v_mul_f64_e32 v[10:11], v[12:13], v[8:9]
	s_delay_alu instid0(VALU_DEP_1) | instskip(NEXT) | instid1(VALU_DEP_1)
	v_fma_f64 v[6:7], -v[6:7], v[10:11], v[12:13]
	v_div_fmas_f64 v[6:7], v[6:7], v[8:9], v[10:11]
	s_delay_alu instid0(VALU_DEP_1) | instskip(NEXT) | instid1(VALU_DEP_1)
	v_div_fixup_f64 v[6:7], v[6:7], v[4:5], v[2:3]
	v_fmac_f64_e32 v[4:5], v[2:3], v[6:7]
	s_delay_alu instid0(VALU_DEP_1) | instskip(SKIP_1) | instid1(VALU_DEP_2)
	v_div_scale_f64 v[2:3], null, v[4:5], v[4:5], 1.0
	v_div_scale_f64 v[12:13], vcc_lo, 1.0, v[4:5], 1.0
	v_rcp_f64_e32 v[8:9], v[2:3]
	v_nop
	s_delay_alu instid0(TRANS32_DEP_1) | instskip(NEXT) | instid1(VALU_DEP_1)
	v_fma_f64 v[10:11], -v[2:3], v[8:9], 1.0
	v_fmac_f64_e32 v[8:9], v[8:9], v[10:11]
	s_delay_alu instid0(VALU_DEP_1) | instskip(NEXT) | instid1(VALU_DEP_1)
	v_fma_f64 v[10:11], -v[2:3], v[8:9], 1.0
	v_fmac_f64_e32 v[8:9], v[8:9], v[10:11]
	s_delay_alu instid0(VALU_DEP_1) | instskip(NEXT) | instid1(VALU_DEP_1)
	v_mul_f64_e32 v[10:11], v[12:13], v[8:9]
	v_fma_f64 v[2:3], -v[2:3], v[10:11], v[12:13]
	s_delay_alu instid0(VALU_DEP_1) | instskip(NEXT) | instid1(VALU_DEP_1)
	v_div_fmas_f64 v[2:3], v[2:3], v[8:9], v[10:11]
	v_div_fixup_f64 v[8:9], v[2:3], v[4:5], 1.0
                                        ; implicit-def: $vgpr2_vgpr3
	s_delay_alu instid0(VALU_DEP_1) | instskip(SKIP_1) | instid1(VALU_DEP_2)
	v_mul_f64_e32 v[6:7], v[6:7], v[8:9]
	v_xor_b32_e32 v9, 0x80000000, v9
	v_xor_b32_e32 v11, 0x80000000, v7
	s_delay_alu instid0(VALU_DEP_3)
	v_mov_b32_e32 v10, v6
.LBB80_15:
	s_and_not1_saveexec_b32 s3, s3
	s_cbranch_execz .LBB80_17
; %bb.16:
	v_div_scale_f64 v[6:7], null, v[2:3], v[2:3], v[4:5]
	v_div_scale_f64 v[12:13], vcc_lo, v[4:5], v[2:3], v[4:5]
	s_delay_alu instid0(VALU_DEP_2) | instskip(SKIP_1) | instid1(TRANS32_DEP_1)
	v_rcp_f64_e32 v[8:9], v[6:7]
	v_nop
	v_fma_f64 v[10:11], -v[6:7], v[8:9], 1.0
	s_delay_alu instid0(VALU_DEP_1) | instskip(NEXT) | instid1(VALU_DEP_1)
	v_fmac_f64_e32 v[8:9], v[8:9], v[10:11]
	v_fma_f64 v[10:11], -v[6:7], v[8:9], 1.0
	s_delay_alu instid0(VALU_DEP_1) | instskip(NEXT) | instid1(VALU_DEP_1)
	v_fmac_f64_e32 v[8:9], v[8:9], v[10:11]
	v_mul_f64_e32 v[10:11], v[12:13], v[8:9]
	s_delay_alu instid0(VALU_DEP_1) | instskip(NEXT) | instid1(VALU_DEP_1)
	v_fma_f64 v[6:7], -v[6:7], v[10:11], v[12:13]
	v_div_fmas_f64 v[6:7], v[6:7], v[8:9], v[10:11]
	s_delay_alu instid0(VALU_DEP_1) | instskip(NEXT) | instid1(VALU_DEP_1)
	v_div_fixup_f64 v[8:9], v[6:7], v[2:3], v[4:5]
	v_fmac_f64_e32 v[2:3], v[4:5], v[8:9]
	s_delay_alu instid0(VALU_DEP_1) | instskip(NEXT) | instid1(VALU_DEP_1)
	v_div_scale_f64 v[4:5], null, v[2:3], v[2:3], 1.0
	v_rcp_f64_e32 v[6:7], v[4:5]
	v_nop
	s_delay_alu instid0(TRANS32_DEP_1) | instskip(NEXT) | instid1(VALU_DEP_1)
	v_fma_f64 v[10:11], -v[4:5], v[6:7], 1.0
	v_fmac_f64_e32 v[6:7], v[6:7], v[10:11]
	s_delay_alu instid0(VALU_DEP_1) | instskip(NEXT) | instid1(VALU_DEP_1)
	v_fma_f64 v[10:11], -v[4:5], v[6:7], 1.0
	v_fmac_f64_e32 v[6:7], v[6:7], v[10:11]
	v_div_scale_f64 v[10:11], vcc_lo, 1.0, v[2:3], 1.0
	s_delay_alu instid0(VALU_DEP_1) | instskip(NEXT) | instid1(VALU_DEP_1)
	v_mul_f64_e32 v[12:13], v[10:11], v[6:7]
	v_fma_f64 v[4:5], -v[4:5], v[12:13], v[10:11]
	s_delay_alu instid0(VALU_DEP_1) | instskip(NEXT) | instid1(VALU_DEP_1)
	v_div_fmas_f64 v[4:5], v[4:5], v[6:7], v[12:13]
	v_div_fixup_f64 v[6:7], v[4:5], v[2:3], 1.0
	s_delay_alu instid0(VALU_DEP_1)
	v_mul_f64_e64 v[8:9], v[8:9], -v[6:7]
	v_xor_b32_e32 v11, 0x80000000, v7
	v_mov_b32_e32 v10, v6
.LBB80_17:
	s_or_b32 exec_lo, exec_lo, s3
	s_clause 0x1
	scratch_store_b128 v19, v[6:9], off
	scratch_load_b128 v[2:5], off, s27
	v_xor_b32_e32 v13, 0x80000000, v9
	v_mov_b32_e32 v12, v8
	s_wait_xcnt 0x1
	v_add_nc_u32_e32 v6, 0x110, v48
	ds_store_b128 v48, v[10:13]
	s_wait_loadcnt 0x0
	ds_store_b128 v48, v[2:5] offset:272
	s_wait_storecnt_dscnt 0x0
	s_barrier_signal -1
	s_barrier_wait -1
	s_wait_xcnt 0x0
	s_and_saveexec_b32 s3, s2
	s_cbranch_execz .LBB80_19
; %bb.18:
	scratch_load_b128 v[2:5], v19, off
	ds_load_b128 v[8:11], v6
	v_mov_b32_e32 v7, 0
	ds_load_b128 v[50:53], v7 offset:16
	s_wait_loadcnt_dscnt 0x1
	v_mul_f64_e32 v[12:13], v[8:9], v[4:5]
	v_mul_f64_e32 v[4:5], v[10:11], v[4:5]
	s_delay_alu instid0(VALU_DEP_2) | instskip(NEXT) | instid1(VALU_DEP_2)
	v_fmac_f64_e32 v[12:13], v[10:11], v[2:3]
	v_fma_f64 v[2:3], v[8:9], v[2:3], -v[4:5]
	s_delay_alu instid0(VALU_DEP_2) | instskip(NEXT) | instid1(VALU_DEP_2)
	v_add_f64_e32 v[8:9], 0, v[12:13]
	v_add_f64_e32 v[2:3], 0, v[2:3]
	s_wait_dscnt 0x0
	s_delay_alu instid0(VALU_DEP_2) | instskip(NEXT) | instid1(VALU_DEP_2)
	v_mul_f64_e32 v[10:11], v[8:9], v[52:53]
	v_mul_f64_e32 v[4:5], v[2:3], v[52:53]
	s_delay_alu instid0(VALU_DEP_2) | instskip(NEXT) | instid1(VALU_DEP_2)
	v_fma_f64 v[2:3], v[2:3], v[50:51], -v[10:11]
	v_fmac_f64_e32 v[4:5], v[8:9], v[50:51]
	scratch_store_b128 off, v[2:5], off offset:16
.LBB80_19:
	s_wait_xcnt 0x0
	s_or_b32 exec_lo, exec_lo, s3
	s_wait_storecnt 0x0
	s_barrier_signal -1
	s_barrier_wait -1
	scratch_load_b128 v[2:5], off, s26
	s_mov_b32 s3, exec_lo
	s_wait_loadcnt 0x0
	ds_store_b128 v6, v[2:5]
	s_wait_dscnt 0x0
	s_barrier_signal -1
	s_barrier_wait -1
	v_cmpx_gt_u32_e32 2, v1
	s_cbranch_execz .LBB80_23
; %bb.20:
	scratch_load_b128 v[2:5], v19, off
	ds_load_b128 v[8:11], v6
	s_wait_loadcnt_dscnt 0x0
	v_mul_f64_e32 v[12:13], v[10:11], v[4:5]
	v_mul_f64_e32 v[50:51], v[8:9], v[4:5]
	s_delay_alu instid0(VALU_DEP_2) | instskip(NEXT) | instid1(VALU_DEP_2)
	v_fma_f64 v[4:5], v[8:9], v[2:3], -v[12:13]
	v_fmac_f64_e32 v[50:51], v[10:11], v[2:3]
	s_delay_alu instid0(VALU_DEP_2) | instskip(NEXT) | instid1(VALU_DEP_2)
	v_add_f64_e32 v[4:5], 0, v[4:5]
	v_add_f64_e32 v[2:3], 0, v[50:51]
	s_and_saveexec_b32 s29, s2
	s_cbranch_execz .LBB80_22
; %bb.21:
	scratch_load_b128 v[8:11], off, off offset:16
	v_mov_b32_e32 v7, 0
	ds_load_b128 v[50:53], v7 offset:288
	s_wait_loadcnt_dscnt 0x0
	v_mul_f64_e32 v[12:13], v[50:51], v[10:11]
	v_mul_f64_e32 v[10:11], v[52:53], v[10:11]
	s_delay_alu instid0(VALU_DEP_2) | instskip(NEXT) | instid1(VALU_DEP_2)
	v_fmac_f64_e32 v[12:13], v[52:53], v[8:9]
	v_fma_f64 v[8:9], v[50:51], v[8:9], -v[10:11]
	s_delay_alu instid0(VALU_DEP_2) | instskip(NEXT) | instid1(VALU_DEP_2)
	v_add_f64_e32 v[2:3], v[2:3], v[12:13]
	v_add_f64_e32 v[4:5], v[4:5], v[8:9]
.LBB80_22:
	s_or_b32 exec_lo, exec_lo, s29
	v_mov_b32_e32 v7, 0
	ds_load_b128 v[8:11], v7 offset:32
	s_wait_dscnt 0x0
	v_mul_f64_e32 v[50:51], v[2:3], v[10:11]
	v_mul_f64_e32 v[12:13], v[4:5], v[10:11]
	s_delay_alu instid0(VALU_DEP_2) | instskip(NEXT) | instid1(VALU_DEP_2)
	v_fma_f64 v[10:11], v[4:5], v[8:9], -v[50:51]
	v_fmac_f64_e32 v[12:13], v[2:3], v[8:9]
	scratch_store_b128 off, v[10:13], off offset:32
.LBB80_23:
	s_wait_xcnt 0x0
	s_or_b32 exec_lo, exec_lo, s3
	s_wait_storecnt 0x0
	s_barrier_signal -1
	s_barrier_wait -1
	scratch_load_b128 v[2:5], off, s19
	v_add_nc_u32_e32 v7, -1, v1
	s_mov_b32 s2, exec_lo
	s_wait_loadcnt 0x0
	ds_store_b128 v6, v[2:5]
	s_wait_dscnt 0x0
	s_barrier_signal -1
	s_barrier_wait -1
	v_cmpx_gt_u32_e32 3, v1
	s_cbranch_execz .LBB80_27
; %bb.24:
	v_dual_mov_b32 v10, v48 :: v_dual_add_nc_u32 v8, -1, v1
	v_mov_b64_e32 v[2:3], 0
	v_mov_b64_e32 v[4:5], 0
	v_add_nc_u32_e32 v9, 0x110, v48
	s_delay_alu instid0(VALU_DEP_4)
	v_or_b32_e32 v10, 8, v10
	s_mov_b32 s3, 0
.LBB80_25:                              ; =>This Inner Loop Header: Depth=1
	scratch_load_b128 v[50:53], v10, off offset:-8
	ds_load_b128 v[54:57], v9
	s_wait_xcnt 0x0
	v_dual_add_nc_u32 v9, 16, v9 :: v_dual_add_nc_u32 v10, 16, v10
	v_add_nc_u32_e32 v8, 1, v8
	s_delay_alu instid0(VALU_DEP_1) | instskip(SKIP_4) | instid1(VALU_DEP_2)
	v_cmp_lt_u32_e32 vcc_lo, 1, v8
	s_or_b32 s3, vcc_lo, s3
	s_wait_loadcnt_dscnt 0x0
	v_mul_f64_e32 v[12:13], v[56:57], v[52:53]
	v_mul_f64_e32 v[52:53], v[54:55], v[52:53]
	v_fma_f64 v[12:13], v[54:55], v[50:51], -v[12:13]
	s_delay_alu instid0(VALU_DEP_2) | instskip(NEXT) | instid1(VALU_DEP_2)
	v_fmac_f64_e32 v[52:53], v[56:57], v[50:51]
	v_add_f64_e32 v[4:5], v[4:5], v[12:13]
	s_delay_alu instid0(VALU_DEP_2)
	v_add_f64_e32 v[2:3], v[2:3], v[52:53]
	s_and_not1_b32 exec_lo, exec_lo, s3
	s_cbranch_execnz .LBB80_25
; %bb.26:
	s_or_b32 exec_lo, exec_lo, s3
	v_mov_b32_e32 v8, 0
	ds_load_b128 v[8:11], v8 offset:48
	s_wait_dscnt 0x0
	v_mul_f64_e32 v[50:51], v[2:3], v[10:11]
	v_mul_f64_e32 v[12:13], v[4:5], v[10:11]
	s_delay_alu instid0(VALU_DEP_2) | instskip(NEXT) | instid1(VALU_DEP_2)
	v_fma_f64 v[10:11], v[4:5], v[8:9], -v[50:51]
	v_fmac_f64_e32 v[12:13], v[2:3], v[8:9]
	scratch_store_b128 off, v[10:13], off offset:48
.LBB80_27:
	s_wait_xcnt 0x0
	s_or_b32 exec_lo, exec_lo, s2
	s_wait_storecnt 0x0
	s_barrier_signal -1
	s_barrier_wait -1
	scratch_load_b128 v[2:5], off, s12
	s_mov_b32 s2, exec_lo
	s_wait_loadcnt 0x0
	ds_store_b128 v6, v[2:5]
	s_wait_dscnt 0x0
	s_barrier_signal -1
	s_barrier_wait -1
	v_cmpx_gt_u32_e32 4, v1
	s_cbranch_execz .LBB80_31
; %bb.28:
	v_dual_mov_b32 v10, v48 :: v_dual_add_nc_u32 v8, -1, v1
	v_mov_b64_e32 v[2:3], 0
	v_mov_b64_e32 v[4:5], 0
	v_add_nc_u32_e32 v9, 0x110, v48
	s_delay_alu instid0(VALU_DEP_4)
	v_or_b32_e32 v10, 8, v10
	s_mov_b32 s3, 0
.LBB80_29:                              ; =>This Inner Loop Header: Depth=1
	scratch_load_b128 v[50:53], v10, off offset:-8
	ds_load_b128 v[54:57], v9
	s_wait_xcnt 0x0
	v_dual_add_nc_u32 v9, 16, v9 :: v_dual_add_nc_u32 v10, 16, v10
	v_add_nc_u32_e32 v8, 1, v8
	s_delay_alu instid0(VALU_DEP_1) | instskip(SKIP_4) | instid1(VALU_DEP_2)
	v_cmp_lt_u32_e32 vcc_lo, 2, v8
	s_or_b32 s3, vcc_lo, s3
	s_wait_loadcnt_dscnt 0x0
	v_mul_f64_e32 v[12:13], v[56:57], v[52:53]
	v_mul_f64_e32 v[52:53], v[54:55], v[52:53]
	v_fma_f64 v[12:13], v[54:55], v[50:51], -v[12:13]
	s_delay_alu instid0(VALU_DEP_2) | instskip(NEXT) | instid1(VALU_DEP_2)
	v_fmac_f64_e32 v[52:53], v[56:57], v[50:51]
	v_add_f64_e32 v[4:5], v[4:5], v[12:13]
	s_delay_alu instid0(VALU_DEP_2)
	v_add_f64_e32 v[2:3], v[2:3], v[52:53]
	s_and_not1_b32 exec_lo, exec_lo, s3
	s_cbranch_execnz .LBB80_29
; %bb.30:
	s_or_b32 exec_lo, exec_lo, s3
	v_mov_b32_e32 v8, 0
	ds_load_b128 v[8:11], v8 offset:64
	s_wait_dscnt 0x0
	v_mul_f64_e32 v[50:51], v[2:3], v[10:11]
	v_mul_f64_e32 v[12:13], v[4:5], v[10:11]
	s_delay_alu instid0(VALU_DEP_2) | instskip(NEXT) | instid1(VALU_DEP_2)
	v_fma_f64 v[10:11], v[4:5], v[8:9], -v[50:51]
	v_fmac_f64_e32 v[12:13], v[2:3], v[8:9]
	scratch_store_b128 off, v[10:13], off offset:64
.LBB80_31:
	s_wait_xcnt 0x0
	s_or_b32 exec_lo, exec_lo, s2
	s_wait_storecnt 0x0
	s_barrier_signal -1
	s_barrier_wait -1
	scratch_load_b128 v[2:5], off, s20
	;; [unrolled: 54-line block ×13, first 2 shown]
	s_mov_b32 s2, exec_lo
	s_wait_loadcnt 0x0
	ds_store_b128 v6, v[2:5]
	s_wait_dscnt 0x0
	s_barrier_signal -1
	s_barrier_wait -1
	v_cmpx_ne_u32_e32 16, v1
	s_cbranch_execz .LBB80_79
; %bb.76:
	v_mov_b32_e32 v8, v48
	v_mov_b64_e32 v[2:3], 0
	v_mov_b64_e32 v[4:5], 0
	s_mov_b32 s3, 0
	s_delay_alu instid0(VALU_DEP_3)
	v_or_b32_e32 v8, 8, v8
.LBB80_77:                              ; =>This Inner Loop Header: Depth=1
	scratch_load_b128 v[10:13], v8, off offset:-8
	ds_load_b128 v[48:51], v6
	v_dual_add_nc_u32 v7, 1, v7 :: v_dual_add_nc_u32 v6, 16, v6
	s_wait_xcnt 0x0
	v_add_nc_u32_e32 v8, 16, v8
	s_delay_alu instid0(VALU_DEP_2) | instskip(SKIP_4) | instid1(VALU_DEP_2)
	v_cmp_lt_u32_e32 vcc_lo, 14, v7
	s_or_b32 s3, vcc_lo, s3
	s_wait_loadcnt_dscnt 0x0
	v_mul_f64_e32 v[52:53], v[50:51], v[12:13]
	v_mul_f64_e32 v[12:13], v[48:49], v[12:13]
	v_fma_f64 v[48:49], v[48:49], v[10:11], -v[52:53]
	s_delay_alu instid0(VALU_DEP_2) | instskip(NEXT) | instid1(VALU_DEP_2)
	v_fmac_f64_e32 v[12:13], v[50:51], v[10:11]
	v_add_f64_e32 v[4:5], v[4:5], v[48:49]
	s_delay_alu instid0(VALU_DEP_2)
	v_add_f64_e32 v[2:3], v[2:3], v[12:13]
	s_and_not1_b32 exec_lo, exec_lo, s3
	s_cbranch_execnz .LBB80_77
; %bb.78:
	s_or_b32 exec_lo, exec_lo, s3
	v_mov_b32_e32 v6, 0
	ds_load_b128 v[6:9], v6 offset:256
	s_wait_dscnt 0x0
	v_mul_f64_e32 v[12:13], v[2:3], v[8:9]
	v_mul_f64_e32 v[10:11], v[4:5], v[8:9]
	s_delay_alu instid0(VALU_DEP_2) | instskip(NEXT) | instid1(VALU_DEP_2)
	v_fma_f64 v[8:9], v[4:5], v[6:7], -v[12:13]
	v_fmac_f64_e32 v[10:11], v[2:3], v[6:7]
	scratch_store_b128 off, v[8:11], off offset:256
.LBB80_79:
	s_wait_xcnt 0x0
	s_or_b32 exec_lo, exec_lo, s2
	s_mov_b32 s3, -1
	s_wait_storecnt 0x0
	s_barrier_signal -1
	s_barrier_wait -1
.LBB80_80:
	s_and_b32 vcc_lo, exec_lo, s3
	s_cbranch_vccz .LBB80_82
; %bb.81:
	s_wait_xcnt 0x0
	v_mov_b32_e32 v2, 0
	s_lshl_b64 s[2:3], s[10:11], 2
	s_delay_alu instid0(SALU_CYCLE_1)
	s_add_nc_u64 s[2:3], s[6:7], s[2:3]
	global_load_b32 v2, v2, s[2:3]
	s_wait_loadcnt 0x0
	v_cmp_ne_u32_e32 vcc_lo, 0, v2
	s_cbranch_vccz .LBB80_83
.LBB80_82:
	s_sendmsg sendmsg(MSG_DEALLOC_VGPRS)
	s_endpgm
.LBB80_83:
	v_lshl_add_u32 v6, v1, 4, 0x110
	s_wait_xcnt 0x0
	s_mov_b32 s2, exec_lo
	v_cmpx_eq_u32_e32 16, v1
	s_cbranch_execz .LBB80_85
; %bb.84:
	scratch_load_b128 v[2:5], off, s25
	v_mov_b32_e32 v8, 0
	s_delay_alu instid0(VALU_DEP_1)
	v_dual_mov_b32 v9, v8 :: v_dual_mov_b32 v10, v8
	v_mov_b32_e32 v11, v8
	scratch_store_b128 off, v[8:11], off offset:240
	s_wait_loadcnt 0x0
	ds_store_b128 v6, v[2:5]
.LBB80_85:
	s_wait_xcnt 0x0
	s_or_b32 exec_lo, exec_lo, s2
	s_wait_storecnt_dscnt 0x0
	s_barrier_signal -1
	s_barrier_wait -1
	s_clause 0x1
	scratch_load_b128 v[8:11], off, off offset:256
	scratch_load_b128 v[48:51], off, off offset:240
	v_mov_b32_e32 v2, 0
	s_mov_b32 s2, exec_lo
	ds_load_b128 v[52:55], v2 offset:528
	s_wait_loadcnt_dscnt 0x100
	v_mul_f64_e32 v[4:5], v[54:55], v[10:11]
	v_mul_f64_e32 v[10:11], v[52:53], v[10:11]
	s_delay_alu instid0(VALU_DEP_2) | instskip(NEXT) | instid1(VALU_DEP_2)
	v_fma_f64 v[4:5], v[52:53], v[8:9], -v[4:5]
	v_fmac_f64_e32 v[10:11], v[54:55], v[8:9]
	s_delay_alu instid0(VALU_DEP_2) | instskip(NEXT) | instid1(VALU_DEP_2)
	v_add_f64_e32 v[4:5], 0, v[4:5]
	v_add_f64_e32 v[10:11], 0, v[10:11]
	s_wait_loadcnt 0x0
	s_delay_alu instid0(VALU_DEP_2) | instskip(NEXT) | instid1(VALU_DEP_2)
	v_add_f64_e64 v[8:9], v[48:49], -v[4:5]
	v_add_f64_e64 v[10:11], v[50:51], -v[10:11]
	scratch_store_b128 off, v[8:11], off offset:240
	s_wait_xcnt 0x0
	v_cmpx_lt_u32_e32 14, v1
	s_cbranch_execz .LBB80_87
; %bb.86:
	scratch_load_b128 v[8:11], off, s17
	v_dual_mov_b32 v3, v2 :: v_dual_mov_b32 v4, v2
	v_mov_b32_e32 v5, v2
	scratch_store_b128 off, v[2:5], off offset:224
	s_wait_loadcnt 0x0
	ds_store_b128 v6, v[8:11]
.LBB80_87:
	s_wait_xcnt 0x0
	s_or_b32 exec_lo, exec_lo, s2
	s_wait_storecnt_dscnt 0x0
	s_barrier_signal -1
	s_barrier_wait -1
	s_clause 0x2
	scratch_load_b128 v[8:11], off, off offset:240
	scratch_load_b128 v[48:51], off, off offset:256
	;; [unrolled: 1-line block ×3, first 2 shown]
	ds_load_b128 v[56:59], v2 offset:512
	ds_load_b128 v[2:5], v2 offset:528
	s_mov_b32 s2, exec_lo
	s_wait_loadcnt_dscnt 0x201
	v_mul_f64_e32 v[12:13], v[58:59], v[10:11]
	v_mul_f64_e32 v[10:11], v[56:57], v[10:11]
	s_wait_loadcnt_dscnt 0x100
	v_mul_f64_e32 v[60:61], v[2:3], v[50:51]
	v_mul_f64_e32 v[50:51], v[4:5], v[50:51]
	s_delay_alu instid0(VALU_DEP_4) | instskip(NEXT) | instid1(VALU_DEP_4)
	v_fma_f64 v[12:13], v[56:57], v[8:9], -v[12:13]
	v_fmac_f64_e32 v[10:11], v[58:59], v[8:9]
	s_delay_alu instid0(VALU_DEP_4) | instskip(NEXT) | instid1(VALU_DEP_4)
	v_fmac_f64_e32 v[60:61], v[4:5], v[48:49]
	v_fma_f64 v[2:3], v[2:3], v[48:49], -v[50:51]
	s_delay_alu instid0(VALU_DEP_4) | instskip(NEXT) | instid1(VALU_DEP_4)
	v_add_f64_e32 v[4:5], 0, v[12:13]
	v_add_f64_e32 v[8:9], 0, v[10:11]
	s_delay_alu instid0(VALU_DEP_2) | instskip(NEXT) | instid1(VALU_DEP_2)
	v_add_f64_e32 v[2:3], v[4:5], v[2:3]
	v_add_f64_e32 v[4:5], v[8:9], v[60:61]
	s_wait_loadcnt 0x0
	s_delay_alu instid0(VALU_DEP_2) | instskip(NEXT) | instid1(VALU_DEP_2)
	v_add_f64_e64 v[2:3], v[52:53], -v[2:3]
	v_add_f64_e64 v[4:5], v[54:55], -v[4:5]
	scratch_store_b128 off, v[2:5], off offset:224
	s_wait_xcnt 0x0
	v_cmpx_lt_u32_e32 13, v1
	s_cbranch_execz .LBB80_89
; %bb.88:
	scratch_load_b128 v[2:5], off, s24
	v_mov_b32_e32 v8, 0
	s_delay_alu instid0(VALU_DEP_1)
	v_dual_mov_b32 v9, v8 :: v_dual_mov_b32 v10, v8
	v_mov_b32_e32 v11, v8
	scratch_store_b128 off, v[8:11], off offset:208
	s_wait_loadcnt 0x0
	ds_store_b128 v6, v[2:5]
.LBB80_89:
	s_wait_xcnt 0x0
	s_or_b32 exec_lo, exec_lo, s2
	s_wait_storecnt_dscnt 0x0
	s_barrier_signal -1
	s_barrier_wait -1
	s_clause 0x3
	scratch_load_b128 v[8:11], off, off offset:224
	scratch_load_b128 v[48:51], off, off offset:240
	;; [unrolled: 1-line block ×4, first 2 shown]
	v_mov_b32_e32 v2, 0
	ds_load_b128 v[60:63], v2 offset:496
	ds_load_b128 v[64:67], v2 offset:512
	s_mov_b32 s2, exec_lo
	s_wait_loadcnt_dscnt 0x301
	v_mul_f64_e32 v[4:5], v[62:63], v[10:11]
	v_mul_f64_e32 v[12:13], v[60:61], v[10:11]
	s_wait_loadcnt_dscnt 0x200
	v_mul_f64_e32 v[68:69], v[64:65], v[50:51]
	v_mul_f64_e32 v[50:51], v[66:67], v[50:51]
	s_delay_alu instid0(VALU_DEP_4) | instskip(NEXT) | instid1(VALU_DEP_4)
	v_fma_f64 v[4:5], v[60:61], v[8:9], -v[4:5]
	v_fmac_f64_e32 v[12:13], v[62:63], v[8:9]
	ds_load_b128 v[8:11], v2 offset:528
	v_fmac_f64_e32 v[68:69], v[66:67], v[48:49]
	v_fma_f64 v[48:49], v[64:65], v[48:49], -v[50:51]
	s_wait_loadcnt_dscnt 0x100
	v_mul_f64_e32 v[60:61], v[8:9], v[54:55]
	v_mul_f64_e32 v[54:55], v[10:11], v[54:55]
	v_add_f64_e32 v[4:5], 0, v[4:5]
	v_add_f64_e32 v[12:13], 0, v[12:13]
	s_delay_alu instid0(VALU_DEP_4) | instskip(NEXT) | instid1(VALU_DEP_4)
	v_fmac_f64_e32 v[60:61], v[10:11], v[52:53]
	v_fma_f64 v[8:9], v[8:9], v[52:53], -v[54:55]
	s_delay_alu instid0(VALU_DEP_4) | instskip(NEXT) | instid1(VALU_DEP_4)
	v_add_f64_e32 v[4:5], v[4:5], v[48:49]
	v_add_f64_e32 v[10:11], v[12:13], v[68:69]
	s_delay_alu instid0(VALU_DEP_2) | instskip(NEXT) | instid1(VALU_DEP_2)
	v_add_f64_e32 v[4:5], v[4:5], v[8:9]
	v_add_f64_e32 v[10:11], v[10:11], v[60:61]
	s_wait_loadcnt 0x0
	s_delay_alu instid0(VALU_DEP_2) | instskip(NEXT) | instid1(VALU_DEP_2)
	v_add_f64_e64 v[8:9], v[56:57], -v[4:5]
	v_add_f64_e64 v[10:11], v[58:59], -v[10:11]
	scratch_store_b128 off, v[8:11], off offset:208
	s_wait_xcnt 0x0
	v_cmpx_lt_u32_e32 12, v1
	s_cbranch_execz .LBB80_91
; %bb.90:
	scratch_load_b128 v[8:11], off, s16
	v_dual_mov_b32 v3, v2 :: v_dual_mov_b32 v4, v2
	v_mov_b32_e32 v5, v2
	scratch_store_b128 off, v[2:5], off offset:192
	s_wait_loadcnt 0x0
	ds_store_b128 v6, v[8:11]
.LBB80_91:
	s_wait_xcnt 0x0
	s_or_b32 exec_lo, exec_lo, s2
	s_wait_storecnt_dscnt 0x0
	s_barrier_signal -1
	s_barrier_wait -1
	s_clause 0x4
	scratch_load_b128 v[8:11], off, off offset:208
	scratch_load_b128 v[48:51], off, off offset:224
	;; [unrolled: 1-line block ×5, first 2 shown]
	ds_load_b128 v[64:67], v2 offset:480
	ds_load_b128 v[68:71], v2 offset:496
	s_mov_b32 s2, exec_lo
	s_wait_loadcnt_dscnt 0x401
	v_mul_f64_e32 v[4:5], v[66:67], v[10:11]
	v_mul_f64_e32 v[12:13], v[64:65], v[10:11]
	s_wait_loadcnt_dscnt 0x300
	v_mul_f64_e32 v[72:73], v[68:69], v[50:51]
	v_mul_f64_e32 v[50:51], v[70:71], v[50:51]
	s_delay_alu instid0(VALU_DEP_4) | instskip(NEXT) | instid1(VALU_DEP_4)
	v_fma_f64 v[64:65], v[64:65], v[8:9], -v[4:5]
	v_fmac_f64_e32 v[12:13], v[66:67], v[8:9]
	ds_load_b128 v[8:11], v2 offset:512
	ds_load_b128 v[2:5], v2 offset:528
	v_fmac_f64_e32 v[72:73], v[70:71], v[48:49]
	v_fma_f64 v[48:49], v[68:69], v[48:49], -v[50:51]
	s_wait_loadcnt_dscnt 0x201
	v_mul_f64_e32 v[66:67], v[8:9], v[54:55]
	v_mul_f64_e32 v[54:55], v[10:11], v[54:55]
	v_add_f64_e32 v[50:51], 0, v[64:65]
	v_add_f64_e32 v[12:13], 0, v[12:13]
	s_wait_loadcnt_dscnt 0x100
	v_mul_f64_e32 v[64:65], v[2:3], v[58:59]
	v_mul_f64_e32 v[58:59], v[4:5], v[58:59]
	v_fmac_f64_e32 v[66:67], v[10:11], v[52:53]
	v_fma_f64 v[8:9], v[8:9], v[52:53], -v[54:55]
	v_add_f64_e32 v[10:11], v[50:51], v[48:49]
	v_add_f64_e32 v[12:13], v[12:13], v[72:73]
	v_fmac_f64_e32 v[64:65], v[4:5], v[56:57]
	v_fma_f64 v[2:3], v[2:3], v[56:57], -v[58:59]
	s_delay_alu instid0(VALU_DEP_4) | instskip(NEXT) | instid1(VALU_DEP_4)
	v_add_f64_e32 v[4:5], v[10:11], v[8:9]
	v_add_f64_e32 v[8:9], v[12:13], v[66:67]
	s_delay_alu instid0(VALU_DEP_2) | instskip(NEXT) | instid1(VALU_DEP_2)
	v_add_f64_e32 v[2:3], v[4:5], v[2:3]
	v_add_f64_e32 v[4:5], v[8:9], v[64:65]
	s_wait_loadcnt 0x0
	s_delay_alu instid0(VALU_DEP_2) | instskip(NEXT) | instid1(VALU_DEP_2)
	v_add_f64_e64 v[2:3], v[60:61], -v[2:3]
	v_add_f64_e64 v[4:5], v[62:63], -v[4:5]
	scratch_store_b128 off, v[2:5], off offset:192
	s_wait_xcnt 0x0
	v_cmpx_lt_u32_e32 11, v1
	s_cbranch_execz .LBB80_93
; %bb.92:
	scratch_load_b128 v[2:5], off, s23
	v_mov_b32_e32 v8, 0
	s_delay_alu instid0(VALU_DEP_1)
	v_dual_mov_b32 v9, v8 :: v_dual_mov_b32 v10, v8
	v_mov_b32_e32 v11, v8
	scratch_store_b128 off, v[8:11], off offset:176
	s_wait_loadcnt 0x0
	ds_store_b128 v6, v[2:5]
.LBB80_93:
	s_wait_xcnt 0x0
	s_or_b32 exec_lo, exec_lo, s2
	s_wait_storecnt_dscnt 0x0
	s_barrier_signal -1
	s_barrier_wait -1
	s_clause 0x5
	scratch_load_b128 v[8:11], off, off offset:192
	scratch_load_b128 v[48:51], off, off offset:208
	;; [unrolled: 1-line block ×6, first 2 shown]
	v_mov_b32_e32 v2, 0
	ds_load_b128 v[68:71], v2 offset:464
	ds_load_b128 v[72:75], v2 offset:480
	s_mov_b32 s2, exec_lo
	s_wait_loadcnt_dscnt 0x501
	v_mul_f64_e32 v[4:5], v[70:71], v[10:11]
	v_mul_f64_e32 v[12:13], v[68:69], v[10:11]
	s_wait_loadcnt_dscnt 0x400
	v_mul_f64_e32 v[76:77], v[72:73], v[50:51]
	v_mul_f64_e32 v[50:51], v[74:75], v[50:51]
	s_delay_alu instid0(VALU_DEP_4) | instskip(NEXT) | instid1(VALU_DEP_4)
	v_fma_f64 v[4:5], v[68:69], v[8:9], -v[4:5]
	v_fmac_f64_e32 v[12:13], v[70:71], v[8:9]
	ds_load_b128 v[8:11], v2 offset:496
	ds_load_b128 v[68:71], v2 offset:512
	v_fmac_f64_e32 v[76:77], v[74:75], v[48:49]
	v_fma_f64 v[48:49], v[72:73], v[48:49], -v[50:51]
	s_wait_loadcnt_dscnt 0x301
	v_mul_f64_e32 v[78:79], v[8:9], v[54:55]
	v_mul_f64_e32 v[54:55], v[10:11], v[54:55]
	s_wait_loadcnt_dscnt 0x200
	v_mul_f64_e32 v[50:51], v[68:69], v[58:59]
	v_mul_f64_e32 v[58:59], v[70:71], v[58:59]
	v_add_f64_e32 v[4:5], 0, v[4:5]
	v_add_f64_e32 v[12:13], 0, v[12:13]
	v_fmac_f64_e32 v[78:79], v[10:11], v[52:53]
	v_fma_f64 v[52:53], v[8:9], v[52:53], -v[54:55]
	ds_load_b128 v[8:11], v2 offset:528
	v_fmac_f64_e32 v[50:51], v[70:71], v[56:57]
	v_fma_f64 v[56:57], v[68:69], v[56:57], -v[58:59]
	v_add_f64_e32 v[4:5], v[4:5], v[48:49]
	v_add_f64_e32 v[12:13], v[12:13], v[76:77]
	s_wait_loadcnt_dscnt 0x100
	v_mul_f64_e32 v[48:49], v[8:9], v[62:63]
	v_mul_f64_e32 v[54:55], v[10:11], v[62:63]
	s_delay_alu instid0(VALU_DEP_4) | instskip(NEXT) | instid1(VALU_DEP_4)
	v_add_f64_e32 v[4:5], v[4:5], v[52:53]
	v_add_f64_e32 v[12:13], v[12:13], v[78:79]
	s_delay_alu instid0(VALU_DEP_4) | instskip(NEXT) | instid1(VALU_DEP_4)
	v_fmac_f64_e32 v[48:49], v[10:11], v[60:61]
	v_fma_f64 v[8:9], v[8:9], v[60:61], -v[54:55]
	s_delay_alu instid0(VALU_DEP_4) | instskip(NEXT) | instid1(VALU_DEP_4)
	v_add_f64_e32 v[4:5], v[4:5], v[56:57]
	v_add_f64_e32 v[10:11], v[12:13], v[50:51]
	s_delay_alu instid0(VALU_DEP_2) | instskip(NEXT) | instid1(VALU_DEP_2)
	v_add_f64_e32 v[4:5], v[4:5], v[8:9]
	v_add_f64_e32 v[10:11], v[10:11], v[48:49]
	s_wait_loadcnt 0x0
	s_delay_alu instid0(VALU_DEP_2) | instskip(NEXT) | instid1(VALU_DEP_2)
	v_add_f64_e64 v[8:9], v[64:65], -v[4:5]
	v_add_f64_e64 v[10:11], v[66:67], -v[10:11]
	scratch_store_b128 off, v[8:11], off offset:176
	s_wait_xcnt 0x0
	v_cmpx_lt_u32_e32 10, v1
	s_cbranch_execz .LBB80_95
; %bb.94:
	scratch_load_b128 v[8:11], off, s15
	v_dual_mov_b32 v3, v2 :: v_dual_mov_b32 v4, v2
	v_mov_b32_e32 v5, v2
	scratch_store_b128 off, v[2:5], off offset:160
	s_wait_loadcnt 0x0
	ds_store_b128 v6, v[8:11]
.LBB80_95:
	s_wait_xcnt 0x0
	s_or_b32 exec_lo, exec_lo, s2
	s_wait_storecnt_dscnt 0x0
	s_barrier_signal -1
	s_barrier_wait -1
	s_clause 0x6
	scratch_load_b128 v[8:11], off, off offset:176
	scratch_load_b128 v[48:51], off, off offset:192
	scratch_load_b128 v[52:55], off, off offset:208
	scratch_load_b128 v[56:59], off, off offset:224
	scratch_load_b128 v[60:63], off, off offset:240
	scratch_load_b128 v[64:67], off, off offset:256
	scratch_load_b128 v[68:71], off, off offset:160
	ds_load_b128 v[72:75], v2 offset:448
	ds_load_b128 v[76:79], v2 offset:464
	s_mov_b32 s2, exec_lo
	s_wait_loadcnt_dscnt 0x601
	v_mul_f64_e32 v[4:5], v[74:75], v[10:11]
	v_mul_f64_e32 v[12:13], v[72:73], v[10:11]
	s_wait_loadcnt_dscnt 0x500
	v_mul_f64_e32 v[80:81], v[76:77], v[50:51]
	v_mul_f64_e32 v[50:51], v[78:79], v[50:51]
	s_delay_alu instid0(VALU_DEP_4) | instskip(NEXT) | instid1(VALU_DEP_4)
	v_fma_f64 v[4:5], v[72:73], v[8:9], -v[4:5]
	v_fmac_f64_e32 v[12:13], v[74:75], v[8:9]
	ds_load_b128 v[8:11], v2 offset:480
	ds_load_b128 v[72:75], v2 offset:496
	v_fmac_f64_e32 v[80:81], v[78:79], v[48:49]
	v_fma_f64 v[48:49], v[76:77], v[48:49], -v[50:51]
	s_wait_loadcnt_dscnt 0x401
	v_mul_f64_e32 v[82:83], v[8:9], v[54:55]
	v_mul_f64_e32 v[54:55], v[10:11], v[54:55]
	s_wait_loadcnt_dscnt 0x300
	v_mul_f64_e32 v[50:51], v[72:73], v[58:59]
	v_mul_f64_e32 v[58:59], v[74:75], v[58:59]
	v_add_f64_e32 v[4:5], 0, v[4:5]
	v_add_f64_e32 v[12:13], 0, v[12:13]
	v_fmac_f64_e32 v[82:83], v[10:11], v[52:53]
	v_fma_f64 v[52:53], v[8:9], v[52:53], -v[54:55]
	v_fmac_f64_e32 v[50:51], v[74:75], v[56:57]
	v_fma_f64 v[56:57], v[72:73], v[56:57], -v[58:59]
	v_add_f64_e32 v[48:49], v[4:5], v[48:49]
	v_add_f64_e32 v[12:13], v[12:13], v[80:81]
	ds_load_b128 v[8:11], v2 offset:512
	ds_load_b128 v[2:5], v2 offset:528
	s_wait_loadcnt_dscnt 0x201
	v_mul_f64_e32 v[54:55], v[8:9], v[62:63]
	v_mul_f64_e32 v[62:63], v[10:11], v[62:63]
	s_wait_loadcnt_dscnt 0x100
	v_mul_f64_e32 v[58:59], v[4:5], v[66:67]
	v_add_f64_e32 v[48:49], v[48:49], v[52:53]
	v_add_f64_e32 v[12:13], v[12:13], v[82:83]
	v_mul_f64_e32 v[52:53], v[2:3], v[66:67]
	v_fmac_f64_e32 v[54:55], v[10:11], v[60:61]
	v_fma_f64 v[8:9], v[8:9], v[60:61], -v[62:63]
	v_fma_f64 v[2:3], v[2:3], v[64:65], -v[58:59]
	v_add_f64_e32 v[10:11], v[48:49], v[56:57]
	v_add_f64_e32 v[12:13], v[12:13], v[50:51]
	v_fmac_f64_e32 v[52:53], v[4:5], v[64:65]
	s_delay_alu instid0(VALU_DEP_3) | instskip(NEXT) | instid1(VALU_DEP_3)
	v_add_f64_e32 v[4:5], v[10:11], v[8:9]
	v_add_f64_e32 v[8:9], v[12:13], v[54:55]
	s_delay_alu instid0(VALU_DEP_2) | instskip(NEXT) | instid1(VALU_DEP_2)
	v_add_f64_e32 v[2:3], v[4:5], v[2:3]
	v_add_f64_e32 v[4:5], v[8:9], v[52:53]
	s_wait_loadcnt 0x0
	s_delay_alu instid0(VALU_DEP_2) | instskip(NEXT) | instid1(VALU_DEP_2)
	v_add_f64_e64 v[2:3], v[68:69], -v[2:3]
	v_add_f64_e64 v[4:5], v[70:71], -v[4:5]
	scratch_store_b128 off, v[2:5], off offset:160
	s_wait_xcnt 0x0
	v_cmpx_lt_u32_e32 9, v1
	s_cbranch_execz .LBB80_97
; %bb.96:
	scratch_load_b128 v[2:5], off, s22
	v_mov_b32_e32 v8, 0
	s_delay_alu instid0(VALU_DEP_1)
	v_dual_mov_b32 v9, v8 :: v_dual_mov_b32 v10, v8
	v_mov_b32_e32 v11, v8
	scratch_store_b128 off, v[8:11], off offset:144
	s_wait_loadcnt 0x0
	ds_store_b128 v6, v[2:5]
.LBB80_97:
	s_wait_xcnt 0x0
	s_or_b32 exec_lo, exec_lo, s2
	s_wait_storecnt_dscnt 0x0
	s_barrier_signal -1
	s_barrier_wait -1
	s_clause 0x7
	scratch_load_b128 v[8:11], off, off offset:160
	scratch_load_b128 v[48:51], off, off offset:176
	;; [unrolled: 1-line block ×8, first 2 shown]
	v_mov_b32_e32 v2, 0
	ds_load_b128 v[76:79], v2 offset:432
	ds_load_b128 v[80:83], v2 offset:448
	s_mov_b32 s2, exec_lo
	s_wait_loadcnt_dscnt 0x701
	v_mul_f64_e32 v[4:5], v[78:79], v[10:11]
	v_mul_f64_e32 v[12:13], v[76:77], v[10:11]
	s_wait_loadcnt_dscnt 0x600
	v_mul_f64_e32 v[84:85], v[80:81], v[50:51]
	v_mul_f64_e32 v[50:51], v[82:83], v[50:51]
	s_delay_alu instid0(VALU_DEP_4) | instskip(NEXT) | instid1(VALU_DEP_4)
	v_fma_f64 v[4:5], v[76:77], v[8:9], -v[4:5]
	v_fmac_f64_e32 v[12:13], v[78:79], v[8:9]
	ds_load_b128 v[8:11], v2 offset:464
	ds_load_b128 v[76:79], v2 offset:480
	v_fmac_f64_e32 v[84:85], v[82:83], v[48:49]
	v_fma_f64 v[48:49], v[80:81], v[48:49], -v[50:51]
	s_wait_loadcnt_dscnt 0x501
	v_mul_f64_e32 v[86:87], v[8:9], v[54:55]
	v_mul_f64_e32 v[54:55], v[10:11], v[54:55]
	s_wait_loadcnt_dscnt 0x400
	v_mul_f64_e32 v[80:81], v[76:77], v[58:59]
	v_mul_f64_e32 v[58:59], v[78:79], v[58:59]
	v_add_f64_e32 v[4:5], 0, v[4:5]
	v_add_f64_e32 v[12:13], 0, v[12:13]
	v_fmac_f64_e32 v[86:87], v[10:11], v[52:53]
	v_fma_f64 v[52:53], v[8:9], v[52:53], -v[54:55]
	v_fmac_f64_e32 v[80:81], v[78:79], v[56:57]
	v_fma_f64 v[56:57], v[76:77], v[56:57], -v[58:59]
	v_add_f64_e32 v[4:5], v[4:5], v[48:49]
	v_add_f64_e32 v[12:13], v[12:13], v[84:85]
	ds_load_b128 v[8:11], v2 offset:496
	ds_load_b128 v[48:51], v2 offset:512
	s_wait_loadcnt_dscnt 0x301
	v_mul_f64_e32 v[54:55], v[8:9], v[62:63]
	v_mul_f64_e32 v[62:63], v[10:11], v[62:63]
	s_wait_loadcnt_dscnt 0x200
	v_mul_f64_e32 v[58:59], v[50:51], v[66:67]
	v_add_f64_e32 v[4:5], v[4:5], v[52:53]
	v_add_f64_e32 v[12:13], v[12:13], v[86:87]
	v_mul_f64_e32 v[52:53], v[48:49], v[66:67]
	v_fmac_f64_e32 v[54:55], v[10:11], v[60:61]
	v_fma_f64 v[60:61], v[8:9], v[60:61], -v[62:63]
	ds_load_b128 v[8:11], v2 offset:528
	v_fma_f64 v[48:49], v[48:49], v[64:65], -v[58:59]
	v_add_f64_e32 v[4:5], v[4:5], v[56:57]
	v_add_f64_e32 v[12:13], v[12:13], v[80:81]
	v_fmac_f64_e32 v[52:53], v[50:51], v[64:65]
	s_wait_loadcnt_dscnt 0x100
	v_mul_f64_e32 v[56:57], v[8:9], v[70:71]
	v_mul_f64_e32 v[62:63], v[10:11], v[70:71]
	v_add_f64_e32 v[4:5], v[4:5], v[60:61]
	v_add_f64_e32 v[12:13], v[12:13], v[54:55]
	s_delay_alu instid0(VALU_DEP_4) | instskip(NEXT) | instid1(VALU_DEP_4)
	v_fmac_f64_e32 v[56:57], v[10:11], v[68:69]
	v_fma_f64 v[8:9], v[8:9], v[68:69], -v[62:63]
	s_delay_alu instid0(VALU_DEP_4) | instskip(NEXT) | instid1(VALU_DEP_4)
	v_add_f64_e32 v[4:5], v[4:5], v[48:49]
	v_add_f64_e32 v[10:11], v[12:13], v[52:53]
	s_delay_alu instid0(VALU_DEP_2) | instskip(NEXT) | instid1(VALU_DEP_2)
	v_add_f64_e32 v[4:5], v[4:5], v[8:9]
	v_add_f64_e32 v[10:11], v[10:11], v[56:57]
	s_wait_loadcnt 0x0
	s_delay_alu instid0(VALU_DEP_2) | instskip(NEXT) | instid1(VALU_DEP_2)
	v_add_f64_e64 v[8:9], v[72:73], -v[4:5]
	v_add_f64_e64 v[10:11], v[74:75], -v[10:11]
	scratch_store_b128 off, v[8:11], off offset:144
	s_wait_xcnt 0x0
	v_cmpx_lt_u32_e32 8, v1
	s_cbranch_execz .LBB80_99
; %bb.98:
	scratch_load_b128 v[8:11], off, s14
	v_dual_mov_b32 v3, v2 :: v_dual_mov_b32 v4, v2
	v_mov_b32_e32 v5, v2
	scratch_store_b128 off, v[2:5], off offset:128
	s_wait_loadcnt 0x0
	ds_store_b128 v6, v[8:11]
.LBB80_99:
	s_wait_xcnt 0x0
	s_or_b32 exec_lo, exec_lo, s2
	s_wait_storecnt_dscnt 0x0
	s_barrier_signal -1
	s_barrier_wait -1
	s_clause 0x7
	scratch_load_b128 v[8:11], off, off offset:144
	scratch_load_b128 v[48:51], off, off offset:160
	scratch_load_b128 v[52:55], off, off offset:176
	scratch_load_b128 v[56:59], off, off offset:192
	scratch_load_b128 v[60:63], off, off offset:208
	scratch_load_b128 v[64:67], off, off offset:224
	scratch_load_b128 v[68:71], off, off offset:240
	scratch_load_b128 v[72:75], off, off offset:256
	ds_load_b128 v[76:79], v2 offset:416
	ds_load_b128 v[80:83], v2 offset:432
	scratch_load_b128 v[84:87], off, off offset:128
	s_mov_b32 s2, exec_lo
	s_wait_loadcnt_dscnt 0x801
	v_mul_f64_e32 v[4:5], v[78:79], v[10:11]
	v_mul_f64_e32 v[12:13], v[76:77], v[10:11]
	s_wait_loadcnt_dscnt 0x700
	v_mul_f64_e32 v[88:89], v[80:81], v[50:51]
	v_mul_f64_e32 v[50:51], v[82:83], v[50:51]
	s_delay_alu instid0(VALU_DEP_4) | instskip(NEXT) | instid1(VALU_DEP_4)
	v_fma_f64 v[4:5], v[76:77], v[8:9], -v[4:5]
	v_fmac_f64_e32 v[12:13], v[78:79], v[8:9]
	ds_load_b128 v[8:11], v2 offset:448
	ds_load_b128 v[76:79], v2 offset:464
	v_fmac_f64_e32 v[88:89], v[82:83], v[48:49]
	v_fma_f64 v[48:49], v[80:81], v[48:49], -v[50:51]
	s_wait_loadcnt_dscnt 0x601
	v_mul_f64_e32 v[90:91], v[8:9], v[54:55]
	v_mul_f64_e32 v[54:55], v[10:11], v[54:55]
	s_wait_loadcnt_dscnt 0x500
	v_mul_f64_e32 v[80:81], v[76:77], v[58:59]
	v_mul_f64_e32 v[58:59], v[78:79], v[58:59]
	v_add_f64_e32 v[4:5], 0, v[4:5]
	v_add_f64_e32 v[12:13], 0, v[12:13]
	v_fmac_f64_e32 v[90:91], v[10:11], v[52:53]
	v_fma_f64 v[52:53], v[8:9], v[52:53], -v[54:55]
	v_fmac_f64_e32 v[80:81], v[78:79], v[56:57]
	v_fma_f64 v[56:57], v[76:77], v[56:57], -v[58:59]
	v_add_f64_e32 v[4:5], v[4:5], v[48:49]
	v_add_f64_e32 v[12:13], v[12:13], v[88:89]
	ds_load_b128 v[8:11], v2 offset:480
	ds_load_b128 v[48:51], v2 offset:496
	s_wait_loadcnt_dscnt 0x401
	v_mul_f64_e32 v[54:55], v[8:9], v[62:63]
	v_mul_f64_e32 v[62:63], v[10:11], v[62:63]
	s_wait_loadcnt_dscnt 0x300
	v_mul_f64_e32 v[58:59], v[50:51], v[66:67]
	v_add_f64_e32 v[4:5], v[4:5], v[52:53]
	v_add_f64_e32 v[12:13], v[12:13], v[90:91]
	v_mul_f64_e32 v[52:53], v[48:49], v[66:67]
	v_fmac_f64_e32 v[54:55], v[10:11], v[60:61]
	v_fma_f64 v[60:61], v[8:9], v[60:61], -v[62:63]
	v_fma_f64 v[48:49], v[48:49], v[64:65], -v[58:59]
	v_add_f64_e32 v[56:57], v[4:5], v[56:57]
	v_add_f64_e32 v[12:13], v[12:13], v[80:81]
	ds_load_b128 v[8:11], v2 offset:512
	ds_load_b128 v[2:5], v2 offset:528
	v_fmac_f64_e32 v[52:53], v[50:51], v[64:65]
	s_wait_loadcnt_dscnt 0x201
	v_mul_f64_e32 v[62:63], v[8:9], v[70:71]
	v_mul_f64_e32 v[66:67], v[10:11], v[70:71]
	v_add_f64_e32 v[50:51], v[56:57], v[60:61]
	v_add_f64_e32 v[12:13], v[12:13], v[54:55]
	s_wait_loadcnt_dscnt 0x100
	v_mul_f64_e32 v[54:55], v[2:3], v[74:75]
	v_mul_f64_e32 v[56:57], v[4:5], v[74:75]
	v_fmac_f64_e32 v[62:63], v[10:11], v[68:69]
	v_fma_f64 v[8:9], v[8:9], v[68:69], -v[66:67]
	v_add_f64_e32 v[10:11], v[50:51], v[48:49]
	v_add_f64_e32 v[12:13], v[12:13], v[52:53]
	v_fmac_f64_e32 v[54:55], v[4:5], v[72:73]
	v_fma_f64 v[2:3], v[2:3], v[72:73], -v[56:57]
	s_delay_alu instid0(VALU_DEP_4) | instskip(NEXT) | instid1(VALU_DEP_4)
	v_add_f64_e32 v[4:5], v[10:11], v[8:9]
	v_add_f64_e32 v[8:9], v[12:13], v[62:63]
	s_delay_alu instid0(VALU_DEP_2) | instskip(NEXT) | instid1(VALU_DEP_2)
	v_add_f64_e32 v[2:3], v[4:5], v[2:3]
	v_add_f64_e32 v[4:5], v[8:9], v[54:55]
	s_wait_loadcnt 0x0
	s_delay_alu instid0(VALU_DEP_2) | instskip(NEXT) | instid1(VALU_DEP_2)
	v_add_f64_e64 v[2:3], v[84:85], -v[2:3]
	v_add_f64_e64 v[4:5], v[86:87], -v[4:5]
	scratch_store_b128 off, v[2:5], off offset:128
	s_wait_xcnt 0x0
	v_cmpx_lt_u32_e32 7, v1
	s_cbranch_execz .LBB80_101
; %bb.100:
	scratch_load_b128 v[2:5], off, s21
	v_mov_b32_e32 v8, 0
	s_delay_alu instid0(VALU_DEP_1)
	v_dual_mov_b32 v9, v8 :: v_dual_mov_b32 v10, v8
	v_mov_b32_e32 v11, v8
	scratch_store_b128 off, v[8:11], off offset:112
	s_wait_loadcnt 0x0
	ds_store_b128 v6, v[2:5]
.LBB80_101:
	s_wait_xcnt 0x0
	s_or_b32 exec_lo, exec_lo, s2
	s_wait_storecnt_dscnt 0x0
	s_barrier_signal -1
	s_barrier_wait -1
	s_clause 0x8
	scratch_load_b128 v[8:11], off, off offset:128
	scratch_load_b128 v[48:51], off, off offset:144
	;; [unrolled: 1-line block ×9, first 2 shown]
	v_mov_b32_e32 v2, 0
	scratch_load_b128 v[84:87], off, off offset:112
	s_mov_b32 s2, exec_lo
	ds_load_b128 v[80:83], v2 offset:400
	ds_load_b128 v[88:91], v2 offset:416
	s_wait_loadcnt_dscnt 0x901
	v_mul_f64_e32 v[4:5], v[82:83], v[10:11]
	v_mul_f64_e32 v[12:13], v[80:81], v[10:11]
	s_wait_loadcnt_dscnt 0x800
	v_mul_f64_e32 v[92:93], v[88:89], v[50:51]
	v_mul_f64_e32 v[50:51], v[90:91], v[50:51]
	s_delay_alu instid0(VALU_DEP_4) | instskip(NEXT) | instid1(VALU_DEP_4)
	v_fma_f64 v[4:5], v[80:81], v[8:9], -v[4:5]
	v_fmac_f64_e32 v[12:13], v[82:83], v[8:9]
	ds_load_b128 v[8:11], v2 offset:432
	ds_load_b128 v[80:83], v2 offset:448
	v_fmac_f64_e32 v[92:93], v[90:91], v[48:49]
	v_fma_f64 v[48:49], v[88:89], v[48:49], -v[50:51]
	s_wait_loadcnt_dscnt 0x701
	v_mul_f64_e32 v[94:95], v[8:9], v[54:55]
	v_mul_f64_e32 v[54:55], v[10:11], v[54:55]
	s_wait_loadcnt_dscnt 0x600
	v_mul_f64_e32 v[88:89], v[80:81], v[58:59]
	v_mul_f64_e32 v[58:59], v[82:83], v[58:59]
	v_add_f64_e32 v[4:5], 0, v[4:5]
	v_add_f64_e32 v[12:13], 0, v[12:13]
	v_fmac_f64_e32 v[94:95], v[10:11], v[52:53]
	v_fma_f64 v[52:53], v[8:9], v[52:53], -v[54:55]
	v_fmac_f64_e32 v[88:89], v[82:83], v[56:57]
	v_fma_f64 v[56:57], v[80:81], v[56:57], -v[58:59]
	v_add_f64_e32 v[4:5], v[4:5], v[48:49]
	v_add_f64_e32 v[12:13], v[12:13], v[92:93]
	ds_load_b128 v[8:11], v2 offset:464
	ds_load_b128 v[48:51], v2 offset:480
	s_wait_loadcnt_dscnt 0x501
	v_mul_f64_e32 v[90:91], v[8:9], v[62:63]
	v_mul_f64_e32 v[54:55], v[10:11], v[62:63]
	s_wait_loadcnt_dscnt 0x400
	v_mul_f64_e32 v[58:59], v[48:49], v[66:67]
	v_mul_f64_e32 v[62:63], v[50:51], v[66:67]
	v_add_f64_e32 v[4:5], v[4:5], v[52:53]
	v_add_f64_e32 v[12:13], v[12:13], v[94:95]
	v_fmac_f64_e32 v[90:91], v[10:11], v[60:61]
	v_fma_f64 v[60:61], v[8:9], v[60:61], -v[54:55]
	ds_load_b128 v[8:11], v2 offset:496
	ds_load_b128 v[52:55], v2 offset:512
	v_fmac_f64_e32 v[58:59], v[50:51], v[64:65]
	v_fma_f64 v[48:49], v[48:49], v[64:65], -v[62:63]
	v_add_f64_e32 v[4:5], v[4:5], v[56:57]
	v_add_f64_e32 v[12:13], v[12:13], v[88:89]
	s_wait_loadcnt_dscnt 0x301
	v_mul_f64_e32 v[56:57], v[8:9], v[70:71]
	v_mul_f64_e32 v[66:67], v[10:11], v[70:71]
	s_wait_loadcnt_dscnt 0x200
	v_mul_f64_e32 v[50:51], v[52:53], v[74:75]
	v_add_f64_e32 v[4:5], v[4:5], v[60:61]
	v_add_f64_e32 v[12:13], v[12:13], v[90:91]
	v_mul_f64_e32 v[60:61], v[54:55], v[74:75]
	v_fmac_f64_e32 v[56:57], v[10:11], v[68:69]
	v_fma_f64 v[62:63], v[8:9], v[68:69], -v[66:67]
	ds_load_b128 v[8:11], v2 offset:528
	v_fmac_f64_e32 v[50:51], v[54:55], v[72:73]
	v_add_f64_e32 v[4:5], v[4:5], v[48:49]
	v_add_f64_e32 v[12:13], v[12:13], v[58:59]
	s_wait_loadcnt_dscnt 0x100
	v_mul_f64_e32 v[48:49], v[8:9], v[78:79]
	v_mul_f64_e32 v[58:59], v[10:11], v[78:79]
	v_fma_f64 v[52:53], v[52:53], v[72:73], -v[60:61]
	v_add_f64_e32 v[4:5], v[4:5], v[62:63]
	v_add_f64_e32 v[12:13], v[12:13], v[56:57]
	v_fmac_f64_e32 v[48:49], v[10:11], v[76:77]
	v_fma_f64 v[8:9], v[8:9], v[76:77], -v[58:59]
	s_delay_alu instid0(VALU_DEP_4) | instskip(NEXT) | instid1(VALU_DEP_4)
	v_add_f64_e32 v[4:5], v[4:5], v[52:53]
	v_add_f64_e32 v[10:11], v[12:13], v[50:51]
	s_delay_alu instid0(VALU_DEP_2) | instskip(NEXT) | instid1(VALU_DEP_2)
	v_add_f64_e32 v[4:5], v[4:5], v[8:9]
	v_add_f64_e32 v[10:11], v[10:11], v[48:49]
	s_wait_loadcnt 0x0
	s_delay_alu instid0(VALU_DEP_2) | instskip(NEXT) | instid1(VALU_DEP_2)
	v_add_f64_e64 v[8:9], v[84:85], -v[4:5]
	v_add_f64_e64 v[10:11], v[86:87], -v[10:11]
	scratch_store_b128 off, v[8:11], off offset:112
	s_wait_xcnt 0x0
	v_cmpx_lt_u32_e32 6, v1
	s_cbranch_execz .LBB80_103
; %bb.102:
	scratch_load_b128 v[8:11], off, s13
	v_dual_mov_b32 v3, v2 :: v_dual_mov_b32 v4, v2
	v_mov_b32_e32 v5, v2
	scratch_store_b128 off, v[2:5], off offset:96
	s_wait_loadcnt 0x0
	ds_store_b128 v6, v[8:11]
.LBB80_103:
	s_wait_xcnt 0x0
	s_or_b32 exec_lo, exec_lo, s2
	s_wait_storecnt_dscnt 0x0
	s_barrier_signal -1
	s_barrier_wait -1
	s_clause 0x9
	scratch_load_b128 v[8:11], off, off offset:112
	scratch_load_b128 v[48:51], off, off offset:128
	scratch_load_b128 v[52:55], off, off offset:144
	scratch_load_b128 v[56:59], off, off offset:160
	scratch_load_b128 v[60:63], off, off offset:176
	scratch_load_b128 v[64:67], off, off offset:192
	scratch_load_b128 v[68:71], off, off offset:208
	scratch_load_b128 v[72:75], off, off offset:224
	scratch_load_b128 v[76:79], off, off offset:240
	scratch_load_b128 v[80:83], off, off offset:256
	ds_load_b128 v[84:87], v2 offset:384
	ds_load_b128 v[88:91], v2 offset:400
	scratch_load_b128 v[92:95], off, off offset:96
	s_mov_b32 s2, exec_lo
	s_wait_loadcnt_dscnt 0xa01
	v_mul_f64_e32 v[4:5], v[86:87], v[10:11]
	v_mul_f64_e32 v[12:13], v[84:85], v[10:11]
	s_wait_loadcnt_dscnt 0x900
	v_mul_f64_e32 v[96:97], v[88:89], v[50:51]
	v_mul_f64_e32 v[50:51], v[90:91], v[50:51]
	s_delay_alu instid0(VALU_DEP_4) | instskip(NEXT) | instid1(VALU_DEP_4)
	v_fma_f64 v[4:5], v[84:85], v[8:9], -v[4:5]
	v_fmac_f64_e32 v[12:13], v[86:87], v[8:9]
	ds_load_b128 v[8:11], v2 offset:416
	ds_load_b128 v[84:87], v2 offset:432
	v_fmac_f64_e32 v[96:97], v[90:91], v[48:49]
	v_fma_f64 v[48:49], v[88:89], v[48:49], -v[50:51]
	s_wait_loadcnt_dscnt 0x801
	v_mul_f64_e32 v[98:99], v[8:9], v[54:55]
	v_mul_f64_e32 v[54:55], v[10:11], v[54:55]
	s_wait_loadcnt_dscnt 0x700
	v_mul_f64_e32 v[88:89], v[84:85], v[58:59]
	v_mul_f64_e32 v[58:59], v[86:87], v[58:59]
	v_add_f64_e32 v[4:5], 0, v[4:5]
	v_add_f64_e32 v[12:13], 0, v[12:13]
	v_fmac_f64_e32 v[98:99], v[10:11], v[52:53]
	v_fma_f64 v[52:53], v[8:9], v[52:53], -v[54:55]
	v_fmac_f64_e32 v[88:89], v[86:87], v[56:57]
	v_fma_f64 v[56:57], v[84:85], v[56:57], -v[58:59]
	v_add_f64_e32 v[4:5], v[4:5], v[48:49]
	v_add_f64_e32 v[12:13], v[12:13], v[96:97]
	ds_load_b128 v[8:11], v2 offset:448
	ds_load_b128 v[48:51], v2 offset:464
	s_wait_loadcnt_dscnt 0x601
	v_mul_f64_e32 v[90:91], v[8:9], v[62:63]
	v_mul_f64_e32 v[54:55], v[10:11], v[62:63]
	s_wait_loadcnt_dscnt 0x500
	v_mul_f64_e32 v[58:59], v[48:49], v[66:67]
	v_mul_f64_e32 v[62:63], v[50:51], v[66:67]
	v_add_f64_e32 v[4:5], v[4:5], v[52:53]
	v_add_f64_e32 v[12:13], v[12:13], v[98:99]
	v_fmac_f64_e32 v[90:91], v[10:11], v[60:61]
	v_fma_f64 v[60:61], v[8:9], v[60:61], -v[54:55]
	ds_load_b128 v[8:11], v2 offset:480
	ds_load_b128 v[52:55], v2 offset:496
	v_fmac_f64_e32 v[58:59], v[50:51], v[64:65]
	v_fma_f64 v[48:49], v[48:49], v[64:65], -v[62:63]
	v_add_f64_e32 v[4:5], v[4:5], v[56:57]
	v_add_f64_e32 v[12:13], v[12:13], v[88:89]
	s_wait_loadcnt_dscnt 0x401
	v_mul_f64_e32 v[56:57], v[8:9], v[70:71]
	v_mul_f64_e32 v[66:67], v[10:11], v[70:71]
	s_wait_loadcnt_dscnt 0x300
	v_mul_f64_e32 v[50:51], v[52:53], v[74:75]
	v_add_f64_e32 v[4:5], v[4:5], v[60:61]
	v_add_f64_e32 v[12:13], v[12:13], v[90:91]
	v_mul_f64_e32 v[60:61], v[54:55], v[74:75]
	v_fmac_f64_e32 v[56:57], v[10:11], v[68:69]
	v_fma_f64 v[62:63], v[8:9], v[68:69], -v[66:67]
	v_fmac_f64_e32 v[50:51], v[54:55], v[72:73]
	v_add_f64_e32 v[48:49], v[4:5], v[48:49]
	v_add_f64_e32 v[12:13], v[12:13], v[58:59]
	ds_load_b128 v[8:11], v2 offset:512
	ds_load_b128 v[2:5], v2 offset:528
	v_fma_f64 v[52:53], v[52:53], v[72:73], -v[60:61]
	s_wait_loadcnt_dscnt 0x201
	v_mul_f64_e32 v[58:59], v[8:9], v[78:79]
	v_mul_f64_e32 v[64:65], v[10:11], v[78:79]
	s_wait_loadcnt_dscnt 0x100
	v_mul_f64_e32 v[54:55], v[2:3], v[82:83]
	v_add_f64_e32 v[48:49], v[48:49], v[62:63]
	v_add_f64_e32 v[12:13], v[12:13], v[56:57]
	v_mul_f64_e32 v[56:57], v[4:5], v[82:83]
	v_fmac_f64_e32 v[58:59], v[10:11], v[76:77]
	v_fma_f64 v[8:9], v[8:9], v[76:77], -v[64:65]
	v_fmac_f64_e32 v[54:55], v[4:5], v[80:81]
	v_add_f64_e32 v[10:11], v[48:49], v[52:53]
	v_add_f64_e32 v[12:13], v[12:13], v[50:51]
	v_fma_f64 v[2:3], v[2:3], v[80:81], -v[56:57]
	s_delay_alu instid0(VALU_DEP_3) | instskip(NEXT) | instid1(VALU_DEP_3)
	v_add_f64_e32 v[4:5], v[10:11], v[8:9]
	v_add_f64_e32 v[8:9], v[12:13], v[58:59]
	s_delay_alu instid0(VALU_DEP_2) | instskip(NEXT) | instid1(VALU_DEP_2)
	v_add_f64_e32 v[2:3], v[4:5], v[2:3]
	v_add_f64_e32 v[4:5], v[8:9], v[54:55]
	s_wait_loadcnt 0x0
	s_delay_alu instid0(VALU_DEP_2) | instskip(NEXT) | instid1(VALU_DEP_2)
	v_add_f64_e64 v[2:3], v[92:93], -v[2:3]
	v_add_f64_e64 v[4:5], v[94:95], -v[4:5]
	scratch_store_b128 off, v[2:5], off offset:96
	s_wait_xcnt 0x0
	v_cmpx_lt_u32_e32 5, v1
	s_cbranch_execz .LBB80_105
; %bb.104:
	scratch_load_b128 v[2:5], off, s20
	v_mov_b32_e32 v8, 0
	s_delay_alu instid0(VALU_DEP_1)
	v_dual_mov_b32 v9, v8 :: v_dual_mov_b32 v10, v8
	v_mov_b32_e32 v11, v8
	scratch_store_b128 off, v[8:11], off offset:80
	s_wait_loadcnt 0x0
	ds_store_b128 v6, v[2:5]
.LBB80_105:
	s_wait_xcnt 0x0
	s_or_b32 exec_lo, exec_lo, s2
	s_wait_storecnt_dscnt 0x0
	s_barrier_signal -1
	s_barrier_wait -1
	s_clause 0x9
	scratch_load_b128 v[8:11], off, off offset:96
	scratch_load_b128 v[48:51], off, off offset:112
	;; [unrolled: 1-line block ×10, first 2 shown]
	v_mov_b32_e32 v2, 0
	s_mov_b32 s2, exec_lo
	ds_load_b128 v[84:87], v2 offset:368
	s_clause 0x1
	scratch_load_b128 v[88:91], off, off offset:256
	scratch_load_b128 v[92:95], off, off offset:80
	s_wait_loadcnt_dscnt 0xb00
	v_mul_f64_e32 v[4:5], v[86:87], v[10:11]
	v_mul_f64_e32 v[12:13], v[84:85], v[10:11]
	ds_load_b128 v[96:99], v2 offset:384
	s_wait_loadcnt_dscnt 0xa00
	v_mul_f64_e32 v[100:101], v[96:97], v[50:51]
	v_mul_f64_e32 v[50:51], v[98:99], v[50:51]
	v_fma_f64 v[4:5], v[84:85], v[8:9], -v[4:5]
	v_fmac_f64_e32 v[12:13], v[86:87], v[8:9]
	ds_load_b128 v[8:11], v2 offset:400
	ds_load_b128 v[84:87], v2 offset:416
	s_wait_loadcnt_dscnt 0x901
	v_mul_f64_e32 v[102:103], v[8:9], v[54:55]
	v_mul_f64_e32 v[54:55], v[10:11], v[54:55]
	v_fmac_f64_e32 v[100:101], v[98:99], v[48:49]
	v_fma_f64 v[48:49], v[96:97], v[48:49], -v[50:51]
	s_wait_loadcnt_dscnt 0x800
	v_mul_f64_e32 v[96:97], v[84:85], v[58:59]
	v_mul_f64_e32 v[58:59], v[86:87], v[58:59]
	v_add_f64_e32 v[4:5], 0, v[4:5]
	v_add_f64_e32 v[12:13], 0, v[12:13]
	v_fmac_f64_e32 v[102:103], v[10:11], v[52:53]
	v_fma_f64 v[52:53], v[8:9], v[52:53], -v[54:55]
	v_fmac_f64_e32 v[96:97], v[86:87], v[56:57]
	v_fma_f64 v[56:57], v[84:85], v[56:57], -v[58:59]
	v_add_f64_e32 v[4:5], v[4:5], v[48:49]
	v_add_f64_e32 v[12:13], v[12:13], v[100:101]
	ds_load_b128 v[8:11], v2 offset:432
	ds_load_b128 v[48:51], v2 offset:448
	s_wait_loadcnt_dscnt 0x701
	v_mul_f64_e32 v[98:99], v[8:9], v[62:63]
	v_mul_f64_e32 v[54:55], v[10:11], v[62:63]
	s_wait_loadcnt_dscnt 0x600
	v_mul_f64_e32 v[58:59], v[48:49], v[66:67]
	v_mul_f64_e32 v[62:63], v[50:51], v[66:67]
	v_add_f64_e32 v[4:5], v[4:5], v[52:53]
	v_add_f64_e32 v[12:13], v[12:13], v[102:103]
	v_fmac_f64_e32 v[98:99], v[10:11], v[60:61]
	v_fma_f64 v[60:61], v[8:9], v[60:61], -v[54:55]
	ds_load_b128 v[8:11], v2 offset:464
	ds_load_b128 v[52:55], v2 offset:480
	v_fmac_f64_e32 v[58:59], v[50:51], v[64:65]
	v_fma_f64 v[48:49], v[48:49], v[64:65], -v[62:63]
	v_add_f64_e32 v[4:5], v[4:5], v[56:57]
	v_add_f64_e32 v[12:13], v[12:13], v[96:97]
	s_wait_loadcnt_dscnt 0x501
	v_mul_f64_e32 v[56:57], v[8:9], v[70:71]
	v_mul_f64_e32 v[66:67], v[10:11], v[70:71]
	s_wait_loadcnt_dscnt 0x400
	v_mul_f64_e32 v[62:63], v[54:55], v[74:75]
	v_add_f64_e32 v[4:5], v[4:5], v[60:61]
	v_add_f64_e32 v[12:13], v[12:13], v[98:99]
	v_mul_f64_e32 v[60:61], v[52:53], v[74:75]
	v_fmac_f64_e32 v[56:57], v[10:11], v[68:69]
	v_fma_f64 v[64:65], v[8:9], v[68:69], -v[66:67]
	v_fma_f64 v[52:53], v[52:53], v[72:73], -v[62:63]
	v_add_f64_e32 v[4:5], v[4:5], v[48:49]
	v_add_f64_e32 v[12:13], v[12:13], v[58:59]
	ds_load_b128 v[8:11], v2 offset:496
	ds_load_b128 v[48:51], v2 offset:512
	v_fmac_f64_e32 v[60:61], v[54:55], v[72:73]
	s_wait_loadcnt_dscnt 0x301
	v_mul_f64_e32 v[58:59], v[8:9], v[78:79]
	v_mul_f64_e32 v[66:67], v[10:11], v[78:79]
	s_wait_loadcnt_dscnt 0x200
	v_mul_f64_e32 v[54:55], v[48:49], v[82:83]
	v_add_f64_e32 v[4:5], v[4:5], v[64:65]
	v_add_f64_e32 v[12:13], v[12:13], v[56:57]
	v_mul_f64_e32 v[56:57], v[50:51], v[82:83]
	v_fmac_f64_e32 v[58:59], v[10:11], v[76:77]
	v_fma_f64 v[62:63], v[8:9], v[76:77], -v[66:67]
	ds_load_b128 v[8:11], v2 offset:528
	v_fmac_f64_e32 v[54:55], v[50:51], v[80:81]
	v_add_f64_e32 v[4:5], v[4:5], v[52:53]
	v_add_f64_e32 v[12:13], v[12:13], v[60:61]
	v_fma_f64 v[48:49], v[48:49], v[80:81], -v[56:57]
	s_wait_loadcnt_dscnt 0x100
	v_mul_f64_e32 v[52:53], v[8:9], v[90:91]
	v_mul_f64_e32 v[60:61], v[10:11], v[90:91]
	v_add_f64_e32 v[4:5], v[4:5], v[62:63]
	v_add_f64_e32 v[12:13], v[12:13], v[58:59]
	s_delay_alu instid0(VALU_DEP_4) | instskip(NEXT) | instid1(VALU_DEP_4)
	v_fmac_f64_e32 v[52:53], v[10:11], v[88:89]
	v_fma_f64 v[8:9], v[8:9], v[88:89], -v[60:61]
	s_delay_alu instid0(VALU_DEP_4) | instskip(NEXT) | instid1(VALU_DEP_4)
	v_add_f64_e32 v[4:5], v[4:5], v[48:49]
	v_add_f64_e32 v[10:11], v[12:13], v[54:55]
	s_delay_alu instid0(VALU_DEP_2) | instskip(NEXT) | instid1(VALU_DEP_2)
	v_add_f64_e32 v[4:5], v[4:5], v[8:9]
	v_add_f64_e32 v[10:11], v[10:11], v[52:53]
	s_wait_loadcnt 0x0
	s_delay_alu instid0(VALU_DEP_2) | instskip(NEXT) | instid1(VALU_DEP_2)
	v_add_f64_e64 v[8:9], v[92:93], -v[4:5]
	v_add_f64_e64 v[10:11], v[94:95], -v[10:11]
	scratch_store_b128 off, v[8:11], off offset:80
	s_wait_xcnt 0x0
	v_cmpx_lt_u32_e32 4, v1
	s_cbranch_execz .LBB80_107
; %bb.106:
	scratch_load_b128 v[8:11], off, s12
	v_dual_mov_b32 v3, v2 :: v_dual_mov_b32 v4, v2
	v_mov_b32_e32 v5, v2
	scratch_store_b128 off, v[2:5], off offset:64
	s_wait_loadcnt 0x0
	ds_store_b128 v6, v[8:11]
.LBB80_107:
	s_wait_xcnt 0x0
	s_or_b32 exec_lo, exec_lo, s2
	s_wait_storecnt_dscnt 0x0
	s_barrier_signal -1
	s_barrier_wait -1
	s_clause 0x9
	scratch_load_b128 v[8:11], off, off offset:80
	scratch_load_b128 v[48:51], off, off offset:96
	;; [unrolled: 1-line block ×10, first 2 shown]
	ds_load_b128 v[84:87], v2 offset:352
	ds_load_b128 v[92:95], v2 offset:368
	s_clause 0x1
	scratch_load_b128 v[88:91], off, off offset:240
	scratch_load_b128 v[96:99], off, off offset:64
	s_mov_b32 s2, exec_lo
	s_wait_loadcnt_dscnt 0xb01
	v_mul_f64_e32 v[4:5], v[86:87], v[10:11]
	v_mul_f64_e32 v[104:105], v[84:85], v[10:11]
	scratch_load_b128 v[10:13], off, off offset:256
	s_wait_loadcnt_dscnt 0xb00
	v_mul_f64_e32 v[106:107], v[92:93], v[50:51]
	v_mul_f64_e32 v[50:51], v[94:95], v[50:51]
	v_fma_f64 v[4:5], v[84:85], v[8:9], -v[4:5]
	v_fmac_f64_e32 v[104:105], v[86:87], v[8:9]
	ds_load_b128 v[84:87], v2 offset:384
	ds_load_b128 v[100:103], v2 offset:400
	v_fmac_f64_e32 v[106:107], v[94:95], v[48:49]
	v_fma_f64 v[48:49], v[92:93], v[48:49], -v[50:51]
	s_wait_loadcnt_dscnt 0xa01
	v_mul_f64_e32 v[8:9], v[84:85], v[54:55]
	v_mul_f64_e32 v[54:55], v[86:87], v[54:55]
	s_wait_loadcnt_dscnt 0x900
	v_mul_f64_e32 v[92:93], v[100:101], v[58:59]
	v_mul_f64_e32 v[58:59], v[102:103], v[58:59]
	v_add_f64_e32 v[4:5], 0, v[4:5]
	v_add_f64_e32 v[50:51], 0, v[104:105]
	v_fmac_f64_e32 v[8:9], v[86:87], v[52:53]
	v_fma_f64 v[84:85], v[84:85], v[52:53], -v[54:55]
	v_fmac_f64_e32 v[92:93], v[102:103], v[56:57]
	v_fma_f64 v[56:57], v[100:101], v[56:57], -v[58:59]
	v_add_f64_e32 v[4:5], v[4:5], v[48:49]
	v_add_f64_e32 v[86:87], v[50:51], v[106:107]
	ds_load_b128 v[48:51], v2 offset:416
	ds_load_b128 v[52:55], v2 offset:432
	s_wait_loadcnt_dscnt 0x801
	v_mul_f64_e32 v[94:95], v[48:49], v[62:63]
	v_mul_f64_e32 v[62:63], v[50:51], v[62:63]
	v_add_f64_e32 v[4:5], v[4:5], v[84:85]
	v_add_f64_e32 v[8:9], v[86:87], v[8:9]
	s_wait_loadcnt_dscnt 0x700
	v_mul_f64_e32 v[84:85], v[52:53], v[66:67]
	v_mul_f64_e32 v[66:67], v[54:55], v[66:67]
	v_fmac_f64_e32 v[94:95], v[50:51], v[60:61]
	v_fma_f64 v[60:61], v[48:49], v[60:61], -v[62:63]
	v_add_f64_e32 v[4:5], v[4:5], v[56:57]
	v_add_f64_e32 v[8:9], v[8:9], v[92:93]
	ds_load_b128 v[48:51], v2 offset:448
	ds_load_b128 v[56:59], v2 offset:464
	v_fmac_f64_e32 v[84:85], v[54:55], v[64:65]
	v_fma_f64 v[52:53], v[52:53], v[64:65], -v[66:67]
	s_wait_loadcnt_dscnt 0x601
	v_mul_f64_e32 v[62:63], v[48:49], v[70:71]
	v_mul_f64_e32 v[70:71], v[50:51], v[70:71]
	s_wait_loadcnt_dscnt 0x500
	v_mul_f64_e32 v[64:65], v[58:59], v[74:75]
	v_add_f64_e32 v[4:5], v[4:5], v[60:61]
	v_add_f64_e32 v[8:9], v[8:9], v[94:95]
	v_mul_f64_e32 v[60:61], v[56:57], v[74:75]
	v_fmac_f64_e32 v[62:63], v[50:51], v[68:69]
	v_fma_f64 v[66:67], v[48:49], v[68:69], -v[70:71]
	v_fma_f64 v[56:57], v[56:57], v[72:73], -v[64:65]
	v_add_f64_e32 v[4:5], v[4:5], v[52:53]
	v_add_f64_e32 v[8:9], v[8:9], v[84:85]
	ds_load_b128 v[48:51], v2 offset:480
	ds_load_b128 v[52:55], v2 offset:496
	v_fmac_f64_e32 v[60:61], v[58:59], v[72:73]
	s_wait_loadcnt_dscnt 0x401
	v_mul_f64_e32 v[68:69], v[48:49], v[78:79]
	v_mul_f64_e32 v[70:71], v[50:51], v[78:79]
	s_wait_loadcnt_dscnt 0x300
	v_mul_f64_e32 v[58:59], v[52:53], v[82:83]
	v_add_f64_e32 v[4:5], v[4:5], v[66:67]
	v_add_f64_e32 v[8:9], v[8:9], v[62:63]
	v_mul_f64_e32 v[62:63], v[54:55], v[82:83]
	v_fmac_f64_e32 v[68:69], v[50:51], v[76:77]
	v_fma_f64 v[64:65], v[48:49], v[76:77], -v[70:71]
	v_fmac_f64_e32 v[58:59], v[54:55], v[80:81]
	v_add_f64_e32 v[56:57], v[4:5], v[56:57]
	v_add_f64_e32 v[8:9], v[8:9], v[60:61]
	ds_load_b128 v[48:51], v2 offset:512
	ds_load_b128 v[2:5], v2 offset:528
	v_fma_f64 v[52:53], v[52:53], v[80:81], -v[62:63]
	s_wait_loadcnt_dscnt 0x201
	v_mul_f64_e32 v[60:61], v[48:49], v[90:91]
	v_mul_f64_e32 v[66:67], v[50:51], v[90:91]
	v_add_f64_e32 v[54:55], v[56:57], v[64:65]
	v_add_f64_e32 v[8:9], v[8:9], v[68:69]
	s_wait_loadcnt_dscnt 0x0
	v_mul_f64_e32 v[56:57], v[2:3], v[12:13]
	v_mul_f64_e32 v[12:13], v[4:5], v[12:13]
	v_fmac_f64_e32 v[60:61], v[50:51], v[88:89]
	v_fma_f64 v[48:49], v[48:49], v[88:89], -v[66:67]
	v_add_f64_e32 v[50:51], v[54:55], v[52:53]
	v_add_f64_e32 v[8:9], v[8:9], v[58:59]
	v_fmac_f64_e32 v[56:57], v[4:5], v[10:11]
	v_fma_f64 v[2:3], v[2:3], v[10:11], -v[12:13]
	s_delay_alu instid0(VALU_DEP_4) | instskip(NEXT) | instid1(VALU_DEP_4)
	v_add_f64_e32 v[4:5], v[50:51], v[48:49]
	v_add_f64_e32 v[8:9], v[8:9], v[60:61]
	s_delay_alu instid0(VALU_DEP_2) | instskip(NEXT) | instid1(VALU_DEP_2)
	v_add_f64_e32 v[2:3], v[4:5], v[2:3]
	v_add_f64_e32 v[4:5], v[8:9], v[56:57]
	s_delay_alu instid0(VALU_DEP_2) | instskip(NEXT) | instid1(VALU_DEP_2)
	v_add_f64_e64 v[2:3], v[96:97], -v[2:3]
	v_add_f64_e64 v[4:5], v[98:99], -v[4:5]
	scratch_store_b128 off, v[2:5], off offset:64
	s_wait_xcnt 0x0
	v_cmpx_lt_u32_e32 3, v1
	s_cbranch_execz .LBB80_109
; %bb.108:
	scratch_load_b128 v[2:5], off, s19
	v_mov_b32_e32 v8, 0
	s_delay_alu instid0(VALU_DEP_1)
	v_dual_mov_b32 v9, v8 :: v_dual_mov_b32 v10, v8
	v_mov_b32_e32 v11, v8
	scratch_store_b128 off, v[8:11], off offset:48
	s_wait_loadcnt 0x0
	ds_store_b128 v6, v[2:5]
.LBB80_109:
	s_wait_xcnt 0x0
	s_or_b32 exec_lo, exec_lo, s2
	s_wait_storecnt_dscnt 0x0
	s_barrier_signal -1
	s_barrier_wait -1
	s_clause 0x9
	scratch_load_b128 v[8:11], off, off offset:64
	scratch_load_b128 v[48:51], off, off offset:80
	;; [unrolled: 1-line block ×10, first 2 shown]
	v_mov_b32_e32 v2, 0
	s_mov_b32 s2, exec_lo
	ds_load_b128 v[84:87], v2 offset:336
	s_clause 0x2
	scratch_load_b128 v[88:91], off, off offset:224
	scratch_load_b128 v[92:95], off, off offset:48
	;; [unrolled: 1-line block ×3, first 2 shown]
	s_wait_loadcnt_dscnt 0xc00
	v_mul_f64_e32 v[4:5], v[86:87], v[10:11]
	v_mul_f64_e32 v[108:109], v[84:85], v[10:11]
	ds_load_b128 v[96:99], v2 offset:352
	scratch_load_b128 v[10:13], off, off offset:240
	ds_load_b128 v[104:107], v2 offset:384
	v_fma_f64 v[4:5], v[84:85], v[8:9], -v[4:5]
	v_fmac_f64_e32 v[108:109], v[86:87], v[8:9]
	ds_load_b128 v[84:87], v2 offset:368
	s_wait_loadcnt_dscnt 0xc02
	v_mul_f64_e32 v[110:111], v[96:97], v[50:51]
	v_mul_f64_e32 v[50:51], v[98:99], v[50:51]
	s_wait_loadcnt_dscnt 0xb00
	v_mul_f64_e32 v[8:9], v[84:85], v[54:55]
	v_mul_f64_e32 v[54:55], v[86:87], v[54:55]
	v_add_f64_e32 v[4:5], 0, v[4:5]
	v_fmac_f64_e32 v[110:111], v[98:99], v[48:49]
	v_fma_f64 v[48:49], v[96:97], v[48:49], -v[50:51]
	v_add_f64_e32 v[50:51], 0, v[108:109]
	s_wait_loadcnt 0xa
	v_mul_f64_e32 v[96:97], v[104:105], v[58:59]
	v_mul_f64_e32 v[58:59], v[106:107], v[58:59]
	v_fmac_f64_e32 v[8:9], v[86:87], v[52:53]
	v_fma_f64 v[84:85], v[84:85], v[52:53], -v[54:55]
	v_add_f64_e32 v[4:5], v[4:5], v[48:49]
	v_add_f64_e32 v[86:87], v[50:51], v[110:111]
	ds_load_b128 v[48:51], v2 offset:400
	ds_load_b128 v[52:55], v2 offset:416
	v_fmac_f64_e32 v[96:97], v[106:107], v[56:57]
	v_fma_f64 v[56:57], v[104:105], v[56:57], -v[58:59]
	s_wait_loadcnt_dscnt 0x901
	v_mul_f64_e32 v[98:99], v[48:49], v[62:63]
	v_mul_f64_e32 v[62:63], v[50:51], v[62:63]
	v_add_f64_e32 v[4:5], v[4:5], v[84:85]
	v_add_f64_e32 v[8:9], v[86:87], v[8:9]
	s_wait_loadcnt_dscnt 0x800
	v_mul_f64_e32 v[84:85], v[52:53], v[66:67]
	v_mul_f64_e32 v[66:67], v[54:55], v[66:67]
	v_fmac_f64_e32 v[98:99], v[50:51], v[60:61]
	v_fma_f64 v[60:61], v[48:49], v[60:61], -v[62:63]
	v_add_f64_e32 v[4:5], v[4:5], v[56:57]
	v_add_f64_e32 v[8:9], v[8:9], v[96:97]
	ds_load_b128 v[48:51], v2 offset:432
	ds_load_b128 v[56:59], v2 offset:448
	v_fmac_f64_e32 v[84:85], v[54:55], v[64:65]
	v_fma_f64 v[52:53], v[52:53], v[64:65], -v[66:67]
	s_wait_loadcnt_dscnt 0x701
	v_mul_f64_e32 v[62:63], v[48:49], v[70:71]
	v_mul_f64_e32 v[70:71], v[50:51], v[70:71]
	s_wait_loadcnt_dscnt 0x600
	v_mul_f64_e32 v[64:65], v[58:59], v[74:75]
	v_add_f64_e32 v[4:5], v[4:5], v[60:61]
	v_add_f64_e32 v[8:9], v[8:9], v[98:99]
	v_mul_f64_e32 v[60:61], v[56:57], v[74:75]
	v_fmac_f64_e32 v[62:63], v[50:51], v[68:69]
	v_fma_f64 v[66:67], v[48:49], v[68:69], -v[70:71]
	v_fma_f64 v[56:57], v[56:57], v[72:73], -v[64:65]
	v_add_f64_e32 v[4:5], v[4:5], v[52:53]
	v_add_f64_e32 v[8:9], v[8:9], v[84:85]
	ds_load_b128 v[48:51], v2 offset:464
	ds_load_b128 v[52:55], v2 offset:480
	v_fmac_f64_e32 v[60:61], v[58:59], v[72:73]
	s_wait_loadcnt_dscnt 0x501
	v_mul_f64_e32 v[68:69], v[48:49], v[78:79]
	v_mul_f64_e32 v[70:71], v[50:51], v[78:79]
	s_wait_loadcnt_dscnt 0x400
	v_mul_f64_e32 v[64:65], v[54:55], v[82:83]
	v_add_f64_e32 v[4:5], v[4:5], v[66:67]
	v_add_f64_e32 v[8:9], v[8:9], v[62:63]
	v_mul_f64_e32 v[62:63], v[52:53], v[82:83]
	v_fmac_f64_e32 v[68:69], v[50:51], v[76:77]
	v_fma_f64 v[66:67], v[48:49], v[76:77], -v[70:71]
	v_fma_f64 v[52:53], v[52:53], v[80:81], -v[64:65]
	v_add_f64_e32 v[4:5], v[4:5], v[56:57]
	v_add_f64_e32 v[8:9], v[8:9], v[60:61]
	ds_load_b128 v[48:51], v2 offset:496
	ds_load_b128 v[56:59], v2 offset:512
	v_fmac_f64_e32 v[62:63], v[54:55], v[80:81]
	s_wait_loadcnt_dscnt 0x301
	v_mul_f64_e32 v[60:61], v[48:49], v[90:91]
	v_mul_f64_e32 v[70:71], v[50:51], v[90:91]
	s_wait_loadcnt_dscnt 0x0
	v_mul_f64_e32 v[54:55], v[56:57], v[12:13]
	v_add_f64_e32 v[4:5], v[4:5], v[66:67]
	v_add_f64_e32 v[8:9], v[8:9], v[68:69]
	v_mul_f64_e32 v[12:13], v[58:59], v[12:13]
	v_fmac_f64_e32 v[60:61], v[50:51], v[88:89]
	v_fma_f64 v[64:65], v[48:49], v[88:89], -v[70:71]
	ds_load_b128 v[48:51], v2 offset:528
	v_fmac_f64_e32 v[54:55], v[58:59], v[10:11]
	v_add_f64_e32 v[4:5], v[4:5], v[52:53]
	v_add_f64_e32 v[8:9], v[8:9], v[62:63]
	v_fma_f64 v[10:11], v[56:57], v[10:11], -v[12:13]
	s_wait_dscnt 0x0
	v_mul_f64_e32 v[52:53], v[48:49], v[102:103]
	v_mul_f64_e32 v[62:63], v[50:51], v[102:103]
	v_add_f64_e32 v[4:5], v[4:5], v[64:65]
	v_add_f64_e32 v[8:9], v[8:9], v[60:61]
	s_delay_alu instid0(VALU_DEP_4) | instskip(NEXT) | instid1(VALU_DEP_4)
	v_fmac_f64_e32 v[52:53], v[50:51], v[100:101]
	v_fma_f64 v[12:13], v[48:49], v[100:101], -v[62:63]
	s_delay_alu instid0(VALU_DEP_4) | instskip(NEXT) | instid1(VALU_DEP_4)
	v_add_f64_e32 v[4:5], v[4:5], v[10:11]
	v_add_f64_e32 v[8:9], v[8:9], v[54:55]
	s_delay_alu instid0(VALU_DEP_2) | instskip(NEXT) | instid1(VALU_DEP_2)
	v_add_f64_e32 v[4:5], v[4:5], v[12:13]
	v_add_f64_e32 v[10:11], v[8:9], v[52:53]
	s_delay_alu instid0(VALU_DEP_2) | instskip(NEXT) | instid1(VALU_DEP_2)
	v_add_f64_e64 v[8:9], v[92:93], -v[4:5]
	v_add_f64_e64 v[10:11], v[94:95], -v[10:11]
	scratch_store_b128 off, v[8:11], off offset:48
	s_wait_xcnt 0x0
	v_cmpx_lt_u32_e32 2, v1
	s_cbranch_execz .LBB80_111
; %bb.110:
	scratch_load_b128 v[8:11], off, s26
	v_dual_mov_b32 v3, v2 :: v_dual_mov_b32 v4, v2
	v_mov_b32_e32 v5, v2
	scratch_store_b128 off, v[2:5], off offset:32
	s_wait_loadcnt 0x0
	ds_store_b128 v6, v[8:11]
.LBB80_111:
	s_wait_xcnt 0x0
	s_or_b32 exec_lo, exec_lo, s2
	s_wait_storecnt_dscnt 0x0
	s_barrier_signal -1
	s_barrier_wait -1
	s_clause 0x9
	scratch_load_b128 v[8:11], off, off offset:48
	scratch_load_b128 v[48:51], off, off offset:64
	;; [unrolled: 1-line block ×10, first 2 shown]
	ds_load_b128 v[84:87], v2 offset:320
	ds_load_b128 v[92:95], v2 offset:336
	s_clause 0x1
	scratch_load_b128 v[88:91], off, off offset:208
	scratch_load_b128 v[96:99], off, off offset:32
	s_mov_b32 s2, exec_lo
	v_ashrrev_i32_e32 v21, 31, v20
	v_ashrrev_i32_e32 v25, 31, v24
	;; [unrolled: 1-line block ×3, first 2 shown]
	v_dual_ashrrev_i32 v33, 31, v32 :: v_dual_ashrrev_i32 v19, 31, v18
	v_dual_ashrrev_i32 v23, 31, v22 :: v_dual_ashrrev_i32 v37, 31, v36
	v_ashrrev_i32_e32 v41, 31, v40
	v_dual_ashrrev_i32 v45, 31, v44 :: v_dual_ashrrev_i32 v27, 31, v26
	v_ashrrev_i32_e32 v31, 31, v30
	v_ashrrev_i32_e32 v35, 31, v34
	;; [unrolled: 1-line block ×5, first 2 shown]
	s_wait_loadcnt_dscnt 0xb01
	v_mul_f64_e32 v[4:5], v[86:87], v[10:11]
	v_mul_f64_e32 v[104:105], v[84:85], v[10:11]
	s_wait_loadcnt_dscnt 0xa00
	v_mul_f64_e32 v[106:107], v[92:93], v[50:51]
	v_mul_f64_e32 v[50:51], v[94:95], v[50:51]
	scratch_load_b128 v[10:13], off, off offset:224
	v_fma_f64 v[4:5], v[84:85], v[8:9], -v[4:5]
	v_fmac_f64_e32 v[104:105], v[86:87], v[8:9]
	ds_load_b128 v[84:87], v2 offset:352
	ds_load_b128 v[100:103], v2 offset:368
	v_fmac_f64_e32 v[106:107], v[94:95], v[48:49]
	v_fma_f64 v[108:109], v[92:93], v[48:49], -v[50:51]
	s_clause 0x1
	scratch_load_b128 v[48:51], off, off offset:240
	scratch_load_b128 v[92:95], off, off offset:256
	s_wait_loadcnt_dscnt 0xc01
	v_mul_f64_e32 v[8:9], v[84:85], v[54:55]
	v_mul_f64_e32 v[54:55], v[86:87], v[54:55]
	s_wait_loadcnt_dscnt 0xb00
	v_mul_f64_e32 v[112:113], v[100:101], v[58:59]
	v_mul_f64_e32 v[58:59], v[102:103], v[58:59]
	v_add_f64_e32 v[4:5], 0, v[4:5]
	v_add_f64_e32 v[104:105], 0, v[104:105]
	v_fmac_f64_e32 v[8:9], v[86:87], v[52:53]
	v_fma_f64 v[110:111], v[84:85], v[52:53], -v[54:55]
	ds_load_b128 v[52:55], v2 offset:384
	ds_load_b128 v[84:87], v2 offset:400
	v_fmac_f64_e32 v[112:113], v[102:103], v[56:57]
	v_fma_f64 v[56:57], v[100:101], v[56:57], -v[58:59]
	v_add_f64_e32 v[4:5], v[4:5], v[108:109]
	v_add_f64_e32 v[104:105], v[104:105], v[106:107]
	s_wait_loadcnt_dscnt 0xa01
	v_mul_f64_e32 v[100:101], v[52:53], v[62:63]
	v_mul_f64_e32 v[58:59], v[54:55], v[62:63]
	s_wait_loadcnt_dscnt 0x900
	v_mul_f64_e32 v[62:63], v[84:85], v[66:67]
	v_mul_f64_e32 v[66:67], v[86:87], v[66:67]
	v_add_f64_e32 v[4:5], v[4:5], v[110:111]
	v_add_f64_e32 v[8:9], v[104:105], v[8:9]
	v_fmac_f64_e32 v[100:101], v[54:55], v[60:61]
	v_fma_f64 v[60:61], v[52:53], v[60:61], -v[58:59]
	v_fmac_f64_e32 v[62:63], v[86:87], v[64:65]
	v_fma_f64 v[64:65], v[84:85], v[64:65], -v[66:67]
	v_add_f64_e32 v[4:5], v[4:5], v[56:57]
	v_add_f64_e32 v[8:9], v[8:9], v[112:113]
	ds_load_b128 v[52:55], v2 offset:416
	ds_load_b128 v[56:59], v2 offset:432
	s_wait_loadcnt_dscnt 0x801
	v_mul_f64_e32 v[102:103], v[52:53], v[70:71]
	v_mul_f64_e32 v[70:71], v[54:55], v[70:71]
	s_wait_loadcnt_dscnt 0x700
	v_mul_f64_e32 v[66:67], v[56:57], v[74:75]
	v_mul_f64_e32 v[74:75], v[58:59], v[74:75]
	v_add_f64_e32 v[4:5], v[4:5], v[60:61]
	v_add_f64_e32 v[8:9], v[8:9], v[100:101]
	v_fmac_f64_e32 v[102:103], v[54:55], v[68:69]
	v_fma_f64 v[68:69], v[52:53], v[68:69], -v[70:71]
	v_fmac_f64_e32 v[66:67], v[58:59], v[72:73]
	v_fma_f64 v[56:57], v[56:57], v[72:73], -v[74:75]
	v_add_f64_e32 v[4:5], v[4:5], v[64:65]
	v_add_f64_e32 v[8:9], v[8:9], v[62:63]
	ds_load_b128 v[52:55], v2 offset:448
	ds_load_b128 v[60:63], v2 offset:464
	s_wait_loadcnt_dscnt 0x601
	v_mul_f64_e32 v[64:65], v[52:53], v[78:79]
	v_mul_f64_e32 v[70:71], v[54:55], v[78:79]
	s_wait_loadcnt_dscnt 0x500
	v_mul_f64_e32 v[72:73], v[62:63], v[82:83]
	v_add_f64_e32 v[4:5], v[4:5], v[68:69]
	v_add_f64_e32 v[8:9], v[8:9], v[102:103]
	v_mul_f64_e32 v[68:69], v[60:61], v[82:83]
	v_fmac_f64_e32 v[64:65], v[54:55], v[76:77]
	v_fma_f64 v[70:71], v[52:53], v[76:77], -v[70:71]
	v_fma_f64 v[60:61], v[60:61], v[80:81], -v[72:73]
	v_add_f64_e32 v[4:5], v[4:5], v[56:57]
	v_add_f64_e32 v[8:9], v[8:9], v[66:67]
	ds_load_b128 v[52:55], v2 offset:480
	ds_load_b128 v[56:59], v2 offset:496
	v_fmac_f64_e32 v[68:69], v[62:63], v[80:81]
	s_wait_loadcnt_dscnt 0x401
	v_mul_f64_e32 v[66:67], v[52:53], v[90:91]
	v_mul_f64_e32 v[74:75], v[54:55], v[90:91]
	v_add_f64_e32 v[4:5], v[4:5], v[70:71]
	v_add_f64_e32 v[8:9], v[8:9], v[64:65]
	s_wait_loadcnt_dscnt 0x200
	v_mul_f64_e32 v[62:63], v[56:57], v[12:13]
	v_mul_f64_e32 v[12:13], v[58:59], v[12:13]
	v_fmac_f64_e32 v[66:67], v[54:55], v[88:89]
	v_fma_f64 v[64:65], v[52:53], v[88:89], -v[74:75]
	v_add_f64_e32 v[60:61], v[4:5], v[60:61]
	v_add_f64_e32 v[8:9], v[8:9], v[68:69]
	ds_load_b128 v[52:55], v2 offset:512
	ds_load_b128 v[2:5], v2 offset:528
	v_fmac_f64_e32 v[62:63], v[58:59], v[10:11]
	v_fma_f64 v[10:11], v[56:57], v[10:11], -v[12:13]
	s_wait_loadcnt_dscnt 0x101
	v_mul_f64_e32 v[68:69], v[52:53], v[50:51]
	v_mul_f64_e32 v[50:51], v[54:55], v[50:51]
	s_wait_loadcnt_dscnt 0x0
	v_mul_f64_e32 v[56:57], v[2:3], v[94:95]
	v_mul_f64_e32 v[58:59], v[4:5], v[94:95]
	v_add_f64_e32 v[12:13], v[60:61], v[64:65]
	v_add_f64_e32 v[8:9], v[8:9], v[66:67]
	v_fmac_f64_e32 v[68:69], v[54:55], v[48:49]
	v_fma_f64 v[48:49], v[52:53], v[48:49], -v[50:51]
	v_fmac_f64_e32 v[56:57], v[4:5], v[92:93]
	v_fma_f64 v[2:3], v[2:3], v[92:93], -v[58:59]
	v_add_f64_e32 v[10:11], v[12:13], v[10:11]
	v_add_f64_e32 v[8:9], v[8:9], v[62:63]
	s_delay_alu instid0(VALU_DEP_2) | instskip(NEXT) | instid1(VALU_DEP_2)
	v_add_f64_e32 v[4:5], v[10:11], v[48:49]
	v_add_f64_e32 v[8:9], v[8:9], v[68:69]
	s_delay_alu instid0(VALU_DEP_2) | instskip(NEXT) | instid1(VALU_DEP_2)
	;; [unrolled: 3-line block ×3, first 2 shown]
	v_add_f64_e64 v[2:3], v[96:97], -v[2:3]
	v_add_f64_e64 v[4:5], v[98:99], -v[4:5]
	scratch_store_b128 off, v[2:5], off offset:32
	s_wait_xcnt 0x0
	v_cmpx_lt_u32_e32 1, v1
	s_cbranch_execz .LBB80_113
; %bb.112:
	scratch_load_b128 v[2:5], off, s27
	v_mov_b32_e32 v8, 0
	s_delay_alu instid0(VALU_DEP_1)
	v_dual_mov_b32 v9, v8 :: v_dual_mov_b32 v10, v8
	v_mov_b32_e32 v11, v8
	scratch_store_b128 off, v[8:11], off offset:16
	s_wait_loadcnt 0x0
	ds_store_b128 v6, v[2:5]
.LBB80_113:
	s_wait_xcnt 0x0
	s_or_b32 exec_lo, exec_lo, s2
	s_wait_storecnt_dscnt 0x0
	s_barrier_signal -1
	s_barrier_wait -1
	s_clause 0x9
	scratch_load_b128 v[8:11], off, off offset:32
	scratch_load_b128 v[48:51], off, off offset:48
	;; [unrolled: 1-line block ×10, first 2 shown]
	v_mov_b32_e32 v2, 0
	s_clause 0x2
	scratch_load_b128 v[88:91], off, off offset:192
	scratch_load_b128 v[92:95], off, off offset:208
	;; [unrolled: 1-line block ×3, first 2 shown]
	s_mov_b32 s2, exec_lo
	ds_load_b128 v[84:87], v2 offset:304
	s_wait_loadcnt_dscnt 0xc00
	v_mul_f64_e32 v[4:5], v[86:87], v[10:11]
	v_mul_f64_e32 v[100:101], v[84:85], v[10:11]
	ds_load_b128 v[10:13], v2 offset:320
	v_fma_f64 v[4:5], v[84:85], v[8:9], -v[4:5]
	v_fmac_f64_e32 v[100:101], v[86:87], v[8:9]
	ds_load_b128 v[84:87], v2 offset:336
	s_wait_loadcnt_dscnt 0xb01
	v_mul_f64_e32 v[102:103], v[10:11], v[50:51]
	v_mul_f64_e32 v[50:51], v[12:13], v[50:51]
	s_wait_loadcnt_dscnt 0xa00
	v_mul_f64_e32 v[104:105], v[84:85], v[54:55]
	v_mul_f64_e32 v[54:55], v[86:87], v[54:55]
	v_add_f64_e32 v[4:5], 0, v[4:5]
	v_add_f64_e32 v[100:101], 0, v[100:101]
	v_fmac_f64_e32 v[102:103], v[12:13], v[48:49]
	v_fma_f64 v[12:13], v[10:11], v[48:49], -v[50:51]
	ds_load_b128 v[8:11], v2 offset:352
	scratch_load_b128 v[48:51], off, off offset:240
	v_fmac_f64_e32 v[104:105], v[86:87], v[52:53]
	v_fma_f64 v[108:109], v[84:85], v[52:53], -v[54:55]
	ds_load_b128 v[52:55], v2 offset:368
	s_wait_loadcnt_dscnt 0xa01
	v_mul_f64_e32 v[106:107], v[8:9], v[58:59]
	v_mul_f64_e32 v[58:59], v[10:11], v[58:59]
	scratch_load_b128 v[84:87], off, off offset:256
	v_add_f64_e32 v[4:5], v[4:5], v[12:13]
	v_add_f64_e32 v[12:13], v[100:101], v[102:103]
	s_wait_loadcnt_dscnt 0xa00
	v_mul_f64_e32 v[100:101], v[52:53], v[62:63]
	v_mul_f64_e32 v[62:63], v[54:55], v[62:63]
	v_fmac_f64_e32 v[106:107], v[10:11], v[56:57]
	v_fma_f64 v[56:57], v[8:9], v[56:57], -v[58:59]
	ds_load_b128 v[8:11], v2 offset:384
	v_add_f64_e32 v[4:5], v[4:5], v[108:109]
	v_add_f64_e32 v[12:13], v[12:13], v[104:105]
	v_fmac_f64_e32 v[100:101], v[54:55], v[60:61]
	v_fma_f64 v[60:61], v[52:53], v[60:61], -v[62:63]
	ds_load_b128 v[52:55], v2 offset:400
	s_wait_loadcnt_dscnt 0x901
	v_mul_f64_e32 v[102:103], v[8:9], v[66:67]
	v_mul_f64_e32 v[58:59], v[10:11], v[66:67]
	s_wait_loadcnt_dscnt 0x800
	v_mul_f64_e32 v[62:63], v[52:53], v[70:71]
	v_mul_f64_e32 v[66:67], v[54:55], v[70:71]
	v_add_f64_e32 v[4:5], v[4:5], v[56:57]
	v_add_f64_e32 v[12:13], v[12:13], v[106:107]
	v_fmac_f64_e32 v[102:103], v[10:11], v[64:65]
	v_fma_f64 v[64:65], v[8:9], v[64:65], -v[58:59]
	ds_load_b128 v[8:11], v2 offset:416
	scratch_load_b128 v[56:59], off, off offset:16
	v_fmac_f64_e32 v[62:63], v[54:55], v[68:69]
	v_fma_f64 v[66:67], v[52:53], v[68:69], -v[66:67]
	v_add_f64_e32 v[4:5], v[4:5], v[60:61]
	v_add_f64_e32 v[12:13], v[12:13], v[100:101]
	ds_load_b128 v[52:55], v2 offset:432
	s_wait_loadcnt_dscnt 0x801
	v_mul_f64_e32 v[60:61], v[8:9], v[74:75]
	v_mul_f64_e32 v[70:71], v[10:11], v[74:75]
	s_wait_loadcnt_dscnt 0x700
	v_mul_f64_e32 v[68:69], v[54:55], v[78:79]
	v_add_f64_e32 v[4:5], v[4:5], v[64:65]
	v_add_f64_e32 v[12:13], v[12:13], v[102:103]
	v_mul_f64_e32 v[64:65], v[52:53], v[78:79]
	v_fmac_f64_e32 v[60:61], v[10:11], v[72:73]
	v_fma_f64 v[70:71], v[8:9], v[72:73], -v[70:71]
	ds_load_b128 v[8:11], v2 offset:448
	v_fma_f64 v[68:69], v[52:53], v[76:77], -v[68:69]
	v_add_f64_e32 v[4:5], v[4:5], v[66:67]
	v_add_f64_e32 v[12:13], v[12:13], v[62:63]
	v_fmac_f64_e32 v[64:65], v[54:55], v[76:77]
	ds_load_b128 v[52:55], v2 offset:464
	s_wait_loadcnt_dscnt 0x601
	v_mul_f64_e32 v[62:63], v[8:9], v[82:83]
	v_mul_f64_e32 v[66:67], v[10:11], v[82:83]
	v_add_f64_e32 v[4:5], v[4:5], v[70:71]
	v_add_f64_e32 v[12:13], v[12:13], v[60:61]
	s_wait_loadcnt_dscnt 0x500
	v_mul_f64_e32 v[60:61], v[52:53], v[90:91]
	v_mul_f64_e32 v[70:71], v[54:55], v[90:91]
	v_fmac_f64_e32 v[62:63], v[10:11], v[80:81]
	v_fma_f64 v[66:67], v[8:9], v[80:81], -v[66:67]
	ds_load_b128 v[8:11], v2 offset:480
	v_add_f64_e32 v[4:5], v[4:5], v[68:69]
	v_add_f64_e32 v[12:13], v[12:13], v[64:65]
	v_fmac_f64_e32 v[60:61], v[54:55], v[88:89]
	v_fma_f64 v[70:71], v[52:53], v[88:89], -v[70:71]
	ds_load_b128 v[52:55], v2 offset:496
	s_wait_loadcnt_dscnt 0x401
	v_mul_f64_e32 v[64:65], v[8:9], v[94:95]
	v_mul_f64_e32 v[68:69], v[10:11], v[94:95]
	v_add_f64_e32 v[4:5], v[4:5], v[66:67]
	v_add_f64_e32 v[12:13], v[12:13], v[62:63]
	s_wait_loadcnt_dscnt 0x300
	v_mul_f64_e32 v[62:63], v[52:53], v[98:99]
	v_mul_f64_e32 v[66:67], v[54:55], v[98:99]
	v_fmac_f64_e32 v[64:65], v[10:11], v[92:93]
	v_fma_f64 v[68:69], v[8:9], v[92:93], -v[68:69]
	ds_load_b128 v[8:11], v2 offset:512
	v_add_f64_e32 v[4:5], v[4:5], v[70:71]
	v_add_f64_e32 v[12:13], v[12:13], v[60:61]
	s_wait_loadcnt_dscnt 0x200
	v_mul_f64_e32 v[60:61], v[8:9], v[50:51]
	v_mul_f64_e32 v[70:71], v[10:11], v[50:51]
	v_fmac_f64_e32 v[62:63], v[54:55], v[96:97]
	v_fma_f64 v[54:55], v[52:53], v[96:97], -v[66:67]
	ds_load_b128 v[50:53], v2 offset:528
	s_wait_loadcnt_dscnt 0x100
	v_mul_f64_e32 v[66:67], v[52:53], v[86:87]
	v_add_f64_e32 v[4:5], v[4:5], v[68:69]
	v_add_f64_e32 v[12:13], v[12:13], v[64:65]
	v_mul_f64_e32 v[64:65], v[50:51], v[86:87]
	v_fmac_f64_e32 v[60:61], v[10:11], v[48:49]
	v_fma_f64 v[8:9], v[8:9], v[48:49], -v[70:71]
	v_add_f64_e32 v[4:5], v[4:5], v[54:55]
	v_add_f64_e32 v[10:11], v[12:13], v[62:63]
	v_fmac_f64_e32 v[64:65], v[52:53], v[84:85]
	v_fma_f64 v[12:13], v[50:51], v[84:85], -v[66:67]
	s_delay_alu instid0(VALU_DEP_4) | instskip(NEXT) | instid1(VALU_DEP_4)
	v_add_f64_e32 v[4:5], v[4:5], v[8:9]
	v_add_f64_e32 v[8:9], v[10:11], v[60:61]
	s_delay_alu instid0(VALU_DEP_2) | instskip(NEXT) | instid1(VALU_DEP_2)
	v_add_f64_e32 v[4:5], v[4:5], v[12:13]
	v_add_f64_e32 v[10:11], v[8:9], v[64:65]
	s_wait_loadcnt 0x0
	s_delay_alu instid0(VALU_DEP_2) | instskip(NEXT) | instid1(VALU_DEP_2)
	v_add_f64_e64 v[8:9], v[56:57], -v[4:5]
	v_add_f64_e64 v[10:11], v[58:59], -v[10:11]
	scratch_store_b128 off, v[8:11], off offset:16
	s_wait_xcnt 0x0
	v_cmpx_ne_u32_e32 0, v1
	s_cbranch_execz .LBB80_115
; %bb.114:
	scratch_load_b128 v[8:11], off, off
	v_dual_mov_b32 v3, v2 :: v_dual_mov_b32 v4, v2
	v_mov_b32_e32 v5, v2
	scratch_store_b128 off, v[2:5], off
	s_wait_loadcnt 0x0
	ds_store_b128 v6, v[8:11]
.LBB80_115:
	s_wait_xcnt 0x0
	s_or_b32 exec_lo, exec_lo, s2
	s_wait_storecnt_dscnt 0x0
	s_barrier_signal -1
	s_barrier_wait -1
	s_clause 0x9
	scratch_load_b128 v[4:7], off, off offset:16
	scratch_load_b128 v[8:11], off, off offset:32
	;; [unrolled: 1-line block ×10, first 2 shown]
	ds_load_b128 v[80:83], v2 offset:288
	ds_load_b128 v[88:91], v2 offset:304
	s_clause 0x1
	scratch_load_b128 v[84:87], off, off offset:176
	scratch_load_b128 v[92:95], off, off
	v_lshl_add_u64 v[26:27], v[26:27], 4, s[4:5]
	s_and_b32 vcc_lo, exec_lo, s28
	s_wait_loadcnt_dscnt 0xb01
	v_mul_f64_e32 v[96:97], v[82:83], v[6:7]
	v_mul_f64_e32 v[98:99], v[80:81], v[6:7]
	s_wait_loadcnt_dscnt 0xa00
	v_mul_f64_e32 v[100:101], v[88:89], v[10:11]
	v_mul_f64_e32 v[102:103], v[90:91], v[10:11]
	scratch_load_b128 v[10:13], off, off offset:192
	v_fma_f64 v[96:97], v[80:81], v[4:5], -v[96:97]
	v_fmac_f64_e32 v[98:99], v[82:83], v[4:5]
	ds_load_b128 v[4:7], v2 offset:320
	ds_load_b128 v[80:83], v2 offset:336
	v_fmac_f64_e32 v[100:101], v[90:91], v[8:9]
	v_fma_f64 v[8:9], v[88:89], v[8:9], -v[102:103]
	scratch_load_b128 v[88:91], off, off offset:208
	s_wait_loadcnt_dscnt 0xb01
	v_mul_f64_e32 v[104:105], v[4:5], v[50:51]
	v_mul_f64_e32 v[50:51], v[6:7], v[50:51]
	s_wait_loadcnt_dscnt 0xa00
	v_mul_f64_e32 v[102:103], v[80:81], v[54:55]
	v_mul_f64_e32 v[54:55], v[82:83], v[54:55]
	v_add_f64_e32 v[96:97], 0, v[96:97]
	v_add_f64_e32 v[98:99], 0, v[98:99]
	v_fmac_f64_e32 v[104:105], v[6:7], v[48:49]
	v_fma_f64 v[106:107], v[4:5], v[48:49], -v[50:51]
	scratch_load_b128 v[4:7], off, off offset:224
	ds_load_b128 v[48:51], v2 offset:352
	v_fmac_f64_e32 v[102:103], v[82:83], v[52:53]
	v_fma_f64 v[108:109], v[80:81], v[52:53], -v[54:55]
	ds_load_b128 v[52:55], v2 offset:368
	scratch_load_b128 v[80:83], off, off offset:256
	v_add_f64_e32 v[8:9], v[96:97], v[8:9]
	v_add_f64_e32 v[100:101], v[98:99], v[100:101]
	scratch_load_b128 v[96:99], off, off offset:240
	s_wait_loadcnt_dscnt 0xc01
	v_mul_f64_e32 v[110:111], v[48:49], v[58:59]
	v_mul_f64_e32 v[58:59], v[50:51], v[58:59]
	v_add_f64_e32 v[8:9], v[8:9], v[106:107]
	v_add_f64_e32 v[100:101], v[100:101], v[104:105]
	s_wait_loadcnt_dscnt 0xb00
	v_mul_f64_e32 v[104:105], v[52:53], v[62:63]
	v_mul_f64_e32 v[62:63], v[54:55], v[62:63]
	v_fmac_f64_e32 v[110:111], v[50:51], v[56:57]
	v_fma_f64 v[106:107], v[48:49], v[56:57], -v[58:59]
	ds_load_b128 v[48:51], v2 offset:384
	ds_load_b128 v[56:59], v2 offset:400
	v_add_f64_e32 v[8:9], v[8:9], v[108:109]
	v_add_f64_e32 v[100:101], v[100:101], v[102:103]
	s_wait_loadcnt_dscnt 0xa01
	v_mul_f64_e32 v[102:103], v[48:49], v[66:67]
	v_fmac_f64_e32 v[104:105], v[54:55], v[60:61]
	v_fma_f64 v[52:53], v[52:53], v[60:61], -v[62:63]
	v_mul_f64_e32 v[54:55], v[50:51], v[66:67]
	s_wait_loadcnt_dscnt 0x900
	v_mul_f64_e32 v[62:63], v[56:57], v[70:71]
	v_mul_f64_e32 v[66:67], v[58:59], v[70:71]
	v_add_f64_e32 v[8:9], v[8:9], v[106:107]
	v_add_f64_e32 v[60:61], v[100:101], v[110:111]
	v_fmac_f64_e32 v[102:103], v[50:51], v[64:65]
	v_fma_f64 v[64:65], v[48:49], v[64:65], -v[54:55]
	v_fmac_f64_e32 v[62:63], v[58:59], v[68:69]
	v_fma_f64 v[56:57], v[56:57], v[68:69], -v[66:67]
	v_add_f64_e32 v[8:9], v[8:9], v[52:53]
	v_add_f64_e32 v[60:61], v[60:61], v[104:105]
	ds_load_b128 v[48:51], v2 offset:416
	ds_load_b128 v[52:55], v2 offset:432
	s_wait_loadcnt_dscnt 0x801
	v_mul_f64_e32 v[70:71], v[48:49], v[74:75]
	v_mul_f64_e32 v[74:75], v[50:51], v[74:75]
	v_add_f64_e32 v[8:9], v[8:9], v[64:65]
	v_add_f64_e32 v[58:59], v[60:61], v[102:103]
	s_wait_loadcnt_dscnt 0x700
	v_mul_f64_e32 v[60:61], v[52:53], v[78:79]
	v_mul_f64_e32 v[64:65], v[54:55], v[78:79]
	v_fmac_f64_e32 v[70:71], v[50:51], v[72:73]
	v_fma_f64 v[66:67], v[48:49], v[72:73], -v[74:75]
	v_add_f64_e32 v[8:9], v[8:9], v[56:57]
	v_add_f64_e32 v[62:63], v[58:59], v[62:63]
	ds_load_b128 v[48:51], v2 offset:448
	ds_load_b128 v[56:59], v2 offset:464
	v_fmac_f64_e32 v[60:61], v[54:55], v[76:77]
	v_fma_f64 v[52:53], v[52:53], v[76:77], -v[64:65]
	s_wait_loadcnt_dscnt 0x601
	v_mul_f64_e32 v[68:69], v[48:49], v[86:87]
	v_mul_f64_e32 v[72:73], v[50:51], v[86:87]
	v_add_f64_e32 v[8:9], v[8:9], v[66:67]
	v_add_f64_e32 v[54:55], v[62:63], v[70:71]
	s_wait_loadcnt_dscnt 0x400
	v_mul_f64_e32 v[62:63], v[56:57], v[12:13]
	v_mul_f64_e32 v[12:13], v[58:59], v[12:13]
	v_fmac_f64_e32 v[68:69], v[50:51], v[84:85]
	v_fma_f64 v[64:65], v[48:49], v[84:85], -v[72:73]
	v_add_f64_e32 v[8:9], v[8:9], v[52:53]
	v_add_f64_e32 v[60:61], v[54:55], v[60:61]
	ds_load_b128 v[48:51], v2 offset:480
	ds_load_b128 v[52:55], v2 offset:496
	v_fmac_f64_e32 v[62:63], v[58:59], v[10:11]
	v_fma_f64 v[10:11], v[56:57], v[10:11], -v[12:13]
	s_wait_loadcnt_dscnt 0x301
	v_mul_f64_e32 v[66:67], v[48:49], v[90:91]
	v_mul_f64_e32 v[70:71], v[50:51], v[90:91]
	v_add_f64_e32 v[8:9], v[8:9], v[64:65]
	v_add_f64_e32 v[12:13], v[60:61], v[68:69]
	s_delay_alu instid0(VALU_DEP_4) | instskip(NEXT) | instid1(VALU_DEP_4)
	v_fmac_f64_e32 v[66:67], v[50:51], v[88:89]
	v_fma_f64 v[48:49], v[48:49], v[88:89], -v[70:71]
	s_wait_loadcnt_dscnt 0x200
	v_mul_f64_e32 v[56:57], v[52:53], v[6:7]
	v_mul_f64_e32 v[58:59], v[54:55], v[6:7]
	v_add_f64_e32 v[50:51], v[8:9], v[10:11]
	v_add_f64_e32 v[60:61], v[12:13], v[62:63]
	ds_load_b128 v[6:9], v2 offset:512
	ds_load_b128 v[10:13], v2 offset:528
	s_wait_loadcnt_dscnt 0x1
	v_mul_f64_e32 v[2:3], v[6:7], v[98:99]
	v_mul_f64_e32 v[62:63], v[8:9], v[98:99]
	v_fmac_f64_e32 v[56:57], v[54:55], v[4:5]
	v_fma_f64 v[4:5], v[52:53], v[4:5], -v[58:59]
	s_wait_dscnt 0x0
	v_mul_f64_e32 v[52:53], v[10:11], v[82:83]
	v_mul_f64_e32 v[54:55], v[12:13], v[82:83]
	v_add_f64_e32 v[48:49], v[50:51], v[48:49]
	v_add_f64_e32 v[50:51], v[60:61], v[66:67]
	v_fmac_f64_e32 v[2:3], v[8:9], v[96:97]
	v_fma_f64 v[6:7], v[6:7], v[96:97], -v[62:63]
	v_fmac_f64_e32 v[52:53], v[12:13], v[80:81]
	v_fma_f64 v[10:11], v[10:11], v[80:81], -v[54:55]
	v_lshl_add_u64 v[54:55], v[18:19], 4, s[4:5]
	v_lshl_add_u64 v[18:19], v[34:35], 4, s[4:5]
	;; [unrolled: 1-line block ×3, first 2 shown]
	v_add_f64_e32 v[4:5], v[48:49], v[4:5]
	v_add_f64_e32 v[8:9], v[50:51], v[56:57]
	v_lshl_add_u64 v[50:51], v[22:23], 4, s[4:5]
	v_lshl_add_u64 v[48:49], v[24:25], 4, s[4:5]
	;; [unrolled: 1-line block ×4, first 2 shown]
	v_add_f64_e32 v[4:5], v[4:5], v[6:7]
	v_add_f64_e32 v[2:3], v[8:9], v[2:3]
	v_lshl_add_u64 v[8:9], v[40:41], 4, s[4:5]
	v_lshl_add_u64 v[6:7], v[42:43], 4, s[4:5]
	s_delay_alu instid0(VALU_DEP_4) | instskip(NEXT) | instid1(VALU_DEP_4)
	v_add_f64_e32 v[4:5], v[4:5], v[10:11]
	v_add_f64_e32 v[2:3], v[2:3], v[52:53]
	v_lshl_add_u64 v[52:53], v[20:21], 4, s[4:5]
	v_lshl_add_u64 v[20:21], v[32:33], 4, s[4:5]
	v_lshl_add_u64 v[10:11], v[38:39], 4, s[4:5]
	v_add_f64_e64 v[56:57], v[92:93], -v[4:5]
	v_add_f64_e64 v[58:59], v[94:95], -v[2:3]
	v_lshl_add_u64 v[4:5], v[44:45], 4, s[4:5]
	v_lshl_add_u64 v[2:3], v[46:47], 4, s[4:5]
	scratch_store_b128 off, v[56:59], off
	s_cbranch_vccz .LBB80_148
; %bb.116:
	v_mov_b32_e32 v28, 0
	s_load_b64 s[2:3], s[0:1], 0x4
	v_bfe_u32 v30, v0, 10, 10
	v_bfe_u32 v0, v0, 20, 10
	global_load_b32 v29, v28, s[8:9] offset:60
	s_wait_kmcnt 0x0
	s_lshr_b32 s0, s2, 16
	v_mul_u32_u24_e32 v30, s3, v30
	s_mul_i32 s0, s0, s3
	s_delay_alu instid0(SALU_CYCLE_1) | instskip(NEXT) | instid1(VALU_DEP_1)
	v_mul_u32_u24_e32 v1, s0, v1
	v_add3_u32 v0, v1, v30, v0
	s_delay_alu instid0(VALU_DEP_1)
	v_lshl_add_u32 v0, v0, 4, 0x228
	s_wait_loadcnt 0x0
	v_cmp_ne_u32_e32 vcc_lo, 16, v29
	s_cbranch_vccz .LBB80_118
; %bb.117:
	v_lshlrev_b32_e32 v1, 4, v29
	s_clause 0x1
	scratch_load_b128 v[30:33], off, s25
	scratch_load_b128 v[34:37], v1, off offset:-16
	s_wait_loadcnt 0x1
	ds_store_2addr_b64 v0, v[30:31], v[32:33] offset1:1
	s_wait_loadcnt 0x0
	s_clause 0x1
	scratch_store_b128 off, v[34:37], s25
	scratch_store_b128 v1, v[30:33], off offset:-16
.LBB80_118:
	global_load_b32 v1, v28, s[8:9] offset:56
	s_wait_loadcnt 0x0
	v_cmp_eq_u32_e32 vcc_lo, 15, v1
	s_cbranch_vccnz .LBB80_120
; %bb.119:
	v_lshlrev_b32_e32 v1, 4, v1
	s_clause 0x1
	scratch_load_b128 v[28:31], off, s17
	scratch_load_b128 v[32:35], v1, off offset:-16
	s_wait_loadcnt 0x1
	ds_store_2addr_b64 v0, v[28:29], v[30:31] offset1:1
	s_wait_loadcnt 0x0
	s_clause 0x1
	scratch_store_b128 off, v[32:35], s17
	scratch_store_b128 v1, v[28:31], off offset:-16
.LBB80_120:
	s_wait_xcnt 0x0
	v_mov_b32_e32 v1, 0
	global_load_b32 v28, v1, s[8:9] offset:52
	s_wait_loadcnt 0x0
	v_cmp_eq_u32_e32 vcc_lo, 14, v28
	s_cbranch_vccnz .LBB80_122
; %bb.121:
	v_lshlrev_b32_e32 v28, 4, v28
	s_delay_alu instid0(VALU_DEP_1)
	v_mov_b32_e32 v36, v28
	s_clause 0x1
	scratch_load_b128 v[28:31], off, s24
	scratch_load_b128 v[32:35], v36, off offset:-16
	s_wait_loadcnt 0x1
	ds_store_2addr_b64 v0, v[28:29], v[30:31] offset1:1
	s_wait_loadcnt 0x0
	s_clause 0x1
	scratch_store_b128 off, v[32:35], s24
	scratch_store_b128 v36, v[28:31], off offset:-16
.LBB80_122:
	global_load_b32 v1, v1, s[8:9] offset:48
	s_wait_loadcnt 0x0
	v_cmp_eq_u32_e32 vcc_lo, 13, v1
	s_cbranch_vccnz .LBB80_124
; %bb.123:
	s_wait_xcnt 0x0
	v_lshlrev_b32_e32 v1, 4, v1
	s_clause 0x1
	scratch_load_b128 v[28:31], off, s16
	scratch_load_b128 v[32:35], v1, off offset:-16
	s_wait_loadcnt 0x1
	ds_store_2addr_b64 v0, v[28:29], v[30:31] offset1:1
	s_wait_loadcnt 0x0
	s_clause 0x1
	scratch_store_b128 off, v[32:35], s16
	scratch_store_b128 v1, v[28:31], off offset:-16
.LBB80_124:
	s_wait_xcnt 0x0
	v_mov_b32_e32 v1, 0
	global_load_b32 v28, v1, s[8:9] offset:44
	s_wait_loadcnt 0x0
	v_cmp_eq_u32_e32 vcc_lo, 12, v28
	s_cbranch_vccnz .LBB80_126
; %bb.125:
	v_lshlrev_b32_e32 v28, 4, v28
	s_delay_alu instid0(VALU_DEP_1)
	v_mov_b32_e32 v36, v28
	s_clause 0x1
	scratch_load_b128 v[28:31], off, s23
	scratch_load_b128 v[32:35], v36, off offset:-16
	s_wait_loadcnt 0x1
	ds_store_2addr_b64 v0, v[28:29], v[30:31] offset1:1
	s_wait_loadcnt 0x0
	s_clause 0x1
	scratch_store_b128 off, v[32:35], s23
	scratch_store_b128 v36, v[28:31], off offset:-16
.LBB80_126:
	global_load_b32 v1, v1, s[8:9] offset:40
	s_wait_loadcnt 0x0
	v_cmp_eq_u32_e32 vcc_lo, 11, v1
	s_cbranch_vccnz .LBB80_128
; %bb.127:
	s_wait_xcnt 0x0
	v_lshlrev_b32_e32 v1, 4, v1
	s_clause 0x1
	scratch_load_b128 v[28:31], off, s15
	scratch_load_b128 v[32:35], v1, off offset:-16
	s_wait_loadcnt 0x1
	ds_store_2addr_b64 v0, v[28:29], v[30:31] offset1:1
	s_wait_loadcnt 0x0
	s_clause 0x1
	scratch_store_b128 off, v[32:35], s15
	scratch_store_b128 v1, v[28:31], off offset:-16
.LBB80_128:
	;; [unrolled: 37-line block ×6, first 2 shown]
	s_wait_xcnt 0x0
	v_mov_b32_e32 v1, 0
	global_load_b32 v28, v1, s[8:9] offset:4
	s_wait_loadcnt 0x0
	v_cmp_eq_u32_e32 vcc_lo, 2, v28
	s_cbranch_vccnz .LBB80_146
; %bb.145:
	v_lshlrev_b32_e32 v28, 4, v28
	s_delay_alu instid0(VALU_DEP_1)
	v_mov_b32_e32 v36, v28
	s_clause 0x1
	scratch_load_b128 v[28:31], off, s27
	scratch_load_b128 v[32:35], v36, off offset:-16
	s_wait_loadcnt 0x1
	ds_store_2addr_b64 v0, v[28:29], v[30:31] offset1:1
	s_wait_loadcnt 0x0
	s_clause 0x1
	scratch_store_b128 off, v[32:35], s27
	scratch_store_b128 v36, v[28:31], off offset:-16
.LBB80_146:
	global_load_b32 v1, v1, s[8:9]
	s_wait_loadcnt 0x0
	v_cmp_eq_u32_e32 vcc_lo, 1, v1
	s_cbranch_vccnz .LBB80_148
; %bb.147:
	s_wait_xcnt 0x0
	v_lshlrev_b32_e32 v1, 4, v1
	scratch_load_b128 v[28:31], off, off
	scratch_load_b128 v[32:35], v1, off offset:-16
	s_wait_loadcnt 0x1
	ds_store_2addr_b64 v0, v[28:29], v[30:31] offset1:1
	s_wait_loadcnt 0x0
	scratch_store_b128 off, v[32:35], off
	scratch_store_b128 v1, v[28:31], off offset:-16
.LBB80_148:
	scratch_load_b128 v[28:31], off, off
	s_wait_loadcnt 0x0
	flat_store_b128 v[14:15], v[28:31]
	scratch_load_b128 v[28:31], off, s27
	s_wait_loadcnt 0x0
	flat_store_b128 v[16:17], v[28:31]
	scratch_load_b128 v[14:17], off, s26
	;; [unrolled: 3-line block ×16, first 2 shown]
	s_wait_loadcnt 0x0
	flat_store_b128 v[2:3], v[4:7]
	s_sendmsg sendmsg(MSG_DEALLOC_VGPRS)
	s_endpgm
	.section	.rodata,"a",@progbits
	.p2align	6, 0x0
	.amdhsa_kernel _ZN9rocsolver6v33100L18getri_kernel_smallILi17E19rocblas_complex_numIdEPKPS3_EEvT1_iilPiilS8_bb
		.amdhsa_group_segment_fixed_size 1576
		.amdhsa_private_segment_fixed_size 288
		.amdhsa_kernarg_size 60
		.amdhsa_user_sgpr_count 4
		.amdhsa_user_sgpr_dispatch_ptr 1
		.amdhsa_user_sgpr_queue_ptr 0
		.amdhsa_user_sgpr_kernarg_segment_ptr 1
		.amdhsa_user_sgpr_dispatch_id 0
		.amdhsa_user_sgpr_kernarg_preload_length 0
		.amdhsa_user_sgpr_kernarg_preload_offset 0
		.amdhsa_user_sgpr_private_segment_size 0
		.amdhsa_wavefront_size32 1
		.amdhsa_uses_dynamic_stack 0
		.amdhsa_enable_private_segment 1
		.amdhsa_system_sgpr_workgroup_id_x 1
		.amdhsa_system_sgpr_workgroup_id_y 0
		.amdhsa_system_sgpr_workgroup_id_z 0
		.amdhsa_system_sgpr_workgroup_info 0
		.amdhsa_system_vgpr_workitem_id 2
		.amdhsa_next_free_vgpr 114
		.amdhsa_next_free_sgpr 32
		.amdhsa_named_barrier_count 0
		.amdhsa_reserve_vcc 1
		.amdhsa_float_round_mode_32 0
		.amdhsa_float_round_mode_16_64 0
		.amdhsa_float_denorm_mode_32 3
		.amdhsa_float_denorm_mode_16_64 3
		.amdhsa_fp16_overflow 0
		.amdhsa_memory_ordered 1
		.amdhsa_forward_progress 1
		.amdhsa_inst_pref_size 141
		.amdhsa_round_robin_scheduling 0
		.amdhsa_exception_fp_ieee_invalid_op 0
		.amdhsa_exception_fp_denorm_src 0
		.amdhsa_exception_fp_ieee_div_zero 0
		.amdhsa_exception_fp_ieee_overflow 0
		.amdhsa_exception_fp_ieee_underflow 0
		.amdhsa_exception_fp_ieee_inexact 0
		.amdhsa_exception_int_div_zero 0
	.end_amdhsa_kernel
	.section	.text._ZN9rocsolver6v33100L18getri_kernel_smallILi17E19rocblas_complex_numIdEPKPS3_EEvT1_iilPiilS8_bb,"axG",@progbits,_ZN9rocsolver6v33100L18getri_kernel_smallILi17E19rocblas_complex_numIdEPKPS3_EEvT1_iilPiilS8_bb,comdat
.Lfunc_end80:
	.size	_ZN9rocsolver6v33100L18getri_kernel_smallILi17E19rocblas_complex_numIdEPKPS3_EEvT1_iilPiilS8_bb, .Lfunc_end80-_ZN9rocsolver6v33100L18getri_kernel_smallILi17E19rocblas_complex_numIdEPKPS3_EEvT1_iilPiilS8_bb
                                        ; -- End function
	.set _ZN9rocsolver6v33100L18getri_kernel_smallILi17E19rocblas_complex_numIdEPKPS3_EEvT1_iilPiilS8_bb.num_vgpr, 114
	.set _ZN9rocsolver6v33100L18getri_kernel_smallILi17E19rocblas_complex_numIdEPKPS3_EEvT1_iilPiilS8_bb.num_agpr, 0
	.set _ZN9rocsolver6v33100L18getri_kernel_smallILi17E19rocblas_complex_numIdEPKPS3_EEvT1_iilPiilS8_bb.numbered_sgpr, 32
	.set _ZN9rocsolver6v33100L18getri_kernel_smallILi17E19rocblas_complex_numIdEPKPS3_EEvT1_iilPiilS8_bb.num_named_barrier, 0
	.set _ZN9rocsolver6v33100L18getri_kernel_smallILi17E19rocblas_complex_numIdEPKPS3_EEvT1_iilPiilS8_bb.private_seg_size, 288
	.set _ZN9rocsolver6v33100L18getri_kernel_smallILi17E19rocblas_complex_numIdEPKPS3_EEvT1_iilPiilS8_bb.uses_vcc, 1
	.set _ZN9rocsolver6v33100L18getri_kernel_smallILi17E19rocblas_complex_numIdEPKPS3_EEvT1_iilPiilS8_bb.uses_flat_scratch, 1
	.set _ZN9rocsolver6v33100L18getri_kernel_smallILi17E19rocblas_complex_numIdEPKPS3_EEvT1_iilPiilS8_bb.has_dyn_sized_stack, 0
	.set _ZN9rocsolver6v33100L18getri_kernel_smallILi17E19rocblas_complex_numIdEPKPS3_EEvT1_iilPiilS8_bb.has_recursion, 0
	.set _ZN9rocsolver6v33100L18getri_kernel_smallILi17E19rocblas_complex_numIdEPKPS3_EEvT1_iilPiilS8_bb.has_indirect_call, 0
	.section	.AMDGPU.csdata,"",@progbits
; Kernel info:
; codeLenInByte = 17992
; TotalNumSgprs: 34
; NumVgprs: 114
; ScratchSize: 288
; MemoryBound: 0
; FloatMode: 240
; IeeeMode: 1
; LDSByteSize: 1576 bytes/workgroup (compile time only)
; SGPRBlocks: 0
; VGPRBlocks: 7
; NumSGPRsForWavesPerEU: 34
; NumVGPRsForWavesPerEU: 114
; NamedBarCnt: 0
; Occupancy: 8
; WaveLimiterHint : 1
; COMPUTE_PGM_RSRC2:SCRATCH_EN: 1
; COMPUTE_PGM_RSRC2:USER_SGPR: 4
; COMPUTE_PGM_RSRC2:TRAP_HANDLER: 0
; COMPUTE_PGM_RSRC2:TGID_X_EN: 1
; COMPUTE_PGM_RSRC2:TGID_Y_EN: 0
; COMPUTE_PGM_RSRC2:TGID_Z_EN: 0
; COMPUTE_PGM_RSRC2:TIDIG_COMP_CNT: 2
	.section	.text._ZN9rocsolver6v33100L18getri_kernel_smallILi18E19rocblas_complex_numIdEPKPS3_EEvT1_iilPiilS8_bb,"axG",@progbits,_ZN9rocsolver6v33100L18getri_kernel_smallILi18E19rocblas_complex_numIdEPKPS3_EEvT1_iilPiilS8_bb,comdat
	.globl	_ZN9rocsolver6v33100L18getri_kernel_smallILi18E19rocblas_complex_numIdEPKPS3_EEvT1_iilPiilS8_bb ; -- Begin function _ZN9rocsolver6v33100L18getri_kernel_smallILi18E19rocblas_complex_numIdEPKPS3_EEvT1_iilPiilS8_bb
	.p2align	8
	.type	_ZN9rocsolver6v33100L18getri_kernel_smallILi18E19rocblas_complex_numIdEPKPS3_EEvT1_iilPiilS8_bb,@function
_ZN9rocsolver6v33100L18getri_kernel_smallILi18E19rocblas_complex_numIdEPKPS3_EEvT1_iilPiilS8_bb: ; @_ZN9rocsolver6v33100L18getri_kernel_smallILi18E19rocblas_complex_numIdEPKPS3_EEvT1_iilPiilS8_bb
; %bb.0:
	v_and_b32_e32 v1, 0x3ff, v0
	s_mov_b32 s4, exec_lo
	s_delay_alu instid0(VALU_DEP_1)
	v_cmpx_gt_u32_e32 18, v1
	s_cbranch_execz .LBB81_86
; %bb.1:
	s_clause 0x1
	s_load_b32 s16, s[2:3], 0x38
	s_load_b64 s[8:9], s[2:3], 0x0
	s_getreg_b32 s6, hwreg(HW_REG_IB_STS2, 6, 4)
	s_wait_kmcnt 0x0
	s_bitcmp1_b32 s16, 8
	s_cselect_b32 s29, -1, 0
	s_bfe_u32 s4, ttmp6, 0x4000c
	s_and_b32 s5, ttmp6, 15
	s_add_co_i32 s4, s4, 1
	s_delay_alu instid0(SALU_CYCLE_1) | instskip(NEXT) | instid1(SALU_CYCLE_1)
	s_mul_i32 s4, ttmp9, s4
	s_add_co_i32 s5, s5, s4
	s_cmp_eq_u32 s6, 0
	s_cselect_b32 s10, ttmp9, s5
	s_load_b128 s[4:7], s[2:3], 0x28
	s_ashr_i32 s11, s10, 31
	s_delay_alu instid0(SALU_CYCLE_1) | instskip(NEXT) | instid1(SALU_CYCLE_1)
	s_lshl_b64 s[12:13], s[10:11], 3
	s_add_nc_u64 s[8:9], s[8:9], s[12:13]
	s_load_b64 s[14:15], s[8:9], 0x0
	s_wait_xcnt 0x0
	s_bfe_u32 s8, s16, 0x10008
	s_delay_alu instid0(SALU_CYCLE_1)
	s_cmp_eq_u32 s8, 0
                                        ; implicit-def: $sgpr8_sgpr9
	s_cbranch_scc1 .LBB81_3
; %bb.2:
	s_load_b96 s[16:18], s[2:3], 0x18
	s_wait_kmcnt 0x0
	s_mul_u64 s[4:5], s[4:5], s[10:11]
	s_delay_alu instid0(SALU_CYCLE_1) | instskip(SKIP_4) | instid1(SALU_CYCLE_1)
	s_lshl_b64 s[4:5], s[4:5], 2
	s_ashr_i32 s9, s18, 31
	s_mov_b32 s8, s18
	s_add_nc_u64 s[4:5], s[16:17], s[4:5]
	s_lshl_b64 s[8:9], s[8:9], 2
	s_add_nc_u64 s[8:9], s[4:5], s[8:9]
.LBB81_3:
	s_clause 0x1
	s_load_b64 s[12:13], s[2:3], 0x8
	s_load_b32 s30, s[2:3], 0x38
	v_dual_mov_b32 v51, 0 :: v_dual_lshlrev_b32 v50, 4, v1
	s_mov_b32 s28, 16
	s_mov_b32 s27, 32
	;; [unrolled: 1-line block ×4, first 2 shown]
	s_movk_i32 s21, 0x60
	s_movk_i32 s22, 0x80
	;; [unrolled: 1-line block ×9, first 2 shown]
	s_wait_kmcnt 0x0
	s_ashr_i32 s3, s12, 31
	s_mov_b32 s2, s12
	v_add3_u32 v18, s13, s13, v1
	s_lshl_b64 s[2:3], s[2:3], 4
	s_movk_i32 s12, 0x50
	s_add_nc_u64 s[4:5], s[14:15], s[2:3]
	s_ashr_i32 s3, s13, 31
	flat_load_b128 v[2:5], v1, s[4:5] scale_offset
	v_add_nc_u64_e32 v[14:15], s[4:5], v[50:51]
	s_mov_b32 s2, s13
	v_add_nc_u32_e32 v20, s13, v18
	s_movk_i32 s14, 0x90
	s_movk_i32 s15, 0xb0
	s_bitcmp0_b32 s30, 0
	s_delay_alu instid0(VALU_DEP_2) | instskip(SKIP_2) | instid1(VALU_DEP_1)
	v_lshl_add_u64 v[16:17], s[2:3], 4, v[14:15]
	v_add_nc_u32_e32 v22, s13, v20
	s_mov_b32 s3, -1
	v_add_nc_u32_e32 v24, s13, v22
	s_delay_alu instid0(VALU_DEP_1) | instskip(NEXT) | instid1(VALU_DEP_1)
	v_add_nc_u32_e32 v26, s13, v24
	v_add_nc_u32_e32 v28, s13, v26
	s_delay_alu instid0(VALU_DEP_1) | instskip(NEXT) | instid1(VALU_DEP_1)
	v_add_nc_u32_e32 v30, s13, v28
	v_add_nc_u32_e32 v32, s13, v30
	s_delay_alu instid0(VALU_DEP_1) | instskip(NEXT) | instid1(VALU_DEP_1)
	v_add_nc_u32_e32 v34, s13, v32
	v_add_nc_u32_e32 v36, s13, v34
	s_delay_alu instid0(VALU_DEP_1) | instskip(NEXT) | instid1(VALU_DEP_1)
	v_add_nc_u32_e32 v38, s13, v36
	v_add_nc_u32_e32 v40, s13, v38
	s_delay_alu instid0(VALU_DEP_1) | instskip(NEXT) | instid1(VALU_DEP_1)
	v_add_nc_u32_e32 v42, s13, v40
	v_add_nc_u32_e32 v44, s13, v42
	s_delay_alu instid0(VALU_DEP_1) | instskip(NEXT) | instid1(VALU_DEP_1)
	v_add_nc_u32_e32 v46, s13, v44
	v_add_nc_u32_e32 v48, s13, v46
	s_movk_i32 s13, 0x70
	s_wait_loadcnt_dscnt 0x0
	scratch_store_b128 off, v[2:5], off
	flat_load_b128 v[2:5], v[16:17]
	s_wait_loadcnt_dscnt 0x0
	scratch_store_b128 off, v[2:5], off offset:16
	flat_load_b128 v[2:5], v18, s[4:5] scale_offset
	s_wait_loadcnt_dscnt 0x0
	scratch_store_b128 off, v[2:5], off offset:32
	flat_load_b128 v[2:5], v20, s[4:5] scale_offset
	;; [unrolled: 3-line block ×16, first 2 shown]
	s_wait_loadcnt_dscnt 0x0
	scratch_store_b128 off, v[2:5], off offset:272
	s_cbranch_scc1 .LBB81_84
; %bb.4:
	v_cmp_eq_u32_e64 s2, 0, v1
	s_wait_xcnt 0x0
	s_and_saveexec_b32 s3, s2
; %bb.5:
	v_mov_b32_e32 v2, 0
	ds_store_b32 v2, v2 offset:576
; %bb.6:
	s_or_b32 exec_lo, exec_lo, s3
	s_wait_storecnt_dscnt 0x0
	s_barrier_signal -1
	s_barrier_wait -1
	scratch_load_b128 v[2:5], v1, off scale_offset
	s_wait_loadcnt 0x0
	v_cmp_eq_f64_e32 vcc_lo, 0, v[2:3]
	v_cmp_eq_f64_e64 s3, 0, v[4:5]
	s_and_b32 s3, vcc_lo, s3
	s_delay_alu instid0(SALU_CYCLE_1)
	s_and_saveexec_b32 s30, s3
	s_cbranch_execz .LBB81_10
; %bb.7:
	v_mov_b32_e32 v2, 0
	s_mov_b32 s31, 0
	ds_load_b32 v3, v2 offset:576
	s_wait_dscnt 0x0
	v_readfirstlane_b32 s3, v3
	v_add_nc_u32_e32 v3, 1, v1
	s_cmp_eq_u32 s3, 0
	s_delay_alu instid0(VALU_DEP_1) | instskip(SKIP_1) | instid1(SALU_CYCLE_1)
	v_cmp_gt_i32_e32 vcc_lo, s3, v3
	s_cselect_b32 s33, -1, 0
	s_or_b32 s33, s33, vcc_lo
	s_delay_alu instid0(SALU_CYCLE_1)
	s_and_b32 exec_lo, exec_lo, s33
	s_cbranch_execz .LBB81_10
; %bb.8:
	v_mov_b32_e32 v4, s3
.LBB81_9:                               ; =>This Inner Loop Header: Depth=1
	ds_cmpstore_rtn_b32 v4, v2, v3, v4 offset:576
	s_wait_dscnt 0x0
	v_cmp_ne_u32_e32 vcc_lo, 0, v4
	v_cmp_le_i32_e64 s3, v4, v3
	s_and_b32 s3, vcc_lo, s3
	s_delay_alu instid0(SALU_CYCLE_1) | instskip(NEXT) | instid1(SALU_CYCLE_1)
	s_and_b32 s3, exec_lo, s3
	s_or_b32 s31, s3, s31
	s_delay_alu instid0(SALU_CYCLE_1)
	s_and_not1_b32 exec_lo, exec_lo, s31
	s_cbranch_execnz .LBB81_9
.LBB81_10:
	s_or_b32 exec_lo, exec_lo, s30
	v_mov_b32_e32 v2, 0
	s_barrier_signal -1
	s_barrier_wait -1
	ds_load_b32 v3, v2 offset:576
	s_and_saveexec_b32 s3, s2
	s_cbranch_execz .LBB81_12
; %bb.11:
	s_lshl_b64 s[30:31], s[10:11], 2
	s_delay_alu instid0(SALU_CYCLE_1)
	s_add_nc_u64 s[30:31], s[6:7], s[30:31]
	s_wait_dscnt 0x0
	global_store_b32 v2, v3, s[30:31]
.LBB81_12:
	s_wait_xcnt 0x0
	s_or_b32 exec_lo, exec_lo, s3
	s_wait_dscnt 0x0
	v_cmp_ne_u32_e32 vcc_lo, 0, v3
	s_mov_b32 s3, 0
	s_cbranch_vccnz .LBB81_84
; %bb.13:
	v_lshl_add_u32 v19, v1, 4, 0
                                        ; implicit-def: $vgpr6_vgpr7
                                        ; implicit-def: $vgpr10_vgpr11
	scratch_load_b128 v[2:5], v19, off
	s_wait_loadcnt 0x0
	v_cmp_ngt_f64_e64 s3, |v[2:3]|, |v[4:5]|
	s_wait_xcnt 0x0
	s_and_saveexec_b32 s30, s3
	s_delay_alu instid0(SALU_CYCLE_1)
	s_xor_b32 s3, exec_lo, s30
	s_cbranch_execz .LBB81_15
; %bb.14:
	v_div_scale_f64 v[6:7], null, v[4:5], v[4:5], v[2:3]
	v_div_scale_f64 v[12:13], vcc_lo, v[2:3], v[4:5], v[2:3]
	s_delay_alu instid0(VALU_DEP_2) | instskip(SKIP_1) | instid1(TRANS32_DEP_1)
	v_rcp_f64_e32 v[8:9], v[6:7]
	v_nop
	v_fma_f64 v[10:11], -v[6:7], v[8:9], 1.0
	s_delay_alu instid0(VALU_DEP_1) | instskip(NEXT) | instid1(VALU_DEP_1)
	v_fmac_f64_e32 v[8:9], v[8:9], v[10:11]
	v_fma_f64 v[10:11], -v[6:7], v[8:9], 1.0
	s_delay_alu instid0(VALU_DEP_1) | instskip(NEXT) | instid1(VALU_DEP_1)
	v_fmac_f64_e32 v[8:9], v[8:9], v[10:11]
	v_mul_f64_e32 v[10:11], v[12:13], v[8:9]
	s_delay_alu instid0(VALU_DEP_1) | instskip(NEXT) | instid1(VALU_DEP_1)
	v_fma_f64 v[6:7], -v[6:7], v[10:11], v[12:13]
	v_div_fmas_f64 v[6:7], v[6:7], v[8:9], v[10:11]
	s_delay_alu instid0(VALU_DEP_1) | instskip(NEXT) | instid1(VALU_DEP_1)
	v_div_fixup_f64 v[6:7], v[6:7], v[4:5], v[2:3]
	v_fmac_f64_e32 v[4:5], v[2:3], v[6:7]
	s_delay_alu instid0(VALU_DEP_1) | instskip(SKIP_1) | instid1(VALU_DEP_2)
	v_div_scale_f64 v[2:3], null, v[4:5], v[4:5], 1.0
	v_div_scale_f64 v[12:13], vcc_lo, 1.0, v[4:5], 1.0
	v_rcp_f64_e32 v[8:9], v[2:3]
	v_nop
	s_delay_alu instid0(TRANS32_DEP_1) | instskip(NEXT) | instid1(VALU_DEP_1)
	v_fma_f64 v[10:11], -v[2:3], v[8:9], 1.0
	v_fmac_f64_e32 v[8:9], v[8:9], v[10:11]
	s_delay_alu instid0(VALU_DEP_1) | instskip(NEXT) | instid1(VALU_DEP_1)
	v_fma_f64 v[10:11], -v[2:3], v[8:9], 1.0
	v_fmac_f64_e32 v[8:9], v[8:9], v[10:11]
	s_delay_alu instid0(VALU_DEP_1) | instskip(NEXT) | instid1(VALU_DEP_1)
	v_mul_f64_e32 v[10:11], v[12:13], v[8:9]
	v_fma_f64 v[2:3], -v[2:3], v[10:11], v[12:13]
	s_delay_alu instid0(VALU_DEP_1) | instskip(NEXT) | instid1(VALU_DEP_1)
	v_div_fmas_f64 v[2:3], v[2:3], v[8:9], v[10:11]
	v_div_fixup_f64 v[8:9], v[2:3], v[4:5], 1.0
                                        ; implicit-def: $vgpr2_vgpr3
	s_delay_alu instid0(VALU_DEP_1) | instskip(SKIP_1) | instid1(VALU_DEP_2)
	v_mul_f64_e32 v[6:7], v[6:7], v[8:9]
	v_xor_b32_e32 v9, 0x80000000, v9
	v_xor_b32_e32 v11, 0x80000000, v7
	s_delay_alu instid0(VALU_DEP_3)
	v_mov_b32_e32 v10, v6
.LBB81_15:
	s_and_not1_saveexec_b32 s3, s3
	s_cbranch_execz .LBB81_17
; %bb.16:
	v_div_scale_f64 v[6:7], null, v[2:3], v[2:3], v[4:5]
	v_div_scale_f64 v[12:13], vcc_lo, v[4:5], v[2:3], v[4:5]
	s_delay_alu instid0(VALU_DEP_2) | instskip(SKIP_1) | instid1(TRANS32_DEP_1)
	v_rcp_f64_e32 v[8:9], v[6:7]
	v_nop
	v_fma_f64 v[10:11], -v[6:7], v[8:9], 1.0
	s_delay_alu instid0(VALU_DEP_1) | instskip(NEXT) | instid1(VALU_DEP_1)
	v_fmac_f64_e32 v[8:9], v[8:9], v[10:11]
	v_fma_f64 v[10:11], -v[6:7], v[8:9], 1.0
	s_delay_alu instid0(VALU_DEP_1) | instskip(NEXT) | instid1(VALU_DEP_1)
	v_fmac_f64_e32 v[8:9], v[8:9], v[10:11]
	v_mul_f64_e32 v[10:11], v[12:13], v[8:9]
	s_delay_alu instid0(VALU_DEP_1) | instskip(NEXT) | instid1(VALU_DEP_1)
	v_fma_f64 v[6:7], -v[6:7], v[10:11], v[12:13]
	v_div_fmas_f64 v[6:7], v[6:7], v[8:9], v[10:11]
	s_delay_alu instid0(VALU_DEP_1) | instskip(NEXT) | instid1(VALU_DEP_1)
	v_div_fixup_f64 v[8:9], v[6:7], v[2:3], v[4:5]
	v_fmac_f64_e32 v[2:3], v[4:5], v[8:9]
	s_delay_alu instid0(VALU_DEP_1) | instskip(NEXT) | instid1(VALU_DEP_1)
	v_div_scale_f64 v[4:5], null, v[2:3], v[2:3], 1.0
	v_rcp_f64_e32 v[6:7], v[4:5]
	v_nop
	s_delay_alu instid0(TRANS32_DEP_1) | instskip(NEXT) | instid1(VALU_DEP_1)
	v_fma_f64 v[10:11], -v[4:5], v[6:7], 1.0
	v_fmac_f64_e32 v[6:7], v[6:7], v[10:11]
	s_delay_alu instid0(VALU_DEP_1) | instskip(NEXT) | instid1(VALU_DEP_1)
	v_fma_f64 v[10:11], -v[4:5], v[6:7], 1.0
	v_fmac_f64_e32 v[6:7], v[6:7], v[10:11]
	v_div_scale_f64 v[10:11], vcc_lo, 1.0, v[2:3], 1.0
	s_delay_alu instid0(VALU_DEP_1) | instskip(NEXT) | instid1(VALU_DEP_1)
	v_mul_f64_e32 v[12:13], v[10:11], v[6:7]
	v_fma_f64 v[4:5], -v[4:5], v[12:13], v[10:11]
	s_delay_alu instid0(VALU_DEP_1) | instskip(NEXT) | instid1(VALU_DEP_1)
	v_div_fmas_f64 v[4:5], v[4:5], v[6:7], v[12:13]
	v_div_fixup_f64 v[6:7], v[4:5], v[2:3], 1.0
	s_delay_alu instid0(VALU_DEP_1)
	v_mul_f64_e64 v[8:9], v[8:9], -v[6:7]
	v_xor_b32_e32 v11, 0x80000000, v7
	v_mov_b32_e32 v10, v6
.LBB81_17:
	s_or_b32 exec_lo, exec_lo, s3
	s_clause 0x1
	scratch_store_b128 v19, v[6:9], off
	scratch_load_b128 v[2:5], off, s28
	v_xor_b32_e32 v13, 0x80000000, v9
	v_mov_b32_e32 v12, v8
	s_wait_xcnt 0x1
	v_add_nc_u32_e32 v6, 0x120, v50
	ds_store_b128 v50, v[10:13]
	s_wait_loadcnt 0x0
	ds_store_b128 v50, v[2:5] offset:288
	s_wait_storecnt_dscnt 0x0
	s_barrier_signal -1
	s_barrier_wait -1
	s_wait_xcnt 0x0
	s_and_saveexec_b32 s3, s2
	s_cbranch_execz .LBB81_19
; %bb.18:
	scratch_load_b128 v[2:5], v19, off
	ds_load_b128 v[8:11], v6
	v_mov_b32_e32 v7, 0
	ds_load_b128 v[52:55], v7 offset:16
	s_wait_loadcnt_dscnt 0x1
	v_mul_f64_e32 v[12:13], v[8:9], v[4:5]
	v_mul_f64_e32 v[4:5], v[10:11], v[4:5]
	s_delay_alu instid0(VALU_DEP_2) | instskip(NEXT) | instid1(VALU_DEP_2)
	v_fmac_f64_e32 v[12:13], v[10:11], v[2:3]
	v_fma_f64 v[2:3], v[8:9], v[2:3], -v[4:5]
	s_delay_alu instid0(VALU_DEP_2) | instskip(NEXT) | instid1(VALU_DEP_2)
	v_add_f64_e32 v[8:9], 0, v[12:13]
	v_add_f64_e32 v[2:3], 0, v[2:3]
	s_wait_dscnt 0x0
	s_delay_alu instid0(VALU_DEP_2) | instskip(NEXT) | instid1(VALU_DEP_2)
	v_mul_f64_e32 v[10:11], v[8:9], v[54:55]
	v_mul_f64_e32 v[4:5], v[2:3], v[54:55]
	s_delay_alu instid0(VALU_DEP_2) | instskip(NEXT) | instid1(VALU_DEP_2)
	v_fma_f64 v[2:3], v[2:3], v[52:53], -v[10:11]
	v_fmac_f64_e32 v[4:5], v[8:9], v[52:53]
	scratch_store_b128 off, v[2:5], off offset:16
.LBB81_19:
	s_wait_xcnt 0x0
	s_or_b32 exec_lo, exec_lo, s3
	s_wait_storecnt 0x0
	s_barrier_signal -1
	s_barrier_wait -1
	scratch_load_b128 v[2:5], off, s27
	s_mov_b32 s3, exec_lo
	s_wait_loadcnt 0x0
	ds_store_b128 v6, v[2:5]
	s_wait_dscnt 0x0
	s_barrier_signal -1
	s_barrier_wait -1
	v_cmpx_gt_u32_e32 2, v1
	s_cbranch_execz .LBB81_23
; %bb.20:
	scratch_load_b128 v[2:5], v19, off
	ds_load_b128 v[8:11], v6
	s_wait_loadcnt_dscnt 0x0
	v_mul_f64_e32 v[12:13], v[10:11], v[4:5]
	v_mul_f64_e32 v[52:53], v[8:9], v[4:5]
	s_delay_alu instid0(VALU_DEP_2) | instskip(NEXT) | instid1(VALU_DEP_2)
	v_fma_f64 v[4:5], v[8:9], v[2:3], -v[12:13]
	v_fmac_f64_e32 v[52:53], v[10:11], v[2:3]
	s_delay_alu instid0(VALU_DEP_2) | instskip(NEXT) | instid1(VALU_DEP_2)
	v_add_f64_e32 v[4:5], 0, v[4:5]
	v_add_f64_e32 v[2:3], 0, v[52:53]
	s_and_saveexec_b32 s30, s2
	s_cbranch_execz .LBB81_22
; %bb.21:
	scratch_load_b128 v[8:11], off, off offset:16
	v_mov_b32_e32 v7, 0
	ds_load_b128 v[52:55], v7 offset:304
	s_wait_loadcnt_dscnt 0x0
	v_mul_f64_e32 v[12:13], v[52:53], v[10:11]
	v_mul_f64_e32 v[10:11], v[54:55], v[10:11]
	s_delay_alu instid0(VALU_DEP_2) | instskip(NEXT) | instid1(VALU_DEP_2)
	v_fmac_f64_e32 v[12:13], v[54:55], v[8:9]
	v_fma_f64 v[8:9], v[52:53], v[8:9], -v[10:11]
	s_delay_alu instid0(VALU_DEP_2) | instskip(NEXT) | instid1(VALU_DEP_2)
	v_add_f64_e32 v[2:3], v[2:3], v[12:13]
	v_add_f64_e32 v[4:5], v[4:5], v[8:9]
.LBB81_22:
	s_or_b32 exec_lo, exec_lo, s30
	v_mov_b32_e32 v7, 0
	ds_load_b128 v[8:11], v7 offset:32
	s_wait_dscnt 0x0
	v_mul_f64_e32 v[52:53], v[2:3], v[10:11]
	v_mul_f64_e32 v[12:13], v[4:5], v[10:11]
	s_delay_alu instid0(VALU_DEP_2) | instskip(NEXT) | instid1(VALU_DEP_2)
	v_fma_f64 v[10:11], v[4:5], v[8:9], -v[52:53]
	v_fmac_f64_e32 v[12:13], v[2:3], v[8:9]
	scratch_store_b128 off, v[10:13], off offset:32
.LBB81_23:
	s_wait_xcnt 0x0
	s_or_b32 exec_lo, exec_lo, s3
	s_wait_storecnt 0x0
	s_barrier_signal -1
	s_barrier_wait -1
	scratch_load_b128 v[2:5], off, s19
	v_add_nc_u32_e32 v7, -1, v1
	s_mov_b32 s2, exec_lo
	s_wait_loadcnt 0x0
	ds_store_b128 v6, v[2:5]
	s_wait_dscnt 0x0
	s_barrier_signal -1
	s_barrier_wait -1
	v_cmpx_gt_u32_e32 3, v1
	s_cbranch_execz .LBB81_27
; %bb.24:
	v_dual_mov_b32 v10, v50 :: v_dual_add_nc_u32 v8, -1, v1
	v_mov_b64_e32 v[2:3], 0
	v_mov_b64_e32 v[4:5], 0
	v_add_nc_u32_e32 v9, 0x120, v50
	s_delay_alu instid0(VALU_DEP_4)
	v_or_b32_e32 v10, 8, v10
	s_mov_b32 s3, 0
.LBB81_25:                              ; =>This Inner Loop Header: Depth=1
	scratch_load_b128 v[52:55], v10, off offset:-8
	ds_load_b128 v[56:59], v9
	v_dual_add_nc_u32 v8, 1, v8 :: v_dual_add_nc_u32 v9, 16, v9
	s_wait_xcnt 0x0
	v_add_nc_u32_e32 v10, 16, v10
	s_delay_alu instid0(VALU_DEP_2) | instskip(SKIP_4) | instid1(VALU_DEP_2)
	v_cmp_lt_u32_e32 vcc_lo, 1, v8
	s_or_b32 s3, vcc_lo, s3
	s_wait_loadcnt_dscnt 0x0
	v_mul_f64_e32 v[12:13], v[58:59], v[54:55]
	v_mul_f64_e32 v[54:55], v[56:57], v[54:55]
	v_fma_f64 v[12:13], v[56:57], v[52:53], -v[12:13]
	s_delay_alu instid0(VALU_DEP_2) | instskip(NEXT) | instid1(VALU_DEP_2)
	v_fmac_f64_e32 v[54:55], v[58:59], v[52:53]
	v_add_f64_e32 v[4:5], v[4:5], v[12:13]
	s_delay_alu instid0(VALU_DEP_2)
	v_add_f64_e32 v[2:3], v[2:3], v[54:55]
	s_and_not1_b32 exec_lo, exec_lo, s3
	s_cbranch_execnz .LBB81_25
; %bb.26:
	s_or_b32 exec_lo, exec_lo, s3
	v_mov_b32_e32 v8, 0
	ds_load_b128 v[8:11], v8 offset:48
	s_wait_dscnt 0x0
	v_mul_f64_e32 v[52:53], v[2:3], v[10:11]
	v_mul_f64_e32 v[12:13], v[4:5], v[10:11]
	s_delay_alu instid0(VALU_DEP_2) | instskip(NEXT) | instid1(VALU_DEP_2)
	v_fma_f64 v[10:11], v[4:5], v[8:9], -v[52:53]
	v_fmac_f64_e32 v[12:13], v[2:3], v[8:9]
	scratch_store_b128 off, v[10:13], off offset:48
.LBB81_27:
	s_wait_xcnt 0x0
	s_or_b32 exec_lo, exec_lo, s2
	s_wait_storecnt 0x0
	s_barrier_signal -1
	s_barrier_wait -1
	scratch_load_b128 v[2:5], off, s20
	s_mov_b32 s2, exec_lo
	s_wait_loadcnt 0x0
	ds_store_b128 v6, v[2:5]
	s_wait_dscnt 0x0
	s_barrier_signal -1
	s_barrier_wait -1
	v_cmpx_gt_u32_e32 4, v1
	s_cbranch_execz .LBB81_31
; %bb.28:
	v_dual_mov_b32 v10, v50 :: v_dual_add_nc_u32 v8, -1, v1
	v_mov_b64_e32 v[2:3], 0
	v_mov_b64_e32 v[4:5], 0
	v_add_nc_u32_e32 v9, 0x120, v50
	s_delay_alu instid0(VALU_DEP_4)
	v_or_b32_e32 v10, 8, v10
	s_mov_b32 s3, 0
.LBB81_29:                              ; =>This Inner Loop Header: Depth=1
	scratch_load_b128 v[52:55], v10, off offset:-8
	ds_load_b128 v[56:59], v9
	v_dual_add_nc_u32 v8, 1, v8 :: v_dual_add_nc_u32 v9, 16, v9
	s_wait_xcnt 0x0
	v_add_nc_u32_e32 v10, 16, v10
	s_delay_alu instid0(VALU_DEP_2) | instskip(SKIP_4) | instid1(VALU_DEP_2)
	v_cmp_lt_u32_e32 vcc_lo, 2, v8
	s_or_b32 s3, vcc_lo, s3
	s_wait_loadcnt_dscnt 0x0
	v_mul_f64_e32 v[12:13], v[58:59], v[54:55]
	v_mul_f64_e32 v[54:55], v[56:57], v[54:55]
	v_fma_f64 v[12:13], v[56:57], v[52:53], -v[12:13]
	s_delay_alu instid0(VALU_DEP_2) | instskip(NEXT) | instid1(VALU_DEP_2)
	v_fmac_f64_e32 v[54:55], v[58:59], v[52:53]
	v_add_f64_e32 v[4:5], v[4:5], v[12:13]
	s_delay_alu instid0(VALU_DEP_2)
	v_add_f64_e32 v[2:3], v[2:3], v[54:55]
	s_and_not1_b32 exec_lo, exec_lo, s3
	s_cbranch_execnz .LBB81_29
; %bb.30:
	s_or_b32 exec_lo, exec_lo, s3
	v_mov_b32_e32 v8, 0
	ds_load_b128 v[8:11], v8 offset:64
	s_wait_dscnt 0x0
	v_mul_f64_e32 v[52:53], v[2:3], v[10:11]
	v_mul_f64_e32 v[12:13], v[4:5], v[10:11]
	s_delay_alu instid0(VALU_DEP_2) | instskip(NEXT) | instid1(VALU_DEP_2)
	v_fma_f64 v[10:11], v[4:5], v[8:9], -v[52:53]
	v_fmac_f64_e32 v[12:13], v[2:3], v[8:9]
	scratch_store_b128 off, v[10:13], off offset:64
.LBB81_31:
	s_wait_xcnt 0x0
	s_or_b32 exec_lo, exec_lo, s2
	s_wait_storecnt 0x0
	s_barrier_signal -1
	s_barrier_wait -1
	scratch_load_b128 v[2:5], off, s12
	;; [unrolled: 54-line block ×14, first 2 shown]
	s_mov_b32 s2, exec_lo
	s_wait_loadcnt 0x0
	ds_store_b128 v6, v[2:5]
	s_wait_dscnt 0x0
	s_barrier_signal -1
	s_barrier_wait -1
	v_cmpx_ne_u32_e32 17, v1
	s_cbranch_execz .LBB81_83
; %bb.80:
	v_mov_b32_e32 v8, v50
	v_mov_b64_e32 v[2:3], 0
	v_mov_b64_e32 v[4:5], 0
	s_mov_b32 s3, 0
	s_delay_alu instid0(VALU_DEP_3)
	v_or_b32_e32 v8, 8, v8
.LBB81_81:                              ; =>This Inner Loop Header: Depth=1
	scratch_load_b128 v[10:13], v8, off offset:-8
	ds_load_b128 v[50:53], v6
	v_dual_add_nc_u32 v7, 1, v7 :: v_dual_add_nc_u32 v6, 16, v6
	s_wait_xcnt 0x0
	v_add_nc_u32_e32 v8, 16, v8
	s_delay_alu instid0(VALU_DEP_2) | instskip(SKIP_4) | instid1(VALU_DEP_2)
	v_cmp_lt_u32_e32 vcc_lo, 15, v7
	s_or_b32 s3, vcc_lo, s3
	s_wait_loadcnt_dscnt 0x0
	v_mul_f64_e32 v[54:55], v[52:53], v[12:13]
	v_mul_f64_e32 v[12:13], v[50:51], v[12:13]
	v_fma_f64 v[50:51], v[50:51], v[10:11], -v[54:55]
	s_delay_alu instid0(VALU_DEP_2) | instskip(NEXT) | instid1(VALU_DEP_2)
	v_fmac_f64_e32 v[12:13], v[52:53], v[10:11]
	v_add_f64_e32 v[4:5], v[4:5], v[50:51]
	s_delay_alu instid0(VALU_DEP_2)
	v_add_f64_e32 v[2:3], v[2:3], v[12:13]
	s_and_not1_b32 exec_lo, exec_lo, s3
	s_cbranch_execnz .LBB81_81
; %bb.82:
	s_or_b32 exec_lo, exec_lo, s3
	v_mov_b32_e32 v6, 0
	ds_load_b128 v[6:9], v6 offset:272
	s_wait_dscnt 0x0
	v_mul_f64_e32 v[12:13], v[2:3], v[8:9]
	v_mul_f64_e32 v[10:11], v[4:5], v[8:9]
	s_delay_alu instid0(VALU_DEP_2) | instskip(NEXT) | instid1(VALU_DEP_2)
	v_fma_f64 v[8:9], v[4:5], v[6:7], -v[12:13]
	v_fmac_f64_e32 v[10:11], v[2:3], v[6:7]
	scratch_store_b128 off, v[8:11], off offset:272
.LBB81_83:
	s_wait_xcnt 0x0
	s_or_b32 exec_lo, exec_lo, s2
	s_mov_b32 s3, -1
	s_wait_storecnt 0x0
	s_barrier_signal -1
	s_barrier_wait -1
.LBB81_84:
	s_and_b32 vcc_lo, exec_lo, s3
	s_cbranch_vccz .LBB81_86
; %bb.85:
	s_wait_xcnt 0x0
	v_mov_b32_e32 v2, 0
	s_lshl_b64 s[2:3], s[10:11], 2
	s_delay_alu instid0(SALU_CYCLE_1)
	s_add_nc_u64 s[2:3], s[6:7], s[2:3]
	global_load_b32 v2, v2, s[2:3]
	s_wait_loadcnt 0x0
	v_cmp_ne_u32_e32 vcc_lo, 0, v2
	s_cbranch_vccz .LBB81_87
.LBB81_86:
	s_sendmsg sendmsg(MSG_DEALLOC_VGPRS)
	s_endpgm
.LBB81_87:
	v_lshl_add_u32 v6, v1, 4, 0x120
	s_wait_xcnt 0x0
	s_mov_b32 s2, exec_lo
	v_cmpx_eq_u32_e32 17, v1
	s_cbranch_execz .LBB81_89
; %bb.88:
	scratch_load_b128 v[2:5], off, s26
	v_mov_b32_e32 v8, 0
	s_delay_alu instid0(VALU_DEP_1)
	v_dual_mov_b32 v9, v8 :: v_dual_mov_b32 v10, v8
	v_mov_b32_e32 v11, v8
	scratch_store_b128 off, v[8:11], off offset:256
	s_wait_loadcnt 0x0
	ds_store_b128 v6, v[2:5]
.LBB81_89:
	s_wait_xcnt 0x0
	s_or_b32 exec_lo, exec_lo, s2
	s_wait_storecnt_dscnt 0x0
	s_barrier_signal -1
	s_barrier_wait -1
	s_clause 0x1
	scratch_load_b128 v[8:11], off, off offset:272
	scratch_load_b128 v[50:53], off, off offset:256
	v_mov_b32_e32 v2, 0
	s_mov_b32 s2, exec_lo
	ds_load_b128 v[54:57], v2 offset:560
	s_wait_loadcnt_dscnt 0x100
	v_mul_f64_e32 v[4:5], v[56:57], v[10:11]
	v_mul_f64_e32 v[10:11], v[54:55], v[10:11]
	s_delay_alu instid0(VALU_DEP_2) | instskip(NEXT) | instid1(VALU_DEP_2)
	v_fma_f64 v[4:5], v[54:55], v[8:9], -v[4:5]
	v_fmac_f64_e32 v[10:11], v[56:57], v[8:9]
	s_delay_alu instid0(VALU_DEP_2) | instskip(NEXT) | instid1(VALU_DEP_2)
	v_add_f64_e32 v[4:5], 0, v[4:5]
	v_add_f64_e32 v[10:11], 0, v[10:11]
	s_wait_loadcnt 0x0
	s_delay_alu instid0(VALU_DEP_2) | instskip(NEXT) | instid1(VALU_DEP_2)
	v_add_f64_e64 v[8:9], v[50:51], -v[4:5]
	v_add_f64_e64 v[10:11], v[52:53], -v[10:11]
	scratch_store_b128 off, v[8:11], off offset:256
	s_wait_xcnt 0x0
	v_cmpx_lt_u32_e32 15, v1
	s_cbranch_execz .LBB81_91
; %bb.90:
	scratch_load_b128 v[8:11], off, s17
	v_dual_mov_b32 v3, v2 :: v_dual_mov_b32 v4, v2
	v_mov_b32_e32 v5, v2
	scratch_store_b128 off, v[2:5], off offset:240
	s_wait_loadcnt 0x0
	ds_store_b128 v6, v[8:11]
.LBB81_91:
	s_wait_xcnt 0x0
	s_or_b32 exec_lo, exec_lo, s2
	s_wait_storecnt_dscnt 0x0
	s_barrier_signal -1
	s_barrier_wait -1
	s_clause 0x2
	scratch_load_b128 v[8:11], off, off offset:256
	scratch_load_b128 v[50:53], off, off offset:272
	;; [unrolled: 1-line block ×3, first 2 shown]
	ds_load_b128 v[58:61], v2 offset:544
	ds_load_b128 v[2:5], v2 offset:560
	s_mov_b32 s2, exec_lo
	s_wait_loadcnt_dscnt 0x201
	v_mul_f64_e32 v[12:13], v[60:61], v[10:11]
	v_mul_f64_e32 v[10:11], v[58:59], v[10:11]
	s_wait_loadcnt_dscnt 0x100
	v_mul_f64_e32 v[62:63], v[2:3], v[52:53]
	v_mul_f64_e32 v[52:53], v[4:5], v[52:53]
	s_delay_alu instid0(VALU_DEP_4) | instskip(NEXT) | instid1(VALU_DEP_4)
	v_fma_f64 v[12:13], v[58:59], v[8:9], -v[12:13]
	v_fmac_f64_e32 v[10:11], v[60:61], v[8:9]
	s_delay_alu instid0(VALU_DEP_4) | instskip(NEXT) | instid1(VALU_DEP_4)
	v_fmac_f64_e32 v[62:63], v[4:5], v[50:51]
	v_fma_f64 v[2:3], v[2:3], v[50:51], -v[52:53]
	s_delay_alu instid0(VALU_DEP_4) | instskip(NEXT) | instid1(VALU_DEP_4)
	v_add_f64_e32 v[4:5], 0, v[12:13]
	v_add_f64_e32 v[8:9], 0, v[10:11]
	s_delay_alu instid0(VALU_DEP_2) | instskip(NEXT) | instid1(VALU_DEP_2)
	v_add_f64_e32 v[2:3], v[4:5], v[2:3]
	v_add_f64_e32 v[4:5], v[8:9], v[62:63]
	s_wait_loadcnt 0x0
	s_delay_alu instid0(VALU_DEP_2) | instskip(NEXT) | instid1(VALU_DEP_2)
	v_add_f64_e64 v[2:3], v[54:55], -v[2:3]
	v_add_f64_e64 v[4:5], v[56:57], -v[4:5]
	scratch_store_b128 off, v[2:5], off offset:240
	s_wait_xcnt 0x0
	v_cmpx_lt_u32_e32 14, v1
	s_cbranch_execz .LBB81_93
; %bb.92:
	scratch_load_b128 v[2:5], off, s25
	v_mov_b32_e32 v8, 0
	s_delay_alu instid0(VALU_DEP_1)
	v_dual_mov_b32 v9, v8 :: v_dual_mov_b32 v10, v8
	v_mov_b32_e32 v11, v8
	scratch_store_b128 off, v[8:11], off offset:224
	s_wait_loadcnt 0x0
	ds_store_b128 v6, v[2:5]
.LBB81_93:
	s_wait_xcnt 0x0
	s_or_b32 exec_lo, exec_lo, s2
	s_wait_storecnt_dscnt 0x0
	s_barrier_signal -1
	s_barrier_wait -1
	s_clause 0x3
	scratch_load_b128 v[8:11], off, off offset:240
	scratch_load_b128 v[50:53], off, off offset:256
	;; [unrolled: 1-line block ×4, first 2 shown]
	v_mov_b32_e32 v2, 0
	ds_load_b128 v[62:65], v2 offset:528
	ds_load_b128 v[66:69], v2 offset:544
	s_mov_b32 s2, exec_lo
	s_wait_loadcnt_dscnt 0x301
	v_mul_f64_e32 v[4:5], v[64:65], v[10:11]
	v_mul_f64_e32 v[12:13], v[62:63], v[10:11]
	s_wait_loadcnt_dscnt 0x200
	v_mul_f64_e32 v[70:71], v[66:67], v[52:53]
	v_mul_f64_e32 v[52:53], v[68:69], v[52:53]
	s_delay_alu instid0(VALU_DEP_4) | instskip(NEXT) | instid1(VALU_DEP_4)
	v_fma_f64 v[4:5], v[62:63], v[8:9], -v[4:5]
	v_fmac_f64_e32 v[12:13], v[64:65], v[8:9]
	ds_load_b128 v[8:11], v2 offset:560
	v_fmac_f64_e32 v[70:71], v[68:69], v[50:51]
	v_fma_f64 v[50:51], v[66:67], v[50:51], -v[52:53]
	s_wait_loadcnt_dscnt 0x100
	v_mul_f64_e32 v[62:63], v[8:9], v[56:57]
	v_mul_f64_e32 v[56:57], v[10:11], v[56:57]
	v_add_f64_e32 v[4:5], 0, v[4:5]
	v_add_f64_e32 v[12:13], 0, v[12:13]
	s_delay_alu instid0(VALU_DEP_4) | instskip(NEXT) | instid1(VALU_DEP_4)
	v_fmac_f64_e32 v[62:63], v[10:11], v[54:55]
	v_fma_f64 v[8:9], v[8:9], v[54:55], -v[56:57]
	s_delay_alu instid0(VALU_DEP_4) | instskip(NEXT) | instid1(VALU_DEP_4)
	v_add_f64_e32 v[4:5], v[4:5], v[50:51]
	v_add_f64_e32 v[10:11], v[12:13], v[70:71]
	s_delay_alu instid0(VALU_DEP_2) | instskip(NEXT) | instid1(VALU_DEP_2)
	v_add_f64_e32 v[4:5], v[4:5], v[8:9]
	v_add_f64_e32 v[10:11], v[10:11], v[62:63]
	s_wait_loadcnt 0x0
	s_delay_alu instid0(VALU_DEP_2) | instskip(NEXT) | instid1(VALU_DEP_2)
	v_add_f64_e64 v[8:9], v[58:59], -v[4:5]
	v_add_f64_e64 v[10:11], v[60:61], -v[10:11]
	scratch_store_b128 off, v[8:11], off offset:224
	s_wait_xcnt 0x0
	v_cmpx_lt_u32_e32 13, v1
	s_cbranch_execz .LBB81_95
; %bb.94:
	scratch_load_b128 v[8:11], off, s16
	v_dual_mov_b32 v3, v2 :: v_dual_mov_b32 v4, v2
	v_mov_b32_e32 v5, v2
	scratch_store_b128 off, v[2:5], off offset:208
	s_wait_loadcnt 0x0
	ds_store_b128 v6, v[8:11]
.LBB81_95:
	s_wait_xcnt 0x0
	s_or_b32 exec_lo, exec_lo, s2
	s_wait_storecnt_dscnt 0x0
	s_barrier_signal -1
	s_barrier_wait -1
	s_clause 0x4
	scratch_load_b128 v[8:11], off, off offset:224
	scratch_load_b128 v[50:53], off, off offset:240
	scratch_load_b128 v[54:57], off, off offset:256
	scratch_load_b128 v[58:61], off, off offset:272
	scratch_load_b128 v[62:65], off, off offset:208
	ds_load_b128 v[66:69], v2 offset:512
	ds_load_b128 v[70:73], v2 offset:528
	s_mov_b32 s2, exec_lo
	s_wait_loadcnt_dscnt 0x401
	v_mul_f64_e32 v[4:5], v[68:69], v[10:11]
	v_mul_f64_e32 v[12:13], v[66:67], v[10:11]
	s_wait_loadcnt_dscnt 0x300
	v_mul_f64_e32 v[74:75], v[70:71], v[52:53]
	v_mul_f64_e32 v[52:53], v[72:73], v[52:53]
	s_delay_alu instid0(VALU_DEP_4) | instskip(NEXT) | instid1(VALU_DEP_4)
	v_fma_f64 v[66:67], v[66:67], v[8:9], -v[4:5]
	v_fmac_f64_e32 v[12:13], v[68:69], v[8:9]
	ds_load_b128 v[8:11], v2 offset:544
	ds_load_b128 v[2:5], v2 offset:560
	v_fmac_f64_e32 v[74:75], v[72:73], v[50:51]
	v_fma_f64 v[50:51], v[70:71], v[50:51], -v[52:53]
	s_wait_loadcnt_dscnt 0x201
	v_mul_f64_e32 v[68:69], v[8:9], v[56:57]
	v_mul_f64_e32 v[56:57], v[10:11], v[56:57]
	v_add_f64_e32 v[52:53], 0, v[66:67]
	v_add_f64_e32 v[12:13], 0, v[12:13]
	s_wait_loadcnt_dscnt 0x100
	v_mul_f64_e32 v[66:67], v[2:3], v[60:61]
	v_mul_f64_e32 v[60:61], v[4:5], v[60:61]
	v_fmac_f64_e32 v[68:69], v[10:11], v[54:55]
	v_fma_f64 v[8:9], v[8:9], v[54:55], -v[56:57]
	v_add_f64_e32 v[10:11], v[52:53], v[50:51]
	v_add_f64_e32 v[12:13], v[12:13], v[74:75]
	v_fmac_f64_e32 v[66:67], v[4:5], v[58:59]
	v_fma_f64 v[2:3], v[2:3], v[58:59], -v[60:61]
	s_delay_alu instid0(VALU_DEP_4) | instskip(NEXT) | instid1(VALU_DEP_4)
	v_add_f64_e32 v[4:5], v[10:11], v[8:9]
	v_add_f64_e32 v[8:9], v[12:13], v[68:69]
	s_delay_alu instid0(VALU_DEP_2) | instskip(NEXT) | instid1(VALU_DEP_2)
	v_add_f64_e32 v[2:3], v[4:5], v[2:3]
	v_add_f64_e32 v[4:5], v[8:9], v[66:67]
	s_wait_loadcnt 0x0
	s_delay_alu instid0(VALU_DEP_2) | instskip(NEXT) | instid1(VALU_DEP_2)
	v_add_f64_e64 v[2:3], v[62:63], -v[2:3]
	v_add_f64_e64 v[4:5], v[64:65], -v[4:5]
	scratch_store_b128 off, v[2:5], off offset:208
	s_wait_xcnt 0x0
	v_cmpx_lt_u32_e32 12, v1
	s_cbranch_execz .LBB81_97
; %bb.96:
	scratch_load_b128 v[2:5], off, s24
	v_mov_b32_e32 v8, 0
	s_delay_alu instid0(VALU_DEP_1)
	v_dual_mov_b32 v9, v8 :: v_dual_mov_b32 v10, v8
	v_mov_b32_e32 v11, v8
	scratch_store_b128 off, v[8:11], off offset:192
	s_wait_loadcnt 0x0
	ds_store_b128 v6, v[2:5]
.LBB81_97:
	s_wait_xcnt 0x0
	s_or_b32 exec_lo, exec_lo, s2
	s_wait_storecnt_dscnt 0x0
	s_barrier_signal -1
	s_barrier_wait -1
	s_clause 0x5
	scratch_load_b128 v[8:11], off, off offset:208
	scratch_load_b128 v[50:53], off, off offset:224
	scratch_load_b128 v[54:57], off, off offset:240
	scratch_load_b128 v[58:61], off, off offset:256
	scratch_load_b128 v[62:65], off, off offset:272
	scratch_load_b128 v[66:69], off, off offset:192
	v_mov_b32_e32 v2, 0
	ds_load_b128 v[70:73], v2 offset:496
	ds_load_b128 v[74:77], v2 offset:512
	s_mov_b32 s2, exec_lo
	s_wait_loadcnt_dscnt 0x501
	v_mul_f64_e32 v[4:5], v[72:73], v[10:11]
	v_mul_f64_e32 v[12:13], v[70:71], v[10:11]
	s_wait_loadcnt_dscnt 0x400
	v_mul_f64_e32 v[78:79], v[74:75], v[52:53]
	v_mul_f64_e32 v[52:53], v[76:77], v[52:53]
	s_delay_alu instid0(VALU_DEP_4) | instskip(NEXT) | instid1(VALU_DEP_4)
	v_fma_f64 v[4:5], v[70:71], v[8:9], -v[4:5]
	v_fmac_f64_e32 v[12:13], v[72:73], v[8:9]
	ds_load_b128 v[8:11], v2 offset:528
	ds_load_b128 v[70:73], v2 offset:544
	v_fmac_f64_e32 v[78:79], v[76:77], v[50:51]
	v_fma_f64 v[50:51], v[74:75], v[50:51], -v[52:53]
	s_wait_loadcnt_dscnt 0x301
	v_mul_f64_e32 v[80:81], v[8:9], v[56:57]
	v_mul_f64_e32 v[56:57], v[10:11], v[56:57]
	s_wait_loadcnt_dscnt 0x200
	v_mul_f64_e32 v[52:53], v[70:71], v[60:61]
	v_mul_f64_e32 v[60:61], v[72:73], v[60:61]
	v_add_f64_e32 v[4:5], 0, v[4:5]
	v_add_f64_e32 v[12:13], 0, v[12:13]
	v_fmac_f64_e32 v[80:81], v[10:11], v[54:55]
	v_fma_f64 v[54:55], v[8:9], v[54:55], -v[56:57]
	ds_load_b128 v[8:11], v2 offset:560
	v_fmac_f64_e32 v[52:53], v[72:73], v[58:59]
	v_fma_f64 v[58:59], v[70:71], v[58:59], -v[60:61]
	v_add_f64_e32 v[4:5], v[4:5], v[50:51]
	v_add_f64_e32 v[12:13], v[12:13], v[78:79]
	s_wait_loadcnt_dscnt 0x100
	v_mul_f64_e32 v[50:51], v[8:9], v[64:65]
	v_mul_f64_e32 v[56:57], v[10:11], v[64:65]
	s_delay_alu instid0(VALU_DEP_4) | instskip(NEXT) | instid1(VALU_DEP_4)
	v_add_f64_e32 v[4:5], v[4:5], v[54:55]
	v_add_f64_e32 v[12:13], v[12:13], v[80:81]
	s_delay_alu instid0(VALU_DEP_4) | instskip(NEXT) | instid1(VALU_DEP_4)
	v_fmac_f64_e32 v[50:51], v[10:11], v[62:63]
	v_fma_f64 v[8:9], v[8:9], v[62:63], -v[56:57]
	s_delay_alu instid0(VALU_DEP_4) | instskip(NEXT) | instid1(VALU_DEP_4)
	v_add_f64_e32 v[4:5], v[4:5], v[58:59]
	v_add_f64_e32 v[10:11], v[12:13], v[52:53]
	s_delay_alu instid0(VALU_DEP_2) | instskip(NEXT) | instid1(VALU_DEP_2)
	v_add_f64_e32 v[4:5], v[4:5], v[8:9]
	v_add_f64_e32 v[10:11], v[10:11], v[50:51]
	s_wait_loadcnt 0x0
	s_delay_alu instid0(VALU_DEP_2) | instskip(NEXT) | instid1(VALU_DEP_2)
	v_add_f64_e64 v[8:9], v[66:67], -v[4:5]
	v_add_f64_e64 v[10:11], v[68:69], -v[10:11]
	scratch_store_b128 off, v[8:11], off offset:192
	s_wait_xcnt 0x0
	v_cmpx_lt_u32_e32 11, v1
	s_cbranch_execz .LBB81_99
; %bb.98:
	scratch_load_b128 v[8:11], off, s15
	v_dual_mov_b32 v3, v2 :: v_dual_mov_b32 v4, v2
	v_mov_b32_e32 v5, v2
	scratch_store_b128 off, v[2:5], off offset:176
	s_wait_loadcnt 0x0
	ds_store_b128 v6, v[8:11]
.LBB81_99:
	s_wait_xcnt 0x0
	s_or_b32 exec_lo, exec_lo, s2
	s_wait_storecnt_dscnt 0x0
	s_barrier_signal -1
	s_barrier_wait -1
	s_clause 0x6
	scratch_load_b128 v[8:11], off, off offset:192
	scratch_load_b128 v[50:53], off, off offset:208
	;; [unrolled: 1-line block ×7, first 2 shown]
	ds_load_b128 v[74:77], v2 offset:480
	ds_load_b128 v[78:81], v2 offset:496
	s_mov_b32 s2, exec_lo
	s_wait_loadcnt_dscnt 0x601
	v_mul_f64_e32 v[4:5], v[76:77], v[10:11]
	v_mul_f64_e32 v[12:13], v[74:75], v[10:11]
	s_wait_loadcnt_dscnt 0x500
	v_mul_f64_e32 v[82:83], v[78:79], v[52:53]
	v_mul_f64_e32 v[52:53], v[80:81], v[52:53]
	s_delay_alu instid0(VALU_DEP_4) | instskip(NEXT) | instid1(VALU_DEP_4)
	v_fma_f64 v[4:5], v[74:75], v[8:9], -v[4:5]
	v_fmac_f64_e32 v[12:13], v[76:77], v[8:9]
	ds_load_b128 v[8:11], v2 offset:512
	ds_load_b128 v[74:77], v2 offset:528
	v_fmac_f64_e32 v[82:83], v[80:81], v[50:51]
	v_fma_f64 v[50:51], v[78:79], v[50:51], -v[52:53]
	s_wait_loadcnt_dscnt 0x401
	v_mul_f64_e32 v[84:85], v[8:9], v[56:57]
	v_mul_f64_e32 v[56:57], v[10:11], v[56:57]
	s_wait_loadcnt_dscnt 0x300
	v_mul_f64_e32 v[52:53], v[74:75], v[60:61]
	v_mul_f64_e32 v[60:61], v[76:77], v[60:61]
	v_add_f64_e32 v[4:5], 0, v[4:5]
	v_add_f64_e32 v[12:13], 0, v[12:13]
	v_fmac_f64_e32 v[84:85], v[10:11], v[54:55]
	v_fma_f64 v[54:55], v[8:9], v[54:55], -v[56:57]
	v_fmac_f64_e32 v[52:53], v[76:77], v[58:59]
	v_fma_f64 v[58:59], v[74:75], v[58:59], -v[60:61]
	v_add_f64_e32 v[50:51], v[4:5], v[50:51]
	v_add_f64_e32 v[12:13], v[12:13], v[82:83]
	ds_load_b128 v[8:11], v2 offset:544
	ds_load_b128 v[2:5], v2 offset:560
	s_wait_loadcnt_dscnt 0x201
	v_mul_f64_e32 v[56:57], v[8:9], v[64:65]
	v_mul_f64_e32 v[64:65], v[10:11], v[64:65]
	s_wait_loadcnt_dscnt 0x100
	v_mul_f64_e32 v[60:61], v[4:5], v[68:69]
	v_add_f64_e32 v[50:51], v[50:51], v[54:55]
	v_add_f64_e32 v[12:13], v[12:13], v[84:85]
	v_mul_f64_e32 v[54:55], v[2:3], v[68:69]
	v_fmac_f64_e32 v[56:57], v[10:11], v[62:63]
	v_fma_f64 v[8:9], v[8:9], v[62:63], -v[64:65]
	v_fma_f64 v[2:3], v[2:3], v[66:67], -v[60:61]
	v_add_f64_e32 v[10:11], v[50:51], v[58:59]
	v_add_f64_e32 v[12:13], v[12:13], v[52:53]
	v_fmac_f64_e32 v[54:55], v[4:5], v[66:67]
	s_delay_alu instid0(VALU_DEP_3) | instskip(NEXT) | instid1(VALU_DEP_3)
	v_add_f64_e32 v[4:5], v[10:11], v[8:9]
	v_add_f64_e32 v[8:9], v[12:13], v[56:57]
	s_delay_alu instid0(VALU_DEP_2) | instskip(NEXT) | instid1(VALU_DEP_2)
	v_add_f64_e32 v[2:3], v[4:5], v[2:3]
	v_add_f64_e32 v[4:5], v[8:9], v[54:55]
	s_wait_loadcnt 0x0
	s_delay_alu instid0(VALU_DEP_2) | instskip(NEXT) | instid1(VALU_DEP_2)
	v_add_f64_e64 v[2:3], v[70:71], -v[2:3]
	v_add_f64_e64 v[4:5], v[72:73], -v[4:5]
	scratch_store_b128 off, v[2:5], off offset:176
	s_wait_xcnt 0x0
	v_cmpx_lt_u32_e32 10, v1
	s_cbranch_execz .LBB81_101
; %bb.100:
	scratch_load_b128 v[2:5], off, s23
	v_mov_b32_e32 v8, 0
	s_delay_alu instid0(VALU_DEP_1)
	v_dual_mov_b32 v9, v8 :: v_dual_mov_b32 v10, v8
	v_mov_b32_e32 v11, v8
	scratch_store_b128 off, v[8:11], off offset:160
	s_wait_loadcnt 0x0
	ds_store_b128 v6, v[2:5]
.LBB81_101:
	s_wait_xcnt 0x0
	s_or_b32 exec_lo, exec_lo, s2
	s_wait_storecnt_dscnt 0x0
	s_barrier_signal -1
	s_barrier_wait -1
	s_clause 0x7
	scratch_load_b128 v[8:11], off, off offset:176
	scratch_load_b128 v[50:53], off, off offset:192
	;; [unrolled: 1-line block ×8, first 2 shown]
	v_mov_b32_e32 v2, 0
	ds_load_b128 v[78:81], v2 offset:464
	ds_load_b128 v[82:85], v2 offset:480
	s_mov_b32 s2, exec_lo
	s_wait_loadcnt_dscnt 0x701
	v_mul_f64_e32 v[4:5], v[80:81], v[10:11]
	v_mul_f64_e32 v[12:13], v[78:79], v[10:11]
	s_wait_loadcnt_dscnt 0x600
	v_mul_f64_e32 v[86:87], v[82:83], v[52:53]
	v_mul_f64_e32 v[52:53], v[84:85], v[52:53]
	s_delay_alu instid0(VALU_DEP_4) | instskip(NEXT) | instid1(VALU_DEP_4)
	v_fma_f64 v[4:5], v[78:79], v[8:9], -v[4:5]
	v_fmac_f64_e32 v[12:13], v[80:81], v[8:9]
	ds_load_b128 v[8:11], v2 offset:496
	ds_load_b128 v[78:81], v2 offset:512
	v_fmac_f64_e32 v[86:87], v[84:85], v[50:51]
	v_fma_f64 v[50:51], v[82:83], v[50:51], -v[52:53]
	s_wait_loadcnt_dscnt 0x501
	v_mul_f64_e32 v[88:89], v[8:9], v[56:57]
	v_mul_f64_e32 v[56:57], v[10:11], v[56:57]
	s_wait_loadcnt_dscnt 0x400
	v_mul_f64_e32 v[82:83], v[78:79], v[60:61]
	v_mul_f64_e32 v[60:61], v[80:81], v[60:61]
	v_add_f64_e32 v[4:5], 0, v[4:5]
	v_add_f64_e32 v[12:13], 0, v[12:13]
	v_fmac_f64_e32 v[88:89], v[10:11], v[54:55]
	v_fma_f64 v[54:55], v[8:9], v[54:55], -v[56:57]
	v_fmac_f64_e32 v[82:83], v[80:81], v[58:59]
	v_fma_f64 v[58:59], v[78:79], v[58:59], -v[60:61]
	v_add_f64_e32 v[4:5], v[4:5], v[50:51]
	v_add_f64_e32 v[12:13], v[12:13], v[86:87]
	ds_load_b128 v[8:11], v2 offset:528
	ds_load_b128 v[50:53], v2 offset:544
	s_wait_loadcnt_dscnt 0x301
	v_mul_f64_e32 v[56:57], v[8:9], v[64:65]
	v_mul_f64_e32 v[64:65], v[10:11], v[64:65]
	s_wait_loadcnt_dscnt 0x200
	v_mul_f64_e32 v[60:61], v[52:53], v[68:69]
	v_add_f64_e32 v[4:5], v[4:5], v[54:55]
	v_add_f64_e32 v[12:13], v[12:13], v[88:89]
	v_mul_f64_e32 v[54:55], v[50:51], v[68:69]
	v_fmac_f64_e32 v[56:57], v[10:11], v[62:63]
	v_fma_f64 v[62:63], v[8:9], v[62:63], -v[64:65]
	ds_load_b128 v[8:11], v2 offset:560
	v_fma_f64 v[50:51], v[50:51], v[66:67], -v[60:61]
	v_add_f64_e32 v[4:5], v[4:5], v[58:59]
	v_add_f64_e32 v[12:13], v[12:13], v[82:83]
	v_fmac_f64_e32 v[54:55], v[52:53], v[66:67]
	s_wait_loadcnt_dscnt 0x100
	v_mul_f64_e32 v[58:59], v[8:9], v[72:73]
	v_mul_f64_e32 v[64:65], v[10:11], v[72:73]
	v_add_f64_e32 v[4:5], v[4:5], v[62:63]
	v_add_f64_e32 v[12:13], v[12:13], v[56:57]
	s_delay_alu instid0(VALU_DEP_4) | instskip(NEXT) | instid1(VALU_DEP_4)
	v_fmac_f64_e32 v[58:59], v[10:11], v[70:71]
	v_fma_f64 v[8:9], v[8:9], v[70:71], -v[64:65]
	s_delay_alu instid0(VALU_DEP_4) | instskip(NEXT) | instid1(VALU_DEP_4)
	v_add_f64_e32 v[4:5], v[4:5], v[50:51]
	v_add_f64_e32 v[10:11], v[12:13], v[54:55]
	s_delay_alu instid0(VALU_DEP_2) | instskip(NEXT) | instid1(VALU_DEP_2)
	v_add_f64_e32 v[4:5], v[4:5], v[8:9]
	v_add_f64_e32 v[10:11], v[10:11], v[58:59]
	s_wait_loadcnt 0x0
	s_delay_alu instid0(VALU_DEP_2) | instskip(NEXT) | instid1(VALU_DEP_2)
	v_add_f64_e64 v[8:9], v[74:75], -v[4:5]
	v_add_f64_e64 v[10:11], v[76:77], -v[10:11]
	scratch_store_b128 off, v[8:11], off offset:160
	s_wait_xcnt 0x0
	v_cmpx_lt_u32_e32 9, v1
	s_cbranch_execz .LBB81_103
; %bb.102:
	scratch_load_b128 v[8:11], off, s14
	v_dual_mov_b32 v3, v2 :: v_dual_mov_b32 v4, v2
	v_mov_b32_e32 v5, v2
	scratch_store_b128 off, v[2:5], off offset:144
	s_wait_loadcnt 0x0
	ds_store_b128 v6, v[8:11]
.LBB81_103:
	s_wait_xcnt 0x0
	s_or_b32 exec_lo, exec_lo, s2
	s_wait_storecnt_dscnt 0x0
	s_barrier_signal -1
	s_barrier_wait -1
	s_clause 0x7
	scratch_load_b128 v[8:11], off, off offset:160
	scratch_load_b128 v[50:53], off, off offset:176
	;; [unrolled: 1-line block ×8, first 2 shown]
	ds_load_b128 v[78:81], v2 offset:448
	ds_load_b128 v[82:85], v2 offset:464
	scratch_load_b128 v[86:89], off, off offset:144
	s_mov_b32 s2, exec_lo
	s_wait_loadcnt_dscnt 0x801
	v_mul_f64_e32 v[4:5], v[80:81], v[10:11]
	v_mul_f64_e32 v[12:13], v[78:79], v[10:11]
	s_wait_loadcnt_dscnt 0x700
	v_mul_f64_e32 v[90:91], v[82:83], v[52:53]
	v_mul_f64_e32 v[52:53], v[84:85], v[52:53]
	s_delay_alu instid0(VALU_DEP_4) | instskip(NEXT) | instid1(VALU_DEP_4)
	v_fma_f64 v[4:5], v[78:79], v[8:9], -v[4:5]
	v_fmac_f64_e32 v[12:13], v[80:81], v[8:9]
	ds_load_b128 v[8:11], v2 offset:480
	ds_load_b128 v[78:81], v2 offset:496
	v_fmac_f64_e32 v[90:91], v[84:85], v[50:51]
	v_fma_f64 v[50:51], v[82:83], v[50:51], -v[52:53]
	s_wait_loadcnt_dscnt 0x601
	v_mul_f64_e32 v[92:93], v[8:9], v[56:57]
	v_mul_f64_e32 v[56:57], v[10:11], v[56:57]
	s_wait_loadcnt_dscnt 0x500
	v_mul_f64_e32 v[82:83], v[78:79], v[60:61]
	v_mul_f64_e32 v[60:61], v[80:81], v[60:61]
	v_add_f64_e32 v[4:5], 0, v[4:5]
	v_add_f64_e32 v[12:13], 0, v[12:13]
	v_fmac_f64_e32 v[92:93], v[10:11], v[54:55]
	v_fma_f64 v[54:55], v[8:9], v[54:55], -v[56:57]
	v_fmac_f64_e32 v[82:83], v[80:81], v[58:59]
	v_fma_f64 v[58:59], v[78:79], v[58:59], -v[60:61]
	v_add_f64_e32 v[4:5], v[4:5], v[50:51]
	v_add_f64_e32 v[12:13], v[12:13], v[90:91]
	ds_load_b128 v[8:11], v2 offset:512
	ds_load_b128 v[50:53], v2 offset:528
	s_wait_loadcnt_dscnt 0x401
	v_mul_f64_e32 v[56:57], v[8:9], v[64:65]
	v_mul_f64_e32 v[64:65], v[10:11], v[64:65]
	s_wait_loadcnt_dscnt 0x300
	v_mul_f64_e32 v[60:61], v[52:53], v[68:69]
	v_add_f64_e32 v[4:5], v[4:5], v[54:55]
	v_add_f64_e32 v[12:13], v[12:13], v[92:93]
	v_mul_f64_e32 v[54:55], v[50:51], v[68:69]
	v_fmac_f64_e32 v[56:57], v[10:11], v[62:63]
	v_fma_f64 v[62:63], v[8:9], v[62:63], -v[64:65]
	v_fma_f64 v[50:51], v[50:51], v[66:67], -v[60:61]
	v_add_f64_e32 v[58:59], v[4:5], v[58:59]
	v_add_f64_e32 v[12:13], v[12:13], v[82:83]
	ds_load_b128 v[8:11], v2 offset:544
	ds_load_b128 v[2:5], v2 offset:560
	v_fmac_f64_e32 v[54:55], v[52:53], v[66:67]
	s_wait_loadcnt_dscnt 0x201
	v_mul_f64_e32 v[64:65], v[8:9], v[72:73]
	v_mul_f64_e32 v[68:69], v[10:11], v[72:73]
	v_add_f64_e32 v[52:53], v[58:59], v[62:63]
	v_add_f64_e32 v[12:13], v[12:13], v[56:57]
	s_wait_loadcnt_dscnt 0x100
	v_mul_f64_e32 v[56:57], v[2:3], v[76:77]
	v_mul_f64_e32 v[58:59], v[4:5], v[76:77]
	v_fmac_f64_e32 v[64:65], v[10:11], v[70:71]
	v_fma_f64 v[8:9], v[8:9], v[70:71], -v[68:69]
	v_add_f64_e32 v[10:11], v[52:53], v[50:51]
	v_add_f64_e32 v[12:13], v[12:13], v[54:55]
	v_fmac_f64_e32 v[56:57], v[4:5], v[74:75]
	v_fma_f64 v[2:3], v[2:3], v[74:75], -v[58:59]
	s_delay_alu instid0(VALU_DEP_4) | instskip(NEXT) | instid1(VALU_DEP_4)
	v_add_f64_e32 v[4:5], v[10:11], v[8:9]
	v_add_f64_e32 v[8:9], v[12:13], v[64:65]
	s_delay_alu instid0(VALU_DEP_2) | instskip(NEXT) | instid1(VALU_DEP_2)
	v_add_f64_e32 v[2:3], v[4:5], v[2:3]
	v_add_f64_e32 v[4:5], v[8:9], v[56:57]
	s_wait_loadcnt 0x0
	s_delay_alu instid0(VALU_DEP_2) | instskip(NEXT) | instid1(VALU_DEP_2)
	v_add_f64_e64 v[2:3], v[86:87], -v[2:3]
	v_add_f64_e64 v[4:5], v[88:89], -v[4:5]
	scratch_store_b128 off, v[2:5], off offset:144
	s_wait_xcnt 0x0
	v_cmpx_lt_u32_e32 8, v1
	s_cbranch_execz .LBB81_105
; %bb.104:
	scratch_load_b128 v[2:5], off, s22
	v_mov_b32_e32 v8, 0
	s_delay_alu instid0(VALU_DEP_1)
	v_dual_mov_b32 v9, v8 :: v_dual_mov_b32 v10, v8
	v_mov_b32_e32 v11, v8
	scratch_store_b128 off, v[8:11], off offset:128
	s_wait_loadcnt 0x0
	ds_store_b128 v6, v[2:5]
.LBB81_105:
	s_wait_xcnt 0x0
	s_or_b32 exec_lo, exec_lo, s2
	s_wait_storecnt_dscnt 0x0
	s_barrier_signal -1
	s_barrier_wait -1
	s_clause 0x8
	scratch_load_b128 v[8:11], off, off offset:144
	scratch_load_b128 v[50:53], off, off offset:160
	;; [unrolled: 1-line block ×9, first 2 shown]
	v_mov_b32_e32 v2, 0
	scratch_load_b128 v[86:89], off, off offset:128
	s_mov_b32 s2, exec_lo
	ds_load_b128 v[82:85], v2 offset:432
	ds_load_b128 v[90:93], v2 offset:448
	s_wait_loadcnt_dscnt 0x901
	v_mul_f64_e32 v[4:5], v[84:85], v[10:11]
	v_mul_f64_e32 v[12:13], v[82:83], v[10:11]
	s_wait_loadcnt_dscnt 0x800
	v_mul_f64_e32 v[94:95], v[90:91], v[52:53]
	v_mul_f64_e32 v[52:53], v[92:93], v[52:53]
	s_delay_alu instid0(VALU_DEP_4) | instskip(NEXT) | instid1(VALU_DEP_4)
	v_fma_f64 v[4:5], v[82:83], v[8:9], -v[4:5]
	v_fmac_f64_e32 v[12:13], v[84:85], v[8:9]
	ds_load_b128 v[8:11], v2 offset:464
	ds_load_b128 v[82:85], v2 offset:480
	v_fmac_f64_e32 v[94:95], v[92:93], v[50:51]
	v_fma_f64 v[50:51], v[90:91], v[50:51], -v[52:53]
	s_wait_loadcnt_dscnt 0x701
	v_mul_f64_e32 v[96:97], v[8:9], v[56:57]
	v_mul_f64_e32 v[56:57], v[10:11], v[56:57]
	s_wait_loadcnt_dscnt 0x600
	v_mul_f64_e32 v[90:91], v[82:83], v[60:61]
	v_mul_f64_e32 v[60:61], v[84:85], v[60:61]
	v_add_f64_e32 v[4:5], 0, v[4:5]
	v_add_f64_e32 v[12:13], 0, v[12:13]
	v_fmac_f64_e32 v[96:97], v[10:11], v[54:55]
	v_fma_f64 v[54:55], v[8:9], v[54:55], -v[56:57]
	v_fmac_f64_e32 v[90:91], v[84:85], v[58:59]
	v_fma_f64 v[58:59], v[82:83], v[58:59], -v[60:61]
	v_add_f64_e32 v[4:5], v[4:5], v[50:51]
	v_add_f64_e32 v[12:13], v[12:13], v[94:95]
	ds_load_b128 v[8:11], v2 offset:496
	ds_load_b128 v[50:53], v2 offset:512
	s_wait_loadcnt_dscnt 0x501
	v_mul_f64_e32 v[92:93], v[8:9], v[64:65]
	v_mul_f64_e32 v[56:57], v[10:11], v[64:65]
	s_wait_loadcnt_dscnt 0x400
	v_mul_f64_e32 v[60:61], v[50:51], v[68:69]
	v_mul_f64_e32 v[64:65], v[52:53], v[68:69]
	v_add_f64_e32 v[4:5], v[4:5], v[54:55]
	v_add_f64_e32 v[12:13], v[12:13], v[96:97]
	v_fmac_f64_e32 v[92:93], v[10:11], v[62:63]
	v_fma_f64 v[62:63], v[8:9], v[62:63], -v[56:57]
	ds_load_b128 v[8:11], v2 offset:528
	ds_load_b128 v[54:57], v2 offset:544
	v_fmac_f64_e32 v[60:61], v[52:53], v[66:67]
	v_fma_f64 v[50:51], v[50:51], v[66:67], -v[64:65]
	v_add_f64_e32 v[4:5], v[4:5], v[58:59]
	v_add_f64_e32 v[12:13], v[12:13], v[90:91]
	s_wait_loadcnt_dscnt 0x301
	v_mul_f64_e32 v[58:59], v[8:9], v[72:73]
	v_mul_f64_e32 v[68:69], v[10:11], v[72:73]
	s_wait_loadcnt_dscnt 0x200
	v_mul_f64_e32 v[52:53], v[54:55], v[76:77]
	v_add_f64_e32 v[4:5], v[4:5], v[62:63]
	v_add_f64_e32 v[12:13], v[12:13], v[92:93]
	v_mul_f64_e32 v[62:63], v[56:57], v[76:77]
	v_fmac_f64_e32 v[58:59], v[10:11], v[70:71]
	v_fma_f64 v[64:65], v[8:9], v[70:71], -v[68:69]
	ds_load_b128 v[8:11], v2 offset:560
	v_fmac_f64_e32 v[52:53], v[56:57], v[74:75]
	v_add_f64_e32 v[4:5], v[4:5], v[50:51]
	v_add_f64_e32 v[12:13], v[12:13], v[60:61]
	s_wait_loadcnt_dscnt 0x100
	v_mul_f64_e32 v[50:51], v[8:9], v[80:81]
	v_mul_f64_e32 v[60:61], v[10:11], v[80:81]
	v_fma_f64 v[54:55], v[54:55], v[74:75], -v[62:63]
	v_add_f64_e32 v[4:5], v[4:5], v[64:65]
	v_add_f64_e32 v[12:13], v[12:13], v[58:59]
	v_fmac_f64_e32 v[50:51], v[10:11], v[78:79]
	v_fma_f64 v[8:9], v[8:9], v[78:79], -v[60:61]
	s_delay_alu instid0(VALU_DEP_4) | instskip(NEXT) | instid1(VALU_DEP_4)
	v_add_f64_e32 v[4:5], v[4:5], v[54:55]
	v_add_f64_e32 v[10:11], v[12:13], v[52:53]
	s_delay_alu instid0(VALU_DEP_2) | instskip(NEXT) | instid1(VALU_DEP_2)
	v_add_f64_e32 v[4:5], v[4:5], v[8:9]
	v_add_f64_e32 v[10:11], v[10:11], v[50:51]
	s_wait_loadcnt 0x0
	s_delay_alu instid0(VALU_DEP_2) | instskip(NEXT) | instid1(VALU_DEP_2)
	v_add_f64_e64 v[8:9], v[86:87], -v[4:5]
	v_add_f64_e64 v[10:11], v[88:89], -v[10:11]
	scratch_store_b128 off, v[8:11], off offset:128
	s_wait_xcnt 0x0
	v_cmpx_lt_u32_e32 7, v1
	s_cbranch_execz .LBB81_107
; %bb.106:
	scratch_load_b128 v[8:11], off, s13
	v_dual_mov_b32 v3, v2 :: v_dual_mov_b32 v4, v2
	v_mov_b32_e32 v5, v2
	scratch_store_b128 off, v[2:5], off offset:112
	s_wait_loadcnt 0x0
	ds_store_b128 v6, v[8:11]
.LBB81_107:
	s_wait_xcnt 0x0
	s_or_b32 exec_lo, exec_lo, s2
	s_wait_storecnt_dscnt 0x0
	s_barrier_signal -1
	s_barrier_wait -1
	s_clause 0x9
	scratch_load_b128 v[8:11], off, off offset:128
	scratch_load_b128 v[50:53], off, off offset:144
	scratch_load_b128 v[54:57], off, off offset:160
	scratch_load_b128 v[58:61], off, off offset:176
	scratch_load_b128 v[62:65], off, off offset:192
	scratch_load_b128 v[66:69], off, off offset:208
	scratch_load_b128 v[70:73], off, off offset:224
	scratch_load_b128 v[74:77], off, off offset:240
	scratch_load_b128 v[78:81], off, off offset:256
	scratch_load_b128 v[82:85], off, off offset:272
	ds_load_b128 v[86:89], v2 offset:416
	ds_load_b128 v[90:93], v2 offset:432
	scratch_load_b128 v[94:97], off, off offset:112
	s_mov_b32 s2, exec_lo
	s_wait_loadcnt_dscnt 0xa01
	v_mul_f64_e32 v[4:5], v[88:89], v[10:11]
	v_mul_f64_e32 v[12:13], v[86:87], v[10:11]
	s_wait_loadcnt_dscnt 0x900
	v_mul_f64_e32 v[98:99], v[90:91], v[52:53]
	v_mul_f64_e32 v[52:53], v[92:93], v[52:53]
	s_delay_alu instid0(VALU_DEP_4) | instskip(NEXT) | instid1(VALU_DEP_4)
	v_fma_f64 v[4:5], v[86:87], v[8:9], -v[4:5]
	v_fmac_f64_e32 v[12:13], v[88:89], v[8:9]
	ds_load_b128 v[8:11], v2 offset:448
	ds_load_b128 v[86:89], v2 offset:464
	v_fmac_f64_e32 v[98:99], v[92:93], v[50:51]
	v_fma_f64 v[50:51], v[90:91], v[50:51], -v[52:53]
	s_wait_loadcnt_dscnt 0x801
	v_mul_f64_e32 v[100:101], v[8:9], v[56:57]
	v_mul_f64_e32 v[56:57], v[10:11], v[56:57]
	s_wait_loadcnt_dscnt 0x700
	v_mul_f64_e32 v[90:91], v[86:87], v[60:61]
	v_mul_f64_e32 v[60:61], v[88:89], v[60:61]
	v_add_f64_e32 v[4:5], 0, v[4:5]
	v_add_f64_e32 v[12:13], 0, v[12:13]
	v_fmac_f64_e32 v[100:101], v[10:11], v[54:55]
	v_fma_f64 v[54:55], v[8:9], v[54:55], -v[56:57]
	v_fmac_f64_e32 v[90:91], v[88:89], v[58:59]
	v_fma_f64 v[58:59], v[86:87], v[58:59], -v[60:61]
	v_add_f64_e32 v[4:5], v[4:5], v[50:51]
	v_add_f64_e32 v[12:13], v[12:13], v[98:99]
	ds_load_b128 v[8:11], v2 offset:480
	ds_load_b128 v[50:53], v2 offset:496
	s_wait_loadcnt_dscnt 0x601
	v_mul_f64_e32 v[92:93], v[8:9], v[64:65]
	v_mul_f64_e32 v[56:57], v[10:11], v[64:65]
	s_wait_loadcnt_dscnt 0x500
	v_mul_f64_e32 v[60:61], v[50:51], v[68:69]
	v_mul_f64_e32 v[64:65], v[52:53], v[68:69]
	v_add_f64_e32 v[4:5], v[4:5], v[54:55]
	v_add_f64_e32 v[12:13], v[12:13], v[100:101]
	v_fmac_f64_e32 v[92:93], v[10:11], v[62:63]
	v_fma_f64 v[62:63], v[8:9], v[62:63], -v[56:57]
	ds_load_b128 v[8:11], v2 offset:512
	ds_load_b128 v[54:57], v2 offset:528
	v_fmac_f64_e32 v[60:61], v[52:53], v[66:67]
	v_fma_f64 v[50:51], v[50:51], v[66:67], -v[64:65]
	v_add_f64_e32 v[4:5], v[4:5], v[58:59]
	v_add_f64_e32 v[12:13], v[12:13], v[90:91]
	s_wait_loadcnt_dscnt 0x401
	v_mul_f64_e32 v[58:59], v[8:9], v[72:73]
	v_mul_f64_e32 v[68:69], v[10:11], v[72:73]
	s_wait_loadcnt_dscnt 0x300
	v_mul_f64_e32 v[52:53], v[54:55], v[76:77]
	v_add_f64_e32 v[4:5], v[4:5], v[62:63]
	v_add_f64_e32 v[12:13], v[12:13], v[92:93]
	v_mul_f64_e32 v[62:63], v[56:57], v[76:77]
	v_fmac_f64_e32 v[58:59], v[10:11], v[70:71]
	v_fma_f64 v[64:65], v[8:9], v[70:71], -v[68:69]
	v_fmac_f64_e32 v[52:53], v[56:57], v[74:75]
	v_add_f64_e32 v[50:51], v[4:5], v[50:51]
	v_add_f64_e32 v[12:13], v[12:13], v[60:61]
	ds_load_b128 v[8:11], v2 offset:544
	ds_load_b128 v[2:5], v2 offset:560
	v_fma_f64 v[54:55], v[54:55], v[74:75], -v[62:63]
	s_wait_loadcnt_dscnt 0x201
	v_mul_f64_e32 v[60:61], v[8:9], v[80:81]
	v_mul_f64_e32 v[66:67], v[10:11], v[80:81]
	s_wait_loadcnt_dscnt 0x100
	v_mul_f64_e32 v[56:57], v[2:3], v[84:85]
	v_add_f64_e32 v[50:51], v[50:51], v[64:65]
	v_add_f64_e32 v[12:13], v[12:13], v[58:59]
	v_mul_f64_e32 v[58:59], v[4:5], v[84:85]
	v_fmac_f64_e32 v[60:61], v[10:11], v[78:79]
	v_fma_f64 v[8:9], v[8:9], v[78:79], -v[66:67]
	v_fmac_f64_e32 v[56:57], v[4:5], v[82:83]
	v_add_f64_e32 v[10:11], v[50:51], v[54:55]
	v_add_f64_e32 v[12:13], v[12:13], v[52:53]
	v_fma_f64 v[2:3], v[2:3], v[82:83], -v[58:59]
	s_delay_alu instid0(VALU_DEP_3) | instskip(NEXT) | instid1(VALU_DEP_3)
	v_add_f64_e32 v[4:5], v[10:11], v[8:9]
	v_add_f64_e32 v[8:9], v[12:13], v[60:61]
	s_delay_alu instid0(VALU_DEP_2) | instskip(NEXT) | instid1(VALU_DEP_2)
	v_add_f64_e32 v[2:3], v[4:5], v[2:3]
	v_add_f64_e32 v[4:5], v[8:9], v[56:57]
	s_wait_loadcnt 0x0
	s_delay_alu instid0(VALU_DEP_2) | instskip(NEXT) | instid1(VALU_DEP_2)
	v_add_f64_e64 v[2:3], v[94:95], -v[2:3]
	v_add_f64_e64 v[4:5], v[96:97], -v[4:5]
	scratch_store_b128 off, v[2:5], off offset:112
	s_wait_xcnt 0x0
	v_cmpx_lt_u32_e32 6, v1
	s_cbranch_execz .LBB81_109
; %bb.108:
	scratch_load_b128 v[2:5], off, s21
	v_mov_b32_e32 v8, 0
	s_delay_alu instid0(VALU_DEP_1)
	v_dual_mov_b32 v9, v8 :: v_dual_mov_b32 v10, v8
	v_mov_b32_e32 v11, v8
	scratch_store_b128 off, v[8:11], off offset:96
	s_wait_loadcnt 0x0
	ds_store_b128 v6, v[2:5]
.LBB81_109:
	s_wait_xcnt 0x0
	s_or_b32 exec_lo, exec_lo, s2
	s_wait_storecnt_dscnt 0x0
	s_barrier_signal -1
	s_barrier_wait -1
	s_clause 0x9
	scratch_load_b128 v[8:11], off, off offset:112
	scratch_load_b128 v[50:53], off, off offset:128
	;; [unrolled: 1-line block ×10, first 2 shown]
	v_mov_b32_e32 v2, 0
	s_mov_b32 s2, exec_lo
	ds_load_b128 v[86:89], v2 offset:400
	s_clause 0x1
	scratch_load_b128 v[90:93], off, off offset:272
	scratch_load_b128 v[94:97], off, off offset:96
	s_wait_loadcnt_dscnt 0xb00
	v_mul_f64_e32 v[4:5], v[88:89], v[10:11]
	v_mul_f64_e32 v[12:13], v[86:87], v[10:11]
	ds_load_b128 v[98:101], v2 offset:416
	s_wait_loadcnt_dscnt 0xa00
	v_mul_f64_e32 v[102:103], v[98:99], v[52:53]
	v_mul_f64_e32 v[52:53], v[100:101], v[52:53]
	v_fma_f64 v[4:5], v[86:87], v[8:9], -v[4:5]
	v_fmac_f64_e32 v[12:13], v[88:89], v[8:9]
	ds_load_b128 v[8:11], v2 offset:432
	ds_load_b128 v[86:89], v2 offset:448
	s_wait_loadcnt_dscnt 0x901
	v_mul_f64_e32 v[104:105], v[8:9], v[56:57]
	v_mul_f64_e32 v[56:57], v[10:11], v[56:57]
	v_fmac_f64_e32 v[102:103], v[100:101], v[50:51]
	v_fma_f64 v[50:51], v[98:99], v[50:51], -v[52:53]
	s_wait_loadcnt_dscnt 0x800
	v_mul_f64_e32 v[98:99], v[86:87], v[60:61]
	v_mul_f64_e32 v[60:61], v[88:89], v[60:61]
	v_add_f64_e32 v[4:5], 0, v[4:5]
	v_add_f64_e32 v[12:13], 0, v[12:13]
	v_fmac_f64_e32 v[104:105], v[10:11], v[54:55]
	v_fma_f64 v[54:55], v[8:9], v[54:55], -v[56:57]
	v_fmac_f64_e32 v[98:99], v[88:89], v[58:59]
	v_fma_f64 v[58:59], v[86:87], v[58:59], -v[60:61]
	v_add_f64_e32 v[4:5], v[4:5], v[50:51]
	v_add_f64_e32 v[12:13], v[12:13], v[102:103]
	ds_load_b128 v[8:11], v2 offset:464
	ds_load_b128 v[50:53], v2 offset:480
	s_wait_loadcnt_dscnt 0x701
	v_mul_f64_e32 v[100:101], v[8:9], v[64:65]
	v_mul_f64_e32 v[56:57], v[10:11], v[64:65]
	s_wait_loadcnt_dscnt 0x600
	v_mul_f64_e32 v[60:61], v[50:51], v[68:69]
	v_mul_f64_e32 v[64:65], v[52:53], v[68:69]
	v_add_f64_e32 v[4:5], v[4:5], v[54:55]
	v_add_f64_e32 v[12:13], v[12:13], v[104:105]
	v_fmac_f64_e32 v[100:101], v[10:11], v[62:63]
	v_fma_f64 v[62:63], v[8:9], v[62:63], -v[56:57]
	ds_load_b128 v[8:11], v2 offset:496
	ds_load_b128 v[54:57], v2 offset:512
	v_fmac_f64_e32 v[60:61], v[52:53], v[66:67]
	v_fma_f64 v[50:51], v[50:51], v[66:67], -v[64:65]
	v_add_f64_e32 v[4:5], v[4:5], v[58:59]
	v_add_f64_e32 v[12:13], v[12:13], v[98:99]
	s_wait_loadcnt_dscnt 0x501
	v_mul_f64_e32 v[58:59], v[8:9], v[72:73]
	v_mul_f64_e32 v[68:69], v[10:11], v[72:73]
	s_wait_loadcnt_dscnt 0x400
	v_mul_f64_e32 v[64:65], v[56:57], v[76:77]
	v_add_f64_e32 v[4:5], v[4:5], v[62:63]
	v_add_f64_e32 v[12:13], v[12:13], v[100:101]
	v_mul_f64_e32 v[62:63], v[54:55], v[76:77]
	v_fmac_f64_e32 v[58:59], v[10:11], v[70:71]
	v_fma_f64 v[66:67], v[8:9], v[70:71], -v[68:69]
	v_fma_f64 v[54:55], v[54:55], v[74:75], -v[64:65]
	v_add_f64_e32 v[4:5], v[4:5], v[50:51]
	v_add_f64_e32 v[12:13], v[12:13], v[60:61]
	ds_load_b128 v[8:11], v2 offset:528
	ds_load_b128 v[50:53], v2 offset:544
	v_fmac_f64_e32 v[62:63], v[56:57], v[74:75]
	s_wait_loadcnt_dscnt 0x301
	v_mul_f64_e32 v[60:61], v[8:9], v[80:81]
	v_mul_f64_e32 v[68:69], v[10:11], v[80:81]
	s_wait_loadcnt_dscnt 0x200
	v_mul_f64_e32 v[56:57], v[50:51], v[84:85]
	v_add_f64_e32 v[4:5], v[4:5], v[66:67]
	v_add_f64_e32 v[12:13], v[12:13], v[58:59]
	v_mul_f64_e32 v[58:59], v[52:53], v[84:85]
	v_fmac_f64_e32 v[60:61], v[10:11], v[78:79]
	v_fma_f64 v[64:65], v[8:9], v[78:79], -v[68:69]
	ds_load_b128 v[8:11], v2 offset:560
	v_fmac_f64_e32 v[56:57], v[52:53], v[82:83]
	v_add_f64_e32 v[4:5], v[4:5], v[54:55]
	v_add_f64_e32 v[12:13], v[12:13], v[62:63]
	v_fma_f64 v[50:51], v[50:51], v[82:83], -v[58:59]
	s_wait_loadcnt_dscnt 0x100
	v_mul_f64_e32 v[54:55], v[8:9], v[92:93]
	v_mul_f64_e32 v[62:63], v[10:11], v[92:93]
	v_add_f64_e32 v[4:5], v[4:5], v[64:65]
	v_add_f64_e32 v[12:13], v[12:13], v[60:61]
	s_delay_alu instid0(VALU_DEP_4) | instskip(NEXT) | instid1(VALU_DEP_4)
	v_fmac_f64_e32 v[54:55], v[10:11], v[90:91]
	v_fma_f64 v[8:9], v[8:9], v[90:91], -v[62:63]
	s_delay_alu instid0(VALU_DEP_4) | instskip(NEXT) | instid1(VALU_DEP_4)
	v_add_f64_e32 v[4:5], v[4:5], v[50:51]
	v_add_f64_e32 v[10:11], v[12:13], v[56:57]
	s_delay_alu instid0(VALU_DEP_2) | instskip(NEXT) | instid1(VALU_DEP_2)
	v_add_f64_e32 v[4:5], v[4:5], v[8:9]
	v_add_f64_e32 v[10:11], v[10:11], v[54:55]
	s_wait_loadcnt 0x0
	s_delay_alu instid0(VALU_DEP_2) | instskip(NEXT) | instid1(VALU_DEP_2)
	v_add_f64_e64 v[8:9], v[94:95], -v[4:5]
	v_add_f64_e64 v[10:11], v[96:97], -v[10:11]
	scratch_store_b128 off, v[8:11], off offset:96
	s_wait_xcnt 0x0
	v_cmpx_lt_u32_e32 5, v1
	s_cbranch_execz .LBB81_111
; %bb.110:
	scratch_load_b128 v[8:11], off, s12
	v_dual_mov_b32 v3, v2 :: v_dual_mov_b32 v4, v2
	v_mov_b32_e32 v5, v2
	scratch_store_b128 off, v[2:5], off offset:80
	s_wait_loadcnt 0x0
	ds_store_b128 v6, v[8:11]
.LBB81_111:
	s_wait_xcnt 0x0
	s_or_b32 exec_lo, exec_lo, s2
	s_wait_storecnt_dscnt 0x0
	s_barrier_signal -1
	s_barrier_wait -1
	s_clause 0x9
	scratch_load_b128 v[8:11], off, off offset:96
	scratch_load_b128 v[50:53], off, off offset:112
	;; [unrolled: 1-line block ×10, first 2 shown]
	ds_load_b128 v[86:89], v2 offset:384
	ds_load_b128 v[94:97], v2 offset:400
	s_clause 0x1
	scratch_load_b128 v[90:93], off, off offset:256
	scratch_load_b128 v[98:101], off, off offset:80
	s_mov_b32 s2, exec_lo
	s_wait_loadcnt_dscnt 0xb01
	v_mul_f64_e32 v[4:5], v[88:89], v[10:11]
	v_mul_f64_e32 v[106:107], v[86:87], v[10:11]
	scratch_load_b128 v[10:13], off, off offset:272
	s_wait_loadcnt_dscnt 0xb00
	v_mul_f64_e32 v[108:109], v[94:95], v[52:53]
	v_mul_f64_e32 v[52:53], v[96:97], v[52:53]
	v_fma_f64 v[4:5], v[86:87], v[8:9], -v[4:5]
	v_fmac_f64_e32 v[106:107], v[88:89], v[8:9]
	ds_load_b128 v[86:89], v2 offset:416
	ds_load_b128 v[102:105], v2 offset:432
	v_fmac_f64_e32 v[108:109], v[96:97], v[50:51]
	v_fma_f64 v[50:51], v[94:95], v[50:51], -v[52:53]
	s_wait_loadcnt_dscnt 0xa01
	v_mul_f64_e32 v[8:9], v[86:87], v[56:57]
	v_mul_f64_e32 v[56:57], v[88:89], v[56:57]
	s_wait_loadcnt_dscnt 0x900
	v_mul_f64_e32 v[94:95], v[102:103], v[60:61]
	v_mul_f64_e32 v[60:61], v[104:105], v[60:61]
	v_add_f64_e32 v[4:5], 0, v[4:5]
	v_add_f64_e32 v[52:53], 0, v[106:107]
	v_fmac_f64_e32 v[8:9], v[88:89], v[54:55]
	v_fma_f64 v[86:87], v[86:87], v[54:55], -v[56:57]
	v_fmac_f64_e32 v[94:95], v[104:105], v[58:59]
	v_fma_f64 v[58:59], v[102:103], v[58:59], -v[60:61]
	v_add_f64_e32 v[4:5], v[4:5], v[50:51]
	v_add_f64_e32 v[88:89], v[52:53], v[108:109]
	ds_load_b128 v[50:53], v2 offset:448
	ds_load_b128 v[54:57], v2 offset:464
	s_wait_loadcnt_dscnt 0x801
	v_mul_f64_e32 v[96:97], v[50:51], v[64:65]
	v_mul_f64_e32 v[64:65], v[52:53], v[64:65]
	v_add_f64_e32 v[4:5], v[4:5], v[86:87]
	v_add_f64_e32 v[8:9], v[88:89], v[8:9]
	s_wait_loadcnt_dscnt 0x700
	v_mul_f64_e32 v[86:87], v[54:55], v[68:69]
	v_mul_f64_e32 v[68:69], v[56:57], v[68:69]
	v_fmac_f64_e32 v[96:97], v[52:53], v[62:63]
	v_fma_f64 v[62:63], v[50:51], v[62:63], -v[64:65]
	v_add_f64_e32 v[4:5], v[4:5], v[58:59]
	v_add_f64_e32 v[8:9], v[8:9], v[94:95]
	ds_load_b128 v[50:53], v2 offset:480
	ds_load_b128 v[58:61], v2 offset:496
	v_fmac_f64_e32 v[86:87], v[56:57], v[66:67]
	v_fma_f64 v[54:55], v[54:55], v[66:67], -v[68:69]
	s_wait_loadcnt_dscnt 0x601
	v_mul_f64_e32 v[64:65], v[50:51], v[72:73]
	v_mul_f64_e32 v[72:73], v[52:53], v[72:73]
	s_wait_loadcnt_dscnt 0x500
	v_mul_f64_e32 v[66:67], v[60:61], v[76:77]
	v_add_f64_e32 v[4:5], v[4:5], v[62:63]
	v_add_f64_e32 v[8:9], v[8:9], v[96:97]
	v_mul_f64_e32 v[62:63], v[58:59], v[76:77]
	v_fmac_f64_e32 v[64:65], v[52:53], v[70:71]
	v_fma_f64 v[68:69], v[50:51], v[70:71], -v[72:73]
	v_fma_f64 v[58:59], v[58:59], v[74:75], -v[66:67]
	v_add_f64_e32 v[4:5], v[4:5], v[54:55]
	v_add_f64_e32 v[8:9], v[8:9], v[86:87]
	ds_load_b128 v[50:53], v2 offset:512
	ds_load_b128 v[54:57], v2 offset:528
	v_fmac_f64_e32 v[62:63], v[60:61], v[74:75]
	s_wait_loadcnt_dscnt 0x401
	v_mul_f64_e32 v[70:71], v[50:51], v[80:81]
	v_mul_f64_e32 v[72:73], v[52:53], v[80:81]
	s_wait_loadcnt_dscnt 0x300
	v_mul_f64_e32 v[60:61], v[54:55], v[84:85]
	v_add_f64_e32 v[4:5], v[4:5], v[68:69]
	v_add_f64_e32 v[8:9], v[8:9], v[64:65]
	v_mul_f64_e32 v[64:65], v[56:57], v[84:85]
	v_fmac_f64_e32 v[70:71], v[52:53], v[78:79]
	v_fma_f64 v[66:67], v[50:51], v[78:79], -v[72:73]
	v_fmac_f64_e32 v[60:61], v[56:57], v[82:83]
	v_add_f64_e32 v[58:59], v[4:5], v[58:59]
	v_add_f64_e32 v[8:9], v[8:9], v[62:63]
	ds_load_b128 v[50:53], v2 offset:544
	ds_load_b128 v[2:5], v2 offset:560
	v_fma_f64 v[54:55], v[54:55], v[82:83], -v[64:65]
	s_wait_loadcnt_dscnt 0x201
	v_mul_f64_e32 v[62:63], v[50:51], v[92:93]
	v_mul_f64_e32 v[68:69], v[52:53], v[92:93]
	v_add_f64_e32 v[56:57], v[58:59], v[66:67]
	v_add_f64_e32 v[8:9], v[8:9], v[70:71]
	s_wait_loadcnt_dscnt 0x0
	v_mul_f64_e32 v[58:59], v[2:3], v[12:13]
	v_mul_f64_e32 v[12:13], v[4:5], v[12:13]
	v_fmac_f64_e32 v[62:63], v[52:53], v[90:91]
	v_fma_f64 v[50:51], v[50:51], v[90:91], -v[68:69]
	v_add_f64_e32 v[52:53], v[56:57], v[54:55]
	v_add_f64_e32 v[8:9], v[8:9], v[60:61]
	v_fmac_f64_e32 v[58:59], v[4:5], v[10:11]
	v_fma_f64 v[2:3], v[2:3], v[10:11], -v[12:13]
	s_delay_alu instid0(VALU_DEP_4) | instskip(NEXT) | instid1(VALU_DEP_4)
	v_add_f64_e32 v[4:5], v[52:53], v[50:51]
	v_add_f64_e32 v[8:9], v[8:9], v[62:63]
	s_delay_alu instid0(VALU_DEP_2) | instskip(NEXT) | instid1(VALU_DEP_2)
	v_add_f64_e32 v[2:3], v[4:5], v[2:3]
	v_add_f64_e32 v[4:5], v[8:9], v[58:59]
	s_delay_alu instid0(VALU_DEP_2) | instskip(NEXT) | instid1(VALU_DEP_2)
	v_add_f64_e64 v[2:3], v[98:99], -v[2:3]
	v_add_f64_e64 v[4:5], v[100:101], -v[4:5]
	scratch_store_b128 off, v[2:5], off offset:80
	s_wait_xcnt 0x0
	v_cmpx_lt_u32_e32 4, v1
	s_cbranch_execz .LBB81_113
; %bb.112:
	scratch_load_b128 v[2:5], off, s20
	v_mov_b32_e32 v8, 0
	s_delay_alu instid0(VALU_DEP_1)
	v_dual_mov_b32 v9, v8 :: v_dual_mov_b32 v10, v8
	v_mov_b32_e32 v11, v8
	scratch_store_b128 off, v[8:11], off offset:64
	s_wait_loadcnt 0x0
	ds_store_b128 v6, v[2:5]
.LBB81_113:
	s_wait_xcnt 0x0
	s_or_b32 exec_lo, exec_lo, s2
	s_wait_storecnt_dscnt 0x0
	s_barrier_signal -1
	s_barrier_wait -1
	s_clause 0x9
	scratch_load_b128 v[8:11], off, off offset:80
	scratch_load_b128 v[50:53], off, off offset:96
	;; [unrolled: 1-line block ×10, first 2 shown]
	v_mov_b32_e32 v2, 0
	s_mov_b32 s2, exec_lo
	ds_load_b128 v[86:89], v2 offset:368
	s_clause 0x2
	scratch_load_b128 v[90:93], off, off offset:240
	scratch_load_b128 v[94:97], off, off offset:64
	;; [unrolled: 1-line block ×3, first 2 shown]
	s_wait_loadcnt_dscnt 0xc00
	v_mul_f64_e32 v[4:5], v[88:89], v[10:11]
	v_mul_f64_e32 v[110:111], v[86:87], v[10:11]
	ds_load_b128 v[98:101], v2 offset:384
	scratch_load_b128 v[10:13], off, off offset:256
	ds_load_b128 v[106:109], v2 offset:416
	v_fma_f64 v[4:5], v[86:87], v[8:9], -v[4:5]
	v_fmac_f64_e32 v[110:111], v[88:89], v[8:9]
	ds_load_b128 v[86:89], v2 offset:400
	s_wait_loadcnt_dscnt 0xc02
	v_mul_f64_e32 v[112:113], v[98:99], v[52:53]
	v_mul_f64_e32 v[52:53], v[100:101], v[52:53]
	s_wait_loadcnt_dscnt 0xb00
	v_mul_f64_e32 v[8:9], v[86:87], v[56:57]
	v_mul_f64_e32 v[56:57], v[88:89], v[56:57]
	v_add_f64_e32 v[4:5], 0, v[4:5]
	v_fmac_f64_e32 v[112:113], v[100:101], v[50:51]
	v_fma_f64 v[50:51], v[98:99], v[50:51], -v[52:53]
	v_add_f64_e32 v[52:53], 0, v[110:111]
	s_wait_loadcnt 0xa
	v_mul_f64_e32 v[98:99], v[106:107], v[60:61]
	v_mul_f64_e32 v[60:61], v[108:109], v[60:61]
	v_fmac_f64_e32 v[8:9], v[88:89], v[54:55]
	v_fma_f64 v[86:87], v[86:87], v[54:55], -v[56:57]
	v_add_f64_e32 v[4:5], v[4:5], v[50:51]
	v_add_f64_e32 v[88:89], v[52:53], v[112:113]
	ds_load_b128 v[50:53], v2 offset:432
	ds_load_b128 v[54:57], v2 offset:448
	v_fmac_f64_e32 v[98:99], v[108:109], v[58:59]
	v_fma_f64 v[58:59], v[106:107], v[58:59], -v[60:61]
	s_wait_loadcnt_dscnt 0x901
	v_mul_f64_e32 v[100:101], v[50:51], v[64:65]
	v_mul_f64_e32 v[64:65], v[52:53], v[64:65]
	v_add_f64_e32 v[4:5], v[4:5], v[86:87]
	v_add_f64_e32 v[8:9], v[88:89], v[8:9]
	s_wait_loadcnt_dscnt 0x800
	v_mul_f64_e32 v[86:87], v[54:55], v[68:69]
	v_mul_f64_e32 v[68:69], v[56:57], v[68:69]
	v_fmac_f64_e32 v[100:101], v[52:53], v[62:63]
	v_fma_f64 v[62:63], v[50:51], v[62:63], -v[64:65]
	v_add_f64_e32 v[4:5], v[4:5], v[58:59]
	v_add_f64_e32 v[8:9], v[8:9], v[98:99]
	ds_load_b128 v[50:53], v2 offset:464
	ds_load_b128 v[58:61], v2 offset:480
	v_fmac_f64_e32 v[86:87], v[56:57], v[66:67]
	v_fma_f64 v[54:55], v[54:55], v[66:67], -v[68:69]
	s_wait_loadcnt_dscnt 0x701
	v_mul_f64_e32 v[64:65], v[50:51], v[72:73]
	v_mul_f64_e32 v[72:73], v[52:53], v[72:73]
	s_wait_loadcnt_dscnt 0x600
	v_mul_f64_e32 v[66:67], v[60:61], v[76:77]
	v_add_f64_e32 v[4:5], v[4:5], v[62:63]
	v_add_f64_e32 v[8:9], v[8:9], v[100:101]
	v_mul_f64_e32 v[62:63], v[58:59], v[76:77]
	v_fmac_f64_e32 v[64:65], v[52:53], v[70:71]
	v_fma_f64 v[68:69], v[50:51], v[70:71], -v[72:73]
	v_fma_f64 v[58:59], v[58:59], v[74:75], -v[66:67]
	v_add_f64_e32 v[4:5], v[4:5], v[54:55]
	v_add_f64_e32 v[8:9], v[8:9], v[86:87]
	ds_load_b128 v[50:53], v2 offset:496
	ds_load_b128 v[54:57], v2 offset:512
	v_fmac_f64_e32 v[62:63], v[60:61], v[74:75]
	s_wait_loadcnt_dscnt 0x501
	v_mul_f64_e32 v[70:71], v[50:51], v[80:81]
	v_mul_f64_e32 v[72:73], v[52:53], v[80:81]
	s_wait_loadcnt_dscnt 0x400
	v_mul_f64_e32 v[66:67], v[56:57], v[84:85]
	v_add_f64_e32 v[4:5], v[4:5], v[68:69]
	v_add_f64_e32 v[8:9], v[8:9], v[64:65]
	v_mul_f64_e32 v[64:65], v[54:55], v[84:85]
	v_fmac_f64_e32 v[70:71], v[52:53], v[78:79]
	v_fma_f64 v[68:69], v[50:51], v[78:79], -v[72:73]
	v_fma_f64 v[54:55], v[54:55], v[82:83], -v[66:67]
	v_add_f64_e32 v[4:5], v[4:5], v[58:59]
	v_add_f64_e32 v[8:9], v[8:9], v[62:63]
	ds_load_b128 v[50:53], v2 offset:528
	ds_load_b128 v[58:61], v2 offset:544
	v_fmac_f64_e32 v[64:65], v[56:57], v[82:83]
	s_wait_loadcnt_dscnt 0x301
	v_mul_f64_e32 v[62:63], v[50:51], v[92:93]
	v_mul_f64_e32 v[72:73], v[52:53], v[92:93]
	s_wait_loadcnt_dscnt 0x0
	v_mul_f64_e32 v[56:57], v[58:59], v[12:13]
	v_add_f64_e32 v[4:5], v[4:5], v[68:69]
	v_add_f64_e32 v[8:9], v[8:9], v[70:71]
	v_mul_f64_e32 v[12:13], v[60:61], v[12:13]
	v_fmac_f64_e32 v[62:63], v[52:53], v[90:91]
	v_fma_f64 v[66:67], v[50:51], v[90:91], -v[72:73]
	ds_load_b128 v[50:53], v2 offset:560
	v_fmac_f64_e32 v[56:57], v[60:61], v[10:11]
	v_add_f64_e32 v[4:5], v[4:5], v[54:55]
	v_add_f64_e32 v[8:9], v[8:9], v[64:65]
	v_fma_f64 v[10:11], v[58:59], v[10:11], -v[12:13]
	s_wait_dscnt 0x0
	v_mul_f64_e32 v[54:55], v[50:51], v[104:105]
	v_mul_f64_e32 v[64:65], v[52:53], v[104:105]
	v_add_f64_e32 v[4:5], v[4:5], v[66:67]
	v_add_f64_e32 v[8:9], v[8:9], v[62:63]
	s_delay_alu instid0(VALU_DEP_4) | instskip(NEXT) | instid1(VALU_DEP_4)
	v_fmac_f64_e32 v[54:55], v[52:53], v[102:103]
	v_fma_f64 v[12:13], v[50:51], v[102:103], -v[64:65]
	s_delay_alu instid0(VALU_DEP_4) | instskip(NEXT) | instid1(VALU_DEP_4)
	v_add_f64_e32 v[4:5], v[4:5], v[10:11]
	v_add_f64_e32 v[8:9], v[8:9], v[56:57]
	s_delay_alu instid0(VALU_DEP_2) | instskip(NEXT) | instid1(VALU_DEP_2)
	v_add_f64_e32 v[4:5], v[4:5], v[12:13]
	v_add_f64_e32 v[10:11], v[8:9], v[54:55]
	s_delay_alu instid0(VALU_DEP_2) | instskip(NEXT) | instid1(VALU_DEP_2)
	v_add_f64_e64 v[8:9], v[94:95], -v[4:5]
	v_add_f64_e64 v[10:11], v[96:97], -v[10:11]
	scratch_store_b128 off, v[8:11], off offset:64
	s_wait_xcnt 0x0
	v_cmpx_lt_u32_e32 3, v1
	s_cbranch_execz .LBB81_115
; %bb.114:
	scratch_load_b128 v[8:11], off, s19
	v_dual_mov_b32 v3, v2 :: v_dual_mov_b32 v4, v2
	v_mov_b32_e32 v5, v2
	scratch_store_b128 off, v[2:5], off offset:48
	s_wait_loadcnt 0x0
	ds_store_b128 v6, v[8:11]
.LBB81_115:
	s_wait_xcnt 0x0
	s_or_b32 exec_lo, exec_lo, s2
	s_wait_storecnt_dscnt 0x0
	s_barrier_signal -1
	s_barrier_wait -1
	s_clause 0x9
	scratch_load_b128 v[8:11], off, off offset:64
	scratch_load_b128 v[50:53], off, off offset:80
	;; [unrolled: 1-line block ×10, first 2 shown]
	ds_load_b128 v[86:89], v2 offset:352
	ds_load_b128 v[94:97], v2 offset:368
	s_clause 0x1
	scratch_load_b128 v[90:93], off, off offset:224
	scratch_load_b128 v[98:101], off, off offset:48
	s_mov_b32 s2, exec_lo
	s_wait_loadcnt_dscnt 0xb01
	v_mul_f64_e32 v[4:5], v[88:89], v[10:11]
	v_mul_f64_e32 v[110:111], v[86:87], v[10:11]
	scratch_load_b128 v[10:13], off, off offset:240
	s_wait_loadcnt_dscnt 0xb00
	v_mul_f64_e32 v[112:113], v[94:95], v[52:53]
	v_mul_f64_e32 v[52:53], v[96:97], v[52:53]
	v_fma_f64 v[4:5], v[86:87], v[8:9], -v[4:5]
	v_fmac_f64_e32 v[110:111], v[88:89], v[8:9]
	ds_load_b128 v[86:89], v2 offset:384
	ds_load_b128 v[102:105], v2 offset:400
	scratch_load_b128 v[106:109], off, off offset:256
	v_fmac_f64_e32 v[112:113], v[96:97], v[50:51]
	v_fma_f64 v[94:95], v[94:95], v[50:51], -v[52:53]
	scratch_load_b128 v[50:53], off, off offset:272
	s_wait_loadcnt_dscnt 0xc01
	v_mul_f64_e32 v[8:9], v[86:87], v[56:57]
	v_mul_f64_e32 v[56:57], v[88:89], v[56:57]
	v_add_f64_e32 v[4:5], 0, v[4:5]
	v_add_f64_e32 v[96:97], 0, v[110:111]
	s_wait_loadcnt_dscnt 0xb00
	v_mul_f64_e32 v[110:111], v[102:103], v[60:61]
	v_mul_f64_e32 v[60:61], v[104:105], v[60:61]
	v_fmac_f64_e32 v[8:9], v[88:89], v[54:55]
	v_fma_f64 v[114:115], v[86:87], v[54:55], -v[56:57]
	ds_load_b128 v[54:57], v2 offset:416
	ds_load_b128 v[86:89], v2 offset:432
	v_add_f64_e32 v[4:5], v[4:5], v[94:95]
	v_add_f64_e32 v[94:95], v[96:97], v[112:113]
	v_fmac_f64_e32 v[110:111], v[104:105], v[58:59]
	v_fma_f64 v[58:59], v[102:103], v[58:59], -v[60:61]
	s_wait_loadcnt_dscnt 0xa01
	v_mul_f64_e32 v[96:97], v[54:55], v[64:65]
	v_mul_f64_e32 v[64:65], v[56:57], v[64:65]
	v_add_f64_e32 v[4:5], v[4:5], v[114:115]
	v_add_f64_e32 v[8:9], v[94:95], v[8:9]
	s_wait_loadcnt_dscnt 0x900
	v_mul_f64_e32 v[94:95], v[86:87], v[68:69]
	v_mul_f64_e32 v[68:69], v[88:89], v[68:69]
	v_fmac_f64_e32 v[96:97], v[56:57], v[62:63]
	v_fma_f64 v[62:63], v[54:55], v[62:63], -v[64:65]
	v_add_f64_e32 v[4:5], v[4:5], v[58:59]
	v_add_f64_e32 v[8:9], v[8:9], v[110:111]
	ds_load_b128 v[54:57], v2 offset:448
	ds_load_b128 v[58:61], v2 offset:464
	v_fmac_f64_e32 v[94:95], v[88:89], v[66:67]
	v_fma_f64 v[66:67], v[86:87], v[66:67], -v[68:69]
	s_wait_loadcnt_dscnt 0x801
	v_mul_f64_e32 v[102:103], v[54:55], v[72:73]
	v_mul_f64_e32 v[64:65], v[56:57], v[72:73]
	s_wait_loadcnt_dscnt 0x700
	v_mul_f64_e32 v[68:69], v[58:59], v[76:77]
	v_mul_f64_e32 v[72:73], v[60:61], v[76:77]
	v_add_f64_e32 v[4:5], v[4:5], v[62:63]
	v_add_f64_e32 v[8:9], v[8:9], v[96:97]
	v_fmac_f64_e32 v[102:103], v[56:57], v[70:71]
	v_fma_f64 v[70:71], v[54:55], v[70:71], -v[64:65]
	ds_load_b128 v[54:57], v2 offset:480
	ds_load_b128 v[62:65], v2 offset:496
	v_fmac_f64_e32 v[68:69], v[60:61], v[74:75]
	v_fma_f64 v[58:59], v[58:59], v[74:75], -v[72:73]
	v_add_f64_e32 v[4:5], v[4:5], v[66:67]
	v_add_f64_e32 v[8:9], v[8:9], v[94:95]
	s_wait_loadcnt_dscnt 0x601
	v_mul_f64_e32 v[66:67], v[54:55], v[80:81]
	v_mul_f64_e32 v[76:77], v[56:57], v[80:81]
	s_wait_loadcnt_dscnt 0x500
	v_mul_f64_e32 v[72:73], v[64:65], v[84:85]
	v_add_f64_e32 v[4:5], v[4:5], v[70:71]
	v_add_f64_e32 v[8:9], v[8:9], v[102:103]
	v_mul_f64_e32 v[70:71], v[62:63], v[84:85]
	v_fmac_f64_e32 v[66:67], v[56:57], v[78:79]
	v_fma_f64 v[74:75], v[54:55], v[78:79], -v[76:77]
	v_fma_f64 v[62:63], v[62:63], v[82:83], -v[72:73]
	v_add_f64_e32 v[4:5], v[4:5], v[58:59]
	v_add_f64_e32 v[8:9], v[8:9], v[68:69]
	ds_load_b128 v[54:57], v2 offset:512
	ds_load_b128 v[58:61], v2 offset:528
	v_fmac_f64_e32 v[70:71], v[64:65], v[82:83]
	s_wait_loadcnt_dscnt 0x401
	v_mul_f64_e32 v[68:69], v[54:55], v[92:93]
	v_mul_f64_e32 v[76:77], v[56:57], v[92:93]
	v_add_f64_e32 v[4:5], v[4:5], v[74:75]
	v_add_f64_e32 v[8:9], v[8:9], v[66:67]
	s_wait_loadcnt_dscnt 0x200
	v_mul_f64_e32 v[64:65], v[58:59], v[12:13]
	v_mul_f64_e32 v[12:13], v[60:61], v[12:13]
	v_fmac_f64_e32 v[68:69], v[56:57], v[90:91]
	v_fma_f64 v[66:67], v[54:55], v[90:91], -v[76:77]
	v_add_f64_e32 v[62:63], v[4:5], v[62:63]
	v_add_f64_e32 v[8:9], v[8:9], v[70:71]
	ds_load_b128 v[54:57], v2 offset:544
	ds_load_b128 v[2:5], v2 offset:560
	v_fmac_f64_e32 v[64:65], v[60:61], v[10:11]
	v_fma_f64 v[10:11], v[58:59], v[10:11], -v[12:13]
	s_wait_loadcnt_dscnt 0x101
	v_mul_f64_e32 v[70:71], v[54:55], v[108:109]
	v_mul_f64_e32 v[72:73], v[56:57], v[108:109]
	s_wait_loadcnt_dscnt 0x0
	v_mul_f64_e32 v[58:59], v[2:3], v[52:53]
	v_mul_f64_e32 v[52:53], v[4:5], v[52:53]
	v_add_f64_e32 v[12:13], v[62:63], v[66:67]
	v_add_f64_e32 v[8:9], v[8:9], v[68:69]
	v_fmac_f64_e32 v[70:71], v[56:57], v[106:107]
	v_fma_f64 v[54:55], v[54:55], v[106:107], -v[72:73]
	v_fmac_f64_e32 v[58:59], v[4:5], v[50:51]
	v_fma_f64 v[2:3], v[2:3], v[50:51], -v[52:53]
	v_add_f64_e32 v[10:11], v[12:13], v[10:11]
	v_add_f64_e32 v[8:9], v[8:9], v[64:65]
	s_delay_alu instid0(VALU_DEP_2) | instskip(NEXT) | instid1(VALU_DEP_2)
	v_add_f64_e32 v[4:5], v[10:11], v[54:55]
	v_add_f64_e32 v[8:9], v[8:9], v[70:71]
	s_delay_alu instid0(VALU_DEP_2) | instskip(NEXT) | instid1(VALU_DEP_2)
	;; [unrolled: 3-line block ×3, first 2 shown]
	v_add_f64_e64 v[2:3], v[98:99], -v[2:3]
	v_add_f64_e64 v[4:5], v[100:101], -v[4:5]
	scratch_store_b128 off, v[2:5], off offset:48
	s_wait_xcnt 0x0
	v_cmpx_lt_u32_e32 2, v1
	s_cbranch_execz .LBB81_117
; %bb.116:
	scratch_load_b128 v[2:5], off, s27
	v_mov_b32_e32 v8, 0
	s_delay_alu instid0(VALU_DEP_1)
	v_dual_mov_b32 v9, v8 :: v_dual_mov_b32 v10, v8
	v_mov_b32_e32 v11, v8
	scratch_store_b128 off, v[8:11], off offset:32
	s_wait_loadcnt 0x0
	ds_store_b128 v6, v[2:5]
.LBB81_117:
	s_wait_xcnt 0x0
	s_or_b32 exec_lo, exec_lo, s2
	s_wait_storecnt_dscnt 0x0
	s_barrier_signal -1
	s_barrier_wait -1
	s_clause 0x9
	scratch_load_b128 v[8:11], off, off offset:48
	scratch_load_b128 v[50:53], off, off offset:64
	;; [unrolled: 1-line block ×10, first 2 shown]
	v_mov_b32_e32 v2, 0
	s_mov_b32 s2, exec_lo
	v_dual_ashrrev_i32 v21, 31, v20 :: v_dual_ashrrev_i32 v19, 31, v18
	v_ashrrev_i32_e32 v23, 31, v22
	ds_load_b128 v[86:89], v2 offset:336
	s_clause 0x1
	scratch_load_b128 v[90:93], off, off offset:208
	scratch_load_b128 v[94:97], off, off offset:32
	v_ashrrev_i32_e32 v27, 31, v26
	v_ashrrev_i32_e32 v31, 31, v30
	v_dual_ashrrev_i32 v35, 31, v34 :: v_dual_ashrrev_i32 v25, 31, v24
	v_dual_ashrrev_i32 v29, 31, v28 :: v_dual_ashrrev_i32 v39, 31, v38
	v_ashrrev_i32_e32 v43, 31, v42
	v_dual_ashrrev_i32 v47, 31, v46 :: v_dual_ashrrev_i32 v33, 31, v32
	v_ashrrev_i32_e32 v37, 31, v36
	v_ashrrev_i32_e32 v41, 31, v40
	;; [unrolled: 1-line block ×3, first 2 shown]
	s_wait_loadcnt_dscnt 0xb00
	v_dual_mul_f64 v[4:5], v[88:89], v[10:11] :: v_dual_ashrrev_i32 v49, 31, v48
	v_mul_f64_e32 v[106:107], v[86:87], v[10:11]
	ds_load_b128 v[98:101], v2 offset:352
	scratch_load_b128 v[10:13], off, off offset:224
	s_wait_loadcnt_dscnt 0xb00
	v_mul_f64_e32 v[108:109], v[98:99], v[52:53]
	v_mul_f64_e32 v[52:53], v[100:101], v[52:53]
	v_fma_f64 v[4:5], v[86:87], v[8:9], -v[4:5]
	v_fmac_f64_e32 v[106:107], v[88:89], v[8:9]
	ds_load_b128 v[86:89], v2 offset:368
	ds_load_b128 v[102:105], v2 offset:384
	s_wait_loadcnt_dscnt 0xa01
	v_mul_f64_e32 v[8:9], v[86:87], v[56:57]
	v_fmac_f64_e32 v[108:109], v[100:101], v[50:51]
	v_fma_f64 v[98:99], v[98:99], v[50:51], -v[52:53]
	v_mul_f64_e32 v[56:57], v[88:89], v[56:57]
	scratch_load_b128 v[50:53], off, off offset:240
	v_add_f64_e32 v[4:5], 0, v[4:5]
	v_add_f64_e32 v[100:101], 0, v[106:107]
	s_wait_loadcnt_dscnt 0xa00
	v_mul_f64_e32 v[106:107], v[102:103], v[60:61]
	v_mul_f64_e32 v[60:61], v[104:105], v[60:61]
	v_fmac_f64_e32 v[8:9], v[88:89], v[54:55]
	v_fma_f64 v[110:111], v[86:87], v[54:55], -v[56:57]
	scratch_load_b128 v[54:57], off, off offset:256
	ds_load_b128 v[86:89], v2 offset:400
	v_add_f64_e32 v[4:5], v[4:5], v[98:99]
	v_add_f64_e32 v[108:109], v[100:101], v[108:109]
	v_fmac_f64_e32 v[106:107], v[104:105], v[58:59]
	v_fma_f64 v[102:103], v[102:103], v[58:59], -v[60:61]
	scratch_load_b128 v[58:61], off, off offset:272
	ds_load_b128 v[98:101], v2 offset:416
	s_wait_loadcnt_dscnt 0xb01
	v_mul_f64_e32 v[104:105], v[86:87], v[64:65]
	v_mul_f64_e32 v[64:65], v[88:89], v[64:65]
	v_add_f64_e32 v[4:5], v[4:5], v[110:111]
	v_add_f64_e32 v[8:9], v[108:109], v[8:9]
	s_wait_loadcnt_dscnt 0xa00
	v_mul_f64_e32 v[108:109], v[98:99], v[68:69]
	v_mul_f64_e32 v[68:69], v[100:101], v[68:69]
	v_fmac_f64_e32 v[104:105], v[88:89], v[62:63]
	v_fma_f64 v[110:111], v[86:87], v[62:63], -v[64:65]
	ds_load_b128 v[62:65], v2 offset:432
	ds_load_b128 v[86:89], v2 offset:448
	v_add_f64_e32 v[4:5], v[4:5], v[102:103]
	v_add_f64_e32 v[8:9], v[8:9], v[106:107]
	v_fmac_f64_e32 v[108:109], v[100:101], v[66:67]
	s_wait_loadcnt_dscnt 0x901
	v_mul_f64_e32 v[102:103], v[62:63], v[72:73]
	v_fma_f64 v[66:67], v[98:99], v[66:67], -v[68:69]
	v_mul_f64_e32 v[68:69], v[64:65], v[72:73]
	s_wait_loadcnt_dscnt 0x800
	v_mul_f64_e32 v[72:73], v[86:87], v[76:77]
	v_mul_f64_e32 v[76:77], v[88:89], v[76:77]
	v_add_f64_e32 v[4:5], v[4:5], v[110:111]
	v_add_f64_e32 v[8:9], v[8:9], v[104:105]
	v_fmac_f64_e32 v[102:103], v[64:65], v[70:71]
	v_fma_f64 v[70:71], v[62:63], v[70:71], -v[68:69]
	v_fmac_f64_e32 v[72:73], v[88:89], v[74:75]
	v_fma_f64 v[74:75], v[86:87], v[74:75], -v[76:77]
	v_add_f64_e32 v[4:5], v[4:5], v[66:67]
	v_add_f64_e32 v[8:9], v[8:9], v[108:109]
	ds_load_b128 v[62:65], v2 offset:464
	ds_load_b128 v[66:69], v2 offset:480
	s_wait_loadcnt_dscnt 0x701
	v_mul_f64_e32 v[98:99], v[62:63], v[80:81]
	v_mul_f64_e32 v[80:81], v[64:65], v[80:81]
	s_wait_loadcnt_dscnt 0x600
	v_mul_f64_e32 v[76:77], v[66:67], v[84:85]
	v_mul_f64_e32 v[84:85], v[68:69], v[84:85]
	v_add_f64_e32 v[4:5], v[4:5], v[70:71]
	v_add_f64_e32 v[8:9], v[8:9], v[102:103]
	v_fmac_f64_e32 v[98:99], v[64:65], v[78:79]
	v_fma_f64 v[78:79], v[62:63], v[78:79], -v[80:81]
	v_fmac_f64_e32 v[76:77], v[68:69], v[82:83]
	v_fma_f64 v[66:67], v[66:67], v[82:83], -v[84:85]
	v_add_f64_e32 v[4:5], v[4:5], v[74:75]
	v_add_f64_e32 v[8:9], v[8:9], v[72:73]
	ds_load_b128 v[62:65], v2 offset:496
	ds_load_b128 v[70:73], v2 offset:512
	s_wait_loadcnt_dscnt 0x501
	v_mul_f64_e32 v[74:75], v[62:63], v[92:93]
	v_mul_f64_e32 v[80:81], v[64:65], v[92:93]
	v_add_f64_e32 v[4:5], v[4:5], v[78:79]
	v_add_f64_e32 v[8:9], v[8:9], v[98:99]
	s_wait_loadcnt_dscnt 0x300
	v_mul_f64_e32 v[78:79], v[70:71], v[12:13]
	v_mul_f64_e32 v[12:13], v[72:73], v[12:13]
	v_fmac_f64_e32 v[74:75], v[64:65], v[90:91]
	v_fma_f64 v[80:81], v[62:63], v[90:91], -v[80:81]
	v_add_f64_e32 v[4:5], v[4:5], v[66:67]
	v_add_f64_e32 v[8:9], v[8:9], v[76:77]
	ds_load_b128 v[62:65], v2 offset:528
	ds_load_b128 v[66:69], v2 offset:544
	v_fmac_f64_e32 v[78:79], v[72:73], v[10:11]
	v_fma_f64 v[10:11], v[70:71], v[10:11], -v[12:13]
	s_wait_loadcnt_dscnt 0x201
	v_mul_f64_e32 v[76:77], v[62:63], v[52:53]
	v_mul_f64_e32 v[52:53], v[64:65], v[52:53]
	v_add_f64_e32 v[4:5], v[4:5], v[80:81]
	v_add_f64_e32 v[8:9], v[8:9], v[74:75]
	s_wait_loadcnt_dscnt 0x100
	v_mul_f64_e32 v[12:13], v[66:67], v[56:57]
	v_mul_f64_e32 v[56:57], v[68:69], v[56:57]
	v_fmac_f64_e32 v[76:77], v[64:65], v[50:51]
	v_fma_f64 v[50:51], v[62:63], v[50:51], -v[52:53]
	v_add_f64_e32 v[4:5], v[4:5], v[10:11]
	v_add_f64_e32 v[52:53], v[8:9], v[78:79]
	ds_load_b128 v[8:11], v2 offset:560
	s_wait_loadcnt_dscnt 0x0
	v_mul_f64_e32 v[62:63], v[8:9], v[60:61]
	v_mul_f64_e32 v[60:61], v[10:11], v[60:61]
	v_fmac_f64_e32 v[12:13], v[68:69], v[54:55]
	v_fma_f64 v[54:55], v[66:67], v[54:55], -v[56:57]
	v_add_f64_e32 v[4:5], v[4:5], v[50:51]
	v_add_f64_e32 v[50:51], v[52:53], v[76:77]
	v_fmac_f64_e32 v[62:63], v[10:11], v[58:59]
	v_fma_f64 v[8:9], v[8:9], v[58:59], -v[60:61]
	s_delay_alu instid0(VALU_DEP_4) | instskip(NEXT) | instid1(VALU_DEP_4)
	v_add_f64_e32 v[4:5], v[4:5], v[54:55]
	v_add_f64_e32 v[10:11], v[50:51], v[12:13]
	s_delay_alu instid0(VALU_DEP_2) | instskip(NEXT) | instid1(VALU_DEP_2)
	v_add_f64_e32 v[4:5], v[4:5], v[8:9]
	v_add_f64_e32 v[10:11], v[10:11], v[62:63]
	s_delay_alu instid0(VALU_DEP_2) | instskip(NEXT) | instid1(VALU_DEP_2)
	v_add_f64_e64 v[8:9], v[94:95], -v[4:5]
	v_add_f64_e64 v[10:11], v[96:97], -v[10:11]
	scratch_store_b128 off, v[8:11], off offset:32
	s_wait_xcnt 0x0
	v_cmpx_lt_u32_e32 1, v1
	s_cbranch_execz .LBB81_119
; %bb.118:
	scratch_load_b128 v[8:11], off, s28
	v_dual_mov_b32 v3, v2 :: v_dual_mov_b32 v4, v2
	v_mov_b32_e32 v5, v2
	scratch_store_b128 off, v[2:5], off offset:16
	s_wait_loadcnt 0x0
	ds_store_b128 v6, v[8:11]
.LBB81_119:
	s_wait_xcnt 0x0
	s_or_b32 exec_lo, exec_lo, s2
	s_wait_storecnt_dscnt 0x0
	s_barrier_signal -1
	s_barrier_wait -1
	s_clause 0x9
	scratch_load_b128 v[8:11], off, off offset:32
	scratch_load_b128 v[50:53], off, off offset:48
	;; [unrolled: 1-line block ×10, first 2 shown]
	ds_load_b128 v[86:89], v2 offset:320
	s_clause 0x2
	scratch_load_b128 v[90:93], off, off offset:192
	scratch_load_b128 v[94:97], off, off offset:208
	scratch_load_b128 v[98:101], off, off offset:224
	s_mov_b32 s2, exec_lo
	s_wait_loadcnt_dscnt 0xc00
	v_mul_f64_e32 v[4:5], v[88:89], v[10:11]
	v_mul_f64_e32 v[102:103], v[86:87], v[10:11]
	ds_load_b128 v[10:13], v2 offset:336
	v_fma_f64 v[4:5], v[86:87], v[8:9], -v[4:5]
	v_fmac_f64_e32 v[102:103], v[88:89], v[8:9]
	ds_load_b128 v[86:89], v2 offset:352
	s_wait_loadcnt_dscnt 0xb01
	v_mul_f64_e32 v[104:105], v[10:11], v[52:53]
	v_mul_f64_e32 v[52:53], v[12:13], v[52:53]
	s_wait_loadcnt_dscnt 0xa00
	v_mul_f64_e32 v[106:107], v[86:87], v[56:57]
	v_mul_f64_e32 v[56:57], v[88:89], v[56:57]
	v_add_f64_e32 v[4:5], 0, v[4:5]
	v_add_f64_e32 v[102:103], 0, v[102:103]
	v_fmac_f64_e32 v[104:105], v[12:13], v[50:51]
	v_fma_f64 v[12:13], v[10:11], v[50:51], -v[52:53]
	ds_load_b128 v[8:11], v2 offset:368
	scratch_load_b128 v[50:53], off, off offset:240
	v_fmac_f64_e32 v[106:107], v[88:89], v[54:55]
	v_fma_f64 v[110:111], v[86:87], v[54:55], -v[56:57]
	ds_load_b128 v[54:57], v2 offset:384
	s_wait_loadcnt_dscnt 0xa01
	v_mul_f64_e32 v[108:109], v[8:9], v[60:61]
	v_mul_f64_e32 v[60:61], v[10:11], v[60:61]
	scratch_load_b128 v[86:89], off, off offset:256
	v_add_f64_e32 v[4:5], v[4:5], v[12:13]
	v_add_f64_e32 v[12:13], v[102:103], v[104:105]
	s_wait_loadcnt_dscnt 0xa00
	v_mul_f64_e32 v[102:103], v[54:55], v[64:65]
	v_mul_f64_e32 v[64:65], v[56:57], v[64:65]
	v_fmac_f64_e32 v[108:109], v[10:11], v[58:59]
	v_fma_f64 v[104:105], v[8:9], v[58:59], -v[60:61]
	ds_load_b128 v[8:11], v2 offset:400
	scratch_load_b128 v[58:61], off, off offset:272
	v_add_f64_e32 v[4:5], v[4:5], v[110:111]
	v_add_f64_e32 v[12:13], v[12:13], v[106:107]
	v_fmac_f64_e32 v[102:103], v[56:57], v[62:63]
	v_fma_f64 v[62:63], v[54:55], v[62:63], -v[64:65]
	ds_load_b128 v[54:57], v2 offset:416
	s_wait_loadcnt_dscnt 0xa01
	v_mul_f64_e32 v[106:107], v[8:9], v[68:69]
	v_mul_f64_e32 v[68:69], v[10:11], v[68:69]
	s_wait_loadcnt_dscnt 0x900
	v_mul_f64_e32 v[64:65], v[56:57], v[72:73]
	v_add_f64_e32 v[4:5], v[4:5], v[104:105]
	v_add_f64_e32 v[12:13], v[12:13], v[108:109]
	v_mul_f64_e32 v[104:105], v[54:55], v[72:73]
	v_fmac_f64_e32 v[106:107], v[10:11], v[66:67]
	v_fma_f64 v[66:67], v[8:9], v[66:67], -v[68:69]
	ds_load_b128 v[8:11], v2 offset:432
	v_add_f64_e32 v[4:5], v[4:5], v[62:63]
	v_add_f64_e32 v[12:13], v[12:13], v[102:103]
	v_fmac_f64_e32 v[104:105], v[56:57], v[70:71]
	v_fma_f64 v[70:71], v[54:55], v[70:71], -v[64:65]
	ds_load_b128 v[54:57], v2 offset:448
	s_wait_loadcnt_dscnt 0x801
	v_mul_f64_e32 v[68:69], v[8:9], v[76:77]
	v_mul_f64_e32 v[72:73], v[10:11], v[76:77]
	scratch_load_b128 v[62:65], off, off offset:16
	s_wait_loadcnt_dscnt 0x800
	v_mul_f64_e32 v[76:77], v[56:57], v[80:81]
	v_add_f64_e32 v[4:5], v[4:5], v[66:67]
	v_add_f64_e32 v[12:13], v[12:13], v[106:107]
	v_mul_f64_e32 v[66:67], v[54:55], v[80:81]
	v_fmac_f64_e32 v[68:69], v[10:11], v[74:75]
	v_fma_f64 v[72:73], v[8:9], v[74:75], -v[72:73]
	ds_load_b128 v[8:11], v2 offset:464
	v_fma_f64 v[76:77], v[54:55], v[78:79], -v[76:77]
	v_add_f64_e32 v[4:5], v[4:5], v[70:71]
	v_add_f64_e32 v[12:13], v[12:13], v[104:105]
	v_fmac_f64_e32 v[66:67], v[56:57], v[78:79]
	ds_load_b128 v[54:57], v2 offset:480
	s_wait_loadcnt_dscnt 0x701
	v_mul_f64_e32 v[70:71], v[8:9], v[84:85]
	v_mul_f64_e32 v[74:75], v[10:11], v[84:85]
	v_add_f64_e32 v[4:5], v[4:5], v[72:73]
	v_add_f64_e32 v[12:13], v[12:13], v[68:69]
	s_wait_loadcnt_dscnt 0x600
	v_mul_f64_e32 v[68:69], v[54:55], v[92:93]
	v_mul_f64_e32 v[72:73], v[56:57], v[92:93]
	v_fmac_f64_e32 v[70:71], v[10:11], v[82:83]
	v_fma_f64 v[74:75], v[8:9], v[82:83], -v[74:75]
	ds_load_b128 v[8:11], v2 offset:496
	v_add_f64_e32 v[4:5], v[4:5], v[76:77]
	v_add_f64_e32 v[12:13], v[12:13], v[66:67]
	v_fmac_f64_e32 v[68:69], v[56:57], v[90:91]
	v_fma_f64 v[72:73], v[54:55], v[90:91], -v[72:73]
	ds_load_b128 v[54:57], v2 offset:512
	s_wait_loadcnt_dscnt 0x501
	v_mul_f64_e32 v[66:67], v[8:9], v[96:97]
	v_mul_f64_e32 v[76:77], v[10:11], v[96:97]
	v_add_f64_e32 v[4:5], v[4:5], v[74:75]
	v_add_f64_e32 v[12:13], v[12:13], v[70:71]
	s_wait_loadcnt_dscnt 0x400
	v_mul_f64_e32 v[70:71], v[54:55], v[100:101]
	v_mul_f64_e32 v[74:75], v[56:57], v[100:101]
	v_fmac_f64_e32 v[66:67], v[10:11], v[94:95]
	v_fma_f64 v[76:77], v[8:9], v[94:95], -v[76:77]
	ds_load_b128 v[8:11], v2 offset:528
	v_add_f64_e32 v[4:5], v[4:5], v[72:73]
	v_add_f64_e32 v[12:13], v[12:13], v[68:69]
	s_wait_loadcnt_dscnt 0x300
	v_mul_f64_e32 v[68:69], v[8:9], v[52:53]
	v_mul_f64_e32 v[72:73], v[10:11], v[52:53]
	v_fmac_f64_e32 v[70:71], v[56:57], v[98:99]
	v_fma_f64 v[56:57], v[54:55], v[98:99], -v[74:75]
	ds_load_b128 v[52:55], v2 offset:544
	s_wait_loadcnt_dscnt 0x200
	v_mul_f64_e32 v[74:75], v[54:55], v[88:89]
	v_add_f64_e32 v[4:5], v[4:5], v[76:77]
	v_add_f64_e32 v[12:13], v[12:13], v[66:67]
	v_mul_f64_e32 v[66:67], v[52:53], v[88:89]
	v_fmac_f64_e32 v[68:69], v[10:11], v[50:51]
	v_fma_f64 v[8:9], v[8:9], v[50:51], -v[72:73]
	v_fma_f64 v[52:53], v[52:53], v[86:87], -v[74:75]
	v_add_f64_e32 v[10:11], v[4:5], v[56:57]
	v_add_f64_e32 v[12:13], v[12:13], v[70:71]
	ds_load_b128 v[2:5], v2 offset:560
	v_fmac_f64_e32 v[66:67], v[54:55], v[86:87]
	s_wait_loadcnt_dscnt 0x100
	v_mul_f64_e32 v[50:51], v[2:3], v[60:61]
	v_mul_f64_e32 v[56:57], v[4:5], v[60:61]
	v_add_f64_e32 v[8:9], v[10:11], v[8:9]
	v_add_f64_e32 v[10:11], v[12:13], v[68:69]
	s_delay_alu instid0(VALU_DEP_4) | instskip(NEXT) | instid1(VALU_DEP_4)
	v_fmac_f64_e32 v[50:51], v[4:5], v[58:59]
	v_fma_f64 v[2:3], v[2:3], v[58:59], -v[56:57]
	s_delay_alu instid0(VALU_DEP_4) | instskip(NEXT) | instid1(VALU_DEP_4)
	v_add_f64_e32 v[4:5], v[8:9], v[52:53]
	v_add_f64_e32 v[8:9], v[10:11], v[66:67]
	s_delay_alu instid0(VALU_DEP_2) | instskip(NEXT) | instid1(VALU_DEP_2)
	v_add_f64_e32 v[2:3], v[4:5], v[2:3]
	v_add_f64_e32 v[4:5], v[8:9], v[50:51]
	s_wait_loadcnt 0x0
	s_delay_alu instid0(VALU_DEP_2) | instskip(NEXT) | instid1(VALU_DEP_2)
	v_add_f64_e64 v[2:3], v[62:63], -v[2:3]
	v_add_f64_e64 v[4:5], v[64:65], -v[4:5]
	scratch_store_b128 off, v[2:5], off offset:16
	s_wait_xcnt 0x0
	v_cmpx_ne_u32_e32 0, v1
	s_cbranch_execz .LBB81_121
; %bb.120:
	scratch_load_b128 v[2:5], off, off
	v_mov_b32_e32 v8, 0
	s_delay_alu instid0(VALU_DEP_1)
	v_dual_mov_b32 v9, v8 :: v_dual_mov_b32 v10, v8
	v_mov_b32_e32 v11, v8
	scratch_store_b128 off, v[8:11], off
	s_wait_loadcnt 0x0
	ds_store_b128 v6, v[2:5]
.LBB81_121:
	s_wait_xcnt 0x0
	s_or_b32 exec_lo, exec_lo, s2
	s_wait_storecnt_dscnt 0x0
	s_barrier_signal -1
	s_barrier_wait -1
	s_clause 0x9
	scratch_load_b128 v[2:5], off, off offset:16
	scratch_load_b128 v[6:9], off, off offset:32
	;; [unrolled: 1-line block ×10, first 2 shown]
	v_mov_b32_e32 v60, 0
	s_and_b32 vcc_lo, exec_lo, s29
	ds_load_b128 v[82:85], v60 offset:304
	s_clause 0x2
	scratch_load_b128 v[86:89], off, off offset:176
	scratch_load_b128 v[90:93], off, off
	scratch_load_b128 v[98:101], off, off offset:192
	s_wait_loadcnt_dscnt 0xc00
	v_mul_f64_e32 v[58:59], v[84:85], v[4:5]
	v_mul_f64_e32 v[102:103], v[82:83], v[4:5]
	ds_load_b128 v[94:97], v60 offset:320
	s_wait_loadcnt_dscnt 0xb00
	v_mul_f64_e32 v[104:105], v[94:95], v[8:9]
	v_mul_f64_e32 v[8:9], v[96:97], v[8:9]
	v_fma_f64 v[58:59], v[82:83], v[2:3], -v[58:59]
	v_fmac_f64_e32 v[102:103], v[84:85], v[2:3]
	ds_load_b128 v[2:5], v60 offset:336
	ds_load_b128 v[82:85], v60 offset:352
	s_wait_loadcnt_dscnt 0xa01
	v_mul_f64_e32 v[106:107], v[2:3], v[12:13]
	v_mul_f64_e32 v[12:13], v[4:5], v[12:13]
	v_fmac_f64_e32 v[104:105], v[96:97], v[6:7]
	v_fma_f64 v[94:95], v[94:95], v[6:7], -v[8:9]
	scratch_load_b128 v[6:9], off, off offset:208
	v_add_f64_e32 v[58:59], 0, v[58:59]
	v_add_f64_e32 v[96:97], 0, v[102:103]
	s_wait_loadcnt_dscnt 0xa00
	v_mul_f64_e32 v[102:103], v[82:83], v[52:53]
	v_mul_f64_e32 v[52:53], v[84:85], v[52:53]
	v_fmac_f64_e32 v[106:107], v[4:5], v[10:11]
	v_fma_f64 v[108:109], v[2:3], v[10:11], -v[12:13]
	scratch_load_b128 v[2:5], off, off offset:224
	v_add_f64_e32 v[58:59], v[58:59], v[94:95]
	v_add_f64_e32 v[104:105], v[96:97], v[104:105]
	ds_load_b128 v[10:13], v60 offset:368
	ds_load_b128 v[94:97], v60 offset:384
	v_fmac_f64_e32 v[102:103], v[84:85], v[50:51]
	v_fma_f64 v[82:83], v[82:83], v[50:51], -v[52:53]
	scratch_load_b128 v[50:53], off, off offset:240
	s_wait_loadcnt_dscnt 0xb01
	v_mul_f64_e32 v[110:111], v[10:11], v[56:57]
	v_mul_f64_e32 v[84:85], v[12:13], v[56:57]
	v_add_f64_e32 v[108:109], v[58:59], v[108:109]
	v_add_f64_e32 v[104:105], v[104:105], v[106:107]
	scratch_load_b128 v[56:59], off, off offset:256
	s_wait_loadcnt_dscnt 0xb00
	v_mul_f64_e32 v[106:107], v[94:95], v[64:65]
	v_mul_f64_e32 v[64:65], v[96:97], v[64:65]
	v_fmac_f64_e32 v[110:111], v[12:13], v[54:55]
	v_fma_f64 v[54:55], v[10:11], v[54:55], -v[84:85]
	ds_load_b128 v[10:13], v60 offset:400
	v_add_f64_e32 v[108:109], v[108:109], v[82:83]
	v_add_f64_e32 v[102:103], v[104:105], v[102:103]
	scratch_load_b128 v[82:85], off, off offset:272
	v_fmac_f64_e32 v[106:107], v[96:97], v[62:63]
	v_fma_f64 v[94:95], v[94:95], v[62:63], -v[64:65]
	ds_load_b128 v[62:65], v60 offset:416
	s_wait_loadcnt_dscnt 0xb01
	v_mul_f64_e32 v[96:97], v[10:11], v[68:69]
	v_mul_f64_e32 v[68:69], v[12:13], v[68:69]
	s_wait_loadcnt_dscnt 0xa00
	v_mul_f64_e32 v[104:105], v[62:63], v[72:73]
	v_mul_f64_e32 v[72:73], v[64:65], v[72:73]
	v_add_f64_e32 v[54:55], v[108:109], v[54:55]
	v_add_f64_e32 v[102:103], v[102:103], v[110:111]
	v_fmac_f64_e32 v[96:97], v[12:13], v[66:67]
	v_fma_f64 v[108:109], v[10:11], v[66:67], -v[68:69]
	ds_load_b128 v[10:13], v60 offset:432
	ds_load_b128 v[66:69], v60 offset:448
	v_fmac_f64_e32 v[104:105], v[64:65], v[70:71]
	v_fma_f64 v[62:63], v[62:63], v[70:71], -v[72:73]
	v_add_f64_e32 v[54:55], v[54:55], v[94:95]
	v_add_f64_e32 v[94:95], v[102:103], v[106:107]
	s_wait_loadcnt_dscnt 0x901
	v_mul_f64_e32 v[102:103], v[10:11], v[76:77]
	v_mul_f64_e32 v[76:77], v[12:13], v[76:77]
	s_wait_loadcnt_dscnt 0x800
	v_mul_f64_e32 v[70:71], v[66:67], v[80:81]
	v_mul_f64_e32 v[72:73], v[68:69], v[80:81]
	v_add_f64_e32 v[54:55], v[54:55], v[108:109]
	v_add_f64_e32 v[64:65], v[94:95], v[96:97]
	v_fmac_f64_e32 v[102:103], v[12:13], v[74:75]
	v_fma_f64 v[74:75], v[10:11], v[74:75], -v[76:77]
	v_fmac_f64_e32 v[70:71], v[68:69], v[78:79]
	v_fma_f64 v[66:67], v[66:67], v[78:79], -v[72:73]
	v_add_f64_e32 v[54:55], v[54:55], v[62:63]
	v_add_f64_e32 v[76:77], v[64:65], v[104:105]
	ds_load_b128 v[10:13], v60 offset:464
	ds_load_b128 v[62:65], v60 offset:480
	s_wait_loadcnt_dscnt 0x701
	v_mul_f64_e32 v[80:81], v[10:11], v[88:89]
	v_mul_f64_e32 v[88:89], v[12:13], v[88:89]
	s_wait_loadcnt_dscnt 0x500
	v_mul_f64_e32 v[72:73], v[62:63], v[100:101]
	v_add_f64_e32 v[54:55], v[54:55], v[74:75]
	v_add_f64_e32 v[68:69], v[76:77], v[102:103]
	v_mul_f64_e32 v[74:75], v[64:65], v[100:101]
	v_fmac_f64_e32 v[80:81], v[12:13], v[86:87]
	v_fma_f64 v[76:77], v[10:11], v[86:87], -v[88:89]
	v_fmac_f64_e32 v[72:73], v[64:65], v[98:99]
	v_add_f64_e32 v[54:55], v[54:55], v[66:67]
	v_add_f64_e32 v[70:71], v[68:69], v[70:71]
	ds_load_b128 v[10:13], v60 offset:496
	ds_load_b128 v[66:69], v60 offset:512
	v_fma_f64 v[62:63], v[62:63], v[98:99], -v[74:75]
	s_wait_loadcnt_dscnt 0x401
	v_mul_f64_e32 v[78:79], v[10:11], v[8:9]
	v_mul_f64_e32 v[8:9], v[12:13], v[8:9]
	v_add_f64_e32 v[54:55], v[54:55], v[76:77]
	v_add_f64_e32 v[64:65], v[70:71], v[80:81]
	s_wait_loadcnt_dscnt 0x300
	v_mul_f64_e32 v[70:71], v[66:67], v[4:5]
	v_mul_f64_e32 v[74:75], v[68:69], v[4:5]
	v_fmac_f64_e32 v[78:79], v[12:13], v[6:7]
	v_fma_f64 v[12:13], v[10:11], v[6:7], -v[8:9]
	ds_load_b128 v[4:7], v60 offset:528
	ds_load_b128 v[8:11], v60 offset:544
	v_add_f64_e32 v[54:55], v[54:55], v[62:63]
	v_add_f64_e32 v[62:63], v[64:65], v[72:73]
	s_wait_loadcnt_dscnt 0x201
	v_mul_f64_e32 v[64:65], v[4:5], v[52:53]
	v_mul_f64_e32 v[52:53], v[6:7], v[52:53]
	v_fmac_f64_e32 v[70:71], v[68:69], v[2:3]
	v_fma_f64 v[2:3], v[66:67], v[2:3], -v[74:75]
	v_add_f64_e32 v[12:13], v[54:55], v[12:13]
	v_add_f64_e32 v[54:55], v[62:63], v[78:79]
	s_wait_loadcnt_dscnt 0x100
	v_mul_f64_e32 v[62:63], v[8:9], v[58:59]
	v_mul_f64_e32 v[58:59], v[10:11], v[58:59]
	v_fmac_f64_e32 v[64:65], v[6:7], v[50:51]
	v_fma_f64 v[6:7], v[4:5], v[50:51], -v[52:53]
	v_add_f64_e32 v[12:13], v[12:13], v[2:3]
	v_add_f64_e32 v[50:51], v[54:55], v[70:71]
	ds_load_b128 v[2:5], v60 offset:560
	v_fmac_f64_e32 v[62:63], v[10:11], v[56:57]
	v_fma_f64 v[8:9], v[8:9], v[56:57], -v[58:59]
	v_lshl_add_u64 v[58:59], v[18:19], 4, s[4:5]
	v_lshl_add_u64 v[56:57], v[20:21], 4, s[4:5]
	v_lshl_add_u64 v[20:21], v[34:35], 4, s[4:5]
	v_lshl_add_u64 v[18:19], v[36:37], 4, s[4:5]
	s_wait_loadcnt_dscnt 0x0
	v_mul_f64_e32 v[52:53], v[2:3], v[84:85]
	v_mul_f64_e32 v[54:55], v[4:5], v[84:85]
	v_add_f64_e32 v[6:7], v[12:13], v[6:7]
	v_add_f64_e32 v[10:11], v[50:51], v[64:65]
	v_lshl_add_u64 v[50:51], v[26:27], 4, s[4:5]
	v_lshl_add_u64 v[26:27], v[28:29], 4, s[4:5]
	;; [unrolled: 1-line block ×3, first 2 shown]
	v_fmac_f64_e32 v[52:53], v[4:5], v[82:83]
	v_fma_f64 v[2:3], v[2:3], v[82:83], -v[54:55]
	v_lshl_add_u64 v[54:55], v[22:23], 4, s[4:5]
	v_lshl_add_u64 v[22:23], v[32:33], 4, s[4:5]
	v_add_f64_e32 v[4:5], v[6:7], v[8:9]
	v_add_f64_e32 v[6:7], v[10:11], v[62:63]
	v_lshl_add_u64 v[10:11], v[40:41], 4, s[4:5]
	v_lshl_add_u64 v[8:9], v[42:43], 4, s[4:5]
	s_delay_alu instid0(VALU_DEP_4) | instskip(NEXT) | instid1(VALU_DEP_4)
	v_add_f64_e32 v[2:3], v[4:5], v[2:3]
	v_add_f64_e32 v[4:5], v[6:7], v[52:53]
	v_lshl_add_u64 v[52:53], v[24:25], 4, s[4:5]
	v_lshl_add_u64 v[24:25], v[30:31], 4, s[4:5]
	;; [unrolled: 1-line block ×3, first 2 shown]
	v_add_f64_e64 v[62:63], v[90:91], -v[2:3]
	v_add_f64_e64 v[64:65], v[92:93], -v[4:5]
	v_lshl_add_u64 v[4:5], v[46:47], 4, s[4:5]
	v_lshl_add_u64 v[2:3], v[48:49], 4, s[4:5]
	scratch_store_b128 off, v[62:65], off
	s_cbranch_vccz .LBB81_156
; %bb.122:
	global_load_b32 v28, v60, s[8:9] offset:64
	s_load_b64 s[2:3], s[0:1], 0x4
	v_bfe_u32 v29, v0, 10, 10
	v_bfe_u32 v0, v0, 20, 10
	s_wait_kmcnt 0x0
	s_lshr_b32 s0, s2, 16
	s_delay_alu instid0(VALU_DEP_2) | instskip(SKIP_1) | instid1(SALU_CYCLE_1)
	v_mul_u32_u24_e32 v29, s3, v29
	s_mul_i32 s0, s0, s3
	v_mul_u32_u24_e32 v1, s0, v1
	s_delay_alu instid0(VALU_DEP_1) | instskip(NEXT) | instid1(VALU_DEP_1)
	v_add3_u32 v0, v1, v29, v0
	v_lshl_add_u32 v0, v0, 4, 0x248
	s_wait_loadcnt 0x0
	v_cmp_ne_u32_e32 vcc_lo, 17, v28
	s_cbranch_vccz .LBB81_124
; %bb.123:
	v_lshlrev_b32_e32 v1, 4, v28
	s_clause 0x1
	scratch_load_b128 v[28:31], off, s26
	scratch_load_b128 v[32:35], v1, off offset:-16
	s_wait_loadcnt 0x1
	ds_store_2addr_b64 v0, v[28:29], v[30:31] offset1:1
	s_wait_loadcnt 0x0
	s_clause 0x1
	scratch_store_b128 off, v[32:35], s26
	scratch_store_b128 v1, v[28:31], off offset:-16
.LBB81_124:
	s_wait_xcnt 0x0
	v_mov_b32_e32 v1, 0
	global_load_b32 v28, v1, s[8:9] offset:60
	s_wait_loadcnt 0x0
	v_cmp_eq_u32_e32 vcc_lo, 16, v28
	s_cbranch_vccnz .LBB81_126
; %bb.125:
	v_lshlrev_b32_e32 v28, 4, v28
	s_delay_alu instid0(VALU_DEP_1)
	v_mov_b32_e32 v36, v28
	s_clause 0x1
	scratch_load_b128 v[28:31], off, s17
	scratch_load_b128 v[32:35], v36, off offset:-16
	s_wait_loadcnt 0x1
	ds_store_2addr_b64 v0, v[28:29], v[30:31] offset1:1
	s_wait_loadcnt 0x0
	s_clause 0x1
	scratch_store_b128 off, v[32:35], s17
	scratch_store_b128 v36, v[28:31], off offset:-16
.LBB81_126:
	global_load_b32 v1, v1, s[8:9] offset:56
	s_wait_loadcnt 0x0
	v_cmp_eq_u32_e32 vcc_lo, 15, v1
	s_cbranch_vccnz .LBB81_128
; %bb.127:
	s_wait_xcnt 0x0
	v_lshlrev_b32_e32 v1, 4, v1
	s_clause 0x1
	scratch_load_b128 v[28:31], off, s25
	scratch_load_b128 v[32:35], v1, off offset:-16
	s_wait_loadcnt 0x1
	ds_store_2addr_b64 v0, v[28:29], v[30:31] offset1:1
	s_wait_loadcnt 0x0
	s_clause 0x1
	scratch_store_b128 off, v[32:35], s25
	scratch_store_b128 v1, v[28:31], off offset:-16
.LBB81_128:
	s_wait_xcnt 0x0
	v_mov_b32_e32 v1, 0
	global_load_b32 v28, v1, s[8:9] offset:52
	s_wait_loadcnt 0x0
	v_cmp_eq_u32_e32 vcc_lo, 14, v28
	s_cbranch_vccnz .LBB81_130
; %bb.129:
	v_lshlrev_b32_e32 v28, 4, v28
	s_delay_alu instid0(VALU_DEP_1)
	v_mov_b32_e32 v36, v28
	s_clause 0x1
	scratch_load_b128 v[28:31], off, s16
	scratch_load_b128 v[32:35], v36, off offset:-16
	s_wait_loadcnt 0x1
	ds_store_2addr_b64 v0, v[28:29], v[30:31] offset1:1
	s_wait_loadcnt 0x0
	s_clause 0x1
	scratch_store_b128 off, v[32:35], s16
	scratch_store_b128 v36, v[28:31], off offset:-16
.LBB81_130:
	global_load_b32 v1, v1, s[8:9] offset:48
	s_wait_loadcnt 0x0
	v_cmp_eq_u32_e32 vcc_lo, 13, v1
	s_cbranch_vccnz .LBB81_132
; %bb.131:
	s_wait_xcnt 0x0
	v_lshlrev_b32_e32 v1, 4, v1
	s_clause 0x1
	scratch_load_b128 v[28:31], off, s24
	scratch_load_b128 v[32:35], v1, off offset:-16
	s_wait_loadcnt 0x1
	ds_store_2addr_b64 v0, v[28:29], v[30:31] offset1:1
	s_wait_loadcnt 0x0
	s_clause 0x1
	scratch_store_b128 off, v[32:35], s24
	scratch_store_b128 v1, v[28:31], off offset:-16
.LBB81_132:
	;; [unrolled: 37-line block ×7, first 2 shown]
	s_wait_xcnt 0x0
	v_mov_b32_e32 v1, 0
	global_load_b32 v28, v1, s[8:9] offset:4
	s_wait_loadcnt 0x0
	v_cmp_eq_u32_e32 vcc_lo, 2, v28
	s_cbranch_vccnz .LBB81_154
; %bb.153:
	v_lshlrev_b32_e32 v28, 4, v28
	s_delay_alu instid0(VALU_DEP_1)
	v_mov_b32_e32 v36, v28
	s_clause 0x1
	scratch_load_b128 v[28:31], off, s28
	scratch_load_b128 v[32:35], v36, off offset:-16
	s_wait_loadcnt 0x1
	ds_store_2addr_b64 v0, v[28:29], v[30:31] offset1:1
	s_wait_loadcnt 0x0
	s_clause 0x1
	scratch_store_b128 off, v[32:35], s28
	scratch_store_b128 v36, v[28:31], off offset:-16
.LBB81_154:
	global_load_b32 v1, v1, s[8:9]
	s_wait_loadcnt 0x0
	v_cmp_eq_u32_e32 vcc_lo, 1, v1
	s_cbranch_vccnz .LBB81_156
; %bb.155:
	s_wait_xcnt 0x0
	v_lshlrev_b32_e32 v1, 4, v1
	scratch_load_b128 v[28:31], off, off
	scratch_load_b128 v[32:35], v1, off offset:-16
	s_wait_loadcnt 0x1
	ds_store_2addr_b64 v0, v[28:29], v[30:31] offset1:1
	s_wait_loadcnt 0x0
	scratch_store_b128 off, v[32:35], off
	scratch_store_b128 v1, v[28:31], off offset:-16
.LBB81_156:
	scratch_load_b128 v[28:31], off, off
	s_wait_loadcnt 0x0
	flat_store_b128 v[14:15], v[28:31]
	scratch_load_b128 v[28:31], off, s28
	s_wait_loadcnt 0x0
	flat_store_b128 v[16:17], v[28:31]
	scratch_load_b128 v[14:17], off, s27
	;; [unrolled: 3-line block ×17, first 2 shown]
	s_wait_loadcnt 0x0
	flat_store_b128 v[2:3], v[4:7]
	s_sendmsg sendmsg(MSG_DEALLOC_VGPRS)
	s_endpgm
	.section	.rodata,"a",@progbits
	.p2align	6, 0x0
	.amdhsa_kernel _ZN9rocsolver6v33100L18getri_kernel_smallILi18E19rocblas_complex_numIdEPKPS3_EEvT1_iilPiilS8_bb
		.amdhsa_group_segment_fixed_size 1608
		.amdhsa_private_segment_fixed_size 304
		.amdhsa_kernarg_size 60
		.amdhsa_user_sgpr_count 4
		.amdhsa_user_sgpr_dispatch_ptr 1
		.amdhsa_user_sgpr_queue_ptr 0
		.amdhsa_user_sgpr_kernarg_segment_ptr 1
		.amdhsa_user_sgpr_dispatch_id 0
		.amdhsa_user_sgpr_kernarg_preload_length 0
		.amdhsa_user_sgpr_kernarg_preload_offset 0
		.amdhsa_user_sgpr_private_segment_size 0
		.amdhsa_wavefront_size32 1
		.amdhsa_uses_dynamic_stack 0
		.amdhsa_enable_private_segment 1
		.amdhsa_system_sgpr_workgroup_id_x 1
		.amdhsa_system_sgpr_workgroup_id_y 0
		.amdhsa_system_sgpr_workgroup_id_z 0
		.amdhsa_system_sgpr_workgroup_info 0
		.amdhsa_system_vgpr_workitem_id 2
		.amdhsa_next_free_vgpr 116
		.amdhsa_next_free_sgpr 34
		.amdhsa_named_barrier_count 0
		.amdhsa_reserve_vcc 1
		.amdhsa_float_round_mode_32 0
		.amdhsa_float_round_mode_16_64 0
		.amdhsa_float_denorm_mode_32 3
		.amdhsa_float_denorm_mode_16_64 3
		.amdhsa_fp16_overflow 0
		.amdhsa_memory_ordered 1
		.amdhsa_forward_progress 1
		.amdhsa_inst_pref_size 153
		.amdhsa_round_robin_scheduling 0
		.amdhsa_exception_fp_ieee_invalid_op 0
		.amdhsa_exception_fp_denorm_src 0
		.amdhsa_exception_fp_ieee_div_zero 0
		.amdhsa_exception_fp_ieee_overflow 0
		.amdhsa_exception_fp_ieee_underflow 0
		.amdhsa_exception_fp_ieee_inexact 0
		.amdhsa_exception_int_div_zero 0
	.end_amdhsa_kernel
	.section	.text._ZN9rocsolver6v33100L18getri_kernel_smallILi18E19rocblas_complex_numIdEPKPS3_EEvT1_iilPiilS8_bb,"axG",@progbits,_ZN9rocsolver6v33100L18getri_kernel_smallILi18E19rocblas_complex_numIdEPKPS3_EEvT1_iilPiilS8_bb,comdat
.Lfunc_end81:
	.size	_ZN9rocsolver6v33100L18getri_kernel_smallILi18E19rocblas_complex_numIdEPKPS3_EEvT1_iilPiilS8_bb, .Lfunc_end81-_ZN9rocsolver6v33100L18getri_kernel_smallILi18E19rocblas_complex_numIdEPKPS3_EEvT1_iilPiilS8_bb
                                        ; -- End function
	.set _ZN9rocsolver6v33100L18getri_kernel_smallILi18E19rocblas_complex_numIdEPKPS3_EEvT1_iilPiilS8_bb.num_vgpr, 116
	.set _ZN9rocsolver6v33100L18getri_kernel_smallILi18E19rocblas_complex_numIdEPKPS3_EEvT1_iilPiilS8_bb.num_agpr, 0
	.set _ZN9rocsolver6v33100L18getri_kernel_smallILi18E19rocblas_complex_numIdEPKPS3_EEvT1_iilPiilS8_bb.numbered_sgpr, 34
	.set _ZN9rocsolver6v33100L18getri_kernel_smallILi18E19rocblas_complex_numIdEPKPS3_EEvT1_iilPiilS8_bb.num_named_barrier, 0
	.set _ZN9rocsolver6v33100L18getri_kernel_smallILi18E19rocblas_complex_numIdEPKPS3_EEvT1_iilPiilS8_bb.private_seg_size, 304
	.set _ZN9rocsolver6v33100L18getri_kernel_smallILi18E19rocblas_complex_numIdEPKPS3_EEvT1_iilPiilS8_bb.uses_vcc, 1
	.set _ZN9rocsolver6v33100L18getri_kernel_smallILi18E19rocblas_complex_numIdEPKPS3_EEvT1_iilPiilS8_bb.uses_flat_scratch, 1
	.set _ZN9rocsolver6v33100L18getri_kernel_smallILi18E19rocblas_complex_numIdEPKPS3_EEvT1_iilPiilS8_bb.has_dyn_sized_stack, 0
	.set _ZN9rocsolver6v33100L18getri_kernel_smallILi18E19rocblas_complex_numIdEPKPS3_EEvT1_iilPiilS8_bb.has_recursion, 0
	.set _ZN9rocsolver6v33100L18getri_kernel_smallILi18E19rocblas_complex_numIdEPKPS3_EEvT1_iilPiilS8_bb.has_indirect_call, 0
	.section	.AMDGPU.csdata,"",@progbits
; Kernel info:
; codeLenInByte = 19492
; TotalNumSgprs: 36
; NumVgprs: 116
; ScratchSize: 304
; MemoryBound: 0
; FloatMode: 240
; IeeeMode: 1
; LDSByteSize: 1608 bytes/workgroup (compile time only)
; SGPRBlocks: 0
; VGPRBlocks: 7
; NumSGPRsForWavesPerEU: 36
; NumVGPRsForWavesPerEU: 116
; NamedBarCnt: 0
; Occupancy: 8
; WaveLimiterHint : 1
; COMPUTE_PGM_RSRC2:SCRATCH_EN: 1
; COMPUTE_PGM_RSRC2:USER_SGPR: 4
; COMPUTE_PGM_RSRC2:TRAP_HANDLER: 0
; COMPUTE_PGM_RSRC2:TGID_X_EN: 1
; COMPUTE_PGM_RSRC2:TGID_Y_EN: 0
; COMPUTE_PGM_RSRC2:TGID_Z_EN: 0
; COMPUTE_PGM_RSRC2:TIDIG_COMP_CNT: 2
	.section	.text._ZN9rocsolver6v33100L18getri_kernel_smallILi19E19rocblas_complex_numIdEPKPS3_EEvT1_iilPiilS8_bb,"axG",@progbits,_ZN9rocsolver6v33100L18getri_kernel_smallILi19E19rocblas_complex_numIdEPKPS3_EEvT1_iilPiilS8_bb,comdat
	.globl	_ZN9rocsolver6v33100L18getri_kernel_smallILi19E19rocblas_complex_numIdEPKPS3_EEvT1_iilPiilS8_bb ; -- Begin function _ZN9rocsolver6v33100L18getri_kernel_smallILi19E19rocblas_complex_numIdEPKPS3_EEvT1_iilPiilS8_bb
	.p2align	8
	.type	_ZN9rocsolver6v33100L18getri_kernel_smallILi19E19rocblas_complex_numIdEPKPS3_EEvT1_iilPiilS8_bb,@function
_ZN9rocsolver6v33100L18getri_kernel_smallILi19E19rocblas_complex_numIdEPKPS3_EEvT1_iilPiilS8_bb: ; @_ZN9rocsolver6v33100L18getri_kernel_smallILi19E19rocblas_complex_numIdEPKPS3_EEvT1_iilPiilS8_bb
; %bb.0:
	v_and_b32_e32 v1, 0x3ff, v0
	s_mov_b32 s4, exec_lo
	s_delay_alu instid0(VALU_DEP_1)
	v_cmpx_gt_u32_e32 19, v1
	s_cbranch_execz .LBB82_90
; %bb.1:
	s_clause 0x1
	s_load_b32 s16, s[2:3], 0x38
	s_load_b64 s[8:9], s[2:3], 0x0
	s_getreg_b32 s6, hwreg(HW_REG_IB_STS2, 6, 4)
	s_wait_kmcnt 0x0
	s_bitcmp1_b32 s16, 8
	s_cselect_b32 s30, -1, 0
	s_bfe_u32 s4, ttmp6, 0x4000c
	s_and_b32 s5, ttmp6, 15
	s_add_co_i32 s4, s4, 1
	s_delay_alu instid0(SALU_CYCLE_1) | instskip(NEXT) | instid1(SALU_CYCLE_1)
	s_mul_i32 s4, ttmp9, s4
	s_add_co_i32 s5, s5, s4
	s_cmp_eq_u32 s6, 0
	s_cselect_b32 s10, ttmp9, s5
	s_load_b128 s[4:7], s[2:3], 0x28
	s_ashr_i32 s11, s10, 31
	s_delay_alu instid0(SALU_CYCLE_1) | instskip(NEXT) | instid1(SALU_CYCLE_1)
	s_lshl_b64 s[12:13], s[10:11], 3
	s_add_nc_u64 s[8:9], s[8:9], s[12:13]
	s_load_b64 s[14:15], s[8:9], 0x0
	s_wait_xcnt 0x0
	s_bfe_u32 s8, s16, 0x10008
	s_delay_alu instid0(SALU_CYCLE_1)
	s_cmp_eq_u32 s8, 0
                                        ; implicit-def: $sgpr8_sgpr9
	s_cbranch_scc1 .LBB82_3
; %bb.2:
	s_load_b96 s[16:18], s[2:3], 0x18
	s_wait_kmcnt 0x0
	s_mul_u64 s[4:5], s[4:5], s[10:11]
	s_delay_alu instid0(SALU_CYCLE_1) | instskip(SKIP_4) | instid1(SALU_CYCLE_1)
	s_lshl_b64 s[4:5], s[4:5], 2
	s_ashr_i32 s9, s18, 31
	s_mov_b32 s8, s18
	s_add_nc_u64 s[4:5], s[16:17], s[4:5]
	s_lshl_b64 s[8:9], s[8:9], 2
	s_add_nc_u64 s[8:9], s[4:5], s[8:9]
.LBB82_3:
	s_clause 0x1
	s_load_b64 s[12:13], s[2:3], 0x8
	s_load_b32 s31, s[2:3], 0x38
	v_dual_mov_b32 v53, 0 :: v_dual_lshlrev_b32 v52, 4, v1
	s_mov_b32 s29, 16
	s_mov_b32 s28, 32
	;; [unrolled: 1-line block ×3, first 2 shown]
	s_movk_i32 s21, 0x50
	s_movk_i32 s22, 0x70
	;; [unrolled: 1-line block ×11, first 2 shown]
	s_wait_kmcnt 0x0
	s_ashr_i32 s3, s12, 31
	s_mov_b32 s2, s12
	v_add3_u32 v18, s13, s13, v1
	s_lshl_b64 s[2:3], s[2:3], 4
	s_mov_b32 s12, 64
	s_add_nc_u64 s[4:5], s[14:15], s[2:3]
	s_ashr_i32 s3, s13, 31
	flat_load_b128 v[2:5], v1, s[4:5] scale_offset
	v_add_nc_u64_e32 v[14:15], s[4:5], v[52:53]
	s_mov_b32 s2, s13
	v_add_nc_u32_e32 v20, s13, v18
	s_movk_i32 s14, 0x80
	s_movk_i32 s15, 0xa0
	s_bitcmp0_b32 s31, 0
	s_delay_alu instid0(VALU_DEP_2) | instskip(SKIP_2) | instid1(VALU_DEP_1)
	v_lshl_add_u64 v[16:17], s[2:3], 4, v[14:15]
	v_add_nc_u32_e32 v22, s13, v20
	s_mov_b32 s3, -1
	v_add_nc_u32_e32 v24, s13, v22
	s_delay_alu instid0(VALU_DEP_1) | instskip(NEXT) | instid1(VALU_DEP_1)
	v_add_nc_u32_e32 v26, s13, v24
	v_add_nc_u32_e32 v28, s13, v26
	s_delay_alu instid0(VALU_DEP_1) | instskip(NEXT) | instid1(VALU_DEP_1)
	v_add_nc_u32_e32 v30, s13, v28
	;; [unrolled: 3-line block ×6, first 2 shown]
	v_add_nc_u32_e32 v48, s13, v46
	s_delay_alu instid0(VALU_DEP_1)
	v_add_nc_u32_e32 v50, s13, v48
	s_movk_i32 s13, 0x60
	s_wait_loadcnt_dscnt 0x0
	scratch_store_b128 off, v[2:5], off
	flat_load_b128 v[2:5], v[16:17]
	s_wait_loadcnt_dscnt 0x0
	scratch_store_b128 off, v[2:5], off offset:16
	flat_load_b128 v[2:5], v18, s[4:5] scale_offset
	s_wait_loadcnt_dscnt 0x0
	scratch_store_b128 off, v[2:5], off offset:32
	flat_load_b128 v[2:5], v20, s[4:5] scale_offset
	;; [unrolled: 3-line block ×17, first 2 shown]
	s_wait_loadcnt_dscnt 0x0
	scratch_store_b128 off, v[2:5], off offset:288
	s_cbranch_scc1 .LBB82_88
; %bb.4:
	v_cmp_eq_u32_e64 s2, 0, v1
	s_wait_xcnt 0x0
	s_and_saveexec_b32 s3, s2
; %bb.5:
	v_mov_b32_e32 v2, 0
	ds_store_b32 v2, v2 offset:608
; %bb.6:
	s_or_b32 exec_lo, exec_lo, s3
	s_wait_storecnt_dscnt 0x0
	s_barrier_signal -1
	s_barrier_wait -1
	scratch_load_b128 v[2:5], v1, off scale_offset
	s_wait_loadcnt 0x0
	v_cmp_eq_f64_e32 vcc_lo, 0, v[2:3]
	v_cmp_eq_f64_e64 s3, 0, v[4:5]
	s_and_b32 s3, vcc_lo, s3
	s_delay_alu instid0(SALU_CYCLE_1)
	s_and_saveexec_b32 s31, s3
	s_cbranch_execz .LBB82_10
; %bb.7:
	v_mov_b32_e32 v2, 0
	s_mov_b32 s33, 0
	ds_load_b32 v3, v2 offset:608
	s_wait_dscnt 0x0
	v_readfirstlane_b32 s3, v3
	v_add_nc_u32_e32 v3, 1, v1
	s_cmp_eq_u32 s3, 0
	s_delay_alu instid0(VALU_DEP_1) | instskip(SKIP_1) | instid1(SALU_CYCLE_1)
	v_cmp_gt_i32_e32 vcc_lo, s3, v3
	s_cselect_b32 s34, -1, 0
	s_or_b32 s34, s34, vcc_lo
	s_delay_alu instid0(SALU_CYCLE_1)
	s_and_b32 exec_lo, exec_lo, s34
	s_cbranch_execz .LBB82_10
; %bb.8:
	v_mov_b32_e32 v4, s3
.LBB82_9:                               ; =>This Inner Loop Header: Depth=1
	ds_cmpstore_rtn_b32 v4, v2, v3, v4 offset:608
	s_wait_dscnt 0x0
	v_cmp_ne_u32_e32 vcc_lo, 0, v4
	v_cmp_le_i32_e64 s3, v4, v3
	s_and_b32 s3, vcc_lo, s3
	s_delay_alu instid0(SALU_CYCLE_1) | instskip(NEXT) | instid1(SALU_CYCLE_1)
	s_and_b32 s3, exec_lo, s3
	s_or_b32 s33, s3, s33
	s_delay_alu instid0(SALU_CYCLE_1)
	s_and_not1_b32 exec_lo, exec_lo, s33
	s_cbranch_execnz .LBB82_9
.LBB82_10:
	s_or_b32 exec_lo, exec_lo, s31
	v_mov_b32_e32 v2, 0
	s_barrier_signal -1
	s_barrier_wait -1
	ds_load_b32 v3, v2 offset:608
	s_and_saveexec_b32 s3, s2
	s_cbranch_execz .LBB82_12
; %bb.11:
	s_lshl_b64 s[34:35], s[10:11], 2
	s_delay_alu instid0(SALU_CYCLE_1)
	s_add_nc_u64 s[34:35], s[6:7], s[34:35]
	s_wait_dscnt 0x0
	global_store_b32 v2, v3, s[34:35]
.LBB82_12:
	s_wait_xcnt 0x0
	s_or_b32 exec_lo, exec_lo, s3
	s_wait_dscnt 0x0
	v_cmp_ne_u32_e32 vcc_lo, 0, v3
	s_mov_b32 s3, 0
	s_cbranch_vccnz .LBB82_88
; %bb.13:
	v_lshl_add_u32 v19, v1, 4, 0
                                        ; implicit-def: $vgpr6_vgpr7
                                        ; implicit-def: $vgpr10_vgpr11
	scratch_load_b128 v[2:5], v19, off
	s_wait_loadcnt 0x0
	v_cmp_ngt_f64_e64 s3, |v[2:3]|, |v[4:5]|
	s_wait_xcnt 0x0
	s_and_saveexec_b32 s31, s3
	s_delay_alu instid0(SALU_CYCLE_1)
	s_xor_b32 s3, exec_lo, s31
	s_cbranch_execz .LBB82_15
; %bb.14:
	v_div_scale_f64 v[6:7], null, v[4:5], v[4:5], v[2:3]
	v_div_scale_f64 v[12:13], vcc_lo, v[2:3], v[4:5], v[2:3]
	s_delay_alu instid0(VALU_DEP_2) | instskip(SKIP_1) | instid1(TRANS32_DEP_1)
	v_rcp_f64_e32 v[8:9], v[6:7]
	v_nop
	v_fma_f64 v[10:11], -v[6:7], v[8:9], 1.0
	s_delay_alu instid0(VALU_DEP_1) | instskip(NEXT) | instid1(VALU_DEP_1)
	v_fmac_f64_e32 v[8:9], v[8:9], v[10:11]
	v_fma_f64 v[10:11], -v[6:7], v[8:9], 1.0
	s_delay_alu instid0(VALU_DEP_1) | instskip(NEXT) | instid1(VALU_DEP_1)
	v_fmac_f64_e32 v[8:9], v[8:9], v[10:11]
	v_mul_f64_e32 v[10:11], v[12:13], v[8:9]
	s_delay_alu instid0(VALU_DEP_1) | instskip(NEXT) | instid1(VALU_DEP_1)
	v_fma_f64 v[6:7], -v[6:7], v[10:11], v[12:13]
	v_div_fmas_f64 v[6:7], v[6:7], v[8:9], v[10:11]
	s_delay_alu instid0(VALU_DEP_1) | instskip(NEXT) | instid1(VALU_DEP_1)
	v_div_fixup_f64 v[6:7], v[6:7], v[4:5], v[2:3]
	v_fmac_f64_e32 v[4:5], v[2:3], v[6:7]
	s_delay_alu instid0(VALU_DEP_1) | instskip(SKIP_1) | instid1(VALU_DEP_2)
	v_div_scale_f64 v[2:3], null, v[4:5], v[4:5], 1.0
	v_div_scale_f64 v[12:13], vcc_lo, 1.0, v[4:5], 1.0
	v_rcp_f64_e32 v[8:9], v[2:3]
	v_nop
	s_delay_alu instid0(TRANS32_DEP_1) | instskip(NEXT) | instid1(VALU_DEP_1)
	v_fma_f64 v[10:11], -v[2:3], v[8:9], 1.0
	v_fmac_f64_e32 v[8:9], v[8:9], v[10:11]
	s_delay_alu instid0(VALU_DEP_1) | instskip(NEXT) | instid1(VALU_DEP_1)
	v_fma_f64 v[10:11], -v[2:3], v[8:9], 1.0
	v_fmac_f64_e32 v[8:9], v[8:9], v[10:11]
	s_delay_alu instid0(VALU_DEP_1) | instskip(NEXT) | instid1(VALU_DEP_1)
	v_mul_f64_e32 v[10:11], v[12:13], v[8:9]
	v_fma_f64 v[2:3], -v[2:3], v[10:11], v[12:13]
	s_delay_alu instid0(VALU_DEP_1) | instskip(NEXT) | instid1(VALU_DEP_1)
	v_div_fmas_f64 v[2:3], v[2:3], v[8:9], v[10:11]
	v_div_fixup_f64 v[8:9], v[2:3], v[4:5], 1.0
                                        ; implicit-def: $vgpr2_vgpr3
	s_delay_alu instid0(VALU_DEP_1) | instskip(SKIP_1) | instid1(VALU_DEP_2)
	v_mul_f64_e32 v[6:7], v[6:7], v[8:9]
	v_xor_b32_e32 v9, 0x80000000, v9
	v_xor_b32_e32 v11, 0x80000000, v7
	s_delay_alu instid0(VALU_DEP_3)
	v_mov_b32_e32 v10, v6
.LBB82_15:
	s_and_not1_saveexec_b32 s3, s3
	s_cbranch_execz .LBB82_17
; %bb.16:
	v_div_scale_f64 v[6:7], null, v[2:3], v[2:3], v[4:5]
	v_div_scale_f64 v[12:13], vcc_lo, v[4:5], v[2:3], v[4:5]
	s_delay_alu instid0(VALU_DEP_2) | instskip(SKIP_1) | instid1(TRANS32_DEP_1)
	v_rcp_f64_e32 v[8:9], v[6:7]
	v_nop
	v_fma_f64 v[10:11], -v[6:7], v[8:9], 1.0
	s_delay_alu instid0(VALU_DEP_1) | instskip(NEXT) | instid1(VALU_DEP_1)
	v_fmac_f64_e32 v[8:9], v[8:9], v[10:11]
	v_fma_f64 v[10:11], -v[6:7], v[8:9], 1.0
	s_delay_alu instid0(VALU_DEP_1) | instskip(NEXT) | instid1(VALU_DEP_1)
	v_fmac_f64_e32 v[8:9], v[8:9], v[10:11]
	v_mul_f64_e32 v[10:11], v[12:13], v[8:9]
	s_delay_alu instid0(VALU_DEP_1) | instskip(NEXT) | instid1(VALU_DEP_1)
	v_fma_f64 v[6:7], -v[6:7], v[10:11], v[12:13]
	v_div_fmas_f64 v[6:7], v[6:7], v[8:9], v[10:11]
	s_delay_alu instid0(VALU_DEP_1) | instskip(NEXT) | instid1(VALU_DEP_1)
	v_div_fixup_f64 v[8:9], v[6:7], v[2:3], v[4:5]
	v_fmac_f64_e32 v[2:3], v[4:5], v[8:9]
	s_delay_alu instid0(VALU_DEP_1) | instskip(NEXT) | instid1(VALU_DEP_1)
	v_div_scale_f64 v[4:5], null, v[2:3], v[2:3], 1.0
	v_rcp_f64_e32 v[6:7], v[4:5]
	v_nop
	s_delay_alu instid0(TRANS32_DEP_1) | instskip(NEXT) | instid1(VALU_DEP_1)
	v_fma_f64 v[10:11], -v[4:5], v[6:7], 1.0
	v_fmac_f64_e32 v[6:7], v[6:7], v[10:11]
	s_delay_alu instid0(VALU_DEP_1) | instskip(NEXT) | instid1(VALU_DEP_1)
	v_fma_f64 v[10:11], -v[4:5], v[6:7], 1.0
	v_fmac_f64_e32 v[6:7], v[6:7], v[10:11]
	v_div_scale_f64 v[10:11], vcc_lo, 1.0, v[2:3], 1.0
	s_delay_alu instid0(VALU_DEP_1) | instskip(NEXT) | instid1(VALU_DEP_1)
	v_mul_f64_e32 v[12:13], v[10:11], v[6:7]
	v_fma_f64 v[4:5], -v[4:5], v[12:13], v[10:11]
	s_delay_alu instid0(VALU_DEP_1) | instskip(NEXT) | instid1(VALU_DEP_1)
	v_div_fmas_f64 v[4:5], v[4:5], v[6:7], v[12:13]
	v_div_fixup_f64 v[6:7], v[4:5], v[2:3], 1.0
	s_delay_alu instid0(VALU_DEP_1)
	v_mul_f64_e64 v[8:9], v[8:9], -v[6:7]
	v_xor_b32_e32 v11, 0x80000000, v7
	v_mov_b32_e32 v10, v6
.LBB82_17:
	s_or_b32 exec_lo, exec_lo, s3
	s_clause 0x1
	scratch_store_b128 v19, v[6:9], off
	scratch_load_b128 v[2:5], off, s29
	v_xor_b32_e32 v13, 0x80000000, v9
	v_mov_b32_e32 v12, v8
	s_wait_xcnt 0x1
	v_add_nc_u32_e32 v6, 0x130, v52
	ds_store_b128 v52, v[10:13]
	s_wait_loadcnt 0x0
	ds_store_b128 v52, v[2:5] offset:304
	s_wait_storecnt_dscnt 0x0
	s_barrier_signal -1
	s_barrier_wait -1
	s_wait_xcnt 0x0
	s_and_saveexec_b32 s3, s2
	s_cbranch_execz .LBB82_19
; %bb.18:
	scratch_load_b128 v[2:5], v19, off
	ds_load_b128 v[8:11], v6
	v_mov_b32_e32 v7, 0
	ds_load_b128 v[54:57], v7 offset:16
	s_wait_loadcnt_dscnt 0x1
	v_mul_f64_e32 v[12:13], v[8:9], v[4:5]
	v_mul_f64_e32 v[4:5], v[10:11], v[4:5]
	s_delay_alu instid0(VALU_DEP_2) | instskip(NEXT) | instid1(VALU_DEP_2)
	v_fmac_f64_e32 v[12:13], v[10:11], v[2:3]
	v_fma_f64 v[2:3], v[8:9], v[2:3], -v[4:5]
	s_delay_alu instid0(VALU_DEP_2) | instskip(NEXT) | instid1(VALU_DEP_2)
	v_add_f64_e32 v[8:9], 0, v[12:13]
	v_add_f64_e32 v[2:3], 0, v[2:3]
	s_wait_dscnt 0x0
	s_delay_alu instid0(VALU_DEP_2) | instskip(NEXT) | instid1(VALU_DEP_2)
	v_mul_f64_e32 v[10:11], v[8:9], v[56:57]
	v_mul_f64_e32 v[4:5], v[2:3], v[56:57]
	s_delay_alu instid0(VALU_DEP_2) | instskip(NEXT) | instid1(VALU_DEP_2)
	v_fma_f64 v[2:3], v[2:3], v[54:55], -v[10:11]
	v_fmac_f64_e32 v[4:5], v[8:9], v[54:55]
	scratch_store_b128 off, v[2:5], off offset:16
.LBB82_19:
	s_wait_xcnt 0x0
	s_or_b32 exec_lo, exec_lo, s3
	s_wait_storecnt 0x0
	s_barrier_signal -1
	s_barrier_wait -1
	scratch_load_b128 v[2:5], off, s28
	s_mov_b32 s3, exec_lo
	s_wait_loadcnt 0x0
	ds_store_b128 v6, v[2:5]
	s_wait_dscnt 0x0
	s_barrier_signal -1
	s_barrier_wait -1
	v_cmpx_gt_u32_e32 2, v1
	s_cbranch_execz .LBB82_23
; %bb.20:
	scratch_load_b128 v[2:5], v19, off
	ds_load_b128 v[8:11], v6
	s_wait_loadcnt_dscnt 0x0
	v_mul_f64_e32 v[12:13], v[10:11], v[4:5]
	v_mul_f64_e32 v[54:55], v[8:9], v[4:5]
	s_delay_alu instid0(VALU_DEP_2) | instskip(NEXT) | instid1(VALU_DEP_2)
	v_fma_f64 v[4:5], v[8:9], v[2:3], -v[12:13]
	v_fmac_f64_e32 v[54:55], v[10:11], v[2:3]
	s_delay_alu instid0(VALU_DEP_2) | instskip(NEXT) | instid1(VALU_DEP_2)
	v_add_f64_e32 v[4:5], 0, v[4:5]
	v_add_f64_e32 v[2:3], 0, v[54:55]
	s_and_saveexec_b32 s31, s2
	s_cbranch_execz .LBB82_22
; %bb.21:
	scratch_load_b128 v[8:11], off, off offset:16
	v_mov_b32_e32 v7, 0
	ds_load_b128 v[54:57], v7 offset:320
	s_wait_loadcnt_dscnt 0x0
	v_mul_f64_e32 v[12:13], v[54:55], v[10:11]
	v_mul_f64_e32 v[10:11], v[56:57], v[10:11]
	s_delay_alu instid0(VALU_DEP_2) | instskip(NEXT) | instid1(VALU_DEP_2)
	v_fmac_f64_e32 v[12:13], v[56:57], v[8:9]
	v_fma_f64 v[8:9], v[54:55], v[8:9], -v[10:11]
	s_delay_alu instid0(VALU_DEP_2) | instskip(NEXT) | instid1(VALU_DEP_2)
	v_add_f64_e32 v[2:3], v[2:3], v[12:13]
	v_add_f64_e32 v[4:5], v[4:5], v[8:9]
.LBB82_22:
	s_or_b32 exec_lo, exec_lo, s31
	v_mov_b32_e32 v7, 0
	ds_load_b128 v[8:11], v7 offset:32
	s_wait_dscnt 0x0
	v_mul_f64_e32 v[54:55], v[2:3], v[10:11]
	v_mul_f64_e32 v[12:13], v[4:5], v[10:11]
	s_delay_alu instid0(VALU_DEP_2) | instskip(NEXT) | instid1(VALU_DEP_2)
	v_fma_f64 v[10:11], v[4:5], v[8:9], -v[54:55]
	v_fmac_f64_e32 v[12:13], v[2:3], v[8:9]
	scratch_store_b128 off, v[10:13], off offset:32
.LBB82_23:
	s_wait_xcnt 0x0
	s_or_b32 exec_lo, exec_lo, s3
	s_wait_storecnt 0x0
	s_barrier_signal -1
	s_barrier_wait -1
	scratch_load_b128 v[2:5], off, s20
	v_add_nc_u32_e32 v7, -1, v1
	s_mov_b32 s2, exec_lo
	s_wait_loadcnt 0x0
	ds_store_b128 v6, v[2:5]
	s_wait_dscnt 0x0
	s_barrier_signal -1
	s_barrier_wait -1
	v_cmpx_gt_u32_e32 3, v1
	s_cbranch_execz .LBB82_27
; %bb.24:
	v_dual_mov_b32 v10, v52 :: v_dual_add_nc_u32 v8, -1, v1
	v_mov_b64_e32 v[2:3], 0
	v_mov_b64_e32 v[4:5], 0
	v_add_nc_u32_e32 v9, 0x130, v52
	s_delay_alu instid0(VALU_DEP_4)
	v_or_b32_e32 v10, 8, v10
	s_mov_b32 s3, 0
.LBB82_25:                              ; =>This Inner Loop Header: Depth=1
	scratch_load_b128 v[54:57], v10, off offset:-8
	ds_load_b128 v[58:61], v9
	s_wait_xcnt 0x0
	v_dual_add_nc_u32 v9, 16, v9 :: v_dual_add_nc_u32 v10, 16, v10
	v_add_nc_u32_e32 v8, 1, v8
	s_delay_alu instid0(VALU_DEP_1) | instskip(SKIP_4) | instid1(VALU_DEP_2)
	v_cmp_lt_u32_e32 vcc_lo, 1, v8
	s_or_b32 s3, vcc_lo, s3
	s_wait_loadcnt_dscnt 0x0
	v_mul_f64_e32 v[12:13], v[60:61], v[56:57]
	v_mul_f64_e32 v[56:57], v[58:59], v[56:57]
	v_fma_f64 v[12:13], v[58:59], v[54:55], -v[12:13]
	s_delay_alu instid0(VALU_DEP_2) | instskip(NEXT) | instid1(VALU_DEP_2)
	v_fmac_f64_e32 v[56:57], v[60:61], v[54:55]
	v_add_f64_e32 v[4:5], v[4:5], v[12:13]
	s_delay_alu instid0(VALU_DEP_2)
	v_add_f64_e32 v[2:3], v[2:3], v[56:57]
	s_and_not1_b32 exec_lo, exec_lo, s3
	s_cbranch_execnz .LBB82_25
; %bb.26:
	s_or_b32 exec_lo, exec_lo, s3
	v_mov_b32_e32 v8, 0
	ds_load_b128 v[8:11], v8 offset:48
	s_wait_dscnt 0x0
	v_mul_f64_e32 v[54:55], v[2:3], v[10:11]
	v_mul_f64_e32 v[12:13], v[4:5], v[10:11]
	s_delay_alu instid0(VALU_DEP_2) | instskip(NEXT) | instid1(VALU_DEP_2)
	v_fma_f64 v[10:11], v[4:5], v[8:9], -v[54:55]
	v_fmac_f64_e32 v[12:13], v[2:3], v[8:9]
	scratch_store_b128 off, v[10:13], off offset:48
.LBB82_27:
	s_wait_xcnt 0x0
	s_or_b32 exec_lo, exec_lo, s2
	s_wait_storecnt 0x0
	s_barrier_signal -1
	s_barrier_wait -1
	scratch_load_b128 v[2:5], off, s12
	s_mov_b32 s2, exec_lo
	s_wait_loadcnt 0x0
	ds_store_b128 v6, v[2:5]
	s_wait_dscnt 0x0
	s_barrier_signal -1
	s_barrier_wait -1
	v_cmpx_gt_u32_e32 4, v1
	s_cbranch_execz .LBB82_31
; %bb.28:
	v_dual_mov_b32 v10, v52 :: v_dual_add_nc_u32 v8, -1, v1
	v_mov_b64_e32 v[2:3], 0
	v_mov_b64_e32 v[4:5], 0
	v_add_nc_u32_e32 v9, 0x130, v52
	s_delay_alu instid0(VALU_DEP_4)
	v_or_b32_e32 v10, 8, v10
	s_mov_b32 s3, 0
.LBB82_29:                              ; =>This Inner Loop Header: Depth=1
	scratch_load_b128 v[54:57], v10, off offset:-8
	ds_load_b128 v[58:61], v9
	s_wait_xcnt 0x0
	v_dual_add_nc_u32 v9, 16, v9 :: v_dual_add_nc_u32 v10, 16, v10
	v_add_nc_u32_e32 v8, 1, v8
	s_delay_alu instid0(VALU_DEP_1) | instskip(SKIP_4) | instid1(VALU_DEP_2)
	v_cmp_lt_u32_e32 vcc_lo, 2, v8
	s_or_b32 s3, vcc_lo, s3
	s_wait_loadcnt_dscnt 0x0
	v_mul_f64_e32 v[12:13], v[60:61], v[56:57]
	v_mul_f64_e32 v[56:57], v[58:59], v[56:57]
	v_fma_f64 v[12:13], v[58:59], v[54:55], -v[12:13]
	s_delay_alu instid0(VALU_DEP_2) | instskip(NEXT) | instid1(VALU_DEP_2)
	v_fmac_f64_e32 v[56:57], v[60:61], v[54:55]
	v_add_f64_e32 v[4:5], v[4:5], v[12:13]
	s_delay_alu instid0(VALU_DEP_2)
	v_add_f64_e32 v[2:3], v[2:3], v[56:57]
	s_and_not1_b32 exec_lo, exec_lo, s3
	s_cbranch_execnz .LBB82_29
; %bb.30:
	s_or_b32 exec_lo, exec_lo, s3
	v_mov_b32_e32 v8, 0
	ds_load_b128 v[8:11], v8 offset:64
	s_wait_dscnt 0x0
	v_mul_f64_e32 v[54:55], v[2:3], v[10:11]
	v_mul_f64_e32 v[12:13], v[4:5], v[10:11]
	s_delay_alu instid0(VALU_DEP_2) | instskip(NEXT) | instid1(VALU_DEP_2)
	v_fma_f64 v[10:11], v[4:5], v[8:9], -v[54:55]
	v_fmac_f64_e32 v[12:13], v[2:3], v[8:9]
	scratch_store_b128 off, v[10:13], off offset:64
.LBB82_31:
	s_wait_xcnt 0x0
	s_or_b32 exec_lo, exec_lo, s2
	s_wait_storecnt 0x0
	s_barrier_signal -1
	s_barrier_wait -1
	scratch_load_b128 v[2:5], off, s21
	;; [unrolled: 54-line block ×15, first 2 shown]
	s_mov_b32 s2, exec_lo
	s_wait_loadcnt 0x0
	ds_store_b128 v6, v[2:5]
	s_wait_dscnt 0x0
	s_barrier_signal -1
	s_barrier_wait -1
	v_cmpx_ne_u32_e32 18, v1
	s_cbranch_execz .LBB82_87
; %bb.84:
	v_mov_b32_e32 v8, v52
	v_mov_b64_e32 v[2:3], 0
	v_mov_b64_e32 v[4:5], 0
	s_mov_b32 s3, 0
	s_delay_alu instid0(VALU_DEP_3)
	v_or_b32_e32 v8, 8, v8
.LBB82_85:                              ; =>This Inner Loop Header: Depth=1
	scratch_load_b128 v[10:13], v8, off offset:-8
	ds_load_b128 v[52:55], v6
	v_dual_add_nc_u32 v7, 1, v7 :: v_dual_add_nc_u32 v6, 16, v6
	s_wait_xcnt 0x0
	v_add_nc_u32_e32 v8, 16, v8
	s_delay_alu instid0(VALU_DEP_2) | instskip(SKIP_4) | instid1(VALU_DEP_2)
	v_cmp_lt_u32_e32 vcc_lo, 16, v7
	s_or_b32 s3, vcc_lo, s3
	s_wait_loadcnt_dscnt 0x0
	v_mul_f64_e32 v[56:57], v[54:55], v[12:13]
	v_mul_f64_e32 v[12:13], v[52:53], v[12:13]
	v_fma_f64 v[52:53], v[52:53], v[10:11], -v[56:57]
	s_delay_alu instid0(VALU_DEP_2) | instskip(NEXT) | instid1(VALU_DEP_2)
	v_fmac_f64_e32 v[12:13], v[54:55], v[10:11]
	v_add_f64_e32 v[4:5], v[4:5], v[52:53]
	s_delay_alu instid0(VALU_DEP_2)
	v_add_f64_e32 v[2:3], v[2:3], v[12:13]
	s_and_not1_b32 exec_lo, exec_lo, s3
	s_cbranch_execnz .LBB82_85
; %bb.86:
	s_or_b32 exec_lo, exec_lo, s3
	v_mov_b32_e32 v6, 0
	ds_load_b128 v[6:9], v6 offset:288
	s_wait_dscnt 0x0
	v_mul_f64_e32 v[12:13], v[2:3], v[8:9]
	v_mul_f64_e32 v[10:11], v[4:5], v[8:9]
	s_delay_alu instid0(VALU_DEP_2) | instskip(NEXT) | instid1(VALU_DEP_2)
	v_fma_f64 v[8:9], v[4:5], v[6:7], -v[12:13]
	v_fmac_f64_e32 v[10:11], v[2:3], v[6:7]
	scratch_store_b128 off, v[8:11], off offset:288
.LBB82_87:
	s_wait_xcnt 0x0
	s_or_b32 exec_lo, exec_lo, s2
	s_mov_b32 s3, -1
	s_wait_storecnt 0x0
	s_barrier_signal -1
	s_barrier_wait -1
.LBB82_88:
	s_and_b32 vcc_lo, exec_lo, s3
	s_cbranch_vccz .LBB82_90
; %bb.89:
	s_wait_xcnt 0x0
	v_mov_b32_e32 v2, 0
	s_lshl_b64 s[2:3], s[10:11], 2
	s_delay_alu instid0(SALU_CYCLE_1)
	s_add_nc_u64 s[2:3], s[6:7], s[2:3]
	global_load_b32 v2, v2, s[2:3]
	s_wait_loadcnt 0x0
	v_cmp_ne_u32_e32 vcc_lo, 0, v2
	s_cbranch_vccz .LBB82_91
.LBB82_90:
	s_sendmsg sendmsg(MSG_DEALLOC_VGPRS)
	s_endpgm
.LBB82_91:
	v_lshl_add_u32 v6, v1, 4, 0x130
	s_wait_xcnt 0x0
	s_mov_b32 s2, exec_lo
	v_cmpx_eq_u32_e32 18, v1
	s_cbranch_execz .LBB82_93
; %bb.92:
	scratch_load_b128 v[2:5], off, s27
	v_mov_b32_e32 v8, 0
	s_delay_alu instid0(VALU_DEP_1)
	v_dual_mov_b32 v9, v8 :: v_dual_mov_b32 v10, v8
	v_mov_b32_e32 v11, v8
	scratch_store_b128 off, v[8:11], off offset:272
	s_wait_loadcnt 0x0
	ds_store_b128 v6, v[2:5]
.LBB82_93:
	s_wait_xcnt 0x0
	s_or_b32 exec_lo, exec_lo, s2
	s_wait_storecnt_dscnt 0x0
	s_barrier_signal -1
	s_barrier_wait -1
	s_clause 0x1
	scratch_load_b128 v[8:11], off, off offset:288
	scratch_load_b128 v[52:55], off, off offset:272
	v_mov_b32_e32 v2, 0
	s_mov_b32 s2, exec_lo
	ds_load_b128 v[56:59], v2 offset:592
	s_wait_loadcnt_dscnt 0x100
	v_mul_f64_e32 v[4:5], v[58:59], v[10:11]
	v_mul_f64_e32 v[10:11], v[56:57], v[10:11]
	s_delay_alu instid0(VALU_DEP_2) | instskip(NEXT) | instid1(VALU_DEP_2)
	v_fma_f64 v[4:5], v[56:57], v[8:9], -v[4:5]
	v_fmac_f64_e32 v[10:11], v[58:59], v[8:9]
	s_delay_alu instid0(VALU_DEP_2) | instskip(NEXT) | instid1(VALU_DEP_2)
	v_add_f64_e32 v[4:5], 0, v[4:5]
	v_add_f64_e32 v[10:11], 0, v[10:11]
	s_wait_loadcnt 0x0
	s_delay_alu instid0(VALU_DEP_2) | instskip(NEXT) | instid1(VALU_DEP_2)
	v_add_f64_e64 v[8:9], v[52:53], -v[4:5]
	v_add_f64_e64 v[10:11], v[54:55], -v[10:11]
	scratch_store_b128 off, v[8:11], off offset:272
	s_wait_xcnt 0x0
	v_cmpx_lt_u32_e32 16, v1
	s_cbranch_execz .LBB82_95
; %bb.94:
	scratch_load_b128 v[8:11], off, s18
	v_dual_mov_b32 v3, v2 :: v_dual_mov_b32 v4, v2
	v_mov_b32_e32 v5, v2
	scratch_store_b128 off, v[2:5], off offset:256
	s_wait_loadcnt 0x0
	ds_store_b128 v6, v[8:11]
.LBB82_95:
	s_wait_xcnt 0x0
	s_or_b32 exec_lo, exec_lo, s2
	s_wait_storecnt_dscnt 0x0
	s_barrier_signal -1
	s_barrier_wait -1
	s_clause 0x2
	scratch_load_b128 v[8:11], off, off offset:272
	scratch_load_b128 v[52:55], off, off offset:288
	;; [unrolled: 1-line block ×3, first 2 shown]
	ds_load_b128 v[60:63], v2 offset:576
	ds_load_b128 v[2:5], v2 offset:592
	s_mov_b32 s2, exec_lo
	s_wait_loadcnt_dscnt 0x201
	v_mul_f64_e32 v[12:13], v[62:63], v[10:11]
	v_mul_f64_e32 v[10:11], v[60:61], v[10:11]
	s_wait_loadcnt_dscnt 0x100
	v_mul_f64_e32 v[64:65], v[2:3], v[54:55]
	v_mul_f64_e32 v[54:55], v[4:5], v[54:55]
	s_delay_alu instid0(VALU_DEP_4) | instskip(NEXT) | instid1(VALU_DEP_4)
	v_fma_f64 v[12:13], v[60:61], v[8:9], -v[12:13]
	v_fmac_f64_e32 v[10:11], v[62:63], v[8:9]
	s_delay_alu instid0(VALU_DEP_4) | instskip(NEXT) | instid1(VALU_DEP_4)
	v_fmac_f64_e32 v[64:65], v[4:5], v[52:53]
	v_fma_f64 v[2:3], v[2:3], v[52:53], -v[54:55]
	s_delay_alu instid0(VALU_DEP_4) | instskip(NEXT) | instid1(VALU_DEP_4)
	v_add_f64_e32 v[4:5], 0, v[12:13]
	v_add_f64_e32 v[8:9], 0, v[10:11]
	s_delay_alu instid0(VALU_DEP_2) | instskip(NEXT) | instid1(VALU_DEP_2)
	v_add_f64_e32 v[2:3], v[4:5], v[2:3]
	v_add_f64_e32 v[4:5], v[8:9], v[64:65]
	s_wait_loadcnt 0x0
	s_delay_alu instid0(VALU_DEP_2) | instskip(NEXT) | instid1(VALU_DEP_2)
	v_add_f64_e64 v[2:3], v[56:57], -v[2:3]
	v_add_f64_e64 v[4:5], v[58:59], -v[4:5]
	scratch_store_b128 off, v[2:5], off offset:256
	s_wait_xcnt 0x0
	v_cmpx_lt_u32_e32 15, v1
	s_cbranch_execz .LBB82_97
; %bb.96:
	scratch_load_b128 v[2:5], off, s26
	v_mov_b32_e32 v8, 0
	s_delay_alu instid0(VALU_DEP_1)
	v_dual_mov_b32 v9, v8 :: v_dual_mov_b32 v10, v8
	v_mov_b32_e32 v11, v8
	scratch_store_b128 off, v[8:11], off offset:240
	s_wait_loadcnt 0x0
	ds_store_b128 v6, v[2:5]
.LBB82_97:
	s_wait_xcnt 0x0
	s_or_b32 exec_lo, exec_lo, s2
	s_wait_storecnt_dscnt 0x0
	s_barrier_signal -1
	s_barrier_wait -1
	s_clause 0x3
	scratch_load_b128 v[8:11], off, off offset:256
	scratch_load_b128 v[52:55], off, off offset:272
	;; [unrolled: 1-line block ×4, first 2 shown]
	v_mov_b32_e32 v2, 0
	ds_load_b128 v[64:67], v2 offset:560
	ds_load_b128 v[68:71], v2 offset:576
	s_mov_b32 s2, exec_lo
	s_wait_loadcnt_dscnt 0x301
	v_mul_f64_e32 v[4:5], v[66:67], v[10:11]
	v_mul_f64_e32 v[12:13], v[64:65], v[10:11]
	s_wait_loadcnt_dscnt 0x200
	v_mul_f64_e32 v[72:73], v[68:69], v[54:55]
	v_mul_f64_e32 v[54:55], v[70:71], v[54:55]
	s_delay_alu instid0(VALU_DEP_4) | instskip(NEXT) | instid1(VALU_DEP_4)
	v_fma_f64 v[4:5], v[64:65], v[8:9], -v[4:5]
	v_fmac_f64_e32 v[12:13], v[66:67], v[8:9]
	ds_load_b128 v[8:11], v2 offset:592
	v_fmac_f64_e32 v[72:73], v[70:71], v[52:53]
	v_fma_f64 v[52:53], v[68:69], v[52:53], -v[54:55]
	s_wait_loadcnt_dscnt 0x100
	v_mul_f64_e32 v[64:65], v[8:9], v[58:59]
	v_mul_f64_e32 v[58:59], v[10:11], v[58:59]
	v_add_f64_e32 v[4:5], 0, v[4:5]
	v_add_f64_e32 v[12:13], 0, v[12:13]
	s_delay_alu instid0(VALU_DEP_4) | instskip(NEXT) | instid1(VALU_DEP_4)
	v_fmac_f64_e32 v[64:65], v[10:11], v[56:57]
	v_fma_f64 v[8:9], v[8:9], v[56:57], -v[58:59]
	s_delay_alu instid0(VALU_DEP_4) | instskip(NEXT) | instid1(VALU_DEP_4)
	v_add_f64_e32 v[4:5], v[4:5], v[52:53]
	v_add_f64_e32 v[10:11], v[12:13], v[72:73]
	s_delay_alu instid0(VALU_DEP_2) | instskip(NEXT) | instid1(VALU_DEP_2)
	v_add_f64_e32 v[4:5], v[4:5], v[8:9]
	v_add_f64_e32 v[10:11], v[10:11], v[64:65]
	s_wait_loadcnt 0x0
	s_delay_alu instid0(VALU_DEP_2) | instskip(NEXT) | instid1(VALU_DEP_2)
	v_add_f64_e64 v[8:9], v[60:61], -v[4:5]
	v_add_f64_e64 v[10:11], v[62:63], -v[10:11]
	scratch_store_b128 off, v[8:11], off offset:240
	s_wait_xcnt 0x0
	v_cmpx_lt_u32_e32 14, v1
	s_cbranch_execz .LBB82_99
; %bb.98:
	scratch_load_b128 v[8:11], off, s17
	v_dual_mov_b32 v3, v2 :: v_dual_mov_b32 v4, v2
	v_mov_b32_e32 v5, v2
	scratch_store_b128 off, v[2:5], off offset:224
	s_wait_loadcnt 0x0
	ds_store_b128 v6, v[8:11]
.LBB82_99:
	s_wait_xcnt 0x0
	s_or_b32 exec_lo, exec_lo, s2
	s_wait_storecnt_dscnt 0x0
	s_barrier_signal -1
	s_barrier_wait -1
	s_clause 0x4
	scratch_load_b128 v[8:11], off, off offset:240
	scratch_load_b128 v[52:55], off, off offset:256
	;; [unrolled: 1-line block ×5, first 2 shown]
	ds_load_b128 v[68:71], v2 offset:544
	ds_load_b128 v[72:75], v2 offset:560
	s_mov_b32 s2, exec_lo
	s_wait_loadcnt_dscnt 0x401
	v_mul_f64_e32 v[4:5], v[70:71], v[10:11]
	v_mul_f64_e32 v[12:13], v[68:69], v[10:11]
	s_wait_loadcnt_dscnt 0x300
	v_mul_f64_e32 v[76:77], v[72:73], v[54:55]
	v_mul_f64_e32 v[54:55], v[74:75], v[54:55]
	s_delay_alu instid0(VALU_DEP_4) | instskip(NEXT) | instid1(VALU_DEP_4)
	v_fma_f64 v[68:69], v[68:69], v[8:9], -v[4:5]
	v_fmac_f64_e32 v[12:13], v[70:71], v[8:9]
	ds_load_b128 v[8:11], v2 offset:576
	ds_load_b128 v[2:5], v2 offset:592
	v_fmac_f64_e32 v[76:77], v[74:75], v[52:53]
	v_fma_f64 v[52:53], v[72:73], v[52:53], -v[54:55]
	s_wait_loadcnt_dscnt 0x201
	v_mul_f64_e32 v[70:71], v[8:9], v[58:59]
	v_mul_f64_e32 v[58:59], v[10:11], v[58:59]
	v_add_f64_e32 v[54:55], 0, v[68:69]
	v_add_f64_e32 v[12:13], 0, v[12:13]
	s_wait_loadcnt_dscnt 0x100
	v_mul_f64_e32 v[68:69], v[2:3], v[62:63]
	v_mul_f64_e32 v[62:63], v[4:5], v[62:63]
	v_fmac_f64_e32 v[70:71], v[10:11], v[56:57]
	v_fma_f64 v[8:9], v[8:9], v[56:57], -v[58:59]
	v_add_f64_e32 v[10:11], v[54:55], v[52:53]
	v_add_f64_e32 v[12:13], v[12:13], v[76:77]
	v_fmac_f64_e32 v[68:69], v[4:5], v[60:61]
	v_fma_f64 v[2:3], v[2:3], v[60:61], -v[62:63]
	s_delay_alu instid0(VALU_DEP_4) | instskip(NEXT) | instid1(VALU_DEP_4)
	v_add_f64_e32 v[4:5], v[10:11], v[8:9]
	v_add_f64_e32 v[8:9], v[12:13], v[70:71]
	s_delay_alu instid0(VALU_DEP_2) | instskip(NEXT) | instid1(VALU_DEP_2)
	v_add_f64_e32 v[2:3], v[4:5], v[2:3]
	v_add_f64_e32 v[4:5], v[8:9], v[68:69]
	s_wait_loadcnt 0x0
	s_delay_alu instid0(VALU_DEP_2) | instskip(NEXT) | instid1(VALU_DEP_2)
	v_add_f64_e64 v[2:3], v[64:65], -v[2:3]
	v_add_f64_e64 v[4:5], v[66:67], -v[4:5]
	scratch_store_b128 off, v[2:5], off offset:224
	s_wait_xcnt 0x0
	v_cmpx_lt_u32_e32 13, v1
	s_cbranch_execz .LBB82_101
; %bb.100:
	scratch_load_b128 v[2:5], off, s25
	v_mov_b32_e32 v8, 0
	s_delay_alu instid0(VALU_DEP_1)
	v_dual_mov_b32 v9, v8 :: v_dual_mov_b32 v10, v8
	v_mov_b32_e32 v11, v8
	scratch_store_b128 off, v[8:11], off offset:208
	s_wait_loadcnt 0x0
	ds_store_b128 v6, v[2:5]
.LBB82_101:
	s_wait_xcnt 0x0
	s_or_b32 exec_lo, exec_lo, s2
	s_wait_storecnt_dscnt 0x0
	s_barrier_signal -1
	s_barrier_wait -1
	s_clause 0x5
	scratch_load_b128 v[8:11], off, off offset:224
	scratch_load_b128 v[52:55], off, off offset:240
	;; [unrolled: 1-line block ×6, first 2 shown]
	v_mov_b32_e32 v2, 0
	ds_load_b128 v[72:75], v2 offset:528
	ds_load_b128 v[76:79], v2 offset:544
	s_mov_b32 s2, exec_lo
	s_wait_loadcnt_dscnt 0x501
	v_mul_f64_e32 v[4:5], v[74:75], v[10:11]
	v_mul_f64_e32 v[12:13], v[72:73], v[10:11]
	s_wait_loadcnt_dscnt 0x400
	v_mul_f64_e32 v[80:81], v[76:77], v[54:55]
	v_mul_f64_e32 v[54:55], v[78:79], v[54:55]
	s_delay_alu instid0(VALU_DEP_4) | instskip(NEXT) | instid1(VALU_DEP_4)
	v_fma_f64 v[4:5], v[72:73], v[8:9], -v[4:5]
	v_fmac_f64_e32 v[12:13], v[74:75], v[8:9]
	ds_load_b128 v[8:11], v2 offset:560
	ds_load_b128 v[72:75], v2 offset:576
	v_fmac_f64_e32 v[80:81], v[78:79], v[52:53]
	v_fma_f64 v[52:53], v[76:77], v[52:53], -v[54:55]
	s_wait_loadcnt_dscnt 0x301
	v_mul_f64_e32 v[82:83], v[8:9], v[58:59]
	v_mul_f64_e32 v[58:59], v[10:11], v[58:59]
	s_wait_loadcnt_dscnt 0x200
	v_mul_f64_e32 v[54:55], v[72:73], v[62:63]
	v_mul_f64_e32 v[62:63], v[74:75], v[62:63]
	v_add_f64_e32 v[4:5], 0, v[4:5]
	v_add_f64_e32 v[12:13], 0, v[12:13]
	v_fmac_f64_e32 v[82:83], v[10:11], v[56:57]
	v_fma_f64 v[56:57], v[8:9], v[56:57], -v[58:59]
	ds_load_b128 v[8:11], v2 offset:592
	v_fmac_f64_e32 v[54:55], v[74:75], v[60:61]
	v_fma_f64 v[60:61], v[72:73], v[60:61], -v[62:63]
	v_add_f64_e32 v[4:5], v[4:5], v[52:53]
	v_add_f64_e32 v[12:13], v[12:13], v[80:81]
	s_wait_loadcnt_dscnt 0x100
	v_mul_f64_e32 v[52:53], v[8:9], v[66:67]
	v_mul_f64_e32 v[58:59], v[10:11], v[66:67]
	s_delay_alu instid0(VALU_DEP_4) | instskip(NEXT) | instid1(VALU_DEP_4)
	v_add_f64_e32 v[4:5], v[4:5], v[56:57]
	v_add_f64_e32 v[12:13], v[12:13], v[82:83]
	s_delay_alu instid0(VALU_DEP_4) | instskip(NEXT) | instid1(VALU_DEP_4)
	v_fmac_f64_e32 v[52:53], v[10:11], v[64:65]
	v_fma_f64 v[8:9], v[8:9], v[64:65], -v[58:59]
	s_delay_alu instid0(VALU_DEP_4) | instskip(NEXT) | instid1(VALU_DEP_4)
	v_add_f64_e32 v[4:5], v[4:5], v[60:61]
	v_add_f64_e32 v[10:11], v[12:13], v[54:55]
	s_delay_alu instid0(VALU_DEP_2) | instskip(NEXT) | instid1(VALU_DEP_2)
	v_add_f64_e32 v[4:5], v[4:5], v[8:9]
	v_add_f64_e32 v[10:11], v[10:11], v[52:53]
	s_wait_loadcnt 0x0
	s_delay_alu instid0(VALU_DEP_2) | instskip(NEXT) | instid1(VALU_DEP_2)
	v_add_f64_e64 v[8:9], v[68:69], -v[4:5]
	v_add_f64_e64 v[10:11], v[70:71], -v[10:11]
	scratch_store_b128 off, v[8:11], off offset:208
	s_wait_xcnt 0x0
	v_cmpx_lt_u32_e32 12, v1
	s_cbranch_execz .LBB82_103
; %bb.102:
	scratch_load_b128 v[8:11], off, s16
	v_dual_mov_b32 v3, v2 :: v_dual_mov_b32 v4, v2
	v_mov_b32_e32 v5, v2
	scratch_store_b128 off, v[2:5], off offset:192
	s_wait_loadcnt 0x0
	ds_store_b128 v6, v[8:11]
.LBB82_103:
	s_wait_xcnt 0x0
	s_or_b32 exec_lo, exec_lo, s2
	s_wait_storecnt_dscnt 0x0
	s_barrier_signal -1
	s_barrier_wait -1
	s_clause 0x6
	scratch_load_b128 v[8:11], off, off offset:208
	scratch_load_b128 v[52:55], off, off offset:224
	scratch_load_b128 v[56:59], off, off offset:240
	scratch_load_b128 v[60:63], off, off offset:256
	scratch_load_b128 v[64:67], off, off offset:272
	scratch_load_b128 v[68:71], off, off offset:288
	scratch_load_b128 v[72:75], off, off offset:192
	ds_load_b128 v[76:79], v2 offset:512
	ds_load_b128 v[80:83], v2 offset:528
	s_mov_b32 s2, exec_lo
	s_wait_loadcnt_dscnt 0x601
	v_mul_f64_e32 v[4:5], v[78:79], v[10:11]
	v_mul_f64_e32 v[12:13], v[76:77], v[10:11]
	s_wait_loadcnt_dscnt 0x500
	v_mul_f64_e32 v[84:85], v[80:81], v[54:55]
	v_mul_f64_e32 v[54:55], v[82:83], v[54:55]
	s_delay_alu instid0(VALU_DEP_4) | instskip(NEXT) | instid1(VALU_DEP_4)
	v_fma_f64 v[4:5], v[76:77], v[8:9], -v[4:5]
	v_fmac_f64_e32 v[12:13], v[78:79], v[8:9]
	ds_load_b128 v[8:11], v2 offset:544
	ds_load_b128 v[76:79], v2 offset:560
	v_fmac_f64_e32 v[84:85], v[82:83], v[52:53]
	v_fma_f64 v[52:53], v[80:81], v[52:53], -v[54:55]
	s_wait_loadcnt_dscnt 0x401
	v_mul_f64_e32 v[86:87], v[8:9], v[58:59]
	v_mul_f64_e32 v[58:59], v[10:11], v[58:59]
	s_wait_loadcnt_dscnt 0x300
	v_mul_f64_e32 v[54:55], v[76:77], v[62:63]
	v_mul_f64_e32 v[62:63], v[78:79], v[62:63]
	v_add_f64_e32 v[4:5], 0, v[4:5]
	v_add_f64_e32 v[12:13], 0, v[12:13]
	v_fmac_f64_e32 v[86:87], v[10:11], v[56:57]
	v_fma_f64 v[56:57], v[8:9], v[56:57], -v[58:59]
	v_fmac_f64_e32 v[54:55], v[78:79], v[60:61]
	v_fma_f64 v[60:61], v[76:77], v[60:61], -v[62:63]
	v_add_f64_e32 v[52:53], v[4:5], v[52:53]
	v_add_f64_e32 v[12:13], v[12:13], v[84:85]
	ds_load_b128 v[8:11], v2 offset:576
	ds_load_b128 v[2:5], v2 offset:592
	s_wait_loadcnt_dscnt 0x201
	v_mul_f64_e32 v[58:59], v[8:9], v[66:67]
	v_mul_f64_e32 v[66:67], v[10:11], v[66:67]
	s_wait_loadcnt_dscnt 0x100
	v_mul_f64_e32 v[62:63], v[4:5], v[70:71]
	v_add_f64_e32 v[52:53], v[52:53], v[56:57]
	v_add_f64_e32 v[12:13], v[12:13], v[86:87]
	v_mul_f64_e32 v[56:57], v[2:3], v[70:71]
	v_fmac_f64_e32 v[58:59], v[10:11], v[64:65]
	v_fma_f64 v[8:9], v[8:9], v[64:65], -v[66:67]
	v_fma_f64 v[2:3], v[2:3], v[68:69], -v[62:63]
	v_add_f64_e32 v[10:11], v[52:53], v[60:61]
	v_add_f64_e32 v[12:13], v[12:13], v[54:55]
	v_fmac_f64_e32 v[56:57], v[4:5], v[68:69]
	s_delay_alu instid0(VALU_DEP_3) | instskip(NEXT) | instid1(VALU_DEP_3)
	v_add_f64_e32 v[4:5], v[10:11], v[8:9]
	v_add_f64_e32 v[8:9], v[12:13], v[58:59]
	s_delay_alu instid0(VALU_DEP_2) | instskip(NEXT) | instid1(VALU_DEP_2)
	v_add_f64_e32 v[2:3], v[4:5], v[2:3]
	v_add_f64_e32 v[4:5], v[8:9], v[56:57]
	s_wait_loadcnt 0x0
	s_delay_alu instid0(VALU_DEP_2) | instskip(NEXT) | instid1(VALU_DEP_2)
	v_add_f64_e64 v[2:3], v[72:73], -v[2:3]
	v_add_f64_e64 v[4:5], v[74:75], -v[4:5]
	scratch_store_b128 off, v[2:5], off offset:192
	s_wait_xcnt 0x0
	v_cmpx_lt_u32_e32 11, v1
	s_cbranch_execz .LBB82_105
; %bb.104:
	scratch_load_b128 v[2:5], off, s24
	v_mov_b32_e32 v8, 0
	s_delay_alu instid0(VALU_DEP_1)
	v_dual_mov_b32 v9, v8 :: v_dual_mov_b32 v10, v8
	v_mov_b32_e32 v11, v8
	scratch_store_b128 off, v[8:11], off offset:176
	s_wait_loadcnt 0x0
	ds_store_b128 v6, v[2:5]
.LBB82_105:
	s_wait_xcnt 0x0
	s_or_b32 exec_lo, exec_lo, s2
	s_wait_storecnt_dscnt 0x0
	s_barrier_signal -1
	s_barrier_wait -1
	s_clause 0x7
	scratch_load_b128 v[8:11], off, off offset:192
	scratch_load_b128 v[52:55], off, off offset:208
	;; [unrolled: 1-line block ×8, first 2 shown]
	v_mov_b32_e32 v2, 0
	ds_load_b128 v[80:83], v2 offset:496
	ds_load_b128 v[84:87], v2 offset:512
	s_mov_b32 s2, exec_lo
	s_wait_loadcnt_dscnt 0x701
	v_mul_f64_e32 v[4:5], v[82:83], v[10:11]
	v_mul_f64_e32 v[12:13], v[80:81], v[10:11]
	s_wait_loadcnt_dscnt 0x600
	v_mul_f64_e32 v[88:89], v[84:85], v[54:55]
	v_mul_f64_e32 v[54:55], v[86:87], v[54:55]
	s_delay_alu instid0(VALU_DEP_4) | instskip(NEXT) | instid1(VALU_DEP_4)
	v_fma_f64 v[4:5], v[80:81], v[8:9], -v[4:5]
	v_fmac_f64_e32 v[12:13], v[82:83], v[8:9]
	ds_load_b128 v[8:11], v2 offset:528
	ds_load_b128 v[80:83], v2 offset:544
	v_fmac_f64_e32 v[88:89], v[86:87], v[52:53]
	v_fma_f64 v[52:53], v[84:85], v[52:53], -v[54:55]
	s_wait_loadcnt_dscnt 0x501
	v_mul_f64_e32 v[90:91], v[8:9], v[58:59]
	v_mul_f64_e32 v[58:59], v[10:11], v[58:59]
	s_wait_loadcnt_dscnt 0x400
	v_mul_f64_e32 v[84:85], v[80:81], v[62:63]
	v_mul_f64_e32 v[62:63], v[82:83], v[62:63]
	v_add_f64_e32 v[4:5], 0, v[4:5]
	v_add_f64_e32 v[12:13], 0, v[12:13]
	v_fmac_f64_e32 v[90:91], v[10:11], v[56:57]
	v_fma_f64 v[56:57], v[8:9], v[56:57], -v[58:59]
	v_fmac_f64_e32 v[84:85], v[82:83], v[60:61]
	v_fma_f64 v[60:61], v[80:81], v[60:61], -v[62:63]
	v_add_f64_e32 v[4:5], v[4:5], v[52:53]
	v_add_f64_e32 v[12:13], v[12:13], v[88:89]
	ds_load_b128 v[8:11], v2 offset:560
	ds_load_b128 v[52:55], v2 offset:576
	s_wait_loadcnt_dscnt 0x301
	v_mul_f64_e32 v[58:59], v[8:9], v[66:67]
	v_mul_f64_e32 v[66:67], v[10:11], v[66:67]
	s_wait_loadcnt_dscnt 0x200
	v_mul_f64_e32 v[62:63], v[54:55], v[70:71]
	v_add_f64_e32 v[4:5], v[4:5], v[56:57]
	v_add_f64_e32 v[12:13], v[12:13], v[90:91]
	v_mul_f64_e32 v[56:57], v[52:53], v[70:71]
	v_fmac_f64_e32 v[58:59], v[10:11], v[64:65]
	v_fma_f64 v[64:65], v[8:9], v[64:65], -v[66:67]
	ds_load_b128 v[8:11], v2 offset:592
	v_fma_f64 v[52:53], v[52:53], v[68:69], -v[62:63]
	v_add_f64_e32 v[4:5], v[4:5], v[60:61]
	v_add_f64_e32 v[12:13], v[12:13], v[84:85]
	v_fmac_f64_e32 v[56:57], v[54:55], v[68:69]
	s_wait_loadcnt_dscnt 0x100
	v_mul_f64_e32 v[60:61], v[8:9], v[74:75]
	v_mul_f64_e32 v[66:67], v[10:11], v[74:75]
	v_add_f64_e32 v[4:5], v[4:5], v[64:65]
	v_add_f64_e32 v[12:13], v[12:13], v[58:59]
	s_delay_alu instid0(VALU_DEP_4) | instskip(NEXT) | instid1(VALU_DEP_4)
	v_fmac_f64_e32 v[60:61], v[10:11], v[72:73]
	v_fma_f64 v[8:9], v[8:9], v[72:73], -v[66:67]
	s_delay_alu instid0(VALU_DEP_4) | instskip(NEXT) | instid1(VALU_DEP_4)
	v_add_f64_e32 v[4:5], v[4:5], v[52:53]
	v_add_f64_e32 v[10:11], v[12:13], v[56:57]
	s_delay_alu instid0(VALU_DEP_2) | instskip(NEXT) | instid1(VALU_DEP_2)
	v_add_f64_e32 v[4:5], v[4:5], v[8:9]
	v_add_f64_e32 v[10:11], v[10:11], v[60:61]
	s_wait_loadcnt 0x0
	s_delay_alu instid0(VALU_DEP_2) | instskip(NEXT) | instid1(VALU_DEP_2)
	v_add_f64_e64 v[8:9], v[76:77], -v[4:5]
	v_add_f64_e64 v[10:11], v[78:79], -v[10:11]
	scratch_store_b128 off, v[8:11], off offset:176
	s_wait_xcnt 0x0
	v_cmpx_lt_u32_e32 10, v1
	s_cbranch_execz .LBB82_107
; %bb.106:
	scratch_load_b128 v[8:11], off, s15
	v_dual_mov_b32 v3, v2 :: v_dual_mov_b32 v4, v2
	v_mov_b32_e32 v5, v2
	scratch_store_b128 off, v[2:5], off offset:160
	s_wait_loadcnt 0x0
	ds_store_b128 v6, v[8:11]
.LBB82_107:
	s_wait_xcnt 0x0
	s_or_b32 exec_lo, exec_lo, s2
	s_wait_storecnt_dscnt 0x0
	s_barrier_signal -1
	s_barrier_wait -1
	s_clause 0x7
	scratch_load_b128 v[8:11], off, off offset:176
	scratch_load_b128 v[52:55], off, off offset:192
	;; [unrolled: 1-line block ×8, first 2 shown]
	ds_load_b128 v[80:83], v2 offset:480
	ds_load_b128 v[84:87], v2 offset:496
	scratch_load_b128 v[88:91], off, off offset:160
	s_mov_b32 s2, exec_lo
	s_wait_loadcnt_dscnt 0x801
	v_mul_f64_e32 v[4:5], v[82:83], v[10:11]
	v_mul_f64_e32 v[12:13], v[80:81], v[10:11]
	s_wait_loadcnt_dscnt 0x700
	v_mul_f64_e32 v[92:93], v[84:85], v[54:55]
	v_mul_f64_e32 v[54:55], v[86:87], v[54:55]
	s_delay_alu instid0(VALU_DEP_4) | instskip(NEXT) | instid1(VALU_DEP_4)
	v_fma_f64 v[4:5], v[80:81], v[8:9], -v[4:5]
	v_fmac_f64_e32 v[12:13], v[82:83], v[8:9]
	ds_load_b128 v[8:11], v2 offset:512
	ds_load_b128 v[80:83], v2 offset:528
	v_fmac_f64_e32 v[92:93], v[86:87], v[52:53]
	v_fma_f64 v[52:53], v[84:85], v[52:53], -v[54:55]
	s_wait_loadcnt_dscnt 0x601
	v_mul_f64_e32 v[94:95], v[8:9], v[58:59]
	v_mul_f64_e32 v[58:59], v[10:11], v[58:59]
	s_wait_loadcnt_dscnt 0x500
	v_mul_f64_e32 v[84:85], v[80:81], v[62:63]
	v_mul_f64_e32 v[62:63], v[82:83], v[62:63]
	v_add_f64_e32 v[4:5], 0, v[4:5]
	v_add_f64_e32 v[12:13], 0, v[12:13]
	v_fmac_f64_e32 v[94:95], v[10:11], v[56:57]
	v_fma_f64 v[56:57], v[8:9], v[56:57], -v[58:59]
	v_fmac_f64_e32 v[84:85], v[82:83], v[60:61]
	v_fma_f64 v[60:61], v[80:81], v[60:61], -v[62:63]
	v_add_f64_e32 v[4:5], v[4:5], v[52:53]
	v_add_f64_e32 v[12:13], v[12:13], v[92:93]
	ds_load_b128 v[8:11], v2 offset:544
	ds_load_b128 v[52:55], v2 offset:560
	s_wait_loadcnt_dscnt 0x401
	v_mul_f64_e32 v[58:59], v[8:9], v[66:67]
	v_mul_f64_e32 v[66:67], v[10:11], v[66:67]
	s_wait_loadcnt_dscnt 0x300
	v_mul_f64_e32 v[62:63], v[54:55], v[70:71]
	v_add_f64_e32 v[4:5], v[4:5], v[56:57]
	v_add_f64_e32 v[12:13], v[12:13], v[94:95]
	v_mul_f64_e32 v[56:57], v[52:53], v[70:71]
	v_fmac_f64_e32 v[58:59], v[10:11], v[64:65]
	v_fma_f64 v[64:65], v[8:9], v[64:65], -v[66:67]
	v_fma_f64 v[52:53], v[52:53], v[68:69], -v[62:63]
	v_add_f64_e32 v[60:61], v[4:5], v[60:61]
	v_add_f64_e32 v[12:13], v[12:13], v[84:85]
	ds_load_b128 v[8:11], v2 offset:576
	ds_load_b128 v[2:5], v2 offset:592
	v_fmac_f64_e32 v[56:57], v[54:55], v[68:69]
	s_wait_loadcnt_dscnt 0x201
	v_mul_f64_e32 v[66:67], v[8:9], v[74:75]
	v_mul_f64_e32 v[70:71], v[10:11], v[74:75]
	v_add_f64_e32 v[54:55], v[60:61], v[64:65]
	v_add_f64_e32 v[12:13], v[12:13], v[58:59]
	s_wait_loadcnt_dscnt 0x100
	v_mul_f64_e32 v[58:59], v[2:3], v[78:79]
	v_mul_f64_e32 v[60:61], v[4:5], v[78:79]
	v_fmac_f64_e32 v[66:67], v[10:11], v[72:73]
	v_fma_f64 v[8:9], v[8:9], v[72:73], -v[70:71]
	v_add_f64_e32 v[10:11], v[54:55], v[52:53]
	v_add_f64_e32 v[12:13], v[12:13], v[56:57]
	v_fmac_f64_e32 v[58:59], v[4:5], v[76:77]
	v_fma_f64 v[2:3], v[2:3], v[76:77], -v[60:61]
	s_delay_alu instid0(VALU_DEP_4) | instskip(NEXT) | instid1(VALU_DEP_4)
	v_add_f64_e32 v[4:5], v[10:11], v[8:9]
	v_add_f64_e32 v[8:9], v[12:13], v[66:67]
	s_delay_alu instid0(VALU_DEP_2) | instskip(NEXT) | instid1(VALU_DEP_2)
	v_add_f64_e32 v[2:3], v[4:5], v[2:3]
	v_add_f64_e32 v[4:5], v[8:9], v[58:59]
	s_wait_loadcnt 0x0
	s_delay_alu instid0(VALU_DEP_2) | instskip(NEXT) | instid1(VALU_DEP_2)
	v_add_f64_e64 v[2:3], v[88:89], -v[2:3]
	v_add_f64_e64 v[4:5], v[90:91], -v[4:5]
	scratch_store_b128 off, v[2:5], off offset:160
	s_wait_xcnt 0x0
	v_cmpx_lt_u32_e32 9, v1
	s_cbranch_execz .LBB82_109
; %bb.108:
	scratch_load_b128 v[2:5], off, s23
	v_mov_b32_e32 v8, 0
	s_delay_alu instid0(VALU_DEP_1)
	v_dual_mov_b32 v9, v8 :: v_dual_mov_b32 v10, v8
	v_mov_b32_e32 v11, v8
	scratch_store_b128 off, v[8:11], off offset:144
	s_wait_loadcnt 0x0
	ds_store_b128 v6, v[2:5]
.LBB82_109:
	s_wait_xcnt 0x0
	s_or_b32 exec_lo, exec_lo, s2
	s_wait_storecnt_dscnt 0x0
	s_barrier_signal -1
	s_barrier_wait -1
	s_clause 0x8
	scratch_load_b128 v[8:11], off, off offset:160
	scratch_load_b128 v[52:55], off, off offset:176
	;; [unrolled: 1-line block ×9, first 2 shown]
	v_mov_b32_e32 v2, 0
	scratch_load_b128 v[88:91], off, off offset:144
	s_mov_b32 s2, exec_lo
	ds_load_b128 v[84:87], v2 offset:464
	ds_load_b128 v[92:95], v2 offset:480
	s_wait_loadcnt_dscnt 0x901
	v_mul_f64_e32 v[4:5], v[86:87], v[10:11]
	v_mul_f64_e32 v[12:13], v[84:85], v[10:11]
	s_wait_loadcnt_dscnt 0x800
	v_mul_f64_e32 v[96:97], v[92:93], v[54:55]
	v_mul_f64_e32 v[54:55], v[94:95], v[54:55]
	s_delay_alu instid0(VALU_DEP_4) | instskip(NEXT) | instid1(VALU_DEP_4)
	v_fma_f64 v[4:5], v[84:85], v[8:9], -v[4:5]
	v_fmac_f64_e32 v[12:13], v[86:87], v[8:9]
	ds_load_b128 v[8:11], v2 offset:496
	ds_load_b128 v[84:87], v2 offset:512
	v_fmac_f64_e32 v[96:97], v[94:95], v[52:53]
	v_fma_f64 v[52:53], v[92:93], v[52:53], -v[54:55]
	s_wait_loadcnt_dscnt 0x701
	v_mul_f64_e32 v[98:99], v[8:9], v[58:59]
	v_mul_f64_e32 v[58:59], v[10:11], v[58:59]
	s_wait_loadcnt_dscnt 0x600
	v_mul_f64_e32 v[92:93], v[84:85], v[62:63]
	v_mul_f64_e32 v[62:63], v[86:87], v[62:63]
	v_add_f64_e32 v[4:5], 0, v[4:5]
	v_add_f64_e32 v[12:13], 0, v[12:13]
	v_fmac_f64_e32 v[98:99], v[10:11], v[56:57]
	v_fma_f64 v[56:57], v[8:9], v[56:57], -v[58:59]
	v_fmac_f64_e32 v[92:93], v[86:87], v[60:61]
	v_fma_f64 v[60:61], v[84:85], v[60:61], -v[62:63]
	v_add_f64_e32 v[4:5], v[4:5], v[52:53]
	v_add_f64_e32 v[12:13], v[12:13], v[96:97]
	ds_load_b128 v[8:11], v2 offset:528
	ds_load_b128 v[52:55], v2 offset:544
	s_wait_loadcnt_dscnt 0x501
	v_mul_f64_e32 v[94:95], v[8:9], v[66:67]
	v_mul_f64_e32 v[58:59], v[10:11], v[66:67]
	s_wait_loadcnt_dscnt 0x400
	v_mul_f64_e32 v[62:63], v[52:53], v[70:71]
	v_mul_f64_e32 v[66:67], v[54:55], v[70:71]
	v_add_f64_e32 v[4:5], v[4:5], v[56:57]
	v_add_f64_e32 v[12:13], v[12:13], v[98:99]
	v_fmac_f64_e32 v[94:95], v[10:11], v[64:65]
	v_fma_f64 v[64:65], v[8:9], v[64:65], -v[58:59]
	ds_load_b128 v[8:11], v2 offset:560
	ds_load_b128 v[56:59], v2 offset:576
	v_fmac_f64_e32 v[62:63], v[54:55], v[68:69]
	v_fma_f64 v[52:53], v[52:53], v[68:69], -v[66:67]
	v_add_f64_e32 v[4:5], v[4:5], v[60:61]
	v_add_f64_e32 v[12:13], v[12:13], v[92:93]
	s_wait_loadcnt_dscnt 0x301
	v_mul_f64_e32 v[60:61], v[8:9], v[74:75]
	v_mul_f64_e32 v[70:71], v[10:11], v[74:75]
	s_wait_loadcnt_dscnt 0x200
	v_mul_f64_e32 v[54:55], v[56:57], v[78:79]
	v_add_f64_e32 v[4:5], v[4:5], v[64:65]
	v_add_f64_e32 v[12:13], v[12:13], v[94:95]
	v_mul_f64_e32 v[64:65], v[58:59], v[78:79]
	v_fmac_f64_e32 v[60:61], v[10:11], v[72:73]
	v_fma_f64 v[66:67], v[8:9], v[72:73], -v[70:71]
	ds_load_b128 v[8:11], v2 offset:592
	v_fmac_f64_e32 v[54:55], v[58:59], v[76:77]
	v_add_f64_e32 v[4:5], v[4:5], v[52:53]
	v_add_f64_e32 v[12:13], v[12:13], v[62:63]
	s_wait_loadcnt_dscnt 0x100
	v_mul_f64_e32 v[52:53], v[8:9], v[82:83]
	v_mul_f64_e32 v[62:63], v[10:11], v[82:83]
	v_fma_f64 v[56:57], v[56:57], v[76:77], -v[64:65]
	v_add_f64_e32 v[4:5], v[4:5], v[66:67]
	v_add_f64_e32 v[12:13], v[12:13], v[60:61]
	v_fmac_f64_e32 v[52:53], v[10:11], v[80:81]
	v_fma_f64 v[8:9], v[8:9], v[80:81], -v[62:63]
	s_delay_alu instid0(VALU_DEP_4) | instskip(NEXT) | instid1(VALU_DEP_4)
	v_add_f64_e32 v[4:5], v[4:5], v[56:57]
	v_add_f64_e32 v[10:11], v[12:13], v[54:55]
	s_delay_alu instid0(VALU_DEP_2) | instskip(NEXT) | instid1(VALU_DEP_2)
	v_add_f64_e32 v[4:5], v[4:5], v[8:9]
	v_add_f64_e32 v[10:11], v[10:11], v[52:53]
	s_wait_loadcnt 0x0
	s_delay_alu instid0(VALU_DEP_2) | instskip(NEXT) | instid1(VALU_DEP_2)
	v_add_f64_e64 v[8:9], v[88:89], -v[4:5]
	v_add_f64_e64 v[10:11], v[90:91], -v[10:11]
	scratch_store_b128 off, v[8:11], off offset:144
	s_wait_xcnt 0x0
	v_cmpx_lt_u32_e32 8, v1
	s_cbranch_execz .LBB82_111
; %bb.110:
	scratch_load_b128 v[8:11], off, s14
	v_dual_mov_b32 v3, v2 :: v_dual_mov_b32 v4, v2
	v_mov_b32_e32 v5, v2
	scratch_store_b128 off, v[2:5], off offset:128
	s_wait_loadcnt 0x0
	ds_store_b128 v6, v[8:11]
.LBB82_111:
	s_wait_xcnt 0x0
	s_or_b32 exec_lo, exec_lo, s2
	s_wait_storecnt_dscnt 0x0
	s_barrier_signal -1
	s_barrier_wait -1
	s_clause 0x9
	scratch_load_b128 v[8:11], off, off offset:144
	scratch_load_b128 v[52:55], off, off offset:160
	scratch_load_b128 v[56:59], off, off offset:176
	scratch_load_b128 v[60:63], off, off offset:192
	scratch_load_b128 v[64:67], off, off offset:208
	scratch_load_b128 v[68:71], off, off offset:224
	scratch_load_b128 v[72:75], off, off offset:240
	scratch_load_b128 v[76:79], off, off offset:256
	scratch_load_b128 v[80:83], off, off offset:272
	scratch_load_b128 v[84:87], off, off offset:288
	ds_load_b128 v[88:91], v2 offset:448
	ds_load_b128 v[92:95], v2 offset:464
	scratch_load_b128 v[96:99], off, off offset:128
	s_mov_b32 s2, exec_lo
	s_wait_loadcnt_dscnt 0xa01
	v_mul_f64_e32 v[4:5], v[90:91], v[10:11]
	v_mul_f64_e32 v[12:13], v[88:89], v[10:11]
	s_wait_loadcnt_dscnt 0x900
	v_mul_f64_e32 v[100:101], v[92:93], v[54:55]
	v_mul_f64_e32 v[54:55], v[94:95], v[54:55]
	s_delay_alu instid0(VALU_DEP_4) | instskip(NEXT) | instid1(VALU_DEP_4)
	v_fma_f64 v[4:5], v[88:89], v[8:9], -v[4:5]
	v_fmac_f64_e32 v[12:13], v[90:91], v[8:9]
	ds_load_b128 v[8:11], v2 offset:480
	ds_load_b128 v[88:91], v2 offset:496
	v_fmac_f64_e32 v[100:101], v[94:95], v[52:53]
	v_fma_f64 v[52:53], v[92:93], v[52:53], -v[54:55]
	s_wait_loadcnt_dscnt 0x801
	v_mul_f64_e32 v[102:103], v[8:9], v[58:59]
	v_mul_f64_e32 v[58:59], v[10:11], v[58:59]
	s_wait_loadcnt_dscnt 0x700
	v_mul_f64_e32 v[92:93], v[88:89], v[62:63]
	v_mul_f64_e32 v[62:63], v[90:91], v[62:63]
	v_add_f64_e32 v[4:5], 0, v[4:5]
	v_add_f64_e32 v[12:13], 0, v[12:13]
	v_fmac_f64_e32 v[102:103], v[10:11], v[56:57]
	v_fma_f64 v[56:57], v[8:9], v[56:57], -v[58:59]
	v_fmac_f64_e32 v[92:93], v[90:91], v[60:61]
	v_fma_f64 v[60:61], v[88:89], v[60:61], -v[62:63]
	v_add_f64_e32 v[4:5], v[4:5], v[52:53]
	v_add_f64_e32 v[12:13], v[12:13], v[100:101]
	ds_load_b128 v[8:11], v2 offset:512
	ds_load_b128 v[52:55], v2 offset:528
	s_wait_loadcnt_dscnt 0x601
	v_mul_f64_e32 v[94:95], v[8:9], v[66:67]
	v_mul_f64_e32 v[58:59], v[10:11], v[66:67]
	s_wait_loadcnt_dscnt 0x500
	v_mul_f64_e32 v[62:63], v[52:53], v[70:71]
	v_mul_f64_e32 v[66:67], v[54:55], v[70:71]
	v_add_f64_e32 v[4:5], v[4:5], v[56:57]
	v_add_f64_e32 v[12:13], v[12:13], v[102:103]
	v_fmac_f64_e32 v[94:95], v[10:11], v[64:65]
	v_fma_f64 v[64:65], v[8:9], v[64:65], -v[58:59]
	ds_load_b128 v[8:11], v2 offset:544
	ds_load_b128 v[56:59], v2 offset:560
	v_fmac_f64_e32 v[62:63], v[54:55], v[68:69]
	v_fma_f64 v[52:53], v[52:53], v[68:69], -v[66:67]
	v_add_f64_e32 v[4:5], v[4:5], v[60:61]
	v_add_f64_e32 v[12:13], v[12:13], v[92:93]
	s_wait_loadcnt_dscnt 0x401
	v_mul_f64_e32 v[60:61], v[8:9], v[74:75]
	v_mul_f64_e32 v[70:71], v[10:11], v[74:75]
	s_wait_loadcnt_dscnt 0x300
	v_mul_f64_e32 v[54:55], v[56:57], v[78:79]
	v_add_f64_e32 v[4:5], v[4:5], v[64:65]
	v_add_f64_e32 v[12:13], v[12:13], v[94:95]
	v_mul_f64_e32 v[64:65], v[58:59], v[78:79]
	v_fmac_f64_e32 v[60:61], v[10:11], v[72:73]
	v_fma_f64 v[66:67], v[8:9], v[72:73], -v[70:71]
	v_fmac_f64_e32 v[54:55], v[58:59], v[76:77]
	v_add_f64_e32 v[52:53], v[4:5], v[52:53]
	v_add_f64_e32 v[12:13], v[12:13], v[62:63]
	ds_load_b128 v[8:11], v2 offset:576
	ds_load_b128 v[2:5], v2 offset:592
	v_fma_f64 v[56:57], v[56:57], v[76:77], -v[64:65]
	s_wait_loadcnt_dscnt 0x201
	v_mul_f64_e32 v[62:63], v[8:9], v[82:83]
	v_mul_f64_e32 v[68:69], v[10:11], v[82:83]
	s_wait_loadcnt_dscnt 0x100
	v_mul_f64_e32 v[58:59], v[2:3], v[86:87]
	v_add_f64_e32 v[52:53], v[52:53], v[66:67]
	v_add_f64_e32 v[12:13], v[12:13], v[60:61]
	v_mul_f64_e32 v[60:61], v[4:5], v[86:87]
	v_fmac_f64_e32 v[62:63], v[10:11], v[80:81]
	v_fma_f64 v[8:9], v[8:9], v[80:81], -v[68:69]
	v_fmac_f64_e32 v[58:59], v[4:5], v[84:85]
	v_add_f64_e32 v[10:11], v[52:53], v[56:57]
	v_add_f64_e32 v[12:13], v[12:13], v[54:55]
	v_fma_f64 v[2:3], v[2:3], v[84:85], -v[60:61]
	s_delay_alu instid0(VALU_DEP_3) | instskip(NEXT) | instid1(VALU_DEP_3)
	v_add_f64_e32 v[4:5], v[10:11], v[8:9]
	v_add_f64_e32 v[8:9], v[12:13], v[62:63]
	s_delay_alu instid0(VALU_DEP_2) | instskip(NEXT) | instid1(VALU_DEP_2)
	v_add_f64_e32 v[2:3], v[4:5], v[2:3]
	v_add_f64_e32 v[4:5], v[8:9], v[58:59]
	s_wait_loadcnt 0x0
	s_delay_alu instid0(VALU_DEP_2) | instskip(NEXT) | instid1(VALU_DEP_2)
	v_add_f64_e64 v[2:3], v[96:97], -v[2:3]
	v_add_f64_e64 v[4:5], v[98:99], -v[4:5]
	scratch_store_b128 off, v[2:5], off offset:128
	s_wait_xcnt 0x0
	v_cmpx_lt_u32_e32 7, v1
	s_cbranch_execz .LBB82_113
; %bb.112:
	scratch_load_b128 v[2:5], off, s22
	v_mov_b32_e32 v8, 0
	s_delay_alu instid0(VALU_DEP_1)
	v_dual_mov_b32 v9, v8 :: v_dual_mov_b32 v10, v8
	v_mov_b32_e32 v11, v8
	scratch_store_b128 off, v[8:11], off offset:112
	s_wait_loadcnt 0x0
	ds_store_b128 v6, v[2:5]
.LBB82_113:
	s_wait_xcnt 0x0
	s_or_b32 exec_lo, exec_lo, s2
	s_wait_storecnt_dscnt 0x0
	s_barrier_signal -1
	s_barrier_wait -1
	s_clause 0x9
	scratch_load_b128 v[8:11], off, off offset:128
	scratch_load_b128 v[52:55], off, off offset:144
	;; [unrolled: 1-line block ×10, first 2 shown]
	v_mov_b32_e32 v2, 0
	s_mov_b32 s2, exec_lo
	ds_load_b128 v[88:91], v2 offset:432
	s_clause 0x1
	scratch_load_b128 v[92:95], off, off offset:288
	scratch_load_b128 v[96:99], off, off offset:112
	s_wait_loadcnt_dscnt 0xb00
	v_mul_f64_e32 v[4:5], v[90:91], v[10:11]
	v_mul_f64_e32 v[12:13], v[88:89], v[10:11]
	ds_load_b128 v[100:103], v2 offset:448
	s_wait_loadcnt_dscnt 0xa00
	v_mul_f64_e32 v[104:105], v[100:101], v[54:55]
	v_mul_f64_e32 v[54:55], v[102:103], v[54:55]
	v_fma_f64 v[4:5], v[88:89], v[8:9], -v[4:5]
	v_fmac_f64_e32 v[12:13], v[90:91], v[8:9]
	ds_load_b128 v[8:11], v2 offset:464
	ds_load_b128 v[88:91], v2 offset:480
	s_wait_loadcnt_dscnt 0x901
	v_mul_f64_e32 v[106:107], v[8:9], v[58:59]
	v_mul_f64_e32 v[58:59], v[10:11], v[58:59]
	v_fmac_f64_e32 v[104:105], v[102:103], v[52:53]
	v_fma_f64 v[52:53], v[100:101], v[52:53], -v[54:55]
	s_wait_loadcnt_dscnt 0x800
	v_mul_f64_e32 v[100:101], v[88:89], v[62:63]
	v_mul_f64_e32 v[62:63], v[90:91], v[62:63]
	v_add_f64_e32 v[4:5], 0, v[4:5]
	v_add_f64_e32 v[12:13], 0, v[12:13]
	v_fmac_f64_e32 v[106:107], v[10:11], v[56:57]
	v_fma_f64 v[56:57], v[8:9], v[56:57], -v[58:59]
	v_fmac_f64_e32 v[100:101], v[90:91], v[60:61]
	v_fma_f64 v[60:61], v[88:89], v[60:61], -v[62:63]
	v_add_f64_e32 v[4:5], v[4:5], v[52:53]
	v_add_f64_e32 v[12:13], v[12:13], v[104:105]
	ds_load_b128 v[8:11], v2 offset:496
	ds_load_b128 v[52:55], v2 offset:512
	s_wait_loadcnt_dscnt 0x701
	v_mul_f64_e32 v[102:103], v[8:9], v[66:67]
	v_mul_f64_e32 v[58:59], v[10:11], v[66:67]
	s_wait_loadcnt_dscnt 0x600
	v_mul_f64_e32 v[62:63], v[52:53], v[70:71]
	v_mul_f64_e32 v[66:67], v[54:55], v[70:71]
	v_add_f64_e32 v[4:5], v[4:5], v[56:57]
	v_add_f64_e32 v[12:13], v[12:13], v[106:107]
	v_fmac_f64_e32 v[102:103], v[10:11], v[64:65]
	v_fma_f64 v[64:65], v[8:9], v[64:65], -v[58:59]
	ds_load_b128 v[8:11], v2 offset:528
	ds_load_b128 v[56:59], v2 offset:544
	v_fmac_f64_e32 v[62:63], v[54:55], v[68:69]
	v_fma_f64 v[52:53], v[52:53], v[68:69], -v[66:67]
	v_add_f64_e32 v[4:5], v[4:5], v[60:61]
	v_add_f64_e32 v[12:13], v[12:13], v[100:101]
	s_wait_loadcnt_dscnt 0x501
	v_mul_f64_e32 v[60:61], v[8:9], v[74:75]
	v_mul_f64_e32 v[70:71], v[10:11], v[74:75]
	s_wait_loadcnt_dscnt 0x400
	v_mul_f64_e32 v[66:67], v[58:59], v[78:79]
	v_add_f64_e32 v[4:5], v[4:5], v[64:65]
	v_add_f64_e32 v[12:13], v[12:13], v[102:103]
	v_mul_f64_e32 v[64:65], v[56:57], v[78:79]
	v_fmac_f64_e32 v[60:61], v[10:11], v[72:73]
	v_fma_f64 v[68:69], v[8:9], v[72:73], -v[70:71]
	v_fma_f64 v[56:57], v[56:57], v[76:77], -v[66:67]
	v_add_f64_e32 v[4:5], v[4:5], v[52:53]
	v_add_f64_e32 v[12:13], v[12:13], v[62:63]
	ds_load_b128 v[8:11], v2 offset:560
	ds_load_b128 v[52:55], v2 offset:576
	v_fmac_f64_e32 v[64:65], v[58:59], v[76:77]
	s_wait_loadcnt_dscnt 0x301
	v_mul_f64_e32 v[62:63], v[8:9], v[82:83]
	v_mul_f64_e32 v[70:71], v[10:11], v[82:83]
	s_wait_loadcnt_dscnt 0x200
	v_mul_f64_e32 v[58:59], v[52:53], v[86:87]
	v_add_f64_e32 v[4:5], v[4:5], v[68:69]
	v_add_f64_e32 v[12:13], v[12:13], v[60:61]
	v_mul_f64_e32 v[60:61], v[54:55], v[86:87]
	v_fmac_f64_e32 v[62:63], v[10:11], v[80:81]
	v_fma_f64 v[66:67], v[8:9], v[80:81], -v[70:71]
	ds_load_b128 v[8:11], v2 offset:592
	v_fmac_f64_e32 v[58:59], v[54:55], v[84:85]
	v_add_f64_e32 v[4:5], v[4:5], v[56:57]
	v_add_f64_e32 v[12:13], v[12:13], v[64:65]
	v_fma_f64 v[52:53], v[52:53], v[84:85], -v[60:61]
	s_wait_loadcnt_dscnt 0x100
	v_mul_f64_e32 v[56:57], v[8:9], v[94:95]
	v_mul_f64_e32 v[64:65], v[10:11], v[94:95]
	v_add_f64_e32 v[4:5], v[4:5], v[66:67]
	v_add_f64_e32 v[12:13], v[12:13], v[62:63]
	s_delay_alu instid0(VALU_DEP_4) | instskip(NEXT) | instid1(VALU_DEP_4)
	v_fmac_f64_e32 v[56:57], v[10:11], v[92:93]
	v_fma_f64 v[8:9], v[8:9], v[92:93], -v[64:65]
	s_delay_alu instid0(VALU_DEP_4) | instskip(NEXT) | instid1(VALU_DEP_4)
	v_add_f64_e32 v[4:5], v[4:5], v[52:53]
	v_add_f64_e32 v[10:11], v[12:13], v[58:59]
	s_delay_alu instid0(VALU_DEP_2) | instskip(NEXT) | instid1(VALU_DEP_2)
	v_add_f64_e32 v[4:5], v[4:5], v[8:9]
	v_add_f64_e32 v[10:11], v[10:11], v[56:57]
	s_wait_loadcnt 0x0
	s_delay_alu instid0(VALU_DEP_2) | instskip(NEXT) | instid1(VALU_DEP_2)
	v_add_f64_e64 v[8:9], v[96:97], -v[4:5]
	v_add_f64_e64 v[10:11], v[98:99], -v[10:11]
	scratch_store_b128 off, v[8:11], off offset:112
	s_wait_xcnt 0x0
	v_cmpx_lt_u32_e32 6, v1
	s_cbranch_execz .LBB82_115
; %bb.114:
	scratch_load_b128 v[8:11], off, s13
	v_dual_mov_b32 v3, v2 :: v_dual_mov_b32 v4, v2
	v_mov_b32_e32 v5, v2
	scratch_store_b128 off, v[2:5], off offset:96
	s_wait_loadcnt 0x0
	ds_store_b128 v6, v[8:11]
.LBB82_115:
	s_wait_xcnt 0x0
	s_or_b32 exec_lo, exec_lo, s2
	s_wait_storecnt_dscnt 0x0
	s_barrier_signal -1
	s_barrier_wait -1
	s_clause 0x9
	scratch_load_b128 v[8:11], off, off offset:112
	scratch_load_b128 v[52:55], off, off offset:128
	;; [unrolled: 1-line block ×10, first 2 shown]
	ds_load_b128 v[88:91], v2 offset:416
	ds_load_b128 v[96:99], v2 offset:432
	s_clause 0x1
	scratch_load_b128 v[92:95], off, off offset:272
	scratch_load_b128 v[100:103], off, off offset:96
	s_mov_b32 s2, exec_lo
	s_wait_loadcnt_dscnt 0xb01
	v_mul_f64_e32 v[4:5], v[90:91], v[10:11]
	v_mul_f64_e32 v[108:109], v[88:89], v[10:11]
	scratch_load_b128 v[10:13], off, off offset:288
	s_wait_loadcnt_dscnt 0xb00
	v_mul_f64_e32 v[110:111], v[96:97], v[54:55]
	v_mul_f64_e32 v[54:55], v[98:99], v[54:55]
	v_fma_f64 v[4:5], v[88:89], v[8:9], -v[4:5]
	v_fmac_f64_e32 v[108:109], v[90:91], v[8:9]
	ds_load_b128 v[88:91], v2 offset:448
	ds_load_b128 v[104:107], v2 offset:464
	v_fmac_f64_e32 v[110:111], v[98:99], v[52:53]
	v_fma_f64 v[52:53], v[96:97], v[52:53], -v[54:55]
	s_wait_loadcnt_dscnt 0xa01
	v_mul_f64_e32 v[8:9], v[88:89], v[58:59]
	v_mul_f64_e32 v[58:59], v[90:91], v[58:59]
	s_wait_loadcnt_dscnt 0x900
	v_mul_f64_e32 v[96:97], v[104:105], v[62:63]
	v_mul_f64_e32 v[62:63], v[106:107], v[62:63]
	v_add_f64_e32 v[4:5], 0, v[4:5]
	v_add_f64_e32 v[54:55], 0, v[108:109]
	v_fmac_f64_e32 v[8:9], v[90:91], v[56:57]
	v_fma_f64 v[88:89], v[88:89], v[56:57], -v[58:59]
	v_fmac_f64_e32 v[96:97], v[106:107], v[60:61]
	v_fma_f64 v[60:61], v[104:105], v[60:61], -v[62:63]
	v_add_f64_e32 v[4:5], v[4:5], v[52:53]
	v_add_f64_e32 v[90:91], v[54:55], v[110:111]
	ds_load_b128 v[52:55], v2 offset:480
	ds_load_b128 v[56:59], v2 offset:496
	s_wait_loadcnt_dscnt 0x801
	v_mul_f64_e32 v[98:99], v[52:53], v[66:67]
	v_mul_f64_e32 v[66:67], v[54:55], v[66:67]
	v_add_f64_e32 v[4:5], v[4:5], v[88:89]
	v_add_f64_e32 v[8:9], v[90:91], v[8:9]
	s_wait_loadcnt_dscnt 0x700
	v_mul_f64_e32 v[88:89], v[56:57], v[70:71]
	v_mul_f64_e32 v[70:71], v[58:59], v[70:71]
	v_fmac_f64_e32 v[98:99], v[54:55], v[64:65]
	v_fma_f64 v[64:65], v[52:53], v[64:65], -v[66:67]
	v_add_f64_e32 v[4:5], v[4:5], v[60:61]
	v_add_f64_e32 v[8:9], v[8:9], v[96:97]
	ds_load_b128 v[52:55], v2 offset:512
	ds_load_b128 v[60:63], v2 offset:528
	v_fmac_f64_e32 v[88:89], v[58:59], v[68:69]
	v_fma_f64 v[56:57], v[56:57], v[68:69], -v[70:71]
	s_wait_loadcnt_dscnt 0x601
	v_mul_f64_e32 v[66:67], v[52:53], v[74:75]
	v_mul_f64_e32 v[74:75], v[54:55], v[74:75]
	s_wait_loadcnt_dscnt 0x500
	v_mul_f64_e32 v[68:69], v[62:63], v[78:79]
	v_add_f64_e32 v[4:5], v[4:5], v[64:65]
	v_add_f64_e32 v[8:9], v[8:9], v[98:99]
	v_mul_f64_e32 v[64:65], v[60:61], v[78:79]
	v_fmac_f64_e32 v[66:67], v[54:55], v[72:73]
	v_fma_f64 v[70:71], v[52:53], v[72:73], -v[74:75]
	v_fma_f64 v[60:61], v[60:61], v[76:77], -v[68:69]
	v_add_f64_e32 v[4:5], v[4:5], v[56:57]
	v_add_f64_e32 v[8:9], v[8:9], v[88:89]
	ds_load_b128 v[52:55], v2 offset:544
	ds_load_b128 v[56:59], v2 offset:560
	v_fmac_f64_e32 v[64:65], v[62:63], v[76:77]
	s_wait_loadcnt_dscnt 0x401
	v_mul_f64_e32 v[72:73], v[52:53], v[82:83]
	v_mul_f64_e32 v[74:75], v[54:55], v[82:83]
	s_wait_loadcnt_dscnt 0x300
	v_mul_f64_e32 v[62:63], v[56:57], v[86:87]
	v_add_f64_e32 v[4:5], v[4:5], v[70:71]
	v_add_f64_e32 v[8:9], v[8:9], v[66:67]
	v_mul_f64_e32 v[66:67], v[58:59], v[86:87]
	v_fmac_f64_e32 v[72:73], v[54:55], v[80:81]
	v_fma_f64 v[68:69], v[52:53], v[80:81], -v[74:75]
	v_fmac_f64_e32 v[62:63], v[58:59], v[84:85]
	v_add_f64_e32 v[60:61], v[4:5], v[60:61]
	v_add_f64_e32 v[8:9], v[8:9], v[64:65]
	ds_load_b128 v[52:55], v2 offset:576
	ds_load_b128 v[2:5], v2 offset:592
	v_fma_f64 v[56:57], v[56:57], v[84:85], -v[66:67]
	s_wait_loadcnt_dscnt 0x201
	v_mul_f64_e32 v[64:65], v[52:53], v[94:95]
	v_mul_f64_e32 v[70:71], v[54:55], v[94:95]
	v_add_f64_e32 v[58:59], v[60:61], v[68:69]
	v_add_f64_e32 v[8:9], v[8:9], v[72:73]
	s_wait_loadcnt_dscnt 0x0
	v_mul_f64_e32 v[60:61], v[2:3], v[12:13]
	v_mul_f64_e32 v[12:13], v[4:5], v[12:13]
	v_fmac_f64_e32 v[64:65], v[54:55], v[92:93]
	v_fma_f64 v[52:53], v[52:53], v[92:93], -v[70:71]
	v_add_f64_e32 v[54:55], v[58:59], v[56:57]
	v_add_f64_e32 v[8:9], v[8:9], v[62:63]
	v_fmac_f64_e32 v[60:61], v[4:5], v[10:11]
	v_fma_f64 v[2:3], v[2:3], v[10:11], -v[12:13]
	s_delay_alu instid0(VALU_DEP_4) | instskip(NEXT) | instid1(VALU_DEP_4)
	v_add_f64_e32 v[4:5], v[54:55], v[52:53]
	v_add_f64_e32 v[8:9], v[8:9], v[64:65]
	s_delay_alu instid0(VALU_DEP_2) | instskip(NEXT) | instid1(VALU_DEP_2)
	v_add_f64_e32 v[2:3], v[4:5], v[2:3]
	v_add_f64_e32 v[4:5], v[8:9], v[60:61]
	s_delay_alu instid0(VALU_DEP_2) | instskip(NEXT) | instid1(VALU_DEP_2)
	v_add_f64_e64 v[2:3], v[100:101], -v[2:3]
	v_add_f64_e64 v[4:5], v[102:103], -v[4:5]
	scratch_store_b128 off, v[2:5], off offset:96
	s_wait_xcnt 0x0
	v_cmpx_lt_u32_e32 5, v1
	s_cbranch_execz .LBB82_117
; %bb.116:
	scratch_load_b128 v[2:5], off, s21
	v_mov_b32_e32 v8, 0
	s_delay_alu instid0(VALU_DEP_1)
	v_dual_mov_b32 v9, v8 :: v_dual_mov_b32 v10, v8
	v_mov_b32_e32 v11, v8
	scratch_store_b128 off, v[8:11], off offset:80
	s_wait_loadcnt 0x0
	ds_store_b128 v6, v[2:5]
.LBB82_117:
	s_wait_xcnt 0x0
	s_or_b32 exec_lo, exec_lo, s2
	s_wait_storecnt_dscnt 0x0
	s_barrier_signal -1
	s_barrier_wait -1
	s_clause 0x9
	scratch_load_b128 v[8:11], off, off offset:96
	scratch_load_b128 v[52:55], off, off offset:112
	;; [unrolled: 1-line block ×10, first 2 shown]
	v_mov_b32_e32 v2, 0
	s_mov_b32 s2, exec_lo
	ds_load_b128 v[88:91], v2 offset:400
	s_clause 0x2
	scratch_load_b128 v[92:95], off, off offset:256
	scratch_load_b128 v[96:99], off, off offset:80
	;; [unrolled: 1-line block ×3, first 2 shown]
	s_wait_loadcnt_dscnt 0xc00
	v_mul_f64_e32 v[4:5], v[90:91], v[10:11]
	v_mul_f64_e32 v[112:113], v[88:89], v[10:11]
	ds_load_b128 v[100:103], v2 offset:416
	scratch_load_b128 v[10:13], off, off offset:272
	ds_load_b128 v[108:111], v2 offset:448
	v_fma_f64 v[4:5], v[88:89], v[8:9], -v[4:5]
	v_fmac_f64_e32 v[112:113], v[90:91], v[8:9]
	ds_load_b128 v[88:91], v2 offset:432
	s_wait_loadcnt_dscnt 0xc02
	v_mul_f64_e32 v[114:115], v[100:101], v[54:55]
	v_mul_f64_e32 v[54:55], v[102:103], v[54:55]
	s_wait_loadcnt_dscnt 0xb00
	v_mul_f64_e32 v[8:9], v[88:89], v[58:59]
	v_mul_f64_e32 v[58:59], v[90:91], v[58:59]
	v_add_f64_e32 v[4:5], 0, v[4:5]
	v_fmac_f64_e32 v[114:115], v[102:103], v[52:53]
	v_fma_f64 v[52:53], v[100:101], v[52:53], -v[54:55]
	v_add_f64_e32 v[54:55], 0, v[112:113]
	s_wait_loadcnt 0xa
	v_mul_f64_e32 v[100:101], v[108:109], v[62:63]
	v_mul_f64_e32 v[62:63], v[110:111], v[62:63]
	v_fmac_f64_e32 v[8:9], v[90:91], v[56:57]
	v_fma_f64 v[88:89], v[88:89], v[56:57], -v[58:59]
	v_add_f64_e32 v[4:5], v[4:5], v[52:53]
	v_add_f64_e32 v[90:91], v[54:55], v[114:115]
	ds_load_b128 v[52:55], v2 offset:464
	ds_load_b128 v[56:59], v2 offset:480
	v_fmac_f64_e32 v[100:101], v[110:111], v[60:61]
	v_fma_f64 v[60:61], v[108:109], v[60:61], -v[62:63]
	s_wait_loadcnt_dscnt 0x901
	v_mul_f64_e32 v[102:103], v[52:53], v[66:67]
	v_mul_f64_e32 v[66:67], v[54:55], v[66:67]
	v_add_f64_e32 v[4:5], v[4:5], v[88:89]
	v_add_f64_e32 v[8:9], v[90:91], v[8:9]
	s_wait_loadcnt_dscnt 0x800
	v_mul_f64_e32 v[88:89], v[56:57], v[70:71]
	v_mul_f64_e32 v[70:71], v[58:59], v[70:71]
	v_fmac_f64_e32 v[102:103], v[54:55], v[64:65]
	v_fma_f64 v[64:65], v[52:53], v[64:65], -v[66:67]
	v_add_f64_e32 v[4:5], v[4:5], v[60:61]
	v_add_f64_e32 v[8:9], v[8:9], v[100:101]
	ds_load_b128 v[52:55], v2 offset:496
	ds_load_b128 v[60:63], v2 offset:512
	v_fmac_f64_e32 v[88:89], v[58:59], v[68:69]
	v_fma_f64 v[56:57], v[56:57], v[68:69], -v[70:71]
	s_wait_loadcnt_dscnt 0x701
	v_mul_f64_e32 v[66:67], v[52:53], v[74:75]
	v_mul_f64_e32 v[74:75], v[54:55], v[74:75]
	s_wait_loadcnt_dscnt 0x600
	v_mul_f64_e32 v[68:69], v[62:63], v[78:79]
	v_add_f64_e32 v[4:5], v[4:5], v[64:65]
	v_add_f64_e32 v[8:9], v[8:9], v[102:103]
	v_mul_f64_e32 v[64:65], v[60:61], v[78:79]
	v_fmac_f64_e32 v[66:67], v[54:55], v[72:73]
	v_fma_f64 v[70:71], v[52:53], v[72:73], -v[74:75]
	v_fma_f64 v[60:61], v[60:61], v[76:77], -v[68:69]
	v_add_f64_e32 v[4:5], v[4:5], v[56:57]
	v_add_f64_e32 v[8:9], v[8:9], v[88:89]
	ds_load_b128 v[52:55], v2 offset:528
	ds_load_b128 v[56:59], v2 offset:544
	v_fmac_f64_e32 v[64:65], v[62:63], v[76:77]
	s_wait_loadcnt_dscnt 0x501
	v_mul_f64_e32 v[72:73], v[52:53], v[82:83]
	v_mul_f64_e32 v[74:75], v[54:55], v[82:83]
	s_wait_loadcnt_dscnt 0x400
	v_mul_f64_e32 v[68:69], v[58:59], v[86:87]
	v_add_f64_e32 v[4:5], v[4:5], v[70:71]
	v_add_f64_e32 v[8:9], v[8:9], v[66:67]
	v_mul_f64_e32 v[66:67], v[56:57], v[86:87]
	v_fmac_f64_e32 v[72:73], v[54:55], v[80:81]
	v_fma_f64 v[70:71], v[52:53], v[80:81], -v[74:75]
	v_fma_f64 v[56:57], v[56:57], v[84:85], -v[68:69]
	v_add_f64_e32 v[4:5], v[4:5], v[60:61]
	v_add_f64_e32 v[8:9], v[8:9], v[64:65]
	ds_load_b128 v[52:55], v2 offset:560
	ds_load_b128 v[60:63], v2 offset:576
	v_fmac_f64_e32 v[66:67], v[58:59], v[84:85]
	s_wait_loadcnt_dscnt 0x301
	v_mul_f64_e32 v[64:65], v[52:53], v[94:95]
	v_mul_f64_e32 v[74:75], v[54:55], v[94:95]
	s_wait_loadcnt_dscnt 0x0
	v_mul_f64_e32 v[58:59], v[60:61], v[12:13]
	v_add_f64_e32 v[4:5], v[4:5], v[70:71]
	v_add_f64_e32 v[8:9], v[8:9], v[72:73]
	v_mul_f64_e32 v[12:13], v[62:63], v[12:13]
	v_fmac_f64_e32 v[64:65], v[54:55], v[92:93]
	v_fma_f64 v[68:69], v[52:53], v[92:93], -v[74:75]
	ds_load_b128 v[52:55], v2 offset:592
	v_fmac_f64_e32 v[58:59], v[62:63], v[10:11]
	v_add_f64_e32 v[4:5], v[4:5], v[56:57]
	v_add_f64_e32 v[8:9], v[8:9], v[66:67]
	v_fma_f64 v[10:11], v[60:61], v[10:11], -v[12:13]
	s_wait_dscnt 0x0
	v_mul_f64_e32 v[56:57], v[52:53], v[106:107]
	v_mul_f64_e32 v[66:67], v[54:55], v[106:107]
	v_add_f64_e32 v[4:5], v[4:5], v[68:69]
	v_add_f64_e32 v[8:9], v[8:9], v[64:65]
	s_delay_alu instid0(VALU_DEP_4) | instskip(NEXT) | instid1(VALU_DEP_4)
	v_fmac_f64_e32 v[56:57], v[54:55], v[104:105]
	v_fma_f64 v[12:13], v[52:53], v[104:105], -v[66:67]
	s_delay_alu instid0(VALU_DEP_4) | instskip(NEXT) | instid1(VALU_DEP_4)
	v_add_f64_e32 v[4:5], v[4:5], v[10:11]
	v_add_f64_e32 v[8:9], v[8:9], v[58:59]
	s_delay_alu instid0(VALU_DEP_2) | instskip(NEXT) | instid1(VALU_DEP_2)
	v_add_f64_e32 v[4:5], v[4:5], v[12:13]
	v_add_f64_e32 v[10:11], v[8:9], v[56:57]
	s_delay_alu instid0(VALU_DEP_2) | instskip(NEXT) | instid1(VALU_DEP_2)
	v_add_f64_e64 v[8:9], v[96:97], -v[4:5]
	v_add_f64_e64 v[10:11], v[98:99], -v[10:11]
	scratch_store_b128 off, v[8:11], off offset:80
	s_wait_xcnt 0x0
	v_cmpx_lt_u32_e32 4, v1
	s_cbranch_execz .LBB82_119
; %bb.118:
	scratch_load_b128 v[8:11], off, s12
	v_dual_mov_b32 v3, v2 :: v_dual_mov_b32 v4, v2
	v_mov_b32_e32 v5, v2
	scratch_store_b128 off, v[2:5], off offset:64
	s_wait_loadcnt 0x0
	ds_store_b128 v6, v[8:11]
.LBB82_119:
	s_wait_xcnt 0x0
	s_or_b32 exec_lo, exec_lo, s2
	s_wait_storecnt_dscnt 0x0
	s_barrier_signal -1
	s_barrier_wait -1
	s_clause 0x9
	scratch_load_b128 v[8:11], off, off offset:80
	scratch_load_b128 v[52:55], off, off offset:96
	;; [unrolled: 1-line block ×10, first 2 shown]
	ds_load_b128 v[88:91], v2 offset:384
	ds_load_b128 v[96:99], v2 offset:400
	s_clause 0x1
	scratch_load_b128 v[92:95], off, off offset:240
	scratch_load_b128 v[100:103], off, off offset:64
	s_mov_b32 s2, exec_lo
	s_wait_loadcnt_dscnt 0xb01
	v_mul_f64_e32 v[4:5], v[90:91], v[10:11]
	v_mul_f64_e32 v[112:113], v[88:89], v[10:11]
	scratch_load_b128 v[10:13], off, off offset:256
	s_wait_loadcnt_dscnt 0xb00
	v_mul_f64_e32 v[114:115], v[96:97], v[54:55]
	v_mul_f64_e32 v[54:55], v[98:99], v[54:55]
	v_fma_f64 v[4:5], v[88:89], v[8:9], -v[4:5]
	v_fmac_f64_e32 v[112:113], v[90:91], v[8:9]
	ds_load_b128 v[88:91], v2 offset:416
	ds_load_b128 v[104:107], v2 offset:432
	scratch_load_b128 v[108:111], off, off offset:272
	v_fmac_f64_e32 v[114:115], v[98:99], v[52:53]
	v_fma_f64 v[96:97], v[96:97], v[52:53], -v[54:55]
	scratch_load_b128 v[52:55], off, off offset:288
	s_wait_loadcnt_dscnt 0xc01
	v_mul_f64_e32 v[8:9], v[88:89], v[58:59]
	v_mul_f64_e32 v[58:59], v[90:91], v[58:59]
	v_add_f64_e32 v[4:5], 0, v[4:5]
	v_add_f64_e32 v[98:99], 0, v[112:113]
	s_wait_loadcnt_dscnt 0xb00
	v_mul_f64_e32 v[112:113], v[104:105], v[62:63]
	v_mul_f64_e32 v[62:63], v[106:107], v[62:63]
	v_fmac_f64_e32 v[8:9], v[90:91], v[56:57]
	v_fma_f64 v[116:117], v[88:89], v[56:57], -v[58:59]
	ds_load_b128 v[56:59], v2 offset:448
	ds_load_b128 v[88:91], v2 offset:464
	v_add_f64_e32 v[4:5], v[4:5], v[96:97]
	v_add_f64_e32 v[96:97], v[98:99], v[114:115]
	v_fmac_f64_e32 v[112:113], v[106:107], v[60:61]
	v_fma_f64 v[60:61], v[104:105], v[60:61], -v[62:63]
	s_wait_loadcnt_dscnt 0xa01
	v_mul_f64_e32 v[98:99], v[56:57], v[66:67]
	v_mul_f64_e32 v[66:67], v[58:59], v[66:67]
	v_add_f64_e32 v[4:5], v[4:5], v[116:117]
	v_add_f64_e32 v[8:9], v[96:97], v[8:9]
	s_wait_loadcnt_dscnt 0x900
	v_mul_f64_e32 v[96:97], v[88:89], v[70:71]
	v_mul_f64_e32 v[70:71], v[90:91], v[70:71]
	v_fmac_f64_e32 v[98:99], v[58:59], v[64:65]
	v_fma_f64 v[64:65], v[56:57], v[64:65], -v[66:67]
	v_add_f64_e32 v[4:5], v[4:5], v[60:61]
	v_add_f64_e32 v[8:9], v[8:9], v[112:113]
	ds_load_b128 v[56:59], v2 offset:480
	ds_load_b128 v[60:63], v2 offset:496
	v_fmac_f64_e32 v[96:97], v[90:91], v[68:69]
	v_fma_f64 v[68:69], v[88:89], v[68:69], -v[70:71]
	s_wait_loadcnt_dscnt 0x801
	v_mul_f64_e32 v[104:105], v[56:57], v[74:75]
	v_mul_f64_e32 v[66:67], v[58:59], v[74:75]
	s_wait_loadcnt_dscnt 0x700
	v_mul_f64_e32 v[70:71], v[60:61], v[78:79]
	v_mul_f64_e32 v[74:75], v[62:63], v[78:79]
	v_add_f64_e32 v[4:5], v[4:5], v[64:65]
	v_add_f64_e32 v[8:9], v[8:9], v[98:99]
	v_fmac_f64_e32 v[104:105], v[58:59], v[72:73]
	v_fma_f64 v[72:73], v[56:57], v[72:73], -v[66:67]
	ds_load_b128 v[56:59], v2 offset:512
	ds_load_b128 v[64:67], v2 offset:528
	v_fmac_f64_e32 v[70:71], v[62:63], v[76:77]
	v_fma_f64 v[60:61], v[60:61], v[76:77], -v[74:75]
	v_add_f64_e32 v[4:5], v[4:5], v[68:69]
	v_add_f64_e32 v[8:9], v[8:9], v[96:97]
	s_wait_loadcnt_dscnt 0x601
	v_mul_f64_e32 v[68:69], v[56:57], v[82:83]
	v_mul_f64_e32 v[78:79], v[58:59], v[82:83]
	s_wait_loadcnt_dscnt 0x500
	v_mul_f64_e32 v[74:75], v[66:67], v[86:87]
	v_add_f64_e32 v[4:5], v[4:5], v[72:73]
	v_add_f64_e32 v[8:9], v[8:9], v[104:105]
	v_mul_f64_e32 v[72:73], v[64:65], v[86:87]
	v_fmac_f64_e32 v[68:69], v[58:59], v[80:81]
	v_fma_f64 v[76:77], v[56:57], v[80:81], -v[78:79]
	v_fma_f64 v[64:65], v[64:65], v[84:85], -v[74:75]
	v_add_f64_e32 v[4:5], v[4:5], v[60:61]
	v_add_f64_e32 v[8:9], v[8:9], v[70:71]
	ds_load_b128 v[56:59], v2 offset:544
	ds_load_b128 v[60:63], v2 offset:560
	v_fmac_f64_e32 v[72:73], v[66:67], v[84:85]
	s_wait_loadcnt_dscnt 0x401
	v_mul_f64_e32 v[70:71], v[56:57], v[94:95]
	v_mul_f64_e32 v[78:79], v[58:59], v[94:95]
	v_add_f64_e32 v[4:5], v[4:5], v[76:77]
	v_add_f64_e32 v[8:9], v[8:9], v[68:69]
	s_wait_loadcnt_dscnt 0x200
	v_mul_f64_e32 v[66:67], v[60:61], v[12:13]
	v_mul_f64_e32 v[12:13], v[62:63], v[12:13]
	v_fmac_f64_e32 v[70:71], v[58:59], v[92:93]
	v_fma_f64 v[68:69], v[56:57], v[92:93], -v[78:79]
	v_add_f64_e32 v[64:65], v[4:5], v[64:65]
	v_add_f64_e32 v[8:9], v[8:9], v[72:73]
	ds_load_b128 v[56:59], v2 offset:576
	ds_load_b128 v[2:5], v2 offset:592
	v_fmac_f64_e32 v[66:67], v[62:63], v[10:11]
	v_fma_f64 v[10:11], v[60:61], v[10:11], -v[12:13]
	s_wait_loadcnt_dscnt 0x101
	v_mul_f64_e32 v[72:73], v[56:57], v[110:111]
	v_mul_f64_e32 v[74:75], v[58:59], v[110:111]
	s_wait_loadcnt_dscnt 0x0
	v_mul_f64_e32 v[60:61], v[2:3], v[54:55]
	v_mul_f64_e32 v[54:55], v[4:5], v[54:55]
	v_add_f64_e32 v[12:13], v[64:65], v[68:69]
	v_add_f64_e32 v[8:9], v[8:9], v[70:71]
	v_fmac_f64_e32 v[72:73], v[58:59], v[108:109]
	v_fma_f64 v[56:57], v[56:57], v[108:109], -v[74:75]
	v_fmac_f64_e32 v[60:61], v[4:5], v[52:53]
	v_fma_f64 v[2:3], v[2:3], v[52:53], -v[54:55]
	v_add_f64_e32 v[10:11], v[12:13], v[10:11]
	v_add_f64_e32 v[8:9], v[8:9], v[66:67]
	s_delay_alu instid0(VALU_DEP_2) | instskip(NEXT) | instid1(VALU_DEP_2)
	v_add_f64_e32 v[4:5], v[10:11], v[56:57]
	v_add_f64_e32 v[8:9], v[8:9], v[72:73]
	s_delay_alu instid0(VALU_DEP_2) | instskip(NEXT) | instid1(VALU_DEP_2)
	;; [unrolled: 3-line block ×3, first 2 shown]
	v_add_f64_e64 v[2:3], v[100:101], -v[2:3]
	v_add_f64_e64 v[4:5], v[102:103], -v[4:5]
	scratch_store_b128 off, v[2:5], off offset:64
	s_wait_xcnt 0x0
	v_cmpx_lt_u32_e32 3, v1
	s_cbranch_execz .LBB82_121
; %bb.120:
	scratch_load_b128 v[2:5], off, s20
	v_mov_b32_e32 v8, 0
	s_delay_alu instid0(VALU_DEP_1)
	v_dual_mov_b32 v9, v8 :: v_dual_mov_b32 v10, v8
	v_mov_b32_e32 v11, v8
	scratch_store_b128 off, v[8:11], off offset:48
	s_wait_loadcnt 0x0
	ds_store_b128 v6, v[2:5]
.LBB82_121:
	s_wait_xcnt 0x0
	s_or_b32 exec_lo, exec_lo, s2
	s_wait_storecnt_dscnt 0x0
	s_barrier_signal -1
	s_barrier_wait -1
	s_clause 0x9
	scratch_load_b128 v[8:11], off, off offset:64
	scratch_load_b128 v[52:55], off, off offset:80
	;; [unrolled: 1-line block ×10, first 2 shown]
	v_mov_b32_e32 v2, 0
	s_mov_b32 s2, exec_lo
	ds_load_b128 v[88:91], v2 offset:368
	s_clause 0x2
	scratch_load_b128 v[92:95], off, off offset:224
	scratch_load_b128 v[96:99], off, off offset:48
	;; [unrolled: 1-line block ×3, first 2 shown]
	s_wait_loadcnt_dscnt 0xc00
	v_mul_f64_e32 v[4:5], v[90:91], v[10:11]
	v_mul_f64_e32 v[112:113], v[88:89], v[10:11]
	ds_load_b128 v[100:103], v2 offset:384
	scratch_load_b128 v[10:13], off, off offset:240
	ds_load_b128 v[108:111], v2 offset:416
	v_fma_f64 v[4:5], v[88:89], v[8:9], -v[4:5]
	v_fmac_f64_e32 v[112:113], v[90:91], v[8:9]
	ds_load_b128 v[88:91], v2 offset:400
	s_wait_loadcnt_dscnt 0xc02
	v_mul_f64_e32 v[114:115], v[100:101], v[54:55]
	v_mul_f64_e32 v[54:55], v[102:103], v[54:55]
	s_wait_loadcnt_dscnt 0xb00
	v_mul_f64_e32 v[8:9], v[88:89], v[58:59]
	v_mul_f64_e32 v[58:59], v[90:91], v[58:59]
	v_add_f64_e32 v[4:5], 0, v[4:5]
	v_fmac_f64_e32 v[114:115], v[102:103], v[52:53]
	v_fma_f64 v[100:101], v[100:101], v[52:53], -v[54:55]
	v_add_f64_e32 v[102:103], 0, v[112:113]
	scratch_load_b128 v[52:55], off, off offset:272
	v_fmac_f64_e32 v[8:9], v[90:91], v[56:57]
	v_fma_f64 v[116:117], v[88:89], v[56:57], -v[58:59]
	ds_load_b128 v[56:59], v2 offset:432
	s_wait_loadcnt 0xb
	v_mul_f64_e32 v[112:113], v[108:109], v[62:63]
	v_mul_f64_e32 v[62:63], v[110:111], v[62:63]
	scratch_load_b128 v[88:91], off, off offset:288
	v_add_f64_e32 v[4:5], v[4:5], v[100:101]
	v_add_f64_e32 v[114:115], v[102:103], v[114:115]
	ds_load_b128 v[100:103], v2 offset:448
	s_wait_loadcnt_dscnt 0xb01
	v_mul_f64_e32 v[118:119], v[56:57], v[66:67]
	v_mul_f64_e32 v[66:67], v[58:59], v[66:67]
	v_fmac_f64_e32 v[112:113], v[110:111], v[60:61]
	v_fma_f64 v[60:61], v[108:109], v[60:61], -v[62:63]
	s_wait_loadcnt_dscnt 0xa00
	v_mul_f64_e32 v[108:109], v[100:101], v[70:71]
	v_mul_f64_e32 v[70:71], v[102:103], v[70:71]
	v_add_f64_e32 v[4:5], v[4:5], v[116:117]
	v_add_f64_e32 v[8:9], v[114:115], v[8:9]
	v_fmac_f64_e32 v[118:119], v[58:59], v[64:65]
	v_fma_f64 v[64:65], v[56:57], v[64:65], -v[66:67]
	v_fmac_f64_e32 v[108:109], v[102:103], v[68:69]
	v_fma_f64 v[68:69], v[100:101], v[68:69], -v[70:71]
	v_add_f64_e32 v[4:5], v[4:5], v[60:61]
	v_add_f64_e32 v[8:9], v[8:9], v[112:113]
	ds_load_b128 v[56:59], v2 offset:464
	ds_load_b128 v[60:63], v2 offset:480
	s_wait_loadcnt_dscnt 0x901
	v_mul_f64_e32 v[110:111], v[56:57], v[74:75]
	v_mul_f64_e32 v[66:67], v[58:59], v[74:75]
	s_wait_loadcnt_dscnt 0x800
	v_mul_f64_e32 v[70:71], v[60:61], v[78:79]
	v_mul_f64_e32 v[74:75], v[62:63], v[78:79]
	v_add_f64_e32 v[4:5], v[4:5], v[64:65]
	v_add_f64_e32 v[8:9], v[8:9], v[118:119]
	v_fmac_f64_e32 v[110:111], v[58:59], v[72:73]
	v_fma_f64 v[72:73], v[56:57], v[72:73], -v[66:67]
	ds_load_b128 v[56:59], v2 offset:496
	ds_load_b128 v[64:67], v2 offset:512
	v_fmac_f64_e32 v[70:71], v[62:63], v[76:77]
	v_fma_f64 v[60:61], v[60:61], v[76:77], -v[74:75]
	v_add_f64_e32 v[4:5], v[4:5], v[68:69]
	v_add_f64_e32 v[8:9], v[8:9], v[108:109]
	s_wait_loadcnt_dscnt 0x701
	v_mul_f64_e32 v[68:69], v[56:57], v[82:83]
	v_mul_f64_e32 v[78:79], v[58:59], v[82:83]
	s_wait_loadcnt_dscnt 0x600
	v_mul_f64_e32 v[74:75], v[66:67], v[86:87]
	v_add_f64_e32 v[4:5], v[4:5], v[72:73]
	v_add_f64_e32 v[8:9], v[8:9], v[110:111]
	v_mul_f64_e32 v[72:73], v[64:65], v[86:87]
	v_fmac_f64_e32 v[68:69], v[58:59], v[80:81]
	v_fma_f64 v[76:77], v[56:57], v[80:81], -v[78:79]
	v_fma_f64 v[64:65], v[64:65], v[84:85], -v[74:75]
	v_add_f64_e32 v[4:5], v[4:5], v[60:61]
	v_add_f64_e32 v[8:9], v[8:9], v[70:71]
	ds_load_b128 v[56:59], v2 offset:528
	ds_load_b128 v[60:63], v2 offset:544
	v_fmac_f64_e32 v[72:73], v[66:67], v[84:85]
	s_wait_loadcnt_dscnt 0x501
	v_mul_f64_e32 v[70:71], v[56:57], v[94:95]
	v_mul_f64_e32 v[78:79], v[58:59], v[94:95]
	v_add_f64_e32 v[4:5], v[4:5], v[76:77]
	v_add_f64_e32 v[8:9], v[8:9], v[68:69]
	s_wait_loadcnt_dscnt 0x200
	v_mul_f64_e32 v[68:69], v[60:61], v[12:13]
	v_mul_f64_e32 v[12:13], v[62:63], v[12:13]
	v_fmac_f64_e32 v[70:71], v[58:59], v[92:93]
	v_fma_f64 v[74:75], v[56:57], v[92:93], -v[78:79]
	v_add_f64_e32 v[4:5], v[4:5], v[64:65]
	v_add_f64_e32 v[8:9], v[8:9], v[72:73]
	ds_load_b128 v[56:59], v2 offset:560
	ds_load_b128 v[64:67], v2 offset:576
	v_fmac_f64_e32 v[68:69], v[62:63], v[10:11]
	v_fma_f64 v[10:11], v[60:61], v[10:11], -v[12:13]
	s_wait_dscnt 0x1
	v_mul_f64_e32 v[72:73], v[56:57], v[106:107]
	v_mul_f64_e32 v[76:77], v[58:59], v[106:107]
	v_add_f64_e32 v[4:5], v[4:5], v[74:75]
	v_add_f64_e32 v[8:9], v[8:9], v[70:71]
	s_wait_loadcnt_dscnt 0x100
	v_mul_f64_e32 v[12:13], v[64:65], v[54:55]
	v_mul_f64_e32 v[54:55], v[66:67], v[54:55]
	v_fmac_f64_e32 v[72:73], v[58:59], v[104:105]
	v_fma_f64 v[56:57], v[56:57], v[104:105], -v[76:77]
	v_add_f64_e32 v[4:5], v[4:5], v[10:11]
	v_add_f64_e32 v[58:59], v[8:9], v[68:69]
	ds_load_b128 v[8:11], v2 offset:592
	v_fmac_f64_e32 v[12:13], v[66:67], v[52:53]
	v_fma_f64 v[52:53], v[64:65], v[52:53], -v[54:55]
	s_wait_loadcnt_dscnt 0x0
	v_mul_f64_e32 v[60:61], v[8:9], v[90:91]
	v_mul_f64_e32 v[62:63], v[10:11], v[90:91]
	v_add_f64_e32 v[4:5], v[4:5], v[56:57]
	v_add_f64_e32 v[54:55], v[58:59], v[72:73]
	s_delay_alu instid0(VALU_DEP_4) | instskip(NEXT) | instid1(VALU_DEP_4)
	v_fmac_f64_e32 v[60:61], v[10:11], v[88:89]
	v_fma_f64 v[8:9], v[8:9], v[88:89], -v[62:63]
	s_delay_alu instid0(VALU_DEP_4) | instskip(NEXT) | instid1(VALU_DEP_4)
	v_add_f64_e32 v[4:5], v[4:5], v[52:53]
	v_add_f64_e32 v[10:11], v[54:55], v[12:13]
	s_delay_alu instid0(VALU_DEP_2) | instskip(NEXT) | instid1(VALU_DEP_2)
	v_add_f64_e32 v[4:5], v[4:5], v[8:9]
	v_add_f64_e32 v[10:11], v[10:11], v[60:61]
	s_delay_alu instid0(VALU_DEP_2) | instskip(NEXT) | instid1(VALU_DEP_2)
	v_add_f64_e64 v[8:9], v[96:97], -v[4:5]
	v_add_f64_e64 v[10:11], v[98:99], -v[10:11]
	scratch_store_b128 off, v[8:11], off offset:48
	s_wait_xcnt 0x0
	v_cmpx_lt_u32_e32 2, v1
	s_cbranch_execz .LBB82_123
; %bb.122:
	scratch_load_b128 v[8:11], off, s28
	v_dual_mov_b32 v3, v2 :: v_dual_mov_b32 v4, v2
	v_mov_b32_e32 v5, v2
	scratch_store_b128 off, v[2:5], off offset:32
	s_wait_loadcnt 0x0
	ds_store_b128 v6, v[8:11]
.LBB82_123:
	s_wait_xcnt 0x0
	s_or_b32 exec_lo, exec_lo, s2
	s_wait_storecnt_dscnt 0x0
	s_barrier_signal -1
	s_barrier_wait -1
	s_clause 0x9
	scratch_load_b128 v[8:11], off, off offset:48
	scratch_load_b128 v[52:55], off, off offset:64
	;; [unrolled: 1-line block ×10, first 2 shown]
	ds_load_b128 v[88:91], v2 offset:352
	ds_load_b128 v[92:95], v2 offset:368
	scratch_load_b128 v[96:99], off, off offset:32
	s_mov_b32 s2, exec_lo
	v_ashrrev_i32_e32 v21, 31, v20
	v_ashrrev_i32_e32 v25, 31, v24
	;; [unrolled: 1-line block ×3, first 2 shown]
	v_dual_ashrrev_i32 v33, 31, v32 :: v_dual_ashrrev_i32 v19, 31, v18
	v_dual_ashrrev_i32 v23, 31, v22 :: v_dual_ashrrev_i32 v37, 31, v36
	v_ashrrev_i32_e32 v41, 31, v40
	v_ashrrev_i32_e32 v45, 31, v44
	v_dual_ashrrev_i32 v49, 31, v48 :: v_dual_ashrrev_i32 v27, 31, v26
	v_ashrrev_i32_e32 v31, 31, v30
	v_ashrrev_i32_e32 v35, 31, v34
	;; [unrolled: 1-line block ×6, first 2 shown]
	s_wait_loadcnt_dscnt 0xa01
	v_mul_f64_e32 v[4:5], v[88:89], v[10:11]
	v_mul_f64_e32 v[100:101], v[90:91], v[10:11]
	scratch_load_b128 v[10:13], off, off offset:208
	s_wait_loadcnt_dscnt 0xa00
	v_mul_f64_e32 v[108:109], v[92:93], v[54:55]
	v_mul_f64_e32 v[54:55], v[94:95], v[54:55]
	v_fmac_f64_e32 v[4:5], v[90:91], v[8:9]
	v_fma_f64 v[8:9], v[88:89], v[8:9], -v[100:101]
	scratch_load_b128 v[88:91], off, off offset:224
	ds_load_b128 v[100:103], v2 offset:384
	ds_load_b128 v[104:107], v2 offset:400
	v_fmac_f64_e32 v[108:109], v[94:95], v[52:53]
	v_fma_f64 v[92:93], v[92:93], v[52:53], -v[54:55]
	scratch_load_b128 v[52:55], off, off offset:240
	s_wait_loadcnt_dscnt 0xb01
	v_mul_f64_e32 v[110:111], v[100:101], v[58:59]
	v_mul_f64_e32 v[58:59], v[102:103], v[58:59]
	s_wait_loadcnt_dscnt 0xa00
	v_mul_f64_e32 v[112:113], v[104:105], v[62:63]
	v_mul_f64_e32 v[62:63], v[106:107], v[62:63]
	v_add_f64_e32 v[4:5], 0, v[4:5]
	v_add_f64_e32 v[8:9], 0, v[8:9]
	v_fmac_f64_e32 v[110:111], v[102:103], v[56:57]
	v_fma_f64 v[100:101], v[100:101], v[56:57], -v[58:59]
	scratch_load_b128 v[56:59], off, off offset:256
	v_fmac_f64_e32 v[112:113], v[106:107], v[60:61]
	v_fma_f64 v[104:105], v[104:105], v[60:61], -v[62:63]
	ds_load_b128 v[60:63], v2 offset:432
	v_add_f64_e32 v[4:5], v[4:5], v[108:109]
	v_add_f64_e32 v[8:9], v[8:9], v[92:93]
	ds_load_b128 v[92:95], v2 offset:416
	s_wait_loadcnt_dscnt 0xa00
	v_mul_f64_e32 v[106:107], v[92:93], v[66:67]
	v_mul_f64_e32 v[66:67], v[94:95], v[66:67]
	v_add_f64_e32 v[4:5], v[4:5], v[110:111]
	v_add_f64_e32 v[8:9], v[8:9], v[100:101]
	scratch_load_b128 v[100:103], off, off offset:272
	s_wait_loadcnt 0xa
	v_mul_f64_e32 v[110:111], v[60:61], v[70:71]
	v_mul_f64_e32 v[70:71], v[62:63], v[70:71]
	v_fmac_f64_e32 v[106:107], v[94:95], v[64:65]
	v_fma_f64 v[108:109], v[92:93], v[64:65], -v[66:67]
	scratch_load_b128 v[64:67], off, off offset:288
	ds_load_b128 v[92:95], v2 offset:448
	v_add_f64_e32 v[4:5], v[4:5], v[112:113]
	v_add_f64_e32 v[8:9], v[8:9], v[104:105]
	v_fmac_f64_e32 v[110:111], v[62:63], v[68:69]
	v_fma_f64 v[68:69], v[60:61], v[68:69], -v[70:71]
	ds_load_b128 v[60:63], v2 offset:464
	s_wait_loadcnt_dscnt 0xa01
	v_mul_f64_e32 v[104:105], v[92:93], v[74:75]
	v_mul_f64_e32 v[70:71], v[94:95], v[74:75]
	v_add_f64_e32 v[4:5], v[4:5], v[106:107]
	v_add_f64_e32 v[8:9], v[8:9], v[108:109]
	s_wait_loadcnt_dscnt 0x900
	v_mul_f64_e32 v[106:107], v[60:61], v[78:79]
	v_mul_f64_e32 v[78:79], v[62:63], v[78:79]
	v_fmac_f64_e32 v[104:105], v[94:95], v[72:73]
	v_fma_f64 v[92:93], v[92:93], v[72:73], -v[70:71]
	v_add_f64_e32 v[4:5], v[4:5], v[110:111]
	v_add_f64_e32 v[8:9], v[8:9], v[68:69]
	ds_load_b128 v[68:71], v2 offset:480
	ds_load_b128 v[72:75], v2 offset:496
	v_fmac_f64_e32 v[106:107], v[62:63], v[76:77]
	v_fma_f64 v[60:61], v[60:61], v[76:77], -v[78:79]
	s_wait_loadcnt_dscnt 0x801
	v_mul_f64_e32 v[94:95], v[68:69], v[82:83]
	v_mul_f64_e32 v[82:83], v[70:71], v[82:83]
	s_wait_loadcnt_dscnt 0x700
	v_mul_f64_e32 v[76:77], v[72:73], v[86:87]
	v_mul_f64_e32 v[78:79], v[74:75], v[86:87]
	v_add_f64_e32 v[4:5], v[4:5], v[104:105]
	v_add_f64_e32 v[8:9], v[8:9], v[92:93]
	v_fmac_f64_e32 v[94:95], v[70:71], v[80:81]
	v_fma_f64 v[80:81], v[68:69], v[80:81], -v[82:83]
	v_fmac_f64_e32 v[76:77], v[74:75], v[84:85]
	v_fma_f64 v[72:73], v[72:73], v[84:85], -v[78:79]
	v_add_f64_e32 v[4:5], v[4:5], v[106:107]
	v_add_f64_e32 v[8:9], v[8:9], v[60:61]
	ds_load_b128 v[60:63], v2 offset:512
	ds_load_b128 v[68:71], v2 offset:528
	v_add_f64_e32 v[4:5], v[4:5], v[94:95]
	v_add_f64_e32 v[8:9], v[8:9], v[80:81]
	s_wait_loadcnt_dscnt 0x501
	v_mul_f64_e32 v[82:83], v[60:61], v[12:13]
	v_mul_f64_e32 v[12:13], v[62:63], v[12:13]
	s_delay_alu instid0(VALU_DEP_4) | instskip(NEXT) | instid1(VALU_DEP_4)
	v_add_f64_e32 v[4:5], v[4:5], v[76:77]
	v_add_f64_e32 v[72:73], v[8:9], v[72:73]
	s_wait_loadcnt_dscnt 0x400
	v_mul_f64_e32 v[74:75], v[68:69], v[90:91]
	v_mul_f64_e32 v[78:79], v[70:71], v[90:91]
	v_fmac_f64_e32 v[82:83], v[62:63], v[10:11]
	v_fma_f64 v[12:13], v[60:61], v[10:11], -v[12:13]
	ds_load_b128 v[8:11], v2 offset:544
	ds_load_b128 v[60:63], v2 offset:560
	s_wait_loadcnt_dscnt 0x301
	v_mul_f64_e32 v[76:77], v[8:9], v[54:55]
	v_mul_f64_e32 v[54:55], v[10:11], v[54:55]
	v_fmac_f64_e32 v[74:75], v[70:71], v[88:89]
	v_fma_f64 v[68:69], v[68:69], v[88:89], -v[78:79]
	v_add_f64_e32 v[4:5], v[4:5], v[82:83]
	v_add_f64_e32 v[12:13], v[72:73], v[12:13]
	s_wait_loadcnt_dscnt 0x200
	v_mul_f64_e32 v[70:71], v[60:61], v[58:59]
	v_mul_f64_e32 v[58:59], v[62:63], v[58:59]
	v_fmac_f64_e32 v[76:77], v[10:11], v[52:53]
	v_fma_f64 v[52:53], v[8:9], v[52:53], -v[54:55]
	v_add_f64_e32 v[54:55], v[4:5], v[74:75]
	v_add_f64_e32 v[12:13], v[12:13], v[68:69]
	ds_load_b128 v[8:11], v2 offset:576
	ds_load_b128 v[2:5], v2 offset:592
	v_fmac_f64_e32 v[70:71], v[62:63], v[56:57]
	v_fma_f64 v[56:57], v[60:61], v[56:57], -v[58:59]
	s_wait_loadcnt_dscnt 0x101
	v_mul_f64_e32 v[68:69], v[8:9], v[102:103]
	v_mul_f64_e32 v[72:73], v[10:11], v[102:103]
	v_add_f64_e32 v[12:13], v[12:13], v[52:53]
	v_add_f64_e32 v[52:53], v[54:55], v[76:77]
	s_wait_loadcnt_dscnt 0x0
	v_mul_f64_e32 v[54:55], v[2:3], v[66:67]
	v_mul_f64_e32 v[58:59], v[4:5], v[66:67]
	v_fmac_f64_e32 v[68:69], v[10:11], v[100:101]
	v_fma_f64 v[8:9], v[8:9], v[100:101], -v[72:73]
	v_add_f64_e32 v[10:11], v[12:13], v[56:57]
	v_add_f64_e32 v[12:13], v[52:53], v[70:71]
	v_fmac_f64_e32 v[54:55], v[4:5], v[64:65]
	v_fma_f64 v[2:3], v[2:3], v[64:65], -v[58:59]
	s_delay_alu instid0(VALU_DEP_4) | instskip(NEXT) | instid1(VALU_DEP_4)
	v_add_f64_e32 v[4:5], v[10:11], v[8:9]
	v_add_f64_e32 v[8:9], v[12:13], v[68:69]
	s_delay_alu instid0(VALU_DEP_2) | instskip(NEXT) | instid1(VALU_DEP_2)
	v_add_f64_e32 v[2:3], v[4:5], v[2:3]
	v_add_f64_e32 v[4:5], v[8:9], v[54:55]
	s_delay_alu instid0(VALU_DEP_2) | instskip(NEXT) | instid1(VALU_DEP_2)
	v_add_f64_e64 v[2:3], v[96:97], -v[2:3]
	v_add_f64_e64 v[4:5], v[98:99], -v[4:5]
	scratch_store_b128 off, v[2:5], off offset:32
	s_wait_xcnt 0x0
	v_cmpx_lt_u32_e32 1, v1
	s_cbranch_execz .LBB82_125
; %bb.124:
	scratch_load_b128 v[2:5], off, s29
	v_mov_b32_e32 v8, 0
	s_delay_alu instid0(VALU_DEP_1)
	v_dual_mov_b32 v9, v8 :: v_dual_mov_b32 v10, v8
	v_mov_b32_e32 v11, v8
	scratch_store_b128 off, v[8:11], off offset:16
	s_wait_loadcnt 0x0
	ds_store_b128 v6, v[2:5]
.LBB82_125:
	s_wait_xcnt 0x0
	s_or_b32 exec_lo, exec_lo, s2
	s_wait_storecnt_dscnt 0x0
	s_barrier_signal -1
	s_barrier_wait -1
	s_clause 0x9
	scratch_load_b128 v[8:11], off, off offset:32
	scratch_load_b128 v[52:55], off, off offset:48
	scratch_load_b128 v[56:59], off, off offset:64
	scratch_load_b128 v[60:63], off, off offset:80
	scratch_load_b128 v[64:67], off, off offset:96
	scratch_load_b128 v[68:71], off, off offset:112
	scratch_load_b128 v[72:75], off, off offset:128
	scratch_load_b128 v[76:79], off, off offset:144
	scratch_load_b128 v[80:83], off, off offset:160
	scratch_load_b128 v[84:87], off, off offset:176
	v_mov_b32_e32 v2, 0
	s_clause 0x2
	scratch_load_b128 v[92:95], off, off offset:192
	scratch_load_b128 v[96:99], off, off offset:208
	;; [unrolled: 1-line block ×3, first 2 shown]
	s_mov_b32 s2, exec_lo
	ds_load_b128 v[88:91], v2 offset:336
	s_wait_loadcnt_dscnt 0xc00
	v_mul_f64_e32 v[4:5], v[90:91], v[10:11]
	v_mul_f64_e32 v[104:105], v[88:89], v[10:11]
	ds_load_b128 v[10:13], v2 offset:352
	v_fma_f64 v[4:5], v[88:89], v[8:9], -v[4:5]
	v_fmac_f64_e32 v[104:105], v[90:91], v[8:9]
	ds_load_b128 v[88:91], v2 offset:368
	s_wait_loadcnt_dscnt 0xb01
	v_mul_f64_e32 v[106:107], v[10:11], v[54:55]
	v_mul_f64_e32 v[54:55], v[12:13], v[54:55]
	s_wait_loadcnt_dscnt 0xa00
	v_mul_f64_e32 v[108:109], v[88:89], v[58:59]
	v_mul_f64_e32 v[58:59], v[90:91], v[58:59]
	v_add_f64_e32 v[4:5], 0, v[4:5]
	v_add_f64_e32 v[104:105], 0, v[104:105]
	v_fmac_f64_e32 v[106:107], v[12:13], v[52:53]
	v_fma_f64 v[12:13], v[10:11], v[52:53], -v[54:55]
	ds_load_b128 v[8:11], v2 offset:384
	scratch_load_b128 v[52:55], off, off offset:240
	v_fmac_f64_e32 v[108:109], v[90:91], v[56:57]
	v_fma_f64 v[112:113], v[88:89], v[56:57], -v[58:59]
	ds_load_b128 v[56:59], v2 offset:400
	s_wait_loadcnt_dscnt 0xa01
	v_mul_f64_e32 v[110:111], v[8:9], v[62:63]
	v_mul_f64_e32 v[62:63], v[10:11], v[62:63]
	scratch_load_b128 v[88:91], off, off offset:256
	v_add_f64_e32 v[4:5], v[4:5], v[12:13]
	v_add_f64_e32 v[12:13], v[104:105], v[106:107]
	s_wait_loadcnt_dscnt 0xa00
	v_mul_f64_e32 v[104:105], v[56:57], v[66:67]
	v_mul_f64_e32 v[66:67], v[58:59], v[66:67]
	v_fmac_f64_e32 v[110:111], v[10:11], v[60:61]
	v_fma_f64 v[106:107], v[8:9], v[60:61], -v[62:63]
	ds_load_b128 v[8:11], v2 offset:416
	scratch_load_b128 v[60:63], off, off offset:272
	v_add_f64_e32 v[4:5], v[4:5], v[112:113]
	v_add_f64_e32 v[12:13], v[12:13], v[108:109]
	v_fmac_f64_e32 v[104:105], v[58:59], v[64:65]
	v_fma_f64 v[112:113], v[56:57], v[64:65], -v[66:67]
	ds_load_b128 v[56:59], v2 offset:432
	s_wait_loadcnt_dscnt 0xa01
	v_mul_f64_e32 v[108:109], v[8:9], v[70:71]
	v_mul_f64_e32 v[70:71], v[10:11], v[70:71]
	scratch_load_b128 v[64:67], off, off offset:288
	v_add_f64_e32 v[4:5], v[4:5], v[106:107]
	v_add_f64_e32 v[12:13], v[12:13], v[110:111]
	s_wait_loadcnt_dscnt 0xa00
	v_mul_f64_e32 v[106:107], v[56:57], v[74:75]
	v_mul_f64_e32 v[74:75], v[58:59], v[74:75]
	v_fmac_f64_e32 v[108:109], v[10:11], v[68:69]
	v_fma_f64 v[68:69], v[8:9], v[68:69], -v[70:71]
	ds_load_b128 v[8:11], v2 offset:448
	v_add_f64_e32 v[4:5], v[4:5], v[112:113]
	v_add_f64_e32 v[12:13], v[12:13], v[104:105]
	v_fmac_f64_e32 v[106:107], v[58:59], v[72:73]
	v_fma_f64 v[72:73], v[56:57], v[72:73], -v[74:75]
	ds_load_b128 v[56:59], v2 offset:464
	s_wait_loadcnt_dscnt 0x901
	v_mul_f64_e32 v[104:105], v[8:9], v[78:79]
	v_mul_f64_e32 v[70:71], v[10:11], v[78:79]
	s_wait_loadcnt_dscnt 0x800
	v_mul_f64_e32 v[74:75], v[56:57], v[82:83]
	v_mul_f64_e32 v[78:79], v[58:59], v[82:83]
	v_add_f64_e32 v[4:5], v[4:5], v[68:69]
	v_add_f64_e32 v[12:13], v[12:13], v[108:109]
	v_fmac_f64_e32 v[104:105], v[10:11], v[76:77]
	v_fma_f64 v[76:77], v[8:9], v[76:77], -v[70:71]
	ds_load_b128 v[8:11], v2 offset:480
	scratch_load_b128 v[68:71], off, off offset:16
	v_fmac_f64_e32 v[74:75], v[58:59], v[80:81]
	v_fma_f64 v[78:79], v[56:57], v[80:81], -v[78:79]
	ds_load_b128 v[56:59], v2 offset:496
	s_wait_loadcnt_dscnt 0x801
	v_mul_f64_e32 v[82:83], v[10:11], v[86:87]
	v_add_f64_e32 v[4:5], v[4:5], v[72:73]
	v_add_f64_e32 v[12:13], v[12:13], v[106:107]
	v_mul_f64_e32 v[72:73], v[8:9], v[86:87]
	s_wait_loadcnt_dscnt 0x700
	v_mul_f64_e32 v[80:81], v[58:59], v[94:95]
	v_fma_f64 v[82:83], v[8:9], v[84:85], -v[82:83]
	v_add_f64_e32 v[4:5], v[4:5], v[76:77]
	v_add_f64_e32 v[12:13], v[12:13], v[104:105]
	v_mul_f64_e32 v[76:77], v[56:57], v[94:95]
	v_fmac_f64_e32 v[72:73], v[10:11], v[84:85]
	ds_load_b128 v[8:11], v2 offset:512
	v_fma_f64 v[80:81], v[56:57], v[92:93], -v[80:81]
	v_add_f64_e32 v[4:5], v[4:5], v[78:79]
	v_add_f64_e32 v[12:13], v[12:13], v[74:75]
	v_fmac_f64_e32 v[76:77], v[58:59], v[92:93]
	ds_load_b128 v[56:59], v2 offset:528
	s_wait_loadcnt_dscnt 0x601
	v_mul_f64_e32 v[74:75], v[8:9], v[98:99]
	v_mul_f64_e32 v[78:79], v[10:11], v[98:99]
	v_add_f64_e32 v[4:5], v[4:5], v[82:83]
	v_add_f64_e32 v[12:13], v[12:13], v[72:73]
	s_wait_loadcnt_dscnt 0x500
	v_mul_f64_e32 v[72:73], v[56:57], v[102:103]
	v_mul_f64_e32 v[82:83], v[58:59], v[102:103]
	v_fmac_f64_e32 v[74:75], v[10:11], v[96:97]
	v_fma_f64 v[78:79], v[8:9], v[96:97], -v[78:79]
	ds_load_b128 v[8:11], v2 offset:544
	v_add_f64_e32 v[4:5], v[4:5], v[80:81]
	v_add_f64_e32 v[12:13], v[12:13], v[76:77]
	s_wait_loadcnt_dscnt 0x400
	v_mul_f64_e32 v[76:77], v[8:9], v[54:55]
	v_mul_f64_e32 v[80:81], v[10:11], v[54:55]
	v_fmac_f64_e32 v[72:73], v[58:59], v[100:101]
	v_fma_f64 v[58:59], v[56:57], v[100:101], -v[82:83]
	ds_load_b128 v[54:57], v2 offset:560
	v_add_f64_e32 v[4:5], v[4:5], v[78:79]
	v_add_f64_e32 v[12:13], v[12:13], v[74:75]
	v_fmac_f64_e32 v[76:77], v[10:11], v[52:53]
	v_fma_f64 v[52:53], v[8:9], v[52:53], -v[80:81]
	ds_load_b128 v[8:11], v2 offset:576
	s_wait_loadcnt_dscnt 0x301
	v_mul_f64_e32 v[74:75], v[54:55], v[90:91]
	v_mul_f64_e32 v[78:79], v[56:57], v[90:91]
	v_add_f64_e32 v[4:5], v[4:5], v[58:59]
	v_add_f64_e32 v[12:13], v[12:13], v[72:73]
	s_wait_loadcnt_dscnt 0x200
	v_mul_f64_e32 v[58:59], v[8:9], v[62:63]
	v_mul_f64_e32 v[62:63], v[10:11], v[62:63]
	v_fmac_f64_e32 v[74:75], v[56:57], v[88:89]
	v_fma_f64 v[56:57], v[54:55], v[88:89], -v[78:79]
	v_add_f64_e32 v[4:5], v[4:5], v[52:53]
	v_add_f64_e32 v[12:13], v[12:13], v[76:77]
	ds_load_b128 v[52:55], v2 offset:592
	v_fmac_f64_e32 v[58:59], v[10:11], v[60:61]
	v_fma_f64 v[8:9], v[8:9], v[60:61], -v[62:63]
	s_wait_loadcnt_dscnt 0x100
	v_mul_f64_e32 v[72:73], v[52:53], v[66:67]
	v_mul_f64_e32 v[66:67], v[54:55], v[66:67]
	v_add_f64_e32 v[4:5], v[4:5], v[56:57]
	v_add_f64_e32 v[10:11], v[12:13], v[74:75]
	s_delay_alu instid0(VALU_DEP_4) | instskip(NEXT) | instid1(VALU_DEP_4)
	v_fmac_f64_e32 v[72:73], v[54:55], v[64:65]
	v_fma_f64 v[12:13], v[52:53], v[64:65], -v[66:67]
	s_delay_alu instid0(VALU_DEP_4) | instskip(NEXT) | instid1(VALU_DEP_4)
	v_add_f64_e32 v[4:5], v[4:5], v[8:9]
	v_add_f64_e32 v[8:9], v[10:11], v[58:59]
	s_delay_alu instid0(VALU_DEP_2) | instskip(NEXT) | instid1(VALU_DEP_2)
	v_add_f64_e32 v[4:5], v[4:5], v[12:13]
	v_add_f64_e32 v[10:11], v[8:9], v[72:73]
	s_wait_loadcnt 0x0
	s_delay_alu instid0(VALU_DEP_2) | instskip(NEXT) | instid1(VALU_DEP_2)
	v_add_f64_e64 v[8:9], v[68:69], -v[4:5]
	v_add_f64_e64 v[10:11], v[70:71], -v[10:11]
	scratch_store_b128 off, v[8:11], off offset:16
	s_wait_xcnt 0x0
	v_cmpx_ne_u32_e32 0, v1
	s_cbranch_execz .LBB82_127
; %bb.126:
	scratch_load_b128 v[8:11], off, off
	v_dual_mov_b32 v3, v2 :: v_dual_mov_b32 v4, v2
	v_mov_b32_e32 v5, v2
	scratch_store_b128 off, v[2:5], off
	s_wait_loadcnt 0x0
	ds_store_b128 v6, v[8:11]
.LBB82_127:
	s_wait_xcnt 0x0
	s_or_b32 exec_lo, exec_lo, s2
	s_wait_storecnt_dscnt 0x0
	s_barrier_signal -1
	s_barrier_wait -1
	s_clause 0x9
	scratch_load_b128 v[4:7], off, off offset:16
	scratch_load_b128 v[8:11], off, off offset:32
	;; [unrolled: 1-line block ×10, first 2 shown]
	ds_load_b128 v[84:87], v2 offset:320
	ds_load_b128 v[88:91], v2 offset:336
	s_clause 0x1
	scratch_load_b128 v[92:95], off, off
	scratch_load_b128 v[96:99], off, off offset:176
	v_lshl_add_u64 v[28:29], v[28:29], 4, s[4:5]
	s_and_b32 vcc_lo, exec_lo, s30
	s_wait_loadcnt_dscnt 0xb01
	v_mul_f64_e32 v[100:101], v[86:87], v[6:7]
	v_mul_f64_e32 v[102:103], v[84:85], v[6:7]
	s_wait_loadcnt_dscnt 0xa00
	v_mul_f64_e32 v[104:105], v[88:89], v[10:11]
	v_mul_f64_e32 v[106:107], v[90:91], v[10:11]
	ds_load_b128 v[10:13], v2 offset:352
	v_fma_f64 v[100:101], v[84:85], v[4:5], -v[100:101]
	v_fmac_f64_e32 v[102:103], v[86:87], v[4:5]
	scratch_load_b128 v[4:7], off, off offset:192
	ds_load_b128 v[84:87], v2 offset:368
	s_wait_loadcnt_dscnt 0xa01
	v_mul_f64_e32 v[108:109], v[10:11], v[54:55]
	v_fmac_f64_e32 v[104:105], v[90:91], v[8:9]
	v_fma_f64 v[8:9], v[88:89], v[8:9], -v[106:107]
	v_mul_f64_e32 v[54:55], v[12:13], v[54:55]
	scratch_load_b128 v[88:91], off, off offset:208
	s_wait_loadcnt_dscnt 0xa00
	v_mul_f64_e32 v[106:107], v[84:85], v[58:59]
	v_mul_f64_e32 v[58:59], v[86:87], v[58:59]
	v_add_f64_e32 v[100:101], 0, v[100:101]
	v_add_f64_e32 v[102:103], 0, v[102:103]
	v_fmac_f64_e32 v[108:109], v[12:13], v[52:53]
	v_fma_f64 v[12:13], v[10:11], v[52:53], -v[54:55]
	ds_load_b128 v[52:55], v2 offset:384
	v_fmac_f64_e32 v[106:107], v[86:87], v[56:57]
	v_add_f64_e32 v[100:101], v[100:101], v[8:9]
	scratch_load_b128 v[8:11], off, off offset:224
	v_add_f64_e32 v[102:103], v[102:103], v[104:105]
	v_fma_f64 v[104:105], v[84:85], v[56:57], -v[58:59]
	ds_load_b128 v[56:59], v2 offset:400
	s_wait_loadcnt_dscnt 0xa01
	v_mul_f64_e32 v[110:111], v[52:53], v[62:63]
	v_mul_f64_e32 v[62:63], v[54:55], v[62:63]
	scratch_load_b128 v[84:87], off, off offset:240
	v_add_f64_e32 v[12:13], v[100:101], v[12:13]
	v_add_f64_e32 v[100:101], v[102:103], v[108:109]
	s_wait_loadcnt_dscnt 0xa00
	v_mul_f64_e32 v[102:103], v[56:57], v[66:67]
	v_mul_f64_e32 v[66:67], v[58:59], v[66:67]
	v_fmac_f64_e32 v[110:111], v[54:55], v[60:61]
	v_fma_f64 v[108:109], v[52:53], v[60:61], -v[62:63]
	scratch_load_b128 v[52:55], off, off offset:256
	ds_load_b128 v[60:63], v2 offset:416
	v_add_f64_e32 v[12:13], v[12:13], v[104:105]
	v_add_f64_e32 v[100:101], v[100:101], v[106:107]
	v_fmac_f64_e32 v[102:103], v[58:59], v[64:65]
	v_fma_f64 v[104:105], v[56:57], v[64:65], -v[66:67]
	ds_load_b128 v[56:59], v2 offset:432
	s_wait_loadcnt_dscnt 0xa01
	v_mul_f64_e32 v[106:107], v[60:61], v[70:71]
	v_mul_f64_e32 v[70:71], v[62:63], v[70:71]
	scratch_load_b128 v[64:67], off, off offset:272
	v_add_f64_e32 v[12:13], v[12:13], v[108:109]
	v_add_f64_e32 v[100:101], v[100:101], v[110:111]
	s_wait_loadcnt_dscnt 0xa00
	v_mul_f64_e32 v[110:111], v[56:57], v[74:75]
	v_mul_f64_e32 v[74:75], v[58:59], v[74:75]
	v_fmac_f64_e32 v[106:107], v[62:63], v[68:69]
	v_fma_f64 v[108:109], v[60:61], v[68:69], -v[70:71]
	scratch_load_b128 v[60:63], off, off offset:288
	ds_load_b128 v[68:71], v2 offset:448
	v_add_f64_e32 v[12:13], v[12:13], v[104:105]
	v_add_f64_e32 v[100:101], v[100:101], v[102:103]
	v_fmac_f64_e32 v[110:111], v[58:59], v[72:73]
	v_fma_f64 v[72:73], v[56:57], v[72:73], -v[74:75]
	ds_load_b128 v[56:59], v2 offset:464
	s_wait_loadcnt_dscnt 0xa01
	v_mul_f64_e32 v[102:103], v[68:69], v[78:79]
	v_mul_f64_e32 v[74:75], v[70:71], v[78:79]
	v_add_f64_e32 v[12:13], v[12:13], v[108:109]
	v_add_f64_e32 v[78:79], v[100:101], v[106:107]
	s_wait_loadcnt_dscnt 0x900
	v_mul_f64_e32 v[100:101], v[56:57], v[82:83]
	v_mul_f64_e32 v[82:83], v[58:59], v[82:83]
	v_fmac_f64_e32 v[102:103], v[70:71], v[76:77]
	v_fma_f64 v[76:77], v[68:69], v[76:77], -v[74:75]
	v_add_f64_e32 v[12:13], v[12:13], v[72:73]
	ds_load_b128 v[68:71], v2 offset:480
	ds_load_b128 v[72:75], v2 offset:496
	v_add_f64_e32 v[78:79], v[78:79], v[110:111]
	v_fmac_f64_e32 v[100:101], v[58:59], v[80:81]
	v_fma_f64 v[56:57], v[56:57], v[80:81], -v[82:83]
	s_wait_loadcnt_dscnt 0x701
	v_mul_f64_e32 v[104:105], v[68:69], v[98:99]
	v_mul_f64_e32 v[98:99], v[70:71], v[98:99]
	v_add_f64_e32 v[12:13], v[12:13], v[76:77]
	v_add_f64_e32 v[58:59], v[78:79], v[102:103]
	s_delay_alu instid0(VALU_DEP_4) | instskip(NEXT) | instid1(VALU_DEP_4)
	v_fmac_f64_e32 v[104:105], v[70:71], v[96:97]
	v_fma_f64 v[78:79], v[68:69], v[96:97], -v[98:99]
	s_delay_alu instid0(VALU_DEP_4)
	v_add_f64_e32 v[12:13], v[12:13], v[56:57]
	s_wait_loadcnt_dscnt 0x600
	v_mul_f64_e32 v[76:77], v[72:73], v[6:7]
	v_mul_f64_e32 v[6:7], v[74:75], v[6:7]
	v_add_f64_e32 v[80:81], v[58:59], v[100:101]
	ds_load_b128 v[56:59], v2 offset:512
	ds_load_b128 v[68:71], v2 offset:528
	s_wait_loadcnt_dscnt 0x501
	v_mul_f64_e32 v[82:83], v[56:57], v[90:91]
	v_mul_f64_e32 v[90:91], v[58:59], v[90:91]
	v_fmac_f64_e32 v[76:77], v[74:75], v[4:5]
	v_fma_f64 v[4:5], v[72:73], v[4:5], -v[6:7]
	v_add_f64_e32 v[6:7], v[12:13], v[78:79]
	v_add_f64_e32 v[12:13], v[80:81], v[104:105]
	v_fmac_f64_e32 v[82:83], v[58:59], v[88:89]
	v_fma_f64 v[56:57], v[56:57], v[88:89], -v[90:91]
	s_wait_loadcnt_dscnt 0x400
	v_mul_f64_e32 v[72:73], v[68:69], v[10:11]
	v_mul_f64_e32 v[74:75], v[70:71], v[10:11]
	v_add_f64_e32 v[58:59], v[6:7], v[4:5]
	v_add_f64_e32 v[76:77], v[12:13], v[76:77]
	ds_load_b128 v[4:7], v2 offset:544
	ds_load_b128 v[10:13], v2 offset:560
	s_wait_loadcnt_dscnt 0x301
	v_mul_f64_e32 v[78:79], v[4:5], v[86:87]
	v_mul_f64_e32 v[80:81], v[6:7], v[86:87]
	v_fmac_f64_e32 v[72:73], v[70:71], v[8:9]
	v_fma_f64 v[8:9], v[68:69], v[8:9], -v[74:75]
	v_add_f64_e32 v[56:57], v[58:59], v[56:57]
	v_add_f64_e32 v[58:59], v[76:77], v[82:83]
	s_wait_loadcnt_dscnt 0x200
	v_mul_f64_e32 v[68:69], v[10:11], v[54:55]
	v_mul_f64_e32 v[70:71], v[12:13], v[54:55]
	v_fmac_f64_e32 v[78:79], v[6:7], v[84:85]
	v_fma_f64 v[74:75], v[4:5], v[84:85], -v[80:81]
	v_add_f64_e32 v[8:9], v[56:57], v[8:9]
	v_add_f64_e32 v[58:59], v[58:59], v[72:73]
	ds_load_b128 v[4:7], v2 offset:576
	ds_load_b128 v[54:57], v2 offset:592
	v_fmac_f64_e32 v[68:69], v[12:13], v[52:53]
	v_fma_f64 v[10:11], v[10:11], v[52:53], -v[70:71]
	s_wait_loadcnt_dscnt 0x101
	v_mul_f64_e32 v[2:3], v[4:5], v[66:67]
	v_mul_f64_e32 v[66:67], v[6:7], v[66:67]
	v_add_f64_e32 v[8:9], v[8:9], v[74:75]
	v_add_f64_e32 v[12:13], v[58:59], v[78:79]
	s_wait_loadcnt_dscnt 0x0
	v_mul_f64_e32 v[52:53], v[54:55], v[62:63]
	v_mul_f64_e32 v[58:59], v[56:57], v[62:63]
	v_fmac_f64_e32 v[2:3], v[6:7], v[64:65]
	v_fma_f64 v[4:5], v[4:5], v[64:65], -v[66:67]
	v_add_f64_e32 v[6:7], v[8:9], v[10:11]
	v_add_f64_e32 v[8:9], v[12:13], v[68:69]
	v_lshl_add_u64 v[12:13], v[40:41], 4, s[4:5]
	v_fmac_f64_e32 v[52:53], v[56:57], v[60:61]
	v_fma_f64 v[10:11], v[54:55], v[60:61], -v[58:59]
	v_lshl_add_u64 v[60:61], v[18:19], 4, s[4:5]
	v_lshl_add_u64 v[58:59], v[20:21], 4, s[4:5]
	;; [unrolled: 1-line block ×8, first 2 shown]
	v_add_f64_e32 v[4:5], v[6:7], v[4:5]
	v_add_f64_e32 v[2:3], v[8:9], v[2:3]
	v_lshl_add_u64 v[8:9], v[44:45], 4, s[4:5]
	v_lshl_add_u64 v[6:7], v[46:47], 4, s[4:5]
	s_delay_alu instid0(VALU_DEP_4) | instskip(NEXT) | instid1(VALU_DEP_4)
	v_add_f64_e32 v[4:5], v[4:5], v[10:11]
	v_add_f64_e32 v[2:3], v[2:3], v[52:53]
	v_lshl_add_u64 v[52:53], v[26:27], 4, s[4:5]
	v_lshl_add_u64 v[26:27], v[30:31], 4, s[4:5]
	;; [unrolled: 1-line block ×3, first 2 shown]
	v_add_f64_e64 v[62:63], v[92:93], -v[4:5]
	v_add_f64_e64 v[64:65], v[94:95], -v[2:3]
	v_lshl_add_u64 v[4:5], v[48:49], 4, s[4:5]
	v_lshl_add_u64 v[2:3], v[50:51], 4, s[4:5]
	scratch_store_b128 off, v[62:65], off
	s_cbranch_vccz .LBB82_164
; %bb.128:
	v_mov_b32_e32 v30, 0
	s_load_b64 s[2:3], s[0:1], 0x4
	v_bfe_u32 v32, v0, 10, 10
	v_bfe_u32 v0, v0, 20, 10
	global_load_b32 v31, v30, s[8:9] offset:68
	s_wait_kmcnt 0x0
	s_lshr_b32 s0, s2, 16
	v_mul_u32_u24_e32 v32, s3, v32
	s_mul_i32 s0, s0, s3
	s_delay_alu instid0(SALU_CYCLE_1) | instskip(NEXT) | instid1(VALU_DEP_1)
	v_mul_u32_u24_e32 v1, s0, v1
	v_add3_u32 v0, v1, v32, v0
	s_delay_alu instid0(VALU_DEP_1)
	v_lshl_add_u32 v0, v0, 4, 0x268
	s_wait_loadcnt 0x0
	v_cmp_ne_u32_e32 vcc_lo, 18, v31
	s_cbranch_vccz .LBB82_130
; %bb.129:
	v_lshlrev_b32_e32 v1, 4, v31
	s_clause 0x1
	scratch_load_b128 v[32:35], off, s27
	scratch_load_b128 v[36:39], v1, off offset:-16
	s_wait_loadcnt 0x1
	ds_store_2addr_b64 v0, v[32:33], v[34:35] offset1:1
	s_wait_loadcnt 0x0
	s_clause 0x1
	scratch_store_b128 off, v[36:39], s27
	scratch_store_b128 v1, v[32:35], off offset:-16
.LBB82_130:
	global_load_b32 v1, v30, s[8:9] offset:64
	s_wait_loadcnt 0x0
	v_cmp_eq_u32_e32 vcc_lo, 17, v1
	s_cbranch_vccnz .LBB82_132
; %bb.131:
	v_lshlrev_b32_e32 v1, 4, v1
	s_clause 0x1
	scratch_load_b128 v[30:33], off, s18
	scratch_load_b128 v[34:37], v1, off offset:-16
	s_wait_loadcnt 0x1
	ds_store_2addr_b64 v0, v[30:31], v[32:33] offset1:1
	s_wait_loadcnt 0x0
	s_clause 0x1
	scratch_store_b128 off, v[34:37], s18
	scratch_store_b128 v1, v[30:33], off offset:-16
.LBB82_132:
	s_wait_xcnt 0x0
	v_mov_b32_e32 v1, 0
	global_load_b32 v30, v1, s[8:9] offset:60
	s_wait_loadcnt 0x0
	v_cmp_eq_u32_e32 vcc_lo, 16, v30
	s_cbranch_vccnz .LBB82_134
; %bb.133:
	v_lshlrev_b32_e32 v30, 4, v30
	s_delay_alu instid0(VALU_DEP_1)
	v_mov_b32_e32 v38, v30
	s_clause 0x1
	scratch_load_b128 v[30:33], off, s26
	scratch_load_b128 v[34:37], v38, off offset:-16
	s_wait_loadcnt 0x1
	ds_store_2addr_b64 v0, v[30:31], v[32:33] offset1:1
	s_wait_loadcnt 0x0
	s_clause 0x1
	scratch_store_b128 off, v[34:37], s26
	scratch_store_b128 v38, v[30:33], off offset:-16
.LBB82_134:
	global_load_b32 v1, v1, s[8:9] offset:56
	s_wait_loadcnt 0x0
	v_cmp_eq_u32_e32 vcc_lo, 15, v1
	s_cbranch_vccnz .LBB82_136
; %bb.135:
	s_wait_xcnt 0x0
	v_lshlrev_b32_e32 v1, 4, v1
	s_clause 0x1
	scratch_load_b128 v[30:33], off, s17
	scratch_load_b128 v[34:37], v1, off offset:-16
	s_wait_loadcnt 0x1
	ds_store_2addr_b64 v0, v[30:31], v[32:33] offset1:1
	s_wait_loadcnt 0x0
	s_clause 0x1
	scratch_store_b128 off, v[34:37], s17
	scratch_store_b128 v1, v[30:33], off offset:-16
.LBB82_136:
	s_wait_xcnt 0x0
	v_mov_b32_e32 v1, 0
	global_load_b32 v30, v1, s[8:9] offset:52
	s_wait_loadcnt 0x0
	v_cmp_eq_u32_e32 vcc_lo, 14, v30
	s_cbranch_vccnz .LBB82_138
; %bb.137:
	v_lshlrev_b32_e32 v30, 4, v30
	s_delay_alu instid0(VALU_DEP_1)
	v_mov_b32_e32 v38, v30
	s_clause 0x1
	scratch_load_b128 v[30:33], off, s25
	scratch_load_b128 v[34:37], v38, off offset:-16
	s_wait_loadcnt 0x1
	ds_store_2addr_b64 v0, v[30:31], v[32:33] offset1:1
	s_wait_loadcnt 0x0
	s_clause 0x1
	scratch_store_b128 off, v[34:37], s25
	scratch_store_b128 v38, v[30:33], off offset:-16
.LBB82_138:
	global_load_b32 v1, v1, s[8:9] offset:48
	s_wait_loadcnt 0x0
	v_cmp_eq_u32_e32 vcc_lo, 13, v1
	s_cbranch_vccnz .LBB82_140
; %bb.139:
	s_wait_xcnt 0x0
	v_lshlrev_b32_e32 v1, 4, v1
	s_clause 0x1
	scratch_load_b128 v[30:33], off, s16
	scratch_load_b128 v[34:37], v1, off offset:-16
	s_wait_loadcnt 0x1
	ds_store_2addr_b64 v0, v[30:31], v[32:33] offset1:1
	s_wait_loadcnt 0x0
	s_clause 0x1
	scratch_store_b128 off, v[34:37], s16
	scratch_store_b128 v1, v[30:33], off offset:-16
.LBB82_140:
	;; [unrolled: 37-line block ×7, first 2 shown]
	s_wait_xcnt 0x0
	v_mov_b32_e32 v1, 0
	global_load_b32 v30, v1, s[8:9] offset:4
	s_wait_loadcnt 0x0
	v_cmp_eq_u32_e32 vcc_lo, 2, v30
	s_cbranch_vccnz .LBB82_162
; %bb.161:
	v_lshlrev_b32_e32 v30, 4, v30
	s_delay_alu instid0(VALU_DEP_1)
	v_mov_b32_e32 v38, v30
	s_clause 0x1
	scratch_load_b128 v[30:33], off, s29
	scratch_load_b128 v[34:37], v38, off offset:-16
	s_wait_loadcnt 0x1
	ds_store_2addr_b64 v0, v[30:31], v[32:33] offset1:1
	s_wait_loadcnt 0x0
	s_clause 0x1
	scratch_store_b128 off, v[34:37], s29
	scratch_store_b128 v38, v[30:33], off offset:-16
.LBB82_162:
	global_load_b32 v1, v1, s[8:9]
	s_wait_loadcnt 0x0
	v_cmp_eq_u32_e32 vcc_lo, 1, v1
	s_cbranch_vccnz .LBB82_164
; %bb.163:
	s_wait_xcnt 0x0
	v_lshlrev_b32_e32 v1, 4, v1
	scratch_load_b128 v[30:33], off, off
	scratch_load_b128 v[34:37], v1, off offset:-16
	s_wait_loadcnt 0x1
	ds_store_2addr_b64 v0, v[30:31], v[32:33] offset1:1
	s_wait_loadcnt 0x0
	scratch_store_b128 off, v[34:37], off
	scratch_store_b128 v1, v[30:33], off offset:-16
.LBB82_164:
	scratch_load_b128 v[30:33], off, off
	s_wait_loadcnt 0x0
	flat_store_b128 v[14:15], v[30:33]
	scratch_load_b128 v[30:33], off, s29
	s_wait_loadcnt 0x0
	flat_store_b128 v[16:17], v[30:33]
	scratch_load_b128 v[14:17], off, s28
	;; [unrolled: 3-line block ×18, first 2 shown]
	s_wait_loadcnt 0x0
	flat_store_b128 v[2:3], v[4:7]
	s_sendmsg sendmsg(MSG_DEALLOC_VGPRS)
	s_endpgm
	.section	.rodata,"a",@progbits
	.p2align	6, 0x0
	.amdhsa_kernel _ZN9rocsolver6v33100L18getri_kernel_smallILi19E19rocblas_complex_numIdEPKPS3_EEvT1_iilPiilS8_bb
		.amdhsa_group_segment_fixed_size 1640
		.amdhsa_private_segment_fixed_size 320
		.amdhsa_kernarg_size 60
		.amdhsa_user_sgpr_count 4
		.amdhsa_user_sgpr_dispatch_ptr 1
		.amdhsa_user_sgpr_queue_ptr 0
		.amdhsa_user_sgpr_kernarg_segment_ptr 1
		.amdhsa_user_sgpr_dispatch_id 0
		.amdhsa_user_sgpr_kernarg_preload_length 0
		.amdhsa_user_sgpr_kernarg_preload_offset 0
		.amdhsa_user_sgpr_private_segment_size 0
		.amdhsa_wavefront_size32 1
		.amdhsa_uses_dynamic_stack 0
		.amdhsa_enable_private_segment 1
		.amdhsa_system_sgpr_workgroup_id_x 1
		.amdhsa_system_sgpr_workgroup_id_y 0
		.amdhsa_system_sgpr_workgroup_id_z 0
		.amdhsa_system_sgpr_workgroup_info 0
		.amdhsa_system_vgpr_workitem_id 2
		.amdhsa_next_free_vgpr 120
		.amdhsa_next_free_sgpr 36
		.amdhsa_named_barrier_count 0
		.amdhsa_reserve_vcc 1
		.amdhsa_float_round_mode_32 0
		.amdhsa_float_round_mode_16_64 0
		.amdhsa_float_denorm_mode_32 3
		.amdhsa_float_denorm_mode_16_64 3
		.amdhsa_fp16_overflow 0
		.amdhsa_memory_ordered 1
		.amdhsa_forward_progress 1
		.amdhsa_inst_pref_size 165
		.amdhsa_round_robin_scheduling 0
		.amdhsa_exception_fp_ieee_invalid_op 0
		.amdhsa_exception_fp_denorm_src 0
		.amdhsa_exception_fp_ieee_div_zero 0
		.amdhsa_exception_fp_ieee_overflow 0
		.amdhsa_exception_fp_ieee_underflow 0
		.amdhsa_exception_fp_ieee_inexact 0
		.amdhsa_exception_int_div_zero 0
	.end_amdhsa_kernel
	.section	.text._ZN9rocsolver6v33100L18getri_kernel_smallILi19E19rocblas_complex_numIdEPKPS3_EEvT1_iilPiilS8_bb,"axG",@progbits,_ZN9rocsolver6v33100L18getri_kernel_smallILi19E19rocblas_complex_numIdEPKPS3_EEvT1_iilPiilS8_bb,comdat
.Lfunc_end82:
	.size	_ZN9rocsolver6v33100L18getri_kernel_smallILi19E19rocblas_complex_numIdEPKPS3_EEvT1_iilPiilS8_bb, .Lfunc_end82-_ZN9rocsolver6v33100L18getri_kernel_smallILi19E19rocblas_complex_numIdEPKPS3_EEvT1_iilPiilS8_bb
                                        ; -- End function
	.set _ZN9rocsolver6v33100L18getri_kernel_smallILi19E19rocblas_complex_numIdEPKPS3_EEvT1_iilPiilS8_bb.num_vgpr, 120
	.set _ZN9rocsolver6v33100L18getri_kernel_smallILi19E19rocblas_complex_numIdEPKPS3_EEvT1_iilPiilS8_bb.num_agpr, 0
	.set _ZN9rocsolver6v33100L18getri_kernel_smallILi19E19rocblas_complex_numIdEPKPS3_EEvT1_iilPiilS8_bb.numbered_sgpr, 36
	.set _ZN9rocsolver6v33100L18getri_kernel_smallILi19E19rocblas_complex_numIdEPKPS3_EEvT1_iilPiilS8_bb.num_named_barrier, 0
	.set _ZN9rocsolver6v33100L18getri_kernel_smallILi19E19rocblas_complex_numIdEPKPS3_EEvT1_iilPiilS8_bb.private_seg_size, 320
	.set _ZN9rocsolver6v33100L18getri_kernel_smallILi19E19rocblas_complex_numIdEPKPS3_EEvT1_iilPiilS8_bb.uses_vcc, 1
	.set _ZN9rocsolver6v33100L18getri_kernel_smallILi19E19rocblas_complex_numIdEPKPS3_EEvT1_iilPiilS8_bb.uses_flat_scratch, 1
	.set _ZN9rocsolver6v33100L18getri_kernel_smallILi19E19rocblas_complex_numIdEPKPS3_EEvT1_iilPiilS8_bb.has_dyn_sized_stack, 0
	.set _ZN9rocsolver6v33100L18getri_kernel_smallILi19E19rocblas_complex_numIdEPKPS3_EEvT1_iilPiilS8_bb.has_recursion, 0
	.set _ZN9rocsolver6v33100L18getri_kernel_smallILi19E19rocblas_complex_numIdEPKPS3_EEvT1_iilPiilS8_bb.has_indirect_call, 0
	.section	.AMDGPU.csdata,"",@progbits
; Kernel info:
; codeLenInByte = 21024
; TotalNumSgprs: 38
; NumVgprs: 120
; ScratchSize: 320
; MemoryBound: 0
; FloatMode: 240
; IeeeMode: 1
; LDSByteSize: 1640 bytes/workgroup (compile time only)
; SGPRBlocks: 0
; VGPRBlocks: 7
; NumSGPRsForWavesPerEU: 38
; NumVGPRsForWavesPerEU: 120
; NamedBarCnt: 0
; Occupancy: 8
; WaveLimiterHint : 1
; COMPUTE_PGM_RSRC2:SCRATCH_EN: 1
; COMPUTE_PGM_RSRC2:USER_SGPR: 4
; COMPUTE_PGM_RSRC2:TRAP_HANDLER: 0
; COMPUTE_PGM_RSRC2:TGID_X_EN: 1
; COMPUTE_PGM_RSRC2:TGID_Y_EN: 0
; COMPUTE_PGM_RSRC2:TGID_Z_EN: 0
; COMPUTE_PGM_RSRC2:TIDIG_COMP_CNT: 2
	.section	.text._ZN9rocsolver6v33100L18getri_kernel_smallILi20E19rocblas_complex_numIdEPKPS3_EEvT1_iilPiilS8_bb,"axG",@progbits,_ZN9rocsolver6v33100L18getri_kernel_smallILi20E19rocblas_complex_numIdEPKPS3_EEvT1_iilPiilS8_bb,comdat
	.globl	_ZN9rocsolver6v33100L18getri_kernel_smallILi20E19rocblas_complex_numIdEPKPS3_EEvT1_iilPiilS8_bb ; -- Begin function _ZN9rocsolver6v33100L18getri_kernel_smallILi20E19rocblas_complex_numIdEPKPS3_EEvT1_iilPiilS8_bb
	.p2align	8
	.type	_ZN9rocsolver6v33100L18getri_kernel_smallILi20E19rocblas_complex_numIdEPKPS3_EEvT1_iilPiilS8_bb,@function
_ZN9rocsolver6v33100L18getri_kernel_smallILi20E19rocblas_complex_numIdEPKPS3_EEvT1_iilPiilS8_bb: ; @_ZN9rocsolver6v33100L18getri_kernel_smallILi20E19rocblas_complex_numIdEPKPS3_EEvT1_iilPiilS8_bb
; %bb.0:
	v_and_b32_e32 v1, 0x3ff, v0
	s_mov_b32 s4, exec_lo
	s_delay_alu instid0(VALU_DEP_1)
	v_cmpx_gt_u32_e32 20, v1
	s_cbranch_execz .LBB83_94
; %bb.1:
	s_clause 0x1
	s_load_b32 s16, s[2:3], 0x38
	s_load_b64 s[8:9], s[2:3], 0x0
	s_getreg_b32 s6, hwreg(HW_REG_IB_STS2, 6, 4)
	s_wait_kmcnt 0x0
	s_bitcmp1_b32 s16, 8
	s_cselect_b32 s31, -1, 0
	s_bfe_u32 s4, ttmp6, 0x4000c
	s_and_b32 s5, ttmp6, 15
	s_add_co_i32 s4, s4, 1
	s_delay_alu instid0(SALU_CYCLE_1) | instskip(NEXT) | instid1(SALU_CYCLE_1)
	s_mul_i32 s4, ttmp9, s4
	s_add_co_i32 s5, s5, s4
	s_cmp_eq_u32 s6, 0
	s_cselect_b32 s10, ttmp9, s5
	s_load_b128 s[4:7], s[2:3], 0x28
	s_ashr_i32 s11, s10, 31
	s_delay_alu instid0(SALU_CYCLE_1) | instskip(NEXT) | instid1(SALU_CYCLE_1)
	s_lshl_b64 s[12:13], s[10:11], 3
	s_add_nc_u64 s[8:9], s[8:9], s[12:13]
	s_load_b64 s[14:15], s[8:9], 0x0
	s_wait_xcnt 0x0
	s_bfe_u32 s8, s16, 0x10008
	s_delay_alu instid0(SALU_CYCLE_1)
	s_cmp_eq_u32 s8, 0
                                        ; implicit-def: $sgpr8_sgpr9
	s_cbranch_scc1 .LBB83_3
; %bb.2:
	s_load_b96 s[16:18], s[2:3], 0x18
	s_wait_kmcnt 0x0
	s_mul_u64 s[4:5], s[4:5], s[10:11]
	s_delay_alu instid0(SALU_CYCLE_1) | instskip(SKIP_4) | instid1(SALU_CYCLE_1)
	s_lshl_b64 s[4:5], s[4:5], 2
	s_ashr_i32 s9, s18, 31
	s_mov_b32 s8, s18
	s_add_nc_u64 s[4:5], s[16:17], s[4:5]
	s_lshl_b64 s[8:9], s[8:9], 2
	s_add_nc_u64 s[8:9], s[4:5], s[8:9]
.LBB83_3:
	s_clause 0x1
	s_load_b64 s[12:13], s[2:3], 0x8
	s_load_b32 s33, s[2:3], 0x38
	v_dual_mov_b32 v55, 0 :: v_dual_lshlrev_b32 v54, 4, v1
	s_mov_b32 s30, 16
	s_mov_b32 s29, 32
	;; [unrolled: 1-line block ×4, first 2 shown]
	s_movk_i32 s22, 0x60
	s_movk_i32 s23, 0x80
	;; [unrolled: 1-line block ×11, first 2 shown]
	s_wait_kmcnt 0x0
	s_ashr_i32 s3, s12, 31
	s_mov_b32 s2, s12
	v_add3_u32 v18, s13, s13, v1
	s_lshl_b64 s[2:3], s[2:3], 4
	s_movk_i32 s12, 0x50
	s_add_nc_u64 s[4:5], s[14:15], s[2:3]
	s_ashr_i32 s3, s13, 31
	flat_load_b128 v[2:5], v1, s[4:5] scale_offset
	v_add_nc_u64_e32 v[14:15], s[4:5], v[54:55]
	s_mov_b32 s2, s13
	v_add_nc_u32_e32 v20, s13, v18
	s_movk_i32 s14, 0x90
	s_movk_i32 s15, 0xb0
	s_bitcmp0_b32 s33, 0
	s_delay_alu instid0(VALU_DEP_2) | instskip(SKIP_2) | instid1(VALU_DEP_1)
	v_lshl_add_u64 v[16:17], s[2:3], 4, v[14:15]
	v_add_nc_u32_e32 v22, s13, v20
	s_mov_b32 s3, -1
	v_add_nc_u32_e32 v24, s13, v22
	s_delay_alu instid0(VALU_DEP_1) | instskip(NEXT) | instid1(VALU_DEP_1)
	v_add_nc_u32_e32 v26, s13, v24
	v_add_nc_u32_e32 v28, s13, v26
	s_delay_alu instid0(VALU_DEP_1) | instskip(NEXT) | instid1(VALU_DEP_1)
	v_add_nc_u32_e32 v30, s13, v28
	;; [unrolled: 3-line block ×7, first 2 shown]
	v_add_nc_u32_e32 v52, s13, v50
	s_movk_i32 s13, 0x70
	s_wait_loadcnt_dscnt 0x0
	scratch_store_b128 off, v[2:5], off
	flat_load_b128 v[2:5], v[16:17]
	s_wait_loadcnt_dscnt 0x0
	scratch_store_b128 off, v[2:5], off offset:16
	flat_load_b128 v[2:5], v18, s[4:5] scale_offset
	s_wait_loadcnt_dscnt 0x0
	scratch_store_b128 off, v[2:5], off offset:32
	flat_load_b128 v[2:5], v20, s[4:5] scale_offset
	;; [unrolled: 3-line block ×18, first 2 shown]
	s_wait_loadcnt_dscnt 0x0
	scratch_store_b128 off, v[2:5], off offset:304
	s_cbranch_scc1 .LBB83_92
; %bb.4:
	v_cmp_eq_u32_e64 s2, 0, v1
	s_wait_xcnt 0x0
	s_and_saveexec_b32 s3, s2
; %bb.5:
	v_mov_b32_e32 v2, 0
	ds_store_b32 v2, v2 offset:640
; %bb.6:
	s_or_b32 exec_lo, exec_lo, s3
	s_wait_storecnt_dscnt 0x0
	s_barrier_signal -1
	s_barrier_wait -1
	scratch_load_b128 v[2:5], v1, off scale_offset
	s_wait_loadcnt 0x0
	v_cmp_eq_f64_e32 vcc_lo, 0, v[2:3]
	v_cmp_eq_f64_e64 s3, 0, v[4:5]
	s_and_b32 s3, vcc_lo, s3
	s_delay_alu instid0(SALU_CYCLE_1)
	s_and_saveexec_b32 s33, s3
	s_cbranch_execz .LBB83_10
; %bb.7:
	v_mov_b32_e32 v2, 0
	s_mov_b32 s34, 0
	ds_load_b32 v3, v2 offset:640
	s_wait_dscnt 0x0
	v_readfirstlane_b32 s3, v3
	v_add_nc_u32_e32 v3, 1, v1
	s_cmp_eq_u32 s3, 0
	s_delay_alu instid0(VALU_DEP_1) | instskip(SKIP_1) | instid1(SALU_CYCLE_1)
	v_cmp_gt_i32_e32 vcc_lo, s3, v3
	s_cselect_b32 s35, -1, 0
	s_or_b32 s35, s35, vcc_lo
	s_delay_alu instid0(SALU_CYCLE_1)
	s_and_b32 exec_lo, exec_lo, s35
	s_cbranch_execz .LBB83_10
; %bb.8:
	v_mov_b32_e32 v4, s3
.LBB83_9:                               ; =>This Inner Loop Header: Depth=1
	ds_cmpstore_rtn_b32 v4, v2, v3, v4 offset:640
	s_wait_dscnt 0x0
	v_cmp_ne_u32_e32 vcc_lo, 0, v4
	v_cmp_le_i32_e64 s3, v4, v3
	s_and_b32 s3, vcc_lo, s3
	s_delay_alu instid0(SALU_CYCLE_1) | instskip(NEXT) | instid1(SALU_CYCLE_1)
	s_and_b32 s3, exec_lo, s3
	s_or_b32 s34, s3, s34
	s_delay_alu instid0(SALU_CYCLE_1)
	s_and_not1_b32 exec_lo, exec_lo, s34
	s_cbranch_execnz .LBB83_9
.LBB83_10:
	s_or_b32 exec_lo, exec_lo, s33
	v_mov_b32_e32 v2, 0
	s_barrier_signal -1
	s_barrier_wait -1
	ds_load_b32 v3, v2 offset:640
	s_and_saveexec_b32 s3, s2
	s_cbranch_execz .LBB83_12
; %bb.11:
	s_lshl_b64 s[34:35], s[10:11], 2
	s_delay_alu instid0(SALU_CYCLE_1)
	s_add_nc_u64 s[34:35], s[6:7], s[34:35]
	s_wait_dscnt 0x0
	global_store_b32 v2, v3, s[34:35]
.LBB83_12:
	s_wait_xcnt 0x0
	s_or_b32 exec_lo, exec_lo, s3
	s_wait_dscnt 0x0
	v_cmp_ne_u32_e32 vcc_lo, 0, v3
	s_mov_b32 s3, 0
	s_cbranch_vccnz .LBB83_92
; %bb.13:
	v_lshl_add_u32 v19, v1, 4, 0
                                        ; implicit-def: $vgpr6_vgpr7
                                        ; implicit-def: $vgpr10_vgpr11
	scratch_load_b128 v[2:5], v19, off
	s_wait_loadcnt 0x0
	v_cmp_ngt_f64_e64 s3, |v[2:3]|, |v[4:5]|
	s_wait_xcnt 0x0
	s_and_saveexec_b32 s33, s3
	s_delay_alu instid0(SALU_CYCLE_1)
	s_xor_b32 s3, exec_lo, s33
	s_cbranch_execz .LBB83_15
; %bb.14:
	v_div_scale_f64 v[6:7], null, v[4:5], v[4:5], v[2:3]
	v_div_scale_f64 v[12:13], vcc_lo, v[2:3], v[4:5], v[2:3]
	s_delay_alu instid0(VALU_DEP_2) | instskip(SKIP_1) | instid1(TRANS32_DEP_1)
	v_rcp_f64_e32 v[8:9], v[6:7]
	v_nop
	v_fma_f64 v[10:11], -v[6:7], v[8:9], 1.0
	s_delay_alu instid0(VALU_DEP_1) | instskip(NEXT) | instid1(VALU_DEP_1)
	v_fmac_f64_e32 v[8:9], v[8:9], v[10:11]
	v_fma_f64 v[10:11], -v[6:7], v[8:9], 1.0
	s_delay_alu instid0(VALU_DEP_1) | instskip(NEXT) | instid1(VALU_DEP_1)
	v_fmac_f64_e32 v[8:9], v[8:9], v[10:11]
	v_mul_f64_e32 v[10:11], v[12:13], v[8:9]
	s_delay_alu instid0(VALU_DEP_1) | instskip(NEXT) | instid1(VALU_DEP_1)
	v_fma_f64 v[6:7], -v[6:7], v[10:11], v[12:13]
	v_div_fmas_f64 v[6:7], v[6:7], v[8:9], v[10:11]
	s_delay_alu instid0(VALU_DEP_1) | instskip(NEXT) | instid1(VALU_DEP_1)
	v_div_fixup_f64 v[6:7], v[6:7], v[4:5], v[2:3]
	v_fmac_f64_e32 v[4:5], v[2:3], v[6:7]
	s_delay_alu instid0(VALU_DEP_1) | instskip(SKIP_1) | instid1(VALU_DEP_2)
	v_div_scale_f64 v[2:3], null, v[4:5], v[4:5], 1.0
	v_div_scale_f64 v[12:13], vcc_lo, 1.0, v[4:5], 1.0
	v_rcp_f64_e32 v[8:9], v[2:3]
	v_nop
	s_delay_alu instid0(TRANS32_DEP_1) | instskip(NEXT) | instid1(VALU_DEP_1)
	v_fma_f64 v[10:11], -v[2:3], v[8:9], 1.0
	v_fmac_f64_e32 v[8:9], v[8:9], v[10:11]
	s_delay_alu instid0(VALU_DEP_1) | instskip(NEXT) | instid1(VALU_DEP_1)
	v_fma_f64 v[10:11], -v[2:3], v[8:9], 1.0
	v_fmac_f64_e32 v[8:9], v[8:9], v[10:11]
	s_delay_alu instid0(VALU_DEP_1) | instskip(NEXT) | instid1(VALU_DEP_1)
	v_mul_f64_e32 v[10:11], v[12:13], v[8:9]
	v_fma_f64 v[2:3], -v[2:3], v[10:11], v[12:13]
	s_delay_alu instid0(VALU_DEP_1) | instskip(NEXT) | instid1(VALU_DEP_1)
	v_div_fmas_f64 v[2:3], v[2:3], v[8:9], v[10:11]
	v_div_fixup_f64 v[8:9], v[2:3], v[4:5], 1.0
                                        ; implicit-def: $vgpr2_vgpr3
	s_delay_alu instid0(VALU_DEP_1) | instskip(SKIP_1) | instid1(VALU_DEP_2)
	v_mul_f64_e32 v[6:7], v[6:7], v[8:9]
	v_xor_b32_e32 v9, 0x80000000, v9
	v_xor_b32_e32 v11, 0x80000000, v7
	s_delay_alu instid0(VALU_DEP_3)
	v_mov_b32_e32 v10, v6
.LBB83_15:
	s_and_not1_saveexec_b32 s3, s3
	s_cbranch_execz .LBB83_17
; %bb.16:
	v_div_scale_f64 v[6:7], null, v[2:3], v[2:3], v[4:5]
	v_div_scale_f64 v[12:13], vcc_lo, v[4:5], v[2:3], v[4:5]
	s_delay_alu instid0(VALU_DEP_2) | instskip(SKIP_1) | instid1(TRANS32_DEP_1)
	v_rcp_f64_e32 v[8:9], v[6:7]
	v_nop
	v_fma_f64 v[10:11], -v[6:7], v[8:9], 1.0
	s_delay_alu instid0(VALU_DEP_1) | instskip(NEXT) | instid1(VALU_DEP_1)
	v_fmac_f64_e32 v[8:9], v[8:9], v[10:11]
	v_fma_f64 v[10:11], -v[6:7], v[8:9], 1.0
	s_delay_alu instid0(VALU_DEP_1) | instskip(NEXT) | instid1(VALU_DEP_1)
	v_fmac_f64_e32 v[8:9], v[8:9], v[10:11]
	v_mul_f64_e32 v[10:11], v[12:13], v[8:9]
	s_delay_alu instid0(VALU_DEP_1) | instskip(NEXT) | instid1(VALU_DEP_1)
	v_fma_f64 v[6:7], -v[6:7], v[10:11], v[12:13]
	v_div_fmas_f64 v[6:7], v[6:7], v[8:9], v[10:11]
	s_delay_alu instid0(VALU_DEP_1) | instskip(NEXT) | instid1(VALU_DEP_1)
	v_div_fixup_f64 v[8:9], v[6:7], v[2:3], v[4:5]
	v_fmac_f64_e32 v[2:3], v[4:5], v[8:9]
	s_delay_alu instid0(VALU_DEP_1) | instskip(NEXT) | instid1(VALU_DEP_1)
	v_div_scale_f64 v[4:5], null, v[2:3], v[2:3], 1.0
	v_rcp_f64_e32 v[6:7], v[4:5]
	v_nop
	s_delay_alu instid0(TRANS32_DEP_1) | instskip(NEXT) | instid1(VALU_DEP_1)
	v_fma_f64 v[10:11], -v[4:5], v[6:7], 1.0
	v_fmac_f64_e32 v[6:7], v[6:7], v[10:11]
	s_delay_alu instid0(VALU_DEP_1) | instskip(NEXT) | instid1(VALU_DEP_1)
	v_fma_f64 v[10:11], -v[4:5], v[6:7], 1.0
	v_fmac_f64_e32 v[6:7], v[6:7], v[10:11]
	v_div_scale_f64 v[10:11], vcc_lo, 1.0, v[2:3], 1.0
	s_delay_alu instid0(VALU_DEP_1) | instskip(NEXT) | instid1(VALU_DEP_1)
	v_mul_f64_e32 v[12:13], v[10:11], v[6:7]
	v_fma_f64 v[4:5], -v[4:5], v[12:13], v[10:11]
	s_delay_alu instid0(VALU_DEP_1) | instskip(NEXT) | instid1(VALU_DEP_1)
	v_div_fmas_f64 v[4:5], v[4:5], v[6:7], v[12:13]
	v_div_fixup_f64 v[6:7], v[4:5], v[2:3], 1.0
	s_delay_alu instid0(VALU_DEP_1)
	v_mul_f64_e64 v[8:9], v[8:9], -v[6:7]
	v_xor_b32_e32 v11, 0x80000000, v7
	v_mov_b32_e32 v10, v6
.LBB83_17:
	s_or_b32 exec_lo, exec_lo, s3
	s_clause 0x1
	scratch_store_b128 v19, v[6:9], off
	scratch_load_b128 v[2:5], off, s30
	v_xor_b32_e32 v13, 0x80000000, v9
	v_mov_b32_e32 v12, v8
	s_wait_xcnt 0x1
	v_add_nc_u32_e32 v6, 0x140, v54
	ds_store_b128 v54, v[10:13]
	s_wait_loadcnt 0x0
	ds_store_b128 v54, v[2:5] offset:320
	s_wait_storecnt_dscnt 0x0
	s_barrier_signal -1
	s_barrier_wait -1
	s_wait_xcnt 0x0
	s_and_saveexec_b32 s3, s2
	s_cbranch_execz .LBB83_19
; %bb.18:
	scratch_load_b128 v[2:5], v19, off
	ds_load_b128 v[8:11], v6
	v_mov_b32_e32 v7, 0
	ds_load_b128 v[56:59], v7 offset:16
	s_wait_loadcnt_dscnt 0x1
	v_mul_f64_e32 v[12:13], v[8:9], v[4:5]
	v_mul_f64_e32 v[4:5], v[10:11], v[4:5]
	s_delay_alu instid0(VALU_DEP_2) | instskip(NEXT) | instid1(VALU_DEP_2)
	v_fmac_f64_e32 v[12:13], v[10:11], v[2:3]
	v_fma_f64 v[2:3], v[8:9], v[2:3], -v[4:5]
	s_delay_alu instid0(VALU_DEP_2) | instskip(NEXT) | instid1(VALU_DEP_2)
	v_add_f64_e32 v[8:9], 0, v[12:13]
	v_add_f64_e32 v[2:3], 0, v[2:3]
	s_wait_dscnt 0x0
	s_delay_alu instid0(VALU_DEP_2) | instskip(NEXT) | instid1(VALU_DEP_2)
	v_mul_f64_e32 v[10:11], v[8:9], v[58:59]
	v_mul_f64_e32 v[4:5], v[2:3], v[58:59]
	s_delay_alu instid0(VALU_DEP_2) | instskip(NEXT) | instid1(VALU_DEP_2)
	v_fma_f64 v[2:3], v[2:3], v[56:57], -v[10:11]
	v_fmac_f64_e32 v[4:5], v[8:9], v[56:57]
	scratch_store_b128 off, v[2:5], off offset:16
.LBB83_19:
	s_wait_xcnt 0x0
	s_or_b32 exec_lo, exec_lo, s3
	s_wait_storecnt 0x0
	s_barrier_signal -1
	s_barrier_wait -1
	scratch_load_b128 v[2:5], off, s29
	s_mov_b32 s3, exec_lo
	s_wait_loadcnt 0x0
	ds_store_b128 v6, v[2:5]
	s_wait_dscnt 0x0
	s_barrier_signal -1
	s_barrier_wait -1
	v_cmpx_gt_u32_e32 2, v1
	s_cbranch_execz .LBB83_23
; %bb.20:
	scratch_load_b128 v[2:5], v19, off
	ds_load_b128 v[8:11], v6
	s_wait_loadcnt_dscnt 0x0
	v_mul_f64_e32 v[12:13], v[10:11], v[4:5]
	v_mul_f64_e32 v[56:57], v[8:9], v[4:5]
	s_delay_alu instid0(VALU_DEP_2) | instskip(NEXT) | instid1(VALU_DEP_2)
	v_fma_f64 v[4:5], v[8:9], v[2:3], -v[12:13]
	v_fmac_f64_e32 v[56:57], v[10:11], v[2:3]
	s_delay_alu instid0(VALU_DEP_2) | instskip(NEXT) | instid1(VALU_DEP_2)
	v_add_f64_e32 v[4:5], 0, v[4:5]
	v_add_f64_e32 v[2:3], 0, v[56:57]
	s_and_saveexec_b32 s33, s2
	s_cbranch_execz .LBB83_22
; %bb.21:
	scratch_load_b128 v[8:11], off, off offset:16
	v_mov_b32_e32 v7, 0
	ds_load_b128 v[56:59], v7 offset:336
	s_wait_loadcnt_dscnt 0x0
	v_mul_f64_e32 v[12:13], v[56:57], v[10:11]
	v_mul_f64_e32 v[10:11], v[58:59], v[10:11]
	s_delay_alu instid0(VALU_DEP_2) | instskip(NEXT) | instid1(VALU_DEP_2)
	v_fmac_f64_e32 v[12:13], v[58:59], v[8:9]
	v_fma_f64 v[8:9], v[56:57], v[8:9], -v[10:11]
	s_delay_alu instid0(VALU_DEP_2) | instskip(NEXT) | instid1(VALU_DEP_2)
	v_add_f64_e32 v[2:3], v[2:3], v[12:13]
	v_add_f64_e32 v[4:5], v[4:5], v[8:9]
.LBB83_22:
	s_or_b32 exec_lo, exec_lo, s33
	v_mov_b32_e32 v7, 0
	ds_load_b128 v[8:11], v7 offset:32
	s_wait_dscnt 0x0
	v_mul_f64_e32 v[56:57], v[2:3], v[10:11]
	v_mul_f64_e32 v[12:13], v[4:5], v[10:11]
	s_delay_alu instid0(VALU_DEP_2) | instskip(NEXT) | instid1(VALU_DEP_2)
	v_fma_f64 v[10:11], v[4:5], v[8:9], -v[56:57]
	v_fmac_f64_e32 v[12:13], v[2:3], v[8:9]
	scratch_store_b128 off, v[10:13], off offset:32
.LBB83_23:
	s_wait_xcnt 0x0
	s_or_b32 exec_lo, exec_lo, s3
	s_wait_storecnt 0x0
	s_barrier_signal -1
	s_barrier_wait -1
	scratch_load_b128 v[2:5], off, s20
	v_add_nc_u32_e32 v7, -1, v1
	s_mov_b32 s2, exec_lo
	s_wait_loadcnt 0x0
	ds_store_b128 v6, v[2:5]
	s_wait_dscnt 0x0
	s_barrier_signal -1
	s_barrier_wait -1
	v_cmpx_gt_u32_e32 3, v1
	s_cbranch_execz .LBB83_27
; %bb.24:
	v_dual_mov_b32 v10, v54 :: v_dual_add_nc_u32 v8, -1, v1
	v_mov_b64_e32 v[2:3], 0
	v_mov_b64_e32 v[4:5], 0
	v_add_nc_u32_e32 v9, 0x140, v54
	s_delay_alu instid0(VALU_DEP_4)
	v_or_b32_e32 v10, 8, v10
	s_mov_b32 s3, 0
.LBB83_25:                              ; =>This Inner Loop Header: Depth=1
	scratch_load_b128 v[56:59], v10, off offset:-8
	ds_load_b128 v[60:63], v9
	v_dual_add_nc_u32 v8, 1, v8 :: v_dual_add_nc_u32 v9, 16, v9
	s_wait_xcnt 0x0
	v_add_nc_u32_e32 v10, 16, v10
	s_delay_alu instid0(VALU_DEP_2) | instskip(SKIP_4) | instid1(VALU_DEP_2)
	v_cmp_lt_u32_e32 vcc_lo, 1, v8
	s_or_b32 s3, vcc_lo, s3
	s_wait_loadcnt_dscnt 0x0
	v_mul_f64_e32 v[12:13], v[62:63], v[58:59]
	v_mul_f64_e32 v[58:59], v[60:61], v[58:59]
	v_fma_f64 v[12:13], v[60:61], v[56:57], -v[12:13]
	s_delay_alu instid0(VALU_DEP_2) | instskip(NEXT) | instid1(VALU_DEP_2)
	v_fmac_f64_e32 v[58:59], v[62:63], v[56:57]
	v_add_f64_e32 v[4:5], v[4:5], v[12:13]
	s_delay_alu instid0(VALU_DEP_2)
	v_add_f64_e32 v[2:3], v[2:3], v[58:59]
	s_and_not1_b32 exec_lo, exec_lo, s3
	s_cbranch_execnz .LBB83_25
; %bb.26:
	s_or_b32 exec_lo, exec_lo, s3
	v_mov_b32_e32 v8, 0
	ds_load_b128 v[8:11], v8 offset:48
	s_wait_dscnt 0x0
	v_mul_f64_e32 v[56:57], v[2:3], v[10:11]
	v_mul_f64_e32 v[12:13], v[4:5], v[10:11]
	s_delay_alu instid0(VALU_DEP_2) | instskip(NEXT) | instid1(VALU_DEP_2)
	v_fma_f64 v[10:11], v[4:5], v[8:9], -v[56:57]
	v_fmac_f64_e32 v[12:13], v[2:3], v[8:9]
	scratch_store_b128 off, v[10:13], off offset:48
.LBB83_27:
	s_wait_xcnt 0x0
	s_or_b32 exec_lo, exec_lo, s2
	s_wait_storecnt 0x0
	s_barrier_signal -1
	s_barrier_wait -1
	scratch_load_b128 v[2:5], off, s21
	s_mov_b32 s2, exec_lo
	s_wait_loadcnt 0x0
	ds_store_b128 v6, v[2:5]
	s_wait_dscnt 0x0
	s_barrier_signal -1
	s_barrier_wait -1
	v_cmpx_gt_u32_e32 4, v1
	s_cbranch_execz .LBB83_31
; %bb.28:
	v_dual_mov_b32 v10, v54 :: v_dual_add_nc_u32 v8, -1, v1
	v_mov_b64_e32 v[2:3], 0
	v_mov_b64_e32 v[4:5], 0
	v_add_nc_u32_e32 v9, 0x140, v54
	s_delay_alu instid0(VALU_DEP_4)
	v_or_b32_e32 v10, 8, v10
	s_mov_b32 s3, 0
.LBB83_29:                              ; =>This Inner Loop Header: Depth=1
	scratch_load_b128 v[56:59], v10, off offset:-8
	ds_load_b128 v[60:63], v9
	v_dual_add_nc_u32 v8, 1, v8 :: v_dual_add_nc_u32 v9, 16, v9
	s_wait_xcnt 0x0
	v_add_nc_u32_e32 v10, 16, v10
	s_delay_alu instid0(VALU_DEP_2) | instskip(SKIP_4) | instid1(VALU_DEP_2)
	v_cmp_lt_u32_e32 vcc_lo, 2, v8
	s_or_b32 s3, vcc_lo, s3
	s_wait_loadcnt_dscnt 0x0
	v_mul_f64_e32 v[12:13], v[62:63], v[58:59]
	v_mul_f64_e32 v[58:59], v[60:61], v[58:59]
	v_fma_f64 v[12:13], v[60:61], v[56:57], -v[12:13]
	s_delay_alu instid0(VALU_DEP_2) | instskip(NEXT) | instid1(VALU_DEP_2)
	v_fmac_f64_e32 v[58:59], v[62:63], v[56:57]
	v_add_f64_e32 v[4:5], v[4:5], v[12:13]
	s_delay_alu instid0(VALU_DEP_2)
	v_add_f64_e32 v[2:3], v[2:3], v[58:59]
	s_and_not1_b32 exec_lo, exec_lo, s3
	s_cbranch_execnz .LBB83_29
; %bb.30:
	s_or_b32 exec_lo, exec_lo, s3
	v_mov_b32_e32 v8, 0
	ds_load_b128 v[8:11], v8 offset:64
	s_wait_dscnt 0x0
	v_mul_f64_e32 v[56:57], v[2:3], v[10:11]
	v_mul_f64_e32 v[12:13], v[4:5], v[10:11]
	s_delay_alu instid0(VALU_DEP_2) | instskip(NEXT) | instid1(VALU_DEP_2)
	v_fma_f64 v[10:11], v[4:5], v[8:9], -v[56:57]
	v_fmac_f64_e32 v[12:13], v[2:3], v[8:9]
	scratch_store_b128 off, v[10:13], off offset:64
.LBB83_31:
	s_wait_xcnt 0x0
	s_or_b32 exec_lo, exec_lo, s2
	s_wait_storecnt 0x0
	s_barrier_signal -1
	s_barrier_wait -1
	scratch_load_b128 v[2:5], off, s12
	;; [unrolled: 54-line block ×16, first 2 shown]
	s_mov_b32 s2, exec_lo
	s_wait_loadcnt 0x0
	ds_store_b128 v6, v[2:5]
	s_wait_dscnt 0x0
	s_barrier_signal -1
	s_barrier_wait -1
	v_cmpx_ne_u32_e32 19, v1
	s_cbranch_execz .LBB83_91
; %bb.88:
	v_mov_b32_e32 v8, v54
	v_mov_b64_e32 v[2:3], 0
	v_mov_b64_e32 v[4:5], 0
	s_mov_b32 s3, 0
	s_delay_alu instid0(VALU_DEP_3)
	v_or_b32_e32 v8, 8, v8
.LBB83_89:                              ; =>This Inner Loop Header: Depth=1
	scratch_load_b128 v[10:13], v8, off offset:-8
	ds_load_b128 v[54:57], v6
	v_dual_add_nc_u32 v7, 1, v7 :: v_dual_add_nc_u32 v6, 16, v6
	s_wait_xcnt 0x0
	v_add_nc_u32_e32 v8, 16, v8
	s_delay_alu instid0(VALU_DEP_2) | instskip(SKIP_4) | instid1(VALU_DEP_2)
	v_cmp_lt_u32_e32 vcc_lo, 17, v7
	s_or_b32 s3, vcc_lo, s3
	s_wait_loadcnt_dscnt 0x0
	v_mul_f64_e32 v[58:59], v[56:57], v[12:13]
	v_mul_f64_e32 v[12:13], v[54:55], v[12:13]
	v_fma_f64 v[54:55], v[54:55], v[10:11], -v[58:59]
	s_delay_alu instid0(VALU_DEP_2) | instskip(NEXT) | instid1(VALU_DEP_2)
	v_fmac_f64_e32 v[12:13], v[56:57], v[10:11]
	v_add_f64_e32 v[4:5], v[4:5], v[54:55]
	s_delay_alu instid0(VALU_DEP_2)
	v_add_f64_e32 v[2:3], v[2:3], v[12:13]
	s_and_not1_b32 exec_lo, exec_lo, s3
	s_cbranch_execnz .LBB83_89
; %bb.90:
	s_or_b32 exec_lo, exec_lo, s3
	v_mov_b32_e32 v6, 0
	ds_load_b128 v[6:9], v6 offset:304
	s_wait_dscnt 0x0
	v_mul_f64_e32 v[12:13], v[2:3], v[8:9]
	v_mul_f64_e32 v[10:11], v[4:5], v[8:9]
	s_delay_alu instid0(VALU_DEP_2) | instskip(NEXT) | instid1(VALU_DEP_2)
	v_fma_f64 v[8:9], v[4:5], v[6:7], -v[12:13]
	v_fmac_f64_e32 v[10:11], v[2:3], v[6:7]
	scratch_store_b128 off, v[8:11], off offset:304
.LBB83_91:
	s_wait_xcnt 0x0
	s_or_b32 exec_lo, exec_lo, s2
	s_mov_b32 s3, -1
	s_wait_storecnt 0x0
	s_barrier_signal -1
	s_barrier_wait -1
.LBB83_92:
	s_and_b32 vcc_lo, exec_lo, s3
	s_cbranch_vccz .LBB83_94
; %bb.93:
	s_wait_xcnt 0x0
	v_mov_b32_e32 v2, 0
	s_lshl_b64 s[2:3], s[10:11], 2
	s_delay_alu instid0(SALU_CYCLE_1)
	s_add_nc_u64 s[2:3], s[6:7], s[2:3]
	global_load_b32 v2, v2, s[2:3]
	s_wait_loadcnt 0x0
	v_cmp_ne_u32_e32 vcc_lo, 0, v2
	s_cbranch_vccz .LBB83_95
.LBB83_94:
	s_sendmsg sendmsg(MSG_DEALLOC_VGPRS)
	s_endpgm
.LBB83_95:
	v_lshl_add_u32 v6, v1, 4, 0x140
	s_wait_xcnt 0x0
	s_mov_b32 s2, exec_lo
	v_cmpx_eq_u32_e32 19, v1
	s_cbranch_execz .LBB83_97
; %bb.96:
	scratch_load_b128 v[2:5], off, s28
	v_mov_b32_e32 v8, 0
	s_delay_alu instid0(VALU_DEP_1)
	v_dual_mov_b32 v9, v8 :: v_dual_mov_b32 v10, v8
	v_mov_b32_e32 v11, v8
	scratch_store_b128 off, v[8:11], off offset:288
	s_wait_loadcnt 0x0
	ds_store_b128 v6, v[2:5]
.LBB83_97:
	s_wait_xcnt 0x0
	s_or_b32 exec_lo, exec_lo, s2
	s_wait_storecnt_dscnt 0x0
	s_barrier_signal -1
	s_barrier_wait -1
	s_clause 0x1
	scratch_load_b128 v[8:11], off, off offset:304
	scratch_load_b128 v[54:57], off, off offset:288
	v_mov_b32_e32 v2, 0
	s_mov_b32 s2, exec_lo
	ds_load_b128 v[58:61], v2 offset:624
	s_wait_loadcnt_dscnt 0x100
	v_mul_f64_e32 v[4:5], v[60:61], v[10:11]
	v_mul_f64_e32 v[10:11], v[58:59], v[10:11]
	s_delay_alu instid0(VALU_DEP_2) | instskip(NEXT) | instid1(VALU_DEP_2)
	v_fma_f64 v[4:5], v[58:59], v[8:9], -v[4:5]
	v_fmac_f64_e32 v[10:11], v[60:61], v[8:9]
	s_delay_alu instid0(VALU_DEP_2) | instskip(NEXT) | instid1(VALU_DEP_2)
	v_add_f64_e32 v[4:5], 0, v[4:5]
	v_add_f64_e32 v[10:11], 0, v[10:11]
	s_wait_loadcnt 0x0
	s_delay_alu instid0(VALU_DEP_2) | instskip(NEXT) | instid1(VALU_DEP_2)
	v_add_f64_e64 v[8:9], v[54:55], -v[4:5]
	v_add_f64_e64 v[10:11], v[56:57], -v[10:11]
	scratch_store_b128 off, v[8:11], off offset:288
	s_wait_xcnt 0x0
	v_cmpx_lt_u32_e32 17, v1
	s_cbranch_execz .LBB83_99
; %bb.98:
	scratch_load_b128 v[8:11], off, s18
	v_dual_mov_b32 v3, v2 :: v_dual_mov_b32 v4, v2
	v_mov_b32_e32 v5, v2
	scratch_store_b128 off, v[2:5], off offset:272
	s_wait_loadcnt 0x0
	ds_store_b128 v6, v[8:11]
.LBB83_99:
	s_wait_xcnt 0x0
	s_or_b32 exec_lo, exec_lo, s2
	s_wait_storecnt_dscnt 0x0
	s_barrier_signal -1
	s_barrier_wait -1
	s_clause 0x2
	scratch_load_b128 v[8:11], off, off offset:288
	scratch_load_b128 v[54:57], off, off offset:304
	;; [unrolled: 1-line block ×3, first 2 shown]
	ds_load_b128 v[62:65], v2 offset:608
	ds_load_b128 v[2:5], v2 offset:624
	s_mov_b32 s2, exec_lo
	s_wait_loadcnt_dscnt 0x201
	v_mul_f64_e32 v[12:13], v[64:65], v[10:11]
	v_mul_f64_e32 v[10:11], v[62:63], v[10:11]
	s_wait_loadcnt_dscnt 0x100
	v_mul_f64_e32 v[66:67], v[2:3], v[56:57]
	v_mul_f64_e32 v[56:57], v[4:5], v[56:57]
	s_delay_alu instid0(VALU_DEP_4) | instskip(NEXT) | instid1(VALU_DEP_4)
	v_fma_f64 v[12:13], v[62:63], v[8:9], -v[12:13]
	v_fmac_f64_e32 v[10:11], v[64:65], v[8:9]
	s_delay_alu instid0(VALU_DEP_4) | instskip(NEXT) | instid1(VALU_DEP_4)
	v_fmac_f64_e32 v[66:67], v[4:5], v[54:55]
	v_fma_f64 v[2:3], v[2:3], v[54:55], -v[56:57]
	s_delay_alu instid0(VALU_DEP_4) | instskip(NEXT) | instid1(VALU_DEP_4)
	v_add_f64_e32 v[4:5], 0, v[12:13]
	v_add_f64_e32 v[8:9], 0, v[10:11]
	s_delay_alu instid0(VALU_DEP_2) | instskip(NEXT) | instid1(VALU_DEP_2)
	v_add_f64_e32 v[2:3], v[4:5], v[2:3]
	v_add_f64_e32 v[4:5], v[8:9], v[66:67]
	s_wait_loadcnt 0x0
	s_delay_alu instid0(VALU_DEP_2) | instskip(NEXT) | instid1(VALU_DEP_2)
	v_add_f64_e64 v[2:3], v[58:59], -v[2:3]
	v_add_f64_e64 v[4:5], v[60:61], -v[4:5]
	scratch_store_b128 off, v[2:5], off offset:272
	s_wait_xcnt 0x0
	v_cmpx_lt_u32_e32 16, v1
	s_cbranch_execz .LBB83_101
; %bb.100:
	scratch_load_b128 v[2:5], off, s27
	v_mov_b32_e32 v8, 0
	s_delay_alu instid0(VALU_DEP_1)
	v_dual_mov_b32 v9, v8 :: v_dual_mov_b32 v10, v8
	v_mov_b32_e32 v11, v8
	scratch_store_b128 off, v[8:11], off offset:256
	s_wait_loadcnt 0x0
	ds_store_b128 v6, v[2:5]
.LBB83_101:
	s_wait_xcnt 0x0
	s_or_b32 exec_lo, exec_lo, s2
	s_wait_storecnt_dscnt 0x0
	s_barrier_signal -1
	s_barrier_wait -1
	s_clause 0x3
	scratch_load_b128 v[8:11], off, off offset:272
	scratch_load_b128 v[54:57], off, off offset:288
	;; [unrolled: 1-line block ×4, first 2 shown]
	v_mov_b32_e32 v2, 0
	ds_load_b128 v[66:69], v2 offset:592
	ds_load_b128 v[70:73], v2 offset:608
	s_mov_b32 s2, exec_lo
	s_wait_loadcnt_dscnt 0x301
	v_mul_f64_e32 v[4:5], v[68:69], v[10:11]
	v_mul_f64_e32 v[12:13], v[66:67], v[10:11]
	s_wait_loadcnt_dscnt 0x200
	v_mul_f64_e32 v[74:75], v[70:71], v[56:57]
	v_mul_f64_e32 v[56:57], v[72:73], v[56:57]
	s_delay_alu instid0(VALU_DEP_4) | instskip(NEXT) | instid1(VALU_DEP_4)
	v_fma_f64 v[4:5], v[66:67], v[8:9], -v[4:5]
	v_fmac_f64_e32 v[12:13], v[68:69], v[8:9]
	ds_load_b128 v[8:11], v2 offset:624
	v_fmac_f64_e32 v[74:75], v[72:73], v[54:55]
	v_fma_f64 v[54:55], v[70:71], v[54:55], -v[56:57]
	s_wait_loadcnt_dscnt 0x100
	v_mul_f64_e32 v[66:67], v[8:9], v[60:61]
	v_mul_f64_e32 v[60:61], v[10:11], v[60:61]
	v_add_f64_e32 v[4:5], 0, v[4:5]
	v_add_f64_e32 v[12:13], 0, v[12:13]
	s_delay_alu instid0(VALU_DEP_4) | instskip(NEXT) | instid1(VALU_DEP_4)
	v_fmac_f64_e32 v[66:67], v[10:11], v[58:59]
	v_fma_f64 v[8:9], v[8:9], v[58:59], -v[60:61]
	s_delay_alu instid0(VALU_DEP_4) | instskip(NEXT) | instid1(VALU_DEP_4)
	v_add_f64_e32 v[4:5], v[4:5], v[54:55]
	v_add_f64_e32 v[10:11], v[12:13], v[74:75]
	s_delay_alu instid0(VALU_DEP_2) | instskip(NEXT) | instid1(VALU_DEP_2)
	v_add_f64_e32 v[4:5], v[4:5], v[8:9]
	v_add_f64_e32 v[10:11], v[10:11], v[66:67]
	s_wait_loadcnt 0x0
	s_delay_alu instid0(VALU_DEP_2) | instskip(NEXT) | instid1(VALU_DEP_2)
	v_add_f64_e64 v[8:9], v[62:63], -v[4:5]
	v_add_f64_e64 v[10:11], v[64:65], -v[10:11]
	scratch_store_b128 off, v[8:11], off offset:256
	s_wait_xcnt 0x0
	v_cmpx_lt_u32_e32 15, v1
	s_cbranch_execz .LBB83_103
; %bb.102:
	scratch_load_b128 v[8:11], off, s17
	v_dual_mov_b32 v3, v2 :: v_dual_mov_b32 v4, v2
	v_mov_b32_e32 v5, v2
	scratch_store_b128 off, v[2:5], off offset:240
	s_wait_loadcnt 0x0
	ds_store_b128 v6, v[8:11]
.LBB83_103:
	s_wait_xcnt 0x0
	s_or_b32 exec_lo, exec_lo, s2
	s_wait_storecnt_dscnt 0x0
	s_barrier_signal -1
	s_barrier_wait -1
	s_clause 0x4
	scratch_load_b128 v[8:11], off, off offset:256
	scratch_load_b128 v[54:57], off, off offset:272
	;; [unrolled: 1-line block ×5, first 2 shown]
	ds_load_b128 v[70:73], v2 offset:576
	ds_load_b128 v[74:77], v2 offset:592
	s_mov_b32 s2, exec_lo
	s_wait_loadcnt_dscnt 0x401
	v_mul_f64_e32 v[4:5], v[72:73], v[10:11]
	v_mul_f64_e32 v[12:13], v[70:71], v[10:11]
	s_wait_loadcnt_dscnt 0x300
	v_mul_f64_e32 v[78:79], v[74:75], v[56:57]
	v_mul_f64_e32 v[56:57], v[76:77], v[56:57]
	s_delay_alu instid0(VALU_DEP_4) | instskip(NEXT) | instid1(VALU_DEP_4)
	v_fma_f64 v[70:71], v[70:71], v[8:9], -v[4:5]
	v_fmac_f64_e32 v[12:13], v[72:73], v[8:9]
	ds_load_b128 v[8:11], v2 offset:608
	ds_load_b128 v[2:5], v2 offset:624
	v_fmac_f64_e32 v[78:79], v[76:77], v[54:55]
	v_fma_f64 v[54:55], v[74:75], v[54:55], -v[56:57]
	s_wait_loadcnt_dscnt 0x201
	v_mul_f64_e32 v[72:73], v[8:9], v[60:61]
	v_mul_f64_e32 v[60:61], v[10:11], v[60:61]
	v_add_f64_e32 v[56:57], 0, v[70:71]
	v_add_f64_e32 v[12:13], 0, v[12:13]
	s_wait_loadcnt_dscnt 0x100
	v_mul_f64_e32 v[70:71], v[2:3], v[64:65]
	v_mul_f64_e32 v[64:65], v[4:5], v[64:65]
	v_fmac_f64_e32 v[72:73], v[10:11], v[58:59]
	v_fma_f64 v[8:9], v[8:9], v[58:59], -v[60:61]
	v_add_f64_e32 v[10:11], v[56:57], v[54:55]
	v_add_f64_e32 v[12:13], v[12:13], v[78:79]
	v_fmac_f64_e32 v[70:71], v[4:5], v[62:63]
	v_fma_f64 v[2:3], v[2:3], v[62:63], -v[64:65]
	s_delay_alu instid0(VALU_DEP_4) | instskip(NEXT) | instid1(VALU_DEP_4)
	v_add_f64_e32 v[4:5], v[10:11], v[8:9]
	v_add_f64_e32 v[8:9], v[12:13], v[72:73]
	s_delay_alu instid0(VALU_DEP_2) | instskip(NEXT) | instid1(VALU_DEP_2)
	v_add_f64_e32 v[2:3], v[4:5], v[2:3]
	v_add_f64_e32 v[4:5], v[8:9], v[70:71]
	s_wait_loadcnt 0x0
	s_delay_alu instid0(VALU_DEP_2) | instskip(NEXT) | instid1(VALU_DEP_2)
	v_add_f64_e64 v[2:3], v[66:67], -v[2:3]
	v_add_f64_e64 v[4:5], v[68:69], -v[4:5]
	scratch_store_b128 off, v[2:5], off offset:240
	s_wait_xcnt 0x0
	v_cmpx_lt_u32_e32 14, v1
	s_cbranch_execz .LBB83_105
; %bb.104:
	scratch_load_b128 v[2:5], off, s26
	v_mov_b32_e32 v8, 0
	s_delay_alu instid0(VALU_DEP_1)
	v_dual_mov_b32 v9, v8 :: v_dual_mov_b32 v10, v8
	v_mov_b32_e32 v11, v8
	scratch_store_b128 off, v[8:11], off offset:224
	s_wait_loadcnt 0x0
	ds_store_b128 v6, v[2:5]
.LBB83_105:
	s_wait_xcnt 0x0
	s_or_b32 exec_lo, exec_lo, s2
	s_wait_storecnt_dscnt 0x0
	s_barrier_signal -1
	s_barrier_wait -1
	s_clause 0x5
	scratch_load_b128 v[8:11], off, off offset:240
	scratch_load_b128 v[54:57], off, off offset:256
	;; [unrolled: 1-line block ×6, first 2 shown]
	v_mov_b32_e32 v2, 0
	ds_load_b128 v[74:77], v2 offset:560
	ds_load_b128 v[78:81], v2 offset:576
	s_mov_b32 s2, exec_lo
	s_wait_loadcnt_dscnt 0x501
	v_mul_f64_e32 v[4:5], v[76:77], v[10:11]
	v_mul_f64_e32 v[12:13], v[74:75], v[10:11]
	s_wait_loadcnt_dscnt 0x400
	v_mul_f64_e32 v[82:83], v[78:79], v[56:57]
	v_mul_f64_e32 v[56:57], v[80:81], v[56:57]
	s_delay_alu instid0(VALU_DEP_4) | instskip(NEXT) | instid1(VALU_DEP_4)
	v_fma_f64 v[4:5], v[74:75], v[8:9], -v[4:5]
	v_fmac_f64_e32 v[12:13], v[76:77], v[8:9]
	ds_load_b128 v[8:11], v2 offset:592
	ds_load_b128 v[74:77], v2 offset:608
	v_fmac_f64_e32 v[82:83], v[80:81], v[54:55]
	v_fma_f64 v[54:55], v[78:79], v[54:55], -v[56:57]
	s_wait_loadcnt_dscnt 0x301
	v_mul_f64_e32 v[84:85], v[8:9], v[60:61]
	v_mul_f64_e32 v[60:61], v[10:11], v[60:61]
	s_wait_loadcnt_dscnt 0x200
	v_mul_f64_e32 v[56:57], v[74:75], v[64:65]
	v_mul_f64_e32 v[64:65], v[76:77], v[64:65]
	v_add_f64_e32 v[4:5], 0, v[4:5]
	v_add_f64_e32 v[12:13], 0, v[12:13]
	v_fmac_f64_e32 v[84:85], v[10:11], v[58:59]
	v_fma_f64 v[58:59], v[8:9], v[58:59], -v[60:61]
	ds_load_b128 v[8:11], v2 offset:624
	v_fmac_f64_e32 v[56:57], v[76:77], v[62:63]
	v_fma_f64 v[62:63], v[74:75], v[62:63], -v[64:65]
	v_add_f64_e32 v[4:5], v[4:5], v[54:55]
	v_add_f64_e32 v[12:13], v[12:13], v[82:83]
	s_wait_loadcnt_dscnt 0x100
	v_mul_f64_e32 v[54:55], v[8:9], v[68:69]
	v_mul_f64_e32 v[60:61], v[10:11], v[68:69]
	s_delay_alu instid0(VALU_DEP_4) | instskip(NEXT) | instid1(VALU_DEP_4)
	v_add_f64_e32 v[4:5], v[4:5], v[58:59]
	v_add_f64_e32 v[12:13], v[12:13], v[84:85]
	s_delay_alu instid0(VALU_DEP_4) | instskip(NEXT) | instid1(VALU_DEP_4)
	v_fmac_f64_e32 v[54:55], v[10:11], v[66:67]
	v_fma_f64 v[8:9], v[8:9], v[66:67], -v[60:61]
	s_delay_alu instid0(VALU_DEP_4) | instskip(NEXT) | instid1(VALU_DEP_4)
	v_add_f64_e32 v[4:5], v[4:5], v[62:63]
	v_add_f64_e32 v[10:11], v[12:13], v[56:57]
	s_delay_alu instid0(VALU_DEP_2) | instskip(NEXT) | instid1(VALU_DEP_2)
	v_add_f64_e32 v[4:5], v[4:5], v[8:9]
	v_add_f64_e32 v[10:11], v[10:11], v[54:55]
	s_wait_loadcnt 0x0
	s_delay_alu instid0(VALU_DEP_2) | instskip(NEXT) | instid1(VALU_DEP_2)
	v_add_f64_e64 v[8:9], v[70:71], -v[4:5]
	v_add_f64_e64 v[10:11], v[72:73], -v[10:11]
	scratch_store_b128 off, v[8:11], off offset:224
	s_wait_xcnt 0x0
	v_cmpx_lt_u32_e32 13, v1
	s_cbranch_execz .LBB83_107
; %bb.106:
	scratch_load_b128 v[8:11], off, s16
	v_dual_mov_b32 v3, v2 :: v_dual_mov_b32 v4, v2
	v_mov_b32_e32 v5, v2
	scratch_store_b128 off, v[2:5], off offset:208
	s_wait_loadcnt 0x0
	ds_store_b128 v6, v[8:11]
.LBB83_107:
	s_wait_xcnt 0x0
	s_or_b32 exec_lo, exec_lo, s2
	s_wait_storecnt_dscnt 0x0
	s_barrier_signal -1
	s_barrier_wait -1
	s_clause 0x6
	scratch_load_b128 v[8:11], off, off offset:224
	scratch_load_b128 v[54:57], off, off offset:240
	;; [unrolled: 1-line block ×7, first 2 shown]
	ds_load_b128 v[78:81], v2 offset:544
	ds_load_b128 v[82:85], v2 offset:560
	s_mov_b32 s2, exec_lo
	s_wait_loadcnt_dscnt 0x601
	v_mul_f64_e32 v[4:5], v[80:81], v[10:11]
	v_mul_f64_e32 v[12:13], v[78:79], v[10:11]
	s_wait_loadcnt_dscnt 0x500
	v_mul_f64_e32 v[86:87], v[82:83], v[56:57]
	v_mul_f64_e32 v[56:57], v[84:85], v[56:57]
	s_delay_alu instid0(VALU_DEP_4) | instskip(NEXT) | instid1(VALU_DEP_4)
	v_fma_f64 v[4:5], v[78:79], v[8:9], -v[4:5]
	v_fmac_f64_e32 v[12:13], v[80:81], v[8:9]
	ds_load_b128 v[8:11], v2 offset:576
	ds_load_b128 v[78:81], v2 offset:592
	v_fmac_f64_e32 v[86:87], v[84:85], v[54:55]
	v_fma_f64 v[54:55], v[82:83], v[54:55], -v[56:57]
	s_wait_loadcnt_dscnt 0x401
	v_mul_f64_e32 v[88:89], v[8:9], v[60:61]
	v_mul_f64_e32 v[60:61], v[10:11], v[60:61]
	s_wait_loadcnt_dscnt 0x300
	v_mul_f64_e32 v[56:57], v[78:79], v[64:65]
	v_mul_f64_e32 v[64:65], v[80:81], v[64:65]
	v_add_f64_e32 v[4:5], 0, v[4:5]
	v_add_f64_e32 v[12:13], 0, v[12:13]
	v_fmac_f64_e32 v[88:89], v[10:11], v[58:59]
	v_fma_f64 v[58:59], v[8:9], v[58:59], -v[60:61]
	v_fmac_f64_e32 v[56:57], v[80:81], v[62:63]
	v_fma_f64 v[62:63], v[78:79], v[62:63], -v[64:65]
	v_add_f64_e32 v[54:55], v[4:5], v[54:55]
	v_add_f64_e32 v[12:13], v[12:13], v[86:87]
	ds_load_b128 v[8:11], v2 offset:608
	ds_load_b128 v[2:5], v2 offset:624
	s_wait_loadcnt_dscnt 0x201
	v_mul_f64_e32 v[60:61], v[8:9], v[68:69]
	v_mul_f64_e32 v[68:69], v[10:11], v[68:69]
	s_wait_loadcnt_dscnt 0x100
	v_mul_f64_e32 v[64:65], v[4:5], v[72:73]
	v_add_f64_e32 v[54:55], v[54:55], v[58:59]
	v_add_f64_e32 v[12:13], v[12:13], v[88:89]
	v_mul_f64_e32 v[58:59], v[2:3], v[72:73]
	v_fmac_f64_e32 v[60:61], v[10:11], v[66:67]
	v_fma_f64 v[8:9], v[8:9], v[66:67], -v[68:69]
	v_fma_f64 v[2:3], v[2:3], v[70:71], -v[64:65]
	v_add_f64_e32 v[10:11], v[54:55], v[62:63]
	v_add_f64_e32 v[12:13], v[12:13], v[56:57]
	v_fmac_f64_e32 v[58:59], v[4:5], v[70:71]
	s_delay_alu instid0(VALU_DEP_3) | instskip(NEXT) | instid1(VALU_DEP_3)
	v_add_f64_e32 v[4:5], v[10:11], v[8:9]
	v_add_f64_e32 v[8:9], v[12:13], v[60:61]
	s_delay_alu instid0(VALU_DEP_2) | instskip(NEXT) | instid1(VALU_DEP_2)
	v_add_f64_e32 v[2:3], v[4:5], v[2:3]
	v_add_f64_e32 v[4:5], v[8:9], v[58:59]
	s_wait_loadcnt 0x0
	s_delay_alu instid0(VALU_DEP_2) | instskip(NEXT) | instid1(VALU_DEP_2)
	v_add_f64_e64 v[2:3], v[74:75], -v[2:3]
	v_add_f64_e64 v[4:5], v[76:77], -v[4:5]
	scratch_store_b128 off, v[2:5], off offset:208
	s_wait_xcnt 0x0
	v_cmpx_lt_u32_e32 12, v1
	s_cbranch_execz .LBB83_109
; %bb.108:
	scratch_load_b128 v[2:5], off, s25
	v_mov_b32_e32 v8, 0
	s_delay_alu instid0(VALU_DEP_1)
	v_dual_mov_b32 v9, v8 :: v_dual_mov_b32 v10, v8
	v_mov_b32_e32 v11, v8
	scratch_store_b128 off, v[8:11], off offset:192
	s_wait_loadcnt 0x0
	ds_store_b128 v6, v[2:5]
.LBB83_109:
	s_wait_xcnt 0x0
	s_or_b32 exec_lo, exec_lo, s2
	s_wait_storecnt_dscnt 0x0
	s_barrier_signal -1
	s_barrier_wait -1
	s_clause 0x7
	scratch_load_b128 v[8:11], off, off offset:208
	scratch_load_b128 v[54:57], off, off offset:224
	;; [unrolled: 1-line block ×8, first 2 shown]
	v_mov_b32_e32 v2, 0
	ds_load_b128 v[82:85], v2 offset:528
	ds_load_b128 v[86:89], v2 offset:544
	s_mov_b32 s2, exec_lo
	s_wait_loadcnt_dscnt 0x701
	v_mul_f64_e32 v[4:5], v[84:85], v[10:11]
	v_mul_f64_e32 v[12:13], v[82:83], v[10:11]
	s_wait_loadcnt_dscnt 0x600
	v_mul_f64_e32 v[90:91], v[86:87], v[56:57]
	v_mul_f64_e32 v[56:57], v[88:89], v[56:57]
	s_delay_alu instid0(VALU_DEP_4) | instskip(NEXT) | instid1(VALU_DEP_4)
	v_fma_f64 v[4:5], v[82:83], v[8:9], -v[4:5]
	v_fmac_f64_e32 v[12:13], v[84:85], v[8:9]
	ds_load_b128 v[8:11], v2 offset:560
	ds_load_b128 v[82:85], v2 offset:576
	v_fmac_f64_e32 v[90:91], v[88:89], v[54:55]
	v_fma_f64 v[54:55], v[86:87], v[54:55], -v[56:57]
	s_wait_loadcnt_dscnt 0x501
	v_mul_f64_e32 v[92:93], v[8:9], v[60:61]
	v_mul_f64_e32 v[60:61], v[10:11], v[60:61]
	s_wait_loadcnt_dscnt 0x400
	v_mul_f64_e32 v[86:87], v[82:83], v[64:65]
	v_mul_f64_e32 v[64:65], v[84:85], v[64:65]
	v_add_f64_e32 v[4:5], 0, v[4:5]
	v_add_f64_e32 v[12:13], 0, v[12:13]
	v_fmac_f64_e32 v[92:93], v[10:11], v[58:59]
	v_fma_f64 v[58:59], v[8:9], v[58:59], -v[60:61]
	v_fmac_f64_e32 v[86:87], v[84:85], v[62:63]
	v_fma_f64 v[62:63], v[82:83], v[62:63], -v[64:65]
	v_add_f64_e32 v[4:5], v[4:5], v[54:55]
	v_add_f64_e32 v[12:13], v[12:13], v[90:91]
	ds_load_b128 v[8:11], v2 offset:592
	ds_load_b128 v[54:57], v2 offset:608
	s_wait_loadcnt_dscnt 0x301
	v_mul_f64_e32 v[60:61], v[8:9], v[68:69]
	v_mul_f64_e32 v[68:69], v[10:11], v[68:69]
	s_wait_loadcnt_dscnt 0x200
	v_mul_f64_e32 v[64:65], v[56:57], v[72:73]
	v_add_f64_e32 v[4:5], v[4:5], v[58:59]
	v_add_f64_e32 v[12:13], v[12:13], v[92:93]
	v_mul_f64_e32 v[58:59], v[54:55], v[72:73]
	v_fmac_f64_e32 v[60:61], v[10:11], v[66:67]
	v_fma_f64 v[66:67], v[8:9], v[66:67], -v[68:69]
	ds_load_b128 v[8:11], v2 offset:624
	v_fma_f64 v[54:55], v[54:55], v[70:71], -v[64:65]
	v_add_f64_e32 v[4:5], v[4:5], v[62:63]
	v_add_f64_e32 v[12:13], v[12:13], v[86:87]
	v_fmac_f64_e32 v[58:59], v[56:57], v[70:71]
	s_wait_loadcnt_dscnt 0x100
	v_mul_f64_e32 v[62:63], v[8:9], v[76:77]
	v_mul_f64_e32 v[68:69], v[10:11], v[76:77]
	v_add_f64_e32 v[4:5], v[4:5], v[66:67]
	v_add_f64_e32 v[12:13], v[12:13], v[60:61]
	s_delay_alu instid0(VALU_DEP_4) | instskip(NEXT) | instid1(VALU_DEP_4)
	v_fmac_f64_e32 v[62:63], v[10:11], v[74:75]
	v_fma_f64 v[8:9], v[8:9], v[74:75], -v[68:69]
	s_delay_alu instid0(VALU_DEP_4) | instskip(NEXT) | instid1(VALU_DEP_4)
	v_add_f64_e32 v[4:5], v[4:5], v[54:55]
	v_add_f64_e32 v[10:11], v[12:13], v[58:59]
	s_delay_alu instid0(VALU_DEP_2) | instskip(NEXT) | instid1(VALU_DEP_2)
	v_add_f64_e32 v[4:5], v[4:5], v[8:9]
	v_add_f64_e32 v[10:11], v[10:11], v[62:63]
	s_wait_loadcnt 0x0
	s_delay_alu instid0(VALU_DEP_2) | instskip(NEXT) | instid1(VALU_DEP_2)
	v_add_f64_e64 v[8:9], v[78:79], -v[4:5]
	v_add_f64_e64 v[10:11], v[80:81], -v[10:11]
	scratch_store_b128 off, v[8:11], off offset:192
	s_wait_xcnt 0x0
	v_cmpx_lt_u32_e32 11, v1
	s_cbranch_execz .LBB83_111
; %bb.110:
	scratch_load_b128 v[8:11], off, s15
	v_dual_mov_b32 v3, v2 :: v_dual_mov_b32 v4, v2
	v_mov_b32_e32 v5, v2
	scratch_store_b128 off, v[2:5], off offset:176
	s_wait_loadcnt 0x0
	ds_store_b128 v6, v[8:11]
.LBB83_111:
	s_wait_xcnt 0x0
	s_or_b32 exec_lo, exec_lo, s2
	s_wait_storecnt_dscnt 0x0
	s_barrier_signal -1
	s_barrier_wait -1
	s_clause 0x7
	scratch_load_b128 v[8:11], off, off offset:192
	scratch_load_b128 v[54:57], off, off offset:208
	;; [unrolled: 1-line block ×8, first 2 shown]
	ds_load_b128 v[82:85], v2 offset:512
	ds_load_b128 v[86:89], v2 offset:528
	scratch_load_b128 v[90:93], off, off offset:176
	s_mov_b32 s2, exec_lo
	s_wait_loadcnt_dscnt 0x801
	v_mul_f64_e32 v[4:5], v[84:85], v[10:11]
	v_mul_f64_e32 v[12:13], v[82:83], v[10:11]
	s_wait_loadcnt_dscnt 0x700
	v_mul_f64_e32 v[94:95], v[86:87], v[56:57]
	v_mul_f64_e32 v[56:57], v[88:89], v[56:57]
	s_delay_alu instid0(VALU_DEP_4) | instskip(NEXT) | instid1(VALU_DEP_4)
	v_fma_f64 v[4:5], v[82:83], v[8:9], -v[4:5]
	v_fmac_f64_e32 v[12:13], v[84:85], v[8:9]
	ds_load_b128 v[8:11], v2 offset:544
	ds_load_b128 v[82:85], v2 offset:560
	v_fmac_f64_e32 v[94:95], v[88:89], v[54:55]
	v_fma_f64 v[54:55], v[86:87], v[54:55], -v[56:57]
	s_wait_loadcnt_dscnt 0x601
	v_mul_f64_e32 v[96:97], v[8:9], v[60:61]
	v_mul_f64_e32 v[60:61], v[10:11], v[60:61]
	s_wait_loadcnt_dscnt 0x500
	v_mul_f64_e32 v[86:87], v[82:83], v[64:65]
	v_mul_f64_e32 v[64:65], v[84:85], v[64:65]
	v_add_f64_e32 v[4:5], 0, v[4:5]
	v_add_f64_e32 v[12:13], 0, v[12:13]
	v_fmac_f64_e32 v[96:97], v[10:11], v[58:59]
	v_fma_f64 v[58:59], v[8:9], v[58:59], -v[60:61]
	v_fmac_f64_e32 v[86:87], v[84:85], v[62:63]
	v_fma_f64 v[62:63], v[82:83], v[62:63], -v[64:65]
	v_add_f64_e32 v[4:5], v[4:5], v[54:55]
	v_add_f64_e32 v[12:13], v[12:13], v[94:95]
	ds_load_b128 v[8:11], v2 offset:576
	ds_load_b128 v[54:57], v2 offset:592
	s_wait_loadcnt_dscnt 0x401
	v_mul_f64_e32 v[60:61], v[8:9], v[68:69]
	v_mul_f64_e32 v[68:69], v[10:11], v[68:69]
	s_wait_loadcnt_dscnt 0x300
	v_mul_f64_e32 v[64:65], v[56:57], v[72:73]
	v_add_f64_e32 v[4:5], v[4:5], v[58:59]
	v_add_f64_e32 v[12:13], v[12:13], v[96:97]
	v_mul_f64_e32 v[58:59], v[54:55], v[72:73]
	v_fmac_f64_e32 v[60:61], v[10:11], v[66:67]
	v_fma_f64 v[66:67], v[8:9], v[66:67], -v[68:69]
	v_fma_f64 v[54:55], v[54:55], v[70:71], -v[64:65]
	v_add_f64_e32 v[62:63], v[4:5], v[62:63]
	v_add_f64_e32 v[12:13], v[12:13], v[86:87]
	ds_load_b128 v[8:11], v2 offset:608
	ds_load_b128 v[2:5], v2 offset:624
	v_fmac_f64_e32 v[58:59], v[56:57], v[70:71]
	s_wait_loadcnt_dscnt 0x201
	v_mul_f64_e32 v[68:69], v[8:9], v[76:77]
	v_mul_f64_e32 v[72:73], v[10:11], v[76:77]
	v_add_f64_e32 v[56:57], v[62:63], v[66:67]
	v_add_f64_e32 v[12:13], v[12:13], v[60:61]
	s_wait_loadcnt_dscnt 0x100
	v_mul_f64_e32 v[60:61], v[2:3], v[80:81]
	v_mul_f64_e32 v[62:63], v[4:5], v[80:81]
	v_fmac_f64_e32 v[68:69], v[10:11], v[74:75]
	v_fma_f64 v[8:9], v[8:9], v[74:75], -v[72:73]
	v_add_f64_e32 v[10:11], v[56:57], v[54:55]
	v_add_f64_e32 v[12:13], v[12:13], v[58:59]
	v_fmac_f64_e32 v[60:61], v[4:5], v[78:79]
	v_fma_f64 v[2:3], v[2:3], v[78:79], -v[62:63]
	s_delay_alu instid0(VALU_DEP_4) | instskip(NEXT) | instid1(VALU_DEP_4)
	v_add_f64_e32 v[4:5], v[10:11], v[8:9]
	v_add_f64_e32 v[8:9], v[12:13], v[68:69]
	s_delay_alu instid0(VALU_DEP_2) | instskip(NEXT) | instid1(VALU_DEP_2)
	v_add_f64_e32 v[2:3], v[4:5], v[2:3]
	v_add_f64_e32 v[4:5], v[8:9], v[60:61]
	s_wait_loadcnt 0x0
	s_delay_alu instid0(VALU_DEP_2) | instskip(NEXT) | instid1(VALU_DEP_2)
	v_add_f64_e64 v[2:3], v[90:91], -v[2:3]
	v_add_f64_e64 v[4:5], v[92:93], -v[4:5]
	scratch_store_b128 off, v[2:5], off offset:176
	s_wait_xcnt 0x0
	v_cmpx_lt_u32_e32 10, v1
	s_cbranch_execz .LBB83_113
; %bb.112:
	scratch_load_b128 v[2:5], off, s24
	v_mov_b32_e32 v8, 0
	s_delay_alu instid0(VALU_DEP_1)
	v_dual_mov_b32 v9, v8 :: v_dual_mov_b32 v10, v8
	v_mov_b32_e32 v11, v8
	scratch_store_b128 off, v[8:11], off offset:160
	s_wait_loadcnt 0x0
	ds_store_b128 v6, v[2:5]
.LBB83_113:
	s_wait_xcnt 0x0
	s_or_b32 exec_lo, exec_lo, s2
	s_wait_storecnt_dscnt 0x0
	s_barrier_signal -1
	s_barrier_wait -1
	s_clause 0x8
	scratch_load_b128 v[8:11], off, off offset:176
	scratch_load_b128 v[54:57], off, off offset:192
	;; [unrolled: 1-line block ×9, first 2 shown]
	v_mov_b32_e32 v2, 0
	scratch_load_b128 v[90:93], off, off offset:160
	s_mov_b32 s2, exec_lo
	ds_load_b128 v[86:89], v2 offset:496
	ds_load_b128 v[94:97], v2 offset:512
	s_wait_loadcnt_dscnt 0x901
	v_mul_f64_e32 v[4:5], v[88:89], v[10:11]
	v_mul_f64_e32 v[12:13], v[86:87], v[10:11]
	s_wait_loadcnt_dscnt 0x800
	v_mul_f64_e32 v[98:99], v[94:95], v[56:57]
	v_mul_f64_e32 v[56:57], v[96:97], v[56:57]
	s_delay_alu instid0(VALU_DEP_4) | instskip(NEXT) | instid1(VALU_DEP_4)
	v_fma_f64 v[4:5], v[86:87], v[8:9], -v[4:5]
	v_fmac_f64_e32 v[12:13], v[88:89], v[8:9]
	ds_load_b128 v[8:11], v2 offset:528
	ds_load_b128 v[86:89], v2 offset:544
	v_fmac_f64_e32 v[98:99], v[96:97], v[54:55]
	v_fma_f64 v[54:55], v[94:95], v[54:55], -v[56:57]
	s_wait_loadcnt_dscnt 0x701
	v_mul_f64_e32 v[100:101], v[8:9], v[60:61]
	v_mul_f64_e32 v[60:61], v[10:11], v[60:61]
	s_wait_loadcnt_dscnt 0x600
	v_mul_f64_e32 v[94:95], v[86:87], v[64:65]
	v_mul_f64_e32 v[64:65], v[88:89], v[64:65]
	v_add_f64_e32 v[4:5], 0, v[4:5]
	v_add_f64_e32 v[12:13], 0, v[12:13]
	v_fmac_f64_e32 v[100:101], v[10:11], v[58:59]
	v_fma_f64 v[58:59], v[8:9], v[58:59], -v[60:61]
	v_fmac_f64_e32 v[94:95], v[88:89], v[62:63]
	v_fma_f64 v[62:63], v[86:87], v[62:63], -v[64:65]
	v_add_f64_e32 v[4:5], v[4:5], v[54:55]
	v_add_f64_e32 v[12:13], v[12:13], v[98:99]
	ds_load_b128 v[8:11], v2 offset:560
	ds_load_b128 v[54:57], v2 offset:576
	s_wait_loadcnt_dscnt 0x501
	v_mul_f64_e32 v[96:97], v[8:9], v[68:69]
	v_mul_f64_e32 v[60:61], v[10:11], v[68:69]
	s_wait_loadcnt_dscnt 0x400
	v_mul_f64_e32 v[64:65], v[54:55], v[72:73]
	v_mul_f64_e32 v[68:69], v[56:57], v[72:73]
	v_add_f64_e32 v[4:5], v[4:5], v[58:59]
	v_add_f64_e32 v[12:13], v[12:13], v[100:101]
	v_fmac_f64_e32 v[96:97], v[10:11], v[66:67]
	v_fma_f64 v[66:67], v[8:9], v[66:67], -v[60:61]
	ds_load_b128 v[8:11], v2 offset:592
	ds_load_b128 v[58:61], v2 offset:608
	v_fmac_f64_e32 v[64:65], v[56:57], v[70:71]
	v_fma_f64 v[54:55], v[54:55], v[70:71], -v[68:69]
	v_add_f64_e32 v[4:5], v[4:5], v[62:63]
	v_add_f64_e32 v[12:13], v[12:13], v[94:95]
	s_wait_loadcnt_dscnt 0x301
	v_mul_f64_e32 v[62:63], v[8:9], v[76:77]
	v_mul_f64_e32 v[72:73], v[10:11], v[76:77]
	s_wait_loadcnt_dscnt 0x200
	v_mul_f64_e32 v[56:57], v[58:59], v[80:81]
	v_add_f64_e32 v[4:5], v[4:5], v[66:67]
	v_add_f64_e32 v[12:13], v[12:13], v[96:97]
	v_mul_f64_e32 v[66:67], v[60:61], v[80:81]
	v_fmac_f64_e32 v[62:63], v[10:11], v[74:75]
	v_fma_f64 v[68:69], v[8:9], v[74:75], -v[72:73]
	ds_load_b128 v[8:11], v2 offset:624
	v_fmac_f64_e32 v[56:57], v[60:61], v[78:79]
	v_add_f64_e32 v[4:5], v[4:5], v[54:55]
	v_add_f64_e32 v[12:13], v[12:13], v[64:65]
	s_wait_loadcnt_dscnt 0x100
	v_mul_f64_e32 v[54:55], v[8:9], v[84:85]
	v_mul_f64_e32 v[64:65], v[10:11], v[84:85]
	v_fma_f64 v[58:59], v[58:59], v[78:79], -v[66:67]
	v_add_f64_e32 v[4:5], v[4:5], v[68:69]
	v_add_f64_e32 v[12:13], v[12:13], v[62:63]
	v_fmac_f64_e32 v[54:55], v[10:11], v[82:83]
	v_fma_f64 v[8:9], v[8:9], v[82:83], -v[64:65]
	s_delay_alu instid0(VALU_DEP_4) | instskip(NEXT) | instid1(VALU_DEP_4)
	v_add_f64_e32 v[4:5], v[4:5], v[58:59]
	v_add_f64_e32 v[10:11], v[12:13], v[56:57]
	s_delay_alu instid0(VALU_DEP_2) | instskip(NEXT) | instid1(VALU_DEP_2)
	v_add_f64_e32 v[4:5], v[4:5], v[8:9]
	v_add_f64_e32 v[10:11], v[10:11], v[54:55]
	s_wait_loadcnt 0x0
	s_delay_alu instid0(VALU_DEP_2) | instskip(NEXT) | instid1(VALU_DEP_2)
	v_add_f64_e64 v[8:9], v[90:91], -v[4:5]
	v_add_f64_e64 v[10:11], v[92:93], -v[10:11]
	scratch_store_b128 off, v[8:11], off offset:160
	s_wait_xcnt 0x0
	v_cmpx_lt_u32_e32 9, v1
	s_cbranch_execz .LBB83_115
; %bb.114:
	scratch_load_b128 v[8:11], off, s14
	v_dual_mov_b32 v3, v2 :: v_dual_mov_b32 v4, v2
	v_mov_b32_e32 v5, v2
	scratch_store_b128 off, v[2:5], off offset:144
	s_wait_loadcnt 0x0
	ds_store_b128 v6, v[8:11]
.LBB83_115:
	s_wait_xcnt 0x0
	s_or_b32 exec_lo, exec_lo, s2
	s_wait_storecnt_dscnt 0x0
	s_barrier_signal -1
	s_barrier_wait -1
	s_clause 0x9
	scratch_load_b128 v[8:11], off, off offset:160
	scratch_load_b128 v[54:57], off, off offset:176
	;; [unrolled: 1-line block ×10, first 2 shown]
	ds_load_b128 v[90:93], v2 offset:480
	ds_load_b128 v[94:97], v2 offset:496
	scratch_load_b128 v[98:101], off, off offset:144
	s_mov_b32 s2, exec_lo
	s_wait_loadcnt_dscnt 0xa01
	v_mul_f64_e32 v[4:5], v[92:93], v[10:11]
	v_mul_f64_e32 v[12:13], v[90:91], v[10:11]
	s_wait_loadcnt_dscnt 0x900
	v_mul_f64_e32 v[102:103], v[94:95], v[56:57]
	v_mul_f64_e32 v[56:57], v[96:97], v[56:57]
	s_delay_alu instid0(VALU_DEP_4) | instskip(NEXT) | instid1(VALU_DEP_4)
	v_fma_f64 v[4:5], v[90:91], v[8:9], -v[4:5]
	v_fmac_f64_e32 v[12:13], v[92:93], v[8:9]
	ds_load_b128 v[8:11], v2 offset:512
	ds_load_b128 v[90:93], v2 offset:528
	v_fmac_f64_e32 v[102:103], v[96:97], v[54:55]
	v_fma_f64 v[54:55], v[94:95], v[54:55], -v[56:57]
	s_wait_loadcnt_dscnt 0x801
	v_mul_f64_e32 v[104:105], v[8:9], v[60:61]
	v_mul_f64_e32 v[60:61], v[10:11], v[60:61]
	s_wait_loadcnt_dscnt 0x700
	v_mul_f64_e32 v[94:95], v[90:91], v[64:65]
	v_mul_f64_e32 v[64:65], v[92:93], v[64:65]
	v_add_f64_e32 v[4:5], 0, v[4:5]
	v_add_f64_e32 v[12:13], 0, v[12:13]
	v_fmac_f64_e32 v[104:105], v[10:11], v[58:59]
	v_fma_f64 v[58:59], v[8:9], v[58:59], -v[60:61]
	v_fmac_f64_e32 v[94:95], v[92:93], v[62:63]
	v_fma_f64 v[62:63], v[90:91], v[62:63], -v[64:65]
	v_add_f64_e32 v[4:5], v[4:5], v[54:55]
	v_add_f64_e32 v[12:13], v[12:13], v[102:103]
	ds_load_b128 v[8:11], v2 offset:544
	ds_load_b128 v[54:57], v2 offset:560
	s_wait_loadcnt_dscnt 0x601
	v_mul_f64_e32 v[96:97], v[8:9], v[68:69]
	v_mul_f64_e32 v[60:61], v[10:11], v[68:69]
	s_wait_loadcnt_dscnt 0x500
	v_mul_f64_e32 v[64:65], v[54:55], v[72:73]
	v_mul_f64_e32 v[68:69], v[56:57], v[72:73]
	v_add_f64_e32 v[4:5], v[4:5], v[58:59]
	v_add_f64_e32 v[12:13], v[12:13], v[104:105]
	v_fmac_f64_e32 v[96:97], v[10:11], v[66:67]
	v_fma_f64 v[66:67], v[8:9], v[66:67], -v[60:61]
	ds_load_b128 v[8:11], v2 offset:576
	ds_load_b128 v[58:61], v2 offset:592
	v_fmac_f64_e32 v[64:65], v[56:57], v[70:71]
	v_fma_f64 v[54:55], v[54:55], v[70:71], -v[68:69]
	v_add_f64_e32 v[4:5], v[4:5], v[62:63]
	v_add_f64_e32 v[12:13], v[12:13], v[94:95]
	s_wait_loadcnt_dscnt 0x401
	v_mul_f64_e32 v[62:63], v[8:9], v[76:77]
	v_mul_f64_e32 v[72:73], v[10:11], v[76:77]
	s_wait_loadcnt_dscnt 0x300
	v_mul_f64_e32 v[56:57], v[58:59], v[80:81]
	v_add_f64_e32 v[4:5], v[4:5], v[66:67]
	v_add_f64_e32 v[12:13], v[12:13], v[96:97]
	v_mul_f64_e32 v[66:67], v[60:61], v[80:81]
	v_fmac_f64_e32 v[62:63], v[10:11], v[74:75]
	v_fma_f64 v[68:69], v[8:9], v[74:75], -v[72:73]
	v_fmac_f64_e32 v[56:57], v[60:61], v[78:79]
	v_add_f64_e32 v[54:55], v[4:5], v[54:55]
	v_add_f64_e32 v[12:13], v[12:13], v[64:65]
	ds_load_b128 v[8:11], v2 offset:608
	ds_load_b128 v[2:5], v2 offset:624
	v_fma_f64 v[58:59], v[58:59], v[78:79], -v[66:67]
	s_wait_loadcnt_dscnt 0x201
	v_mul_f64_e32 v[64:65], v[8:9], v[84:85]
	v_mul_f64_e32 v[70:71], v[10:11], v[84:85]
	s_wait_loadcnt_dscnt 0x100
	v_mul_f64_e32 v[60:61], v[2:3], v[88:89]
	v_add_f64_e32 v[54:55], v[54:55], v[68:69]
	v_add_f64_e32 v[12:13], v[12:13], v[62:63]
	v_mul_f64_e32 v[62:63], v[4:5], v[88:89]
	v_fmac_f64_e32 v[64:65], v[10:11], v[82:83]
	v_fma_f64 v[8:9], v[8:9], v[82:83], -v[70:71]
	v_fmac_f64_e32 v[60:61], v[4:5], v[86:87]
	v_add_f64_e32 v[10:11], v[54:55], v[58:59]
	v_add_f64_e32 v[12:13], v[12:13], v[56:57]
	v_fma_f64 v[2:3], v[2:3], v[86:87], -v[62:63]
	s_delay_alu instid0(VALU_DEP_3) | instskip(NEXT) | instid1(VALU_DEP_3)
	v_add_f64_e32 v[4:5], v[10:11], v[8:9]
	v_add_f64_e32 v[8:9], v[12:13], v[64:65]
	s_delay_alu instid0(VALU_DEP_2) | instskip(NEXT) | instid1(VALU_DEP_2)
	v_add_f64_e32 v[2:3], v[4:5], v[2:3]
	v_add_f64_e32 v[4:5], v[8:9], v[60:61]
	s_wait_loadcnt 0x0
	s_delay_alu instid0(VALU_DEP_2) | instskip(NEXT) | instid1(VALU_DEP_2)
	v_add_f64_e64 v[2:3], v[98:99], -v[2:3]
	v_add_f64_e64 v[4:5], v[100:101], -v[4:5]
	scratch_store_b128 off, v[2:5], off offset:144
	s_wait_xcnt 0x0
	v_cmpx_lt_u32_e32 8, v1
	s_cbranch_execz .LBB83_117
; %bb.116:
	scratch_load_b128 v[2:5], off, s23
	v_mov_b32_e32 v8, 0
	s_delay_alu instid0(VALU_DEP_1)
	v_dual_mov_b32 v9, v8 :: v_dual_mov_b32 v10, v8
	v_mov_b32_e32 v11, v8
	scratch_store_b128 off, v[8:11], off offset:128
	s_wait_loadcnt 0x0
	ds_store_b128 v6, v[2:5]
.LBB83_117:
	s_wait_xcnt 0x0
	s_or_b32 exec_lo, exec_lo, s2
	s_wait_storecnt_dscnt 0x0
	s_barrier_signal -1
	s_barrier_wait -1
	s_clause 0x9
	scratch_load_b128 v[8:11], off, off offset:144
	scratch_load_b128 v[54:57], off, off offset:160
	;; [unrolled: 1-line block ×10, first 2 shown]
	v_mov_b32_e32 v2, 0
	s_mov_b32 s2, exec_lo
	ds_load_b128 v[90:93], v2 offset:464
	s_clause 0x1
	scratch_load_b128 v[94:97], off, off offset:304
	scratch_load_b128 v[98:101], off, off offset:128
	s_wait_loadcnt_dscnt 0xb00
	v_mul_f64_e32 v[4:5], v[92:93], v[10:11]
	v_mul_f64_e32 v[12:13], v[90:91], v[10:11]
	ds_load_b128 v[102:105], v2 offset:480
	s_wait_loadcnt_dscnt 0xa00
	v_mul_f64_e32 v[106:107], v[102:103], v[56:57]
	v_mul_f64_e32 v[56:57], v[104:105], v[56:57]
	v_fma_f64 v[4:5], v[90:91], v[8:9], -v[4:5]
	v_fmac_f64_e32 v[12:13], v[92:93], v[8:9]
	ds_load_b128 v[8:11], v2 offset:496
	ds_load_b128 v[90:93], v2 offset:512
	s_wait_loadcnt_dscnt 0x901
	v_mul_f64_e32 v[108:109], v[8:9], v[60:61]
	v_mul_f64_e32 v[60:61], v[10:11], v[60:61]
	v_fmac_f64_e32 v[106:107], v[104:105], v[54:55]
	v_fma_f64 v[54:55], v[102:103], v[54:55], -v[56:57]
	s_wait_loadcnt_dscnt 0x800
	v_mul_f64_e32 v[102:103], v[90:91], v[64:65]
	v_mul_f64_e32 v[64:65], v[92:93], v[64:65]
	v_add_f64_e32 v[4:5], 0, v[4:5]
	v_add_f64_e32 v[12:13], 0, v[12:13]
	v_fmac_f64_e32 v[108:109], v[10:11], v[58:59]
	v_fma_f64 v[58:59], v[8:9], v[58:59], -v[60:61]
	v_fmac_f64_e32 v[102:103], v[92:93], v[62:63]
	v_fma_f64 v[62:63], v[90:91], v[62:63], -v[64:65]
	v_add_f64_e32 v[4:5], v[4:5], v[54:55]
	v_add_f64_e32 v[12:13], v[12:13], v[106:107]
	ds_load_b128 v[8:11], v2 offset:528
	ds_load_b128 v[54:57], v2 offset:544
	s_wait_loadcnt_dscnt 0x701
	v_mul_f64_e32 v[104:105], v[8:9], v[68:69]
	v_mul_f64_e32 v[60:61], v[10:11], v[68:69]
	s_wait_loadcnt_dscnt 0x600
	v_mul_f64_e32 v[64:65], v[54:55], v[72:73]
	v_mul_f64_e32 v[68:69], v[56:57], v[72:73]
	v_add_f64_e32 v[4:5], v[4:5], v[58:59]
	v_add_f64_e32 v[12:13], v[12:13], v[108:109]
	v_fmac_f64_e32 v[104:105], v[10:11], v[66:67]
	v_fma_f64 v[66:67], v[8:9], v[66:67], -v[60:61]
	ds_load_b128 v[8:11], v2 offset:560
	ds_load_b128 v[58:61], v2 offset:576
	v_fmac_f64_e32 v[64:65], v[56:57], v[70:71]
	v_fma_f64 v[54:55], v[54:55], v[70:71], -v[68:69]
	v_add_f64_e32 v[4:5], v[4:5], v[62:63]
	v_add_f64_e32 v[12:13], v[12:13], v[102:103]
	s_wait_loadcnt_dscnt 0x501
	v_mul_f64_e32 v[62:63], v[8:9], v[76:77]
	v_mul_f64_e32 v[72:73], v[10:11], v[76:77]
	s_wait_loadcnt_dscnt 0x400
	v_mul_f64_e32 v[68:69], v[60:61], v[80:81]
	v_add_f64_e32 v[4:5], v[4:5], v[66:67]
	v_add_f64_e32 v[12:13], v[12:13], v[104:105]
	v_mul_f64_e32 v[66:67], v[58:59], v[80:81]
	v_fmac_f64_e32 v[62:63], v[10:11], v[74:75]
	v_fma_f64 v[70:71], v[8:9], v[74:75], -v[72:73]
	v_fma_f64 v[58:59], v[58:59], v[78:79], -v[68:69]
	v_add_f64_e32 v[4:5], v[4:5], v[54:55]
	v_add_f64_e32 v[12:13], v[12:13], v[64:65]
	ds_load_b128 v[8:11], v2 offset:592
	ds_load_b128 v[54:57], v2 offset:608
	v_fmac_f64_e32 v[66:67], v[60:61], v[78:79]
	s_wait_loadcnt_dscnt 0x301
	v_mul_f64_e32 v[64:65], v[8:9], v[84:85]
	v_mul_f64_e32 v[72:73], v[10:11], v[84:85]
	s_wait_loadcnt_dscnt 0x200
	v_mul_f64_e32 v[60:61], v[54:55], v[88:89]
	v_add_f64_e32 v[4:5], v[4:5], v[70:71]
	v_add_f64_e32 v[12:13], v[12:13], v[62:63]
	v_mul_f64_e32 v[62:63], v[56:57], v[88:89]
	v_fmac_f64_e32 v[64:65], v[10:11], v[82:83]
	v_fma_f64 v[68:69], v[8:9], v[82:83], -v[72:73]
	ds_load_b128 v[8:11], v2 offset:624
	v_fmac_f64_e32 v[60:61], v[56:57], v[86:87]
	v_add_f64_e32 v[4:5], v[4:5], v[58:59]
	v_add_f64_e32 v[12:13], v[12:13], v[66:67]
	v_fma_f64 v[54:55], v[54:55], v[86:87], -v[62:63]
	s_wait_loadcnt_dscnt 0x100
	v_mul_f64_e32 v[58:59], v[8:9], v[96:97]
	v_mul_f64_e32 v[66:67], v[10:11], v[96:97]
	v_add_f64_e32 v[4:5], v[4:5], v[68:69]
	v_add_f64_e32 v[12:13], v[12:13], v[64:65]
	s_delay_alu instid0(VALU_DEP_4) | instskip(NEXT) | instid1(VALU_DEP_4)
	v_fmac_f64_e32 v[58:59], v[10:11], v[94:95]
	v_fma_f64 v[8:9], v[8:9], v[94:95], -v[66:67]
	s_delay_alu instid0(VALU_DEP_4) | instskip(NEXT) | instid1(VALU_DEP_4)
	v_add_f64_e32 v[4:5], v[4:5], v[54:55]
	v_add_f64_e32 v[10:11], v[12:13], v[60:61]
	s_delay_alu instid0(VALU_DEP_2) | instskip(NEXT) | instid1(VALU_DEP_2)
	v_add_f64_e32 v[4:5], v[4:5], v[8:9]
	v_add_f64_e32 v[10:11], v[10:11], v[58:59]
	s_wait_loadcnt 0x0
	s_delay_alu instid0(VALU_DEP_2) | instskip(NEXT) | instid1(VALU_DEP_2)
	v_add_f64_e64 v[8:9], v[98:99], -v[4:5]
	v_add_f64_e64 v[10:11], v[100:101], -v[10:11]
	scratch_store_b128 off, v[8:11], off offset:128
	s_wait_xcnt 0x0
	v_cmpx_lt_u32_e32 7, v1
	s_cbranch_execz .LBB83_119
; %bb.118:
	scratch_load_b128 v[8:11], off, s13
	v_dual_mov_b32 v3, v2 :: v_dual_mov_b32 v4, v2
	v_mov_b32_e32 v5, v2
	scratch_store_b128 off, v[2:5], off offset:112
	s_wait_loadcnt 0x0
	ds_store_b128 v6, v[8:11]
.LBB83_119:
	s_wait_xcnt 0x0
	s_or_b32 exec_lo, exec_lo, s2
	s_wait_storecnt_dscnt 0x0
	s_barrier_signal -1
	s_barrier_wait -1
	s_clause 0x9
	scratch_load_b128 v[8:11], off, off offset:128
	scratch_load_b128 v[54:57], off, off offset:144
	;; [unrolled: 1-line block ×10, first 2 shown]
	ds_load_b128 v[90:93], v2 offset:448
	ds_load_b128 v[98:101], v2 offset:464
	s_clause 0x1
	scratch_load_b128 v[94:97], off, off offset:288
	scratch_load_b128 v[102:105], off, off offset:112
	s_mov_b32 s2, exec_lo
	s_wait_loadcnt_dscnt 0xb01
	v_mul_f64_e32 v[4:5], v[92:93], v[10:11]
	v_mul_f64_e32 v[110:111], v[90:91], v[10:11]
	scratch_load_b128 v[10:13], off, off offset:304
	s_wait_loadcnt_dscnt 0xb00
	v_mul_f64_e32 v[112:113], v[98:99], v[56:57]
	v_mul_f64_e32 v[56:57], v[100:101], v[56:57]
	v_fma_f64 v[4:5], v[90:91], v[8:9], -v[4:5]
	v_fmac_f64_e32 v[110:111], v[92:93], v[8:9]
	ds_load_b128 v[90:93], v2 offset:480
	ds_load_b128 v[106:109], v2 offset:496
	v_fmac_f64_e32 v[112:113], v[100:101], v[54:55]
	v_fma_f64 v[54:55], v[98:99], v[54:55], -v[56:57]
	s_wait_loadcnt_dscnt 0xa01
	v_mul_f64_e32 v[8:9], v[90:91], v[60:61]
	v_mul_f64_e32 v[60:61], v[92:93], v[60:61]
	s_wait_loadcnt_dscnt 0x900
	v_mul_f64_e32 v[98:99], v[106:107], v[64:65]
	v_mul_f64_e32 v[64:65], v[108:109], v[64:65]
	v_add_f64_e32 v[4:5], 0, v[4:5]
	v_add_f64_e32 v[56:57], 0, v[110:111]
	v_fmac_f64_e32 v[8:9], v[92:93], v[58:59]
	v_fma_f64 v[90:91], v[90:91], v[58:59], -v[60:61]
	v_fmac_f64_e32 v[98:99], v[108:109], v[62:63]
	v_fma_f64 v[62:63], v[106:107], v[62:63], -v[64:65]
	v_add_f64_e32 v[4:5], v[4:5], v[54:55]
	v_add_f64_e32 v[92:93], v[56:57], v[112:113]
	ds_load_b128 v[54:57], v2 offset:512
	ds_load_b128 v[58:61], v2 offset:528
	s_wait_loadcnt_dscnt 0x801
	v_mul_f64_e32 v[100:101], v[54:55], v[68:69]
	v_mul_f64_e32 v[68:69], v[56:57], v[68:69]
	v_add_f64_e32 v[4:5], v[4:5], v[90:91]
	v_add_f64_e32 v[8:9], v[92:93], v[8:9]
	s_wait_loadcnt_dscnt 0x700
	v_mul_f64_e32 v[90:91], v[58:59], v[72:73]
	v_mul_f64_e32 v[72:73], v[60:61], v[72:73]
	v_fmac_f64_e32 v[100:101], v[56:57], v[66:67]
	v_fma_f64 v[66:67], v[54:55], v[66:67], -v[68:69]
	v_add_f64_e32 v[4:5], v[4:5], v[62:63]
	v_add_f64_e32 v[8:9], v[8:9], v[98:99]
	ds_load_b128 v[54:57], v2 offset:544
	ds_load_b128 v[62:65], v2 offset:560
	v_fmac_f64_e32 v[90:91], v[60:61], v[70:71]
	v_fma_f64 v[58:59], v[58:59], v[70:71], -v[72:73]
	s_wait_loadcnt_dscnt 0x601
	v_mul_f64_e32 v[68:69], v[54:55], v[76:77]
	v_mul_f64_e32 v[76:77], v[56:57], v[76:77]
	s_wait_loadcnt_dscnt 0x500
	v_mul_f64_e32 v[70:71], v[64:65], v[80:81]
	v_add_f64_e32 v[4:5], v[4:5], v[66:67]
	v_add_f64_e32 v[8:9], v[8:9], v[100:101]
	v_mul_f64_e32 v[66:67], v[62:63], v[80:81]
	v_fmac_f64_e32 v[68:69], v[56:57], v[74:75]
	v_fma_f64 v[72:73], v[54:55], v[74:75], -v[76:77]
	v_fma_f64 v[62:63], v[62:63], v[78:79], -v[70:71]
	v_add_f64_e32 v[4:5], v[4:5], v[58:59]
	v_add_f64_e32 v[8:9], v[8:9], v[90:91]
	ds_load_b128 v[54:57], v2 offset:576
	ds_load_b128 v[58:61], v2 offset:592
	v_fmac_f64_e32 v[66:67], v[64:65], v[78:79]
	s_wait_loadcnt_dscnt 0x401
	v_mul_f64_e32 v[74:75], v[54:55], v[84:85]
	v_mul_f64_e32 v[76:77], v[56:57], v[84:85]
	s_wait_loadcnt_dscnt 0x300
	v_mul_f64_e32 v[64:65], v[58:59], v[88:89]
	v_add_f64_e32 v[4:5], v[4:5], v[72:73]
	v_add_f64_e32 v[8:9], v[8:9], v[68:69]
	v_mul_f64_e32 v[68:69], v[60:61], v[88:89]
	v_fmac_f64_e32 v[74:75], v[56:57], v[82:83]
	v_fma_f64 v[70:71], v[54:55], v[82:83], -v[76:77]
	v_fmac_f64_e32 v[64:65], v[60:61], v[86:87]
	v_add_f64_e32 v[62:63], v[4:5], v[62:63]
	v_add_f64_e32 v[8:9], v[8:9], v[66:67]
	ds_load_b128 v[54:57], v2 offset:608
	ds_load_b128 v[2:5], v2 offset:624
	v_fma_f64 v[58:59], v[58:59], v[86:87], -v[68:69]
	s_wait_loadcnt_dscnt 0x201
	v_mul_f64_e32 v[66:67], v[54:55], v[96:97]
	v_mul_f64_e32 v[72:73], v[56:57], v[96:97]
	v_add_f64_e32 v[60:61], v[62:63], v[70:71]
	v_add_f64_e32 v[8:9], v[8:9], v[74:75]
	s_wait_loadcnt_dscnt 0x0
	v_mul_f64_e32 v[62:63], v[2:3], v[12:13]
	v_mul_f64_e32 v[12:13], v[4:5], v[12:13]
	v_fmac_f64_e32 v[66:67], v[56:57], v[94:95]
	v_fma_f64 v[54:55], v[54:55], v[94:95], -v[72:73]
	v_add_f64_e32 v[56:57], v[60:61], v[58:59]
	v_add_f64_e32 v[8:9], v[8:9], v[64:65]
	v_fmac_f64_e32 v[62:63], v[4:5], v[10:11]
	v_fma_f64 v[2:3], v[2:3], v[10:11], -v[12:13]
	s_delay_alu instid0(VALU_DEP_4) | instskip(NEXT) | instid1(VALU_DEP_4)
	v_add_f64_e32 v[4:5], v[56:57], v[54:55]
	v_add_f64_e32 v[8:9], v[8:9], v[66:67]
	s_delay_alu instid0(VALU_DEP_2) | instskip(NEXT) | instid1(VALU_DEP_2)
	v_add_f64_e32 v[2:3], v[4:5], v[2:3]
	v_add_f64_e32 v[4:5], v[8:9], v[62:63]
	s_delay_alu instid0(VALU_DEP_2) | instskip(NEXT) | instid1(VALU_DEP_2)
	v_add_f64_e64 v[2:3], v[102:103], -v[2:3]
	v_add_f64_e64 v[4:5], v[104:105], -v[4:5]
	scratch_store_b128 off, v[2:5], off offset:112
	s_wait_xcnt 0x0
	v_cmpx_lt_u32_e32 6, v1
	s_cbranch_execz .LBB83_121
; %bb.120:
	scratch_load_b128 v[2:5], off, s22
	v_mov_b32_e32 v8, 0
	s_delay_alu instid0(VALU_DEP_1)
	v_dual_mov_b32 v9, v8 :: v_dual_mov_b32 v10, v8
	v_mov_b32_e32 v11, v8
	scratch_store_b128 off, v[8:11], off offset:96
	s_wait_loadcnt 0x0
	ds_store_b128 v6, v[2:5]
.LBB83_121:
	s_wait_xcnt 0x0
	s_or_b32 exec_lo, exec_lo, s2
	s_wait_storecnt_dscnt 0x0
	s_barrier_signal -1
	s_barrier_wait -1
	s_clause 0x9
	scratch_load_b128 v[8:11], off, off offset:112
	scratch_load_b128 v[54:57], off, off offset:128
	;; [unrolled: 1-line block ×10, first 2 shown]
	v_mov_b32_e32 v2, 0
	s_mov_b32 s2, exec_lo
	ds_load_b128 v[90:93], v2 offset:432
	s_clause 0x2
	scratch_load_b128 v[94:97], off, off offset:272
	scratch_load_b128 v[98:101], off, off offset:96
	;; [unrolled: 1-line block ×3, first 2 shown]
	s_wait_loadcnt_dscnt 0xc00
	v_mul_f64_e32 v[4:5], v[92:93], v[10:11]
	v_mul_f64_e32 v[114:115], v[90:91], v[10:11]
	ds_load_b128 v[102:105], v2 offset:448
	scratch_load_b128 v[10:13], off, off offset:288
	ds_load_b128 v[110:113], v2 offset:480
	v_fma_f64 v[4:5], v[90:91], v[8:9], -v[4:5]
	v_fmac_f64_e32 v[114:115], v[92:93], v[8:9]
	ds_load_b128 v[90:93], v2 offset:464
	s_wait_loadcnt_dscnt 0xc02
	v_mul_f64_e32 v[116:117], v[102:103], v[56:57]
	v_mul_f64_e32 v[56:57], v[104:105], v[56:57]
	s_wait_loadcnt_dscnt 0xb00
	v_mul_f64_e32 v[8:9], v[90:91], v[60:61]
	v_mul_f64_e32 v[60:61], v[92:93], v[60:61]
	v_add_f64_e32 v[4:5], 0, v[4:5]
	v_fmac_f64_e32 v[116:117], v[104:105], v[54:55]
	v_fma_f64 v[54:55], v[102:103], v[54:55], -v[56:57]
	v_add_f64_e32 v[56:57], 0, v[114:115]
	s_wait_loadcnt 0xa
	v_mul_f64_e32 v[102:103], v[110:111], v[64:65]
	v_mul_f64_e32 v[64:65], v[112:113], v[64:65]
	v_fmac_f64_e32 v[8:9], v[92:93], v[58:59]
	v_fma_f64 v[90:91], v[90:91], v[58:59], -v[60:61]
	v_add_f64_e32 v[4:5], v[4:5], v[54:55]
	v_add_f64_e32 v[92:93], v[56:57], v[116:117]
	ds_load_b128 v[54:57], v2 offset:496
	ds_load_b128 v[58:61], v2 offset:512
	v_fmac_f64_e32 v[102:103], v[112:113], v[62:63]
	v_fma_f64 v[62:63], v[110:111], v[62:63], -v[64:65]
	s_wait_loadcnt_dscnt 0x901
	v_mul_f64_e32 v[104:105], v[54:55], v[68:69]
	v_mul_f64_e32 v[68:69], v[56:57], v[68:69]
	v_add_f64_e32 v[4:5], v[4:5], v[90:91]
	v_add_f64_e32 v[8:9], v[92:93], v[8:9]
	s_wait_loadcnt_dscnt 0x800
	v_mul_f64_e32 v[90:91], v[58:59], v[72:73]
	v_mul_f64_e32 v[72:73], v[60:61], v[72:73]
	v_fmac_f64_e32 v[104:105], v[56:57], v[66:67]
	v_fma_f64 v[66:67], v[54:55], v[66:67], -v[68:69]
	v_add_f64_e32 v[4:5], v[4:5], v[62:63]
	v_add_f64_e32 v[8:9], v[8:9], v[102:103]
	ds_load_b128 v[54:57], v2 offset:528
	ds_load_b128 v[62:65], v2 offset:544
	v_fmac_f64_e32 v[90:91], v[60:61], v[70:71]
	v_fma_f64 v[58:59], v[58:59], v[70:71], -v[72:73]
	s_wait_loadcnt_dscnt 0x701
	v_mul_f64_e32 v[68:69], v[54:55], v[76:77]
	v_mul_f64_e32 v[76:77], v[56:57], v[76:77]
	s_wait_loadcnt_dscnt 0x600
	v_mul_f64_e32 v[70:71], v[64:65], v[80:81]
	v_add_f64_e32 v[4:5], v[4:5], v[66:67]
	v_add_f64_e32 v[8:9], v[8:9], v[104:105]
	v_mul_f64_e32 v[66:67], v[62:63], v[80:81]
	v_fmac_f64_e32 v[68:69], v[56:57], v[74:75]
	v_fma_f64 v[72:73], v[54:55], v[74:75], -v[76:77]
	v_fma_f64 v[62:63], v[62:63], v[78:79], -v[70:71]
	v_add_f64_e32 v[4:5], v[4:5], v[58:59]
	v_add_f64_e32 v[8:9], v[8:9], v[90:91]
	ds_load_b128 v[54:57], v2 offset:560
	ds_load_b128 v[58:61], v2 offset:576
	v_fmac_f64_e32 v[66:67], v[64:65], v[78:79]
	s_wait_loadcnt_dscnt 0x501
	v_mul_f64_e32 v[74:75], v[54:55], v[84:85]
	v_mul_f64_e32 v[76:77], v[56:57], v[84:85]
	s_wait_loadcnt_dscnt 0x400
	v_mul_f64_e32 v[70:71], v[60:61], v[88:89]
	v_add_f64_e32 v[4:5], v[4:5], v[72:73]
	v_add_f64_e32 v[8:9], v[8:9], v[68:69]
	v_mul_f64_e32 v[68:69], v[58:59], v[88:89]
	v_fmac_f64_e32 v[74:75], v[56:57], v[82:83]
	v_fma_f64 v[72:73], v[54:55], v[82:83], -v[76:77]
	v_fma_f64 v[58:59], v[58:59], v[86:87], -v[70:71]
	v_add_f64_e32 v[4:5], v[4:5], v[62:63]
	v_add_f64_e32 v[8:9], v[8:9], v[66:67]
	ds_load_b128 v[54:57], v2 offset:592
	ds_load_b128 v[62:65], v2 offset:608
	v_fmac_f64_e32 v[68:69], v[60:61], v[86:87]
	s_wait_loadcnt_dscnt 0x301
	v_mul_f64_e32 v[66:67], v[54:55], v[96:97]
	v_mul_f64_e32 v[76:77], v[56:57], v[96:97]
	s_wait_loadcnt_dscnt 0x0
	v_mul_f64_e32 v[60:61], v[62:63], v[12:13]
	v_add_f64_e32 v[4:5], v[4:5], v[72:73]
	v_add_f64_e32 v[8:9], v[8:9], v[74:75]
	v_mul_f64_e32 v[12:13], v[64:65], v[12:13]
	v_fmac_f64_e32 v[66:67], v[56:57], v[94:95]
	v_fma_f64 v[70:71], v[54:55], v[94:95], -v[76:77]
	ds_load_b128 v[54:57], v2 offset:624
	v_fmac_f64_e32 v[60:61], v[64:65], v[10:11]
	v_add_f64_e32 v[4:5], v[4:5], v[58:59]
	v_add_f64_e32 v[8:9], v[8:9], v[68:69]
	v_fma_f64 v[10:11], v[62:63], v[10:11], -v[12:13]
	s_wait_dscnt 0x0
	v_mul_f64_e32 v[58:59], v[54:55], v[108:109]
	v_mul_f64_e32 v[68:69], v[56:57], v[108:109]
	v_add_f64_e32 v[4:5], v[4:5], v[70:71]
	v_add_f64_e32 v[8:9], v[8:9], v[66:67]
	s_delay_alu instid0(VALU_DEP_4) | instskip(NEXT) | instid1(VALU_DEP_4)
	v_fmac_f64_e32 v[58:59], v[56:57], v[106:107]
	v_fma_f64 v[12:13], v[54:55], v[106:107], -v[68:69]
	s_delay_alu instid0(VALU_DEP_4) | instskip(NEXT) | instid1(VALU_DEP_4)
	v_add_f64_e32 v[4:5], v[4:5], v[10:11]
	v_add_f64_e32 v[8:9], v[8:9], v[60:61]
	s_delay_alu instid0(VALU_DEP_2) | instskip(NEXT) | instid1(VALU_DEP_2)
	v_add_f64_e32 v[4:5], v[4:5], v[12:13]
	v_add_f64_e32 v[10:11], v[8:9], v[58:59]
	s_delay_alu instid0(VALU_DEP_2) | instskip(NEXT) | instid1(VALU_DEP_2)
	v_add_f64_e64 v[8:9], v[98:99], -v[4:5]
	v_add_f64_e64 v[10:11], v[100:101], -v[10:11]
	scratch_store_b128 off, v[8:11], off offset:96
	s_wait_xcnt 0x0
	v_cmpx_lt_u32_e32 5, v1
	s_cbranch_execz .LBB83_123
; %bb.122:
	scratch_load_b128 v[8:11], off, s12
	v_dual_mov_b32 v3, v2 :: v_dual_mov_b32 v4, v2
	v_mov_b32_e32 v5, v2
	scratch_store_b128 off, v[2:5], off offset:80
	s_wait_loadcnt 0x0
	ds_store_b128 v6, v[8:11]
.LBB83_123:
	s_wait_xcnt 0x0
	s_or_b32 exec_lo, exec_lo, s2
	s_wait_storecnt_dscnt 0x0
	s_barrier_signal -1
	s_barrier_wait -1
	s_clause 0x9
	scratch_load_b128 v[8:11], off, off offset:96
	scratch_load_b128 v[54:57], off, off offset:112
	;; [unrolled: 1-line block ×10, first 2 shown]
	ds_load_b128 v[90:93], v2 offset:416
	ds_load_b128 v[98:101], v2 offset:432
	s_clause 0x1
	scratch_load_b128 v[94:97], off, off offset:256
	scratch_load_b128 v[102:105], off, off offset:80
	s_mov_b32 s2, exec_lo
	s_wait_loadcnt_dscnt 0xb01
	v_mul_f64_e32 v[4:5], v[92:93], v[10:11]
	v_mul_f64_e32 v[114:115], v[90:91], v[10:11]
	scratch_load_b128 v[10:13], off, off offset:272
	s_wait_loadcnt_dscnt 0xb00
	v_mul_f64_e32 v[116:117], v[98:99], v[56:57]
	v_mul_f64_e32 v[56:57], v[100:101], v[56:57]
	v_fma_f64 v[4:5], v[90:91], v[8:9], -v[4:5]
	v_fmac_f64_e32 v[114:115], v[92:93], v[8:9]
	ds_load_b128 v[90:93], v2 offset:448
	ds_load_b128 v[106:109], v2 offset:464
	scratch_load_b128 v[110:113], off, off offset:288
	v_fmac_f64_e32 v[116:117], v[100:101], v[54:55]
	v_fma_f64 v[98:99], v[98:99], v[54:55], -v[56:57]
	scratch_load_b128 v[54:57], off, off offset:304
	s_wait_loadcnt_dscnt 0xc01
	v_mul_f64_e32 v[8:9], v[90:91], v[60:61]
	v_mul_f64_e32 v[60:61], v[92:93], v[60:61]
	v_add_f64_e32 v[4:5], 0, v[4:5]
	v_add_f64_e32 v[100:101], 0, v[114:115]
	s_wait_loadcnt_dscnt 0xb00
	v_mul_f64_e32 v[114:115], v[106:107], v[64:65]
	v_mul_f64_e32 v[64:65], v[108:109], v[64:65]
	v_fmac_f64_e32 v[8:9], v[92:93], v[58:59]
	v_fma_f64 v[118:119], v[90:91], v[58:59], -v[60:61]
	ds_load_b128 v[58:61], v2 offset:480
	ds_load_b128 v[90:93], v2 offset:496
	v_add_f64_e32 v[4:5], v[4:5], v[98:99]
	v_add_f64_e32 v[98:99], v[100:101], v[116:117]
	v_fmac_f64_e32 v[114:115], v[108:109], v[62:63]
	v_fma_f64 v[62:63], v[106:107], v[62:63], -v[64:65]
	s_wait_loadcnt_dscnt 0xa01
	v_mul_f64_e32 v[100:101], v[58:59], v[68:69]
	v_mul_f64_e32 v[68:69], v[60:61], v[68:69]
	v_add_f64_e32 v[4:5], v[4:5], v[118:119]
	v_add_f64_e32 v[8:9], v[98:99], v[8:9]
	s_wait_loadcnt_dscnt 0x900
	v_mul_f64_e32 v[98:99], v[90:91], v[72:73]
	v_mul_f64_e32 v[72:73], v[92:93], v[72:73]
	v_fmac_f64_e32 v[100:101], v[60:61], v[66:67]
	v_fma_f64 v[66:67], v[58:59], v[66:67], -v[68:69]
	v_add_f64_e32 v[4:5], v[4:5], v[62:63]
	v_add_f64_e32 v[8:9], v[8:9], v[114:115]
	ds_load_b128 v[58:61], v2 offset:512
	ds_load_b128 v[62:65], v2 offset:528
	v_fmac_f64_e32 v[98:99], v[92:93], v[70:71]
	v_fma_f64 v[70:71], v[90:91], v[70:71], -v[72:73]
	s_wait_loadcnt_dscnt 0x801
	v_mul_f64_e32 v[106:107], v[58:59], v[76:77]
	v_mul_f64_e32 v[68:69], v[60:61], v[76:77]
	s_wait_loadcnt_dscnt 0x700
	v_mul_f64_e32 v[72:73], v[62:63], v[80:81]
	v_mul_f64_e32 v[76:77], v[64:65], v[80:81]
	v_add_f64_e32 v[4:5], v[4:5], v[66:67]
	v_add_f64_e32 v[8:9], v[8:9], v[100:101]
	v_fmac_f64_e32 v[106:107], v[60:61], v[74:75]
	v_fma_f64 v[74:75], v[58:59], v[74:75], -v[68:69]
	ds_load_b128 v[58:61], v2 offset:544
	ds_load_b128 v[66:69], v2 offset:560
	v_fmac_f64_e32 v[72:73], v[64:65], v[78:79]
	v_fma_f64 v[62:63], v[62:63], v[78:79], -v[76:77]
	v_add_f64_e32 v[4:5], v[4:5], v[70:71]
	v_add_f64_e32 v[8:9], v[8:9], v[98:99]
	s_wait_loadcnt_dscnt 0x601
	v_mul_f64_e32 v[70:71], v[58:59], v[84:85]
	v_mul_f64_e32 v[80:81], v[60:61], v[84:85]
	s_wait_loadcnt_dscnt 0x500
	v_mul_f64_e32 v[76:77], v[68:69], v[88:89]
	v_add_f64_e32 v[4:5], v[4:5], v[74:75]
	v_add_f64_e32 v[8:9], v[8:9], v[106:107]
	v_mul_f64_e32 v[74:75], v[66:67], v[88:89]
	v_fmac_f64_e32 v[70:71], v[60:61], v[82:83]
	v_fma_f64 v[78:79], v[58:59], v[82:83], -v[80:81]
	v_fma_f64 v[66:67], v[66:67], v[86:87], -v[76:77]
	v_add_f64_e32 v[4:5], v[4:5], v[62:63]
	v_add_f64_e32 v[8:9], v[8:9], v[72:73]
	ds_load_b128 v[58:61], v2 offset:576
	ds_load_b128 v[62:65], v2 offset:592
	v_fmac_f64_e32 v[74:75], v[68:69], v[86:87]
	s_wait_loadcnt_dscnt 0x401
	v_mul_f64_e32 v[72:73], v[58:59], v[96:97]
	v_mul_f64_e32 v[80:81], v[60:61], v[96:97]
	v_add_f64_e32 v[4:5], v[4:5], v[78:79]
	v_add_f64_e32 v[8:9], v[8:9], v[70:71]
	s_wait_loadcnt_dscnt 0x200
	v_mul_f64_e32 v[68:69], v[62:63], v[12:13]
	v_mul_f64_e32 v[12:13], v[64:65], v[12:13]
	v_fmac_f64_e32 v[72:73], v[60:61], v[94:95]
	v_fma_f64 v[70:71], v[58:59], v[94:95], -v[80:81]
	v_add_f64_e32 v[66:67], v[4:5], v[66:67]
	v_add_f64_e32 v[8:9], v[8:9], v[74:75]
	ds_load_b128 v[58:61], v2 offset:608
	ds_load_b128 v[2:5], v2 offset:624
	v_fmac_f64_e32 v[68:69], v[64:65], v[10:11]
	v_fma_f64 v[10:11], v[62:63], v[10:11], -v[12:13]
	s_wait_loadcnt_dscnt 0x101
	v_mul_f64_e32 v[74:75], v[58:59], v[112:113]
	v_mul_f64_e32 v[76:77], v[60:61], v[112:113]
	s_wait_loadcnt_dscnt 0x0
	v_mul_f64_e32 v[62:63], v[2:3], v[56:57]
	v_mul_f64_e32 v[56:57], v[4:5], v[56:57]
	v_add_f64_e32 v[12:13], v[66:67], v[70:71]
	v_add_f64_e32 v[8:9], v[8:9], v[72:73]
	v_fmac_f64_e32 v[74:75], v[60:61], v[110:111]
	v_fma_f64 v[58:59], v[58:59], v[110:111], -v[76:77]
	v_fmac_f64_e32 v[62:63], v[4:5], v[54:55]
	v_fma_f64 v[2:3], v[2:3], v[54:55], -v[56:57]
	v_add_f64_e32 v[10:11], v[12:13], v[10:11]
	v_add_f64_e32 v[8:9], v[8:9], v[68:69]
	s_delay_alu instid0(VALU_DEP_2) | instskip(NEXT) | instid1(VALU_DEP_2)
	v_add_f64_e32 v[4:5], v[10:11], v[58:59]
	v_add_f64_e32 v[8:9], v[8:9], v[74:75]
	s_delay_alu instid0(VALU_DEP_2) | instskip(NEXT) | instid1(VALU_DEP_2)
	;; [unrolled: 3-line block ×3, first 2 shown]
	v_add_f64_e64 v[2:3], v[102:103], -v[2:3]
	v_add_f64_e64 v[4:5], v[104:105], -v[4:5]
	scratch_store_b128 off, v[2:5], off offset:80
	s_wait_xcnt 0x0
	v_cmpx_lt_u32_e32 4, v1
	s_cbranch_execz .LBB83_125
; %bb.124:
	scratch_load_b128 v[2:5], off, s21
	v_mov_b32_e32 v8, 0
	s_delay_alu instid0(VALU_DEP_1)
	v_dual_mov_b32 v9, v8 :: v_dual_mov_b32 v10, v8
	v_mov_b32_e32 v11, v8
	scratch_store_b128 off, v[8:11], off offset:64
	s_wait_loadcnt 0x0
	ds_store_b128 v6, v[2:5]
.LBB83_125:
	s_wait_xcnt 0x0
	s_or_b32 exec_lo, exec_lo, s2
	s_wait_storecnt_dscnt 0x0
	s_barrier_signal -1
	s_barrier_wait -1
	s_clause 0x9
	scratch_load_b128 v[8:11], off, off offset:80
	scratch_load_b128 v[54:57], off, off offset:96
	;; [unrolled: 1-line block ×10, first 2 shown]
	v_mov_b32_e32 v2, 0
	s_mov_b32 s2, exec_lo
	ds_load_b128 v[90:93], v2 offset:400
	s_clause 0x2
	scratch_load_b128 v[94:97], off, off offset:240
	scratch_load_b128 v[98:101], off, off offset:64
	;; [unrolled: 1-line block ×3, first 2 shown]
	s_wait_loadcnt_dscnt 0xc00
	v_mul_f64_e32 v[4:5], v[92:93], v[10:11]
	v_mul_f64_e32 v[114:115], v[90:91], v[10:11]
	ds_load_b128 v[102:105], v2 offset:416
	scratch_load_b128 v[10:13], off, off offset:256
	ds_load_b128 v[110:113], v2 offset:448
	v_fma_f64 v[4:5], v[90:91], v[8:9], -v[4:5]
	v_fmac_f64_e32 v[114:115], v[92:93], v[8:9]
	ds_load_b128 v[90:93], v2 offset:432
	s_wait_loadcnt_dscnt 0xc02
	v_mul_f64_e32 v[116:117], v[102:103], v[56:57]
	v_mul_f64_e32 v[56:57], v[104:105], v[56:57]
	s_wait_loadcnt_dscnt 0xb00
	v_mul_f64_e32 v[8:9], v[90:91], v[60:61]
	v_mul_f64_e32 v[60:61], v[92:93], v[60:61]
	v_add_f64_e32 v[4:5], 0, v[4:5]
	v_fmac_f64_e32 v[116:117], v[104:105], v[54:55]
	v_fma_f64 v[102:103], v[102:103], v[54:55], -v[56:57]
	v_add_f64_e32 v[104:105], 0, v[114:115]
	scratch_load_b128 v[54:57], off, off offset:288
	v_fmac_f64_e32 v[8:9], v[92:93], v[58:59]
	v_fma_f64 v[118:119], v[90:91], v[58:59], -v[60:61]
	ds_load_b128 v[58:61], v2 offset:464
	s_wait_loadcnt 0xb
	v_mul_f64_e32 v[114:115], v[110:111], v[64:65]
	v_mul_f64_e32 v[64:65], v[112:113], v[64:65]
	scratch_load_b128 v[90:93], off, off offset:304
	v_add_f64_e32 v[4:5], v[4:5], v[102:103]
	v_add_f64_e32 v[116:117], v[104:105], v[116:117]
	ds_load_b128 v[102:105], v2 offset:480
	s_wait_loadcnt_dscnt 0xb01
	v_mul_f64_e32 v[120:121], v[58:59], v[68:69]
	v_mul_f64_e32 v[68:69], v[60:61], v[68:69]
	v_fmac_f64_e32 v[114:115], v[112:113], v[62:63]
	v_fma_f64 v[62:63], v[110:111], v[62:63], -v[64:65]
	s_wait_loadcnt_dscnt 0xa00
	v_mul_f64_e32 v[110:111], v[102:103], v[72:73]
	v_mul_f64_e32 v[72:73], v[104:105], v[72:73]
	v_add_f64_e32 v[4:5], v[4:5], v[118:119]
	v_add_f64_e32 v[8:9], v[116:117], v[8:9]
	v_fmac_f64_e32 v[120:121], v[60:61], v[66:67]
	v_fma_f64 v[66:67], v[58:59], v[66:67], -v[68:69]
	v_fmac_f64_e32 v[110:111], v[104:105], v[70:71]
	v_fma_f64 v[70:71], v[102:103], v[70:71], -v[72:73]
	v_add_f64_e32 v[4:5], v[4:5], v[62:63]
	v_add_f64_e32 v[8:9], v[8:9], v[114:115]
	ds_load_b128 v[58:61], v2 offset:496
	ds_load_b128 v[62:65], v2 offset:512
	s_wait_loadcnt_dscnt 0x901
	v_mul_f64_e32 v[112:113], v[58:59], v[76:77]
	v_mul_f64_e32 v[68:69], v[60:61], v[76:77]
	s_wait_loadcnt_dscnt 0x800
	v_mul_f64_e32 v[72:73], v[62:63], v[80:81]
	v_mul_f64_e32 v[76:77], v[64:65], v[80:81]
	v_add_f64_e32 v[4:5], v[4:5], v[66:67]
	v_add_f64_e32 v[8:9], v[8:9], v[120:121]
	v_fmac_f64_e32 v[112:113], v[60:61], v[74:75]
	v_fma_f64 v[74:75], v[58:59], v[74:75], -v[68:69]
	ds_load_b128 v[58:61], v2 offset:528
	ds_load_b128 v[66:69], v2 offset:544
	v_fmac_f64_e32 v[72:73], v[64:65], v[78:79]
	v_fma_f64 v[62:63], v[62:63], v[78:79], -v[76:77]
	v_add_f64_e32 v[4:5], v[4:5], v[70:71]
	v_add_f64_e32 v[8:9], v[8:9], v[110:111]
	s_wait_loadcnt_dscnt 0x701
	v_mul_f64_e32 v[70:71], v[58:59], v[84:85]
	v_mul_f64_e32 v[80:81], v[60:61], v[84:85]
	s_wait_loadcnt_dscnt 0x600
	v_mul_f64_e32 v[76:77], v[68:69], v[88:89]
	v_add_f64_e32 v[4:5], v[4:5], v[74:75]
	v_add_f64_e32 v[8:9], v[8:9], v[112:113]
	v_mul_f64_e32 v[74:75], v[66:67], v[88:89]
	v_fmac_f64_e32 v[70:71], v[60:61], v[82:83]
	v_fma_f64 v[78:79], v[58:59], v[82:83], -v[80:81]
	v_fma_f64 v[66:67], v[66:67], v[86:87], -v[76:77]
	v_add_f64_e32 v[4:5], v[4:5], v[62:63]
	v_add_f64_e32 v[8:9], v[8:9], v[72:73]
	ds_load_b128 v[58:61], v2 offset:560
	ds_load_b128 v[62:65], v2 offset:576
	v_fmac_f64_e32 v[74:75], v[68:69], v[86:87]
	s_wait_loadcnt_dscnt 0x501
	v_mul_f64_e32 v[72:73], v[58:59], v[96:97]
	v_mul_f64_e32 v[80:81], v[60:61], v[96:97]
	v_add_f64_e32 v[4:5], v[4:5], v[78:79]
	v_add_f64_e32 v[8:9], v[8:9], v[70:71]
	s_wait_loadcnt_dscnt 0x200
	v_mul_f64_e32 v[70:71], v[62:63], v[12:13]
	v_mul_f64_e32 v[12:13], v[64:65], v[12:13]
	v_fmac_f64_e32 v[72:73], v[60:61], v[94:95]
	v_fma_f64 v[76:77], v[58:59], v[94:95], -v[80:81]
	v_add_f64_e32 v[4:5], v[4:5], v[66:67]
	v_add_f64_e32 v[8:9], v[8:9], v[74:75]
	ds_load_b128 v[58:61], v2 offset:592
	ds_load_b128 v[66:69], v2 offset:608
	v_fmac_f64_e32 v[70:71], v[64:65], v[10:11]
	v_fma_f64 v[10:11], v[62:63], v[10:11], -v[12:13]
	s_wait_dscnt 0x1
	v_mul_f64_e32 v[74:75], v[58:59], v[108:109]
	v_mul_f64_e32 v[78:79], v[60:61], v[108:109]
	v_add_f64_e32 v[4:5], v[4:5], v[76:77]
	v_add_f64_e32 v[8:9], v[8:9], v[72:73]
	s_wait_loadcnt_dscnt 0x100
	v_mul_f64_e32 v[12:13], v[66:67], v[56:57]
	v_mul_f64_e32 v[56:57], v[68:69], v[56:57]
	v_fmac_f64_e32 v[74:75], v[60:61], v[106:107]
	v_fma_f64 v[58:59], v[58:59], v[106:107], -v[78:79]
	v_add_f64_e32 v[4:5], v[4:5], v[10:11]
	v_add_f64_e32 v[60:61], v[8:9], v[70:71]
	ds_load_b128 v[8:11], v2 offset:624
	v_fmac_f64_e32 v[12:13], v[68:69], v[54:55]
	v_fma_f64 v[54:55], v[66:67], v[54:55], -v[56:57]
	s_wait_loadcnt_dscnt 0x0
	v_mul_f64_e32 v[62:63], v[8:9], v[92:93]
	v_mul_f64_e32 v[64:65], v[10:11], v[92:93]
	v_add_f64_e32 v[4:5], v[4:5], v[58:59]
	v_add_f64_e32 v[56:57], v[60:61], v[74:75]
	s_delay_alu instid0(VALU_DEP_4) | instskip(NEXT) | instid1(VALU_DEP_4)
	v_fmac_f64_e32 v[62:63], v[10:11], v[90:91]
	v_fma_f64 v[8:9], v[8:9], v[90:91], -v[64:65]
	s_delay_alu instid0(VALU_DEP_4) | instskip(NEXT) | instid1(VALU_DEP_4)
	v_add_f64_e32 v[4:5], v[4:5], v[54:55]
	v_add_f64_e32 v[10:11], v[56:57], v[12:13]
	s_delay_alu instid0(VALU_DEP_2) | instskip(NEXT) | instid1(VALU_DEP_2)
	v_add_f64_e32 v[4:5], v[4:5], v[8:9]
	v_add_f64_e32 v[10:11], v[10:11], v[62:63]
	s_delay_alu instid0(VALU_DEP_2) | instskip(NEXT) | instid1(VALU_DEP_2)
	v_add_f64_e64 v[8:9], v[98:99], -v[4:5]
	v_add_f64_e64 v[10:11], v[100:101], -v[10:11]
	scratch_store_b128 off, v[8:11], off offset:64
	s_wait_xcnt 0x0
	v_cmpx_lt_u32_e32 3, v1
	s_cbranch_execz .LBB83_127
; %bb.126:
	scratch_load_b128 v[8:11], off, s20
	v_dual_mov_b32 v3, v2 :: v_dual_mov_b32 v4, v2
	v_mov_b32_e32 v5, v2
	scratch_store_b128 off, v[2:5], off offset:48
	s_wait_loadcnt 0x0
	ds_store_b128 v6, v[8:11]
.LBB83_127:
	s_wait_xcnt 0x0
	s_or_b32 exec_lo, exec_lo, s2
	s_wait_storecnt_dscnt 0x0
	s_barrier_signal -1
	s_barrier_wait -1
	s_clause 0x9
	scratch_load_b128 v[8:11], off, off offset:64
	scratch_load_b128 v[54:57], off, off offset:80
	scratch_load_b128 v[58:61], off, off offset:96
	scratch_load_b128 v[62:65], off, off offset:112
	scratch_load_b128 v[66:69], off, off offset:128
	scratch_load_b128 v[70:73], off, off offset:144
	scratch_load_b128 v[74:77], off, off offset:160
	scratch_load_b128 v[78:81], off, off offset:176
	scratch_load_b128 v[82:85], off, off offset:192
	scratch_load_b128 v[86:89], off, off offset:208
	ds_load_b128 v[90:93], v2 offset:384
	ds_load_b128 v[98:101], v2 offset:400
	s_clause 0x1
	scratch_load_b128 v[94:97], off, off offset:224
	scratch_load_b128 v[102:105], off, off offset:48
	s_mov_b32 s2, exec_lo
	s_wait_loadcnt_dscnt 0xb01
	v_mul_f64_e32 v[4:5], v[92:93], v[10:11]
	v_mul_f64_e32 v[114:115], v[90:91], v[10:11]
	scratch_load_b128 v[10:13], off, off offset:240
	s_wait_loadcnt_dscnt 0xb00
	v_mul_f64_e32 v[116:117], v[98:99], v[56:57]
	v_mul_f64_e32 v[56:57], v[100:101], v[56:57]
	v_fma_f64 v[4:5], v[90:91], v[8:9], -v[4:5]
	v_fmac_f64_e32 v[114:115], v[92:93], v[8:9]
	ds_load_b128 v[90:93], v2 offset:416
	ds_load_b128 v[106:109], v2 offset:432
	scratch_load_b128 v[110:113], off, off offset:256
	v_fmac_f64_e32 v[116:117], v[100:101], v[54:55]
	v_fma_f64 v[98:99], v[98:99], v[54:55], -v[56:57]
	scratch_load_b128 v[54:57], off, off offset:272
	s_wait_loadcnt_dscnt 0xc01
	v_mul_f64_e32 v[8:9], v[90:91], v[60:61]
	v_mul_f64_e32 v[60:61], v[92:93], v[60:61]
	v_add_f64_e32 v[4:5], 0, v[4:5]
	v_add_f64_e32 v[100:101], 0, v[114:115]
	s_wait_loadcnt_dscnt 0xb00
	v_mul_f64_e32 v[114:115], v[106:107], v[64:65]
	v_mul_f64_e32 v[64:65], v[108:109], v[64:65]
	v_fmac_f64_e32 v[8:9], v[92:93], v[58:59]
	v_fma_f64 v[118:119], v[90:91], v[58:59], -v[60:61]
	ds_load_b128 v[58:61], v2 offset:448
	ds_load_b128 v[90:93], v2 offset:464
	v_add_f64_e32 v[4:5], v[4:5], v[98:99]
	v_add_f64_e32 v[116:117], v[100:101], v[116:117]
	scratch_load_b128 v[98:101], off, off offset:288
	v_fmac_f64_e32 v[114:115], v[108:109], v[62:63]
	v_fma_f64 v[106:107], v[106:107], v[62:63], -v[64:65]
	scratch_load_b128 v[62:65], off, off offset:304
	s_wait_loadcnt_dscnt 0xc01
	v_mul_f64_e32 v[120:121], v[58:59], v[68:69]
	v_mul_f64_e32 v[68:69], v[60:61], v[68:69]
	s_wait_loadcnt_dscnt 0xb00
	v_mul_f64_e32 v[108:109], v[90:91], v[72:73]
	v_mul_f64_e32 v[72:73], v[92:93], v[72:73]
	v_add_f64_e32 v[4:5], v[4:5], v[118:119]
	v_add_f64_e32 v[8:9], v[116:117], v[8:9]
	v_fmac_f64_e32 v[120:121], v[60:61], v[66:67]
	v_fma_f64 v[116:117], v[58:59], v[66:67], -v[68:69]
	ds_load_b128 v[58:61], v2 offset:480
	ds_load_b128 v[66:69], v2 offset:496
	v_fmac_f64_e32 v[108:109], v[92:93], v[70:71]
	v_fma_f64 v[70:71], v[90:91], v[70:71], -v[72:73]
	s_wait_loadcnt_dscnt 0x900
	v_mul_f64_e32 v[90:91], v[66:67], v[80:81]
	v_add_f64_e32 v[4:5], v[4:5], v[106:107]
	v_add_f64_e32 v[8:9], v[8:9], v[114:115]
	v_mul_f64_e32 v[106:107], v[58:59], v[76:77]
	v_mul_f64_e32 v[76:77], v[60:61], v[76:77]
	;; [unrolled: 1-line block ×3, first 2 shown]
	v_fmac_f64_e32 v[90:91], v[68:69], v[78:79]
	v_add_f64_e32 v[4:5], v[4:5], v[116:117]
	v_add_f64_e32 v[8:9], v[8:9], v[120:121]
	v_fmac_f64_e32 v[106:107], v[60:61], v[74:75]
	v_fma_f64 v[74:75], v[58:59], v[74:75], -v[76:77]
	v_fma_f64 v[66:67], v[66:67], v[78:79], -v[80:81]
	v_add_f64_e32 v[4:5], v[4:5], v[70:71]
	v_add_f64_e32 v[8:9], v[8:9], v[108:109]
	ds_load_b128 v[58:61], v2 offset:512
	ds_load_b128 v[70:73], v2 offset:528
	s_wait_loadcnt_dscnt 0x801
	v_mul_f64_e32 v[76:77], v[58:59], v[84:85]
	v_mul_f64_e32 v[84:85], v[60:61], v[84:85]
	s_wait_loadcnt_dscnt 0x700
	v_mul_f64_e32 v[78:79], v[72:73], v[88:89]
	v_add_f64_e32 v[4:5], v[4:5], v[74:75]
	v_add_f64_e32 v[8:9], v[8:9], v[106:107]
	v_mul_f64_e32 v[74:75], v[70:71], v[88:89]
	v_fmac_f64_e32 v[76:77], v[60:61], v[82:83]
	v_fma_f64 v[80:81], v[58:59], v[82:83], -v[84:85]
	v_fma_f64 v[70:71], v[70:71], v[86:87], -v[78:79]
	v_add_f64_e32 v[4:5], v[4:5], v[66:67]
	v_add_f64_e32 v[8:9], v[8:9], v[90:91]
	ds_load_b128 v[58:61], v2 offset:544
	ds_load_b128 v[66:69], v2 offset:560
	v_fmac_f64_e32 v[74:75], v[72:73], v[86:87]
	s_wait_loadcnt_dscnt 0x601
	v_mul_f64_e32 v[82:83], v[58:59], v[96:97]
	v_mul_f64_e32 v[84:85], v[60:61], v[96:97]
	v_add_f64_e32 v[4:5], v[4:5], v[80:81]
	v_add_f64_e32 v[8:9], v[8:9], v[76:77]
	s_wait_loadcnt_dscnt 0x400
	v_mul_f64_e32 v[76:77], v[66:67], v[12:13]
	v_mul_f64_e32 v[12:13], v[68:69], v[12:13]
	v_fmac_f64_e32 v[82:83], v[60:61], v[94:95]
	v_fma_f64 v[78:79], v[58:59], v[94:95], -v[84:85]
	v_add_f64_e32 v[4:5], v[4:5], v[70:71]
	v_add_f64_e32 v[8:9], v[8:9], v[74:75]
	ds_load_b128 v[58:61], v2 offset:576
	ds_load_b128 v[70:73], v2 offset:592
	v_fmac_f64_e32 v[76:77], v[68:69], v[10:11]
	v_fma_f64 v[10:11], v[66:67], v[10:11], -v[12:13]
	s_wait_loadcnt_dscnt 0x301
	v_mul_f64_e32 v[74:75], v[58:59], v[112:113]
	v_mul_f64_e32 v[80:81], v[60:61], v[112:113]
	s_wait_loadcnt_dscnt 0x200
	v_mul_f64_e32 v[12:13], v[70:71], v[56:57]
	v_mul_f64_e32 v[56:57], v[72:73], v[56:57]
	v_add_f64_e32 v[4:5], v[4:5], v[78:79]
	v_add_f64_e32 v[8:9], v[8:9], v[82:83]
	v_fmac_f64_e32 v[74:75], v[60:61], v[110:111]
	v_fma_f64 v[58:59], v[58:59], v[110:111], -v[80:81]
	v_fmac_f64_e32 v[12:13], v[72:73], v[54:55]
	v_fma_f64 v[54:55], v[70:71], v[54:55], -v[56:57]
	v_add_f64_e32 v[60:61], v[4:5], v[10:11]
	v_add_f64_e32 v[66:67], v[8:9], v[76:77]
	ds_load_b128 v[8:11], v2 offset:608
	ds_load_b128 v[2:5], v2 offset:624
	s_wait_loadcnt_dscnt 0x101
	v_mul_f64_e32 v[68:69], v[8:9], v[100:101]
	v_mul_f64_e32 v[76:77], v[10:11], v[100:101]
	v_add_f64_e32 v[56:57], v[60:61], v[58:59]
	v_add_f64_e32 v[58:59], v[66:67], v[74:75]
	s_wait_loadcnt_dscnt 0x0
	v_mul_f64_e32 v[60:61], v[2:3], v[64:65]
	v_mul_f64_e32 v[64:65], v[4:5], v[64:65]
	v_fmac_f64_e32 v[68:69], v[10:11], v[98:99]
	v_fma_f64 v[8:9], v[8:9], v[98:99], -v[76:77]
	v_add_f64_e32 v[10:11], v[56:57], v[54:55]
	v_add_f64_e32 v[12:13], v[58:59], v[12:13]
	v_fmac_f64_e32 v[60:61], v[4:5], v[62:63]
	v_fma_f64 v[2:3], v[2:3], v[62:63], -v[64:65]
	s_delay_alu instid0(VALU_DEP_4) | instskip(NEXT) | instid1(VALU_DEP_4)
	v_add_f64_e32 v[4:5], v[10:11], v[8:9]
	v_add_f64_e32 v[8:9], v[12:13], v[68:69]
	s_delay_alu instid0(VALU_DEP_2) | instskip(NEXT) | instid1(VALU_DEP_2)
	v_add_f64_e32 v[2:3], v[4:5], v[2:3]
	v_add_f64_e32 v[4:5], v[8:9], v[60:61]
	s_delay_alu instid0(VALU_DEP_2) | instskip(NEXT) | instid1(VALU_DEP_2)
	v_add_f64_e64 v[2:3], v[102:103], -v[2:3]
	v_add_f64_e64 v[4:5], v[104:105], -v[4:5]
	scratch_store_b128 off, v[2:5], off offset:48
	s_wait_xcnt 0x0
	v_cmpx_lt_u32_e32 2, v1
	s_cbranch_execz .LBB83_129
; %bb.128:
	scratch_load_b128 v[2:5], off, s29
	v_mov_b32_e32 v8, 0
	s_delay_alu instid0(VALU_DEP_1)
	v_dual_mov_b32 v9, v8 :: v_dual_mov_b32 v10, v8
	v_mov_b32_e32 v11, v8
	scratch_store_b128 off, v[8:11], off offset:32
	s_wait_loadcnt 0x0
	ds_store_b128 v6, v[2:5]
.LBB83_129:
	s_wait_xcnt 0x0
	s_or_b32 exec_lo, exec_lo, s2
	s_wait_storecnt_dscnt 0x0
	s_barrier_signal -1
	s_barrier_wait -1
	s_clause 0x9
	scratch_load_b128 v[8:11], off, off offset:48
	scratch_load_b128 v[54:57], off, off offset:64
	;; [unrolled: 1-line block ×10, first 2 shown]
	v_mov_b32_e32 v2, 0
	s_mov_b32 s2, exec_lo
	v_dual_ashrrev_i32 v21, 31, v20 :: v_dual_ashrrev_i32 v19, 31, v18
	v_ashrrev_i32_e32 v23, 31, v22
	ds_load_b128 v[90:93], v2 offset:368
	s_clause 0x2
	scratch_load_b128 v[94:97], off, off offset:208
	scratch_load_b128 v[98:101], off, off offset:32
	scratch_load_b128 v[106:109], off, off offset:240
	v_ashrrev_i32_e32 v27, 31, v26
	v_ashrrev_i32_e32 v31, 31, v30
	v_dual_ashrrev_i32 v35, 31, v34 :: v_dual_ashrrev_i32 v25, 31, v24
	v_dual_ashrrev_i32 v29, 31, v28 :: v_dual_ashrrev_i32 v39, 31, v38
	;; [unrolled: 1-line block ×5, first 2 shown]
	v_ashrrev_i32_e32 v45, 31, v44
	v_ashrrev_i32_e32 v49, 31, v48
	s_wait_loadcnt_dscnt 0xc00
	v_dual_mul_f64 v[4:5], v[92:93], v[10:11] :: v_dual_ashrrev_i32 v53, 31, v52
	v_mul_f64_e32 v[114:115], v[90:91], v[10:11]
	ds_load_b128 v[102:105], v2 offset:384
	scratch_load_b128 v[10:13], off, off offset:224
	ds_load_b128 v[110:113], v2 offset:416
	v_fma_f64 v[4:5], v[90:91], v[8:9], -v[4:5]
	v_fmac_f64_e32 v[114:115], v[92:93], v[8:9]
	ds_load_b128 v[90:93], v2 offset:400
	s_wait_loadcnt_dscnt 0xc02
	v_mul_f64_e32 v[116:117], v[102:103], v[56:57]
	v_mul_f64_e32 v[56:57], v[104:105], v[56:57]
	s_wait_loadcnt_dscnt 0xb00
	v_mul_f64_e32 v[8:9], v[90:91], v[60:61]
	v_mul_f64_e32 v[60:61], v[92:93], v[60:61]
	v_add_f64_e32 v[4:5], 0, v[4:5]
	v_fmac_f64_e32 v[116:117], v[104:105], v[54:55]
	v_fma_f64 v[102:103], v[102:103], v[54:55], -v[56:57]
	v_add_f64_e32 v[104:105], 0, v[114:115]
	scratch_load_b128 v[54:57], off, off offset:256
	v_fmac_f64_e32 v[8:9], v[92:93], v[58:59]
	v_fma_f64 v[118:119], v[90:91], v[58:59], -v[60:61]
	ds_load_b128 v[58:61], v2 offset:432
	s_wait_loadcnt 0xb
	v_mul_f64_e32 v[114:115], v[110:111], v[64:65]
	v_mul_f64_e32 v[64:65], v[112:113], v[64:65]
	scratch_load_b128 v[90:93], off, off offset:272
	v_add_f64_e32 v[4:5], v[4:5], v[102:103]
	v_add_f64_e32 v[116:117], v[104:105], v[116:117]
	ds_load_b128 v[102:105], v2 offset:448
	s_wait_loadcnt_dscnt 0xb01
	v_mul_f64_e32 v[120:121], v[58:59], v[68:69]
	v_mul_f64_e32 v[68:69], v[60:61], v[68:69]
	v_fmac_f64_e32 v[114:115], v[112:113], v[62:63]
	v_fma_f64 v[110:111], v[110:111], v[62:63], -v[64:65]
	scratch_load_b128 v[62:65], off, off offset:288
	v_add_f64_e32 v[4:5], v[4:5], v[118:119]
	v_add_f64_e32 v[8:9], v[116:117], v[8:9]
	v_fmac_f64_e32 v[120:121], v[60:61], v[66:67]
	v_fma_f64 v[118:119], v[58:59], v[66:67], -v[68:69]
	ds_load_b128 v[58:61], v2 offset:464
	s_wait_loadcnt_dscnt 0xb01
	v_mul_f64_e32 v[116:117], v[102:103], v[72:73]
	v_mul_f64_e32 v[72:73], v[104:105], v[72:73]
	scratch_load_b128 v[66:69], off, off offset:304
	v_add_f64_e32 v[4:5], v[4:5], v[110:111]
	v_add_f64_e32 v[8:9], v[8:9], v[114:115]
	s_wait_loadcnt_dscnt 0xb00
	v_mul_f64_e32 v[114:115], v[58:59], v[76:77]
	v_mul_f64_e32 v[76:77], v[60:61], v[76:77]
	ds_load_b128 v[110:113], v2 offset:480
	v_fmac_f64_e32 v[116:117], v[104:105], v[70:71]
	v_fma_f64 v[70:71], v[102:103], v[70:71], -v[72:73]
	s_wait_loadcnt_dscnt 0xa00
	v_mul_f64_e32 v[102:103], v[110:111], v[80:81]
	v_mul_f64_e32 v[80:81], v[112:113], v[80:81]
	v_add_f64_e32 v[4:5], v[4:5], v[118:119]
	v_add_f64_e32 v[8:9], v[8:9], v[120:121]
	v_fmac_f64_e32 v[114:115], v[60:61], v[74:75]
	v_fma_f64 v[74:75], v[58:59], v[74:75], -v[76:77]
	v_fmac_f64_e32 v[102:103], v[112:113], v[78:79]
	v_fma_f64 v[78:79], v[110:111], v[78:79], -v[80:81]
	v_add_f64_e32 v[4:5], v[4:5], v[70:71]
	v_add_f64_e32 v[8:9], v[8:9], v[116:117]
	ds_load_b128 v[58:61], v2 offset:496
	ds_load_b128 v[70:73], v2 offset:512
	s_wait_loadcnt_dscnt 0x901
	v_mul_f64_e32 v[104:105], v[58:59], v[84:85]
	v_mul_f64_e32 v[76:77], v[60:61], v[84:85]
	s_wait_loadcnt_dscnt 0x800
	v_mul_f64_e32 v[80:81], v[70:71], v[88:89]
	v_mul_f64_e32 v[84:85], v[72:73], v[88:89]
	v_add_f64_e32 v[4:5], v[4:5], v[74:75]
	v_add_f64_e32 v[8:9], v[8:9], v[114:115]
	v_fmac_f64_e32 v[104:105], v[60:61], v[82:83]
	v_fma_f64 v[82:83], v[58:59], v[82:83], -v[76:77]
	ds_load_b128 v[58:61], v2 offset:528
	ds_load_b128 v[74:77], v2 offset:544
	v_fmac_f64_e32 v[80:81], v[72:73], v[86:87]
	v_fma_f64 v[70:71], v[70:71], v[86:87], -v[84:85]
	v_add_f64_e32 v[4:5], v[4:5], v[78:79]
	v_add_f64_e32 v[8:9], v[8:9], v[102:103]
	s_wait_loadcnt_dscnt 0x701
	v_mul_f64_e32 v[78:79], v[58:59], v[96:97]
	v_mul_f64_e32 v[88:89], v[60:61], v[96:97]
	s_delay_alu instid0(VALU_DEP_4) | instskip(NEXT) | instid1(VALU_DEP_4)
	v_add_f64_e32 v[4:5], v[4:5], v[82:83]
	v_add_f64_e32 v[8:9], v[8:9], v[104:105]
	s_wait_loadcnt_dscnt 0x400
	v_mul_f64_e32 v[82:83], v[74:75], v[12:13]
	v_mul_f64_e32 v[12:13], v[76:77], v[12:13]
	v_fmac_f64_e32 v[78:79], v[60:61], v[94:95]
	v_fma_f64 v[84:85], v[58:59], v[94:95], -v[88:89]
	v_add_f64_e32 v[4:5], v[4:5], v[70:71]
	v_add_f64_e32 v[8:9], v[8:9], v[80:81]
	ds_load_b128 v[58:61], v2 offset:560
	ds_load_b128 v[70:73], v2 offset:576
	v_fmac_f64_e32 v[82:83], v[76:77], v[10:11]
	v_fma_f64 v[10:11], v[74:75], v[10:11], -v[12:13]
	s_wait_dscnt 0x1
	v_mul_f64_e32 v[80:81], v[58:59], v[108:109]
	v_mul_f64_e32 v[86:87], v[60:61], v[108:109]
	v_add_f64_e32 v[4:5], v[4:5], v[84:85]
	v_add_f64_e32 v[8:9], v[8:9], v[78:79]
	s_wait_loadcnt_dscnt 0x300
	v_mul_f64_e32 v[12:13], v[70:71], v[56:57]
	v_mul_f64_e32 v[74:75], v[72:73], v[56:57]
	v_fmac_f64_e32 v[80:81], v[60:61], v[106:107]
	v_fma_f64 v[60:61], v[58:59], v[106:107], -v[86:87]
	v_add_f64_e32 v[4:5], v[4:5], v[10:11]
	v_add_f64_e32 v[76:77], v[8:9], v[82:83]
	ds_load_b128 v[8:11], v2 offset:592
	ds_load_b128 v[56:59], v2 offset:608
	v_fmac_f64_e32 v[12:13], v[72:73], v[54:55]
	v_fma_f64 v[54:55], v[70:71], v[54:55], -v[74:75]
	s_wait_loadcnt_dscnt 0x201
	v_mul_f64_e32 v[78:79], v[8:9], v[92:93]
	v_mul_f64_e32 v[82:83], v[10:11], v[92:93]
	s_wait_loadcnt_dscnt 0x100
	v_mul_f64_e32 v[70:71], v[56:57], v[64:65]
	v_mul_f64_e32 v[64:65], v[58:59], v[64:65]
	v_add_f64_e32 v[4:5], v[4:5], v[60:61]
	v_add_f64_e32 v[60:61], v[76:77], v[80:81]
	v_fmac_f64_e32 v[78:79], v[10:11], v[90:91]
	v_fma_f64 v[72:73], v[8:9], v[90:91], -v[82:83]
	ds_load_b128 v[8:11], v2 offset:624
	v_fmac_f64_e32 v[70:71], v[58:59], v[62:63]
	v_fma_f64 v[56:57], v[56:57], v[62:63], -v[64:65]
	v_add_f64_e32 v[4:5], v[4:5], v[54:55]
	v_add_f64_e32 v[12:13], v[60:61], v[12:13]
	s_wait_loadcnt_dscnt 0x0
	v_mul_f64_e32 v[54:55], v[8:9], v[68:69]
	v_mul_f64_e32 v[60:61], v[10:11], v[68:69]
	s_delay_alu instid0(VALU_DEP_4) | instskip(NEXT) | instid1(VALU_DEP_4)
	v_add_f64_e32 v[4:5], v[4:5], v[72:73]
	v_add_f64_e32 v[12:13], v[12:13], v[78:79]
	s_delay_alu instid0(VALU_DEP_4) | instskip(NEXT) | instid1(VALU_DEP_4)
	v_fmac_f64_e32 v[54:55], v[10:11], v[66:67]
	v_fma_f64 v[8:9], v[8:9], v[66:67], -v[60:61]
	s_delay_alu instid0(VALU_DEP_4) | instskip(NEXT) | instid1(VALU_DEP_4)
	v_add_f64_e32 v[4:5], v[4:5], v[56:57]
	v_add_f64_e32 v[10:11], v[12:13], v[70:71]
	s_delay_alu instid0(VALU_DEP_2) | instskip(NEXT) | instid1(VALU_DEP_2)
	v_add_f64_e32 v[4:5], v[4:5], v[8:9]
	v_add_f64_e32 v[10:11], v[10:11], v[54:55]
	s_delay_alu instid0(VALU_DEP_2) | instskip(NEXT) | instid1(VALU_DEP_2)
	v_add_f64_e64 v[8:9], v[98:99], -v[4:5]
	v_add_f64_e64 v[10:11], v[100:101], -v[10:11]
	scratch_store_b128 off, v[8:11], off offset:32
	s_wait_xcnt 0x0
	v_cmpx_lt_u32_e32 1, v1
	s_cbranch_execz .LBB83_131
; %bb.130:
	scratch_load_b128 v[8:11], off, s30
	v_dual_mov_b32 v3, v2 :: v_dual_mov_b32 v4, v2
	v_mov_b32_e32 v5, v2
	scratch_store_b128 off, v[2:5], off offset:16
	s_wait_loadcnt 0x0
	ds_store_b128 v6, v[8:11]
.LBB83_131:
	s_wait_xcnt 0x0
	s_or_b32 exec_lo, exec_lo, s2
	s_wait_storecnt_dscnt 0x0
	s_barrier_signal -1
	s_barrier_wait -1
	s_clause 0x9
	scratch_load_b128 v[8:11], off, off offset:32
	scratch_load_b128 v[54:57], off, off offset:48
	;; [unrolled: 1-line block ×10, first 2 shown]
	ds_load_b128 v[90:93], v2 offset:352
	s_clause 0x2
	scratch_load_b128 v[94:97], off, off offset:192
	scratch_load_b128 v[98:101], off, off offset:208
	;; [unrolled: 1-line block ×3, first 2 shown]
	s_mov_b32 s2, exec_lo
	s_wait_loadcnt_dscnt 0xc00
	v_mul_f64_e32 v[4:5], v[92:93], v[10:11]
	v_mul_f64_e32 v[106:107], v[90:91], v[10:11]
	ds_load_b128 v[10:13], v2 offset:368
	v_fma_f64 v[4:5], v[90:91], v[8:9], -v[4:5]
	v_fmac_f64_e32 v[106:107], v[92:93], v[8:9]
	ds_load_b128 v[90:93], v2 offset:384
	s_wait_loadcnt_dscnt 0xb01
	v_mul_f64_e32 v[108:109], v[10:11], v[56:57]
	v_mul_f64_e32 v[56:57], v[12:13], v[56:57]
	s_wait_loadcnt_dscnt 0xa00
	v_mul_f64_e32 v[110:111], v[90:91], v[60:61]
	v_mul_f64_e32 v[60:61], v[92:93], v[60:61]
	v_add_f64_e32 v[4:5], 0, v[4:5]
	v_add_f64_e32 v[106:107], 0, v[106:107]
	v_fmac_f64_e32 v[108:109], v[12:13], v[54:55]
	v_fma_f64 v[12:13], v[10:11], v[54:55], -v[56:57]
	ds_load_b128 v[8:11], v2 offset:400
	scratch_load_b128 v[54:57], off, off offset:240
	v_fmac_f64_e32 v[110:111], v[92:93], v[58:59]
	v_fma_f64 v[114:115], v[90:91], v[58:59], -v[60:61]
	ds_load_b128 v[58:61], v2 offset:416
	s_wait_loadcnt_dscnt 0xa01
	v_mul_f64_e32 v[112:113], v[8:9], v[64:65]
	v_mul_f64_e32 v[64:65], v[10:11], v[64:65]
	scratch_load_b128 v[90:93], off, off offset:256
	v_add_f64_e32 v[4:5], v[4:5], v[12:13]
	v_add_f64_e32 v[12:13], v[106:107], v[108:109]
	s_wait_loadcnt_dscnt 0xa00
	v_mul_f64_e32 v[106:107], v[58:59], v[68:69]
	v_mul_f64_e32 v[68:69], v[60:61], v[68:69]
	v_fmac_f64_e32 v[112:113], v[10:11], v[62:63]
	v_fma_f64 v[108:109], v[8:9], v[62:63], -v[64:65]
	ds_load_b128 v[8:11], v2 offset:432
	scratch_load_b128 v[62:65], off, off offset:272
	v_add_f64_e32 v[4:5], v[4:5], v[114:115]
	v_add_f64_e32 v[12:13], v[12:13], v[110:111]
	v_fmac_f64_e32 v[106:107], v[60:61], v[66:67]
	v_fma_f64 v[114:115], v[58:59], v[66:67], -v[68:69]
	ds_load_b128 v[58:61], v2 offset:448
	s_wait_loadcnt_dscnt 0xa01
	v_mul_f64_e32 v[110:111], v[8:9], v[72:73]
	v_mul_f64_e32 v[72:73], v[10:11], v[72:73]
	scratch_load_b128 v[66:69], off, off offset:288
	v_add_f64_e32 v[4:5], v[4:5], v[108:109]
	v_add_f64_e32 v[12:13], v[12:13], v[112:113]
	s_wait_loadcnt_dscnt 0xa00
	v_mul_f64_e32 v[108:109], v[58:59], v[76:77]
	v_mul_f64_e32 v[76:77], v[60:61], v[76:77]
	v_fmac_f64_e32 v[110:111], v[10:11], v[70:71]
	v_fma_f64 v[112:113], v[8:9], v[70:71], -v[72:73]
	ds_load_b128 v[8:11], v2 offset:464
	scratch_load_b128 v[70:73], off, off offset:304
	v_add_f64_e32 v[4:5], v[4:5], v[114:115]
	v_add_f64_e32 v[12:13], v[12:13], v[106:107]
	v_fmac_f64_e32 v[108:109], v[60:61], v[74:75]
	v_fma_f64 v[74:75], v[58:59], v[74:75], -v[76:77]
	ds_load_b128 v[58:61], v2 offset:480
	s_wait_loadcnt_dscnt 0xa01
	v_mul_f64_e32 v[106:107], v[8:9], v[80:81]
	v_mul_f64_e32 v[80:81], v[10:11], v[80:81]
	s_wait_loadcnt_dscnt 0x900
	v_mul_f64_e32 v[76:77], v[60:61], v[84:85]
	v_add_f64_e32 v[4:5], v[4:5], v[112:113]
	v_add_f64_e32 v[12:13], v[12:13], v[110:111]
	v_mul_f64_e32 v[110:111], v[58:59], v[84:85]
	v_fmac_f64_e32 v[106:107], v[10:11], v[78:79]
	v_fma_f64 v[78:79], v[8:9], v[78:79], -v[80:81]
	ds_load_b128 v[8:11], v2 offset:496
	v_add_f64_e32 v[4:5], v[4:5], v[74:75]
	v_add_f64_e32 v[12:13], v[12:13], v[108:109]
	v_fmac_f64_e32 v[110:111], v[60:61], v[82:83]
	v_fma_f64 v[82:83], v[58:59], v[82:83], -v[76:77]
	ds_load_b128 v[58:61], v2 offset:512
	s_wait_loadcnt_dscnt 0x801
	v_mul_f64_e32 v[80:81], v[8:9], v[88:89]
	v_mul_f64_e32 v[84:85], v[10:11], v[88:89]
	scratch_load_b128 v[74:77], off, off offset:16
	s_wait_loadcnt_dscnt 0x800
	v_mul_f64_e32 v[88:89], v[60:61], v[96:97]
	v_add_f64_e32 v[4:5], v[4:5], v[78:79]
	v_add_f64_e32 v[12:13], v[12:13], v[106:107]
	v_mul_f64_e32 v[78:79], v[58:59], v[96:97]
	v_fmac_f64_e32 v[80:81], v[10:11], v[86:87]
	v_fma_f64 v[84:85], v[8:9], v[86:87], -v[84:85]
	ds_load_b128 v[8:11], v2 offset:528
	v_fma_f64 v[88:89], v[58:59], v[94:95], -v[88:89]
	v_add_f64_e32 v[4:5], v[4:5], v[82:83]
	v_add_f64_e32 v[12:13], v[12:13], v[110:111]
	v_fmac_f64_e32 v[78:79], v[60:61], v[94:95]
	ds_load_b128 v[58:61], v2 offset:544
	s_wait_loadcnt_dscnt 0x701
	v_mul_f64_e32 v[82:83], v[8:9], v[100:101]
	v_mul_f64_e32 v[86:87], v[10:11], v[100:101]
	v_add_f64_e32 v[4:5], v[4:5], v[84:85]
	v_add_f64_e32 v[12:13], v[12:13], v[80:81]
	s_wait_loadcnt_dscnt 0x600
	v_mul_f64_e32 v[80:81], v[58:59], v[104:105]
	v_mul_f64_e32 v[84:85], v[60:61], v[104:105]
	v_fmac_f64_e32 v[82:83], v[10:11], v[98:99]
	v_fma_f64 v[86:87], v[8:9], v[98:99], -v[86:87]
	ds_load_b128 v[8:11], v2 offset:560
	v_add_f64_e32 v[4:5], v[4:5], v[88:89]
	v_add_f64_e32 v[12:13], v[12:13], v[78:79]
	s_wait_loadcnt_dscnt 0x500
	v_mul_f64_e32 v[78:79], v[8:9], v[56:57]
	v_mul_f64_e32 v[88:89], v[10:11], v[56:57]
	v_fmac_f64_e32 v[80:81], v[60:61], v[102:103]
	v_fma_f64 v[60:61], v[58:59], v[102:103], -v[84:85]
	ds_load_b128 v[56:59], v2 offset:576
	v_add_f64_e32 v[4:5], v[4:5], v[86:87]
	v_add_f64_e32 v[12:13], v[12:13], v[82:83]
	v_fmac_f64_e32 v[78:79], v[10:11], v[54:55]
	v_fma_f64 v[54:55], v[8:9], v[54:55], -v[88:89]
	ds_load_b128 v[8:11], v2 offset:592
	s_wait_loadcnt_dscnt 0x401
	v_mul_f64_e32 v[82:83], v[56:57], v[92:93]
	v_mul_f64_e32 v[84:85], v[58:59], v[92:93]
	v_add_f64_e32 v[4:5], v[4:5], v[60:61]
	v_add_f64_e32 v[12:13], v[12:13], v[80:81]
	s_wait_loadcnt_dscnt 0x300
	v_mul_f64_e32 v[60:61], v[8:9], v[64:65]
	v_mul_f64_e32 v[64:65], v[10:11], v[64:65]
	v_fmac_f64_e32 v[82:83], v[58:59], v[90:91]
	v_fma_f64 v[58:59], v[56:57], v[90:91], -v[84:85]
	v_add_f64_e32 v[4:5], v[4:5], v[54:55]
	v_add_f64_e32 v[12:13], v[12:13], v[78:79]
	ds_load_b128 v[54:57], v2 offset:608
	v_fmac_f64_e32 v[60:61], v[10:11], v[62:63]
	v_fma_f64 v[8:9], v[8:9], v[62:63], -v[64:65]
	s_wait_loadcnt_dscnt 0x200
	v_mul_f64_e32 v[78:79], v[54:55], v[68:69]
	v_mul_f64_e32 v[68:69], v[56:57], v[68:69]
	v_add_f64_e32 v[10:11], v[4:5], v[58:59]
	v_add_f64_e32 v[12:13], v[12:13], v[82:83]
	ds_load_b128 v[2:5], v2 offset:624
	s_wait_loadcnt_dscnt 0x100
	v_mul_f64_e32 v[58:59], v[2:3], v[72:73]
	v_mul_f64_e32 v[62:63], v[4:5], v[72:73]
	v_fmac_f64_e32 v[78:79], v[56:57], v[66:67]
	v_fma_f64 v[54:55], v[54:55], v[66:67], -v[68:69]
	v_add_f64_e32 v[8:9], v[10:11], v[8:9]
	v_add_f64_e32 v[10:11], v[12:13], v[60:61]
	v_fmac_f64_e32 v[58:59], v[4:5], v[70:71]
	v_fma_f64 v[2:3], v[2:3], v[70:71], -v[62:63]
	s_delay_alu instid0(VALU_DEP_4) | instskip(NEXT) | instid1(VALU_DEP_4)
	v_add_f64_e32 v[4:5], v[8:9], v[54:55]
	v_add_f64_e32 v[8:9], v[10:11], v[78:79]
	s_delay_alu instid0(VALU_DEP_2) | instskip(NEXT) | instid1(VALU_DEP_2)
	v_add_f64_e32 v[2:3], v[4:5], v[2:3]
	v_add_f64_e32 v[4:5], v[8:9], v[58:59]
	s_wait_loadcnt 0x0
	s_delay_alu instid0(VALU_DEP_2) | instskip(NEXT) | instid1(VALU_DEP_2)
	v_add_f64_e64 v[2:3], v[74:75], -v[2:3]
	v_add_f64_e64 v[4:5], v[76:77], -v[4:5]
	scratch_store_b128 off, v[2:5], off offset:16
	s_wait_xcnt 0x0
	v_cmpx_ne_u32_e32 0, v1
	s_cbranch_execz .LBB83_133
; %bb.132:
	scratch_load_b128 v[2:5], off, off
	v_mov_b32_e32 v8, 0
	s_delay_alu instid0(VALU_DEP_1)
	v_dual_mov_b32 v9, v8 :: v_dual_mov_b32 v10, v8
	v_mov_b32_e32 v11, v8
	scratch_store_b128 off, v[8:11], off
	s_wait_loadcnt 0x0
	ds_store_b128 v6, v[2:5]
.LBB83_133:
	s_wait_xcnt 0x0
	s_or_b32 exec_lo, exec_lo, s2
	s_wait_storecnt_dscnt 0x0
	s_barrier_signal -1
	s_barrier_wait -1
	s_clause 0x9
	scratch_load_b128 v[2:5], off, off offset:16
	scratch_load_b128 v[6:9], off, off offset:32
	;; [unrolled: 1-line block ×10, first 2 shown]
	v_mov_b32_e32 v66, 0
	s_and_b32 vcc_lo, exec_lo, s31
	ds_load_b128 v[84:87], v66 offset:336
	s_clause 0x2
	scratch_load_b128 v[88:91], off, off offset:176
	scratch_load_b128 v[92:95], off, off
	scratch_load_b128 v[100:103], off, off offset:192
	s_wait_loadcnt_dscnt 0xc00
	v_mul_f64_e32 v[104:105], v[86:87], v[4:5]
	v_mul_f64_e32 v[108:109], v[84:85], v[4:5]
	ds_load_b128 v[96:99], v66 offset:352
	v_fma_f64 v[112:113], v[84:85], v[2:3], -v[104:105]
	v_fmac_f64_e32 v[108:109], v[86:87], v[2:3]
	ds_load_b128 v[2:5], v66 offset:368
	s_wait_loadcnt_dscnt 0xb01
	v_mul_f64_e32 v[110:111], v[96:97], v[8:9]
	v_mul_f64_e32 v[8:9], v[98:99], v[8:9]
	scratch_load_b128 v[84:87], off, off offset:208
	ds_load_b128 v[104:107], v66 offset:384
	s_wait_loadcnt_dscnt 0xb01
	v_mul_f64_e32 v[114:115], v[2:3], v[12:13]
	v_mul_f64_e32 v[12:13], v[4:5], v[12:13]
	v_add_f64_e32 v[108:109], 0, v[108:109]
	v_fmac_f64_e32 v[110:111], v[98:99], v[6:7]
	v_fma_f64 v[96:97], v[96:97], v[6:7], -v[8:9]
	v_add_f64_e32 v[98:99], 0, v[112:113]
	scratch_load_b128 v[6:9], off, off offset:224
	v_fmac_f64_e32 v[114:115], v[4:5], v[10:11]
	v_fma_f64 v[116:117], v[2:3], v[10:11], -v[12:13]
	ds_load_b128 v[2:5], v66 offset:400
	s_wait_loadcnt_dscnt 0xb01
	v_mul_f64_e32 v[112:113], v[104:105], v[56:57]
	v_mul_f64_e32 v[56:57], v[106:107], v[56:57]
	scratch_load_b128 v[10:13], off, off offset:240
	v_add_f64_e32 v[108:109], v[108:109], v[110:111]
	v_add_f64_e32 v[118:119], v[98:99], v[96:97]
	ds_load_b128 v[96:99], v66 offset:416
	s_wait_loadcnt_dscnt 0xb01
	v_mul_f64_e32 v[110:111], v[2:3], v[60:61]
	v_mul_f64_e32 v[60:61], v[4:5], v[60:61]
	v_fmac_f64_e32 v[112:113], v[106:107], v[54:55]
	v_fma_f64 v[104:105], v[104:105], v[54:55], -v[56:57]
	scratch_load_b128 v[54:57], off, off offset:256
	v_add_f64_e32 v[108:109], v[108:109], v[114:115]
	v_add_f64_e32 v[106:107], v[118:119], v[116:117]
	v_fmac_f64_e32 v[110:111], v[4:5], v[58:59]
	v_fma_f64 v[116:117], v[2:3], v[58:59], -v[60:61]
	ds_load_b128 v[2:5], v66 offset:432
	s_wait_loadcnt_dscnt 0xb01
	v_mul_f64_e32 v[114:115], v[96:97], v[64:65]
	v_mul_f64_e32 v[64:65], v[98:99], v[64:65]
	scratch_load_b128 v[58:61], off, off offset:272
	v_add_f64_e32 v[108:109], v[108:109], v[112:113]
	s_wait_loadcnt_dscnt 0xb00
	v_mul_f64_e32 v[112:113], v[2:3], v[70:71]
	v_add_f64_e32 v[118:119], v[106:107], v[104:105]
	v_mul_f64_e32 v[70:71], v[4:5], v[70:71]
	ds_load_b128 v[104:107], v66 offset:448
	v_fmac_f64_e32 v[114:115], v[98:99], v[62:63]
	v_fma_f64 v[96:97], v[96:97], v[62:63], -v[64:65]
	scratch_load_b128 v[62:65], off, off offset:288
	v_add_f64_e32 v[108:109], v[108:109], v[110:111]
	v_fmac_f64_e32 v[112:113], v[4:5], v[68:69]
	v_add_f64_e32 v[98:99], v[118:119], v[116:117]
	v_fma_f64 v[116:117], v[2:3], v[68:69], -v[70:71]
	ds_load_b128 v[2:5], v66 offset:464
	s_wait_loadcnt_dscnt 0xb01
	v_mul_f64_e32 v[110:111], v[104:105], v[74:75]
	v_mul_f64_e32 v[74:75], v[106:107], v[74:75]
	scratch_load_b128 v[68:71], off, off offset:304
	v_add_f64_e32 v[108:109], v[108:109], v[114:115]
	s_wait_loadcnt_dscnt 0xb00
	v_mul_f64_e32 v[114:115], v[2:3], v[78:79]
	v_add_f64_e32 v[118:119], v[98:99], v[96:97]
	v_mul_f64_e32 v[78:79], v[4:5], v[78:79]
	ds_load_b128 v[96:99], v66 offset:480
	v_fmac_f64_e32 v[110:111], v[106:107], v[72:73]
	v_fma_f64 v[72:73], v[104:105], v[72:73], -v[74:75]
	s_wait_loadcnt_dscnt 0xa00
	v_mul_f64_e32 v[106:107], v[96:97], v[82:83]
	v_mul_f64_e32 v[82:83], v[98:99], v[82:83]
	v_add_f64_e32 v[104:105], v[108:109], v[112:113]
	v_fmac_f64_e32 v[114:115], v[4:5], v[76:77]
	v_add_f64_e32 v[74:75], v[118:119], v[116:117]
	v_fma_f64 v[76:77], v[2:3], v[76:77], -v[78:79]
	v_fmac_f64_e32 v[106:107], v[98:99], v[80:81]
	v_fma_f64 v[80:81], v[96:97], v[80:81], -v[82:83]
	v_add_f64_e32 v[104:105], v[104:105], v[110:111]
	v_add_f64_e32 v[78:79], v[74:75], v[72:73]
	ds_load_b128 v[2:5], v66 offset:496
	ds_load_b128 v[72:75], v66 offset:512
	s_wait_loadcnt_dscnt 0x901
	v_mul_f64_e32 v[108:109], v[2:3], v[90:91]
	v_mul_f64_e32 v[90:91], v[4:5], v[90:91]
	s_wait_loadcnt_dscnt 0x700
	v_mul_f64_e32 v[82:83], v[72:73], v[102:103]
	v_mul_f64_e32 v[96:97], v[74:75], v[102:103]
	v_add_f64_e32 v[76:77], v[78:79], v[76:77]
	v_add_f64_e32 v[78:79], v[104:105], v[114:115]
	v_fmac_f64_e32 v[108:109], v[4:5], v[88:89]
	v_fma_f64 v[88:89], v[2:3], v[88:89], -v[90:91]
	v_fmac_f64_e32 v[82:83], v[74:75], v[100:101]
	v_fma_f64 v[72:73], v[72:73], v[100:101], -v[96:97]
	v_add_f64_e32 v[80:81], v[76:77], v[80:81]
	v_add_f64_e32 v[90:91], v[78:79], v[106:107]
	ds_load_b128 v[2:5], v66 offset:528
	ds_load_b128 v[76:79], v66 offset:544
	s_wait_loadcnt_dscnt 0x601
	v_mul_f64_e32 v[98:99], v[2:3], v[86:87]
	v_mul_f64_e32 v[86:87], v[4:5], v[86:87]
	v_add_f64_e32 v[74:75], v[80:81], v[88:89]
	v_add_f64_e32 v[80:81], v[90:91], v[108:109]
	s_wait_loadcnt_dscnt 0x500
	v_mul_f64_e32 v[88:89], v[76:77], v[8:9]
	v_mul_f64_e32 v[8:9], v[78:79], v[8:9]
	v_fmac_f64_e32 v[98:99], v[4:5], v[84:85]
	v_fma_f64 v[84:85], v[2:3], v[84:85], -v[86:87]
	v_add_f64_e32 v[86:87], v[74:75], v[72:73]
	v_add_f64_e32 v[80:81], v[80:81], v[82:83]
	ds_load_b128 v[2:5], v66 offset:560
	ds_load_b128 v[72:75], v66 offset:576
	v_fmac_f64_e32 v[88:89], v[78:79], v[6:7]
	v_fma_f64 v[6:7], v[76:77], v[6:7], -v[8:9]
	s_wait_loadcnt_dscnt 0x401
	v_mul_f64_e32 v[82:83], v[2:3], v[12:13]
	v_mul_f64_e32 v[12:13], v[4:5], v[12:13]
	s_wait_loadcnt_dscnt 0x300
	v_mul_f64_e32 v[78:79], v[72:73], v[56:57]
	v_mul_f64_e32 v[56:57], v[74:75], v[56:57]
	v_add_f64_e32 v[8:9], v[86:87], v[84:85]
	v_add_f64_e32 v[76:77], v[80:81], v[98:99]
	v_fmac_f64_e32 v[82:83], v[4:5], v[10:11]
	v_fma_f64 v[10:11], v[2:3], v[10:11], -v[12:13]
	v_fmac_f64_e32 v[78:79], v[74:75], v[54:55]
	v_fma_f64 v[54:55], v[72:73], v[54:55], -v[56:57]
	v_add_f64_e32 v[12:13], v[8:9], v[6:7]
	v_add_f64_e32 v[76:77], v[76:77], v[88:89]
	ds_load_b128 v[2:5], v66 offset:592
	ds_load_b128 v[6:9], v66 offset:608
	s_wait_loadcnt_dscnt 0x201
	v_mul_f64_e32 v[80:81], v[2:3], v[60:61]
	v_mul_f64_e32 v[60:61], v[4:5], v[60:61]
	s_wait_loadcnt_dscnt 0x100
	v_mul_f64_e32 v[56:57], v[6:7], v[64:65]
	v_mul_f64_e32 v[64:65], v[8:9], v[64:65]
	v_add_f64_e32 v[10:11], v[12:13], v[10:11]
	v_add_f64_e32 v[12:13], v[76:77], v[82:83]
	v_fmac_f64_e32 v[80:81], v[4:5], v[58:59]
	v_fma_f64 v[58:59], v[2:3], v[58:59], -v[60:61]
	ds_load_b128 v[2:5], v66 offset:624
	v_fmac_f64_e32 v[56:57], v[8:9], v[62:63]
	v_fma_f64 v[6:7], v[6:7], v[62:63], -v[64:65]
	v_lshl_add_u64 v[64:65], v[18:19], 4, s[4:5]
	v_lshl_add_u64 v[62:63], v[20:21], 4, s[4:5]
	;; [unrolled: 1-line block ×4, first 2 shown]
	v_add_f64_e32 v[10:11], v[10:11], v[54:55]
	v_add_f64_e32 v[12:13], v[12:13], v[78:79]
	s_wait_loadcnt_dscnt 0x0
	v_mul_f64_e32 v[54:55], v[2:3], v[70:71]
	v_mul_f64_e32 v[60:61], v[4:5], v[70:71]
	s_delay_alu instid0(VALU_DEP_4) | instskip(NEXT) | instid1(VALU_DEP_4)
	v_add_f64_e32 v[8:9], v[10:11], v[58:59]
	v_add_f64_e32 v[10:11], v[12:13], v[80:81]
	v_lshl_add_u64 v[58:59], v[24:25], 4, s[4:5]
	v_lshl_add_u64 v[24:25], v[34:35], 4, s[4:5]
	;; [unrolled: 1-line block ×3, first 2 shown]
	v_fmac_f64_e32 v[54:55], v[4:5], v[68:69]
	v_fma_f64 v[2:3], v[2:3], v[68:69], -v[60:61]
	v_lshl_add_u64 v[60:61], v[22:23], 4, s[4:5]
	v_lshl_add_u64 v[22:23], v[36:37], 4, s[4:5]
	v_add_f64_e32 v[4:5], v[8:9], v[6:7]
	v_add_f64_e32 v[6:7], v[10:11], v[56:57]
	v_lshl_add_u64 v[56:57], v[26:27], 4, s[4:5]
	v_lshl_add_u64 v[26:27], v[32:33], 4, s[4:5]
	;; [unrolled: 1-line block ×4, first 2 shown]
	v_add_f64_e32 v[2:3], v[4:5], v[2:3]
	v_add_f64_e32 v[4:5], v[6:7], v[54:55]
	v_lshl_add_u64 v[54:55], v[28:29], 4, s[4:5]
	v_lshl_add_u64 v[28:29], v[30:31], 4, s[4:5]
	;; [unrolled: 1-line block ×3, first 2 shown]
	v_add_f64_e64 v[68:69], v[92:93], -v[2:3]
	v_add_f64_e64 v[70:71], v[94:95], -v[4:5]
	v_lshl_add_u64 v[4:5], v[50:51], 4, s[4:5]
	v_lshl_add_u64 v[2:3], v[52:53], 4, s[4:5]
	scratch_store_b128 off, v[68:71], off
	s_cbranch_vccz .LBB83_172
; %bb.134:
	global_load_b32 v30, v66, s[8:9] offset:72
	s_load_b64 s[2:3], s[0:1], 0x4
	v_bfe_u32 v31, v0, 10, 10
	v_bfe_u32 v0, v0, 20, 10
	s_wait_kmcnt 0x0
	s_lshr_b32 s0, s2, 16
	s_delay_alu instid0(VALU_DEP_2) | instskip(SKIP_1) | instid1(SALU_CYCLE_1)
	v_mul_u32_u24_e32 v31, s3, v31
	s_mul_i32 s0, s0, s3
	v_mul_u32_u24_e32 v1, s0, v1
	s_delay_alu instid0(VALU_DEP_1) | instskip(NEXT) | instid1(VALU_DEP_1)
	v_add3_u32 v0, v1, v31, v0
	v_lshl_add_u32 v0, v0, 4, 0x288
	s_wait_loadcnt 0x0
	v_cmp_ne_u32_e32 vcc_lo, 19, v30
	s_cbranch_vccz .LBB83_136
; %bb.135:
	v_lshlrev_b32_e32 v1, 4, v30
	s_clause 0x1
	scratch_load_b128 v[30:33], off, s28
	scratch_load_b128 v[34:37], v1, off offset:-16
	s_wait_loadcnt 0x1
	ds_store_2addr_b64 v0, v[30:31], v[32:33] offset1:1
	s_wait_loadcnt 0x0
	s_clause 0x1
	scratch_store_b128 off, v[34:37], s28
	scratch_store_b128 v1, v[30:33], off offset:-16
.LBB83_136:
	s_wait_xcnt 0x0
	v_mov_b32_e32 v1, 0
	global_load_b32 v30, v1, s[8:9] offset:68
	s_wait_loadcnt 0x0
	v_cmp_eq_u32_e32 vcc_lo, 18, v30
	s_cbranch_vccnz .LBB83_138
; %bb.137:
	v_lshlrev_b32_e32 v30, 4, v30
	s_delay_alu instid0(VALU_DEP_1)
	v_mov_b32_e32 v38, v30
	s_clause 0x1
	scratch_load_b128 v[30:33], off, s18
	scratch_load_b128 v[34:37], v38, off offset:-16
	s_wait_loadcnt 0x1
	ds_store_2addr_b64 v0, v[30:31], v[32:33] offset1:1
	s_wait_loadcnt 0x0
	s_clause 0x1
	scratch_store_b128 off, v[34:37], s18
	scratch_store_b128 v38, v[30:33], off offset:-16
.LBB83_138:
	global_load_b32 v1, v1, s[8:9] offset:64
	s_wait_loadcnt 0x0
	v_cmp_eq_u32_e32 vcc_lo, 17, v1
	s_cbranch_vccnz .LBB83_140
; %bb.139:
	s_wait_xcnt 0x0
	v_lshlrev_b32_e32 v1, 4, v1
	s_clause 0x1
	scratch_load_b128 v[30:33], off, s27
	scratch_load_b128 v[34:37], v1, off offset:-16
	s_wait_loadcnt 0x1
	ds_store_2addr_b64 v0, v[30:31], v[32:33] offset1:1
	s_wait_loadcnt 0x0
	s_clause 0x1
	scratch_store_b128 off, v[34:37], s27
	scratch_store_b128 v1, v[30:33], off offset:-16
.LBB83_140:
	s_wait_xcnt 0x0
	v_mov_b32_e32 v1, 0
	global_load_b32 v30, v1, s[8:9] offset:60
	s_wait_loadcnt 0x0
	v_cmp_eq_u32_e32 vcc_lo, 16, v30
	s_cbranch_vccnz .LBB83_142
; %bb.141:
	v_lshlrev_b32_e32 v30, 4, v30
	s_delay_alu instid0(VALU_DEP_1)
	v_mov_b32_e32 v38, v30
	s_clause 0x1
	scratch_load_b128 v[30:33], off, s17
	scratch_load_b128 v[34:37], v38, off offset:-16
	s_wait_loadcnt 0x1
	ds_store_2addr_b64 v0, v[30:31], v[32:33] offset1:1
	s_wait_loadcnt 0x0
	s_clause 0x1
	scratch_store_b128 off, v[34:37], s17
	scratch_store_b128 v38, v[30:33], off offset:-16
.LBB83_142:
	global_load_b32 v1, v1, s[8:9] offset:56
	s_wait_loadcnt 0x0
	v_cmp_eq_u32_e32 vcc_lo, 15, v1
	s_cbranch_vccnz .LBB83_144
; %bb.143:
	s_wait_xcnt 0x0
	v_lshlrev_b32_e32 v1, 4, v1
	s_clause 0x1
	scratch_load_b128 v[30:33], off, s26
	scratch_load_b128 v[34:37], v1, off offset:-16
	s_wait_loadcnt 0x1
	ds_store_2addr_b64 v0, v[30:31], v[32:33] offset1:1
	s_wait_loadcnt 0x0
	s_clause 0x1
	scratch_store_b128 off, v[34:37], s26
	scratch_store_b128 v1, v[30:33], off offset:-16
.LBB83_144:
	;; [unrolled: 37-line block ×8, first 2 shown]
	s_wait_xcnt 0x0
	v_mov_b32_e32 v1, 0
	global_load_b32 v30, v1, s[8:9] offset:4
	s_wait_loadcnt 0x0
	v_cmp_eq_u32_e32 vcc_lo, 2, v30
	s_cbranch_vccnz .LBB83_170
; %bb.169:
	v_lshlrev_b32_e32 v30, 4, v30
	s_delay_alu instid0(VALU_DEP_1)
	v_mov_b32_e32 v38, v30
	s_clause 0x1
	scratch_load_b128 v[30:33], off, s30
	scratch_load_b128 v[34:37], v38, off offset:-16
	s_wait_loadcnt 0x1
	ds_store_2addr_b64 v0, v[30:31], v[32:33] offset1:1
	s_wait_loadcnt 0x0
	s_clause 0x1
	scratch_store_b128 off, v[34:37], s30
	scratch_store_b128 v38, v[30:33], off offset:-16
.LBB83_170:
	global_load_b32 v1, v1, s[8:9]
	s_wait_loadcnt 0x0
	v_cmp_eq_u32_e32 vcc_lo, 1, v1
	s_cbranch_vccnz .LBB83_172
; %bb.171:
	s_wait_xcnt 0x0
	v_lshlrev_b32_e32 v1, 4, v1
	scratch_load_b128 v[30:33], off, off
	scratch_load_b128 v[34:37], v1, off offset:-16
	s_wait_loadcnt 0x1
	ds_store_2addr_b64 v0, v[30:31], v[32:33] offset1:1
	s_wait_loadcnt 0x0
	scratch_store_b128 off, v[34:37], off
	scratch_store_b128 v1, v[30:33], off offset:-16
.LBB83_172:
	scratch_load_b128 v[30:33], off, off
	s_wait_loadcnt 0x0
	flat_store_b128 v[14:15], v[30:33]
	scratch_load_b128 v[30:33], off, s30
	s_wait_loadcnt 0x0
	flat_store_b128 v[16:17], v[30:33]
	scratch_load_b128 v[14:17], off, s29
	;; [unrolled: 3-line block ×19, first 2 shown]
	s_wait_loadcnt 0x0
	flat_store_b128 v[2:3], v[4:7]
	s_sendmsg sendmsg(MSG_DEALLOC_VGPRS)
	s_endpgm
	.section	.rodata,"a",@progbits
	.p2align	6, 0x0
	.amdhsa_kernel _ZN9rocsolver6v33100L18getri_kernel_smallILi20E19rocblas_complex_numIdEPKPS3_EEvT1_iilPiilS8_bb
		.amdhsa_group_segment_fixed_size 1672
		.amdhsa_private_segment_fixed_size 336
		.amdhsa_kernarg_size 60
		.amdhsa_user_sgpr_count 4
		.amdhsa_user_sgpr_dispatch_ptr 1
		.amdhsa_user_sgpr_queue_ptr 0
		.amdhsa_user_sgpr_kernarg_segment_ptr 1
		.amdhsa_user_sgpr_dispatch_id 0
		.amdhsa_user_sgpr_kernarg_preload_length 0
		.amdhsa_user_sgpr_kernarg_preload_offset 0
		.amdhsa_user_sgpr_private_segment_size 0
		.amdhsa_wavefront_size32 1
		.amdhsa_uses_dynamic_stack 0
		.amdhsa_enable_private_segment 1
		.amdhsa_system_sgpr_workgroup_id_x 1
		.amdhsa_system_sgpr_workgroup_id_y 0
		.amdhsa_system_sgpr_workgroup_id_z 0
		.amdhsa_system_sgpr_workgroup_info 0
		.amdhsa_system_vgpr_workitem_id 2
		.amdhsa_next_free_vgpr 122
		.amdhsa_next_free_sgpr 36
		.amdhsa_named_barrier_count 0
		.amdhsa_reserve_vcc 1
		.amdhsa_float_round_mode_32 0
		.amdhsa_float_round_mode_16_64 0
		.amdhsa_float_denorm_mode_32 3
		.amdhsa_float_denorm_mode_16_64 3
		.amdhsa_fp16_overflow 0
		.amdhsa_memory_ordered 1
		.amdhsa_forward_progress 1
		.amdhsa_inst_pref_size 177
		.amdhsa_round_robin_scheduling 0
		.amdhsa_exception_fp_ieee_invalid_op 0
		.amdhsa_exception_fp_denorm_src 0
		.amdhsa_exception_fp_ieee_div_zero 0
		.amdhsa_exception_fp_ieee_overflow 0
		.amdhsa_exception_fp_ieee_underflow 0
		.amdhsa_exception_fp_ieee_inexact 0
		.amdhsa_exception_int_div_zero 0
	.end_amdhsa_kernel
	.section	.text._ZN9rocsolver6v33100L18getri_kernel_smallILi20E19rocblas_complex_numIdEPKPS3_EEvT1_iilPiilS8_bb,"axG",@progbits,_ZN9rocsolver6v33100L18getri_kernel_smallILi20E19rocblas_complex_numIdEPKPS3_EEvT1_iilPiilS8_bb,comdat
.Lfunc_end83:
	.size	_ZN9rocsolver6v33100L18getri_kernel_smallILi20E19rocblas_complex_numIdEPKPS3_EEvT1_iilPiilS8_bb, .Lfunc_end83-_ZN9rocsolver6v33100L18getri_kernel_smallILi20E19rocblas_complex_numIdEPKPS3_EEvT1_iilPiilS8_bb
                                        ; -- End function
	.set _ZN9rocsolver6v33100L18getri_kernel_smallILi20E19rocblas_complex_numIdEPKPS3_EEvT1_iilPiilS8_bb.num_vgpr, 122
	.set _ZN9rocsolver6v33100L18getri_kernel_smallILi20E19rocblas_complex_numIdEPKPS3_EEvT1_iilPiilS8_bb.num_agpr, 0
	.set _ZN9rocsolver6v33100L18getri_kernel_smallILi20E19rocblas_complex_numIdEPKPS3_EEvT1_iilPiilS8_bb.numbered_sgpr, 36
	.set _ZN9rocsolver6v33100L18getri_kernel_smallILi20E19rocblas_complex_numIdEPKPS3_EEvT1_iilPiilS8_bb.num_named_barrier, 0
	.set _ZN9rocsolver6v33100L18getri_kernel_smallILi20E19rocblas_complex_numIdEPKPS3_EEvT1_iilPiilS8_bb.private_seg_size, 336
	.set _ZN9rocsolver6v33100L18getri_kernel_smallILi20E19rocblas_complex_numIdEPKPS3_EEvT1_iilPiilS8_bb.uses_vcc, 1
	.set _ZN9rocsolver6v33100L18getri_kernel_smallILi20E19rocblas_complex_numIdEPKPS3_EEvT1_iilPiilS8_bb.uses_flat_scratch, 1
	.set _ZN9rocsolver6v33100L18getri_kernel_smallILi20E19rocblas_complex_numIdEPKPS3_EEvT1_iilPiilS8_bb.has_dyn_sized_stack, 0
	.set _ZN9rocsolver6v33100L18getri_kernel_smallILi20E19rocblas_complex_numIdEPKPS3_EEvT1_iilPiilS8_bb.has_recursion, 0
	.set _ZN9rocsolver6v33100L18getri_kernel_smallILi20E19rocblas_complex_numIdEPKPS3_EEvT1_iilPiilS8_bb.has_indirect_call, 0
	.section	.AMDGPU.csdata,"",@progbits
; Kernel info:
; codeLenInByte = 22636
; TotalNumSgprs: 38
; NumVgprs: 122
; ScratchSize: 336
; MemoryBound: 0
; FloatMode: 240
; IeeeMode: 1
; LDSByteSize: 1672 bytes/workgroup (compile time only)
; SGPRBlocks: 0
; VGPRBlocks: 7
; NumSGPRsForWavesPerEU: 38
; NumVGPRsForWavesPerEU: 122
; NamedBarCnt: 0
; Occupancy: 8
; WaveLimiterHint : 1
; COMPUTE_PGM_RSRC2:SCRATCH_EN: 1
; COMPUTE_PGM_RSRC2:USER_SGPR: 4
; COMPUTE_PGM_RSRC2:TRAP_HANDLER: 0
; COMPUTE_PGM_RSRC2:TGID_X_EN: 1
; COMPUTE_PGM_RSRC2:TGID_Y_EN: 0
; COMPUTE_PGM_RSRC2:TGID_Z_EN: 0
; COMPUTE_PGM_RSRC2:TIDIG_COMP_CNT: 2
	.section	.text._ZN9rocsolver6v33100L18getri_kernel_smallILi21E19rocblas_complex_numIdEPKPS3_EEvT1_iilPiilS8_bb,"axG",@progbits,_ZN9rocsolver6v33100L18getri_kernel_smallILi21E19rocblas_complex_numIdEPKPS3_EEvT1_iilPiilS8_bb,comdat
	.globl	_ZN9rocsolver6v33100L18getri_kernel_smallILi21E19rocblas_complex_numIdEPKPS3_EEvT1_iilPiilS8_bb ; -- Begin function _ZN9rocsolver6v33100L18getri_kernel_smallILi21E19rocblas_complex_numIdEPKPS3_EEvT1_iilPiilS8_bb
	.p2align	8
	.type	_ZN9rocsolver6v33100L18getri_kernel_smallILi21E19rocblas_complex_numIdEPKPS3_EEvT1_iilPiilS8_bb,@function
_ZN9rocsolver6v33100L18getri_kernel_smallILi21E19rocblas_complex_numIdEPKPS3_EEvT1_iilPiilS8_bb: ; @_ZN9rocsolver6v33100L18getri_kernel_smallILi21E19rocblas_complex_numIdEPKPS3_EEvT1_iilPiilS8_bb
; %bb.0:
	v_and_b32_e32 v1, 0x3ff, v0
	s_mov_b32 s4, exec_lo
	s_delay_alu instid0(VALU_DEP_1)
	v_cmpx_gt_u32_e32 21, v1
	s_cbranch_execz .LBB84_98
; %bb.1:
	s_clause 0x1
	s_load_b32 s16, s[2:3], 0x38
	s_load_b64 s[8:9], s[2:3], 0x0
	s_getreg_b32 s6, hwreg(HW_REG_IB_STS2, 6, 4)
	s_wait_kmcnt 0x0
	s_bitcmp1_b32 s16, 8
	s_cselect_b32 s33, -1, 0
	s_bfe_u32 s4, ttmp6, 0x4000c
	s_and_b32 s5, ttmp6, 15
	s_add_co_i32 s4, s4, 1
	s_delay_alu instid0(SALU_CYCLE_1) | instskip(NEXT) | instid1(SALU_CYCLE_1)
	s_mul_i32 s4, ttmp9, s4
	s_add_co_i32 s5, s5, s4
	s_cmp_eq_u32 s6, 0
	s_cselect_b32 s10, ttmp9, s5
	s_load_b128 s[4:7], s[2:3], 0x28
	s_ashr_i32 s11, s10, 31
	s_delay_alu instid0(SALU_CYCLE_1) | instskip(NEXT) | instid1(SALU_CYCLE_1)
	s_lshl_b64 s[12:13], s[10:11], 3
	s_add_nc_u64 s[8:9], s[8:9], s[12:13]
	s_load_b64 s[14:15], s[8:9], 0x0
	s_wait_xcnt 0x0
	s_bfe_u32 s8, s16, 0x10008
	s_delay_alu instid0(SALU_CYCLE_1)
	s_cmp_eq_u32 s8, 0
                                        ; implicit-def: $sgpr8_sgpr9
	s_cbranch_scc1 .LBB84_3
; %bb.2:
	s_load_b96 s[16:18], s[2:3], 0x18
	s_wait_kmcnt 0x0
	s_mul_u64 s[4:5], s[4:5], s[10:11]
	s_delay_alu instid0(SALU_CYCLE_1) | instskip(SKIP_4) | instid1(SALU_CYCLE_1)
	s_lshl_b64 s[4:5], s[4:5], 2
	s_ashr_i32 s9, s18, 31
	s_mov_b32 s8, s18
	s_add_nc_u64 s[4:5], s[16:17], s[4:5]
	s_lshl_b64 s[8:9], s[8:9], 2
	s_add_nc_u64 s[8:9], s[4:5], s[8:9]
.LBB84_3:
	s_clause 0x1
	s_load_b64 s[12:13], s[2:3], 0x8
	s_load_b32 s34, s[2:3], 0x38
	v_dual_mov_b32 v57, 0 :: v_dual_lshlrev_b32 v56, 4, v1
	s_mov_b32 s31, 16
	s_mov_b32 s30, 32
	;; [unrolled: 1-line block ×3, first 2 shown]
	s_movk_i32 s22, 0x50
	s_movk_i32 s23, 0x70
	;; [unrolled: 1-line block ×13, first 2 shown]
	s_wait_kmcnt 0x0
	s_ashr_i32 s3, s12, 31
	s_mov_b32 s2, s12
	v_add3_u32 v18, s13, s13, v1
	s_lshl_b64 s[2:3], s[2:3], 4
	s_mov_b32 s12, 64
	s_add_nc_u64 s[4:5], s[14:15], s[2:3]
	s_ashr_i32 s3, s13, 31
	flat_load_b128 v[2:5], v1, s[4:5] scale_offset
	v_add_nc_u64_e32 v[14:15], s[4:5], v[56:57]
	s_mov_b32 s2, s13
	v_add_nc_u32_e32 v20, s13, v18
	s_movk_i32 s14, 0x80
	s_movk_i32 s15, 0xa0
	s_bitcmp0_b32 s34, 0
	s_delay_alu instid0(VALU_DEP_2) | instskip(SKIP_2) | instid1(VALU_DEP_1)
	v_lshl_add_u64 v[16:17], s[2:3], 4, v[14:15]
	v_add_nc_u32_e32 v22, s13, v20
	s_mov_b32 s3, -1
	v_add_nc_u32_e32 v24, s13, v22
	s_delay_alu instid0(VALU_DEP_1) | instskip(NEXT) | instid1(VALU_DEP_1)
	v_add_nc_u32_e32 v26, s13, v24
	v_add_nc_u32_e32 v28, s13, v26
	s_delay_alu instid0(VALU_DEP_1) | instskip(NEXT) | instid1(VALU_DEP_1)
	v_add_nc_u32_e32 v30, s13, v28
	;; [unrolled: 3-line block ×7, first 2 shown]
	v_add_nc_u32_e32 v52, s13, v50
	s_delay_alu instid0(VALU_DEP_1)
	v_add_nc_u32_e32 v54, s13, v52
	s_movk_i32 s13, 0x60
	s_wait_loadcnt_dscnt 0x0
	scratch_store_b128 off, v[2:5], off
	flat_load_b128 v[2:5], v[16:17]
	s_wait_loadcnt_dscnt 0x0
	scratch_store_b128 off, v[2:5], off offset:16
	flat_load_b128 v[2:5], v18, s[4:5] scale_offset
	s_wait_loadcnt_dscnt 0x0
	scratch_store_b128 off, v[2:5], off offset:32
	flat_load_b128 v[2:5], v20, s[4:5] scale_offset
	;; [unrolled: 3-line block ×19, first 2 shown]
	s_wait_loadcnt_dscnt 0x0
	scratch_store_b128 off, v[2:5], off offset:320
	s_cbranch_scc1 .LBB84_96
; %bb.4:
	v_cmp_eq_u32_e64 s2, 0, v1
	s_wait_xcnt 0x0
	s_and_saveexec_b32 s3, s2
; %bb.5:
	v_mov_b32_e32 v2, 0
	ds_store_b32 v2, v2 offset:672
; %bb.6:
	s_or_b32 exec_lo, exec_lo, s3
	s_wait_storecnt_dscnt 0x0
	s_barrier_signal -1
	s_barrier_wait -1
	scratch_load_b128 v[2:5], v1, off scale_offset
	s_wait_loadcnt 0x0
	v_cmp_eq_f64_e32 vcc_lo, 0, v[2:3]
	v_cmp_eq_f64_e64 s3, 0, v[4:5]
	s_and_b32 s3, vcc_lo, s3
	s_delay_alu instid0(SALU_CYCLE_1)
	s_and_saveexec_b32 s34, s3
	s_cbranch_execz .LBB84_10
; %bb.7:
	v_mov_b32_e32 v2, 0
	s_mov_b32 s35, 0
	ds_load_b32 v3, v2 offset:672
	s_wait_dscnt 0x0
	v_readfirstlane_b32 s3, v3
	v_add_nc_u32_e32 v3, 1, v1
	s_cmp_eq_u32 s3, 0
	s_delay_alu instid0(VALU_DEP_1) | instskip(SKIP_1) | instid1(SALU_CYCLE_1)
	v_cmp_gt_i32_e32 vcc_lo, s3, v3
	s_cselect_b32 s36, -1, 0
	s_or_b32 s36, s36, vcc_lo
	s_delay_alu instid0(SALU_CYCLE_1)
	s_and_b32 exec_lo, exec_lo, s36
	s_cbranch_execz .LBB84_10
; %bb.8:
	v_mov_b32_e32 v4, s3
.LBB84_9:                               ; =>This Inner Loop Header: Depth=1
	ds_cmpstore_rtn_b32 v4, v2, v3, v4 offset:672
	s_wait_dscnt 0x0
	v_cmp_ne_u32_e32 vcc_lo, 0, v4
	v_cmp_le_i32_e64 s3, v4, v3
	s_and_b32 s3, vcc_lo, s3
	s_delay_alu instid0(SALU_CYCLE_1) | instskip(NEXT) | instid1(SALU_CYCLE_1)
	s_and_b32 s3, exec_lo, s3
	s_or_b32 s35, s3, s35
	s_delay_alu instid0(SALU_CYCLE_1)
	s_and_not1_b32 exec_lo, exec_lo, s35
	s_cbranch_execnz .LBB84_9
.LBB84_10:
	s_or_b32 exec_lo, exec_lo, s34
	v_mov_b32_e32 v2, 0
	s_barrier_signal -1
	s_barrier_wait -1
	ds_load_b32 v3, v2 offset:672
	s_and_saveexec_b32 s3, s2
	s_cbranch_execz .LBB84_12
; %bb.11:
	s_lshl_b64 s[34:35], s[10:11], 2
	s_delay_alu instid0(SALU_CYCLE_1)
	s_add_nc_u64 s[34:35], s[6:7], s[34:35]
	s_wait_dscnt 0x0
	global_store_b32 v2, v3, s[34:35]
.LBB84_12:
	s_wait_xcnt 0x0
	s_or_b32 exec_lo, exec_lo, s3
	s_wait_dscnt 0x0
	v_cmp_ne_u32_e32 vcc_lo, 0, v3
	s_mov_b32 s3, 0
	s_cbranch_vccnz .LBB84_96
; %bb.13:
	v_lshl_add_u32 v19, v1, 4, 0
                                        ; implicit-def: $vgpr6_vgpr7
                                        ; implicit-def: $vgpr10_vgpr11
	scratch_load_b128 v[2:5], v19, off
	s_wait_loadcnt 0x0
	v_cmp_ngt_f64_e64 s3, |v[2:3]|, |v[4:5]|
	s_wait_xcnt 0x0
	s_and_saveexec_b32 s34, s3
	s_delay_alu instid0(SALU_CYCLE_1)
	s_xor_b32 s3, exec_lo, s34
	s_cbranch_execz .LBB84_15
; %bb.14:
	v_div_scale_f64 v[6:7], null, v[4:5], v[4:5], v[2:3]
	v_div_scale_f64 v[12:13], vcc_lo, v[2:3], v[4:5], v[2:3]
	s_delay_alu instid0(VALU_DEP_2) | instskip(SKIP_1) | instid1(TRANS32_DEP_1)
	v_rcp_f64_e32 v[8:9], v[6:7]
	v_nop
	v_fma_f64 v[10:11], -v[6:7], v[8:9], 1.0
	s_delay_alu instid0(VALU_DEP_1) | instskip(NEXT) | instid1(VALU_DEP_1)
	v_fmac_f64_e32 v[8:9], v[8:9], v[10:11]
	v_fma_f64 v[10:11], -v[6:7], v[8:9], 1.0
	s_delay_alu instid0(VALU_DEP_1) | instskip(NEXT) | instid1(VALU_DEP_1)
	v_fmac_f64_e32 v[8:9], v[8:9], v[10:11]
	v_mul_f64_e32 v[10:11], v[12:13], v[8:9]
	s_delay_alu instid0(VALU_DEP_1) | instskip(NEXT) | instid1(VALU_DEP_1)
	v_fma_f64 v[6:7], -v[6:7], v[10:11], v[12:13]
	v_div_fmas_f64 v[6:7], v[6:7], v[8:9], v[10:11]
	s_delay_alu instid0(VALU_DEP_1) | instskip(NEXT) | instid1(VALU_DEP_1)
	v_div_fixup_f64 v[6:7], v[6:7], v[4:5], v[2:3]
	v_fmac_f64_e32 v[4:5], v[2:3], v[6:7]
	s_delay_alu instid0(VALU_DEP_1) | instskip(SKIP_1) | instid1(VALU_DEP_2)
	v_div_scale_f64 v[2:3], null, v[4:5], v[4:5], 1.0
	v_div_scale_f64 v[12:13], vcc_lo, 1.0, v[4:5], 1.0
	v_rcp_f64_e32 v[8:9], v[2:3]
	v_nop
	s_delay_alu instid0(TRANS32_DEP_1) | instskip(NEXT) | instid1(VALU_DEP_1)
	v_fma_f64 v[10:11], -v[2:3], v[8:9], 1.0
	v_fmac_f64_e32 v[8:9], v[8:9], v[10:11]
	s_delay_alu instid0(VALU_DEP_1) | instskip(NEXT) | instid1(VALU_DEP_1)
	v_fma_f64 v[10:11], -v[2:3], v[8:9], 1.0
	v_fmac_f64_e32 v[8:9], v[8:9], v[10:11]
	s_delay_alu instid0(VALU_DEP_1) | instskip(NEXT) | instid1(VALU_DEP_1)
	v_mul_f64_e32 v[10:11], v[12:13], v[8:9]
	v_fma_f64 v[2:3], -v[2:3], v[10:11], v[12:13]
	s_delay_alu instid0(VALU_DEP_1) | instskip(NEXT) | instid1(VALU_DEP_1)
	v_div_fmas_f64 v[2:3], v[2:3], v[8:9], v[10:11]
	v_div_fixup_f64 v[8:9], v[2:3], v[4:5], 1.0
                                        ; implicit-def: $vgpr2_vgpr3
	s_delay_alu instid0(VALU_DEP_1) | instskip(SKIP_1) | instid1(VALU_DEP_2)
	v_mul_f64_e32 v[6:7], v[6:7], v[8:9]
	v_xor_b32_e32 v9, 0x80000000, v9
	v_xor_b32_e32 v11, 0x80000000, v7
	s_delay_alu instid0(VALU_DEP_3)
	v_mov_b32_e32 v10, v6
.LBB84_15:
	s_and_not1_saveexec_b32 s3, s3
	s_cbranch_execz .LBB84_17
; %bb.16:
	v_div_scale_f64 v[6:7], null, v[2:3], v[2:3], v[4:5]
	v_div_scale_f64 v[12:13], vcc_lo, v[4:5], v[2:3], v[4:5]
	s_delay_alu instid0(VALU_DEP_2) | instskip(SKIP_1) | instid1(TRANS32_DEP_1)
	v_rcp_f64_e32 v[8:9], v[6:7]
	v_nop
	v_fma_f64 v[10:11], -v[6:7], v[8:9], 1.0
	s_delay_alu instid0(VALU_DEP_1) | instskip(NEXT) | instid1(VALU_DEP_1)
	v_fmac_f64_e32 v[8:9], v[8:9], v[10:11]
	v_fma_f64 v[10:11], -v[6:7], v[8:9], 1.0
	s_delay_alu instid0(VALU_DEP_1) | instskip(NEXT) | instid1(VALU_DEP_1)
	v_fmac_f64_e32 v[8:9], v[8:9], v[10:11]
	v_mul_f64_e32 v[10:11], v[12:13], v[8:9]
	s_delay_alu instid0(VALU_DEP_1) | instskip(NEXT) | instid1(VALU_DEP_1)
	v_fma_f64 v[6:7], -v[6:7], v[10:11], v[12:13]
	v_div_fmas_f64 v[6:7], v[6:7], v[8:9], v[10:11]
	s_delay_alu instid0(VALU_DEP_1) | instskip(NEXT) | instid1(VALU_DEP_1)
	v_div_fixup_f64 v[8:9], v[6:7], v[2:3], v[4:5]
	v_fmac_f64_e32 v[2:3], v[4:5], v[8:9]
	s_delay_alu instid0(VALU_DEP_1) | instskip(NEXT) | instid1(VALU_DEP_1)
	v_div_scale_f64 v[4:5], null, v[2:3], v[2:3], 1.0
	v_rcp_f64_e32 v[6:7], v[4:5]
	v_nop
	s_delay_alu instid0(TRANS32_DEP_1) | instskip(NEXT) | instid1(VALU_DEP_1)
	v_fma_f64 v[10:11], -v[4:5], v[6:7], 1.0
	v_fmac_f64_e32 v[6:7], v[6:7], v[10:11]
	s_delay_alu instid0(VALU_DEP_1) | instskip(NEXT) | instid1(VALU_DEP_1)
	v_fma_f64 v[10:11], -v[4:5], v[6:7], 1.0
	v_fmac_f64_e32 v[6:7], v[6:7], v[10:11]
	v_div_scale_f64 v[10:11], vcc_lo, 1.0, v[2:3], 1.0
	s_delay_alu instid0(VALU_DEP_1) | instskip(NEXT) | instid1(VALU_DEP_1)
	v_mul_f64_e32 v[12:13], v[10:11], v[6:7]
	v_fma_f64 v[4:5], -v[4:5], v[12:13], v[10:11]
	s_delay_alu instid0(VALU_DEP_1) | instskip(NEXT) | instid1(VALU_DEP_1)
	v_div_fmas_f64 v[4:5], v[4:5], v[6:7], v[12:13]
	v_div_fixup_f64 v[6:7], v[4:5], v[2:3], 1.0
	s_delay_alu instid0(VALU_DEP_1)
	v_mul_f64_e64 v[8:9], v[8:9], -v[6:7]
	v_xor_b32_e32 v11, 0x80000000, v7
	v_mov_b32_e32 v10, v6
.LBB84_17:
	s_or_b32 exec_lo, exec_lo, s3
	s_clause 0x1
	scratch_store_b128 v19, v[6:9], off
	scratch_load_b128 v[2:5], off, s31
	v_xor_b32_e32 v13, 0x80000000, v9
	v_mov_b32_e32 v12, v8
	s_wait_xcnt 0x1
	v_add_nc_u32_e32 v6, 0x150, v56
	ds_store_b128 v56, v[10:13]
	s_wait_loadcnt 0x0
	ds_store_b128 v56, v[2:5] offset:336
	s_wait_storecnt_dscnt 0x0
	s_barrier_signal -1
	s_barrier_wait -1
	s_wait_xcnt 0x0
	s_and_saveexec_b32 s3, s2
	s_cbranch_execz .LBB84_19
; %bb.18:
	scratch_load_b128 v[2:5], v19, off
	ds_load_b128 v[8:11], v6
	v_mov_b32_e32 v7, 0
	ds_load_b128 v[58:61], v7 offset:16
	s_wait_loadcnt_dscnt 0x1
	v_mul_f64_e32 v[12:13], v[8:9], v[4:5]
	v_mul_f64_e32 v[4:5], v[10:11], v[4:5]
	s_delay_alu instid0(VALU_DEP_2) | instskip(NEXT) | instid1(VALU_DEP_2)
	v_fmac_f64_e32 v[12:13], v[10:11], v[2:3]
	v_fma_f64 v[2:3], v[8:9], v[2:3], -v[4:5]
	s_delay_alu instid0(VALU_DEP_2) | instskip(NEXT) | instid1(VALU_DEP_2)
	v_add_f64_e32 v[8:9], 0, v[12:13]
	v_add_f64_e32 v[2:3], 0, v[2:3]
	s_wait_dscnt 0x0
	s_delay_alu instid0(VALU_DEP_2) | instskip(NEXT) | instid1(VALU_DEP_2)
	v_mul_f64_e32 v[10:11], v[8:9], v[60:61]
	v_mul_f64_e32 v[4:5], v[2:3], v[60:61]
	s_delay_alu instid0(VALU_DEP_2) | instskip(NEXT) | instid1(VALU_DEP_2)
	v_fma_f64 v[2:3], v[2:3], v[58:59], -v[10:11]
	v_fmac_f64_e32 v[4:5], v[8:9], v[58:59]
	scratch_store_b128 off, v[2:5], off offset:16
.LBB84_19:
	s_wait_xcnt 0x0
	s_or_b32 exec_lo, exec_lo, s3
	s_wait_storecnt 0x0
	s_barrier_signal -1
	s_barrier_wait -1
	scratch_load_b128 v[2:5], off, s30
	s_mov_b32 s3, exec_lo
	s_wait_loadcnt 0x0
	ds_store_b128 v6, v[2:5]
	s_wait_dscnt 0x0
	s_barrier_signal -1
	s_barrier_wait -1
	v_cmpx_gt_u32_e32 2, v1
	s_cbranch_execz .LBB84_23
; %bb.20:
	scratch_load_b128 v[2:5], v19, off
	ds_load_b128 v[8:11], v6
	s_wait_loadcnt_dscnt 0x0
	v_mul_f64_e32 v[12:13], v[10:11], v[4:5]
	v_mul_f64_e32 v[58:59], v[8:9], v[4:5]
	s_delay_alu instid0(VALU_DEP_2) | instskip(NEXT) | instid1(VALU_DEP_2)
	v_fma_f64 v[4:5], v[8:9], v[2:3], -v[12:13]
	v_fmac_f64_e32 v[58:59], v[10:11], v[2:3]
	s_delay_alu instid0(VALU_DEP_2) | instskip(NEXT) | instid1(VALU_DEP_2)
	v_add_f64_e32 v[4:5], 0, v[4:5]
	v_add_f64_e32 v[2:3], 0, v[58:59]
	s_and_saveexec_b32 s34, s2
	s_cbranch_execz .LBB84_22
; %bb.21:
	scratch_load_b128 v[8:11], off, off offset:16
	v_mov_b32_e32 v7, 0
	ds_load_b128 v[58:61], v7 offset:352
	s_wait_loadcnt_dscnt 0x0
	v_mul_f64_e32 v[12:13], v[58:59], v[10:11]
	v_mul_f64_e32 v[10:11], v[60:61], v[10:11]
	s_delay_alu instid0(VALU_DEP_2) | instskip(NEXT) | instid1(VALU_DEP_2)
	v_fmac_f64_e32 v[12:13], v[60:61], v[8:9]
	v_fma_f64 v[8:9], v[58:59], v[8:9], -v[10:11]
	s_delay_alu instid0(VALU_DEP_2) | instskip(NEXT) | instid1(VALU_DEP_2)
	v_add_f64_e32 v[2:3], v[2:3], v[12:13]
	v_add_f64_e32 v[4:5], v[4:5], v[8:9]
.LBB84_22:
	s_or_b32 exec_lo, exec_lo, s34
	v_mov_b32_e32 v7, 0
	ds_load_b128 v[8:11], v7 offset:32
	s_wait_dscnt 0x0
	v_mul_f64_e32 v[58:59], v[2:3], v[10:11]
	v_mul_f64_e32 v[12:13], v[4:5], v[10:11]
	s_delay_alu instid0(VALU_DEP_2) | instskip(NEXT) | instid1(VALU_DEP_2)
	v_fma_f64 v[10:11], v[4:5], v[8:9], -v[58:59]
	v_fmac_f64_e32 v[12:13], v[2:3], v[8:9]
	scratch_store_b128 off, v[10:13], off offset:32
.LBB84_23:
	s_wait_xcnt 0x0
	s_or_b32 exec_lo, exec_lo, s3
	s_wait_storecnt 0x0
	s_barrier_signal -1
	s_barrier_wait -1
	scratch_load_b128 v[2:5], off, s21
	v_add_nc_u32_e32 v7, -1, v1
	s_mov_b32 s2, exec_lo
	s_wait_loadcnt 0x0
	ds_store_b128 v6, v[2:5]
	s_wait_dscnt 0x0
	s_barrier_signal -1
	s_barrier_wait -1
	v_cmpx_gt_u32_e32 3, v1
	s_cbranch_execz .LBB84_27
; %bb.24:
	v_dual_mov_b32 v10, v56 :: v_dual_add_nc_u32 v8, -1, v1
	v_mov_b64_e32 v[2:3], 0
	v_mov_b64_e32 v[4:5], 0
	v_add_nc_u32_e32 v9, 0x150, v56
	s_delay_alu instid0(VALU_DEP_4)
	v_or_b32_e32 v10, 8, v10
	s_mov_b32 s3, 0
.LBB84_25:                              ; =>This Inner Loop Header: Depth=1
	scratch_load_b128 v[58:61], v10, off offset:-8
	ds_load_b128 v[62:65], v9
	s_wait_xcnt 0x0
	v_dual_add_nc_u32 v9, 16, v9 :: v_dual_add_nc_u32 v10, 16, v10
	v_add_nc_u32_e32 v8, 1, v8
	s_delay_alu instid0(VALU_DEP_1) | instskip(SKIP_4) | instid1(VALU_DEP_2)
	v_cmp_lt_u32_e32 vcc_lo, 1, v8
	s_or_b32 s3, vcc_lo, s3
	s_wait_loadcnt_dscnt 0x0
	v_mul_f64_e32 v[12:13], v[64:65], v[60:61]
	v_mul_f64_e32 v[60:61], v[62:63], v[60:61]
	v_fma_f64 v[12:13], v[62:63], v[58:59], -v[12:13]
	s_delay_alu instid0(VALU_DEP_2) | instskip(NEXT) | instid1(VALU_DEP_2)
	v_fmac_f64_e32 v[60:61], v[64:65], v[58:59]
	v_add_f64_e32 v[4:5], v[4:5], v[12:13]
	s_delay_alu instid0(VALU_DEP_2)
	v_add_f64_e32 v[2:3], v[2:3], v[60:61]
	s_and_not1_b32 exec_lo, exec_lo, s3
	s_cbranch_execnz .LBB84_25
; %bb.26:
	s_or_b32 exec_lo, exec_lo, s3
	v_mov_b32_e32 v8, 0
	ds_load_b128 v[8:11], v8 offset:48
	s_wait_dscnt 0x0
	v_mul_f64_e32 v[58:59], v[2:3], v[10:11]
	v_mul_f64_e32 v[12:13], v[4:5], v[10:11]
	s_delay_alu instid0(VALU_DEP_2) | instskip(NEXT) | instid1(VALU_DEP_2)
	v_fma_f64 v[10:11], v[4:5], v[8:9], -v[58:59]
	v_fmac_f64_e32 v[12:13], v[2:3], v[8:9]
	scratch_store_b128 off, v[10:13], off offset:48
.LBB84_27:
	s_wait_xcnt 0x0
	s_or_b32 exec_lo, exec_lo, s2
	s_wait_storecnt 0x0
	s_barrier_signal -1
	s_barrier_wait -1
	scratch_load_b128 v[2:5], off, s12
	s_mov_b32 s2, exec_lo
	s_wait_loadcnt 0x0
	ds_store_b128 v6, v[2:5]
	s_wait_dscnt 0x0
	s_barrier_signal -1
	s_barrier_wait -1
	v_cmpx_gt_u32_e32 4, v1
	s_cbranch_execz .LBB84_31
; %bb.28:
	v_dual_mov_b32 v10, v56 :: v_dual_add_nc_u32 v8, -1, v1
	v_mov_b64_e32 v[2:3], 0
	v_mov_b64_e32 v[4:5], 0
	v_add_nc_u32_e32 v9, 0x150, v56
	s_delay_alu instid0(VALU_DEP_4)
	v_or_b32_e32 v10, 8, v10
	s_mov_b32 s3, 0
.LBB84_29:                              ; =>This Inner Loop Header: Depth=1
	scratch_load_b128 v[58:61], v10, off offset:-8
	ds_load_b128 v[62:65], v9
	s_wait_xcnt 0x0
	v_dual_add_nc_u32 v9, 16, v9 :: v_dual_add_nc_u32 v10, 16, v10
	v_add_nc_u32_e32 v8, 1, v8
	s_delay_alu instid0(VALU_DEP_1) | instskip(SKIP_4) | instid1(VALU_DEP_2)
	v_cmp_lt_u32_e32 vcc_lo, 2, v8
	s_or_b32 s3, vcc_lo, s3
	s_wait_loadcnt_dscnt 0x0
	v_mul_f64_e32 v[12:13], v[64:65], v[60:61]
	v_mul_f64_e32 v[60:61], v[62:63], v[60:61]
	v_fma_f64 v[12:13], v[62:63], v[58:59], -v[12:13]
	s_delay_alu instid0(VALU_DEP_2) | instskip(NEXT) | instid1(VALU_DEP_2)
	v_fmac_f64_e32 v[60:61], v[64:65], v[58:59]
	v_add_f64_e32 v[4:5], v[4:5], v[12:13]
	s_delay_alu instid0(VALU_DEP_2)
	v_add_f64_e32 v[2:3], v[2:3], v[60:61]
	s_and_not1_b32 exec_lo, exec_lo, s3
	s_cbranch_execnz .LBB84_29
; %bb.30:
	s_or_b32 exec_lo, exec_lo, s3
	v_mov_b32_e32 v8, 0
	ds_load_b128 v[8:11], v8 offset:64
	s_wait_dscnt 0x0
	v_mul_f64_e32 v[58:59], v[2:3], v[10:11]
	v_mul_f64_e32 v[12:13], v[4:5], v[10:11]
	s_delay_alu instid0(VALU_DEP_2) | instskip(NEXT) | instid1(VALU_DEP_2)
	v_fma_f64 v[10:11], v[4:5], v[8:9], -v[58:59]
	v_fmac_f64_e32 v[12:13], v[2:3], v[8:9]
	scratch_store_b128 off, v[10:13], off offset:64
.LBB84_31:
	s_wait_xcnt 0x0
	s_or_b32 exec_lo, exec_lo, s2
	s_wait_storecnt 0x0
	s_barrier_signal -1
	s_barrier_wait -1
	scratch_load_b128 v[2:5], off, s22
	;; [unrolled: 54-line block ×17, first 2 shown]
	s_mov_b32 s2, exec_lo
	s_wait_loadcnt 0x0
	ds_store_b128 v6, v[2:5]
	s_wait_dscnt 0x0
	s_barrier_signal -1
	s_barrier_wait -1
	v_cmpx_ne_u32_e32 20, v1
	s_cbranch_execz .LBB84_95
; %bb.92:
	v_mov_b32_e32 v8, v56
	v_mov_b64_e32 v[2:3], 0
	v_mov_b64_e32 v[4:5], 0
	s_mov_b32 s3, 0
	s_delay_alu instid0(VALU_DEP_3)
	v_or_b32_e32 v8, 8, v8
.LBB84_93:                              ; =>This Inner Loop Header: Depth=1
	scratch_load_b128 v[10:13], v8, off offset:-8
	ds_load_b128 v[56:59], v6
	v_dual_add_nc_u32 v7, 1, v7 :: v_dual_add_nc_u32 v6, 16, v6
	s_wait_xcnt 0x0
	v_add_nc_u32_e32 v8, 16, v8
	s_delay_alu instid0(VALU_DEP_2) | instskip(SKIP_4) | instid1(VALU_DEP_2)
	v_cmp_lt_u32_e32 vcc_lo, 18, v7
	s_or_b32 s3, vcc_lo, s3
	s_wait_loadcnt_dscnt 0x0
	v_mul_f64_e32 v[60:61], v[58:59], v[12:13]
	v_mul_f64_e32 v[12:13], v[56:57], v[12:13]
	v_fma_f64 v[56:57], v[56:57], v[10:11], -v[60:61]
	s_delay_alu instid0(VALU_DEP_2) | instskip(NEXT) | instid1(VALU_DEP_2)
	v_fmac_f64_e32 v[12:13], v[58:59], v[10:11]
	v_add_f64_e32 v[4:5], v[4:5], v[56:57]
	s_delay_alu instid0(VALU_DEP_2)
	v_add_f64_e32 v[2:3], v[2:3], v[12:13]
	s_and_not1_b32 exec_lo, exec_lo, s3
	s_cbranch_execnz .LBB84_93
; %bb.94:
	s_or_b32 exec_lo, exec_lo, s3
	v_mov_b32_e32 v6, 0
	ds_load_b128 v[6:9], v6 offset:320
	s_wait_dscnt 0x0
	v_mul_f64_e32 v[12:13], v[2:3], v[8:9]
	v_mul_f64_e32 v[10:11], v[4:5], v[8:9]
	s_delay_alu instid0(VALU_DEP_2) | instskip(NEXT) | instid1(VALU_DEP_2)
	v_fma_f64 v[8:9], v[4:5], v[6:7], -v[12:13]
	v_fmac_f64_e32 v[10:11], v[2:3], v[6:7]
	scratch_store_b128 off, v[8:11], off offset:320
.LBB84_95:
	s_wait_xcnt 0x0
	s_or_b32 exec_lo, exec_lo, s2
	s_mov_b32 s3, -1
	s_wait_storecnt 0x0
	s_barrier_signal -1
	s_barrier_wait -1
.LBB84_96:
	s_and_b32 vcc_lo, exec_lo, s3
	s_cbranch_vccz .LBB84_98
; %bb.97:
	s_wait_xcnt 0x0
	v_mov_b32_e32 v2, 0
	s_lshl_b64 s[2:3], s[10:11], 2
	s_delay_alu instid0(SALU_CYCLE_1)
	s_add_nc_u64 s[2:3], s[6:7], s[2:3]
	global_load_b32 v2, v2, s[2:3]
	s_wait_loadcnt 0x0
	v_cmp_ne_u32_e32 vcc_lo, 0, v2
	s_cbranch_vccz .LBB84_99
.LBB84_98:
	s_sendmsg sendmsg(MSG_DEALLOC_VGPRS)
	s_endpgm
.LBB84_99:
	v_lshl_add_u32 v6, v1, 4, 0x150
	s_wait_xcnt 0x0
	s_mov_b32 s2, exec_lo
	v_cmpx_eq_u32_e32 20, v1
	s_cbranch_execz .LBB84_101
; %bb.100:
	scratch_load_b128 v[2:5], off, s29
	v_mov_b32_e32 v8, 0
	s_delay_alu instid0(VALU_DEP_1)
	v_dual_mov_b32 v9, v8 :: v_dual_mov_b32 v10, v8
	v_mov_b32_e32 v11, v8
	scratch_store_b128 off, v[8:11], off offset:304
	s_wait_loadcnt 0x0
	ds_store_b128 v6, v[2:5]
.LBB84_101:
	s_wait_xcnt 0x0
	s_or_b32 exec_lo, exec_lo, s2
	s_wait_storecnt_dscnt 0x0
	s_barrier_signal -1
	s_barrier_wait -1
	s_clause 0x1
	scratch_load_b128 v[8:11], off, off offset:320
	scratch_load_b128 v[56:59], off, off offset:304
	v_mov_b32_e32 v2, 0
	s_mov_b32 s2, exec_lo
	ds_load_b128 v[60:63], v2 offset:656
	s_wait_loadcnt_dscnt 0x100
	v_mul_f64_e32 v[4:5], v[62:63], v[10:11]
	v_mul_f64_e32 v[10:11], v[60:61], v[10:11]
	s_delay_alu instid0(VALU_DEP_2) | instskip(NEXT) | instid1(VALU_DEP_2)
	v_fma_f64 v[4:5], v[60:61], v[8:9], -v[4:5]
	v_fmac_f64_e32 v[10:11], v[62:63], v[8:9]
	s_delay_alu instid0(VALU_DEP_2) | instskip(NEXT) | instid1(VALU_DEP_2)
	v_add_f64_e32 v[4:5], 0, v[4:5]
	v_add_f64_e32 v[10:11], 0, v[10:11]
	s_wait_loadcnt 0x0
	s_delay_alu instid0(VALU_DEP_2) | instskip(NEXT) | instid1(VALU_DEP_2)
	v_add_f64_e64 v[8:9], v[56:57], -v[4:5]
	v_add_f64_e64 v[10:11], v[58:59], -v[10:11]
	scratch_store_b128 off, v[8:11], off offset:304
	s_wait_xcnt 0x0
	v_cmpx_lt_u32_e32 18, v1
	s_cbranch_execz .LBB84_103
; %bb.102:
	scratch_load_b128 v[8:11], off, s19
	v_dual_mov_b32 v3, v2 :: v_dual_mov_b32 v4, v2
	v_mov_b32_e32 v5, v2
	scratch_store_b128 off, v[2:5], off offset:288
	s_wait_loadcnt 0x0
	ds_store_b128 v6, v[8:11]
.LBB84_103:
	s_wait_xcnt 0x0
	s_or_b32 exec_lo, exec_lo, s2
	s_wait_storecnt_dscnt 0x0
	s_barrier_signal -1
	s_barrier_wait -1
	s_clause 0x2
	scratch_load_b128 v[8:11], off, off offset:304
	scratch_load_b128 v[56:59], off, off offset:320
	;; [unrolled: 1-line block ×3, first 2 shown]
	ds_load_b128 v[64:67], v2 offset:640
	ds_load_b128 v[2:5], v2 offset:656
	s_mov_b32 s2, exec_lo
	s_wait_loadcnt_dscnt 0x201
	v_mul_f64_e32 v[12:13], v[66:67], v[10:11]
	v_mul_f64_e32 v[10:11], v[64:65], v[10:11]
	s_wait_loadcnt_dscnt 0x100
	v_mul_f64_e32 v[68:69], v[2:3], v[58:59]
	v_mul_f64_e32 v[58:59], v[4:5], v[58:59]
	s_delay_alu instid0(VALU_DEP_4) | instskip(NEXT) | instid1(VALU_DEP_4)
	v_fma_f64 v[12:13], v[64:65], v[8:9], -v[12:13]
	v_fmac_f64_e32 v[10:11], v[66:67], v[8:9]
	s_delay_alu instid0(VALU_DEP_4) | instskip(NEXT) | instid1(VALU_DEP_4)
	v_fmac_f64_e32 v[68:69], v[4:5], v[56:57]
	v_fma_f64 v[2:3], v[2:3], v[56:57], -v[58:59]
	s_delay_alu instid0(VALU_DEP_4) | instskip(NEXT) | instid1(VALU_DEP_4)
	v_add_f64_e32 v[4:5], 0, v[12:13]
	v_add_f64_e32 v[8:9], 0, v[10:11]
	s_delay_alu instid0(VALU_DEP_2) | instskip(NEXT) | instid1(VALU_DEP_2)
	v_add_f64_e32 v[2:3], v[4:5], v[2:3]
	v_add_f64_e32 v[4:5], v[8:9], v[68:69]
	s_wait_loadcnt 0x0
	s_delay_alu instid0(VALU_DEP_2) | instskip(NEXT) | instid1(VALU_DEP_2)
	v_add_f64_e64 v[2:3], v[60:61], -v[2:3]
	v_add_f64_e64 v[4:5], v[62:63], -v[4:5]
	scratch_store_b128 off, v[2:5], off offset:288
	s_wait_xcnt 0x0
	v_cmpx_lt_u32_e32 17, v1
	s_cbranch_execz .LBB84_105
; %bb.104:
	scratch_load_b128 v[2:5], off, s28
	v_mov_b32_e32 v8, 0
	s_delay_alu instid0(VALU_DEP_1)
	v_dual_mov_b32 v9, v8 :: v_dual_mov_b32 v10, v8
	v_mov_b32_e32 v11, v8
	scratch_store_b128 off, v[8:11], off offset:272
	s_wait_loadcnt 0x0
	ds_store_b128 v6, v[2:5]
.LBB84_105:
	s_wait_xcnt 0x0
	s_or_b32 exec_lo, exec_lo, s2
	s_wait_storecnt_dscnt 0x0
	s_barrier_signal -1
	s_barrier_wait -1
	s_clause 0x3
	scratch_load_b128 v[8:11], off, off offset:288
	scratch_load_b128 v[56:59], off, off offset:304
	;; [unrolled: 1-line block ×4, first 2 shown]
	v_mov_b32_e32 v2, 0
	ds_load_b128 v[68:71], v2 offset:624
	ds_load_b128 v[72:75], v2 offset:640
	s_mov_b32 s2, exec_lo
	s_wait_loadcnt_dscnt 0x301
	v_mul_f64_e32 v[4:5], v[70:71], v[10:11]
	v_mul_f64_e32 v[12:13], v[68:69], v[10:11]
	s_wait_loadcnt_dscnt 0x200
	v_mul_f64_e32 v[76:77], v[72:73], v[58:59]
	v_mul_f64_e32 v[58:59], v[74:75], v[58:59]
	s_delay_alu instid0(VALU_DEP_4) | instskip(NEXT) | instid1(VALU_DEP_4)
	v_fma_f64 v[4:5], v[68:69], v[8:9], -v[4:5]
	v_fmac_f64_e32 v[12:13], v[70:71], v[8:9]
	ds_load_b128 v[8:11], v2 offset:656
	v_fmac_f64_e32 v[76:77], v[74:75], v[56:57]
	v_fma_f64 v[56:57], v[72:73], v[56:57], -v[58:59]
	s_wait_loadcnt_dscnt 0x100
	v_mul_f64_e32 v[68:69], v[8:9], v[62:63]
	v_mul_f64_e32 v[62:63], v[10:11], v[62:63]
	v_add_f64_e32 v[4:5], 0, v[4:5]
	v_add_f64_e32 v[12:13], 0, v[12:13]
	s_delay_alu instid0(VALU_DEP_4) | instskip(NEXT) | instid1(VALU_DEP_4)
	v_fmac_f64_e32 v[68:69], v[10:11], v[60:61]
	v_fma_f64 v[8:9], v[8:9], v[60:61], -v[62:63]
	s_delay_alu instid0(VALU_DEP_4) | instskip(NEXT) | instid1(VALU_DEP_4)
	v_add_f64_e32 v[4:5], v[4:5], v[56:57]
	v_add_f64_e32 v[10:11], v[12:13], v[76:77]
	s_delay_alu instid0(VALU_DEP_2) | instskip(NEXT) | instid1(VALU_DEP_2)
	v_add_f64_e32 v[4:5], v[4:5], v[8:9]
	v_add_f64_e32 v[10:11], v[10:11], v[68:69]
	s_wait_loadcnt 0x0
	s_delay_alu instid0(VALU_DEP_2) | instskip(NEXT) | instid1(VALU_DEP_2)
	v_add_f64_e64 v[8:9], v[64:65], -v[4:5]
	v_add_f64_e64 v[10:11], v[66:67], -v[10:11]
	scratch_store_b128 off, v[8:11], off offset:272
	s_wait_xcnt 0x0
	v_cmpx_lt_u32_e32 16, v1
	s_cbranch_execz .LBB84_107
; %bb.106:
	scratch_load_b128 v[8:11], off, s18
	v_dual_mov_b32 v3, v2 :: v_dual_mov_b32 v4, v2
	v_mov_b32_e32 v5, v2
	scratch_store_b128 off, v[2:5], off offset:256
	s_wait_loadcnt 0x0
	ds_store_b128 v6, v[8:11]
.LBB84_107:
	s_wait_xcnt 0x0
	s_or_b32 exec_lo, exec_lo, s2
	s_wait_storecnt_dscnt 0x0
	s_barrier_signal -1
	s_barrier_wait -1
	s_clause 0x4
	scratch_load_b128 v[8:11], off, off offset:272
	scratch_load_b128 v[56:59], off, off offset:288
	;; [unrolled: 1-line block ×5, first 2 shown]
	ds_load_b128 v[72:75], v2 offset:608
	ds_load_b128 v[76:79], v2 offset:624
	s_mov_b32 s2, exec_lo
	s_wait_loadcnt_dscnt 0x401
	v_mul_f64_e32 v[4:5], v[74:75], v[10:11]
	v_mul_f64_e32 v[12:13], v[72:73], v[10:11]
	s_wait_loadcnt_dscnt 0x300
	v_mul_f64_e32 v[80:81], v[76:77], v[58:59]
	v_mul_f64_e32 v[58:59], v[78:79], v[58:59]
	s_delay_alu instid0(VALU_DEP_4) | instskip(NEXT) | instid1(VALU_DEP_4)
	v_fma_f64 v[72:73], v[72:73], v[8:9], -v[4:5]
	v_fmac_f64_e32 v[12:13], v[74:75], v[8:9]
	ds_load_b128 v[8:11], v2 offset:640
	ds_load_b128 v[2:5], v2 offset:656
	v_fmac_f64_e32 v[80:81], v[78:79], v[56:57]
	v_fma_f64 v[56:57], v[76:77], v[56:57], -v[58:59]
	s_wait_loadcnt_dscnt 0x201
	v_mul_f64_e32 v[74:75], v[8:9], v[62:63]
	v_mul_f64_e32 v[62:63], v[10:11], v[62:63]
	v_add_f64_e32 v[58:59], 0, v[72:73]
	v_add_f64_e32 v[12:13], 0, v[12:13]
	s_wait_loadcnt_dscnt 0x100
	v_mul_f64_e32 v[72:73], v[2:3], v[66:67]
	v_mul_f64_e32 v[66:67], v[4:5], v[66:67]
	v_fmac_f64_e32 v[74:75], v[10:11], v[60:61]
	v_fma_f64 v[8:9], v[8:9], v[60:61], -v[62:63]
	v_add_f64_e32 v[10:11], v[58:59], v[56:57]
	v_add_f64_e32 v[12:13], v[12:13], v[80:81]
	v_fmac_f64_e32 v[72:73], v[4:5], v[64:65]
	v_fma_f64 v[2:3], v[2:3], v[64:65], -v[66:67]
	s_delay_alu instid0(VALU_DEP_4) | instskip(NEXT) | instid1(VALU_DEP_4)
	v_add_f64_e32 v[4:5], v[10:11], v[8:9]
	v_add_f64_e32 v[8:9], v[12:13], v[74:75]
	s_delay_alu instid0(VALU_DEP_2) | instskip(NEXT) | instid1(VALU_DEP_2)
	v_add_f64_e32 v[2:3], v[4:5], v[2:3]
	v_add_f64_e32 v[4:5], v[8:9], v[72:73]
	s_wait_loadcnt 0x0
	s_delay_alu instid0(VALU_DEP_2) | instskip(NEXT) | instid1(VALU_DEP_2)
	v_add_f64_e64 v[2:3], v[68:69], -v[2:3]
	v_add_f64_e64 v[4:5], v[70:71], -v[4:5]
	scratch_store_b128 off, v[2:5], off offset:256
	s_wait_xcnt 0x0
	v_cmpx_lt_u32_e32 15, v1
	s_cbranch_execz .LBB84_109
; %bb.108:
	scratch_load_b128 v[2:5], off, s27
	v_mov_b32_e32 v8, 0
	s_delay_alu instid0(VALU_DEP_1)
	v_dual_mov_b32 v9, v8 :: v_dual_mov_b32 v10, v8
	v_mov_b32_e32 v11, v8
	scratch_store_b128 off, v[8:11], off offset:240
	s_wait_loadcnt 0x0
	ds_store_b128 v6, v[2:5]
.LBB84_109:
	s_wait_xcnt 0x0
	s_or_b32 exec_lo, exec_lo, s2
	s_wait_storecnt_dscnt 0x0
	s_barrier_signal -1
	s_barrier_wait -1
	s_clause 0x5
	scratch_load_b128 v[8:11], off, off offset:256
	scratch_load_b128 v[56:59], off, off offset:272
	;; [unrolled: 1-line block ×6, first 2 shown]
	v_mov_b32_e32 v2, 0
	ds_load_b128 v[76:79], v2 offset:592
	ds_load_b128 v[80:83], v2 offset:608
	s_mov_b32 s2, exec_lo
	s_wait_loadcnt_dscnt 0x501
	v_mul_f64_e32 v[4:5], v[78:79], v[10:11]
	v_mul_f64_e32 v[12:13], v[76:77], v[10:11]
	s_wait_loadcnt_dscnt 0x400
	v_mul_f64_e32 v[84:85], v[80:81], v[58:59]
	v_mul_f64_e32 v[58:59], v[82:83], v[58:59]
	s_delay_alu instid0(VALU_DEP_4) | instskip(NEXT) | instid1(VALU_DEP_4)
	v_fma_f64 v[4:5], v[76:77], v[8:9], -v[4:5]
	v_fmac_f64_e32 v[12:13], v[78:79], v[8:9]
	ds_load_b128 v[8:11], v2 offset:624
	ds_load_b128 v[76:79], v2 offset:640
	v_fmac_f64_e32 v[84:85], v[82:83], v[56:57]
	v_fma_f64 v[56:57], v[80:81], v[56:57], -v[58:59]
	s_wait_loadcnt_dscnt 0x301
	v_mul_f64_e32 v[86:87], v[8:9], v[62:63]
	v_mul_f64_e32 v[62:63], v[10:11], v[62:63]
	s_wait_loadcnt_dscnt 0x200
	v_mul_f64_e32 v[58:59], v[76:77], v[66:67]
	v_mul_f64_e32 v[66:67], v[78:79], v[66:67]
	v_add_f64_e32 v[4:5], 0, v[4:5]
	v_add_f64_e32 v[12:13], 0, v[12:13]
	v_fmac_f64_e32 v[86:87], v[10:11], v[60:61]
	v_fma_f64 v[60:61], v[8:9], v[60:61], -v[62:63]
	ds_load_b128 v[8:11], v2 offset:656
	v_fmac_f64_e32 v[58:59], v[78:79], v[64:65]
	v_fma_f64 v[64:65], v[76:77], v[64:65], -v[66:67]
	v_add_f64_e32 v[4:5], v[4:5], v[56:57]
	v_add_f64_e32 v[12:13], v[12:13], v[84:85]
	s_wait_loadcnt_dscnt 0x100
	v_mul_f64_e32 v[56:57], v[8:9], v[70:71]
	v_mul_f64_e32 v[62:63], v[10:11], v[70:71]
	s_delay_alu instid0(VALU_DEP_4) | instskip(NEXT) | instid1(VALU_DEP_4)
	v_add_f64_e32 v[4:5], v[4:5], v[60:61]
	v_add_f64_e32 v[12:13], v[12:13], v[86:87]
	s_delay_alu instid0(VALU_DEP_4) | instskip(NEXT) | instid1(VALU_DEP_4)
	v_fmac_f64_e32 v[56:57], v[10:11], v[68:69]
	v_fma_f64 v[8:9], v[8:9], v[68:69], -v[62:63]
	s_delay_alu instid0(VALU_DEP_4) | instskip(NEXT) | instid1(VALU_DEP_4)
	v_add_f64_e32 v[4:5], v[4:5], v[64:65]
	v_add_f64_e32 v[10:11], v[12:13], v[58:59]
	s_delay_alu instid0(VALU_DEP_2) | instskip(NEXT) | instid1(VALU_DEP_2)
	v_add_f64_e32 v[4:5], v[4:5], v[8:9]
	v_add_f64_e32 v[10:11], v[10:11], v[56:57]
	s_wait_loadcnt 0x0
	s_delay_alu instid0(VALU_DEP_2) | instskip(NEXT) | instid1(VALU_DEP_2)
	v_add_f64_e64 v[8:9], v[72:73], -v[4:5]
	v_add_f64_e64 v[10:11], v[74:75], -v[10:11]
	scratch_store_b128 off, v[8:11], off offset:240
	s_wait_xcnt 0x0
	v_cmpx_lt_u32_e32 14, v1
	s_cbranch_execz .LBB84_111
; %bb.110:
	scratch_load_b128 v[8:11], off, s17
	v_dual_mov_b32 v3, v2 :: v_dual_mov_b32 v4, v2
	v_mov_b32_e32 v5, v2
	scratch_store_b128 off, v[2:5], off offset:224
	s_wait_loadcnt 0x0
	ds_store_b128 v6, v[8:11]
.LBB84_111:
	s_wait_xcnt 0x0
	s_or_b32 exec_lo, exec_lo, s2
	s_wait_storecnt_dscnt 0x0
	s_barrier_signal -1
	s_barrier_wait -1
	s_clause 0x6
	scratch_load_b128 v[8:11], off, off offset:240
	scratch_load_b128 v[56:59], off, off offset:256
	;; [unrolled: 1-line block ×7, first 2 shown]
	ds_load_b128 v[80:83], v2 offset:576
	ds_load_b128 v[84:87], v2 offset:592
	s_mov_b32 s2, exec_lo
	s_wait_loadcnt_dscnt 0x601
	v_mul_f64_e32 v[4:5], v[82:83], v[10:11]
	v_mul_f64_e32 v[12:13], v[80:81], v[10:11]
	s_wait_loadcnt_dscnt 0x500
	v_mul_f64_e32 v[88:89], v[84:85], v[58:59]
	v_mul_f64_e32 v[58:59], v[86:87], v[58:59]
	s_delay_alu instid0(VALU_DEP_4) | instskip(NEXT) | instid1(VALU_DEP_4)
	v_fma_f64 v[4:5], v[80:81], v[8:9], -v[4:5]
	v_fmac_f64_e32 v[12:13], v[82:83], v[8:9]
	ds_load_b128 v[8:11], v2 offset:608
	ds_load_b128 v[80:83], v2 offset:624
	v_fmac_f64_e32 v[88:89], v[86:87], v[56:57]
	v_fma_f64 v[56:57], v[84:85], v[56:57], -v[58:59]
	s_wait_loadcnt_dscnt 0x401
	v_mul_f64_e32 v[90:91], v[8:9], v[62:63]
	v_mul_f64_e32 v[62:63], v[10:11], v[62:63]
	s_wait_loadcnt_dscnt 0x300
	v_mul_f64_e32 v[58:59], v[80:81], v[66:67]
	v_mul_f64_e32 v[66:67], v[82:83], v[66:67]
	v_add_f64_e32 v[4:5], 0, v[4:5]
	v_add_f64_e32 v[12:13], 0, v[12:13]
	v_fmac_f64_e32 v[90:91], v[10:11], v[60:61]
	v_fma_f64 v[60:61], v[8:9], v[60:61], -v[62:63]
	v_fmac_f64_e32 v[58:59], v[82:83], v[64:65]
	v_fma_f64 v[64:65], v[80:81], v[64:65], -v[66:67]
	v_add_f64_e32 v[56:57], v[4:5], v[56:57]
	v_add_f64_e32 v[12:13], v[12:13], v[88:89]
	ds_load_b128 v[8:11], v2 offset:640
	ds_load_b128 v[2:5], v2 offset:656
	s_wait_loadcnt_dscnt 0x201
	v_mul_f64_e32 v[62:63], v[8:9], v[70:71]
	v_mul_f64_e32 v[70:71], v[10:11], v[70:71]
	s_wait_loadcnt_dscnt 0x100
	v_mul_f64_e32 v[66:67], v[4:5], v[74:75]
	v_add_f64_e32 v[56:57], v[56:57], v[60:61]
	v_add_f64_e32 v[12:13], v[12:13], v[90:91]
	v_mul_f64_e32 v[60:61], v[2:3], v[74:75]
	v_fmac_f64_e32 v[62:63], v[10:11], v[68:69]
	v_fma_f64 v[8:9], v[8:9], v[68:69], -v[70:71]
	v_fma_f64 v[2:3], v[2:3], v[72:73], -v[66:67]
	v_add_f64_e32 v[10:11], v[56:57], v[64:65]
	v_add_f64_e32 v[12:13], v[12:13], v[58:59]
	v_fmac_f64_e32 v[60:61], v[4:5], v[72:73]
	s_delay_alu instid0(VALU_DEP_3) | instskip(NEXT) | instid1(VALU_DEP_3)
	v_add_f64_e32 v[4:5], v[10:11], v[8:9]
	v_add_f64_e32 v[8:9], v[12:13], v[62:63]
	s_delay_alu instid0(VALU_DEP_2) | instskip(NEXT) | instid1(VALU_DEP_2)
	v_add_f64_e32 v[2:3], v[4:5], v[2:3]
	v_add_f64_e32 v[4:5], v[8:9], v[60:61]
	s_wait_loadcnt 0x0
	s_delay_alu instid0(VALU_DEP_2) | instskip(NEXT) | instid1(VALU_DEP_2)
	v_add_f64_e64 v[2:3], v[76:77], -v[2:3]
	v_add_f64_e64 v[4:5], v[78:79], -v[4:5]
	scratch_store_b128 off, v[2:5], off offset:224
	s_wait_xcnt 0x0
	v_cmpx_lt_u32_e32 13, v1
	s_cbranch_execz .LBB84_113
; %bb.112:
	scratch_load_b128 v[2:5], off, s26
	v_mov_b32_e32 v8, 0
	s_delay_alu instid0(VALU_DEP_1)
	v_dual_mov_b32 v9, v8 :: v_dual_mov_b32 v10, v8
	v_mov_b32_e32 v11, v8
	scratch_store_b128 off, v[8:11], off offset:208
	s_wait_loadcnt 0x0
	ds_store_b128 v6, v[2:5]
.LBB84_113:
	s_wait_xcnt 0x0
	s_or_b32 exec_lo, exec_lo, s2
	s_wait_storecnt_dscnt 0x0
	s_barrier_signal -1
	s_barrier_wait -1
	s_clause 0x7
	scratch_load_b128 v[8:11], off, off offset:224
	scratch_load_b128 v[56:59], off, off offset:240
	;; [unrolled: 1-line block ×8, first 2 shown]
	v_mov_b32_e32 v2, 0
	ds_load_b128 v[84:87], v2 offset:560
	ds_load_b128 v[88:91], v2 offset:576
	s_mov_b32 s2, exec_lo
	s_wait_loadcnt_dscnt 0x701
	v_mul_f64_e32 v[4:5], v[86:87], v[10:11]
	v_mul_f64_e32 v[12:13], v[84:85], v[10:11]
	s_wait_loadcnt_dscnt 0x600
	v_mul_f64_e32 v[92:93], v[88:89], v[58:59]
	v_mul_f64_e32 v[58:59], v[90:91], v[58:59]
	s_delay_alu instid0(VALU_DEP_4) | instskip(NEXT) | instid1(VALU_DEP_4)
	v_fma_f64 v[4:5], v[84:85], v[8:9], -v[4:5]
	v_fmac_f64_e32 v[12:13], v[86:87], v[8:9]
	ds_load_b128 v[8:11], v2 offset:592
	ds_load_b128 v[84:87], v2 offset:608
	v_fmac_f64_e32 v[92:93], v[90:91], v[56:57]
	v_fma_f64 v[56:57], v[88:89], v[56:57], -v[58:59]
	s_wait_loadcnt_dscnt 0x501
	v_mul_f64_e32 v[94:95], v[8:9], v[62:63]
	v_mul_f64_e32 v[62:63], v[10:11], v[62:63]
	s_wait_loadcnt_dscnt 0x400
	v_mul_f64_e32 v[88:89], v[84:85], v[66:67]
	v_mul_f64_e32 v[66:67], v[86:87], v[66:67]
	v_add_f64_e32 v[4:5], 0, v[4:5]
	v_add_f64_e32 v[12:13], 0, v[12:13]
	v_fmac_f64_e32 v[94:95], v[10:11], v[60:61]
	v_fma_f64 v[60:61], v[8:9], v[60:61], -v[62:63]
	v_fmac_f64_e32 v[88:89], v[86:87], v[64:65]
	v_fma_f64 v[64:65], v[84:85], v[64:65], -v[66:67]
	v_add_f64_e32 v[4:5], v[4:5], v[56:57]
	v_add_f64_e32 v[12:13], v[12:13], v[92:93]
	ds_load_b128 v[8:11], v2 offset:624
	ds_load_b128 v[56:59], v2 offset:640
	s_wait_loadcnt_dscnt 0x301
	v_mul_f64_e32 v[62:63], v[8:9], v[70:71]
	v_mul_f64_e32 v[70:71], v[10:11], v[70:71]
	s_wait_loadcnt_dscnt 0x200
	v_mul_f64_e32 v[66:67], v[58:59], v[74:75]
	v_add_f64_e32 v[4:5], v[4:5], v[60:61]
	v_add_f64_e32 v[12:13], v[12:13], v[94:95]
	v_mul_f64_e32 v[60:61], v[56:57], v[74:75]
	v_fmac_f64_e32 v[62:63], v[10:11], v[68:69]
	v_fma_f64 v[68:69], v[8:9], v[68:69], -v[70:71]
	ds_load_b128 v[8:11], v2 offset:656
	v_fma_f64 v[56:57], v[56:57], v[72:73], -v[66:67]
	v_add_f64_e32 v[4:5], v[4:5], v[64:65]
	v_add_f64_e32 v[12:13], v[12:13], v[88:89]
	v_fmac_f64_e32 v[60:61], v[58:59], v[72:73]
	s_wait_loadcnt_dscnt 0x100
	v_mul_f64_e32 v[64:65], v[8:9], v[78:79]
	v_mul_f64_e32 v[70:71], v[10:11], v[78:79]
	v_add_f64_e32 v[4:5], v[4:5], v[68:69]
	v_add_f64_e32 v[12:13], v[12:13], v[62:63]
	s_delay_alu instid0(VALU_DEP_4) | instskip(NEXT) | instid1(VALU_DEP_4)
	v_fmac_f64_e32 v[64:65], v[10:11], v[76:77]
	v_fma_f64 v[8:9], v[8:9], v[76:77], -v[70:71]
	s_delay_alu instid0(VALU_DEP_4) | instskip(NEXT) | instid1(VALU_DEP_4)
	v_add_f64_e32 v[4:5], v[4:5], v[56:57]
	v_add_f64_e32 v[10:11], v[12:13], v[60:61]
	s_delay_alu instid0(VALU_DEP_2) | instskip(NEXT) | instid1(VALU_DEP_2)
	v_add_f64_e32 v[4:5], v[4:5], v[8:9]
	v_add_f64_e32 v[10:11], v[10:11], v[64:65]
	s_wait_loadcnt 0x0
	s_delay_alu instid0(VALU_DEP_2) | instskip(NEXT) | instid1(VALU_DEP_2)
	v_add_f64_e64 v[8:9], v[80:81], -v[4:5]
	v_add_f64_e64 v[10:11], v[82:83], -v[10:11]
	scratch_store_b128 off, v[8:11], off offset:208
	s_wait_xcnt 0x0
	v_cmpx_lt_u32_e32 12, v1
	s_cbranch_execz .LBB84_115
; %bb.114:
	scratch_load_b128 v[8:11], off, s16
	v_dual_mov_b32 v3, v2 :: v_dual_mov_b32 v4, v2
	v_mov_b32_e32 v5, v2
	scratch_store_b128 off, v[2:5], off offset:192
	s_wait_loadcnt 0x0
	ds_store_b128 v6, v[8:11]
.LBB84_115:
	s_wait_xcnt 0x0
	s_or_b32 exec_lo, exec_lo, s2
	s_wait_storecnt_dscnt 0x0
	s_barrier_signal -1
	s_barrier_wait -1
	s_clause 0x7
	scratch_load_b128 v[8:11], off, off offset:208
	scratch_load_b128 v[56:59], off, off offset:224
	;; [unrolled: 1-line block ×8, first 2 shown]
	ds_load_b128 v[84:87], v2 offset:544
	ds_load_b128 v[88:91], v2 offset:560
	scratch_load_b128 v[92:95], off, off offset:192
	s_mov_b32 s2, exec_lo
	s_wait_loadcnt_dscnt 0x801
	v_mul_f64_e32 v[4:5], v[86:87], v[10:11]
	v_mul_f64_e32 v[12:13], v[84:85], v[10:11]
	s_wait_loadcnt_dscnt 0x700
	v_mul_f64_e32 v[96:97], v[88:89], v[58:59]
	v_mul_f64_e32 v[58:59], v[90:91], v[58:59]
	s_delay_alu instid0(VALU_DEP_4) | instskip(NEXT) | instid1(VALU_DEP_4)
	v_fma_f64 v[4:5], v[84:85], v[8:9], -v[4:5]
	v_fmac_f64_e32 v[12:13], v[86:87], v[8:9]
	ds_load_b128 v[8:11], v2 offset:576
	ds_load_b128 v[84:87], v2 offset:592
	v_fmac_f64_e32 v[96:97], v[90:91], v[56:57]
	v_fma_f64 v[56:57], v[88:89], v[56:57], -v[58:59]
	s_wait_loadcnt_dscnt 0x601
	v_mul_f64_e32 v[98:99], v[8:9], v[62:63]
	v_mul_f64_e32 v[62:63], v[10:11], v[62:63]
	s_wait_loadcnt_dscnt 0x500
	v_mul_f64_e32 v[88:89], v[84:85], v[66:67]
	v_mul_f64_e32 v[66:67], v[86:87], v[66:67]
	v_add_f64_e32 v[4:5], 0, v[4:5]
	v_add_f64_e32 v[12:13], 0, v[12:13]
	v_fmac_f64_e32 v[98:99], v[10:11], v[60:61]
	v_fma_f64 v[60:61], v[8:9], v[60:61], -v[62:63]
	v_fmac_f64_e32 v[88:89], v[86:87], v[64:65]
	v_fma_f64 v[64:65], v[84:85], v[64:65], -v[66:67]
	v_add_f64_e32 v[4:5], v[4:5], v[56:57]
	v_add_f64_e32 v[12:13], v[12:13], v[96:97]
	ds_load_b128 v[8:11], v2 offset:608
	ds_load_b128 v[56:59], v2 offset:624
	s_wait_loadcnt_dscnt 0x401
	v_mul_f64_e32 v[62:63], v[8:9], v[70:71]
	v_mul_f64_e32 v[70:71], v[10:11], v[70:71]
	s_wait_loadcnt_dscnt 0x300
	v_mul_f64_e32 v[66:67], v[58:59], v[74:75]
	v_add_f64_e32 v[4:5], v[4:5], v[60:61]
	v_add_f64_e32 v[12:13], v[12:13], v[98:99]
	v_mul_f64_e32 v[60:61], v[56:57], v[74:75]
	v_fmac_f64_e32 v[62:63], v[10:11], v[68:69]
	v_fma_f64 v[68:69], v[8:9], v[68:69], -v[70:71]
	v_fma_f64 v[56:57], v[56:57], v[72:73], -v[66:67]
	v_add_f64_e32 v[64:65], v[4:5], v[64:65]
	v_add_f64_e32 v[12:13], v[12:13], v[88:89]
	ds_load_b128 v[8:11], v2 offset:640
	ds_load_b128 v[2:5], v2 offset:656
	v_fmac_f64_e32 v[60:61], v[58:59], v[72:73]
	s_wait_loadcnt_dscnt 0x201
	v_mul_f64_e32 v[70:71], v[8:9], v[78:79]
	v_mul_f64_e32 v[74:75], v[10:11], v[78:79]
	v_add_f64_e32 v[58:59], v[64:65], v[68:69]
	v_add_f64_e32 v[12:13], v[12:13], v[62:63]
	s_wait_loadcnt_dscnt 0x100
	v_mul_f64_e32 v[62:63], v[2:3], v[82:83]
	v_mul_f64_e32 v[64:65], v[4:5], v[82:83]
	v_fmac_f64_e32 v[70:71], v[10:11], v[76:77]
	v_fma_f64 v[8:9], v[8:9], v[76:77], -v[74:75]
	v_add_f64_e32 v[10:11], v[58:59], v[56:57]
	v_add_f64_e32 v[12:13], v[12:13], v[60:61]
	v_fmac_f64_e32 v[62:63], v[4:5], v[80:81]
	v_fma_f64 v[2:3], v[2:3], v[80:81], -v[64:65]
	s_delay_alu instid0(VALU_DEP_4) | instskip(NEXT) | instid1(VALU_DEP_4)
	v_add_f64_e32 v[4:5], v[10:11], v[8:9]
	v_add_f64_e32 v[8:9], v[12:13], v[70:71]
	s_delay_alu instid0(VALU_DEP_2) | instskip(NEXT) | instid1(VALU_DEP_2)
	v_add_f64_e32 v[2:3], v[4:5], v[2:3]
	v_add_f64_e32 v[4:5], v[8:9], v[62:63]
	s_wait_loadcnt 0x0
	s_delay_alu instid0(VALU_DEP_2) | instskip(NEXT) | instid1(VALU_DEP_2)
	v_add_f64_e64 v[2:3], v[92:93], -v[2:3]
	v_add_f64_e64 v[4:5], v[94:95], -v[4:5]
	scratch_store_b128 off, v[2:5], off offset:192
	s_wait_xcnt 0x0
	v_cmpx_lt_u32_e32 11, v1
	s_cbranch_execz .LBB84_117
; %bb.116:
	scratch_load_b128 v[2:5], off, s25
	v_mov_b32_e32 v8, 0
	s_delay_alu instid0(VALU_DEP_1)
	v_dual_mov_b32 v9, v8 :: v_dual_mov_b32 v10, v8
	v_mov_b32_e32 v11, v8
	scratch_store_b128 off, v[8:11], off offset:176
	s_wait_loadcnt 0x0
	ds_store_b128 v6, v[2:5]
.LBB84_117:
	s_wait_xcnt 0x0
	s_or_b32 exec_lo, exec_lo, s2
	s_wait_storecnt_dscnt 0x0
	s_barrier_signal -1
	s_barrier_wait -1
	s_clause 0x8
	scratch_load_b128 v[8:11], off, off offset:192
	scratch_load_b128 v[56:59], off, off offset:208
	;; [unrolled: 1-line block ×9, first 2 shown]
	v_mov_b32_e32 v2, 0
	scratch_load_b128 v[92:95], off, off offset:176
	s_mov_b32 s2, exec_lo
	ds_load_b128 v[88:91], v2 offset:528
	ds_load_b128 v[96:99], v2 offset:544
	s_wait_loadcnt_dscnt 0x901
	v_mul_f64_e32 v[4:5], v[90:91], v[10:11]
	v_mul_f64_e32 v[12:13], v[88:89], v[10:11]
	s_wait_loadcnt_dscnt 0x800
	v_mul_f64_e32 v[100:101], v[96:97], v[58:59]
	v_mul_f64_e32 v[58:59], v[98:99], v[58:59]
	s_delay_alu instid0(VALU_DEP_4) | instskip(NEXT) | instid1(VALU_DEP_4)
	v_fma_f64 v[4:5], v[88:89], v[8:9], -v[4:5]
	v_fmac_f64_e32 v[12:13], v[90:91], v[8:9]
	ds_load_b128 v[8:11], v2 offset:560
	ds_load_b128 v[88:91], v2 offset:576
	v_fmac_f64_e32 v[100:101], v[98:99], v[56:57]
	v_fma_f64 v[56:57], v[96:97], v[56:57], -v[58:59]
	s_wait_loadcnt_dscnt 0x701
	v_mul_f64_e32 v[102:103], v[8:9], v[62:63]
	v_mul_f64_e32 v[62:63], v[10:11], v[62:63]
	s_wait_loadcnt_dscnt 0x600
	v_mul_f64_e32 v[96:97], v[88:89], v[66:67]
	v_mul_f64_e32 v[66:67], v[90:91], v[66:67]
	v_add_f64_e32 v[4:5], 0, v[4:5]
	v_add_f64_e32 v[12:13], 0, v[12:13]
	v_fmac_f64_e32 v[102:103], v[10:11], v[60:61]
	v_fma_f64 v[60:61], v[8:9], v[60:61], -v[62:63]
	v_fmac_f64_e32 v[96:97], v[90:91], v[64:65]
	v_fma_f64 v[64:65], v[88:89], v[64:65], -v[66:67]
	v_add_f64_e32 v[4:5], v[4:5], v[56:57]
	v_add_f64_e32 v[12:13], v[12:13], v[100:101]
	ds_load_b128 v[8:11], v2 offset:592
	ds_load_b128 v[56:59], v2 offset:608
	s_wait_loadcnt_dscnt 0x501
	v_mul_f64_e32 v[98:99], v[8:9], v[70:71]
	v_mul_f64_e32 v[62:63], v[10:11], v[70:71]
	s_wait_loadcnt_dscnt 0x400
	v_mul_f64_e32 v[66:67], v[56:57], v[74:75]
	v_mul_f64_e32 v[70:71], v[58:59], v[74:75]
	v_add_f64_e32 v[4:5], v[4:5], v[60:61]
	v_add_f64_e32 v[12:13], v[12:13], v[102:103]
	v_fmac_f64_e32 v[98:99], v[10:11], v[68:69]
	v_fma_f64 v[68:69], v[8:9], v[68:69], -v[62:63]
	ds_load_b128 v[8:11], v2 offset:624
	ds_load_b128 v[60:63], v2 offset:640
	v_fmac_f64_e32 v[66:67], v[58:59], v[72:73]
	v_fma_f64 v[56:57], v[56:57], v[72:73], -v[70:71]
	v_add_f64_e32 v[4:5], v[4:5], v[64:65]
	v_add_f64_e32 v[12:13], v[12:13], v[96:97]
	s_wait_loadcnt_dscnt 0x301
	v_mul_f64_e32 v[64:65], v[8:9], v[78:79]
	v_mul_f64_e32 v[74:75], v[10:11], v[78:79]
	s_wait_loadcnt_dscnt 0x200
	v_mul_f64_e32 v[58:59], v[60:61], v[82:83]
	v_add_f64_e32 v[4:5], v[4:5], v[68:69]
	v_add_f64_e32 v[12:13], v[12:13], v[98:99]
	v_mul_f64_e32 v[68:69], v[62:63], v[82:83]
	v_fmac_f64_e32 v[64:65], v[10:11], v[76:77]
	v_fma_f64 v[70:71], v[8:9], v[76:77], -v[74:75]
	ds_load_b128 v[8:11], v2 offset:656
	v_fmac_f64_e32 v[58:59], v[62:63], v[80:81]
	v_add_f64_e32 v[4:5], v[4:5], v[56:57]
	v_add_f64_e32 v[12:13], v[12:13], v[66:67]
	s_wait_loadcnt_dscnt 0x100
	v_mul_f64_e32 v[56:57], v[8:9], v[86:87]
	v_mul_f64_e32 v[66:67], v[10:11], v[86:87]
	v_fma_f64 v[60:61], v[60:61], v[80:81], -v[68:69]
	v_add_f64_e32 v[4:5], v[4:5], v[70:71]
	v_add_f64_e32 v[12:13], v[12:13], v[64:65]
	v_fmac_f64_e32 v[56:57], v[10:11], v[84:85]
	v_fma_f64 v[8:9], v[8:9], v[84:85], -v[66:67]
	s_delay_alu instid0(VALU_DEP_4) | instskip(NEXT) | instid1(VALU_DEP_4)
	v_add_f64_e32 v[4:5], v[4:5], v[60:61]
	v_add_f64_e32 v[10:11], v[12:13], v[58:59]
	s_delay_alu instid0(VALU_DEP_2) | instskip(NEXT) | instid1(VALU_DEP_2)
	v_add_f64_e32 v[4:5], v[4:5], v[8:9]
	v_add_f64_e32 v[10:11], v[10:11], v[56:57]
	s_wait_loadcnt 0x0
	s_delay_alu instid0(VALU_DEP_2) | instskip(NEXT) | instid1(VALU_DEP_2)
	v_add_f64_e64 v[8:9], v[92:93], -v[4:5]
	v_add_f64_e64 v[10:11], v[94:95], -v[10:11]
	scratch_store_b128 off, v[8:11], off offset:176
	s_wait_xcnt 0x0
	v_cmpx_lt_u32_e32 10, v1
	s_cbranch_execz .LBB84_119
; %bb.118:
	scratch_load_b128 v[8:11], off, s15
	v_dual_mov_b32 v3, v2 :: v_dual_mov_b32 v4, v2
	v_mov_b32_e32 v5, v2
	scratch_store_b128 off, v[2:5], off offset:160
	s_wait_loadcnt 0x0
	ds_store_b128 v6, v[8:11]
.LBB84_119:
	s_wait_xcnt 0x0
	s_or_b32 exec_lo, exec_lo, s2
	s_wait_storecnt_dscnt 0x0
	s_barrier_signal -1
	s_barrier_wait -1
	s_clause 0x9
	scratch_load_b128 v[8:11], off, off offset:176
	scratch_load_b128 v[56:59], off, off offset:192
	;; [unrolled: 1-line block ×10, first 2 shown]
	ds_load_b128 v[92:95], v2 offset:512
	ds_load_b128 v[96:99], v2 offset:528
	scratch_load_b128 v[100:103], off, off offset:160
	s_mov_b32 s2, exec_lo
	s_wait_loadcnt_dscnt 0xa01
	v_mul_f64_e32 v[4:5], v[94:95], v[10:11]
	v_mul_f64_e32 v[12:13], v[92:93], v[10:11]
	s_wait_loadcnt_dscnt 0x900
	v_mul_f64_e32 v[104:105], v[96:97], v[58:59]
	v_mul_f64_e32 v[58:59], v[98:99], v[58:59]
	s_delay_alu instid0(VALU_DEP_4) | instskip(NEXT) | instid1(VALU_DEP_4)
	v_fma_f64 v[4:5], v[92:93], v[8:9], -v[4:5]
	v_fmac_f64_e32 v[12:13], v[94:95], v[8:9]
	ds_load_b128 v[8:11], v2 offset:544
	ds_load_b128 v[92:95], v2 offset:560
	v_fmac_f64_e32 v[104:105], v[98:99], v[56:57]
	v_fma_f64 v[56:57], v[96:97], v[56:57], -v[58:59]
	s_wait_loadcnt_dscnt 0x801
	v_mul_f64_e32 v[106:107], v[8:9], v[62:63]
	v_mul_f64_e32 v[62:63], v[10:11], v[62:63]
	s_wait_loadcnt_dscnt 0x700
	v_mul_f64_e32 v[96:97], v[92:93], v[66:67]
	v_mul_f64_e32 v[66:67], v[94:95], v[66:67]
	v_add_f64_e32 v[4:5], 0, v[4:5]
	v_add_f64_e32 v[12:13], 0, v[12:13]
	v_fmac_f64_e32 v[106:107], v[10:11], v[60:61]
	v_fma_f64 v[60:61], v[8:9], v[60:61], -v[62:63]
	v_fmac_f64_e32 v[96:97], v[94:95], v[64:65]
	v_fma_f64 v[64:65], v[92:93], v[64:65], -v[66:67]
	v_add_f64_e32 v[4:5], v[4:5], v[56:57]
	v_add_f64_e32 v[12:13], v[12:13], v[104:105]
	ds_load_b128 v[8:11], v2 offset:576
	ds_load_b128 v[56:59], v2 offset:592
	s_wait_loadcnt_dscnt 0x601
	v_mul_f64_e32 v[98:99], v[8:9], v[70:71]
	v_mul_f64_e32 v[62:63], v[10:11], v[70:71]
	s_wait_loadcnt_dscnt 0x500
	v_mul_f64_e32 v[66:67], v[56:57], v[74:75]
	v_mul_f64_e32 v[70:71], v[58:59], v[74:75]
	v_add_f64_e32 v[4:5], v[4:5], v[60:61]
	v_add_f64_e32 v[12:13], v[12:13], v[106:107]
	v_fmac_f64_e32 v[98:99], v[10:11], v[68:69]
	v_fma_f64 v[68:69], v[8:9], v[68:69], -v[62:63]
	ds_load_b128 v[8:11], v2 offset:608
	ds_load_b128 v[60:63], v2 offset:624
	v_fmac_f64_e32 v[66:67], v[58:59], v[72:73]
	v_fma_f64 v[56:57], v[56:57], v[72:73], -v[70:71]
	v_add_f64_e32 v[4:5], v[4:5], v[64:65]
	v_add_f64_e32 v[12:13], v[12:13], v[96:97]
	s_wait_loadcnt_dscnt 0x401
	v_mul_f64_e32 v[64:65], v[8:9], v[78:79]
	v_mul_f64_e32 v[74:75], v[10:11], v[78:79]
	s_wait_loadcnt_dscnt 0x300
	v_mul_f64_e32 v[58:59], v[60:61], v[82:83]
	v_add_f64_e32 v[4:5], v[4:5], v[68:69]
	v_add_f64_e32 v[12:13], v[12:13], v[98:99]
	v_mul_f64_e32 v[68:69], v[62:63], v[82:83]
	v_fmac_f64_e32 v[64:65], v[10:11], v[76:77]
	v_fma_f64 v[70:71], v[8:9], v[76:77], -v[74:75]
	v_fmac_f64_e32 v[58:59], v[62:63], v[80:81]
	v_add_f64_e32 v[56:57], v[4:5], v[56:57]
	v_add_f64_e32 v[12:13], v[12:13], v[66:67]
	ds_load_b128 v[8:11], v2 offset:640
	ds_load_b128 v[2:5], v2 offset:656
	v_fma_f64 v[60:61], v[60:61], v[80:81], -v[68:69]
	s_wait_loadcnt_dscnt 0x201
	v_mul_f64_e32 v[66:67], v[8:9], v[86:87]
	v_mul_f64_e32 v[72:73], v[10:11], v[86:87]
	s_wait_loadcnt_dscnt 0x100
	v_mul_f64_e32 v[62:63], v[2:3], v[90:91]
	v_add_f64_e32 v[56:57], v[56:57], v[70:71]
	v_add_f64_e32 v[12:13], v[12:13], v[64:65]
	v_mul_f64_e32 v[64:65], v[4:5], v[90:91]
	v_fmac_f64_e32 v[66:67], v[10:11], v[84:85]
	v_fma_f64 v[8:9], v[8:9], v[84:85], -v[72:73]
	v_fmac_f64_e32 v[62:63], v[4:5], v[88:89]
	v_add_f64_e32 v[10:11], v[56:57], v[60:61]
	v_add_f64_e32 v[12:13], v[12:13], v[58:59]
	v_fma_f64 v[2:3], v[2:3], v[88:89], -v[64:65]
	s_delay_alu instid0(VALU_DEP_3) | instskip(NEXT) | instid1(VALU_DEP_3)
	v_add_f64_e32 v[4:5], v[10:11], v[8:9]
	v_add_f64_e32 v[8:9], v[12:13], v[66:67]
	s_delay_alu instid0(VALU_DEP_2) | instskip(NEXT) | instid1(VALU_DEP_2)
	v_add_f64_e32 v[2:3], v[4:5], v[2:3]
	v_add_f64_e32 v[4:5], v[8:9], v[62:63]
	s_wait_loadcnt 0x0
	s_delay_alu instid0(VALU_DEP_2) | instskip(NEXT) | instid1(VALU_DEP_2)
	v_add_f64_e64 v[2:3], v[100:101], -v[2:3]
	v_add_f64_e64 v[4:5], v[102:103], -v[4:5]
	scratch_store_b128 off, v[2:5], off offset:160
	s_wait_xcnt 0x0
	v_cmpx_lt_u32_e32 9, v1
	s_cbranch_execz .LBB84_121
; %bb.120:
	scratch_load_b128 v[2:5], off, s24
	v_mov_b32_e32 v8, 0
	s_delay_alu instid0(VALU_DEP_1)
	v_dual_mov_b32 v9, v8 :: v_dual_mov_b32 v10, v8
	v_mov_b32_e32 v11, v8
	scratch_store_b128 off, v[8:11], off offset:144
	s_wait_loadcnt 0x0
	ds_store_b128 v6, v[2:5]
.LBB84_121:
	s_wait_xcnt 0x0
	s_or_b32 exec_lo, exec_lo, s2
	s_wait_storecnt_dscnt 0x0
	s_barrier_signal -1
	s_barrier_wait -1
	s_clause 0x9
	scratch_load_b128 v[8:11], off, off offset:160
	scratch_load_b128 v[56:59], off, off offset:176
	;; [unrolled: 1-line block ×10, first 2 shown]
	v_mov_b32_e32 v2, 0
	s_mov_b32 s2, exec_lo
	ds_load_b128 v[92:95], v2 offset:496
	s_clause 0x1
	scratch_load_b128 v[96:99], off, off offset:320
	scratch_load_b128 v[100:103], off, off offset:144
	s_wait_loadcnt_dscnt 0xb00
	v_mul_f64_e32 v[4:5], v[94:95], v[10:11]
	v_mul_f64_e32 v[12:13], v[92:93], v[10:11]
	ds_load_b128 v[104:107], v2 offset:512
	s_wait_loadcnt_dscnt 0xa00
	v_mul_f64_e32 v[108:109], v[104:105], v[58:59]
	v_mul_f64_e32 v[58:59], v[106:107], v[58:59]
	v_fma_f64 v[4:5], v[92:93], v[8:9], -v[4:5]
	v_fmac_f64_e32 v[12:13], v[94:95], v[8:9]
	ds_load_b128 v[8:11], v2 offset:528
	ds_load_b128 v[92:95], v2 offset:544
	s_wait_loadcnt_dscnt 0x901
	v_mul_f64_e32 v[110:111], v[8:9], v[62:63]
	v_mul_f64_e32 v[62:63], v[10:11], v[62:63]
	v_fmac_f64_e32 v[108:109], v[106:107], v[56:57]
	v_fma_f64 v[56:57], v[104:105], v[56:57], -v[58:59]
	s_wait_loadcnt_dscnt 0x800
	v_mul_f64_e32 v[104:105], v[92:93], v[66:67]
	v_mul_f64_e32 v[66:67], v[94:95], v[66:67]
	v_add_f64_e32 v[4:5], 0, v[4:5]
	v_add_f64_e32 v[12:13], 0, v[12:13]
	v_fmac_f64_e32 v[110:111], v[10:11], v[60:61]
	v_fma_f64 v[60:61], v[8:9], v[60:61], -v[62:63]
	v_fmac_f64_e32 v[104:105], v[94:95], v[64:65]
	v_fma_f64 v[64:65], v[92:93], v[64:65], -v[66:67]
	v_add_f64_e32 v[4:5], v[4:5], v[56:57]
	v_add_f64_e32 v[12:13], v[12:13], v[108:109]
	ds_load_b128 v[8:11], v2 offset:560
	ds_load_b128 v[56:59], v2 offset:576
	s_wait_loadcnt_dscnt 0x701
	v_mul_f64_e32 v[106:107], v[8:9], v[70:71]
	v_mul_f64_e32 v[62:63], v[10:11], v[70:71]
	s_wait_loadcnt_dscnt 0x600
	v_mul_f64_e32 v[66:67], v[56:57], v[74:75]
	v_mul_f64_e32 v[70:71], v[58:59], v[74:75]
	v_add_f64_e32 v[4:5], v[4:5], v[60:61]
	v_add_f64_e32 v[12:13], v[12:13], v[110:111]
	v_fmac_f64_e32 v[106:107], v[10:11], v[68:69]
	v_fma_f64 v[68:69], v[8:9], v[68:69], -v[62:63]
	ds_load_b128 v[8:11], v2 offset:592
	ds_load_b128 v[60:63], v2 offset:608
	v_fmac_f64_e32 v[66:67], v[58:59], v[72:73]
	v_fma_f64 v[56:57], v[56:57], v[72:73], -v[70:71]
	v_add_f64_e32 v[4:5], v[4:5], v[64:65]
	v_add_f64_e32 v[12:13], v[12:13], v[104:105]
	s_wait_loadcnt_dscnt 0x501
	v_mul_f64_e32 v[64:65], v[8:9], v[78:79]
	v_mul_f64_e32 v[74:75], v[10:11], v[78:79]
	s_wait_loadcnt_dscnt 0x400
	v_mul_f64_e32 v[70:71], v[62:63], v[82:83]
	v_add_f64_e32 v[4:5], v[4:5], v[68:69]
	v_add_f64_e32 v[12:13], v[12:13], v[106:107]
	v_mul_f64_e32 v[68:69], v[60:61], v[82:83]
	v_fmac_f64_e32 v[64:65], v[10:11], v[76:77]
	v_fma_f64 v[72:73], v[8:9], v[76:77], -v[74:75]
	v_fma_f64 v[60:61], v[60:61], v[80:81], -v[70:71]
	v_add_f64_e32 v[4:5], v[4:5], v[56:57]
	v_add_f64_e32 v[12:13], v[12:13], v[66:67]
	ds_load_b128 v[8:11], v2 offset:624
	ds_load_b128 v[56:59], v2 offset:640
	v_fmac_f64_e32 v[68:69], v[62:63], v[80:81]
	s_wait_loadcnt_dscnt 0x301
	v_mul_f64_e32 v[66:67], v[8:9], v[86:87]
	v_mul_f64_e32 v[74:75], v[10:11], v[86:87]
	s_wait_loadcnt_dscnt 0x200
	v_mul_f64_e32 v[62:63], v[56:57], v[90:91]
	v_add_f64_e32 v[4:5], v[4:5], v[72:73]
	v_add_f64_e32 v[12:13], v[12:13], v[64:65]
	v_mul_f64_e32 v[64:65], v[58:59], v[90:91]
	v_fmac_f64_e32 v[66:67], v[10:11], v[84:85]
	v_fma_f64 v[70:71], v[8:9], v[84:85], -v[74:75]
	ds_load_b128 v[8:11], v2 offset:656
	v_fmac_f64_e32 v[62:63], v[58:59], v[88:89]
	v_add_f64_e32 v[4:5], v[4:5], v[60:61]
	v_add_f64_e32 v[12:13], v[12:13], v[68:69]
	v_fma_f64 v[56:57], v[56:57], v[88:89], -v[64:65]
	s_wait_loadcnt_dscnt 0x100
	v_mul_f64_e32 v[60:61], v[8:9], v[98:99]
	v_mul_f64_e32 v[68:69], v[10:11], v[98:99]
	v_add_f64_e32 v[4:5], v[4:5], v[70:71]
	v_add_f64_e32 v[12:13], v[12:13], v[66:67]
	s_delay_alu instid0(VALU_DEP_4) | instskip(NEXT) | instid1(VALU_DEP_4)
	v_fmac_f64_e32 v[60:61], v[10:11], v[96:97]
	v_fma_f64 v[8:9], v[8:9], v[96:97], -v[68:69]
	s_delay_alu instid0(VALU_DEP_4) | instskip(NEXT) | instid1(VALU_DEP_4)
	v_add_f64_e32 v[4:5], v[4:5], v[56:57]
	v_add_f64_e32 v[10:11], v[12:13], v[62:63]
	s_delay_alu instid0(VALU_DEP_2) | instskip(NEXT) | instid1(VALU_DEP_2)
	v_add_f64_e32 v[4:5], v[4:5], v[8:9]
	v_add_f64_e32 v[10:11], v[10:11], v[60:61]
	s_wait_loadcnt 0x0
	s_delay_alu instid0(VALU_DEP_2) | instskip(NEXT) | instid1(VALU_DEP_2)
	v_add_f64_e64 v[8:9], v[100:101], -v[4:5]
	v_add_f64_e64 v[10:11], v[102:103], -v[10:11]
	scratch_store_b128 off, v[8:11], off offset:144
	s_wait_xcnt 0x0
	v_cmpx_lt_u32_e32 8, v1
	s_cbranch_execz .LBB84_123
; %bb.122:
	scratch_load_b128 v[8:11], off, s14
	v_dual_mov_b32 v3, v2 :: v_dual_mov_b32 v4, v2
	v_mov_b32_e32 v5, v2
	scratch_store_b128 off, v[2:5], off offset:128
	s_wait_loadcnt 0x0
	ds_store_b128 v6, v[8:11]
.LBB84_123:
	s_wait_xcnt 0x0
	s_or_b32 exec_lo, exec_lo, s2
	s_wait_storecnt_dscnt 0x0
	s_barrier_signal -1
	s_barrier_wait -1
	s_clause 0x9
	scratch_load_b128 v[8:11], off, off offset:144
	scratch_load_b128 v[56:59], off, off offset:160
	;; [unrolled: 1-line block ×10, first 2 shown]
	ds_load_b128 v[92:95], v2 offset:480
	ds_load_b128 v[100:103], v2 offset:496
	s_clause 0x1
	scratch_load_b128 v[96:99], off, off offset:304
	scratch_load_b128 v[104:107], off, off offset:128
	s_mov_b32 s2, exec_lo
	s_wait_loadcnt_dscnt 0xb01
	v_mul_f64_e32 v[4:5], v[94:95], v[10:11]
	v_mul_f64_e32 v[112:113], v[92:93], v[10:11]
	scratch_load_b128 v[10:13], off, off offset:320
	s_wait_loadcnt_dscnt 0xb00
	v_mul_f64_e32 v[114:115], v[100:101], v[58:59]
	v_mul_f64_e32 v[58:59], v[102:103], v[58:59]
	v_fma_f64 v[4:5], v[92:93], v[8:9], -v[4:5]
	v_fmac_f64_e32 v[112:113], v[94:95], v[8:9]
	ds_load_b128 v[92:95], v2 offset:512
	ds_load_b128 v[108:111], v2 offset:528
	v_fmac_f64_e32 v[114:115], v[102:103], v[56:57]
	v_fma_f64 v[56:57], v[100:101], v[56:57], -v[58:59]
	s_wait_loadcnt_dscnt 0xa01
	v_mul_f64_e32 v[8:9], v[92:93], v[62:63]
	v_mul_f64_e32 v[62:63], v[94:95], v[62:63]
	s_wait_loadcnt_dscnt 0x900
	v_mul_f64_e32 v[100:101], v[108:109], v[66:67]
	v_mul_f64_e32 v[66:67], v[110:111], v[66:67]
	v_add_f64_e32 v[4:5], 0, v[4:5]
	v_add_f64_e32 v[58:59], 0, v[112:113]
	v_fmac_f64_e32 v[8:9], v[94:95], v[60:61]
	v_fma_f64 v[92:93], v[92:93], v[60:61], -v[62:63]
	v_fmac_f64_e32 v[100:101], v[110:111], v[64:65]
	v_fma_f64 v[64:65], v[108:109], v[64:65], -v[66:67]
	v_add_f64_e32 v[4:5], v[4:5], v[56:57]
	v_add_f64_e32 v[94:95], v[58:59], v[114:115]
	ds_load_b128 v[56:59], v2 offset:544
	ds_load_b128 v[60:63], v2 offset:560
	s_wait_loadcnt_dscnt 0x801
	v_mul_f64_e32 v[102:103], v[56:57], v[70:71]
	v_mul_f64_e32 v[70:71], v[58:59], v[70:71]
	v_add_f64_e32 v[4:5], v[4:5], v[92:93]
	v_add_f64_e32 v[8:9], v[94:95], v[8:9]
	s_wait_loadcnt_dscnt 0x700
	v_mul_f64_e32 v[92:93], v[60:61], v[74:75]
	v_mul_f64_e32 v[74:75], v[62:63], v[74:75]
	v_fmac_f64_e32 v[102:103], v[58:59], v[68:69]
	v_fma_f64 v[68:69], v[56:57], v[68:69], -v[70:71]
	v_add_f64_e32 v[4:5], v[4:5], v[64:65]
	v_add_f64_e32 v[8:9], v[8:9], v[100:101]
	ds_load_b128 v[56:59], v2 offset:576
	ds_load_b128 v[64:67], v2 offset:592
	v_fmac_f64_e32 v[92:93], v[62:63], v[72:73]
	v_fma_f64 v[60:61], v[60:61], v[72:73], -v[74:75]
	s_wait_loadcnt_dscnt 0x601
	v_mul_f64_e32 v[70:71], v[56:57], v[78:79]
	v_mul_f64_e32 v[78:79], v[58:59], v[78:79]
	s_wait_loadcnt_dscnt 0x500
	v_mul_f64_e32 v[72:73], v[66:67], v[82:83]
	v_add_f64_e32 v[4:5], v[4:5], v[68:69]
	v_add_f64_e32 v[8:9], v[8:9], v[102:103]
	v_mul_f64_e32 v[68:69], v[64:65], v[82:83]
	v_fmac_f64_e32 v[70:71], v[58:59], v[76:77]
	v_fma_f64 v[74:75], v[56:57], v[76:77], -v[78:79]
	v_fma_f64 v[64:65], v[64:65], v[80:81], -v[72:73]
	v_add_f64_e32 v[4:5], v[4:5], v[60:61]
	v_add_f64_e32 v[8:9], v[8:9], v[92:93]
	ds_load_b128 v[56:59], v2 offset:608
	ds_load_b128 v[60:63], v2 offset:624
	v_fmac_f64_e32 v[68:69], v[66:67], v[80:81]
	s_wait_loadcnt_dscnt 0x401
	v_mul_f64_e32 v[76:77], v[56:57], v[86:87]
	v_mul_f64_e32 v[78:79], v[58:59], v[86:87]
	s_wait_loadcnt_dscnt 0x300
	v_mul_f64_e32 v[66:67], v[60:61], v[90:91]
	v_add_f64_e32 v[4:5], v[4:5], v[74:75]
	v_add_f64_e32 v[8:9], v[8:9], v[70:71]
	v_mul_f64_e32 v[70:71], v[62:63], v[90:91]
	v_fmac_f64_e32 v[76:77], v[58:59], v[84:85]
	v_fma_f64 v[72:73], v[56:57], v[84:85], -v[78:79]
	v_fmac_f64_e32 v[66:67], v[62:63], v[88:89]
	v_add_f64_e32 v[64:65], v[4:5], v[64:65]
	v_add_f64_e32 v[8:9], v[8:9], v[68:69]
	ds_load_b128 v[56:59], v2 offset:640
	ds_load_b128 v[2:5], v2 offset:656
	v_fma_f64 v[60:61], v[60:61], v[88:89], -v[70:71]
	s_wait_loadcnt_dscnt 0x201
	v_mul_f64_e32 v[68:69], v[56:57], v[98:99]
	v_mul_f64_e32 v[74:75], v[58:59], v[98:99]
	v_add_f64_e32 v[62:63], v[64:65], v[72:73]
	v_add_f64_e32 v[8:9], v[8:9], v[76:77]
	s_wait_loadcnt_dscnt 0x0
	v_mul_f64_e32 v[64:65], v[2:3], v[12:13]
	v_mul_f64_e32 v[12:13], v[4:5], v[12:13]
	v_fmac_f64_e32 v[68:69], v[58:59], v[96:97]
	v_fma_f64 v[56:57], v[56:57], v[96:97], -v[74:75]
	v_add_f64_e32 v[58:59], v[62:63], v[60:61]
	v_add_f64_e32 v[8:9], v[8:9], v[66:67]
	v_fmac_f64_e32 v[64:65], v[4:5], v[10:11]
	v_fma_f64 v[2:3], v[2:3], v[10:11], -v[12:13]
	s_delay_alu instid0(VALU_DEP_4) | instskip(NEXT) | instid1(VALU_DEP_4)
	v_add_f64_e32 v[4:5], v[58:59], v[56:57]
	v_add_f64_e32 v[8:9], v[8:9], v[68:69]
	s_delay_alu instid0(VALU_DEP_2) | instskip(NEXT) | instid1(VALU_DEP_2)
	v_add_f64_e32 v[2:3], v[4:5], v[2:3]
	v_add_f64_e32 v[4:5], v[8:9], v[64:65]
	s_delay_alu instid0(VALU_DEP_2) | instskip(NEXT) | instid1(VALU_DEP_2)
	v_add_f64_e64 v[2:3], v[104:105], -v[2:3]
	v_add_f64_e64 v[4:5], v[106:107], -v[4:5]
	scratch_store_b128 off, v[2:5], off offset:128
	s_wait_xcnt 0x0
	v_cmpx_lt_u32_e32 7, v1
	s_cbranch_execz .LBB84_125
; %bb.124:
	scratch_load_b128 v[2:5], off, s23
	v_mov_b32_e32 v8, 0
	s_delay_alu instid0(VALU_DEP_1)
	v_dual_mov_b32 v9, v8 :: v_dual_mov_b32 v10, v8
	v_mov_b32_e32 v11, v8
	scratch_store_b128 off, v[8:11], off offset:112
	s_wait_loadcnt 0x0
	ds_store_b128 v6, v[2:5]
.LBB84_125:
	s_wait_xcnt 0x0
	s_or_b32 exec_lo, exec_lo, s2
	s_wait_storecnt_dscnt 0x0
	s_barrier_signal -1
	s_barrier_wait -1
	s_clause 0x9
	scratch_load_b128 v[8:11], off, off offset:128
	scratch_load_b128 v[56:59], off, off offset:144
	;; [unrolled: 1-line block ×10, first 2 shown]
	v_mov_b32_e32 v2, 0
	s_mov_b32 s2, exec_lo
	ds_load_b128 v[92:95], v2 offset:464
	s_clause 0x2
	scratch_load_b128 v[96:99], off, off offset:288
	scratch_load_b128 v[100:103], off, off offset:112
	;; [unrolled: 1-line block ×3, first 2 shown]
	s_wait_loadcnt_dscnt 0xc00
	v_mul_f64_e32 v[4:5], v[94:95], v[10:11]
	v_mul_f64_e32 v[116:117], v[92:93], v[10:11]
	ds_load_b128 v[104:107], v2 offset:480
	scratch_load_b128 v[10:13], off, off offset:304
	ds_load_b128 v[112:115], v2 offset:512
	v_fma_f64 v[4:5], v[92:93], v[8:9], -v[4:5]
	v_fmac_f64_e32 v[116:117], v[94:95], v[8:9]
	ds_load_b128 v[92:95], v2 offset:496
	s_wait_loadcnt_dscnt 0xc02
	v_mul_f64_e32 v[118:119], v[104:105], v[58:59]
	v_mul_f64_e32 v[58:59], v[106:107], v[58:59]
	s_wait_loadcnt_dscnt 0xb00
	v_mul_f64_e32 v[8:9], v[92:93], v[62:63]
	v_mul_f64_e32 v[62:63], v[94:95], v[62:63]
	v_add_f64_e32 v[4:5], 0, v[4:5]
	v_fmac_f64_e32 v[118:119], v[106:107], v[56:57]
	v_fma_f64 v[56:57], v[104:105], v[56:57], -v[58:59]
	v_add_f64_e32 v[58:59], 0, v[116:117]
	s_wait_loadcnt 0xa
	v_mul_f64_e32 v[104:105], v[112:113], v[66:67]
	v_mul_f64_e32 v[66:67], v[114:115], v[66:67]
	v_fmac_f64_e32 v[8:9], v[94:95], v[60:61]
	v_fma_f64 v[92:93], v[92:93], v[60:61], -v[62:63]
	v_add_f64_e32 v[4:5], v[4:5], v[56:57]
	v_add_f64_e32 v[94:95], v[58:59], v[118:119]
	ds_load_b128 v[56:59], v2 offset:528
	ds_load_b128 v[60:63], v2 offset:544
	v_fmac_f64_e32 v[104:105], v[114:115], v[64:65]
	v_fma_f64 v[64:65], v[112:113], v[64:65], -v[66:67]
	s_wait_loadcnt_dscnt 0x901
	v_mul_f64_e32 v[106:107], v[56:57], v[70:71]
	v_mul_f64_e32 v[70:71], v[58:59], v[70:71]
	v_add_f64_e32 v[4:5], v[4:5], v[92:93]
	v_add_f64_e32 v[8:9], v[94:95], v[8:9]
	s_wait_loadcnt_dscnt 0x800
	v_mul_f64_e32 v[92:93], v[60:61], v[74:75]
	v_mul_f64_e32 v[74:75], v[62:63], v[74:75]
	v_fmac_f64_e32 v[106:107], v[58:59], v[68:69]
	v_fma_f64 v[68:69], v[56:57], v[68:69], -v[70:71]
	v_add_f64_e32 v[4:5], v[4:5], v[64:65]
	v_add_f64_e32 v[8:9], v[8:9], v[104:105]
	ds_load_b128 v[56:59], v2 offset:560
	ds_load_b128 v[64:67], v2 offset:576
	v_fmac_f64_e32 v[92:93], v[62:63], v[72:73]
	v_fma_f64 v[60:61], v[60:61], v[72:73], -v[74:75]
	s_wait_loadcnt_dscnt 0x701
	v_mul_f64_e32 v[70:71], v[56:57], v[78:79]
	v_mul_f64_e32 v[78:79], v[58:59], v[78:79]
	s_wait_loadcnt_dscnt 0x600
	v_mul_f64_e32 v[72:73], v[66:67], v[82:83]
	v_add_f64_e32 v[4:5], v[4:5], v[68:69]
	v_add_f64_e32 v[8:9], v[8:9], v[106:107]
	v_mul_f64_e32 v[68:69], v[64:65], v[82:83]
	v_fmac_f64_e32 v[70:71], v[58:59], v[76:77]
	v_fma_f64 v[74:75], v[56:57], v[76:77], -v[78:79]
	v_fma_f64 v[64:65], v[64:65], v[80:81], -v[72:73]
	v_add_f64_e32 v[4:5], v[4:5], v[60:61]
	v_add_f64_e32 v[8:9], v[8:9], v[92:93]
	ds_load_b128 v[56:59], v2 offset:592
	ds_load_b128 v[60:63], v2 offset:608
	v_fmac_f64_e32 v[68:69], v[66:67], v[80:81]
	s_wait_loadcnt_dscnt 0x501
	v_mul_f64_e32 v[76:77], v[56:57], v[86:87]
	v_mul_f64_e32 v[78:79], v[58:59], v[86:87]
	s_wait_loadcnt_dscnt 0x400
	v_mul_f64_e32 v[72:73], v[62:63], v[90:91]
	v_add_f64_e32 v[4:5], v[4:5], v[74:75]
	v_add_f64_e32 v[8:9], v[8:9], v[70:71]
	v_mul_f64_e32 v[70:71], v[60:61], v[90:91]
	v_fmac_f64_e32 v[76:77], v[58:59], v[84:85]
	v_fma_f64 v[74:75], v[56:57], v[84:85], -v[78:79]
	v_fma_f64 v[60:61], v[60:61], v[88:89], -v[72:73]
	v_add_f64_e32 v[4:5], v[4:5], v[64:65]
	v_add_f64_e32 v[8:9], v[8:9], v[68:69]
	ds_load_b128 v[56:59], v2 offset:624
	ds_load_b128 v[64:67], v2 offset:640
	v_fmac_f64_e32 v[70:71], v[62:63], v[88:89]
	s_wait_loadcnt_dscnt 0x301
	v_mul_f64_e32 v[68:69], v[56:57], v[98:99]
	v_mul_f64_e32 v[78:79], v[58:59], v[98:99]
	s_wait_loadcnt_dscnt 0x0
	v_mul_f64_e32 v[62:63], v[64:65], v[12:13]
	v_add_f64_e32 v[4:5], v[4:5], v[74:75]
	v_add_f64_e32 v[8:9], v[8:9], v[76:77]
	v_mul_f64_e32 v[12:13], v[66:67], v[12:13]
	v_fmac_f64_e32 v[68:69], v[58:59], v[96:97]
	v_fma_f64 v[72:73], v[56:57], v[96:97], -v[78:79]
	ds_load_b128 v[56:59], v2 offset:656
	v_fmac_f64_e32 v[62:63], v[66:67], v[10:11]
	v_add_f64_e32 v[4:5], v[4:5], v[60:61]
	v_add_f64_e32 v[8:9], v[8:9], v[70:71]
	v_fma_f64 v[10:11], v[64:65], v[10:11], -v[12:13]
	s_wait_dscnt 0x0
	v_mul_f64_e32 v[60:61], v[56:57], v[110:111]
	v_mul_f64_e32 v[70:71], v[58:59], v[110:111]
	v_add_f64_e32 v[4:5], v[4:5], v[72:73]
	v_add_f64_e32 v[8:9], v[8:9], v[68:69]
	s_delay_alu instid0(VALU_DEP_4) | instskip(NEXT) | instid1(VALU_DEP_4)
	v_fmac_f64_e32 v[60:61], v[58:59], v[108:109]
	v_fma_f64 v[12:13], v[56:57], v[108:109], -v[70:71]
	s_delay_alu instid0(VALU_DEP_4) | instskip(NEXT) | instid1(VALU_DEP_4)
	v_add_f64_e32 v[4:5], v[4:5], v[10:11]
	v_add_f64_e32 v[8:9], v[8:9], v[62:63]
	s_delay_alu instid0(VALU_DEP_2) | instskip(NEXT) | instid1(VALU_DEP_2)
	v_add_f64_e32 v[4:5], v[4:5], v[12:13]
	v_add_f64_e32 v[10:11], v[8:9], v[60:61]
	s_delay_alu instid0(VALU_DEP_2) | instskip(NEXT) | instid1(VALU_DEP_2)
	v_add_f64_e64 v[8:9], v[100:101], -v[4:5]
	v_add_f64_e64 v[10:11], v[102:103], -v[10:11]
	scratch_store_b128 off, v[8:11], off offset:112
	s_wait_xcnt 0x0
	v_cmpx_lt_u32_e32 6, v1
	s_cbranch_execz .LBB84_127
; %bb.126:
	scratch_load_b128 v[8:11], off, s13
	v_dual_mov_b32 v3, v2 :: v_dual_mov_b32 v4, v2
	v_mov_b32_e32 v5, v2
	scratch_store_b128 off, v[2:5], off offset:96
	s_wait_loadcnt 0x0
	ds_store_b128 v6, v[8:11]
.LBB84_127:
	s_wait_xcnt 0x0
	s_or_b32 exec_lo, exec_lo, s2
	s_wait_storecnt_dscnt 0x0
	s_barrier_signal -1
	s_barrier_wait -1
	s_clause 0x9
	scratch_load_b128 v[8:11], off, off offset:112
	scratch_load_b128 v[56:59], off, off offset:128
	;; [unrolled: 1-line block ×10, first 2 shown]
	ds_load_b128 v[92:95], v2 offset:448
	ds_load_b128 v[100:103], v2 offset:464
	s_clause 0x1
	scratch_load_b128 v[96:99], off, off offset:272
	scratch_load_b128 v[104:107], off, off offset:96
	s_mov_b32 s2, exec_lo
	s_wait_loadcnt_dscnt 0xb01
	v_mul_f64_e32 v[4:5], v[94:95], v[10:11]
	v_mul_f64_e32 v[116:117], v[92:93], v[10:11]
	scratch_load_b128 v[10:13], off, off offset:288
	s_wait_loadcnt_dscnt 0xb00
	v_mul_f64_e32 v[118:119], v[100:101], v[58:59]
	v_mul_f64_e32 v[58:59], v[102:103], v[58:59]
	v_fma_f64 v[4:5], v[92:93], v[8:9], -v[4:5]
	v_fmac_f64_e32 v[116:117], v[94:95], v[8:9]
	ds_load_b128 v[92:95], v2 offset:480
	ds_load_b128 v[108:111], v2 offset:496
	scratch_load_b128 v[112:115], off, off offset:304
	v_fmac_f64_e32 v[118:119], v[102:103], v[56:57]
	v_fma_f64 v[100:101], v[100:101], v[56:57], -v[58:59]
	scratch_load_b128 v[56:59], off, off offset:320
	s_wait_loadcnt_dscnt 0xc01
	v_mul_f64_e32 v[8:9], v[92:93], v[62:63]
	v_mul_f64_e32 v[62:63], v[94:95], v[62:63]
	v_add_f64_e32 v[4:5], 0, v[4:5]
	v_add_f64_e32 v[102:103], 0, v[116:117]
	s_wait_loadcnt_dscnt 0xb00
	v_mul_f64_e32 v[116:117], v[108:109], v[66:67]
	v_mul_f64_e32 v[66:67], v[110:111], v[66:67]
	v_fmac_f64_e32 v[8:9], v[94:95], v[60:61]
	v_fma_f64 v[120:121], v[92:93], v[60:61], -v[62:63]
	ds_load_b128 v[60:63], v2 offset:512
	ds_load_b128 v[92:95], v2 offset:528
	v_add_f64_e32 v[4:5], v[4:5], v[100:101]
	v_add_f64_e32 v[100:101], v[102:103], v[118:119]
	v_fmac_f64_e32 v[116:117], v[110:111], v[64:65]
	v_fma_f64 v[64:65], v[108:109], v[64:65], -v[66:67]
	s_wait_loadcnt_dscnt 0xa01
	v_mul_f64_e32 v[102:103], v[60:61], v[70:71]
	v_mul_f64_e32 v[70:71], v[62:63], v[70:71]
	v_add_f64_e32 v[4:5], v[4:5], v[120:121]
	v_add_f64_e32 v[8:9], v[100:101], v[8:9]
	s_wait_loadcnt_dscnt 0x900
	v_mul_f64_e32 v[100:101], v[92:93], v[74:75]
	v_mul_f64_e32 v[74:75], v[94:95], v[74:75]
	v_fmac_f64_e32 v[102:103], v[62:63], v[68:69]
	v_fma_f64 v[68:69], v[60:61], v[68:69], -v[70:71]
	v_add_f64_e32 v[4:5], v[4:5], v[64:65]
	v_add_f64_e32 v[8:9], v[8:9], v[116:117]
	ds_load_b128 v[60:63], v2 offset:544
	ds_load_b128 v[64:67], v2 offset:560
	v_fmac_f64_e32 v[100:101], v[94:95], v[72:73]
	v_fma_f64 v[72:73], v[92:93], v[72:73], -v[74:75]
	s_wait_loadcnt_dscnt 0x801
	v_mul_f64_e32 v[108:109], v[60:61], v[78:79]
	v_mul_f64_e32 v[70:71], v[62:63], v[78:79]
	s_wait_loadcnt_dscnt 0x700
	v_mul_f64_e32 v[74:75], v[64:65], v[82:83]
	v_mul_f64_e32 v[78:79], v[66:67], v[82:83]
	v_add_f64_e32 v[4:5], v[4:5], v[68:69]
	v_add_f64_e32 v[8:9], v[8:9], v[102:103]
	v_fmac_f64_e32 v[108:109], v[62:63], v[76:77]
	v_fma_f64 v[76:77], v[60:61], v[76:77], -v[70:71]
	ds_load_b128 v[60:63], v2 offset:576
	ds_load_b128 v[68:71], v2 offset:592
	v_fmac_f64_e32 v[74:75], v[66:67], v[80:81]
	v_fma_f64 v[64:65], v[64:65], v[80:81], -v[78:79]
	v_add_f64_e32 v[4:5], v[4:5], v[72:73]
	v_add_f64_e32 v[8:9], v[8:9], v[100:101]
	s_wait_loadcnt_dscnt 0x601
	v_mul_f64_e32 v[72:73], v[60:61], v[86:87]
	v_mul_f64_e32 v[82:83], v[62:63], v[86:87]
	s_wait_loadcnt_dscnt 0x500
	v_mul_f64_e32 v[78:79], v[70:71], v[90:91]
	v_add_f64_e32 v[4:5], v[4:5], v[76:77]
	v_add_f64_e32 v[8:9], v[8:9], v[108:109]
	v_mul_f64_e32 v[76:77], v[68:69], v[90:91]
	v_fmac_f64_e32 v[72:73], v[62:63], v[84:85]
	v_fma_f64 v[80:81], v[60:61], v[84:85], -v[82:83]
	v_fma_f64 v[68:69], v[68:69], v[88:89], -v[78:79]
	v_add_f64_e32 v[4:5], v[4:5], v[64:65]
	v_add_f64_e32 v[8:9], v[8:9], v[74:75]
	ds_load_b128 v[60:63], v2 offset:608
	ds_load_b128 v[64:67], v2 offset:624
	v_fmac_f64_e32 v[76:77], v[70:71], v[88:89]
	s_wait_loadcnt_dscnt 0x401
	v_mul_f64_e32 v[74:75], v[60:61], v[98:99]
	v_mul_f64_e32 v[82:83], v[62:63], v[98:99]
	v_add_f64_e32 v[4:5], v[4:5], v[80:81]
	v_add_f64_e32 v[8:9], v[8:9], v[72:73]
	s_wait_loadcnt_dscnt 0x200
	v_mul_f64_e32 v[70:71], v[64:65], v[12:13]
	v_mul_f64_e32 v[12:13], v[66:67], v[12:13]
	v_fmac_f64_e32 v[74:75], v[62:63], v[96:97]
	v_fma_f64 v[72:73], v[60:61], v[96:97], -v[82:83]
	v_add_f64_e32 v[68:69], v[4:5], v[68:69]
	v_add_f64_e32 v[8:9], v[8:9], v[76:77]
	ds_load_b128 v[60:63], v2 offset:640
	ds_load_b128 v[2:5], v2 offset:656
	v_fmac_f64_e32 v[70:71], v[66:67], v[10:11]
	v_fma_f64 v[10:11], v[64:65], v[10:11], -v[12:13]
	s_wait_loadcnt_dscnt 0x101
	v_mul_f64_e32 v[76:77], v[60:61], v[114:115]
	v_mul_f64_e32 v[78:79], v[62:63], v[114:115]
	s_wait_loadcnt_dscnt 0x0
	v_mul_f64_e32 v[64:65], v[2:3], v[58:59]
	v_mul_f64_e32 v[58:59], v[4:5], v[58:59]
	v_add_f64_e32 v[12:13], v[68:69], v[72:73]
	v_add_f64_e32 v[8:9], v[8:9], v[74:75]
	v_fmac_f64_e32 v[76:77], v[62:63], v[112:113]
	v_fma_f64 v[60:61], v[60:61], v[112:113], -v[78:79]
	v_fmac_f64_e32 v[64:65], v[4:5], v[56:57]
	v_fma_f64 v[2:3], v[2:3], v[56:57], -v[58:59]
	v_add_f64_e32 v[10:11], v[12:13], v[10:11]
	v_add_f64_e32 v[8:9], v[8:9], v[70:71]
	s_delay_alu instid0(VALU_DEP_2) | instskip(NEXT) | instid1(VALU_DEP_2)
	v_add_f64_e32 v[4:5], v[10:11], v[60:61]
	v_add_f64_e32 v[8:9], v[8:9], v[76:77]
	s_delay_alu instid0(VALU_DEP_2) | instskip(NEXT) | instid1(VALU_DEP_2)
	;; [unrolled: 3-line block ×3, first 2 shown]
	v_add_f64_e64 v[2:3], v[104:105], -v[2:3]
	v_add_f64_e64 v[4:5], v[106:107], -v[4:5]
	scratch_store_b128 off, v[2:5], off offset:96
	s_wait_xcnt 0x0
	v_cmpx_lt_u32_e32 5, v1
	s_cbranch_execz .LBB84_129
; %bb.128:
	scratch_load_b128 v[2:5], off, s22
	v_mov_b32_e32 v8, 0
	s_delay_alu instid0(VALU_DEP_1)
	v_dual_mov_b32 v9, v8 :: v_dual_mov_b32 v10, v8
	v_mov_b32_e32 v11, v8
	scratch_store_b128 off, v[8:11], off offset:80
	s_wait_loadcnt 0x0
	ds_store_b128 v6, v[2:5]
.LBB84_129:
	s_wait_xcnt 0x0
	s_or_b32 exec_lo, exec_lo, s2
	s_wait_storecnt_dscnt 0x0
	s_barrier_signal -1
	s_barrier_wait -1
	s_clause 0x9
	scratch_load_b128 v[8:11], off, off offset:96
	scratch_load_b128 v[56:59], off, off offset:112
	;; [unrolled: 1-line block ×10, first 2 shown]
	v_mov_b32_e32 v2, 0
	s_mov_b32 s2, exec_lo
	ds_load_b128 v[92:95], v2 offset:432
	s_clause 0x2
	scratch_load_b128 v[96:99], off, off offset:256
	scratch_load_b128 v[100:103], off, off offset:80
	;; [unrolled: 1-line block ×3, first 2 shown]
	s_wait_loadcnt_dscnt 0xc00
	v_mul_f64_e32 v[4:5], v[94:95], v[10:11]
	v_mul_f64_e32 v[116:117], v[92:93], v[10:11]
	ds_load_b128 v[104:107], v2 offset:448
	scratch_load_b128 v[10:13], off, off offset:272
	ds_load_b128 v[112:115], v2 offset:480
	v_fma_f64 v[4:5], v[92:93], v[8:9], -v[4:5]
	v_fmac_f64_e32 v[116:117], v[94:95], v[8:9]
	ds_load_b128 v[92:95], v2 offset:464
	s_wait_loadcnt_dscnt 0xc02
	v_mul_f64_e32 v[118:119], v[104:105], v[58:59]
	v_mul_f64_e32 v[58:59], v[106:107], v[58:59]
	s_wait_loadcnt_dscnt 0xb00
	v_mul_f64_e32 v[8:9], v[92:93], v[62:63]
	v_mul_f64_e32 v[62:63], v[94:95], v[62:63]
	v_add_f64_e32 v[4:5], 0, v[4:5]
	v_fmac_f64_e32 v[118:119], v[106:107], v[56:57]
	v_fma_f64 v[104:105], v[104:105], v[56:57], -v[58:59]
	v_add_f64_e32 v[106:107], 0, v[116:117]
	scratch_load_b128 v[56:59], off, off offset:304
	v_fmac_f64_e32 v[8:9], v[94:95], v[60:61]
	v_fma_f64 v[120:121], v[92:93], v[60:61], -v[62:63]
	ds_load_b128 v[60:63], v2 offset:496
	s_wait_loadcnt 0xb
	v_mul_f64_e32 v[116:117], v[112:113], v[66:67]
	v_mul_f64_e32 v[66:67], v[114:115], v[66:67]
	scratch_load_b128 v[92:95], off, off offset:320
	v_add_f64_e32 v[4:5], v[4:5], v[104:105]
	v_add_f64_e32 v[118:119], v[106:107], v[118:119]
	ds_load_b128 v[104:107], v2 offset:512
	s_wait_loadcnt_dscnt 0xb01
	v_mul_f64_e32 v[122:123], v[60:61], v[70:71]
	v_mul_f64_e32 v[70:71], v[62:63], v[70:71]
	v_fmac_f64_e32 v[116:117], v[114:115], v[64:65]
	v_fma_f64 v[64:65], v[112:113], v[64:65], -v[66:67]
	s_wait_loadcnt_dscnt 0xa00
	v_mul_f64_e32 v[112:113], v[104:105], v[74:75]
	v_mul_f64_e32 v[74:75], v[106:107], v[74:75]
	v_add_f64_e32 v[4:5], v[4:5], v[120:121]
	v_add_f64_e32 v[8:9], v[118:119], v[8:9]
	v_fmac_f64_e32 v[122:123], v[62:63], v[68:69]
	v_fma_f64 v[68:69], v[60:61], v[68:69], -v[70:71]
	v_fmac_f64_e32 v[112:113], v[106:107], v[72:73]
	v_fma_f64 v[72:73], v[104:105], v[72:73], -v[74:75]
	v_add_f64_e32 v[4:5], v[4:5], v[64:65]
	v_add_f64_e32 v[8:9], v[8:9], v[116:117]
	ds_load_b128 v[60:63], v2 offset:528
	ds_load_b128 v[64:67], v2 offset:544
	s_wait_loadcnt_dscnt 0x901
	v_mul_f64_e32 v[114:115], v[60:61], v[78:79]
	v_mul_f64_e32 v[70:71], v[62:63], v[78:79]
	s_wait_loadcnt_dscnt 0x800
	v_mul_f64_e32 v[74:75], v[64:65], v[82:83]
	v_mul_f64_e32 v[78:79], v[66:67], v[82:83]
	v_add_f64_e32 v[4:5], v[4:5], v[68:69]
	v_add_f64_e32 v[8:9], v[8:9], v[122:123]
	v_fmac_f64_e32 v[114:115], v[62:63], v[76:77]
	v_fma_f64 v[76:77], v[60:61], v[76:77], -v[70:71]
	ds_load_b128 v[60:63], v2 offset:560
	ds_load_b128 v[68:71], v2 offset:576
	v_fmac_f64_e32 v[74:75], v[66:67], v[80:81]
	v_fma_f64 v[64:65], v[64:65], v[80:81], -v[78:79]
	v_add_f64_e32 v[4:5], v[4:5], v[72:73]
	v_add_f64_e32 v[8:9], v[8:9], v[112:113]
	s_wait_loadcnt_dscnt 0x701
	v_mul_f64_e32 v[72:73], v[60:61], v[86:87]
	v_mul_f64_e32 v[82:83], v[62:63], v[86:87]
	s_wait_loadcnt_dscnt 0x600
	v_mul_f64_e32 v[78:79], v[70:71], v[90:91]
	v_add_f64_e32 v[4:5], v[4:5], v[76:77]
	v_add_f64_e32 v[8:9], v[8:9], v[114:115]
	v_mul_f64_e32 v[76:77], v[68:69], v[90:91]
	v_fmac_f64_e32 v[72:73], v[62:63], v[84:85]
	v_fma_f64 v[80:81], v[60:61], v[84:85], -v[82:83]
	v_fma_f64 v[68:69], v[68:69], v[88:89], -v[78:79]
	v_add_f64_e32 v[4:5], v[4:5], v[64:65]
	v_add_f64_e32 v[8:9], v[8:9], v[74:75]
	ds_load_b128 v[60:63], v2 offset:592
	ds_load_b128 v[64:67], v2 offset:608
	v_fmac_f64_e32 v[76:77], v[70:71], v[88:89]
	s_wait_loadcnt_dscnt 0x501
	v_mul_f64_e32 v[74:75], v[60:61], v[98:99]
	v_mul_f64_e32 v[82:83], v[62:63], v[98:99]
	v_add_f64_e32 v[4:5], v[4:5], v[80:81]
	v_add_f64_e32 v[8:9], v[8:9], v[72:73]
	s_wait_loadcnt_dscnt 0x200
	v_mul_f64_e32 v[72:73], v[64:65], v[12:13]
	v_mul_f64_e32 v[12:13], v[66:67], v[12:13]
	v_fmac_f64_e32 v[74:75], v[62:63], v[96:97]
	v_fma_f64 v[78:79], v[60:61], v[96:97], -v[82:83]
	v_add_f64_e32 v[4:5], v[4:5], v[68:69]
	v_add_f64_e32 v[8:9], v[8:9], v[76:77]
	ds_load_b128 v[60:63], v2 offset:624
	ds_load_b128 v[68:71], v2 offset:640
	v_fmac_f64_e32 v[72:73], v[66:67], v[10:11]
	v_fma_f64 v[10:11], v[64:65], v[10:11], -v[12:13]
	s_wait_dscnt 0x1
	v_mul_f64_e32 v[76:77], v[60:61], v[110:111]
	v_mul_f64_e32 v[80:81], v[62:63], v[110:111]
	v_add_f64_e32 v[4:5], v[4:5], v[78:79]
	v_add_f64_e32 v[8:9], v[8:9], v[74:75]
	s_wait_loadcnt_dscnt 0x100
	v_mul_f64_e32 v[12:13], v[68:69], v[58:59]
	v_mul_f64_e32 v[58:59], v[70:71], v[58:59]
	v_fmac_f64_e32 v[76:77], v[62:63], v[108:109]
	v_fma_f64 v[60:61], v[60:61], v[108:109], -v[80:81]
	v_add_f64_e32 v[4:5], v[4:5], v[10:11]
	v_add_f64_e32 v[62:63], v[8:9], v[72:73]
	ds_load_b128 v[8:11], v2 offset:656
	v_fmac_f64_e32 v[12:13], v[70:71], v[56:57]
	v_fma_f64 v[56:57], v[68:69], v[56:57], -v[58:59]
	s_wait_loadcnt_dscnt 0x0
	v_mul_f64_e32 v[64:65], v[8:9], v[94:95]
	v_mul_f64_e32 v[66:67], v[10:11], v[94:95]
	v_add_f64_e32 v[4:5], v[4:5], v[60:61]
	v_add_f64_e32 v[58:59], v[62:63], v[76:77]
	s_delay_alu instid0(VALU_DEP_4) | instskip(NEXT) | instid1(VALU_DEP_4)
	v_fmac_f64_e32 v[64:65], v[10:11], v[92:93]
	v_fma_f64 v[8:9], v[8:9], v[92:93], -v[66:67]
	s_delay_alu instid0(VALU_DEP_4) | instskip(NEXT) | instid1(VALU_DEP_4)
	v_add_f64_e32 v[4:5], v[4:5], v[56:57]
	v_add_f64_e32 v[10:11], v[58:59], v[12:13]
	s_delay_alu instid0(VALU_DEP_2) | instskip(NEXT) | instid1(VALU_DEP_2)
	v_add_f64_e32 v[4:5], v[4:5], v[8:9]
	v_add_f64_e32 v[10:11], v[10:11], v[64:65]
	s_delay_alu instid0(VALU_DEP_2) | instskip(NEXT) | instid1(VALU_DEP_2)
	v_add_f64_e64 v[8:9], v[100:101], -v[4:5]
	v_add_f64_e64 v[10:11], v[102:103], -v[10:11]
	scratch_store_b128 off, v[8:11], off offset:80
	s_wait_xcnt 0x0
	v_cmpx_lt_u32_e32 4, v1
	s_cbranch_execz .LBB84_131
; %bb.130:
	scratch_load_b128 v[8:11], off, s12
	v_dual_mov_b32 v3, v2 :: v_dual_mov_b32 v4, v2
	v_mov_b32_e32 v5, v2
	scratch_store_b128 off, v[2:5], off offset:64
	s_wait_loadcnt 0x0
	ds_store_b128 v6, v[8:11]
.LBB84_131:
	s_wait_xcnt 0x0
	s_or_b32 exec_lo, exec_lo, s2
	s_wait_storecnt_dscnt 0x0
	s_barrier_signal -1
	s_barrier_wait -1
	s_clause 0x9
	scratch_load_b128 v[8:11], off, off offset:80
	scratch_load_b128 v[56:59], off, off offset:96
	;; [unrolled: 1-line block ×10, first 2 shown]
	ds_load_b128 v[92:95], v2 offset:416
	ds_load_b128 v[100:103], v2 offset:432
	s_clause 0x1
	scratch_load_b128 v[96:99], off, off offset:240
	scratch_load_b128 v[104:107], off, off offset:64
	s_mov_b32 s2, exec_lo
	s_wait_loadcnt_dscnt 0xb01
	v_mul_f64_e32 v[4:5], v[94:95], v[10:11]
	v_mul_f64_e32 v[116:117], v[92:93], v[10:11]
	scratch_load_b128 v[10:13], off, off offset:256
	s_wait_loadcnt_dscnt 0xb00
	v_mul_f64_e32 v[118:119], v[100:101], v[58:59]
	v_mul_f64_e32 v[58:59], v[102:103], v[58:59]
	v_fma_f64 v[4:5], v[92:93], v[8:9], -v[4:5]
	v_fmac_f64_e32 v[116:117], v[94:95], v[8:9]
	ds_load_b128 v[92:95], v2 offset:448
	ds_load_b128 v[108:111], v2 offset:464
	scratch_load_b128 v[112:115], off, off offset:272
	v_fmac_f64_e32 v[118:119], v[102:103], v[56:57]
	v_fma_f64 v[100:101], v[100:101], v[56:57], -v[58:59]
	scratch_load_b128 v[56:59], off, off offset:288
	s_wait_loadcnt_dscnt 0xc01
	v_mul_f64_e32 v[8:9], v[92:93], v[62:63]
	v_mul_f64_e32 v[62:63], v[94:95], v[62:63]
	v_add_f64_e32 v[4:5], 0, v[4:5]
	v_add_f64_e32 v[102:103], 0, v[116:117]
	s_wait_loadcnt_dscnt 0xb00
	v_mul_f64_e32 v[116:117], v[108:109], v[66:67]
	v_mul_f64_e32 v[66:67], v[110:111], v[66:67]
	v_fmac_f64_e32 v[8:9], v[94:95], v[60:61]
	v_fma_f64 v[120:121], v[92:93], v[60:61], -v[62:63]
	ds_load_b128 v[60:63], v2 offset:480
	ds_load_b128 v[92:95], v2 offset:496
	v_add_f64_e32 v[4:5], v[4:5], v[100:101]
	v_add_f64_e32 v[118:119], v[102:103], v[118:119]
	scratch_load_b128 v[100:103], off, off offset:304
	v_fmac_f64_e32 v[116:117], v[110:111], v[64:65]
	v_fma_f64 v[108:109], v[108:109], v[64:65], -v[66:67]
	scratch_load_b128 v[64:67], off, off offset:320
	s_wait_loadcnt_dscnt 0xc01
	v_mul_f64_e32 v[122:123], v[60:61], v[70:71]
	v_mul_f64_e32 v[70:71], v[62:63], v[70:71]
	s_wait_loadcnt_dscnt 0xb00
	v_mul_f64_e32 v[110:111], v[92:93], v[74:75]
	v_mul_f64_e32 v[74:75], v[94:95], v[74:75]
	v_add_f64_e32 v[4:5], v[4:5], v[120:121]
	v_add_f64_e32 v[8:9], v[118:119], v[8:9]
	v_fmac_f64_e32 v[122:123], v[62:63], v[68:69]
	v_fma_f64 v[118:119], v[60:61], v[68:69], -v[70:71]
	ds_load_b128 v[60:63], v2 offset:512
	ds_load_b128 v[68:71], v2 offset:528
	v_fmac_f64_e32 v[110:111], v[94:95], v[72:73]
	v_fma_f64 v[72:73], v[92:93], v[72:73], -v[74:75]
	s_wait_loadcnt_dscnt 0x900
	v_mul_f64_e32 v[92:93], v[68:69], v[82:83]
	v_add_f64_e32 v[4:5], v[4:5], v[108:109]
	v_add_f64_e32 v[8:9], v[8:9], v[116:117]
	v_mul_f64_e32 v[108:109], v[60:61], v[78:79]
	v_mul_f64_e32 v[78:79], v[62:63], v[78:79]
	;; [unrolled: 1-line block ×3, first 2 shown]
	v_fmac_f64_e32 v[92:93], v[70:71], v[80:81]
	v_add_f64_e32 v[4:5], v[4:5], v[118:119]
	v_add_f64_e32 v[8:9], v[8:9], v[122:123]
	v_fmac_f64_e32 v[108:109], v[62:63], v[76:77]
	v_fma_f64 v[76:77], v[60:61], v[76:77], -v[78:79]
	v_fma_f64 v[68:69], v[68:69], v[80:81], -v[82:83]
	v_add_f64_e32 v[4:5], v[4:5], v[72:73]
	v_add_f64_e32 v[8:9], v[8:9], v[110:111]
	ds_load_b128 v[60:63], v2 offset:544
	ds_load_b128 v[72:75], v2 offset:560
	s_wait_loadcnt_dscnt 0x801
	v_mul_f64_e32 v[78:79], v[60:61], v[86:87]
	v_mul_f64_e32 v[86:87], v[62:63], v[86:87]
	s_wait_loadcnt_dscnt 0x700
	v_mul_f64_e32 v[80:81], v[74:75], v[90:91]
	v_add_f64_e32 v[4:5], v[4:5], v[76:77]
	v_add_f64_e32 v[8:9], v[8:9], v[108:109]
	v_mul_f64_e32 v[76:77], v[72:73], v[90:91]
	v_fmac_f64_e32 v[78:79], v[62:63], v[84:85]
	v_fma_f64 v[82:83], v[60:61], v[84:85], -v[86:87]
	v_fma_f64 v[72:73], v[72:73], v[88:89], -v[80:81]
	v_add_f64_e32 v[4:5], v[4:5], v[68:69]
	v_add_f64_e32 v[8:9], v[8:9], v[92:93]
	ds_load_b128 v[60:63], v2 offset:576
	ds_load_b128 v[68:71], v2 offset:592
	v_fmac_f64_e32 v[76:77], v[74:75], v[88:89]
	s_wait_loadcnt_dscnt 0x601
	v_mul_f64_e32 v[84:85], v[60:61], v[98:99]
	v_mul_f64_e32 v[86:87], v[62:63], v[98:99]
	v_add_f64_e32 v[4:5], v[4:5], v[82:83]
	v_add_f64_e32 v[8:9], v[8:9], v[78:79]
	s_wait_loadcnt_dscnt 0x400
	v_mul_f64_e32 v[78:79], v[68:69], v[12:13]
	v_mul_f64_e32 v[12:13], v[70:71], v[12:13]
	v_fmac_f64_e32 v[84:85], v[62:63], v[96:97]
	v_fma_f64 v[80:81], v[60:61], v[96:97], -v[86:87]
	v_add_f64_e32 v[4:5], v[4:5], v[72:73]
	v_add_f64_e32 v[8:9], v[8:9], v[76:77]
	ds_load_b128 v[60:63], v2 offset:608
	ds_load_b128 v[72:75], v2 offset:624
	v_fmac_f64_e32 v[78:79], v[70:71], v[10:11]
	v_fma_f64 v[10:11], v[68:69], v[10:11], -v[12:13]
	s_wait_loadcnt_dscnt 0x301
	v_mul_f64_e32 v[76:77], v[60:61], v[114:115]
	v_mul_f64_e32 v[82:83], v[62:63], v[114:115]
	s_wait_loadcnt_dscnt 0x200
	v_mul_f64_e32 v[12:13], v[72:73], v[58:59]
	v_mul_f64_e32 v[58:59], v[74:75], v[58:59]
	v_add_f64_e32 v[4:5], v[4:5], v[80:81]
	v_add_f64_e32 v[8:9], v[8:9], v[84:85]
	v_fmac_f64_e32 v[76:77], v[62:63], v[112:113]
	v_fma_f64 v[60:61], v[60:61], v[112:113], -v[82:83]
	v_fmac_f64_e32 v[12:13], v[74:75], v[56:57]
	v_fma_f64 v[56:57], v[72:73], v[56:57], -v[58:59]
	v_add_f64_e32 v[62:63], v[4:5], v[10:11]
	v_add_f64_e32 v[68:69], v[8:9], v[78:79]
	ds_load_b128 v[8:11], v2 offset:640
	ds_load_b128 v[2:5], v2 offset:656
	s_wait_loadcnt_dscnt 0x101
	v_mul_f64_e32 v[70:71], v[8:9], v[102:103]
	v_mul_f64_e32 v[78:79], v[10:11], v[102:103]
	v_add_f64_e32 v[58:59], v[62:63], v[60:61]
	v_add_f64_e32 v[60:61], v[68:69], v[76:77]
	s_wait_loadcnt_dscnt 0x0
	v_mul_f64_e32 v[62:63], v[2:3], v[66:67]
	v_mul_f64_e32 v[66:67], v[4:5], v[66:67]
	v_fmac_f64_e32 v[70:71], v[10:11], v[100:101]
	v_fma_f64 v[8:9], v[8:9], v[100:101], -v[78:79]
	v_add_f64_e32 v[10:11], v[58:59], v[56:57]
	v_add_f64_e32 v[12:13], v[60:61], v[12:13]
	v_fmac_f64_e32 v[62:63], v[4:5], v[64:65]
	v_fma_f64 v[2:3], v[2:3], v[64:65], -v[66:67]
	s_delay_alu instid0(VALU_DEP_4) | instskip(NEXT) | instid1(VALU_DEP_4)
	v_add_f64_e32 v[4:5], v[10:11], v[8:9]
	v_add_f64_e32 v[8:9], v[12:13], v[70:71]
	s_delay_alu instid0(VALU_DEP_2) | instskip(NEXT) | instid1(VALU_DEP_2)
	v_add_f64_e32 v[2:3], v[4:5], v[2:3]
	v_add_f64_e32 v[4:5], v[8:9], v[62:63]
	s_delay_alu instid0(VALU_DEP_2) | instskip(NEXT) | instid1(VALU_DEP_2)
	v_add_f64_e64 v[2:3], v[104:105], -v[2:3]
	v_add_f64_e64 v[4:5], v[106:107], -v[4:5]
	scratch_store_b128 off, v[2:5], off offset:64
	s_wait_xcnt 0x0
	v_cmpx_lt_u32_e32 3, v1
	s_cbranch_execz .LBB84_133
; %bb.132:
	scratch_load_b128 v[2:5], off, s21
	v_mov_b32_e32 v8, 0
	s_delay_alu instid0(VALU_DEP_1)
	v_dual_mov_b32 v9, v8 :: v_dual_mov_b32 v10, v8
	v_mov_b32_e32 v11, v8
	scratch_store_b128 off, v[8:11], off offset:48
	s_wait_loadcnt 0x0
	ds_store_b128 v6, v[2:5]
.LBB84_133:
	s_wait_xcnt 0x0
	s_or_b32 exec_lo, exec_lo, s2
	s_wait_storecnt_dscnt 0x0
	s_barrier_signal -1
	s_barrier_wait -1
	s_clause 0x9
	scratch_load_b128 v[8:11], off, off offset:64
	scratch_load_b128 v[56:59], off, off offset:80
	;; [unrolled: 1-line block ×10, first 2 shown]
	v_mov_b32_e32 v2, 0
	s_mov_b32 s2, exec_lo
	ds_load_b128 v[92:95], v2 offset:400
	s_clause 0x2
	scratch_load_b128 v[96:99], off, off offset:224
	scratch_load_b128 v[100:103], off, off offset:48
	;; [unrolled: 1-line block ×3, first 2 shown]
	s_wait_loadcnt_dscnt 0xc00
	v_mul_f64_e32 v[4:5], v[94:95], v[10:11]
	v_mul_f64_e32 v[116:117], v[92:93], v[10:11]
	ds_load_b128 v[104:107], v2 offset:416
	scratch_load_b128 v[10:13], off, off offset:240
	ds_load_b128 v[112:115], v2 offset:448
	v_fma_f64 v[4:5], v[92:93], v[8:9], -v[4:5]
	v_fmac_f64_e32 v[116:117], v[94:95], v[8:9]
	ds_load_b128 v[92:95], v2 offset:432
	s_wait_loadcnt_dscnt 0xc02
	v_mul_f64_e32 v[118:119], v[104:105], v[58:59]
	v_mul_f64_e32 v[58:59], v[106:107], v[58:59]
	s_wait_loadcnt_dscnt 0xb00
	v_mul_f64_e32 v[8:9], v[92:93], v[62:63]
	v_mul_f64_e32 v[62:63], v[94:95], v[62:63]
	v_add_f64_e32 v[4:5], 0, v[4:5]
	v_fmac_f64_e32 v[118:119], v[106:107], v[56:57]
	v_fma_f64 v[104:105], v[104:105], v[56:57], -v[58:59]
	v_add_f64_e32 v[106:107], 0, v[116:117]
	scratch_load_b128 v[56:59], off, off offset:272
	v_fmac_f64_e32 v[8:9], v[94:95], v[60:61]
	v_fma_f64 v[120:121], v[92:93], v[60:61], -v[62:63]
	ds_load_b128 v[60:63], v2 offset:464
	s_wait_loadcnt 0xb
	v_mul_f64_e32 v[116:117], v[112:113], v[66:67]
	v_mul_f64_e32 v[66:67], v[114:115], v[66:67]
	scratch_load_b128 v[92:95], off, off offset:288
	v_add_f64_e32 v[4:5], v[4:5], v[104:105]
	v_add_f64_e32 v[118:119], v[106:107], v[118:119]
	ds_load_b128 v[104:107], v2 offset:480
	s_wait_loadcnt_dscnt 0xb01
	v_mul_f64_e32 v[122:123], v[60:61], v[70:71]
	v_mul_f64_e32 v[70:71], v[62:63], v[70:71]
	v_fmac_f64_e32 v[116:117], v[114:115], v[64:65]
	v_fma_f64 v[112:113], v[112:113], v[64:65], -v[66:67]
	scratch_load_b128 v[64:67], off, off offset:304
	v_add_f64_e32 v[4:5], v[4:5], v[120:121]
	v_add_f64_e32 v[8:9], v[118:119], v[8:9]
	v_fmac_f64_e32 v[122:123], v[62:63], v[68:69]
	v_fma_f64 v[120:121], v[60:61], v[68:69], -v[70:71]
	ds_load_b128 v[60:63], v2 offset:496
	s_wait_loadcnt_dscnt 0xb01
	v_mul_f64_e32 v[118:119], v[104:105], v[74:75]
	v_mul_f64_e32 v[74:75], v[106:107], v[74:75]
	scratch_load_b128 v[68:71], off, off offset:320
	v_add_f64_e32 v[4:5], v[4:5], v[112:113]
	v_add_f64_e32 v[8:9], v[8:9], v[116:117]
	s_wait_loadcnt_dscnt 0xb00
	v_mul_f64_e32 v[116:117], v[60:61], v[78:79]
	v_mul_f64_e32 v[78:79], v[62:63], v[78:79]
	ds_load_b128 v[112:115], v2 offset:512
	v_fmac_f64_e32 v[118:119], v[106:107], v[72:73]
	v_fma_f64 v[72:73], v[104:105], v[72:73], -v[74:75]
	s_wait_loadcnt_dscnt 0xa00
	v_mul_f64_e32 v[104:105], v[112:113], v[82:83]
	v_mul_f64_e32 v[82:83], v[114:115], v[82:83]
	v_add_f64_e32 v[4:5], v[4:5], v[120:121]
	v_add_f64_e32 v[8:9], v[8:9], v[122:123]
	v_fmac_f64_e32 v[116:117], v[62:63], v[76:77]
	v_fma_f64 v[76:77], v[60:61], v[76:77], -v[78:79]
	v_fmac_f64_e32 v[104:105], v[114:115], v[80:81]
	v_fma_f64 v[80:81], v[112:113], v[80:81], -v[82:83]
	v_add_f64_e32 v[4:5], v[4:5], v[72:73]
	v_add_f64_e32 v[8:9], v[8:9], v[118:119]
	ds_load_b128 v[60:63], v2 offset:528
	ds_load_b128 v[72:75], v2 offset:544
	s_wait_loadcnt_dscnt 0x901
	v_mul_f64_e32 v[106:107], v[60:61], v[86:87]
	v_mul_f64_e32 v[78:79], v[62:63], v[86:87]
	s_wait_loadcnt_dscnt 0x800
	v_mul_f64_e32 v[82:83], v[72:73], v[90:91]
	v_mul_f64_e32 v[86:87], v[74:75], v[90:91]
	v_add_f64_e32 v[4:5], v[4:5], v[76:77]
	v_add_f64_e32 v[8:9], v[8:9], v[116:117]
	v_fmac_f64_e32 v[106:107], v[62:63], v[84:85]
	v_fma_f64 v[84:85], v[60:61], v[84:85], -v[78:79]
	ds_load_b128 v[60:63], v2 offset:560
	ds_load_b128 v[76:79], v2 offset:576
	v_fmac_f64_e32 v[82:83], v[74:75], v[88:89]
	v_fma_f64 v[72:73], v[72:73], v[88:89], -v[86:87]
	v_add_f64_e32 v[4:5], v[4:5], v[80:81]
	v_add_f64_e32 v[8:9], v[8:9], v[104:105]
	s_wait_loadcnt_dscnt 0x701
	v_mul_f64_e32 v[80:81], v[60:61], v[98:99]
	v_mul_f64_e32 v[90:91], v[62:63], v[98:99]
	s_delay_alu instid0(VALU_DEP_4) | instskip(NEXT) | instid1(VALU_DEP_4)
	v_add_f64_e32 v[4:5], v[4:5], v[84:85]
	v_add_f64_e32 v[8:9], v[8:9], v[106:107]
	s_wait_loadcnt_dscnt 0x400
	v_mul_f64_e32 v[84:85], v[76:77], v[12:13]
	v_mul_f64_e32 v[12:13], v[78:79], v[12:13]
	v_fmac_f64_e32 v[80:81], v[62:63], v[96:97]
	v_fma_f64 v[86:87], v[60:61], v[96:97], -v[90:91]
	v_add_f64_e32 v[4:5], v[4:5], v[72:73]
	v_add_f64_e32 v[8:9], v[8:9], v[82:83]
	ds_load_b128 v[60:63], v2 offset:592
	ds_load_b128 v[72:75], v2 offset:608
	v_fmac_f64_e32 v[84:85], v[78:79], v[10:11]
	v_fma_f64 v[10:11], v[76:77], v[10:11], -v[12:13]
	s_wait_dscnt 0x1
	v_mul_f64_e32 v[82:83], v[60:61], v[110:111]
	v_mul_f64_e32 v[88:89], v[62:63], v[110:111]
	v_add_f64_e32 v[4:5], v[4:5], v[86:87]
	v_add_f64_e32 v[8:9], v[8:9], v[80:81]
	s_wait_loadcnt_dscnt 0x300
	v_mul_f64_e32 v[12:13], v[72:73], v[58:59]
	v_mul_f64_e32 v[76:77], v[74:75], v[58:59]
	v_fmac_f64_e32 v[82:83], v[62:63], v[108:109]
	v_fma_f64 v[62:63], v[60:61], v[108:109], -v[88:89]
	v_add_f64_e32 v[4:5], v[4:5], v[10:11]
	v_add_f64_e32 v[78:79], v[8:9], v[84:85]
	ds_load_b128 v[8:11], v2 offset:624
	ds_load_b128 v[58:61], v2 offset:640
	v_fmac_f64_e32 v[12:13], v[74:75], v[56:57]
	v_fma_f64 v[56:57], v[72:73], v[56:57], -v[76:77]
	s_wait_loadcnt_dscnt 0x201
	v_mul_f64_e32 v[80:81], v[8:9], v[94:95]
	v_mul_f64_e32 v[84:85], v[10:11], v[94:95]
	s_wait_loadcnt_dscnt 0x100
	v_mul_f64_e32 v[72:73], v[58:59], v[66:67]
	v_mul_f64_e32 v[66:67], v[60:61], v[66:67]
	v_add_f64_e32 v[4:5], v[4:5], v[62:63]
	v_add_f64_e32 v[62:63], v[78:79], v[82:83]
	v_fmac_f64_e32 v[80:81], v[10:11], v[92:93]
	v_fma_f64 v[74:75], v[8:9], v[92:93], -v[84:85]
	ds_load_b128 v[8:11], v2 offset:656
	v_fmac_f64_e32 v[72:73], v[60:61], v[64:65]
	v_fma_f64 v[58:59], v[58:59], v[64:65], -v[66:67]
	v_add_f64_e32 v[4:5], v[4:5], v[56:57]
	v_add_f64_e32 v[12:13], v[62:63], v[12:13]
	s_wait_loadcnt_dscnt 0x0
	v_mul_f64_e32 v[56:57], v[8:9], v[70:71]
	v_mul_f64_e32 v[62:63], v[10:11], v[70:71]
	s_delay_alu instid0(VALU_DEP_4) | instskip(NEXT) | instid1(VALU_DEP_4)
	v_add_f64_e32 v[4:5], v[4:5], v[74:75]
	v_add_f64_e32 v[12:13], v[12:13], v[80:81]
	s_delay_alu instid0(VALU_DEP_4) | instskip(NEXT) | instid1(VALU_DEP_4)
	v_fmac_f64_e32 v[56:57], v[10:11], v[68:69]
	v_fma_f64 v[8:9], v[8:9], v[68:69], -v[62:63]
	s_delay_alu instid0(VALU_DEP_4) | instskip(NEXT) | instid1(VALU_DEP_4)
	v_add_f64_e32 v[4:5], v[4:5], v[58:59]
	v_add_f64_e32 v[10:11], v[12:13], v[72:73]
	s_delay_alu instid0(VALU_DEP_2) | instskip(NEXT) | instid1(VALU_DEP_2)
	v_add_f64_e32 v[4:5], v[4:5], v[8:9]
	v_add_f64_e32 v[10:11], v[10:11], v[56:57]
	s_delay_alu instid0(VALU_DEP_2) | instskip(NEXT) | instid1(VALU_DEP_2)
	v_add_f64_e64 v[8:9], v[100:101], -v[4:5]
	v_add_f64_e64 v[10:11], v[102:103], -v[10:11]
	scratch_store_b128 off, v[8:11], off offset:48
	s_wait_xcnt 0x0
	v_cmpx_lt_u32_e32 2, v1
	s_cbranch_execz .LBB84_135
; %bb.134:
	scratch_load_b128 v[8:11], off, s30
	v_dual_mov_b32 v3, v2 :: v_dual_mov_b32 v4, v2
	v_mov_b32_e32 v5, v2
	scratch_store_b128 off, v[2:5], off offset:32
	s_wait_loadcnt 0x0
	ds_store_b128 v6, v[8:11]
.LBB84_135:
	s_wait_xcnt 0x0
	s_or_b32 exec_lo, exec_lo, s2
	s_wait_storecnt_dscnt 0x0
	s_barrier_signal -1
	s_barrier_wait -1
	s_clause 0x9
	scratch_load_b128 v[8:11], off, off offset:48
	scratch_load_b128 v[56:59], off, off offset:64
	;; [unrolled: 1-line block ×10, first 2 shown]
	ds_load_b128 v[92:95], v2 offset:384
	ds_load_b128 v[100:103], v2 offset:400
	s_clause 0x1
	scratch_load_b128 v[96:99], off, off offset:208
	scratch_load_b128 v[104:107], off, off offset:32
	s_mov_b32 s2, exec_lo
	v_ashrrev_i32_e32 v21, 31, v20
	v_ashrrev_i32_e32 v25, 31, v24
	;; [unrolled: 1-line block ×3, first 2 shown]
	v_dual_ashrrev_i32 v33, 31, v32 :: v_dual_ashrrev_i32 v19, 31, v18
	v_dual_ashrrev_i32 v23, 31, v22 :: v_dual_ashrrev_i32 v37, 31, v36
	;; [unrolled: 1-line block ×6, first 2 shown]
	v_ashrrev_i32_e32 v43, 31, v42
	v_ashrrev_i32_e32 v47, 31, v46
	;; [unrolled: 1-line block ×4, first 2 shown]
	s_wait_loadcnt_dscnt 0xb01
	v_mul_f64_e32 v[4:5], v[94:95], v[10:11]
	v_mul_f64_e32 v[116:117], v[92:93], v[10:11]
	scratch_load_b128 v[10:13], off, off offset:224
	s_wait_loadcnt_dscnt 0xb00
	v_mul_f64_e32 v[118:119], v[100:101], v[58:59]
	v_mul_f64_e32 v[58:59], v[102:103], v[58:59]
	v_fma_f64 v[4:5], v[92:93], v[8:9], -v[4:5]
	v_fmac_f64_e32 v[116:117], v[94:95], v[8:9]
	ds_load_b128 v[92:95], v2 offset:416
	ds_load_b128 v[108:111], v2 offset:432
	scratch_load_b128 v[112:115], off, off offset:240
	v_fmac_f64_e32 v[118:119], v[102:103], v[56:57]
	v_fma_f64 v[100:101], v[100:101], v[56:57], -v[58:59]
	scratch_load_b128 v[56:59], off, off offset:256
	s_wait_loadcnt_dscnt 0xc01
	v_mul_f64_e32 v[8:9], v[92:93], v[62:63]
	v_mul_f64_e32 v[62:63], v[94:95], v[62:63]
	v_add_f64_e32 v[4:5], 0, v[4:5]
	v_add_f64_e32 v[102:103], 0, v[116:117]
	s_wait_loadcnt_dscnt 0xb00
	v_mul_f64_e32 v[116:117], v[108:109], v[66:67]
	v_mul_f64_e32 v[66:67], v[110:111], v[66:67]
	v_fmac_f64_e32 v[8:9], v[94:95], v[60:61]
	v_fma_f64 v[120:121], v[92:93], v[60:61], -v[62:63]
	ds_load_b128 v[60:63], v2 offset:448
	ds_load_b128 v[92:95], v2 offset:464
	v_add_f64_e32 v[4:5], v[4:5], v[100:101]
	v_add_f64_e32 v[118:119], v[102:103], v[118:119]
	scratch_load_b128 v[100:103], off, off offset:272
	v_fmac_f64_e32 v[116:117], v[110:111], v[64:65]
	v_fma_f64 v[108:109], v[108:109], v[64:65], -v[66:67]
	scratch_load_b128 v[64:67], off, off offset:288
	s_wait_loadcnt_dscnt 0xc01
	v_mul_f64_e32 v[122:123], v[60:61], v[70:71]
	v_mul_f64_e32 v[70:71], v[62:63], v[70:71]
	v_add_f64_e32 v[4:5], v[4:5], v[120:121]
	v_add_f64_e32 v[8:9], v[118:119], v[8:9]
	s_wait_loadcnt_dscnt 0xb00
	v_mul_f64_e32 v[118:119], v[92:93], v[74:75]
	v_mul_f64_e32 v[74:75], v[94:95], v[74:75]
	v_fmac_f64_e32 v[122:123], v[62:63], v[68:69]
	v_fma_f64 v[120:121], v[60:61], v[68:69], -v[70:71]
	ds_load_b128 v[60:63], v2 offset:480
	ds_load_b128 v[68:71], v2 offset:496
	v_add_f64_e32 v[4:5], v[4:5], v[108:109]
	v_add_f64_e32 v[8:9], v[8:9], v[116:117]
	scratch_load_b128 v[108:111], off, off offset:304
	s_wait_loadcnt_dscnt 0xb01
	v_mul_f64_e32 v[116:117], v[60:61], v[78:79]
	v_mul_f64_e32 v[78:79], v[62:63], v[78:79]
	v_fmac_f64_e32 v[118:119], v[94:95], v[72:73]
	v_fma_f64 v[92:93], v[92:93], v[72:73], -v[74:75]
	scratch_load_b128 v[72:75], off, off offset:320
	s_wait_loadcnt_dscnt 0xb00
	v_mul_f64_e32 v[94:95], v[68:69], v[82:83]
	v_mul_f64_e32 v[82:83], v[70:71], v[82:83]
	v_add_f64_e32 v[4:5], v[4:5], v[120:121]
	v_add_f64_e32 v[8:9], v[8:9], v[122:123]
	v_fmac_f64_e32 v[116:117], v[62:63], v[76:77]
	v_fma_f64 v[120:121], v[60:61], v[76:77], -v[78:79]
	ds_load_b128 v[60:63], v2 offset:512
	ds_load_b128 v[76:79], v2 offset:528
	v_fmac_f64_e32 v[94:95], v[70:71], v[80:81]
	v_fma_f64 v[68:69], v[68:69], v[80:81], -v[82:83]
	s_wait_loadcnt_dscnt 0x900
	v_mul_f64_e32 v[80:81], v[76:77], v[90:91]
	v_mul_f64_e32 v[82:83], v[78:79], v[90:91]
	v_add_f64_e32 v[4:5], v[4:5], v[92:93]
	v_add_f64_e32 v[8:9], v[8:9], v[118:119]
	v_mul_f64_e32 v[92:93], v[60:61], v[86:87]
	v_mul_f64_e32 v[86:87], v[62:63], v[86:87]
	v_fmac_f64_e32 v[80:81], v[78:79], v[88:89]
	v_fma_f64 v[76:77], v[76:77], v[88:89], -v[82:83]
	v_add_f64_e32 v[4:5], v[4:5], v[120:121]
	v_add_f64_e32 v[8:9], v[8:9], v[116:117]
	v_fmac_f64_e32 v[92:93], v[62:63], v[84:85]
	v_fma_f64 v[84:85], v[60:61], v[84:85], -v[86:87]
	s_delay_alu instid0(VALU_DEP_4) | instskip(NEXT) | instid1(VALU_DEP_4)
	v_add_f64_e32 v[4:5], v[4:5], v[68:69]
	v_add_f64_e32 v[8:9], v[8:9], v[94:95]
	ds_load_b128 v[60:63], v2 offset:544
	ds_load_b128 v[68:71], v2 offset:560
	s_wait_loadcnt_dscnt 0x801
	v_mul_f64_e32 v[86:87], v[60:61], v[98:99]
	v_mul_f64_e32 v[90:91], v[62:63], v[98:99]
	v_add_f64_e32 v[4:5], v[4:5], v[84:85]
	v_add_f64_e32 v[8:9], v[8:9], v[92:93]
	s_wait_loadcnt_dscnt 0x600
	v_mul_f64_e32 v[82:83], v[68:69], v[12:13]
	v_mul_f64_e32 v[12:13], v[70:71], v[12:13]
	v_fmac_f64_e32 v[86:87], v[62:63], v[96:97]
	v_fma_f64 v[84:85], v[60:61], v[96:97], -v[90:91]
	v_add_f64_e32 v[4:5], v[4:5], v[76:77]
	v_add_f64_e32 v[8:9], v[8:9], v[80:81]
	ds_load_b128 v[60:63], v2 offset:576
	ds_load_b128 v[76:79], v2 offset:592
	v_fmac_f64_e32 v[82:83], v[70:71], v[10:11]
	v_fma_f64 v[10:11], v[68:69], v[10:11], -v[12:13]
	s_wait_loadcnt_dscnt 0x501
	v_mul_f64_e32 v[80:81], v[60:61], v[114:115]
	v_mul_f64_e32 v[88:89], v[62:63], v[114:115]
	s_wait_loadcnt_dscnt 0x400
	v_mul_f64_e32 v[12:13], v[76:77], v[58:59]
	v_mul_f64_e32 v[68:69], v[78:79], v[58:59]
	v_add_f64_e32 v[4:5], v[4:5], v[84:85]
	v_add_f64_e32 v[8:9], v[8:9], v[86:87]
	v_fmac_f64_e32 v[80:81], v[62:63], v[112:113]
	v_fma_f64 v[62:63], v[60:61], v[112:113], -v[88:89]
	v_fmac_f64_e32 v[12:13], v[78:79], v[56:57]
	v_fma_f64 v[56:57], v[76:77], v[56:57], -v[68:69]
	v_add_f64_e32 v[4:5], v[4:5], v[10:11]
	v_add_f64_e32 v[70:71], v[8:9], v[82:83]
	ds_load_b128 v[8:11], v2 offset:608
	ds_load_b128 v[58:61], v2 offset:624
	s_wait_loadcnt_dscnt 0x301
	v_mul_f64_e32 v[82:83], v[8:9], v[102:103]
	v_mul_f64_e32 v[84:85], v[10:11], v[102:103]
	s_wait_loadcnt_dscnt 0x200
	v_mul_f64_e32 v[68:69], v[58:59], v[66:67]
	v_mul_f64_e32 v[66:67], v[60:61], v[66:67]
	v_add_f64_e32 v[4:5], v[4:5], v[62:63]
	v_add_f64_e32 v[62:63], v[70:71], v[80:81]
	v_fmac_f64_e32 v[82:83], v[10:11], v[100:101]
	v_fma_f64 v[70:71], v[8:9], v[100:101], -v[84:85]
	v_fmac_f64_e32 v[68:69], v[60:61], v[64:65]
	v_fma_f64 v[58:59], v[58:59], v[64:65], -v[66:67]
	v_add_f64_e32 v[56:57], v[4:5], v[56:57]
	v_add_f64_e32 v[12:13], v[62:63], v[12:13]
	ds_load_b128 v[8:11], v2 offset:640
	ds_load_b128 v[2:5], v2 offset:656
	s_wait_loadcnt_dscnt 0x101
	v_mul_f64_e32 v[62:63], v[8:9], v[110:111]
	v_mul_f64_e32 v[76:77], v[10:11], v[110:111]
	s_wait_loadcnt_dscnt 0x0
	v_mul_f64_e32 v[60:61], v[2:3], v[74:75]
	v_mul_f64_e32 v[64:65], v[4:5], v[74:75]
	v_add_f64_e32 v[56:57], v[56:57], v[70:71]
	v_add_f64_e32 v[12:13], v[12:13], v[82:83]
	v_fmac_f64_e32 v[62:63], v[10:11], v[108:109]
	v_fma_f64 v[8:9], v[8:9], v[108:109], -v[76:77]
	v_fmac_f64_e32 v[60:61], v[4:5], v[72:73]
	v_fma_f64 v[2:3], v[2:3], v[72:73], -v[64:65]
	v_add_f64_e32 v[10:11], v[56:57], v[58:59]
	v_add_f64_e32 v[12:13], v[12:13], v[68:69]
	s_delay_alu instid0(VALU_DEP_2) | instskip(NEXT) | instid1(VALU_DEP_2)
	v_add_f64_e32 v[4:5], v[10:11], v[8:9]
	v_add_f64_e32 v[8:9], v[12:13], v[62:63]
	s_delay_alu instid0(VALU_DEP_2) | instskip(NEXT) | instid1(VALU_DEP_2)
	;; [unrolled: 3-line block ×3, first 2 shown]
	v_add_f64_e64 v[2:3], v[104:105], -v[2:3]
	v_add_f64_e64 v[4:5], v[106:107], -v[4:5]
	scratch_store_b128 off, v[2:5], off offset:32
	s_wait_xcnt 0x0
	v_cmpx_lt_u32_e32 1, v1
	s_cbranch_execz .LBB84_137
; %bb.136:
	scratch_load_b128 v[2:5], off, s31
	v_mov_b32_e32 v8, 0
	s_delay_alu instid0(VALU_DEP_1)
	v_dual_mov_b32 v9, v8 :: v_dual_mov_b32 v10, v8
	v_mov_b32_e32 v11, v8
	scratch_store_b128 off, v[8:11], off offset:16
	s_wait_loadcnt 0x0
	ds_store_b128 v6, v[2:5]
.LBB84_137:
	s_wait_xcnt 0x0
	s_or_b32 exec_lo, exec_lo, s2
	s_wait_storecnt_dscnt 0x0
	s_barrier_signal -1
	s_barrier_wait -1
	s_clause 0x9
	scratch_load_b128 v[8:11], off, off offset:32
	scratch_load_b128 v[56:59], off, off offset:48
	;; [unrolled: 1-line block ×10, first 2 shown]
	v_mov_b32_e32 v2, 0
	s_clause 0x2
	scratch_load_b128 v[96:99], off, off offset:192
	scratch_load_b128 v[100:103], off, off offset:208
	;; [unrolled: 1-line block ×3, first 2 shown]
	s_mov_b32 s2, exec_lo
	ds_load_b128 v[92:95], v2 offset:368
	s_wait_loadcnt_dscnt 0xc00
	v_mul_f64_e32 v[4:5], v[94:95], v[10:11]
	v_mul_f64_e32 v[108:109], v[92:93], v[10:11]
	ds_load_b128 v[10:13], v2 offset:384
	v_fma_f64 v[4:5], v[92:93], v[8:9], -v[4:5]
	v_fmac_f64_e32 v[108:109], v[94:95], v[8:9]
	ds_load_b128 v[92:95], v2 offset:400
	s_wait_loadcnt_dscnt 0xb01
	v_mul_f64_e32 v[110:111], v[10:11], v[58:59]
	v_mul_f64_e32 v[58:59], v[12:13], v[58:59]
	s_wait_loadcnt_dscnt 0xa00
	v_mul_f64_e32 v[112:113], v[92:93], v[62:63]
	v_mul_f64_e32 v[62:63], v[94:95], v[62:63]
	v_add_f64_e32 v[4:5], 0, v[4:5]
	v_add_f64_e32 v[108:109], 0, v[108:109]
	v_fmac_f64_e32 v[110:111], v[12:13], v[56:57]
	v_fma_f64 v[12:13], v[10:11], v[56:57], -v[58:59]
	ds_load_b128 v[8:11], v2 offset:416
	scratch_load_b128 v[56:59], off, off offset:240
	v_fmac_f64_e32 v[112:113], v[94:95], v[60:61]
	v_fma_f64 v[116:117], v[92:93], v[60:61], -v[62:63]
	ds_load_b128 v[60:63], v2 offset:432
	s_wait_loadcnt_dscnt 0xa01
	v_mul_f64_e32 v[114:115], v[8:9], v[66:67]
	v_mul_f64_e32 v[66:67], v[10:11], v[66:67]
	scratch_load_b128 v[92:95], off, off offset:256
	v_add_f64_e32 v[4:5], v[4:5], v[12:13]
	v_add_f64_e32 v[12:13], v[108:109], v[110:111]
	s_wait_loadcnt_dscnt 0xa00
	v_mul_f64_e32 v[108:109], v[60:61], v[70:71]
	v_mul_f64_e32 v[70:71], v[62:63], v[70:71]
	v_fmac_f64_e32 v[114:115], v[10:11], v[64:65]
	v_fma_f64 v[110:111], v[8:9], v[64:65], -v[66:67]
	ds_load_b128 v[8:11], v2 offset:448
	scratch_load_b128 v[64:67], off, off offset:272
	v_add_f64_e32 v[4:5], v[4:5], v[116:117]
	v_add_f64_e32 v[12:13], v[12:13], v[112:113]
	v_fmac_f64_e32 v[108:109], v[62:63], v[68:69]
	v_fma_f64 v[116:117], v[60:61], v[68:69], -v[70:71]
	ds_load_b128 v[60:63], v2 offset:464
	s_wait_loadcnt_dscnt 0xa01
	v_mul_f64_e32 v[112:113], v[8:9], v[74:75]
	v_mul_f64_e32 v[74:75], v[10:11], v[74:75]
	scratch_load_b128 v[68:71], off, off offset:288
	v_add_f64_e32 v[4:5], v[4:5], v[110:111]
	v_add_f64_e32 v[12:13], v[12:13], v[114:115]
	s_wait_loadcnt_dscnt 0xa00
	v_mul_f64_e32 v[110:111], v[60:61], v[78:79]
	v_mul_f64_e32 v[78:79], v[62:63], v[78:79]
	v_fmac_f64_e32 v[112:113], v[10:11], v[72:73]
	v_fma_f64 v[114:115], v[8:9], v[72:73], -v[74:75]
	ds_load_b128 v[8:11], v2 offset:480
	scratch_load_b128 v[72:75], off, off offset:304
	v_add_f64_e32 v[4:5], v[4:5], v[116:117]
	v_add_f64_e32 v[12:13], v[12:13], v[108:109]
	v_fmac_f64_e32 v[110:111], v[62:63], v[76:77]
	v_fma_f64 v[116:117], v[60:61], v[76:77], -v[78:79]
	ds_load_b128 v[60:63], v2 offset:496
	s_wait_loadcnt_dscnt 0xa01
	v_mul_f64_e32 v[108:109], v[8:9], v[82:83]
	v_mul_f64_e32 v[82:83], v[10:11], v[82:83]
	scratch_load_b128 v[76:79], off, off offset:320
	v_add_f64_e32 v[4:5], v[4:5], v[114:115]
	v_add_f64_e32 v[12:13], v[12:13], v[112:113]
	s_wait_loadcnt_dscnt 0xa00
	v_mul_f64_e32 v[112:113], v[60:61], v[86:87]
	v_mul_f64_e32 v[86:87], v[62:63], v[86:87]
	v_fmac_f64_e32 v[108:109], v[10:11], v[80:81]
	v_fma_f64 v[80:81], v[8:9], v[80:81], -v[82:83]
	ds_load_b128 v[8:11], v2 offset:512
	v_add_f64_e32 v[4:5], v[4:5], v[116:117]
	v_add_f64_e32 v[12:13], v[12:13], v[110:111]
	v_fmac_f64_e32 v[112:113], v[62:63], v[84:85]
	v_fma_f64 v[84:85], v[60:61], v[84:85], -v[86:87]
	ds_load_b128 v[60:63], v2 offset:528
	s_wait_loadcnt_dscnt 0x901
	v_mul_f64_e32 v[110:111], v[8:9], v[90:91]
	v_mul_f64_e32 v[82:83], v[10:11], v[90:91]
	v_add_f64_e32 v[4:5], v[4:5], v[80:81]
	v_add_f64_e32 v[12:13], v[12:13], v[108:109]
	s_delay_alu instid0(VALU_DEP_4) | instskip(NEXT) | instid1(VALU_DEP_4)
	v_fmac_f64_e32 v[110:111], v[10:11], v[88:89]
	v_fma_f64 v[88:89], v[8:9], v[88:89], -v[82:83]
	scratch_load_b128 v[80:83], off, off offset:16
	s_wait_loadcnt_dscnt 0x900
	v_mul_f64_e32 v[86:87], v[60:61], v[98:99]
	v_mul_f64_e32 v[90:91], v[62:63], v[98:99]
	ds_load_b128 v[8:11], v2 offset:544
	v_add_f64_e32 v[4:5], v[4:5], v[84:85]
	v_add_f64_e32 v[12:13], v[12:13], v[112:113]
	v_fmac_f64_e32 v[86:87], v[62:63], v[96:97]
	v_fma_f64 v[90:91], v[60:61], v[96:97], -v[90:91]
	ds_load_b128 v[60:63], v2 offset:560
	s_wait_loadcnt_dscnt 0x801
	v_mul_f64_e32 v[84:85], v[8:9], v[102:103]
	v_mul_f64_e32 v[98:99], v[10:11], v[102:103]
	s_wait_loadcnt_dscnt 0x700
	v_mul_f64_e32 v[96:97], v[62:63], v[106:107]
	v_add_f64_e32 v[4:5], v[4:5], v[88:89]
	v_add_f64_e32 v[12:13], v[12:13], v[110:111]
	v_mul_f64_e32 v[88:89], v[60:61], v[106:107]
	v_fmac_f64_e32 v[84:85], v[10:11], v[100:101]
	v_fma_f64 v[98:99], v[8:9], v[100:101], -v[98:99]
	ds_load_b128 v[8:11], v2 offset:576
	v_add_f64_e32 v[4:5], v[4:5], v[90:91]
	v_add_f64_e32 v[12:13], v[12:13], v[86:87]
	s_wait_loadcnt_dscnt 0x600
	v_mul_f64_e32 v[86:87], v[8:9], v[58:59]
	v_mul_f64_e32 v[90:91], v[10:11], v[58:59]
	v_fmac_f64_e32 v[88:89], v[62:63], v[104:105]
	v_fma_f64 v[62:63], v[60:61], v[104:105], -v[96:97]
	ds_load_b128 v[58:61], v2 offset:592
	v_add_f64_e32 v[4:5], v[4:5], v[98:99]
	v_add_f64_e32 v[12:13], v[12:13], v[84:85]
	v_fmac_f64_e32 v[86:87], v[10:11], v[56:57]
	v_fma_f64 v[56:57], v[8:9], v[56:57], -v[90:91]
	ds_load_b128 v[8:11], v2 offset:608
	s_wait_loadcnt_dscnt 0x501
	v_mul_f64_e32 v[84:85], v[58:59], v[94:95]
	v_mul_f64_e32 v[94:95], v[60:61], v[94:95]
	v_add_f64_e32 v[4:5], v[4:5], v[62:63]
	v_add_f64_e32 v[12:13], v[12:13], v[88:89]
	s_wait_loadcnt_dscnt 0x400
	v_mul_f64_e32 v[62:63], v[8:9], v[66:67]
	v_mul_f64_e32 v[66:67], v[10:11], v[66:67]
	v_fmac_f64_e32 v[84:85], v[60:61], v[92:93]
	v_fma_f64 v[60:61], v[58:59], v[92:93], -v[94:95]
	v_add_f64_e32 v[4:5], v[4:5], v[56:57]
	v_add_f64_e32 v[12:13], v[12:13], v[86:87]
	ds_load_b128 v[56:59], v2 offset:624
	v_fmac_f64_e32 v[62:63], v[10:11], v[64:65]
	v_fma_f64 v[64:65], v[8:9], v[64:65], -v[66:67]
	ds_load_b128 v[8:11], v2 offset:640
	s_wait_loadcnt_dscnt 0x301
	v_mul_f64_e32 v[86:87], v[56:57], v[70:71]
	v_mul_f64_e32 v[70:71], v[58:59], v[70:71]
	s_wait_loadcnt_dscnt 0x200
	v_mul_f64_e32 v[66:67], v[10:11], v[74:75]
	v_add_f64_e32 v[4:5], v[4:5], v[60:61]
	v_add_f64_e32 v[12:13], v[12:13], v[84:85]
	v_mul_f64_e32 v[60:61], v[8:9], v[74:75]
	v_fmac_f64_e32 v[86:87], v[58:59], v[68:69]
	v_fma_f64 v[68:69], v[56:57], v[68:69], -v[70:71]
	ds_load_b128 v[56:59], v2 offset:656
	v_fma_f64 v[8:9], v[8:9], v[72:73], -v[66:67]
	v_add_f64_e32 v[4:5], v[4:5], v[64:65]
	v_add_f64_e32 v[12:13], v[12:13], v[62:63]
	v_fmac_f64_e32 v[60:61], v[10:11], v[72:73]
	s_wait_loadcnt_dscnt 0x100
	v_mul_f64_e32 v[62:63], v[56:57], v[78:79]
	v_mul_f64_e32 v[64:65], v[58:59], v[78:79]
	v_add_f64_e32 v[4:5], v[4:5], v[68:69]
	v_add_f64_e32 v[10:11], v[12:13], v[86:87]
	s_delay_alu instid0(VALU_DEP_4) | instskip(NEXT) | instid1(VALU_DEP_4)
	v_fmac_f64_e32 v[62:63], v[58:59], v[76:77]
	v_fma_f64 v[12:13], v[56:57], v[76:77], -v[64:65]
	s_delay_alu instid0(VALU_DEP_4) | instskip(NEXT) | instid1(VALU_DEP_4)
	v_add_f64_e32 v[4:5], v[4:5], v[8:9]
	v_add_f64_e32 v[8:9], v[10:11], v[60:61]
	s_delay_alu instid0(VALU_DEP_2) | instskip(NEXT) | instid1(VALU_DEP_2)
	v_add_f64_e32 v[4:5], v[4:5], v[12:13]
	v_add_f64_e32 v[10:11], v[8:9], v[62:63]
	s_wait_loadcnt 0x0
	s_delay_alu instid0(VALU_DEP_2) | instskip(NEXT) | instid1(VALU_DEP_2)
	v_add_f64_e64 v[8:9], v[80:81], -v[4:5]
	v_add_f64_e64 v[10:11], v[82:83], -v[10:11]
	scratch_store_b128 off, v[8:11], off offset:16
	s_wait_xcnt 0x0
	v_cmpx_ne_u32_e32 0, v1
	s_cbranch_execz .LBB84_139
; %bb.138:
	scratch_load_b128 v[8:11], off, off
	v_dual_mov_b32 v3, v2 :: v_dual_mov_b32 v4, v2
	v_mov_b32_e32 v5, v2
	scratch_store_b128 off, v[2:5], off
	s_wait_loadcnt 0x0
	ds_store_b128 v6, v[8:11]
.LBB84_139:
	s_wait_xcnt 0x0
	s_or_b32 exec_lo, exec_lo, s2
	s_wait_storecnt_dscnt 0x0
	s_barrier_signal -1
	s_barrier_wait -1
	s_clause 0x9
	scratch_load_b128 v[4:7], off, off offset:16
	scratch_load_b128 v[8:11], off, off offset:32
	;; [unrolled: 1-line block ×10, first 2 shown]
	ds_load_b128 v[88:91], v2 offset:352
	ds_load_b128 v[96:99], v2 offset:368
	s_clause 0x2
	scratch_load_b128 v[92:95], off, off offset:176
	scratch_load_b128 v[100:103], off, off
	scratch_load_b128 v[104:107], off, off offset:192
	v_lshl_add_u64 v[30:31], v[30:31], 4, s[4:5]
	s_and_b32 vcc_lo, exec_lo, s33
	s_wait_loadcnt_dscnt 0xc01
	v_mul_f64_e32 v[12:13], v[90:91], v[6:7]
	v_mul_f64_e32 v[108:109], v[88:89], v[6:7]
	s_wait_loadcnt_dscnt 0xb00
	v_mul_f64_e32 v[110:111], v[96:97], v[10:11]
	v_mul_f64_e32 v[112:113], v[98:99], v[10:11]
	s_delay_alu instid0(VALU_DEP_4) | instskip(NEXT) | instid1(VALU_DEP_4)
	v_fma_f64 v[114:115], v[88:89], v[4:5], -v[12:13]
	v_fmac_f64_e32 v[108:109], v[90:91], v[4:5]
	ds_load_b128 v[4:7], v2 offset:384
	ds_load_b128 v[10:13], v2 offset:400
	scratch_load_b128 v[88:91], off, off offset:208
	v_fmac_f64_e32 v[110:111], v[98:99], v[8:9]
	v_fma_f64 v[8:9], v[96:97], v[8:9], -v[112:113]
	scratch_load_b128 v[96:99], off, off offset:224
	s_wait_loadcnt_dscnt 0xc01
	v_mul_f64_e32 v[116:117], v[4:5], v[58:59]
	v_mul_f64_e32 v[58:59], v[6:7], v[58:59]
	v_add_f64_e32 v[112:113], 0, v[114:115]
	v_add_f64_e32 v[108:109], 0, v[108:109]
	s_wait_loadcnt_dscnt 0xb00
	v_mul_f64_e32 v[114:115], v[10:11], v[62:63]
	v_mul_f64_e32 v[62:63], v[12:13], v[62:63]
	v_fmac_f64_e32 v[116:117], v[6:7], v[56:57]
	v_fma_f64 v[118:119], v[4:5], v[56:57], -v[58:59]
	ds_load_b128 v[4:7], v2 offset:416
	ds_load_b128 v[56:59], v2 offset:432
	v_add_f64_e32 v[8:9], v[112:113], v[8:9]
	v_add_f64_e32 v[112:113], v[108:109], v[110:111]
	scratch_load_b128 v[108:111], off, off offset:240
	v_fmac_f64_e32 v[114:115], v[12:13], v[60:61]
	v_fma_f64 v[12:13], v[10:11], v[60:61], -v[62:63]
	s_wait_loadcnt_dscnt 0xb01
	v_mul_f64_e32 v[120:121], v[4:5], v[66:67]
	v_mul_f64_e32 v[66:67], v[6:7], v[66:67]
	v_add_f64_e32 v[60:61], v[8:9], v[118:119]
	v_add_f64_e32 v[62:63], v[112:113], v[116:117]
	scratch_load_b128 v[8:11], off, off offset:256
	s_wait_loadcnt_dscnt 0xb00
	v_mul_f64_e32 v[112:113], v[56:57], v[70:71]
	v_mul_f64_e32 v[70:71], v[58:59], v[70:71]
	v_fmac_f64_e32 v[120:121], v[6:7], v[64:65]
	v_fma_f64 v[116:117], v[4:5], v[64:65], -v[66:67]
	v_add_f64_e32 v[12:13], v[60:61], v[12:13]
	v_add_f64_e32 v[114:115], v[62:63], v[114:115]
	ds_load_b128 v[4:7], v2 offset:448
	ds_load_b128 v[60:63], v2 offset:464
	scratch_load_b128 v[64:67], off, off offset:272
	v_fmac_f64_e32 v[112:113], v[58:59], v[68:69]
	v_fma_f64 v[68:69], v[56:57], v[68:69], -v[70:71]
	scratch_load_b128 v[56:59], off, off offset:288
	s_wait_loadcnt_dscnt 0xc01
	v_mul_f64_e32 v[118:119], v[4:5], v[74:75]
	v_mul_f64_e32 v[74:75], v[6:7], v[74:75]
	v_add_f64_e32 v[12:13], v[12:13], v[116:117]
	v_add_f64_e32 v[70:71], v[114:115], v[120:121]
	s_wait_loadcnt_dscnt 0xb00
	v_mul_f64_e32 v[114:115], v[60:61], v[78:79]
	v_mul_f64_e32 v[78:79], v[62:63], v[78:79]
	v_fmac_f64_e32 v[118:119], v[6:7], v[72:73]
	v_fma_f64 v[116:117], v[4:5], v[72:73], -v[74:75]
	v_add_f64_e32 v[12:13], v[12:13], v[68:69]
	v_add_f64_e32 v[112:113], v[70:71], v[112:113]
	ds_load_b128 v[4:7], v2 offset:480
	ds_load_b128 v[68:71], v2 offset:496
	scratch_load_b128 v[72:75], off, off offset:304
	v_fmac_f64_e32 v[114:115], v[62:63], v[76:77]
	v_fma_f64 v[76:77], v[60:61], v[76:77], -v[78:79]
	scratch_load_b128 v[60:63], off, off offset:320
	s_wait_loadcnt_dscnt 0xc01
	v_mul_f64_e32 v[120:121], v[4:5], v[82:83]
	v_mul_f64_e32 v[82:83], v[6:7], v[82:83]
	v_add_f64_e32 v[12:13], v[12:13], v[116:117]
	v_add_f64_e32 v[78:79], v[112:113], v[118:119]
	s_wait_loadcnt_dscnt 0xb00
	v_mul_f64_e32 v[112:113], v[68:69], v[86:87]
	v_mul_f64_e32 v[86:87], v[70:71], v[86:87]
	v_fmac_f64_e32 v[120:121], v[6:7], v[80:81]
	v_fma_f64 v[80:81], v[4:5], v[80:81], -v[82:83]
	v_add_f64_e32 v[12:13], v[12:13], v[76:77]
	v_add_f64_e32 v[82:83], v[78:79], v[114:115]
	ds_load_b128 v[4:7], v2 offset:512
	ds_load_b128 v[76:79], v2 offset:528
	v_fmac_f64_e32 v[112:113], v[70:71], v[84:85]
	v_fma_f64 v[68:69], v[68:69], v[84:85], -v[86:87]
	s_wait_loadcnt_dscnt 0xa01
	v_mul_f64_e32 v[114:115], v[4:5], v[94:95]
	v_mul_f64_e32 v[94:95], v[6:7], v[94:95]
	v_add_f64_e32 v[12:13], v[12:13], v[80:81]
	v_add_f64_e32 v[70:71], v[82:83], v[120:121]
	s_wait_loadcnt_dscnt 0x800
	v_mul_f64_e32 v[80:81], v[76:77], v[106:107]
	v_mul_f64_e32 v[82:83], v[78:79], v[106:107]
	v_fmac_f64_e32 v[114:115], v[6:7], v[92:93]
	v_fma_f64 v[84:85], v[4:5], v[92:93], -v[94:95]
	v_add_f64_e32 v[12:13], v[12:13], v[68:69]
	v_add_f64_e32 v[86:87], v[70:71], v[112:113]
	ds_load_b128 v[4:7], v2 offset:544
	ds_load_b128 v[68:71], v2 offset:560
	v_fmac_f64_e32 v[80:81], v[78:79], v[104:105]
	v_fma_f64 v[76:77], v[76:77], v[104:105], -v[82:83]
	s_wait_loadcnt_dscnt 0x701
	v_mul_f64_e32 v[92:93], v[4:5], v[90:91]
	v_mul_f64_e32 v[90:91], v[6:7], v[90:91]
	s_wait_loadcnt_dscnt 0x600
	v_mul_f64_e32 v[82:83], v[68:69], v[98:99]
	v_add_f64_e32 v[12:13], v[12:13], v[84:85]
	v_add_f64_e32 v[78:79], v[86:87], v[114:115]
	v_mul_f64_e32 v[84:85], v[70:71], v[98:99]
	v_fmac_f64_e32 v[92:93], v[6:7], v[88:89]
	v_fma_f64 v[86:87], v[4:5], v[88:89], -v[90:91]
	v_fmac_f64_e32 v[82:83], v[70:71], v[96:97]
	v_add_f64_e32 v[12:13], v[12:13], v[76:77]
	v_add_f64_e32 v[80:81], v[78:79], v[80:81]
	ds_load_b128 v[4:7], v2 offset:576
	ds_load_b128 v[76:79], v2 offset:592
	v_fma_f64 v[68:69], v[68:69], v[96:97], -v[84:85]
	s_wait_loadcnt_dscnt 0x501
	v_mul_f64_e32 v[88:89], v[4:5], v[110:111]
	v_mul_f64_e32 v[90:91], v[6:7], v[110:111]
	v_add_f64_e32 v[12:13], v[12:13], v[86:87]
	v_add_f64_e32 v[70:71], v[80:81], v[92:93]
	s_wait_loadcnt_dscnt 0x400
	v_mul_f64_e32 v[80:81], v[76:77], v[10:11]
	v_mul_f64_e32 v[84:85], v[78:79], v[10:11]
	v_fmac_f64_e32 v[88:89], v[6:7], v[108:109]
	v_fma_f64 v[86:87], v[4:5], v[108:109], -v[90:91]
	v_add_f64_e32 v[68:69], v[12:13], v[68:69]
	v_add_f64_e32 v[70:71], v[70:71], v[82:83]
	ds_load_b128 v[4:7], v2 offset:608
	ds_load_b128 v[10:13], v2 offset:624
	v_fmac_f64_e32 v[80:81], v[78:79], v[8:9]
	v_fma_f64 v[8:9], v[76:77], v[8:9], -v[84:85]
	s_wait_loadcnt_dscnt 0x301
	v_mul_f64_e32 v[82:83], v[4:5], v[66:67]
	v_mul_f64_e32 v[66:67], v[6:7], v[66:67]
	s_wait_loadcnt_dscnt 0x200
	v_mul_f64_e32 v[76:77], v[10:11], v[58:59]
	v_mul_f64_e32 v[58:59], v[12:13], v[58:59]
	v_add_f64_e32 v[68:69], v[68:69], v[86:87]
	v_add_f64_e32 v[70:71], v[70:71], v[88:89]
	v_fmac_f64_e32 v[82:83], v[6:7], v[64:65]
	v_fma_f64 v[78:79], v[4:5], v[64:65], -v[66:67]
	ds_load_b128 v[4:7], v2 offset:640
	ds_load_b128 v[64:67], v2 offset:656
	v_fmac_f64_e32 v[76:77], v[12:13], v[56:57]
	v_fma_f64 v[10:11], v[10:11], v[56:57], -v[58:59]
	v_add_f64_e32 v[8:9], v[68:69], v[8:9]
	v_add_f64_e32 v[68:69], v[70:71], v[80:81]
	s_wait_loadcnt_dscnt 0x101
	v_mul_f64_e32 v[2:3], v[4:5], v[74:75]
	v_mul_f64_e32 v[70:71], v[6:7], v[74:75]
	s_wait_loadcnt_dscnt 0x0
	v_mul_f64_e32 v[56:57], v[64:65], v[62:63]
	v_mul_f64_e32 v[58:59], v[66:67], v[62:63]
	v_lshl_add_u64 v[62:63], v[22:23], 4, s[4:5]
	v_lshl_add_u64 v[22:23], v[38:39], 4, s[4:5]
	v_add_f64_e32 v[8:9], v[8:9], v[78:79]
	v_add_f64_e32 v[12:13], v[68:69], v[82:83]
	v_fmac_f64_e32 v[2:3], v[6:7], v[72:73]
	v_fma_f64 v[4:5], v[4:5], v[72:73], -v[70:71]
	v_fmac_f64_e32 v[56:57], v[66:67], v[60:61]
	v_lshl_add_u64 v[66:67], v[18:19], 4, s[4:5]
	v_lshl_add_u64 v[18:19], v[42:43], 4, s[4:5]
	v_add_f64_e32 v[6:7], v[8:9], v[10:11]
	v_add_f64_e32 v[8:9], v[12:13], v[76:77]
	v_fma_f64 v[10:11], v[64:65], v[60:61], -v[58:59]
	v_lshl_add_u64 v[64:65], v[20:21], 4, s[4:5]
	v_lshl_add_u64 v[60:61], v[24:25], 4, s[4:5]
	;; [unrolled: 1-line block ×7, first 2 shown]
	v_add_f64_e32 v[4:5], v[6:7], v[4:5]
	v_add_f64_e32 v[2:3], v[8:9], v[2:3]
	v_lshl_add_u64 v[8:9], v[48:49], 4, s[4:5]
	v_lshl_add_u64 v[6:7], v[50:51], 4, s[4:5]
	s_delay_alu instid0(VALU_DEP_4) | instskip(NEXT) | instid1(VALU_DEP_4)
	v_add_f64_e32 v[4:5], v[4:5], v[10:11]
	v_add_f64_e32 v[2:3], v[2:3], v[56:57]
	v_lshl_add_u64 v[56:57], v[28:29], 4, s[4:5]
	v_lshl_add_u64 v[28:29], v[32:33], 4, s[4:5]
	;; [unrolled: 1-line block ×3, first 2 shown]
	v_add_f64_e64 v[68:69], v[100:101], -v[4:5]
	v_add_f64_e64 v[70:71], v[102:103], -v[2:3]
	v_lshl_add_u64 v[4:5], v[52:53], 4, s[4:5]
	v_lshl_add_u64 v[2:3], v[54:55], 4, s[4:5]
	scratch_store_b128 off, v[68:71], off
	s_cbranch_vccz .LBB84_180
; %bb.140:
	v_mov_b32_e32 v32, 0
	s_load_b64 s[2:3], s[0:1], 0x4
	v_bfe_u32 v34, v0, 10, 10
	v_bfe_u32 v0, v0, 20, 10
	global_load_b32 v33, v32, s[8:9] offset:76
	s_wait_kmcnt 0x0
	s_lshr_b32 s0, s2, 16
	v_mul_u32_u24_e32 v34, s3, v34
	s_mul_i32 s0, s0, s3
	s_delay_alu instid0(SALU_CYCLE_1) | instskip(NEXT) | instid1(VALU_DEP_1)
	v_mul_u32_u24_e32 v1, s0, v1
	v_add3_u32 v0, v1, v34, v0
	s_delay_alu instid0(VALU_DEP_1)
	v_lshl_add_u32 v0, v0, 4, 0x2a8
	s_wait_loadcnt 0x0
	v_cmp_ne_u32_e32 vcc_lo, 20, v33
	s_cbranch_vccz .LBB84_142
; %bb.141:
	v_lshlrev_b32_e32 v1, 4, v33
	s_clause 0x1
	scratch_load_b128 v[34:37], off, s29
	scratch_load_b128 v[38:41], v1, off offset:-16
	s_wait_loadcnt 0x1
	ds_store_2addr_b64 v0, v[34:35], v[36:37] offset1:1
	s_wait_loadcnt 0x0
	s_clause 0x1
	scratch_store_b128 off, v[38:41], s29
	scratch_store_b128 v1, v[34:37], off offset:-16
.LBB84_142:
	global_load_b32 v1, v32, s[8:9] offset:72
	s_wait_loadcnt 0x0
	v_cmp_eq_u32_e32 vcc_lo, 19, v1
	s_cbranch_vccnz .LBB84_144
; %bb.143:
	v_lshlrev_b32_e32 v1, 4, v1
	s_clause 0x1
	scratch_load_b128 v[32:35], off, s19
	scratch_load_b128 v[36:39], v1, off offset:-16
	s_wait_loadcnt 0x1
	ds_store_2addr_b64 v0, v[32:33], v[34:35] offset1:1
	s_wait_loadcnt 0x0
	s_clause 0x1
	scratch_store_b128 off, v[36:39], s19
	scratch_store_b128 v1, v[32:35], off offset:-16
.LBB84_144:
	s_wait_xcnt 0x0
	v_mov_b32_e32 v1, 0
	global_load_b32 v32, v1, s[8:9] offset:68
	s_wait_loadcnt 0x0
	v_cmp_eq_u32_e32 vcc_lo, 18, v32
	s_cbranch_vccnz .LBB84_146
; %bb.145:
	v_lshlrev_b32_e32 v32, 4, v32
	s_delay_alu instid0(VALU_DEP_1)
	v_mov_b32_e32 v40, v32
	s_clause 0x1
	scratch_load_b128 v[32:35], off, s28
	scratch_load_b128 v[36:39], v40, off offset:-16
	s_wait_loadcnt 0x1
	ds_store_2addr_b64 v0, v[32:33], v[34:35] offset1:1
	s_wait_loadcnt 0x0
	s_clause 0x1
	scratch_store_b128 off, v[36:39], s28
	scratch_store_b128 v40, v[32:35], off offset:-16
.LBB84_146:
	global_load_b32 v1, v1, s[8:9] offset:64
	s_wait_loadcnt 0x0
	v_cmp_eq_u32_e32 vcc_lo, 17, v1
	s_cbranch_vccnz .LBB84_148
; %bb.147:
	s_wait_xcnt 0x0
	v_lshlrev_b32_e32 v1, 4, v1
	s_clause 0x1
	scratch_load_b128 v[32:35], off, s18
	scratch_load_b128 v[36:39], v1, off offset:-16
	s_wait_loadcnt 0x1
	ds_store_2addr_b64 v0, v[32:33], v[34:35] offset1:1
	s_wait_loadcnt 0x0
	s_clause 0x1
	scratch_store_b128 off, v[36:39], s18
	scratch_store_b128 v1, v[32:35], off offset:-16
.LBB84_148:
	s_wait_xcnt 0x0
	v_mov_b32_e32 v1, 0
	global_load_b32 v32, v1, s[8:9] offset:60
	s_wait_loadcnt 0x0
	v_cmp_eq_u32_e32 vcc_lo, 16, v32
	s_cbranch_vccnz .LBB84_150
; %bb.149:
	v_lshlrev_b32_e32 v32, 4, v32
	s_delay_alu instid0(VALU_DEP_1)
	v_mov_b32_e32 v40, v32
	s_clause 0x1
	scratch_load_b128 v[32:35], off, s27
	scratch_load_b128 v[36:39], v40, off offset:-16
	s_wait_loadcnt 0x1
	ds_store_2addr_b64 v0, v[32:33], v[34:35] offset1:1
	s_wait_loadcnt 0x0
	s_clause 0x1
	scratch_store_b128 off, v[36:39], s27
	scratch_store_b128 v40, v[32:35], off offset:-16
.LBB84_150:
	global_load_b32 v1, v1, s[8:9] offset:56
	s_wait_loadcnt 0x0
	v_cmp_eq_u32_e32 vcc_lo, 15, v1
	s_cbranch_vccnz .LBB84_152
; %bb.151:
	s_wait_xcnt 0x0
	v_lshlrev_b32_e32 v1, 4, v1
	s_clause 0x1
	scratch_load_b128 v[32:35], off, s17
	scratch_load_b128 v[36:39], v1, off offset:-16
	s_wait_loadcnt 0x1
	ds_store_2addr_b64 v0, v[32:33], v[34:35] offset1:1
	s_wait_loadcnt 0x0
	s_clause 0x1
	scratch_store_b128 off, v[36:39], s17
	scratch_store_b128 v1, v[32:35], off offset:-16
.LBB84_152:
	;; [unrolled: 37-line block ×8, first 2 shown]
	s_wait_xcnt 0x0
	v_mov_b32_e32 v1, 0
	global_load_b32 v32, v1, s[8:9] offset:4
	s_wait_loadcnt 0x0
	v_cmp_eq_u32_e32 vcc_lo, 2, v32
	s_cbranch_vccnz .LBB84_178
; %bb.177:
	v_lshlrev_b32_e32 v32, 4, v32
	s_delay_alu instid0(VALU_DEP_1)
	v_mov_b32_e32 v40, v32
	s_clause 0x1
	scratch_load_b128 v[32:35], off, s31
	scratch_load_b128 v[36:39], v40, off offset:-16
	s_wait_loadcnt 0x1
	ds_store_2addr_b64 v0, v[32:33], v[34:35] offset1:1
	s_wait_loadcnt 0x0
	s_clause 0x1
	scratch_store_b128 off, v[36:39], s31
	scratch_store_b128 v40, v[32:35], off offset:-16
.LBB84_178:
	global_load_b32 v1, v1, s[8:9]
	s_wait_loadcnt 0x0
	v_cmp_eq_u32_e32 vcc_lo, 1, v1
	s_cbranch_vccnz .LBB84_180
; %bb.179:
	s_wait_xcnt 0x0
	v_lshlrev_b32_e32 v1, 4, v1
	scratch_load_b128 v[32:35], off, off
	scratch_load_b128 v[36:39], v1, off offset:-16
	s_wait_loadcnt 0x1
	ds_store_2addr_b64 v0, v[32:33], v[34:35] offset1:1
	s_wait_loadcnt 0x0
	scratch_store_b128 off, v[36:39], off
	scratch_store_b128 v1, v[32:35], off offset:-16
.LBB84_180:
	scratch_load_b128 v[32:35], off, off
	s_wait_loadcnt 0x0
	flat_store_b128 v[14:15], v[32:35]
	scratch_load_b128 v[32:35], off, s31
	s_wait_loadcnt 0x0
	flat_store_b128 v[16:17], v[32:35]
	scratch_load_b128 v[14:17], off, s30
	s_wait_loadcnt 0x0
	flat_store_b128 v[66:67], v[14:17]
	scratch_load_b128 v[14:17], off, s21
	s_wait_loadcnt 0x0
	flat_store_b128 v[64:65], v[14:17]
	scratch_load_b128 v[14:17], off, s12
	s_wait_loadcnt 0x0
	flat_store_b128 v[62:63], v[14:17]
	scratch_load_b128 v[14:17], off, s22
	s_wait_loadcnt 0x0
	flat_store_b128 v[60:61], v[14:17]
	scratch_load_b128 v[14:17], off, s13
	s_wait_loadcnt 0x0
	flat_store_b128 v[58:59], v[14:17]
	scratch_load_b128 v[14:17], off, s23
	s_wait_loadcnt 0x0
	flat_store_b128 v[56:57], v[14:17]
	scratch_load_b128 v[14:17], off, s14
	s_wait_loadcnt 0x0
	flat_store_b128 v[30:31], v[14:17]
	scratch_load_b128 v[14:17], off, s24
	s_wait_loadcnt 0x0
	flat_store_b128 v[28:29], v[14:17]
	scratch_load_b128 v[14:17], off, s15
	s_wait_loadcnt 0x0
	flat_store_b128 v[26:27], v[14:17]
	scratch_load_b128 v[14:17], off, s25
	s_wait_loadcnt 0x0
	flat_store_b128 v[24:25], v[14:17]
	scratch_load_b128 v[14:17], off, s16
	s_wait_loadcnt 0x0
	flat_store_b128 v[22:23], v[14:17]
	scratch_load_b128 v[14:17], off, s26
	s_wait_loadcnt 0x0
	flat_store_b128 v[20:21], v[14:17]
	scratch_load_b128 v[14:17], off, s17
	s_wait_loadcnt 0x0
	flat_store_b128 v[18:19], v[14:17]
	scratch_load_b128 v[14:17], off, s27
	s_wait_loadcnt 0x0
	flat_store_b128 v[12:13], v[14:17]
	scratch_load_b128 v[12:15], off, s18
	s_wait_loadcnt 0x0
	flat_store_b128 v[10:11], v[12:15]
	scratch_load_b128 v[10:13], off, s28
	s_wait_loadcnt 0x0
	flat_store_b128 v[8:9], v[10:13]
	scratch_load_b128 v[8:11], off, s19
	s_wait_loadcnt 0x0
	flat_store_b128 v[6:7], v[8:11]
	scratch_load_b128 v[6:9], off, s29
	s_wait_loadcnt 0x0
	flat_store_b128 v[4:5], v[6:9]
	scratch_load_b128 v[4:7], off, s20
	s_wait_loadcnt 0x0
	flat_store_b128 v[2:3], v[4:7]
	s_sendmsg sendmsg(MSG_DEALLOC_VGPRS)
	s_endpgm
	.section	.rodata,"a",@progbits
	.p2align	6, 0x0
	.amdhsa_kernel _ZN9rocsolver6v33100L18getri_kernel_smallILi21E19rocblas_complex_numIdEPKPS3_EEvT1_iilPiilS8_bb
		.amdhsa_group_segment_fixed_size 1704
		.amdhsa_private_segment_fixed_size 352
		.amdhsa_kernarg_size 60
		.amdhsa_user_sgpr_count 4
		.amdhsa_user_sgpr_dispatch_ptr 1
		.amdhsa_user_sgpr_queue_ptr 0
		.amdhsa_user_sgpr_kernarg_segment_ptr 1
		.amdhsa_user_sgpr_dispatch_id 0
		.amdhsa_user_sgpr_kernarg_preload_length 0
		.amdhsa_user_sgpr_kernarg_preload_offset 0
		.amdhsa_user_sgpr_private_segment_size 0
		.amdhsa_wavefront_size32 1
		.amdhsa_uses_dynamic_stack 0
		.amdhsa_enable_private_segment 1
		.amdhsa_system_sgpr_workgroup_id_x 1
		.amdhsa_system_sgpr_workgroup_id_y 0
		.amdhsa_system_sgpr_workgroup_id_z 0
		.amdhsa_system_sgpr_workgroup_info 0
		.amdhsa_system_vgpr_workitem_id 2
		.amdhsa_next_free_vgpr 124
		.amdhsa_next_free_sgpr 37
		.amdhsa_named_barrier_count 0
		.amdhsa_reserve_vcc 1
		.amdhsa_float_round_mode_32 0
		.amdhsa_float_round_mode_16_64 0
		.amdhsa_float_denorm_mode_32 3
		.amdhsa_float_denorm_mode_16_64 3
		.amdhsa_fp16_overflow 0
		.amdhsa_memory_ordered 1
		.amdhsa_forward_progress 1
		.amdhsa_inst_pref_size 190
		.amdhsa_round_robin_scheduling 0
		.amdhsa_exception_fp_ieee_invalid_op 0
		.amdhsa_exception_fp_denorm_src 0
		.amdhsa_exception_fp_ieee_div_zero 0
		.amdhsa_exception_fp_ieee_overflow 0
		.amdhsa_exception_fp_ieee_underflow 0
		.amdhsa_exception_fp_ieee_inexact 0
		.amdhsa_exception_int_div_zero 0
	.end_amdhsa_kernel
	.section	.text._ZN9rocsolver6v33100L18getri_kernel_smallILi21E19rocblas_complex_numIdEPKPS3_EEvT1_iilPiilS8_bb,"axG",@progbits,_ZN9rocsolver6v33100L18getri_kernel_smallILi21E19rocblas_complex_numIdEPKPS3_EEvT1_iilPiilS8_bb,comdat
.Lfunc_end84:
	.size	_ZN9rocsolver6v33100L18getri_kernel_smallILi21E19rocblas_complex_numIdEPKPS3_EEvT1_iilPiilS8_bb, .Lfunc_end84-_ZN9rocsolver6v33100L18getri_kernel_smallILi21E19rocblas_complex_numIdEPKPS3_EEvT1_iilPiilS8_bb
                                        ; -- End function
	.set _ZN9rocsolver6v33100L18getri_kernel_smallILi21E19rocblas_complex_numIdEPKPS3_EEvT1_iilPiilS8_bb.num_vgpr, 124
	.set _ZN9rocsolver6v33100L18getri_kernel_smallILi21E19rocblas_complex_numIdEPKPS3_EEvT1_iilPiilS8_bb.num_agpr, 0
	.set _ZN9rocsolver6v33100L18getri_kernel_smallILi21E19rocblas_complex_numIdEPKPS3_EEvT1_iilPiilS8_bb.numbered_sgpr, 37
	.set _ZN9rocsolver6v33100L18getri_kernel_smallILi21E19rocblas_complex_numIdEPKPS3_EEvT1_iilPiilS8_bb.num_named_barrier, 0
	.set _ZN9rocsolver6v33100L18getri_kernel_smallILi21E19rocblas_complex_numIdEPKPS3_EEvT1_iilPiilS8_bb.private_seg_size, 352
	.set _ZN9rocsolver6v33100L18getri_kernel_smallILi21E19rocblas_complex_numIdEPKPS3_EEvT1_iilPiilS8_bb.uses_vcc, 1
	.set _ZN9rocsolver6v33100L18getri_kernel_smallILi21E19rocblas_complex_numIdEPKPS3_EEvT1_iilPiilS8_bb.uses_flat_scratch, 1
	.set _ZN9rocsolver6v33100L18getri_kernel_smallILi21E19rocblas_complex_numIdEPKPS3_EEvT1_iilPiilS8_bb.has_dyn_sized_stack, 0
	.set _ZN9rocsolver6v33100L18getri_kernel_smallILi21E19rocblas_complex_numIdEPKPS3_EEvT1_iilPiilS8_bb.has_recursion, 0
	.set _ZN9rocsolver6v33100L18getri_kernel_smallILi21E19rocblas_complex_numIdEPKPS3_EEvT1_iilPiilS8_bb.has_indirect_call, 0
	.section	.AMDGPU.csdata,"",@progbits
; Kernel info:
; codeLenInByte = 24276
; TotalNumSgprs: 39
; NumVgprs: 124
; ScratchSize: 352
; MemoryBound: 0
; FloatMode: 240
; IeeeMode: 1
; LDSByteSize: 1704 bytes/workgroup (compile time only)
; SGPRBlocks: 0
; VGPRBlocks: 7
; NumSGPRsForWavesPerEU: 39
; NumVGPRsForWavesPerEU: 124
; NamedBarCnt: 0
; Occupancy: 8
; WaveLimiterHint : 1
; COMPUTE_PGM_RSRC2:SCRATCH_EN: 1
; COMPUTE_PGM_RSRC2:USER_SGPR: 4
; COMPUTE_PGM_RSRC2:TRAP_HANDLER: 0
; COMPUTE_PGM_RSRC2:TGID_X_EN: 1
; COMPUTE_PGM_RSRC2:TGID_Y_EN: 0
; COMPUTE_PGM_RSRC2:TGID_Z_EN: 0
; COMPUTE_PGM_RSRC2:TIDIG_COMP_CNT: 2
	.section	.text._ZN9rocsolver6v33100L18getri_kernel_smallILi22E19rocblas_complex_numIdEPKPS3_EEvT1_iilPiilS8_bb,"axG",@progbits,_ZN9rocsolver6v33100L18getri_kernel_smallILi22E19rocblas_complex_numIdEPKPS3_EEvT1_iilPiilS8_bb,comdat
	.globl	_ZN9rocsolver6v33100L18getri_kernel_smallILi22E19rocblas_complex_numIdEPKPS3_EEvT1_iilPiilS8_bb ; -- Begin function _ZN9rocsolver6v33100L18getri_kernel_smallILi22E19rocblas_complex_numIdEPKPS3_EEvT1_iilPiilS8_bb
	.p2align	8
	.type	_ZN9rocsolver6v33100L18getri_kernel_smallILi22E19rocblas_complex_numIdEPKPS3_EEvT1_iilPiilS8_bb,@function
_ZN9rocsolver6v33100L18getri_kernel_smallILi22E19rocblas_complex_numIdEPKPS3_EEvT1_iilPiilS8_bb: ; @_ZN9rocsolver6v33100L18getri_kernel_smallILi22E19rocblas_complex_numIdEPKPS3_EEvT1_iilPiilS8_bb
; %bb.0:
	v_and_b32_e32 v1, 0x3ff, v0
	s_mov_b32 s4, exec_lo
	s_delay_alu instid0(VALU_DEP_1)
	v_cmpx_gt_u32_e32 22, v1
	s_cbranch_execz .LBB85_102
; %bb.1:
	s_clause 0x1
	s_load_b32 s16, s[2:3], 0x38
	s_load_b64 s[8:9], s[2:3], 0x0
	s_getreg_b32 s6, hwreg(HW_REG_IB_STS2, 6, 4)
	s_wait_kmcnt 0x0
	s_bitcmp1_b32 s16, 8
	s_cselect_b32 s34, -1, 0
	s_bfe_u32 s4, ttmp6, 0x4000c
	s_and_b32 s5, ttmp6, 15
	s_add_co_i32 s4, s4, 1
	s_delay_alu instid0(SALU_CYCLE_1) | instskip(NEXT) | instid1(SALU_CYCLE_1)
	s_mul_i32 s4, ttmp9, s4
	s_add_co_i32 s5, s5, s4
	s_cmp_eq_u32 s6, 0
	s_cselect_b32 s10, ttmp9, s5
	s_load_b128 s[4:7], s[2:3], 0x28
	s_ashr_i32 s11, s10, 31
	s_delay_alu instid0(SALU_CYCLE_1) | instskip(NEXT) | instid1(SALU_CYCLE_1)
	s_lshl_b64 s[12:13], s[10:11], 3
	s_add_nc_u64 s[8:9], s[8:9], s[12:13]
	s_load_b64 s[14:15], s[8:9], 0x0
	s_wait_xcnt 0x0
	s_bfe_u32 s8, s16, 0x10008
	s_delay_alu instid0(SALU_CYCLE_1)
	s_cmp_eq_u32 s8, 0
                                        ; implicit-def: $sgpr8_sgpr9
	s_cbranch_scc1 .LBB85_3
; %bb.2:
	s_load_b96 s[16:18], s[2:3], 0x18
	s_wait_kmcnt 0x0
	s_mul_u64 s[4:5], s[4:5], s[10:11]
	s_delay_alu instid0(SALU_CYCLE_1) | instskip(SKIP_4) | instid1(SALU_CYCLE_1)
	s_lshl_b64 s[4:5], s[4:5], 2
	s_ashr_i32 s9, s18, 31
	s_mov_b32 s8, s18
	s_add_nc_u64 s[4:5], s[16:17], s[4:5]
	s_lshl_b64 s[8:9], s[8:9], 2
	s_add_nc_u64 s[8:9], s[4:5], s[8:9]
.LBB85_3:
	s_clause 0x1
	s_load_b64 s[12:13], s[2:3], 0x8
	s_load_b32 s35, s[2:3], 0x38
	v_dual_mov_b32 v59, 0 :: v_dual_lshlrev_b32 v58, 4, v1
	s_mov_b32 s33, 16
	s_mov_b32 s31, 32
	;; [unrolled: 1-line block ×4, first 2 shown]
	s_movk_i32 s23, 0x60
	s_movk_i32 s24, 0x80
	;; [unrolled: 1-line block ×12, first 2 shown]
	s_wait_kmcnt 0x0
	s_ashr_i32 s3, s12, 31
	s_mov_b32 s2, s12
	v_add3_u32 v18, s13, s13, v1
	s_lshl_b64 s[2:3], s[2:3], 4
	s_movk_i32 s12, 0x50
	s_add_nc_u64 s[4:5], s[14:15], s[2:3]
	s_ashr_i32 s3, s13, 31
	flat_load_b128 v[2:5], v1, s[4:5] scale_offset
	v_add_nc_u64_e32 v[14:15], s[4:5], v[58:59]
	s_mov_b32 s2, s13
	v_add_nc_u32_e32 v20, s13, v18
	s_movk_i32 s14, 0x90
	s_movk_i32 s15, 0xb0
	;; [unrolled: 1-line block ×3, first 2 shown]
	s_bitcmp0_b32 s35, 0
	v_lshl_add_u64 v[16:17], s[2:3], 4, v[14:15]
	v_add_nc_u32_e32 v22, s13, v20
	s_mov_b32 s3, -1
	s_delay_alu instid0(VALU_DEP_1) | instskip(NEXT) | instid1(VALU_DEP_1)
	v_add_nc_u32_e32 v24, s13, v22
	v_add_nc_u32_e32 v26, s13, v24
	s_delay_alu instid0(VALU_DEP_1) | instskip(NEXT) | instid1(VALU_DEP_1)
	v_add_nc_u32_e32 v28, s13, v26
	v_add_nc_u32_e32 v30, s13, v28
	;; [unrolled: 3-line block ×8, first 2 shown]
	s_delay_alu instid0(VALU_DEP_1)
	v_add_nc_u32_e32 v56, s13, v54
	s_movk_i32 s13, 0x70
	s_wait_loadcnt_dscnt 0x0
	scratch_store_b128 off, v[2:5], off
	flat_load_b128 v[2:5], v[16:17]
	s_wait_loadcnt_dscnt 0x0
	scratch_store_b128 off, v[2:5], off offset:16
	flat_load_b128 v[2:5], v18, s[4:5] scale_offset
	s_wait_loadcnt_dscnt 0x0
	scratch_store_b128 off, v[2:5], off offset:32
	flat_load_b128 v[2:5], v20, s[4:5] scale_offset
	;; [unrolled: 3-line block ×20, first 2 shown]
	s_wait_loadcnt_dscnt 0x0
	scratch_store_b128 off, v[2:5], off offset:336
	s_cbranch_scc1 .LBB85_100
; %bb.4:
	v_cmp_eq_u32_e64 s2, 0, v1
	s_wait_xcnt 0x0
	s_and_saveexec_b32 s3, s2
; %bb.5:
	v_mov_b32_e32 v2, 0
	ds_store_b32 v2, v2 offset:704
; %bb.6:
	s_or_b32 exec_lo, exec_lo, s3
	s_wait_storecnt_dscnt 0x0
	s_barrier_signal -1
	s_barrier_wait -1
	scratch_load_b128 v[2:5], v1, off scale_offset
	s_wait_loadcnt 0x0
	v_cmp_eq_f64_e32 vcc_lo, 0, v[2:3]
	v_cmp_eq_f64_e64 s3, 0, v[4:5]
	s_and_b32 s3, vcc_lo, s3
	s_delay_alu instid0(SALU_CYCLE_1)
	s_and_saveexec_b32 s35, s3
	s_cbranch_execz .LBB85_10
; %bb.7:
	v_mov_b32_e32 v2, 0
	s_mov_b32 s36, 0
	ds_load_b32 v3, v2 offset:704
	s_wait_dscnt 0x0
	v_readfirstlane_b32 s3, v3
	v_add_nc_u32_e32 v3, 1, v1
	s_cmp_eq_u32 s3, 0
	s_delay_alu instid0(VALU_DEP_1) | instskip(SKIP_1) | instid1(SALU_CYCLE_1)
	v_cmp_gt_i32_e32 vcc_lo, s3, v3
	s_cselect_b32 s37, -1, 0
	s_or_b32 s37, s37, vcc_lo
	s_delay_alu instid0(SALU_CYCLE_1)
	s_and_b32 exec_lo, exec_lo, s37
	s_cbranch_execz .LBB85_10
; %bb.8:
	v_mov_b32_e32 v4, s3
.LBB85_9:                               ; =>This Inner Loop Header: Depth=1
	ds_cmpstore_rtn_b32 v4, v2, v3, v4 offset:704
	s_wait_dscnt 0x0
	v_cmp_ne_u32_e32 vcc_lo, 0, v4
	v_cmp_le_i32_e64 s3, v4, v3
	s_and_b32 s3, vcc_lo, s3
	s_delay_alu instid0(SALU_CYCLE_1) | instskip(NEXT) | instid1(SALU_CYCLE_1)
	s_and_b32 s3, exec_lo, s3
	s_or_b32 s36, s3, s36
	s_delay_alu instid0(SALU_CYCLE_1)
	s_and_not1_b32 exec_lo, exec_lo, s36
	s_cbranch_execnz .LBB85_9
.LBB85_10:
	s_or_b32 exec_lo, exec_lo, s35
	v_mov_b32_e32 v2, 0
	s_barrier_signal -1
	s_barrier_wait -1
	ds_load_b32 v3, v2 offset:704
	s_and_saveexec_b32 s3, s2
	s_cbranch_execz .LBB85_12
; %bb.11:
	s_lshl_b64 s[36:37], s[10:11], 2
	s_delay_alu instid0(SALU_CYCLE_1)
	s_add_nc_u64 s[36:37], s[6:7], s[36:37]
	s_wait_dscnt 0x0
	global_store_b32 v2, v3, s[36:37]
.LBB85_12:
	s_wait_xcnt 0x0
	s_or_b32 exec_lo, exec_lo, s3
	s_wait_dscnt 0x0
	v_cmp_ne_u32_e32 vcc_lo, 0, v3
	s_mov_b32 s3, 0
	s_cbranch_vccnz .LBB85_100
; %bb.13:
	v_lshl_add_u32 v19, v1, 4, 0
                                        ; implicit-def: $vgpr6_vgpr7
                                        ; implicit-def: $vgpr10_vgpr11
	scratch_load_b128 v[2:5], v19, off
	s_wait_loadcnt 0x0
	v_cmp_ngt_f64_e64 s3, |v[2:3]|, |v[4:5]|
	s_wait_xcnt 0x0
	s_and_saveexec_b32 s35, s3
	s_delay_alu instid0(SALU_CYCLE_1)
	s_xor_b32 s3, exec_lo, s35
	s_cbranch_execz .LBB85_15
; %bb.14:
	v_div_scale_f64 v[6:7], null, v[4:5], v[4:5], v[2:3]
	v_div_scale_f64 v[12:13], vcc_lo, v[2:3], v[4:5], v[2:3]
	s_delay_alu instid0(VALU_DEP_2) | instskip(SKIP_1) | instid1(TRANS32_DEP_1)
	v_rcp_f64_e32 v[8:9], v[6:7]
	v_nop
	v_fma_f64 v[10:11], -v[6:7], v[8:9], 1.0
	s_delay_alu instid0(VALU_DEP_1) | instskip(NEXT) | instid1(VALU_DEP_1)
	v_fmac_f64_e32 v[8:9], v[8:9], v[10:11]
	v_fma_f64 v[10:11], -v[6:7], v[8:9], 1.0
	s_delay_alu instid0(VALU_DEP_1) | instskip(NEXT) | instid1(VALU_DEP_1)
	v_fmac_f64_e32 v[8:9], v[8:9], v[10:11]
	v_mul_f64_e32 v[10:11], v[12:13], v[8:9]
	s_delay_alu instid0(VALU_DEP_1) | instskip(NEXT) | instid1(VALU_DEP_1)
	v_fma_f64 v[6:7], -v[6:7], v[10:11], v[12:13]
	v_div_fmas_f64 v[6:7], v[6:7], v[8:9], v[10:11]
	s_delay_alu instid0(VALU_DEP_1) | instskip(NEXT) | instid1(VALU_DEP_1)
	v_div_fixup_f64 v[6:7], v[6:7], v[4:5], v[2:3]
	v_fmac_f64_e32 v[4:5], v[2:3], v[6:7]
	s_delay_alu instid0(VALU_DEP_1) | instskip(SKIP_1) | instid1(VALU_DEP_2)
	v_div_scale_f64 v[2:3], null, v[4:5], v[4:5], 1.0
	v_div_scale_f64 v[12:13], vcc_lo, 1.0, v[4:5], 1.0
	v_rcp_f64_e32 v[8:9], v[2:3]
	v_nop
	s_delay_alu instid0(TRANS32_DEP_1) | instskip(NEXT) | instid1(VALU_DEP_1)
	v_fma_f64 v[10:11], -v[2:3], v[8:9], 1.0
	v_fmac_f64_e32 v[8:9], v[8:9], v[10:11]
	s_delay_alu instid0(VALU_DEP_1) | instskip(NEXT) | instid1(VALU_DEP_1)
	v_fma_f64 v[10:11], -v[2:3], v[8:9], 1.0
	v_fmac_f64_e32 v[8:9], v[8:9], v[10:11]
	s_delay_alu instid0(VALU_DEP_1) | instskip(NEXT) | instid1(VALU_DEP_1)
	v_mul_f64_e32 v[10:11], v[12:13], v[8:9]
	v_fma_f64 v[2:3], -v[2:3], v[10:11], v[12:13]
	s_delay_alu instid0(VALU_DEP_1) | instskip(NEXT) | instid1(VALU_DEP_1)
	v_div_fmas_f64 v[2:3], v[2:3], v[8:9], v[10:11]
	v_div_fixup_f64 v[8:9], v[2:3], v[4:5], 1.0
                                        ; implicit-def: $vgpr2_vgpr3
	s_delay_alu instid0(VALU_DEP_1) | instskip(SKIP_1) | instid1(VALU_DEP_2)
	v_mul_f64_e32 v[6:7], v[6:7], v[8:9]
	v_xor_b32_e32 v9, 0x80000000, v9
	v_xor_b32_e32 v11, 0x80000000, v7
	s_delay_alu instid0(VALU_DEP_3)
	v_mov_b32_e32 v10, v6
.LBB85_15:
	s_and_not1_saveexec_b32 s3, s3
	s_cbranch_execz .LBB85_17
; %bb.16:
	v_div_scale_f64 v[6:7], null, v[2:3], v[2:3], v[4:5]
	v_div_scale_f64 v[12:13], vcc_lo, v[4:5], v[2:3], v[4:5]
	s_delay_alu instid0(VALU_DEP_2) | instskip(SKIP_1) | instid1(TRANS32_DEP_1)
	v_rcp_f64_e32 v[8:9], v[6:7]
	v_nop
	v_fma_f64 v[10:11], -v[6:7], v[8:9], 1.0
	s_delay_alu instid0(VALU_DEP_1) | instskip(NEXT) | instid1(VALU_DEP_1)
	v_fmac_f64_e32 v[8:9], v[8:9], v[10:11]
	v_fma_f64 v[10:11], -v[6:7], v[8:9], 1.0
	s_delay_alu instid0(VALU_DEP_1) | instskip(NEXT) | instid1(VALU_DEP_1)
	v_fmac_f64_e32 v[8:9], v[8:9], v[10:11]
	v_mul_f64_e32 v[10:11], v[12:13], v[8:9]
	s_delay_alu instid0(VALU_DEP_1) | instskip(NEXT) | instid1(VALU_DEP_1)
	v_fma_f64 v[6:7], -v[6:7], v[10:11], v[12:13]
	v_div_fmas_f64 v[6:7], v[6:7], v[8:9], v[10:11]
	s_delay_alu instid0(VALU_DEP_1) | instskip(NEXT) | instid1(VALU_DEP_1)
	v_div_fixup_f64 v[8:9], v[6:7], v[2:3], v[4:5]
	v_fmac_f64_e32 v[2:3], v[4:5], v[8:9]
	s_delay_alu instid0(VALU_DEP_1) | instskip(NEXT) | instid1(VALU_DEP_1)
	v_div_scale_f64 v[4:5], null, v[2:3], v[2:3], 1.0
	v_rcp_f64_e32 v[6:7], v[4:5]
	v_nop
	s_delay_alu instid0(TRANS32_DEP_1) | instskip(NEXT) | instid1(VALU_DEP_1)
	v_fma_f64 v[10:11], -v[4:5], v[6:7], 1.0
	v_fmac_f64_e32 v[6:7], v[6:7], v[10:11]
	s_delay_alu instid0(VALU_DEP_1) | instskip(NEXT) | instid1(VALU_DEP_1)
	v_fma_f64 v[10:11], -v[4:5], v[6:7], 1.0
	v_fmac_f64_e32 v[6:7], v[6:7], v[10:11]
	v_div_scale_f64 v[10:11], vcc_lo, 1.0, v[2:3], 1.0
	s_delay_alu instid0(VALU_DEP_1) | instskip(NEXT) | instid1(VALU_DEP_1)
	v_mul_f64_e32 v[12:13], v[10:11], v[6:7]
	v_fma_f64 v[4:5], -v[4:5], v[12:13], v[10:11]
	s_delay_alu instid0(VALU_DEP_1) | instskip(NEXT) | instid1(VALU_DEP_1)
	v_div_fmas_f64 v[4:5], v[4:5], v[6:7], v[12:13]
	v_div_fixup_f64 v[6:7], v[4:5], v[2:3], 1.0
	s_delay_alu instid0(VALU_DEP_1)
	v_mul_f64_e64 v[8:9], v[8:9], -v[6:7]
	v_xor_b32_e32 v11, 0x80000000, v7
	v_mov_b32_e32 v10, v6
.LBB85_17:
	s_or_b32 exec_lo, exec_lo, s3
	s_clause 0x1
	scratch_store_b128 v19, v[6:9], off
	scratch_load_b128 v[2:5], off, s33
	v_xor_b32_e32 v13, 0x80000000, v9
	v_mov_b32_e32 v12, v8
	s_wait_xcnt 0x1
	v_add_nc_u32_e32 v6, 0x160, v58
	ds_store_b128 v58, v[10:13]
	s_wait_loadcnt 0x0
	ds_store_b128 v58, v[2:5] offset:352
	s_wait_storecnt_dscnt 0x0
	s_barrier_signal -1
	s_barrier_wait -1
	s_wait_xcnt 0x0
	s_and_saveexec_b32 s3, s2
	s_cbranch_execz .LBB85_19
; %bb.18:
	scratch_load_b128 v[2:5], v19, off
	ds_load_b128 v[8:11], v6
	v_mov_b32_e32 v7, 0
	ds_load_b128 v[60:63], v7 offset:16
	s_wait_loadcnt_dscnt 0x1
	v_mul_f64_e32 v[12:13], v[8:9], v[4:5]
	v_mul_f64_e32 v[4:5], v[10:11], v[4:5]
	s_delay_alu instid0(VALU_DEP_2) | instskip(NEXT) | instid1(VALU_DEP_2)
	v_fmac_f64_e32 v[12:13], v[10:11], v[2:3]
	v_fma_f64 v[2:3], v[8:9], v[2:3], -v[4:5]
	s_delay_alu instid0(VALU_DEP_2) | instskip(NEXT) | instid1(VALU_DEP_2)
	v_add_f64_e32 v[8:9], 0, v[12:13]
	v_add_f64_e32 v[2:3], 0, v[2:3]
	s_wait_dscnt 0x0
	s_delay_alu instid0(VALU_DEP_2) | instskip(NEXT) | instid1(VALU_DEP_2)
	v_mul_f64_e32 v[10:11], v[8:9], v[62:63]
	v_mul_f64_e32 v[4:5], v[2:3], v[62:63]
	s_delay_alu instid0(VALU_DEP_2) | instskip(NEXT) | instid1(VALU_DEP_2)
	v_fma_f64 v[2:3], v[2:3], v[60:61], -v[10:11]
	v_fmac_f64_e32 v[4:5], v[8:9], v[60:61]
	scratch_store_b128 off, v[2:5], off offset:16
.LBB85_19:
	s_wait_xcnt 0x0
	s_or_b32 exec_lo, exec_lo, s3
	s_wait_storecnt 0x0
	s_barrier_signal -1
	s_barrier_wait -1
	scratch_load_b128 v[2:5], off, s31
	s_mov_b32 s3, exec_lo
	s_wait_loadcnt 0x0
	ds_store_b128 v6, v[2:5]
	s_wait_dscnt 0x0
	s_barrier_signal -1
	s_barrier_wait -1
	v_cmpx_gt_u32_e32 2, v1
	s_cbranch_execz .LBB85_23
; %bb.20:
	scratch_load_b128 v[2:5], v19, off
	ds_load_b128 v[8:11], v6
	s_wait_loadcnt_dscnt 0x0
	v_mul_f64_e32 v[12:13], v[10:11], v[4:5]
	v_mul_f64_e32 v[60:61], v[8:9], v[4:5]
	s_delay_alu instid0(VALU_DEP_2) | instskip(NEXT) | instid1(VALU_DEP_2)
	v_fma_f64 v[4:5], v[8:9], v[2:3], -v[12:13]
	v_fmac_f64_e32 v[60:61], v[10:11], v[2:3]
	s_delay_alu instid0(VALU_DEP_2) | instskip(NEXT) | instid1(VALU_DEP_2)
	v_add_f64_e32 v[4:5], 0, v[4:5]
	v_add_f64_e32 v[2:3], 0, v[60:61]
	s_and_saveexec_b32 s35, s2
	s_cbranch_execz .LBB85_22
; %bb.21:
	scratch_load_b128 v[8:11], off, off offset:16
	v_mov_b32_e32 v7, 0
	ds_load_b128 v[60:63], v7 offset:368
	s_wait_loadcnt_dscnt 0x0
	v_mul_f64_e32 v[12:13], v[60:61], v[10:11]
	v_mul_f64_e32 v[10:11], v[62:63], v[10:11]
	s_delay_alu instid0(VALU_DEP_2) | instskip(NEXT) | instid1(VALU_DEP_2)
	v_fmac_f64_e32 v[12:13], v[62:63], v[8:9]
	v_fma_f64 v[8:9], v[60:61], v[8:9], -v[10:11]
	s_delay_alu instid0(VALU_DEP_2) | instskip(NEXT) | instid1(VALU_DEP_2)
	v_add_f64_e32 v[2:3], v[2:3], v[12:13]
	v_add_f64_e32 v[4:5], v[4:5], v[8:9]
.LBB85_22:
	s_or_b32 exec_lo, exec_lo, s35
	v_mov_b32_e32 v7, 0
	ds_load_b128 v[8:11], v7 offset:32
	s_wait_dscnt 0x0
	v_mul_f64_e32 v[60:61], v[2:3], v[10:11]
	v_mul_f64_e32 v[12:13], v[4:5], v[10:11]
	s_delay_alu instid0(VALU_DEP_2) | instskip(NEXT) | instid1(VALU_DEP_2)
	v_fma_f64 v[10:11], v[4:5], v[8:9], -v[60:61]
	v_fmac_f64_e32 v[12:13], v[2:3], v[8:9]
	scratch_store_b128 off, v[10:13], off offset:32
.LBB85_23:
	s_wait_xcnt 0x0
	s_or_b32 exec_lo, exec_lo, s3
	s_wait_storecnt 0x0
	s_barrier_signal -1
	s_barrier_wait -1
	scratch_load_b128 v[2:5], off, s21
	v_add_nc_u32_e32 v7, -1, v1
	s_mov_b32 s2, exec_lo
	s_wait_loadcnt 0x0
	ds_store_b128 v6, v[2:5]
	s_wait_dscnt 0x0
	s_barrier_signal -1
	s_barrier_wait -1
	v_cmpx_gt_u32_e32 3, v1
	s_cbranch_execz .LBB85_27
; %bb.24:
	v_dual_mov_b32 v10, v58 :: v_dual_add_nc_u32 v8, -1, v1
	v_mov_b64_e32 v[2:3], 0
	v_mov_b64_e32 v[4:5], 0
	v_add_nc_u32_e32 v9, 0x160, v58
	s_delay_alu instid0(VALU_DEP_4)
	v_or_b32_e32 v10, 8, v10
	s_mov_b32 s3, 0
.LBB85_25:                              ; =>This Inner Loop Header: Depth=1
	scratch_load_b128 v[60:63], v10, off offset:-8
	ds_load_b128 v[64:67], v9
	v_dual_add_nc_u32 v8, 1, v8 :: v_dual_add_nc_u32 v9, 16, v9
	s_wait_xcnt 0x0
	v_add_nc_u32_e32 v10, 16, v10
	s_delay_alu instid0(VALU_DEP_2) | instskip(SKIP_4) | instid1(VALU_DEP_2)
	v_cmp_lt_u32_e32 vcc_lo, 1, v8
	s_or_b32 s3, vcc_lo, s3
	s_wait_loadcnt_dscnt 0x0
	v_mul_f64_e32 v[12:13], v[66:67], v[62:63]
	v_mul_f64_e32 v[62:63], v[64:65], v[62:63]
	v_fma_f64 v[12:13], v[64:65], v[60:61], -v[12:13]
	s_delay_alu instid0(VALU_DEP_2) | instskip(NEXT) | instid1(VALU_DEP_2)
	v_fmac_f64_e32 v[62:63], v[66:67], v[60:61]
	v_add_f64_e32 v[4:5], v[4:5], v[12:13]
	s_delay_alu instid0(VALU_DEP_2)
	v_add_f64_e32 v[2:3], v[2:3], v[62:63]
	s_and_not1_b32 exec_lo, exec_lo, s3
	s_cbranch_execnz .LBB85_25
; %bb.26:
	s_or_b32 exec_lo, exec_lo, s3
	v_mov_b32_e32 v8, 0
	ds_load_b128 v[8:11], v8 offset:48
	s_wait_dscnt 0x0
	v_mul_f64_e32 v[60:61], v[2:3], v[10:11]
	v_mul_f64_e32 v[12:13], v[4:5], v[10:11]
	s_delay_alu instid0(VALU_DEP_2) | instskip(NEXT) | instid1(VALU_DEP_2)
	v_fma_f64 v[10:11], v[4:5], v[8:9], -v[60:61]
	v_fmac_f64_e32 v[12:13], v[2:3], v[8:9]
	scratch_store_b128 off, v[10:13], off offset:48
.LBB85_27:
	s_wait_xcnt 0x0
	s_or_b32 exec_lo, exec_lo, s2
	s_wait_storecnt 0x0
	s_barrier_signal -1
	s_barrier_wait -1
	scratch_load_b128 v[2:5], off, s22
	s_mov_b32 s2, exec_lo
	s_wait_loadcnt 0x0
	ds_store_b128 v6, v[2:5]
	s_wait_dscnt 0x0
	s_barrier_signal -1
	s_barrier_wait -1
	v_cmpx_gt_u32_e32 4, v1
	s_cbranch_execz .LBB85_31
; %bb.28:
	v_dual_mov_b32 v10, v58 :: v_dual_add_nc_u32 v8, -1, v1
	v_mov_b64_e32 v[2:3], 0
	v_mov_b64_e32 v[4:5], 0
	v_add_nc_u32_e32 v9, 0x160, v58
	s_delay_alu instid0(VALU_DEP_4)
	v_or_b32_e32 v10, 8, v10
	s_mov_b32 s3, 0
.LBB85_29:                              ; =>This Inner Loop Header: Depth=1
	scratch_load_b128 v[60:63], v10, off offset:-8
	ds_load_b128 v[64:67], v9
	v_dual_add_nc_u32 v8, 1, v8 :: v_dual_add_nc_u32 v9, 16, v9
	s_wait_xcnt 0x0
	v_add_nc_u32_e32 v10, 16, v10
	s_delay_alu instid0(VALU_DEP_2) | instskip(SKIP_4) | instid1(VALU_DEP_2)
	v_cmp_lt_u32_e32 vcc_lo, 2, v8
	s_or_b32 s3, vcc_lo, s3
	s_wait_loadcnt_dscnt 0x0
	v_mul_f64_e32 v[12:13], v[66:67], v[62:63]
	v_mul_f64_e32 v[62:63], v[64:65], v[62:63]
	v_fma_f64 v[12:13], v[64:65], v[60:61], -v[12:13]
	s_delay_alu instid0(VALU_DEP_2) | instskip(NEXT) | instid1(VALU_DEP_2)
	v_fmac_f64_e32 v[62:63], v[66:67], v[60:61]
	v_add_f64_e32 v[4:5], v[4:5], v[12:13]
	s_delay_alu instid0(VALU_DEP_2)
	v_add_f64_e32 v[2:3], v[2:3], v[62:63]
	s_and_not1_b32 exec_lo, exec_lo, s3
	s_cbranch_execnz .LBB85_29
; %bb.30:
	s_or_b32 exec_lo, exec_lo, s3
	v_mov_b32_e32 v8, 0
	ds_load_b128 v[8:11], v8 offset:64
	s_wait_dscnt 0x0
	v_mul_f64_e32 v[60:61], v[2:3], v[10:11]
	v_mul_f64_e32 v[12:13], v[4:5], v[10:11]
	s_delay_alu instid0(VALU_DEP_2) | instskip(NEXT) | instid1(VALU_DEP_2)
	v_fma_f64 v[10:11], v[4:5], v[8:9], -v[60:61]
	v_fmac_f64_e32 v[12:13], v[2:3], v[8:9]
	scratch_store_b128 off, v[10:13], off offset:64
.LBB85_31:
	s_wait_xcnt 0x0
	s_or_b32 exec_lo, exec_lo, s2
	s_wait_storecnt 0x0
	s_barrier_signal -1
	s_barrier_wait -1
	scratch_load_b128 v[2:5], off, s12
	;; [unrolled: 54-line block ×18, first 2 shown]
	s_mov_b32 s2, exec_lo
	s_wait_loadcnt 0x0
	ds_store_b128 v6, v[2:5]
	s_wait_dscnt 0x0
	s_barrier_signal -1
	s_barrier_wait -1
	v_cmpx_ne_u32_e32 21, v1
	s_cbranch_execz .LBB85_99
; %bb.96:
	v_mov_b32_e32 v8, v58
	v_mov_b64_e32 v[2:3], 0
	v_mov_b64_e32 v[4:5], 0
	s_mov_b32 s3, 0
	s_delay_alu instid0(VALU_DEP_3)
	v_or_b32_e32 v8, 8, v8
.LBB85_97:                              ; =>This Inner Loop Header: Depth=1
	scratch_load_b128 v[10:13], v8, off offset:-8
	ds_load_b128 v[58:61], v6
	v_dual_add_nc_u32 v7, 1, v7 :: v_dual_add_nc_u32 v6, 16, v6
	s_wait_xcnt 0x0
	v_add_nc_u32_e32 v8, 16, v8
	s_delay_alu instid0(VALU_DEP_2) | instskip(SKIP_4) | instid1(VALU_DEP_2)
	v_cmp_lt_u32_e32 vcc_lo, 19, v7
	s_or_b32 s3, vcc_lo, s3
	s_wait_loadcnt_dscnt 0x0
	v_mul_f64_e32 v[62:63], v[60:61], v[12:13]
	v_mul_f64_e32 v[12:13], v[58:59], v[12:13]
	v_fma_f64 v[58:59], v[58:59], v[10:11], -v[62:63]
	s_delay_alu instid0(VALU_DEP_2) | instskip(NEXT) | instid1(VALU_DEP_2)
	v_fmac_f64_e32 v[12:13], v[60:61], v[10:11]
	v_add_f64_e32 v[4:5], v[4:5], v[58:59]
	s_delay_alu instid0(VALU_DEP_2)
	v_add_f64_e32 v[2:3], v[2:3], v[12:13]
	s_and_not1_b32 exec_lo, exec_lo, s3
	s_cbranch_execnz .LBB85_97
; %bb.98:
	s_or_b32 exec_lo, exec_lo, s3
	v_mov_b32_e32 v6, 0
	ds_load_b128 v[6:9], v6 offset:336
	s_wait_dscnt 0x0
	v_mul_f64_e32 v[12:13], v[2:3], v[8:9]
	v_mul_f64_e32 v[10:11], v[4:5], v[8:9]
	s_delay_alu instid0(VALU_DEP_2) | instskip(NEXT) | instid1(VALU_DEP_2)
	v_fma_f64 v[8:9], v[4:5], v[6:7], -v[12:13]
	v_fmac_f64_e32 v[10:11], v[2:3], v[6:7]
	scratch_store_b128 off, v[8:11], off offset:336
.LBB85_99:
	s_wait_xcnt 0x0
	s_or_b32 exec_lo, exec_lo, s2
	s_mov_b32 s3, -1
	s_wait_storecnt 0x0
	s_barrier_signal -1
	s_barrier_wait -1
.LBB85_100:
	s_and_b32 vcc_lo, exec_lo, s3
	s_cbranch_vccz .LBB85_102
; %bb.101:
	s_wait_xcnt 0x0
	v_mov_b32_e32 v2, 0
	s_lshl_b64 s[2:3], s[10:11], 2
	s_delay_alu instid0(SALU_CYCLE_1)
	s_add_nc_u64 s[2:3], s[6:7], s[2:3]
	global_load_b32 v2, v2, s[2:3]
	s_wait_loadcnt 0x0
	v_cmp_ne_u32_e32 vcc_lo, 0, v2
	s_cbranch_vccz .LBB85_103
.LBB85_102:
	s_sendmsg sendmsg(MSG_DEALLOC_VGPRS)
	s_endpgm
.LBB85_103:
	v_lshl_add_u32 v6, v1, 4, 0x160
	s_wait_xcnt 0x0
	s_mov_b32 s2, exec_lo
	v_cmpx_eq_u32_e32 21, v1
	s_cbranch_execz .LBB85_105
; %bb.104:
	scratch_load_b128 v[2:5], off, s30
	v_mov_b32_e32 v8, 0
	s_delay_alu instid0(VALU_DEP_1)
	v_dual_mov_b32 v9, v8 :: v_dual_mov_b32 v10, v8
	v_mov_b32_e32 v11, v8
	scratch_store_b128 off, v[8:11], off offset:320
	s_wait_loadcnt 0x0
	ds_store_b128 v6, v[2:5]
.LBB85_105:
	s_wait_xcnt 0x0
	s_or_b32 exec_lo, exec_lo, s2
	s_wait_storecnt_dscnt 0x0
	s_barrier_signal -1
	s_barrier_wait -1
	s_clause 0x1
	scratch_load_b128 v[8:11], off, off offset:336
	scratch_load_b128 v[58:61], off, off offset:320
	v_mov_b32_e32 v2, 0
	s_mov_b32 s2, exec_lo
	ds_load_b128 v[62:65], v2 offset:688
	s_wait_loadcnt_dscnt 0x100
	v_mul_f64_e32 v[4:5], v[64:65], v[10:11]
	v_mul_f64_e32 v[10:11], v[62:63], v[10:11]
	s_delay_alu instid0(VALU_DEP_2) | instskip(NEXT) | instid1(VALU_DEP_2)
	v_fma_f64 v[4:5], v[62:63], v[8:9], -v[4:5]
	v_fmac_f64_e32 v[10:11], v[64:65], v[8:9]
	s_delay_alu instid0(VALU_DEP_2) | instskip(NEXT) | instid1(VALU_DEP_2)
	v_add_f64_e32 v[4:5], 0, v[4:5]
	v_add_f64_e32 v[10:11], 0, v[10:11]
	s_wait_loadcnt 0x0
	s_delay_alu instid0(VALU_DEP_2) | instskip(NEXT) | instid1(VALU_DEP_2)
	v_add_f64_e64 v[8:9], v[58:59], -v[4:5]
	v_add_f64_e64 v[10:11], v[60:61], -v[10:11]
	scratch_store_b128 off, v[8:11], off offset:320
	s_wait_xcnt 0x0
	v_cmpx_lt_u32_e32 19, v1
	s_cbranch_execz .LBB85_107
; %bb.106:
	scratch_load_b128 v[8:11], off, s19
	v_dual_mov_b32 v3, v2 :: v_dual_mov_b32 v4, v2
	v_mov_b32_e32 v5, v2
	scratch_store_b128 off, v[2:5], off offset:304
	s_wait_loadcnt 0x0
	ds_store_b128 v6, v[8:11]
.LBB85_107:
	s_wait_xcnt 0x0
	s_or_b32 exec_lo, exec_lo, s2
	s_wait_storecnt_dscnt 0x0
	s_barrier_signal -1
	s_barrier_wait -1
	s_clause 0x2
	scratch_load_b128 v[8:11], off, off offset:320
	scratch_load_b128 v[58:61], off, off offset:336
	;; [unrolled: 1-line block ×3, first 2 shown]
	ds_load_b128 v[66:69], v2 offset:672
	ds_load_b128 v[2:5], v2 offset:688
	s_mov_b32 s2, exec_lo
	s_wait_loadcnt_dscnt 0x201
	v_mul_f64_e32 v[12:13], v[68:69], v[10:11]
	v_mul_f64_e32 v[10:11], v[66:67], v[10:11]
	s_wait_loadcnt_dscnt 0x100
	v_mul_f64_e32 v[70:71], v[2:3], v[60:61]
	v_mul_f64_e32 v[60:61], v[4:5], v[60:61]
	s_delay_alu instid0(VALU_DEP_4) | instskip(NEXT) | instid1(VALU_DEP_4)
	v_fma_f64 v[12:13], v[66:67], v[8:9], -v[12:13]
	v_fmac_f64_e32 v[10:11], v[68:69], v[8:9]
	s_delay_alu instid0(VALU_DEP_4) | instskip(NEXT) | instid1(VALU_DEP_4)
	v_fmac_f64_e32 v[70:71], v[4:5], v[58:59]
	v_fma_f64 v[2:3], v[2:3], v[58:59], -v[60:61]
	s_delay_alu instid0(VALU_DEP_4) | instskip(NEXT) | instid1(VALU_DEP_4)
	v_add_f64_e32 v[4:5], 0, v[12:13]
	v_add_f64_e32 v[8:9], 0, v[10:11]
	s_delay_alu instid0(VALU_DEP_2) | instskip(NEXT) | instid1(VALU_DEP_2)
	v_add_f64_e32 v[2:3], v[4:5], v[2:3]
	v_add_f64_e32 v[4:5], v[8:9], v[70:71]
	s_wait_loadcnt 0x0
	s_delay_alu instid0(VALU_DEP_2) | instskip(NEXT) | instid1(VALU_DEP_2)
	v_add_f64_e64 v[2:3], v[62:63], -v[2:3]
	v_add_f64_e64 v[4:5], v[64:65], -v[4:5]
	scratch_store_b128 off, v[2:5], off offset:304
	s_wait_xcnt 0x0
	v_cmpx_lt_u32_e32 18, v1
	s_cbranch_execz .LBB85_109
; %bb.108:
	scratch_load_b128 v[2:5], off, s29
	v_mov_b32_e32 v8, 0
	s_delay_alu instid0(VALU_DEP_1)
	v_dual_mov_b32 v9, v8 :: v_dual_mov_b32 v10, v8
	v_mov_b32_e32 v11, v8
	scratch_store_b128 off, v[8:11], off offset:288
	s_wait_loadcnt 0x0
	ds_store_b128 v6, v[2:5]
.LBB85_109:
	s_wait_xcnt 0x0
	s_or_b32 exec_lo, exec_lo, s2
	s_wait_storecnt_dscnt 0x0
	s_barrier_signal -1
	s_barrier_wait -1
	s_clause 0x3
	scratch_load_b128 v[8:11], off, off offset:304
	scratch_load_b128 v[58:61], off, off offset:320
	;; [unrolled: 1-line block ×4, first 2 shown]
	v_mov_b32_e32 v2, 0
	ds_load_b128 v[70:73], v2 offset:656
	ds_load_b128 v[74:77], v2 offset:672
	s_mov_b32 s2, exec_lo
	s_wait_loadcnt_dscnt 0x301
	v_mul_f64_e32 v[4:5], v[72:73], v[10:11]
	v_mul_f64_e32 v[12:13], v[70:71], v[10:11]
	s_wait_loadcnt_dscnt 0x200
	v_mul_f64_e32 v[78:79], v[74:75], v[60:61]
	v_mul_f64_e32 v[60:61], v[76:77], v[60:61]
	s_delay_alu instid0(VALU_DEP_4) | instskip(NEXT) | instid1(VALU_DEP_4)
	v_fma_f64 v[4:5], v[70:71], v[8:9], -v[4:5]
	v_fmac_f64_e32 v[12:13], v[72:73], v[8:9]
	ds_load_b128 v[8:11], v2 offset:688
	v_fmac_f64_e32 v[78:79], v[76:77], v[58:59]
	v_fma_f64 v[58:59], v[74:75], v[58:59], -v[60:61]
	s_wait_loadcnt_dscnt 0x100
	v_mul_f64_e32 v[70:71], v[8:9], v[64:65]
	v_mul_f64_e32 v[64:65], v[10:11], v[64:65]
	v_add_f64_e32 v[4:5], 0, v[4:5]
	v_add_f64_e32 v[12:13], 0, v[12:13]
	s_delay_alu instid0(VALU_DEP_4) | instskip(NEXT) | instid1(VALU_DEP_4)
	v_fmac_f64_e32 v[70:71], v[10:11], v[62:63]
	v_fma_f64 v[8:9], v[8:9], v[62:63], -v[64:65]
	s_delay_alu instid0(VALU_DEP_4) | instskip(NEXT) | instid1(VALU_DEP_4)
	v_add_f64_e32 v[4:5], v[4:5], v[58:59]
	v_add_f64_e32 v[10:11], v[12:13], v[78:79]
	s_delay_alu instid0(VALU_DEP_2) | instskip(NEXT) | instid1(VALU_DEP_2)
	v_add_f64_e32 v[4:5], v[4:5], v[8:9]
	v_add_f64_e32 v[10:11], v[10:11], v[70:71]
	s_wait_loadcnt 0x0
	s_delay_alu instid0(VALU_DEP_2) | instskip(NEXT) | instid1(VALU_DEP_2)
	v_add_f64_e64 v[8:9], v[66:67], -v[4:5]
	v_add_f64_e64 v[10:11], v[68:69], -v[10:11]
	scratch_store_b128 off, v[8:11], off offset:288
	s_wait_xcnt 0x0
	v_cmpx_lt_u32_e32 17, v1
	s_cbranch_execz .LBB85_111
; %bb.110:
	scratch_load_b128 v[8:11], off, s18
	v_dual_mov_b32 v3, v2 :: v_dual_mov_b32 v4, v2
	v_mov_b32_e32 v5, v2
	scratch_store_b128 off, v[2:5], off offset:272
	s_wait_loadcnt 0x0
	ds_store_b128 v6, v[8:11]
.LBB85_111:
	s_wait_xcnt 0x0
	s_or_b32 exec_lo, exec_lo, s2
	s_wait_storecnt_dscnt 0x0
	s_barrier_signal -1
	s_barrier_wait -1
	s_clause 0x4
	scratch_load_b128 v[8:11], off, off offset:288
	scratch_load_b128 v[58:61], off, off offset:304
	;; [unrolled: 1-line block ×5, first 2 shown]
	ds_load_b128 v[74:77], v2 offset:640
	ds_load_b128 v[78:81], v2 offset:656
	s_mov_b32 s2, exec_lo
	s_wait_loadcnt_dscnt 0x401
	v_mul_f64_e32 v[4:5], v[76:77], v[10:11]
	v_mul_f64_e32 v[12:13], v[74:75], v[10:11]
	s_wait_loadcnt_dscnt 0x300
	v_mul_f64_e32 v[82:83], v[78:79], v[60:61]
	v_mul_f64_e32 v[60:61], v[80:81], v[60:61]
	s_delay_alu instid0(VALU_DEP_4) | instskip(NEXT) | instid1(VALU_DEP_4)
	v_fma_f64 v[74:75], v[74:75], v[8:9], -v[4:5]
	v_fmac_f64_e32 v[12:13], v[76:77], v[8:9]
	ds_load_b128 v[8:11], v2 offset:672
	ds_load_b128 v[2:5], v2 offset:688
	v_fmac_f64_e32 v[82:83], v[80:81], v[58:59]
	v_fma_f64 v[58:59], v[78:79], v[58:59], -v[60:61]
	s_wait_loadcnt_dscnt 0x201
	v_mul_f64_e32 v[76:77], v[8:9], v[64:65]
	v_mul_f64_e32 v[64:65], v[10:11], v[64:65]
	v_add_f64_e32 v[60:61], 0, v[74:75]
	v_add_f64_e32 v[12:13], 0, v[12:13]
	s_wait_loadcnt_dscnt 0x100
	v_mul_f64_e32 v[74:75], v[2:3], v[68:69]
	v_mul_f64_e32 v[68:69], v[4:5], v[68:69]
	v_fmac_f64_e32 v[76:77], v[10:11], v[62:63]
	v_fma_f64 v[8:9], v[8:9], v[62:63], -v[64:65]
	v_add_f64_e32 v[10:11], v[60:61], v[58:59]
	v_add_f64_e32 v[12:13], v[12:13], v[82:83]
	v_fmac_f64_e32 v[74:75], v[4:5], v[66:67]
	v_fma_f64 v[2:3], v[2:3], v[66:67], -v[68:69]
	s_delay_alu instid0(VALU_DEP_4) | instskip(NEXT) | instid1(VALU_DEP_4)
	v_add_f64_e32 v[4:5], v[10:11], v[8:9]
	v_add_f64_e32 v[8:9], v[12:13], v[76:77]
	s_delay_alu instid0(VALU_DEP_2) | instskip(NEXT) | instid1(VALU_DEP_2)
	v_add_f64_e32 v[2:3], v[4:5], v[2:3]
	v_add_f64_e32 v[4:5], v[8:9], v[74:75]
	s_wait_loadcnt 0x0
	s_delay_alu instid0(VALU_DEP_2) | instskip(NEXT) | instid1(VALU_DEP_2)
	v_add_f64_e64 v[2:3], v[70:71], -v[2:3]
	v_add_f64_e64 v[4:5], v[72:73], -v[4:5]
	scratch_store_b128 off, v[2:5], off offset:272
	s_wait_xcnt 0x0
	v_cmpx_lt_u32_e32 16, v1
	s_cbranch_execz .LBB85_113
; %bb.112:
	scratch_load_b128 v[2:5], off, s28
	v_mov_b32_e32 v8, 0
	s_delay_alu instid0(VALU_DEP_1)
	v_dual_mov_b32 v9, v8 :: v_dual_mov_b32 v10, v8
	v_mov_b32_e32 v11, v8
	scratch_store_b128 off, v[8:11], off offset:256
	s_wait_loadcnt 0x0
	ds_store_b128 v6, v[2:5]
.LBB85_113:
	s_wait_xcnt 0x0
	s_or_b32 exec_lo, exec_lo, s2
	s_wait_storecnt_dscnt 0x0
	s_barrier_signal -1
	s_barrier_wait -1
	s_clause 0x5
	scratch_load_b128 v[8:11], off, off offset:272
	scratch_load_b128 v[58:61], off, off offset:288
	scratch_load_b128 v[62:65], off, off offset:304
	scratch_load_b128 v[66:69], off, off offset:320
	scratch_load_b128 v[70:73], off, off offset:336
	scratch_load_b128 v[74:77], off, off offset:256
	v_mov_b32_e32 v2, 0
	ds_load_b128 v[78:81], v2 offset:624
	ds_load_b128 v[82:85], v2 offset:640
	s_mov_b32 s2, exec_lo
	s_wait_loadcnt_dscnt 0x501
	v_mul_f64_e32 v[4:5], v[80:81], v[10:11]
	v_mul_f64_e32 v[12:13], v[78:79], v[10:11]
	s_wait_loadcnt_dscnt 0x400
	v_mul_f64_e32 v[86:87], v[82:83], v[60:61]
	v_mul_f64_e32 v[60:61], v[84:85], v[60:61]
	s_delay_alu instid0(VALU_DEP_4) | instskip(NEXT) | instid1(VALU_DEP_4)
	v_fma_f64 v[4:5], v[78:79], v[8:9], -v[4:5]
	v_fmac_f64_e32 v[12:13], v[80:81], v[8:9]
	ds_load_b128 v[8:11], v2 offset:656
	ds_load_b128 v[78:81], v2 offset:672
	v_fmac_f64_e32 v[86:87], v[84:85], v[58:59]
	v_fma_f64 v[58:59], v[82:83], v[58:59], -v[60:61]
	s_wait_loadcnt_dscnt 0x301
	v_mul_f64_e32 v[88:89], v[8:9], v[64:65]
	v_mul_f64_e32 v[64:65], v[10:11], v[64:65]
	s_wait_loadcnt_dscnt 0x200
	v_mul_f64_e32 v[60:61], v[78:79], v[68:69]
	v_mul_f64_e32 v[68:69], v[80:81], v[68:69]
	v_add_f64_e32 v[4:5], 0, v[4:5]
	v_add_f64_e32 v[12:13], 0, v[12:13]
	v_fmac_f64_e32 v[88:89], v[10:11], v[62:63]
	v_fma_f64 v[62:63], v[8:9], v[62:63], -v[64:65]
	ds_load_b128 v[8:11], v2 offset:688
	v_fmac_f64_e32 v[60:61], v[80:81], v[66:67]
	v_fma_f64 v[66:67], v[78:79], v[66:67], -v[68:69]
	v_add_f64_e32 v[4:5], v[4:5], v[58:59]
	v_add_f64_e32 v[12:13], v[12:13], v[86:87]
	s_wait_loadcnt_dscnt 0x100
	v_mul_f64_e32 v[58:59], v[8:9], v[72:73]
	v_mul_f64_e32 v[64:65], v[10:11], v[72:73]
	s_delay_alu instid0(VALU_DEP_4) | instskip(NEXT) | instid1(VALU_DEP_4)
	v_add_f64_e32 v[4:5], v[4:5], v[62:63]
	v_add_f64_e32 v[12:13], v[12:13], v[88:89]
	s_delay_alu instid0(VALU_DEP_4) | instskip(NEXT) | instid1(VALU_DEP_4)
	v_fmac_f64_e32 v[58:59], v[10:11], v[70:71]
	v_fma_f64 v[8:9], v[8:9], v[70:71], -v[64:65]
	s_delay_alu instid0(VALU_DEP_4) | instskip(NEXT) | instid1(VALU_DEP_4)
	v_add_f64_e32 v[4:5], v[4:5], v[66:67]
	v_add_f64_e32 v[10:11], v[12:13], v[60:61]
	s_delay_alu instid0(VALU_DEP_2) | instskip(NEXT) | instid1(VALU_DEP_2)
	v_add_f64_e32 v[4:5], v[4:5], v[8:9]
	v_add_f64_e32 v[10:11], v[10:11], v[58:59]
	s_wait_loadcnt 0x0
	s_delay_alu instid0(VALU_DEP_2) | instskip(NEXT) | instid1(VALU_DEP_2)
	v_add_f64_e64 v[8:9], v[74:75], -v[4:5]
	v_add_f64_e64 v[10:11], v[76:77], -v[10:11]
	scratch_store_b128 off, v[8:11], off offset:256
	s_wait_xcnt 0x0
	v_cmpx_lt_u32_e32 15, v1
	s_cbranch_execz .LBB85_115
; %bb.114:
	scratch_load_b128 v[8:11], off, s17
	v_dual_mov_b32 v3, v2 :: v_dual_mov_b32 v4, v2
	v_mov_b32_e32 v5, v2
	scratch_store_b128 off, v[2:5], off offset:240
	s_wait_loadcnt 0x0
	ds_store_b128 v6, v[8:11]
.LBB85_115:
	s_wait_xcnt 0x0
	s_or_b32 exec_lo, exec_lo, s2
	s_wait_storecnt_dscnt 0x0
	s_barrier_signal -1
	s_barrier_wait -1
	s_clause 0x6
	scratch_load_b128 v[8:11], off, off offset:256
	scratch_load_b128 v[58:61], off, off offset:272
	;; [unrolled: 1-line block ×7, first 2 shown]
	ds_load_b128 v[82:85], v2 offset:608
	ds_load_b128 v[86:89], v2 offset:624
	s_mov_b32 s2, exec_lo
	s_wait_loadcnt_dscnt 0x601
	v_mul_f64_e32 v[4:5], v[84:85], v[10:11]
	v_mul_f64_e32 v[12:13], v[82:83], v[10:11]
	s_wait_loadcnt_dscnt 0x500
	v_mul_f64_e32 v[90:91], v[86:87], v[60:61]
	v_mul_f64_e32 v[60:61], v[88:89], v[60:61]
	s_delay_alu instid0(VALU_DEP_4) | instskip(NEXT) | instid1(VALU_DEP_4)
	v_fma_f64 v[4:5], v[82:83], v[8:9], -v[4:5]
	v_fmac_f64_e32 v[12:13], v[84:85], v[8:9]
	ds_load_b128 v[8:11], v2 offset:640
	ds_load_b128 v[82:85], v2 offset:656
	v_fmac_f64_e32 v[90:91], v[88:89], v[58:59]
	v_fma_f64 v[58:59], v[86:87], v[58:59], -v[60:61]
	s_wait_loadcnt_dscnt 0x401
	v_mul_f64_e32 v[92:93], v[8:9], v[64:65]
	v_mul_f64_e32 v[64:65], v[10:11], v[64:65]
	s_wait_loadcnt_dscnt 0x300
	v_mul_f64_e32 v[60:61], v[82:83], v[68:69]
	v_mul_f64_e32 v[68:69], v[84:85], v[68:69]
	v_add_f64_e32 v[4:5], 0, v[4:5]
	v_add_f64_e32 v[12:13], 0, v[12:13]
	v_fmac_f64_e32 v[92:93], v[10:11], v[62:63]
	v_fma_f64 v[62:63], v[8:9], v[62:63], -v[64:65]
	v_fmac_f64_e32 v[60:61], v[84:85], v[66:67]
	v_fma_f64 v[66:67], v[82:83], v[66:67], -v[68:69]
	v_add_f64_e32 v[58:59], v[4:5], v[58:59]
	v_add_f64_e32 v[12:13], v[12:13], v[90:91]
	ds_load_b128 v[8:11], v2 offset:672
	ds_load_b128 v[2:5], v2 offset:688
	s_wait_loadcnt_dscnt 0x201
	v_mul_f64_e32 v[64:65], v[8:9], v[72:73]
	v_mul_f64_e32 v[72:73], v[10:11], v[72:73]
	s_wait_loadcnt_dscnt 0x100
	v_mul_f64_e32 v[68:69], v[4:5], v[76:77]
	v_add_f64_e32 v[58:59], v[58:59], v[62:63]
	v_add_f64_e32 v[12:13], v[12:13], v[92:93]
	v_mul_f64_e32 v[62:63], v[2:3], v[76:77]
	v_fmac_f64_e32 v[64:65], v[10:11], v[70:71]
	v_fma_f64 v[8:9], v[8:9], v[70:71], -v[72:73]
	v_fma_f64 v[2:3], v[2:3], v[74:75], -v[68:69]
	v_add_f64_e32 v[10:11], v[58:59], v[66:67]
	v_add_f64_e32 v[12:13], v[12:13], v[60:61]
	v_fmac_f64_e32 v[62:63], v[4:5], v[74:75]
	s_delay_alu instid0(VALU_DEP_3) | instskip(NEXT) | instid1(VALU_DEP_3)
	v_add_f64_e32 v[4:5], v[10:11], v[8:9]
	v_add_f64_e32 v[8:9], v[12:13], v[64:65]
	s_delay_alu instid0(VALU_DEP_2) | instskip(NEXT) | instid1(VALU_DEP_2)
	v_add_f64_e32 v[2:3], v[4:5], v[2:3]
	v_add_f64_e32 v[4:5], v[8:9], v[62:63]
	s_wait_loadcnt 0x0
	s_delay_alu instid0(VALU_DEP_2) | instskip(NEXT) | instid1(VALU_DEP_2)
	v_add_f64_e64 v[2:3], v[78:79], -v[2:3]
	v_add_f64_e64 v[4:5], v[80:81], -v[4:5]
	scratch_store_b128 off, v[2:5], off offset:240
	s_wait_xcnt 0x0
	v_cmpx_lt_u32_e32 14, v1
	s_cbranch_execz .LBB85_117
; %bb.116:
	scratch_load_b128 v[2:5], off, s27
	v_mov_b32_e32 v8, 0
	s_delay_alu instid0(VALU_DEP_1)
	v_dual_mov_b32 v9, v8 :: v_dual_mov_b32 v10, v8
	v_mov_b32_e32 v11, v8
	scratch_store_b128 off, v[8:11], off offset:224
	s_wait_loadcnt 0x0
	ds_store_b128 v6, v[2:5]
.LBB85_117:
	s_wait_xcnt 0x0
	s_or_b32 exec_lo, exec_lo, s2
	s_wait_storecnt_dscnt 0x0
	s_barrier_signal -1
	s_barrier_wait -1
	s_clause 0x7
	scratch_load_b128 v[8:11], off, off offset:240
	scratch_load_b128 v[58:61], off, off offset:256
	;; [unrolled: 1-line block ×8, first 2 shown]
	v_mov_b32_e32 v2, 0
	ds_load_b128 v[86:89], v2 offset:592
	ds_load_b128 v[90:93], v2 offset:608
	s_mov_b32 s2, exec_lo
	s_wait_loadcnt_dscnt 0x701
	v_mul_f64_e32 v[4:5], v[88:89], v[10:11]
	v_mul_f64_e32 v[12:13], v[86:87], v[10:11]
	s_wait_loadcnt_dscnt 0x600
	v_mul_f64_e32 v[94:95], v[90:91], v[60:61]
	v_mul_f64_e32 v[60:61], v[92:93], v[60:61]
	s_delay_alu instid0(VALU_DEP_4) | instskip(NEXT) | instid1(VALU_DEP_4)
	v_fma_f64 v[4:5], v[86:87], v[8:9], -v[4:5]
	v_fmac_f64_e32 v[12:13], v[88:89], v[8:9]
	ds_load_b128 v[8:11], v2 offset:624
	ds_load_b128 v[86:89], v2 offset:640
	v_fmac_f64_e32 v[94:95], v[92:93], v[58:59]
	v_fma_f64 v[58:59], v[90:91], v[58:59], -v[60:61]
	s_wait_loadcnt_dscnt 0x501
	v_mul_f64_e32 v[96:97], v[8:9], v[64:65]
	v_mul_f64_e32 v[64:65], v[10:11], v[64:65]
	s_wait_loadcnt_dscnt 0x400
	v_mul_f64_e32 v[90:91], v[86:87], v[68:69]
	v_mul_f64_e32 v[68:69], v[88:89], v[68:69]
	v_add_f64_e32 v[4:5], 0, v[4:5]
	v_add_f64_e32 v[12:13], 0, v[12:13]
	v_fmac_f64_e32 v[96:97], v[10:11], v[62:63]
	v_fma_f64 v[62:63], v[8:9], v[62:63], -v[64:65]
	v_fmac_f64_e32 v[90:91], v[88:89], v[66:67]
	v_fma_f64 v[66:67], v[86:87], v[66:67], -v[68:69]
	v_add_f64_e32 v[4:5], v[4:5], v[58:59]
	v_add_f64_e32 v[12:13], v[12:13], v[94:95]
	ds_load_b128 v[8:11], v2 offset:656
	ds_load_b128 v[58:61], v2 offset:672
	s_wait_loadcnt_dscnt 0x301
	v_mul_f64_e32 v[64:65], v[8:9], v[72:73]
	v_mul_f64_e32 v[72:73], v[10:11], v[72:73]
	s_wait_loadcnt_dscnt 0x200
	v_mul_f64_e32 v[68:69], v[60:61], v[76:77]
	v_add_f64_e32 v[4:5], v[4:5], v[62:63]
	v_add_f64_e32 v[12:13], v[12:13], v[96:97]
	v_mul_f64_e32 v[62:63], v[58:59], v[76:77]
	v_fmac_f64_e32 v[64:65], v[10:11], v[70:71]
	v_fma_f64 v[70:71], v[8:9], v[70:71], -v[72:73]
	ds_load_b128 v[8:11], v2 offset:688
	v_fma_f64 v[58:59], v[58:59], v[74:75], -v[68:69]
	v_add_f64_e32 v[4:5], v[4:5], v[66:67]
	v_add_f64_e32 v[12:13], v[12:13], v[90:91]
	v_fmac_f64_e32 v[62:63], v[60:61], v[74:75]
	s_wait_loadcnt_dscnt 0x100
	v_mul_f64_e32 v[66:67], v[8:9], v[80:81]
	v_mul_f64_e32 v[72:73], v[10:11], v[80:81]
	v_add_f64_e32 v[4:5], v[4:5], v[70:71]
	v_add_f64_e32 v[12:13], v[12:13], v[64:65]
	s_delay_alu instid0(VALU_DEP_4) | instskip(NEXT) | instid1(VALU_DEP_4)
	v_fmac_f64_e32 v[66:67], v[10:11], v[78:79]
	v_fma_f64 v[8:9], v[8:9], v[78:79], -v[72:73]
	s_delay_alu instid0(VALU_DEP_4) | instskip(NEXT) | instid1(VALU_DEP_4)
	v_add_f64_e32 v[4:5], v[4:5], v[58:59]
	v_add_f64_e32 v[10:11], v[12:13], v[62:63]
	s_delay_alu instid0(VALU_DEP_2) | instskip(NEXT) | instid1(VALU_DEP_2)
	v_add_f64_e32 v[4:5], v[4:5], v[8:9]
	v_add_f64_e32 v[10:11], v[10:11], v[66:67]
	s_wait_loadcnt 0x0
	s_delay_alu instid0(VALU_DEP_2) | instskip(NEXT) | instid1(VALU_DEP_2)
	v_add_f64_e64 v[8:9], v[82:83], -v[4:5]
	v_add_f64_e64 v[10:11], v[84:85], -v[10:11]
	scratch_store_b128 off, v[8:11], off offset:224
	s_wait_xcnt 0x0
	v_cmpx_lt_u32_e32 13, v1
	s_cbranch_execz .LBB85_119
; %bb.118:
	scratch_load_b128 v[8:11], off, s16
	v_dual_mov_b32 v3, v2 :: v_dual_mov_b32 v4, v2
	v_mov_b32_e32 v5, v2
	scratch_store_b128 off, v[2:5], off offset:208
	s_wait_loadcnt 0x0
	ds_store_b128 v6, v[8:11]
.LBB85_119:
	s_wait_xcnt 0x0
	s_or_b32 exec_lo, exec_lo, s2
	s_wait_storecnt_dscnt 0x0
	s_barrier_signal -1
	s_barrier_wait -1
	s_clause 0x7
	scratch_load_b128 v[8:11], off, off offset:224
	scratch_load_b128 v[58:61], off, off offset:240
	;; [unrolled: 1-line block ×8, first 2 shown]
	ds_load_b128 v[86:89], v2 offset:576
	ds_load_b128 v[90:93], v2 offset:592
	scratch_load_b128 v[94:97], off, off offset:208
	s_mov_b32 s2, exec_lo
	s_wait_loadcnt_dscnt 0x801
	v_mul_f64_e32 v[4:5], v[88:89], v[10:11]
	v_mul_f64_e32 v[12:13], v[86:87], v[10:11]
	s_wait_loadcnt_dscnt 0x700
	v_mul_f64_e32 v[98:99], v[90:91], v[60:61]
	v_mul_f64_e32 v[60:61], v[92:93], v[60:61]
	s_delay_alu instid0(VALU_DEP_4) | instskip(NEXT) | instid1(VALU_DEP_4)
	v_fma_f64 v[4:5], v[86:87], v[8:9], -v[4:5]
	v_fmac_f64_e32 v[12:13], v[88:89], v[8:9]
	ds_load_b128 v[8:11], v2 offset:608
	ds_load_b128 v[86:89], v2 offset:624
	v_fmac_f64_e32 v[98:99], v[92:93], v[58:59]
	v_fma_f64 v[58:59], v[90:91], v[58:59], -v[60:61]
	s_wait_loadcnt_dscnt 0x601
	v_mul_f64_e32 v[100:101], v[8:9], v[64:65]
	v_mul_f64_e32 v[64:65], v[10:11], v[64:65]
	s_wait_loadcnt_dscnt 0x500
	v_mul_f64_e32 v[90:91], v[86:87], v[68:69]
	v_mul_f64_e32 v[68:69], v[88:89], v[68:69]
	v_add_f64_e32 v[4:5], 0, v[4:5]
	v_add_f64_e32 v[12:13], 0, v[12:13]
	v_fmac_f64_e32 v[100:101], v[10:11], v[62:63]
	v_fma_f64 v[62:63], v[8:9], v[62:63], -v[64:65]
	v_fmac_f64_e32 v[90:91], v[88:89], v[66:67]
	v_fma_f64 v[66:67], v[86:87], v[66:67], -v[68:69]
	v_add_f64_e32 v[4:5], v[4:5], v[58:59]
	v_add_f64_e32 v[12:13], v[12:13], v[98:99]
	ds_load_b128 v[8:11], v2 offset:640
	ds_load_b128 v[58:61], v2 offset:656
	s_wait_loadcnt_dscnt 0x401
	v_mul_f64_e32 v[64:65], v[8:9], v[72:73]
	v_mul_f64_e32 v[72:73], v[10:11], v[72:73]
	s_wait_loadcnt_dscnt 0x300
	v_mul_f64_e32 v[68:69], v[60:61], v[76:77]
	v_add_f64_e32 v[4:5], v[4:5], v[62:63]
	v_add_f64_e32 v[12:13], v[12:13], v[100:101]
	v_mul_f64_e32 v[62:63], v[58:59], v[76:77]
	v_fmac_f64_e32 v[64:65], v[10:11], v[70:71]
	v_fma_f64 v[70:71], v[8:9], v[70:71], -v[72:73]
	v_fma_f64 v[58:59], v[58:59], v[74:75], -v[68:69]
	v_add_f64_e32 v[66:67], v[4:5], v[66:67]
	v_add_f64_e32 v[12:13], v[12:13], v[90:91]
	ds_load_b128 v[8:11], v2 offset:672
	ds_load_b128 v[2:5], v2 offset:688
	v_fmac_f64_e32 v[62:63], v[60:61], v[74:75]
	s_wait_loadcnt_dscnt 0x201
	v_mul_f64_e32 v[72:73], v[8:9], v[80:81]
	v_mul_f64_e32 v[76:77], v[10:11], v[80:81]
	v_add_f64_e32 v[60:61], v[66:67], v[70:71]
	v_add_f64_e32 v[12:13], v[12:13], v[64:65]
	s_wait_loadcnt_dscnt 0x100
	v_mul_f64_e32 v[64:65], v[2:3], v[84:85]
	v_mul_f64_e32 v[66:67], v[4:5], v[84:85]
	v_fmac_f64_e32 v[72:73], v[10:11], v[78:79]
	v_fma_f64 v[8:9], v[8:9], v[78:79], -v[76:77]
	v_add_f64_e32 v[10:11], v[60:61], v[58:59]
	v_add_f64_e32 v[12:13], v[12:13], v[62:63]
	v_fmac_f64_e32 v[64:65], v[4:5], v[82:83]
	v_fma_f64 v[2:3], v[2:3], v[82:83], -v[66:67]
	s_delay_alu instid0(VALU_DEP_4) | instskip(NEXT) | instid1(VALU_DEP_4)
	v_add_f64_e32 v[4:5], v[10:11], v[8:9]
	v_add_f64_e32 v[8:9], v[12:13], v[72:73]
	s_delay_alu instid0(VALU_DEP_2) | instskip(NEXT) | instid1(VALU_DEP_2)
	v_add_f64_e32 v[2:3], v[4:5], v[2:3]
	v_add_f64_e32 v[4:5], v[8:9], v[64:65]
	s_wait_loadcnt 0x0
	s_delay_alu instid0(VALU_DEP_2) | instskip(NEXT) | instid1(VALU_DEP_2)
	v_add_f64_e64 v[2:3], v[94:95], -v[2:3]
	v_add_f64_e64 v[4:5], v[96:97], -v[4:5]
	scratch_store_b128 off, v[2:5], off offset:208
	s_wait_xcnt 0x0
	v_cmpx_lt_u32_e32 12, v1
	s_cbranch_execz .LBB85_121
; %bb.120:
	scratch_load_b128 v[2:5], off, s26
	v_mov_b32_e32 v8, 0
	s_delay_alu instid0(VALU_DEP_1)
	v_dual_mov_b32 v9, v8 :: v_dual_mov_b32 v10, v8
	v_mov_b32_e32 v11, v8
	scratch_store_b128 off, v[8:11], off offset:192
	s_wait_loadcnt 0x0
	ds_store_b128 v6, v[2:5]
.LBB85_121:
	s_wait_xcnt 0x0
	s_or_b32 exec_lo, exec_lo, s2
	s_wait_storecnt_dscnt 0x0
	s_barrier_signal -1
	s_barrier_wait -1
	s_clause 0x8
	scratch_load_b128 v[8:11], off, off offset:208
	scratch_load_b128 v[58:61], off, off offset:224
	;; [unrolled: 1-line block ×9, first 2 shown]
	v_mov_b32_e32 v2, 0
	scratch_load_b128 v[94:97], off, off offset:192
	s_mov_b32 s2, exec_lo
	ds_load_b128 v[90:93], v2 offset:560
	ds_load_b128 v[98:101], v2 offset:576
	s_wait_loadcnt_dscnt 0x901
	v_mul_f64_e32 v[4:5], v[92:93], v[10:11]
	v_mul_f64_e32 v[12:13], v[90:91], v[10:11]
	s_wait_loadcnt_dscnt 0x800
	v_mul_f64_e32 v[102:103], v[98:99], v[60:61]
	v_mul_f64_e32 v[60:61], v[100:101], v[60:61]
	s_delay_alu instid0(VALU_DEP_4) | instskip(NEXT) | instid1(VALU_DEP_4)
	v_fma_f64 v[4:5], v[90:91], v[8:9], -v[4:5]
	v_fmac_f64_e32 v[12:13], v[92:93], v[8:9]
	ds_load_b128 v[8:11], v2 offset:592
	ds_load_b128 v[90:93], v2 offset:608
	v_fmac_f64_e32 v[102:103], v[100:101], v[58:59]
	v_fma_f64 v[58:59], v[98:99], v[58:59], -v[60:61]
	s_wait_loadcnt_dscnt 0x701
	v_mul_f64_e32 v[104:105], v[8:9], v[64:65]
	v_mul_f64_e32 v[64:65], v[10:11], v[64:65]
	s_wait_loadcnt_dscnt 0x600
	v_mul_f64_e32 v[98:99], v[90:91], v[68:69]
	v_mul_f64_e32 v[68:69], v[92:93], v[68:69]
	v_add_f64_e32 v[4:5], 0, v[4:5]
	v_add_f64_e32 v[12:13], 0, v[12:13]
	v_fmac_f64_e32 v[104:105], v[10:11], v[62:63]
	v_fma_f64 v[62:63], v[8:9], v[62:63], -v[64:65]
	v_fmac_f64_e32 v[98:99], v[92:93], v[66:67]
	v_fma_f64 v[66:67], v[90:91], v[66:67], -v[68:69]
	v_add_f64_e32 v[4:5], v[4:5], v[58:59]
	v_add_f64_e32 v[12:13], v[12:13], v[102:103]
	ds_load_b128 v[8:11], v2 offset:624
	ds_load_b128 v[58:61], v2 offset:640
	s_wait_loadcnt_dscnt 0x501
	v_mul_f64_e32 v[100:101], v[8:9], v[72:73]
	v_mul_f64_e32 v[64:65], v[10:11], v[72:73]
	s_wait_loadcnt_dscnt 0x400
	v_mul_f64_e32 v[68:69], v[58:59], v[76:77]
	v_mul_f64_e32 v[72:73], v[60:61], v[76:77]
	v_add_f64_e32 v[4:5], v[4:5], v[62:63]
	v_add_f64_e32 v[12:13], v[12:13], v[104:105]
	v_fmac_f64_e32 v[100:101], v[10:11], v[70:71]
	v_fma_f64 v[70:71], v[8:9], v[70:71], -v[64:65]
	ds_load_b128 v[8:11], v2 offset:656
	ds_load_b128 v[62:65], v2 offset:672
	v_fmac_f64_e32 v[68:69], v[60:61], v[74:75]
	v_fma_f64 v[58:59], v[58:59], v[74:75], -v[72:73]
	v_add_f64_e32 v[4:5], v[4:5], v[66:67]
	v_add_f64_e32 v[12:13], v[12:13], v[98:99]
	s_wait_loadcnt_dscnt 0x301
	v_mul_f64_e32 v[66:67], v[8:9], v[80:81]
	v_mul_f64_e32 v[76:77], v[10:11], v[80:81]
	s_wait_loadcnt_dscnt 0x200
	v_mul_f64_e32 v[60:61], v[62:63], v[84:85]
	v_add_f64_e32 v[4:5], v[4:5], v[70:71]
	v_add_f64_e32 v[12:13], v[12:13], v[100:101]
	v_mul_f64_e32 v[70:71], v[64:65], v[84:85]
	v_fmac_f64_e32 v[66:67], v[10:11], v[78:79]
	v_fma_f64 v[72:73], v[8:9], v[78:79], -v[76:77]
	ds_load_b128 v[8:11], v2 offset:688
	v_fmac_f64_e32 v[60:61], v[64:65], v[82:83]
	v_add_f64_e32 v[4:5], v[4:5], v[58:59]
	v_add_f64_e32 v[12:13], v[12:13], v[68:69]
	s_wait_loadcnt_dscnt 0x100
	v_mul_f64_e32 v[58:59], v[8:9], v[88:89]
	v_mul_f64_e32 v[68:69], v[10:11], v[88:89]
	v_fma_f64 v[62:63], v[62:63], v[82:83], -v[70:71]
	v_add_f64_e32 v[4:5], v[4:5], v[72:73]
	v_add_f64_e32 v[12:13], v[12:13], v[66:67]
	v_fmac_f64_e32 v[58:59], v[10:11], v[86:87]
	v_fma_f64 v[8:9], v[8:9], v[86:87], -v[68:69]
	s_delay_alu instid0(VALU_DEP_4) | instskip(NEXT) | instid1(VALU_DEP_4)
	v_add_f64_e32 v[4:5], v[4:5], v[62:63]
	v_add_f64_e32 v[10:11], v[12:13], v[60:61]
	s_delay_alu instid0(VALU_DEP_2) | instskip(NEXT) | instid1(VALU_DEP_2)
	v_add_f64_e32 v[4:5], v[4:5], v[8:9]
	v_add_f64_e32 v[10:11], v[10:11], v[58:59]
	s_wait_loadcnt 0x0
	s_delay_alu instid0(VALU_DEP_2) | instskip(NEXT) | instid1(VALU_DEP_2)
	v_add_f64_e64 v[8:9], v[94:95], -v[4:5]
	v_add_f64_e64 v[10:11], v[96:97], -v[10:11]
	scratch_store_b128 off, v[8:11], off offset:192
	s_wait_xcnt 0x0
	v_cmpx_lt_u32_e32 11, v1
	s_cbranch_execz .LBB85_123
; %bb.122:
	scratch_load_b128 v[8:11], off, s15
	v_dual_mov_b32 v3, v2 :: v_dual_mov_b32 v4, v2
	v_mov_b32_e32 v5, v2
	scratch_store_b128 off, v[2:5], off offset:176
	s_wait_loadcnt 0x0
	ds_store_b128 v6, v[8:11]
.LBB85_123:
	s_wait_xcnt 0x0
	s_or_b32 exec_lo, exec_lo, s2
	s_wait_storecnt_dscnt 0x0
	s_barrier_signal -1
	s_barrier_wait -1
	s_clause 0x9
	scratch_load_b128 v[8:11], off, off offset:192
	scratch_load_b128 v[58:61], off, off offset:208
	;; [unrolled: 1-line block ×10, first 2 shown]
	ds_load_b128 v[94:97], v2 offset:544
	ds_load_b128 v[98:101], v2 offset:560
	scratch_load_b128 v[102:105], off, off offset:176
	s_mov_b32 s2, exec_lo
	s_wait_loadcnt_dscnt 0xa01
	v_mul_f64_e32 v[4:5], v[96:97], v[10:11]
	v_mul_f64_e32 v[12:13], v[94:95], v[10:11]
	s_wait_loadcnt_dscnt 0x900
	v_mul_f64_e32 v[106:107], v[98:99], v[60:61]
	v_mul_f64_e32 v[60:61], v[100:101], v[60:61]
	s_delay_alu instid0(VALU_DEP_4) | instskip(NEXT) | instid1(VALU_DEP_4)
	v_fma_f64 v[4:5], v[94:95], v[8:9], -v[4:5]
	v_fmac_f64_e32 v[12:13], v[96:97], v[8:9]
	ds_load_b128 v[8:11], v2 offset:576
	ds_load_b128 v[94:97], v2 offset:592
	v_fmac_f64_e32 v[106:107], v[100:101], v[58:59]
	v_fma_f64 v[58:59], v[98:99], v[58:59], -v[60:61]
	s_wait_loadcnt_dscnt 0x801
	v_mul_f64_e32 v[108:109], v[8:9], v[64:65]
	v_mul_f64_e32 v[64:65], v[10:11], v[64:65]
	s_wait_loadcnt_dscnt 0x700
	v_mul_f64_e32 v[98:99], v[94:95], v[68:69]
	v_mul_f64_e32 v[68:69], v[96:97], v[68:69]
	v_add_f64_e32 v[4:5], 0, v[4:5]
	v_add_f64_e32 v[12:13], 0, v[12:13]
	v_fmac_f64_e32 v[108:109], v[10:11], v[62:63]
	v_fma_f64 v[62:63], v[8:9], v[62:63], -v[64:65]
	v_fmac_f64_e32 v[98:99], v[96:97], v[66:67]
	v_fma_f64 v[66:67], v[94:95], v[66:67], -v[68:69]
	v_add_f64_e32 v[4:5], v[4:5], v[58:59]
	v_add_f64_e32 v[12:13], v[12:13], v[106:107]
	ds_load_b128 v[8:11], v2 offset:608
	ds_load_b128 v[58:61], v2 offset:624
	s_wait_loadcnt_dscnt 0x601
	v_mul_f64_e32 v[100:101], v[8:9], v[72:73]
	v_mul_f64_e32 v[64:65], v[10:11], v[72:73]
	s_wait_loadcnt_dscnt 0x500
	v_mul_f64_e32 v[68:69], v[58:59], v[76:77]
	v_mul_f64_e32 v[72:73], v[60:61], v[76:77]
	v_add_f64_e32 v[4:5], v[4:5], v[62:63]
	v_add_f64_e32 v[12:13], v[12:13], v[108:109]
	v_fmac_f64_e32 v[100:101], v[10:11], v[70:71]
	v_fma_f64 v[70:71], v[8:9], v[70:71], -v[64:65]
	ds_load_b128 v[8:11], v2 offset:640
	ds_load_b128 v[62:65], v2 offset:656
	v_fmac_f64_e32 v[68:69], v[60:61], v[74:75]
	v_fma_f64 v[58:59], v[58:59], v[74:75], -v[72:73]
	v_add_f64_e32 v[4:5], v[4:5], v[66:67]
	v_add_f64_e32 v[12:13], v[12:13], v[98:99]
	s_wait_loadcnt_dscnt 0x401
	v_mul_f64_e32 v[66:67], v[8:9], v[80:81]
	v_mul_f64_e32 v[76:77], v[10:11], v[80:81]
	s_wait_loadcnt_dscnt 0x300
	v_mul_f64_e32 v[60:61], v[62:63], v[84:85]
	v_add_f64_e32 v[4:5], v[4:5], v[70:71]
	v_add_f64_e32 v[12:13], v[12:13], v[100:101]
	v_mul_f64_e32 v[70:71], v[64:65], v[84:85]
	v_fmac_f64_e32 v[66:67], v[10:11], v[78:79]
	v_fma_f64 v[72:73], v[8:9], v[78:79], -v[76:77]
	v_fmac_f64_e32 v[60:61], v[64:65], v[82:83]
	v_add_f64_e32 v[58:59], v[4:5], v[58:59]
	v_add_f64_e32 v[12:13], v[12:13], v[68:69]
	ds_load_b128 v[8:11], v2 offset:672
	ds_load_b128 v[2:5], v2 offset:688
	v_fma_f64 v[62:63], v[62:63], v[82:83], -v[70:71]
	s_wait_loadcnt_dscnt 0x201
	v_mul_f64_e32 v[68:69], v[8:9], v[88:89]
	v_mul_f64_e32 v[74:75], v[10:11], v[88:89]
	s_wait_loadcnt_dscnt 0x100
	v_mul_f64_e32 v[64:65], v[2:3], v[92:93]
	v_add_f64_e32 v[58:59], v[58:59], v[72:73]
	v_add_f64_e32 v[12:13], v[12:13], v[66:67]
	v_mul_f64_e32 v[66:67], v[4:5], v[92:93]
	v_fmac_f64_e32 v[68:69], v[10:11], v[86:87]
	v_fma_f64 v[8:9], v[8:9], v[86:87], -v[74:75]
	v_fmac_f64_e32 v[64:65], v[4:5], v[90:91]
	v_add_f64_e32 v[10:11], v[58:59], v[62:63]
	v_add_f64_e32 v[12:13], v[12:13], v[60:61]
	v_fma_f64 v[2:3], v[2:3], v[90:91], -v[66:67]
	s_delay_alu instid0(VALU_DEP_3) | instskip(NEXT) | instid1(VALU_DEP_3)
	v_add_f64_e32 v[4:5], v[10:11], v[8:9]
	v_add_f64_e32 v[8:9], v[12:13], v[68:69]
	s_delay_alu instid0(VALU_DEP_2) | instskip(NEXT) | instid1(VALU_DEP_2)
	v_add_f64_e32 v[2:3], v[4:5], v[2:3]
	v_add_f64_e32 v[4:5], v[8:9], v[64:65]
	s_wait_loadcnt 0x0
	s_delay_alu instid0(VALU_DEP_2) | instskip(NEXT) | instid1(VALU_DEP_2)
	v_add_f64_e64 v[2:3], v[102:103], -v[2:3]
	v_add_f64_e64 v[4:5], v[104:105], -v[4:5]
	scratch_store_b128 off, v[2:5], off offset:176
	s_wait_xcnt 0x0
	v_cmpx_lt_u32_e32 10, v1
	s_cbranch_execz .LBB85_125
; %bb.124:
	scratch_load_b128 v[2:5], off, s25
	v_mov_b32_e32 v8, 0
	s_delay_alu instid0(VALU_DEP_1)
	v_dual_mov_b32 v9, v8 :: v_dual_mov_b32 v10, v8
	v_mov_b32_e32 v11, v8
	scratch_store_b128 off, v[8:11], off offset:160
	s_wait_loadcnt 0x0
	ds_store_b128 v6, v[2:5]
.LBB85_125:
	s_wait_xcnt 0x0
	s_or_b32 exec_lo, exec_lo, s2
	s_wait_storecnt_dscnt 0x0
	s_barrier_signal -1
	s_barrier_wait -1
	s_clause 0x9
	scratch_load_b128 v[8:11], off, off offset:176
	scratch_load_b128 v[58:61], off, off offset:192
	scratch_load_b128 v[62:65], off, off offset:208
	scratch_load_b128 v[66:69], off, off offset:224
	scratch_load_b128 v[70:73], off, off offset:240
	scratch_load_b128 v[74:77], off, off offset:256
	scratch_load_b128 v[78:81], off, off offset:272
	scratch_load_b128 v[82:85], off, off offset:288
	scratch_load_b128 v[86:89], off, off offset:304
	scratch_load_b128 v[90:93], off, off offset:320
	v_mov_b32_e32 v2, 0
	s_mov_b32 s2, exec_lo
	ds_load_b128 v[94:97], v2 offset:528
	s_clause 0x1
	scratch_load_b128 v[98:101], off, off offset:336
	scratch_load_b128 v[102:105], off, off offset:160
	s_wait_loadcnt_dscnt 0xb00
	v_mul_f64_e32 v[4:5], v[96:97], v[10:11]
	v_mul_f64_e32 v[12:13], v[94:95], v[10:11]
	ds_load_b128 v[106:109], v2 offset:544
	s_wait_loadcnt_dscnt 0xa00
	v_mul_f64_e32 v[110:111], v[106:107], v[60:61]
	v_mul_f64_e32 v[60:61], v[108:109], v[60:61]
	v_fma_f64 v[4:5], v[94:95], v[8:9], -v[4:5]
	v_fmac_f64_e32 v[12:13], v[96:97], v[8:9]
	ds_load_b128 v[8:11], v2 offset:560
	ds_load_b128 v[94:97], v2 offset:576
	s_wait_loadcnt_dscnt 0x901
	v_mul_f64_e32 v[112:113], v[8:9], v[64:65]
	v_mul_f64_e32 v[64:65], v[10:11], v[64:65]
	v_fmac_f64_e32 v[110:111], v[108:109], v[58:59]
	v_fma_f64 v[58:59], v[106:107], v[58:59], -v[60:61]
	s_wait_loadcnt_dscnt 0x800
	v_mul_f64_e32 v[106:107], v[94:95], v[68:69]
	v_mul_f64_e32 v[68:69], v[96:97], v[68:69]
	v_add_f64_e32 v[4:5], 0, v[4:5]
	v_add_f64_e32 v[12:13], 0, v[12:13]
	v_fmac_f64_e32 v[112:113], v[10:11], v[62:63]
	v_fma_f64 v[62:63], v[8:9], v[62:63], -v[64:65]
	v_fmac_f64_e32 v[106:107], v[96:97], v[66:67]
	v_fma_f64 v[66:67], v[94:95], v[66:67], -v[68:69]
	v_add_f64_e32 v[4:5], v[4:5], v[58:59]
	v_add_f64_e32 v[12:13], v[12:13], v[110:111]
	ds_load_b128 v[8:11], v2 offset:592
	ds_load_b128 v[58:61], v2 offset:608
	s_wait_loadcnt_dscnt 0x701
	v_mul_f64_e32 v[108:109], v[8:9], v[72:73]
	v_mul_f64_e32 v[64:65], v[10:11], v[72:73]
	s_wait_loadcnt_dscnt 0x600
	v_mul_f64_e32 v[68:69], v[58:59], v[76:77]
	v_mul_f64_e32 v[72:73], v[60:61], v[76:77]
	v_add_f64_e32 v[4:5], v[4:5], v[62:63]
	v_add_f64_e32 v[12:13], v[12:13], v[112:113]
	v_fmac_f64_e32 v[108:109], v[10:11], v[70:71]
	v_fma_f64 v[70:71], v[8:9], v[70:71], -v[64:65]
	ds_load_b128 v[8:11], v2 offset:624
	ds_load_b128 v[62:65], v2 offset:640
	v_fmac_f64_e32 v[68:69], v[60:61], v[74:75]
	v_fma_f64 v[58:59], v[58:59], v[74:75], -v[72:73]
	v_add_f64_e32 v[4:5], v[4:5], v[66:67]
	v_add_f64_e32 v[12:13], v[12:13], v[106:107]
	s_wait_loadcnt_dscnt 0x501
	v_mul_f64_e32 v[66:67], v[8:9], v[80:81]
	v_mul_f64_e32 v[76:77], v[10:11], v[80:81]
	s_wait_loadcnt_dscnt 0x400
	v_mul_f64_e32 v[72:73], v[64:65], v[84:85]
	v_add_f64_e32 v[4:5], v[4:5], v[70:71]
	v_add_f64_e32 v[12:13], v[12:13], v[108:109]
	v_mul_f64_e32 v[70:71], v[62:63], v[84:85]
	v_fmac_f64_e32 v[66:67], v[10:11], v[78:79]
	v_fma_f64 v[74:75], v[8:9], v[78:79], -v[76:77]
	v_fma_f64 v[62:63], v[62:63], v[82:83], -v[72:73]
	v_add_f64_e32 v[4:5], v[4:5], v[58:59]
	v_add_f64_e32 v[12:13], v[12:13], v[68:69]
	ds_load_b128 v[8:11], v2 offset:656
	ds_load_b128 v[58:61], v2 offset:672
	v_fmac_f64_e32 v[70:71], v[64:65], v[82:83]
	s_wait_loadcnt_dscnt 0x301
	v_mul_f64_e32 v[68:69], v[8:9], v[88:89]
	v_mul_f64_e32 v[76:77], v[10:11], v[88:89]
	s_wait_loadcnt_dscnt 0x200
	v_mul_f64_e32 v[64:65], v[58:59], v[92:93]
	v_add_f64_e32 v[4:5], v[4:5], v[74:75]
	v_add_f64_e32 v[12:13], v[12:13], v[66:67]
	v_mul_f64_e32 v[66:67], v[60:61], v[92:93]
	v_fmac_f64_e32 v[68:69], v[10:11], v[86:87]
	v_fma_f64 v[72:73], v[8:9], v[86:87], -v[76:77]
	ds_load_b128 v[8:11], v2 offset:688
	v_fmac_f64_e32 v[64:65], v[60:61], v[90:91]
	v_add_f64_e32 v[4:5], v[4:5], v[62:63]
	v_add_f64_e32 v[12:13], v[12:13], v[70:71]
	v_fma_f64 v[58:59], v[58:59], v[90:91], -v[66:67]
	s_wait_loadcnt_dscnt 0x100
	v_mul_f64_e32 v[62:63], v[8:9], v[100:101]
	v_mul_f64_e32 v[70:71], v[10:11], v[100:101]
	v_add_f64_e32 v[4:5], v[4:5], v[72:73]
	v_add_f64_e32 v[12:13], v[12:13], v[68:69]
	s_delay_alu instid0(VALU_DEP_4) | instskip(NEXT) | instid1(VALU_DEP_4)
	v_fmac_f64_e32 v[62:63], v[10:11], v[98:99]
	v_fma_f64 v[8:9], v[8:9], v[98:99], -v[70:71]
	s_delay_alu instid0(VALU_DEP_4) | instskip(NEXT) | instid1(VALU_DEP_4)
	v_add_f64_e32 v[4:5], v[4:5], v[58:59]
	v_add_f64_e32 v[10:11], v[12:13], v[64:65]
	s_delay_alu instid0(VALU_DEP_2) | instskip(NEXT) | instid1(VALU_DEP_2)
	v_add_f64_e32 v[4:5], v[4:5], v[8:9]
	v_add_f64_e32 v[10:11], v[10:11], v[62:63]
	s_wait_loadcnt 0x0
	s_delay_alu instid0(VALU_DEP_2) | instskip(NEXT) | instid1(VALU_DEP_2)
	v_add_f64_e64 v[8:9], v[102:103], -v[4:5]
	v_add_f64_e64 v[10:11], v[104:105], -v[10:11]
	scratch_store_b128 off, v[8:11], off offset:160
	s_wait_xcnt 0x0
	v_cmpx_lt_u32_e32 9, v1
	s_cbranch_execz .LBB85_127
; %bb.126:
	scratch_load_b128 v[8:11], off, s14
	v_dual_mov_b32 v3, v2 :: v_dual_mov_b32 v4, v2
	v_mov_b32_e32 v5, v2
	scratch_store_b128 off, v[2:5], off offset:144
	s_wait_loadcnt 0x0
	ds_store_b128 v6, v[8:11]
.LBB85_127:
	s_wait_xcnt 0x0
	s_or_b32 exec_lo, exec_lo, s2
	s_wait_storecnt_dscnt 0x0
	s_barrier_signal -1
	s_barrier_wait -1
	s_clause 0x9
	scratch_load_b128 v[8:11], off, off offset:160
	scratch_load_b128 v[58:61], off, off offset:176
	;; [unrolled: 1-line block ×10, first 2 shown]
	ds_load_b128 v[94:97], v2 offset:512
	ds_load_b128 v[102:105], v2 offset:528
	s_clause 0x1
	scratch_load_b128 v[98:101], off, off offset:320
	scratch_load_b128 v[106:109], off, off offset:144
	s_mov_b32 s2, exec_lo
	s_wait_loadcnt_dscnt 0xb01
	v_mul_f64_e32 v[4:5], v[96:97], v[10:11]
	v_mul_f64_e32 v[114:115], v[94:95], v[10:11]
	scratch_load_b128 v[10:13], off, off offset:336
	s_wait_loadcnt_dscnt 0xb00
	v_mul_f64_e32 v[116:117], v[102:103], v[60:61]
	v_mul_f64_e32 v[60:61], v[104:105], v[60:61]
	v_fma_f64 v[4:5], v[94:95], v[8:9], -v[4:5]
	v_fmac_f64_e32 v[114:115], v[96:97], v[8:9]
	ds_load_b128 v[94:97], v2 offset:544
	ds_load_b128 v[110:113], v2 offset:560
	v_fmac_f64_e32 v[116:117], v[104:105], v[58:59]
	v_fma_f64 v[58:59], v[102:103], v[58:59], -v[60:61]
	s_wait_loadcnt_dscnt 0xa01
	v_mul_f64_e32 v[8:9], v[94:95], v[64:65]
	v_mul_f64_e32 v[64:65], v[96:97], v[64:65]
	s_wait_loadcnt_dscnt 0x900
	v_mul_f64_e32 v[102:103], v[110:111], v[68:69]
	v_mul_f64_e32 v[68:69], v[112:113], v[68:69]
	v_add_f64_e32 v[4:5], 0, v[4:5]
	v_add_f64_e32 v[60:61], 0, v[114:115]
	v_fmac_f64_e32 v[8:9], v[96:97], v[62:63]
	v_fma_f64 v[94:95], v[94:95], v[62:63], -v[64:65]
	v_fmac_f64_e32 v[102:103], v[112:113], v[66:67]
	v_fma_f64 v[66:67], v[110:111], v[66:67], -v[68:69]
	v_add_f64_e32 v[4:5], v[4:5], v[58:59]
	v_add_f64_e32 v[96:97], v[60:61], v[116:117]
	ds_load_b128 v[58:61], v2 offset:576
	ds_load_b128 v[62:65], v2 offset:592
	s_wait_loadcnt_dscnt 0x801
	v_mul_f64_e32 v[104:105], v[58:59], v[72:73]
	v_mul_f64_e32 v[72:73], v[60:61], v[72:73]
	v_add_f64_e32 v[4:5], v[4:5], v[94:95]
	v_add_f64_e32 v[8:9], v[96:97], v[8:9]
	s_wait_loadcnt_dscnt 0x700
	v_mul_f64_e32 v[94:95], v[62:63], v[76:77]
	v_mul_f64_e32 v[76:77], v[64:65], v[76:77]
	v_fmac_f64_e32 v[104:105], v[60:61], v[70:71]
	v_fma_f64 v[70:71], v[58:59], v[70:71], -v[72:73]
	v_add_f64_e32 v[4:5], v[4:5], v[66:67]
	v_add_f64_e32 v[8:9], v[8:9], v[102:103]
	ds_load_b128 v[58:61], v2 offset:608
	ds_load_b128 v[66:69], v2 offset:624
	v_fmac_f64_e32 v[94:95], v[64:65], v[74:75]
	v_fma_f64 v[62:63], v[62:63], v[74:75], -v[76:77]
	s_wait_loadcnt_dscnt 0x601
	v_mul_f64_e32 v[72:73], v[58:59], v[80:81]
	v_mul_f64_e32 v[80:81], v[60:61], v[80:81]
	s_wait_loadcnt_dscnt 0x500
	v_mul_f64_e32 v[74:75], v[68:69], v[84:85]
	v_add_f64_e32 v[4:5], v[4:5], v[70:71]
	v_add_f64_e32 v[8:9], v[8:9], v[104:105]
	v_mul_f64_e32 v[70:71], v[66:67], v[84:85]
	v_fmac_f64_e32 v[72:73], v[60:61], v[78:79]
	v_fma_f64 v[76:77], v[58:59], v[78:79], -v[80:81]
	v_fma_f64 v[66:67], v[66:67], v[82:83], -v[74:75]
	v_add_f64_e32 v[4:5], v[4:5], v[62:63]
	v_add_f64_e32 v[8:9], v[8:9], v[94:95]
	ds_load_b128 v[58:61], v2 offset:640
	ds_load_b128 v[62:65], v2 offset:656
	v_fmac_f64_e32 v[70:71], v[68:69], v[82:83]
	s_wait_loadcnt_dscnt 0x401
	v_mul_f64_e32 v[78:79], v[58:59], v[88:89]
	v_mul_f64_e32 v[80:81], v[60:61], v[88:89]
	s_wait_loadcnt_dscnt 0x300
	v_mul_f64_e32 v[68:69], v[62:63], v[92:93]
	v_add_f64_e32 v[4:5], v[4:5], v[76:77]
	v_add_f64_e32 v[8:9], v[8:9], v[72:73]
	v_mul_f64_e32 v[72:73], v[64:65], v[92:93]
	v_fmac_f64_e32 v[78:79], v[60:61], v[86:87]
	v_fma_f64 v[74:75], v[58:59], v[86:87], -v[80:81]
	v_fmac_f64_e32 v[68:69], v[64:65], v[90:91]
	v_add_f64_e32 v[66:67], v[4:5], v[66:67]
	v_add_f64_e32 v[8:9], v[8:9], v[70:71]
	ds_load_b128 v[58:61], v2 offset:672
	ds_load_b128 v[2:5], v2 offset:688
	v_fma_f64 v[62:63], v[62:63], v[90:91], -v[72:73]
	s_wait_loadcnt_dscnt 0x201
	v_mul_f64_e32 v[70:71], v[58:59], v[100:101]
	v_mul_f64_e32 v[76:77], v[60:61], v[100:101]
	v_add_f64_e32 v[64:65], v[66:67], v[74:75]
	v_add_f64_e32 v[8:9], v[8:9], v[78:79]
	s_wait_loadcnt_dscnt 0x0
	v_mul_f64_e32 v[66:67], v[2:3], v[12:13]
	v_mul_f64_e32 v[12:13], v[4:5], v[12:13]
	v_fmac_f64_e32 v[70:71], v[60:61], v[98:99]
	v_fma_f64 v[58:59], v[58:59], v[98:99], -v[76:77]
	v_add_f64_e32 v[60:61], v[64:65], v[62:63]
	v_add_f64_e32 v[8:9], v[8:9], v[68:69]
	v_fmac_f64_e32 v[66:67], v[4:5], v[10:11]
	v_fma_f64 v[2:3], v[2:3], v[10:11], -v[12:13]
	s_delay_alu instid0(VALU_DEP_4) | instskip(NEXT) | instid1(VALU_DEP_4)
	v_add_f64_e32 v[4:5], v[60:61], v[58:59]
	v_add_f64_e32 v[8:9], v[8:9], v[70:71]
	s_delay_alu instid0(VALU_DEP_2) | instskip(NEXT) | instid1(VALU_DEP_2)
	v_add_f64_e32 v[2:3], v[4:5], v[2:3]
	v_add_f64_e32 v[4:5], v[8:9], v[66:67]
	s_delay_alu instid0(VALU_DEP_2) | instskip(NEXT) | instid1(VALU_DEP_2)
	v_add_f64_e64 v[2:3], v[106:107], -v[2:3]
	v_add_f64_e64 v[4:5], v[108:109], -v[4:5]
	scratch_store_b128 off, v[2:5], off offset:144
	s_wait_xcnt 0x0
	v_cmpx_lt_u32_e32 8, v1
	s_cbranch_execz .LBB85_129
; %bb.128:
	scratch_load_b128 v[2:5], off, s24
	v_mov_b32_e32 v8, 0
	s_delay_alu instid0(VALU_DEP_1)
	v_dual_mov_b32 v9, v8 :: v_dual_mov_b32 v10, v8
	v_mov_b32_e32 v11, v8
	scratch_store_b128 off, v[8:11], off offset:128
	s_wait_loadcnt 0x0
	ds_store_b128 v6, v[2:5]
.LBB85_129:
	s_wait_xcnt 0x0
	s_or_b32 exec_lo, exec_lo, s2
	s_wait_storecnt_dscnt 0x0
	s_barrier_signal -1
	s_barrier_wait -1
	s_clause 0x9
	scratch_load_b128 v[8:11], off, off offset:144
	scratch_load_b128 v[58:61], off, off offset:160
	;; [unrolled: 1-line block ×10, first 2 shown]
	v_mov_b32_e32 v2, 0
	s_mov_b32 s2, exec_lo
	ds_load_b128 v[94:97], v2 offset:496
	s_clause 0x2
	scratch_load_b128 v[98:101], off, off offset:304
	scratch_load_b128 v[102:105], off, off offset:128
	;; [unrolled: 1-line block ×3, first 2 shown]
	s_wait_loadcnt_dscnt 0xc00
	v_mul_f64_e32 v[4:5], v[96:97], v[10:11]
	v_mul_f64_e32 v[118:119], v[94:95], v[10:11]
	ds_load_b128 v[106:109], v2 offset:512
	scratch_load_b128 v[10:13], off, off offset:320
	ds_load_b128 v[114:117], v2 offset:544
	v_fma_f64 v[4:5], v[94:95], v[8:9], -v[4:5]
	v_fmac_f64_e32 v[118:119], v[96:97], v[8:9]
	ds_load_b128 v[94:97], v2 offset:528
	s_wait_loadcnt_dscnt 0xc02
	v_mul_f64_e32 v[120:121], v[106:107], v[60:61]
	v_mul_f64_e32 v[60:61], v[108:109], v[60:61]
	s_wait_loadcnt_dscnt 0xb00
	v_mul_f64_e32 v[8:9], v[94:95], v[64:65]
	v_mul_f64_e32 v[64:65], v[96:97], v[64:65]
	v_add_f64_e32 v[4:5], 0, v[4:5]
	v_fmac_f64_e32 v[120:121], v[108:109], v[58:59]
	v_fma_f64 v[58:59], v[106:107], v[58:59], -v[60:61]
	v_add_f64_e32 v[60:61], 0, v[118:119]
	s_wait_loadcnt 0xa
	v_mul_f64_e32 v[106:107], v[114:115], v[68:69]
	v_mul_f64_e32 v[68:69], v[116:117], v[68:69]
	v_fmac_f64_e32 v[8:9], v[96:97], v[62:63]
	v_fma_f64 v[94:95], v[94:95], v[62:63], -v[64:65]
	v_add_f64_e32 v[4:5], v[4:5], v[58:59]
	v_add_f64_e32 v[96:97], v[60:61], v[120:121]
	ds_load_b128 v[58:61], v2 offset:560
	ds_load_b128 v[62:65], v2 offset:576
	v_fmac_f64_e32 v[106:107], v[116:117], v[66:67]
	v_fma_f64 v[66:67], v[114:115], v[66:67], -v[68:69]
	s_wait_loadcnt_dscnt 0x901
	v_mul_f64_e32 v[108:109], v[58:59], v[72:73]
	v_mul_f64_e32 v[72:73], v[60:61], v[72:73]
	v_add_f64_e32 v[4:5], v[4:5], v[94:95]
	v_add_f64_e32 v[8:9], v[96:97], v[8:9]
	s_wait_loadcnt_dscnt 0x800
	v_mul_f64_e32 v[94:95], v[62:63], v[76:77]
	v_mul_f64_e32 v[76:77], v[64:65], v[76:77]
	v_fmac_f64_e32 v[108:109], v[60:61], v[70:71]
	v_fma_f64 v[70:71], v[58:59], v[70:71], -v[72:73]
	v_add_f64_e32 v[4:5], v[4:5], v[66:67]
	v_add_f64_e32 v[8:9], v[8:9], v[106:107]
	ds_load_b128 v[58:61], v2 offset:592
	ds_load_b128 v[66:69], v2 offset:608
	v_fmac_f64_e32 v[94:95], v[64:65], v[74:75]
	v_fma_f64 v[62:63], v[62:63], v[74:75], -v[76:77]
	s_wait_loadcnt_dscnt 0x701
	v_mul_f64_e32 v[72:73], v[58:59], v[80:81]
	v_mul_f64_e32 v[80:81], v[60:61], v[80:81]
	s_wait_loadcnt_dscnt 0x600
	v_mul_f64_e32 v[74:75], v[68:69], v[84:85]
	v_add_f64_e32 v[4:5], v[4:5], v[70:71]
	v_add_f64_e32 v[8:9], v[8:9], v[108:109]
	v_mul_f64_e32 v[70:71], v[66:67], v[84:85]
	v_fmac_f64_e32 v[72:73], v[60:61], v[78:79]
	v_fma_f64 v[76:77], v[58:59], v[78:79], -v[80:81]
	v_fma_f64 v[66:67], v[66:67], v[82:83], -v[74:75]
	v_add_f64_e32 v[4:5], v[4:5], v[62:63]
	v_add_f64_e32 v[8:9], v[8:9], v[94:95]
	ds_load_b128 v[58:61], v2 offset:624
	ds_load_b128 v[62:65], v2 offset:640
	v_fmac_f64_e32 v[70:71], v[68:69], v[82:83]
	s_wait_loadcnt_dscnt 0x501
	v_mul_f64_e32 v[78:79], v[58:59], v[88:89]
	v_mul_f64_e32 v[80:81], v[60:61], v[88:89]
	s_wait_loadcnt_dscnt 0x400
	v_mul_f64_e32 v[74:75], v[64:65], v[92:93]
	v_add_f64_e32 v[4:5], v[4:5], v[76:77]
	v_add_f64_e32 v[8:9], v[8:9], v[72:73]
	v_mul_f64_e32 v[72:73], v[62:63], v[92:93]
	v_fmac_f64_e32 v[78:79], v[60:61], v[86:87]
	v_fma_f64 v[76:77], v[58:59], v[86:87], -v[80:81]
	v_fma_f64 v[62:63], v[62:63], v[90:91], -v[74:75]
	v_add_f64_e32 v[4:5], v[4:5], v[66:67]
	v_add_f64_e32 v[8:9], v[8:9], v[70:71]
	ds_load_b128 v[58:61], v2 offset:656
	ds_load_b128 v[66:69], v2 offset:672
	v_fmac_f64_e32 v[72:73], v[64:65], v[90:91]
	s_wait_loadcnt_dscnt 0x301
	v_mul_f64_e32 v[70:71], v[58:59], v[100:101]
	v_mul_f64_e32 v[80:81], v[60:61], v[100:101]
	s_wait_loadcnt_dscnt 0x0
	v_mul_f64_e32 v[64:65], v[66:67], v[12:13]
	v_add_f64_e32 v[4:5], v[4:5], v[76:77]
	v_add_f64_e32 v[8:9], v[8:9], v[78:79]
	v_mul_f64_e32 v[12:13], v[68:69], v[12:13]
	v_fmac_f64_e32 v[70:71], v[60:61], v[98:99]
	v_fma_f64 v[74:75], v[58:59], v[98:99], -v[80:81]
	ds_load_b128 v[58:61], v2 offset:688
	v_fmac_f64_e32 v[64:65], v[68:69], v[10:11]
	v_add_f64_e32 v[4:5], v[4:5], v[62:63]
	v_add_f64_e32 v[8:9], v[8:9], v[72:73]
	v_fma_f64 v[10:11], v[66:67], v[10:11], -v[12:13]
	s_wait_dscnt 0x0
	v_mul_f64_e32 v[62:63], v[58:59], v[112:113]
	v_mul_f64_e32 v[72:73], v[60:61], v[112:113]
	v_add_f64_e32 v[4:5], v[4:5], v[74:75]
	v_add_f64_e32 v[8:9], v[8:9], v[70:71]
	s_delay_alu instid0(VALU_DEP_4) | instskip(NEXT) | instid1(VALU_DEP_4)
	v_fmac_f64_e32 v[62:63], v[60:61], v[110:111]
	v_fma_f64 v[12:13], v[58:59], v[110:111], -v[72:73]
	s_delay_alu instid0(VALU_DEP_4) | instskip(NEXT) | instid1(VALU_DEP_4)
	v_add_f64_e32 v[4:5], v[4:5], v[10:11]
	v_add_f64_e32 v[8:9], v[8:9], v[64:65]
	s_delay_alu instid0(VALU_DEP_2) | instskip(NEXT) | instid1(VALU_DEP_2)
	v_add_f64_e32 v[4:5], v[4:5], v[12:13]
	v_add_f64_e32 v[10:11], v[8:9], v[62:63]
	s_delay_alu instid0(VALU_DEP_2) | instskip(NEXT) | instid1(VALU_DEP_2)
	v_add_f64_e64 v[8:9], v[102:103], -v[4:5]
	v_add_f64_e64 v[10:11], v[104:105], -v[10:11]
	scratch_store_b128 off, v[8:11], off offset:128
	s_wait_xcnt 0x0
	v_cmpx_lt_u32_e32 7, v1
	s_cbranch_execz .LBB85_131
; %bb.130:
	scratch_load_b128 v[8:11], off, s13
	v_dual_mov_b32 v3, v2 :: v_dual_mov_b32 v4, v2
	v_mov_b32_e32 v5, v2
	scratch_store_b128 off, v[2:5], off offset:112
	s_wait_loadcnt 0x0
	ds_store_b128 v6, v[8:11]
.LBB85_131:
	s_wait_xcnt 0x0
	s_or_b32 exec_lo, exec_lo, s2
	s_wait_storecnt_dscnt 0x0
	s_barrier_signal -1
	s_barrier_wait -1
	s_clause 0x9
	scratch_load_b128 v[8:11], off, off offset:128
	scratch_load_b128 v[58:61], off, off offset:144
	;; [unrolled: 1-line block ×10, first 2 shown]
	ds_load_b128 v[94:97], v2 offset:480
	ds_load_b128 v[102:105], v2 offset:496
	s_clause 0x1
	scratch_load_b128 v[98:101], off, off offset:288
	scratch_load_b128 v[106:109], off, off offset:112
	s_mov_b32 s2, exec_lo
	s_wait_loadcnt_dscnt 0xb01
	v_mul_f64_e32 v[4:5], v[96:97], v[10:11]
	v_mul_f64_e32 v[118:119], v[94:95], v[10:11]
	scratch_load_b128 v[10:13], off, off offset:304
	s_wait_loadcnt_dscnt 0xb00
	v_mul_f64_e32 v[120:121], v[102:103], v[60:61]
	v_mul_f64_e32 v[60:61], v[104:105], v[60:61]
	v_fma_f64 v[4:5], v[94:95], v[8:9], -v[4:5]
	v_fmac_f64_e32 v[118:119], v[96:97], v[8:9]
	ds_load_b128 v[94:97], v2 offset:512
	ds_load_b128 v[110:113], v2 offset:528
	scratch_load_b128 v[114:117], off, off offset:320
	v_fmac_f64_e32 v[120:121], v[104:105], v[58:59]
	v_fma_f64 v[102:103], v[102:103], v[58:59], -v[60:61]
	scratch_load_b128 v[58:61], off, off offset:336
	s_wait_loadcnt_dscnt 0xc01
	v_mul_f64_e32 v[8:9], v[94:95], v[64:65]
	v_mul_f64_e32 v[64:65], v[96:97], v[64:65]
	v_add_f64_e32 v[4:5], 0, v[4:5]
	v_add_f64_e32 v[104:105], 0, v[118:119]
	s_wait_loadcnt_dscnt 0xb00
	v_mul_f64_e32 v[118:119], v[110:111], v[68:69]
	v_mul_f64_e32 v[68:69], v[112:113], v[68:69]
	v_fmac_f64_e32 v[8:9], v[96:97], v[62:63]
	v_fma_f64 v[122:123], v[94:95], v[62:63], -v[64:65]
	ds_load_b128 v[62:65], v2 offset:544
	ds_load_b128 v[94:97], v2 offset:560
	v_add_f64_e32 v[4:5], v[4:5], v[102:103]
	v_add_f64_e32 v[102:103], v[104:105], v[120:121]
	v_fmac_f64_e32 v[118:119], v[112:113], v[66:67]
	v_fma_f64 v[66:67], v[110:111], v[66:67], -v[68:69]
	s_wait_loadcnt_dscnt 0xa01
	v_mul_f64_e32 v[104:105], v[62:63], v[72:73]
	v_mul_f64_e32 v[72:73], v[64:65], v[72:73]
	v_add_f64_e32 v[4:5], v[4:5], v[122:123]
	v_add_f64_e32 v[8:9], v[102:103], v[8:9]
	s_wait_loadcnt_dscnt 0x900
	v_mul_f64_e32 v[102:103], v[94:95], v[76:77]
	v_mul_f64_e32 v[76:77], v[96:97], v[76:77]
	v_fmac_f64_e32 v[104:105], v[64:65], v[70:71]
	v_fma_f64 v[70:71], v[62:63], v[70:71], -v[72:73]
	v_add_f64_e32 v[4:5], v[4:5], v[66:67]
	v_add_f64_e32 v[8:9], v[8:9], v[118:119]
	ds_load_b128 v[62:65], v2 offset:576
	ds_load_b128 v[66:69], v2 offset:592
	v_fmac_f64_e32 v[102:103], v[96:97], v[74:75]
	v_fma_f64 v[74:75], v[94:95], v[74:75], -v[76:77]
	s_wait_loadcnt_dscnt 0x801
	v_mul_f64_e32 v[110:111], v[62:63], v[80:81]
	v_mul_f64_e32 v[72:73], v[64:65], v[80:81]
	s_wait_loadcnt_dscnt 0x700
	v_mul_f64_e32 v[76:77], v[66:67], v[84:85]
	v_mul_f64_e32 v[80:81], v[68:69], v[84:85]
	v_add_f64_e32 v[4:5], v[4:5], v[70:71]
	v_add_f64_e32 v[8:9], v[8:9], v[104:105]
	v_fmac_f64_e32 v[110:111], v[64:65], v[78:79]
	v_fma_f64 v[78:79], v[62:63], v[78:79], -v[72:73]
	ds_load_b128 v[62:65], v2 offset:608
	ds_load_b128 v[70:73], v2 offset:624
	v_fmac_f64_e32 v[76:77], v[68:69], v[82:83]
	v_fma_f64 v[66:67], v[66:67], v[82:83], -v[80:81]
	v_add_f64_e32 v[4:5], v[4:5], v[74:75]
	v_add_f64_e32 v[8:9], v[8:9], v[102:103]
	s_wait_loadcnt_dscnt 0x601
	v_mul_f64_e32 v[74:75], v[62:63], v[88:89]
	v_mul_f64_e32 v[84:85], v[64:65], v[88:89]
	s_wait_loadcnt_dscnt 0x500
	v_mul_f64_e32 v[80:81], v[72:73], v[92:93]
	v_add_f64_e32 v[4:5], v[4:5], v[78:79]
	v_add_f64_e32 v[8:9], v[8:9], v[110:111]
	v_mul_f64_e32 v[78:79], v[70:71], v[92:93]
	v_fmac_f64_e32 v[74:75], v[64:65], v[86:87]
	v_fma_f64 v[82:83], v[62:63], v[86:87], -v[84:85]
	v_fma_f64 v[70:71], v[70:71], v[90:91], -v[80:81]
	v_add_f64_e32 v[4:5], v[4:5], v[66:67]
	v_add_f64_e32 v[8:9], v[8:9], v[76:77]
	ds_load_b128 v[62:65], v2 offset:640
	ds_load_b128 v[66:69], v2 offset:656
	v_fmac_f64_e32 v[78:79], v[72:73], v[90:91]
	s_wait_loadcnt_dscnt 0x401
	v_mul_f64_e32 v[76:77], v[62:63], v[100:101]
	v_mul_f64_e32 v[84:85], v[64:65], v[100:101]
	v_add_f64_e32 v[4:5], v[4:5], v[82:83]
	v_add_f64_e32 v[8:9], v[8:9], v[74:75]
	s_wait_loadcnt_dscnt 0x200
	v_mul_f64_e32 v[72:73], v[66:67], v[12:13]
	v_mul_f64_e32 v[12:13], v[68:69], v[12:13]
	v_fmac_f64_e32 v[76:77], v[64:65], v[98:99]
	v_fma_f64 v[74:75], v[62:63], v[98:99], -v[84:85]
	v_add_f64_e32 v[70:71], v[4:5], v[70:71]
	v_add_f64_e32 v[8:9], v[8:9], v[78:79]
	ds_load_b128 v[62:65], v2 offset:672
	ds_load_b128 v[2:5], v2 offset:688
	v_fmac_f64_e32 v[72:73], v[68:69], v[10:11]
	v_fma_f64 v[10:11], v[66:67], v[10:11], -v[12:13]
	s_wait_loadcnt_dscnt 0x101
	v_mul_f64_e32 v[78:79], v[62:63], v[116:117]
	v_mul_f64_e32 v[80:81], v[64:65], v[116:117]
	s_wait_loadcnt_dscnt 0x0
	v_mul_f64_e32 v[66:67], v[2:3], v[60:61]
	v_mul_f64_e32 v[60:61], v[4:5], v[60:61]
	v_add_f64_e32 v[12:13], v[70:71], v[74:75]
	v_add_f64_e32 v[8:9], v[8:9], v[76:77]
	v_fmac_f64_e32 v[78:79], v[64:65], v[114:115]
	v_fma_f64 v[62:63], v[62:63], v[114:115], -v[80:81]
	v_fmac_f64_e32 v[66:67], v[4:5], v[58:59]
	v_fma_f64 v[2:3], v[2:3], v[58:59], -v[60:61]
	v_add_f64_e32 v[10:11], v[12:13], v[10:11]
	v_add_f64_e32 v[8:9], v[8:9], v[72:73]
	s_delay_alu instid0(VALU_DEP_2) | instskip(NEXT) | instid1(VALU_DEP_2)
	v_add_f64_e32 v[4:5], v[10:11], v[62:63]
	v_add_f64_e32 v[8:9], v[8:9], v[78:79]
	s_delay_alu instid0(VALU_DEP_2) | instskip(NEXT) | instid1(VALU_DEP_2)
	;; [unrolled: 3-line block ×3, first 2 shown]
	v_add_f64_e64 v[2:3], v[106:107], -v[2:3]
	v_add_f64_e64 v[4:5], v[108:109], -v[4:5]
	scratch_store_b128 off, v[2:5], off offset:112
	s_wait_xcnt 0x0
	v_cmpx_lt_u32_e32 6, v1
	s_cbranch_execz .LBB85_133
; %bb.132:
	scratch_load_b128 v[2:5], off, s23
	v_mov_b32_e32 v8, 0
	s_delay_alu instid0(VALU_DEP_1)
	v_dual_mov_b32 v9, v8 :: v_dual_mov_b32 v10, v8
	v_mov_b32_e32 v11, v8
	scratch_store_b128 off, v[8:11], off offset:96
	s_wait_loadcnt 0x0
	ds_store_b128 v6, v[2:5]
.LBB85_133:
	s_wait_xcnt 0x0
	s_or_b32 exec_lo, exec_lo, s2
	s_wait_storecnt_dscnt 0x0
	s_barrier_signal -1
	s_barrier_wait -1
	s_clause 0x9
	scratch_load_b128 v[8:11], off, off offset:112
	scratch_load_b128 v[58:61], off, off offset:128
	;; [unrolled: 1-line block ×10, first 2 shown]
	v_mov_b32_e32 v2, 0
	s_mov_b32 s2, exec_lo
	ds_load_b128 v[94:97], v2 offset:464
	s_clause 0x2
	scratch_load_b128 v[98:101], off, off offset:272
	scratch_load_b128 v[102:105], off, off offset:96
	scratch_load_b128 v[110:113], off, off offset:304
	s_wait_loadcnt_dscnt 0xc00
	v_mul_f64_e32 v[4:5], v[96:97], v[10:11]
	v_mul_f64_e32 v[118:119], v[94:95], v[10:11]
	ds_load_b128 v[106:109], v2 offset:480
	scratch_load_b128 v[10:13], off, off offset:288
	ds_load_b128 v[114:117], v2 offset:512
	v_fma_f64 v[4:5], v[94:95], v[8:9], -v[4:5]
	v_fmac_f64_e32 v[118:119], v[96:97], v[8:9]
	ds_load_b128 v[94:97], v2 offset:496
	s_wait_loadcnt_dscnt 0xc02
	v_mul_f64_e32 v[120:121], v[106:107], v[60:61]
	v_mul_f64_e32 v[60:61], v[108:109], v[60:61]
	s_wait_loadcnt_dscnt 0xb00
	v_mul_f64_e32 v[8:9], v[94:95], v[64:65]
	v_mul_f64_e32 v[64:65], v[96:97], v[64:65]
	v_add_f64_e32 v[4:5], 0, v[4:5]
	v_fmac_f64_e32 v[120:121], v[108:109], v[58:59]
	v_fma_f64 v[106:107], v[106:107], v[58:59], -v[60:61]
	v_add_f64_e32 v[108:109], 0, v[118:119]
	scratch_load_b128 v[58:61], off, off offset:320
	v_fmac_f64_e32 v[8:9], v[96:97], v[62:63]
	v_fma_f64 v[122:123], v[94:95], v[62:63], -v[64:65]
	ds_load_b128 v[62:65], v2 offset:528
	s_wait_loadcnt 0xb
	v_mul_f64_e32 v[118:119], v[114:115], v[68:69]
	v_mul_f64_e32 v[68:69], v[116:117], v[68:69]
	scratch_load_b128 v[94:97], off, off offset:336
	v_add_f64_e32 v[4:5], v[4:5], v[106:107]
	v_add_f64_e32 v[120:121], v[108:109], v[120:121]
	ds_load_b128 v[106:109], v2 offset:544
	s_wait_loadcnt_dscnt 0xb01
	v_mul_f64_e32 v[124:125], v[62:63], v[72:73]
	v_mul_f64_e32 v[72:73], v[64:65], v[72:73]
	v_fmac_f64_e32 v[118:119], v[116:117], v[66:67]
	v_fma_f64 v[66:67], v[114:115], v[66:67], -v[68:69]
	s_wait_loadcnt_dscnt 0xa00
	v_mul_f64_e32 v[114:115], v[106:107], v[76:77]
	v_mul_f64_e32 v[76:77], v[108:109], v[76:77]
	v_add_f64_e32 v[4:5], v[4:5], v[122:123]
	v_add_f64_e32 v[8:9], v[120:121], v[8:9]
	v_fmac_f64_e32 v[124:125], v[64:65], v[70:71]
	v_fma_f64 v[70:71], v[62:63], v[70:71], -v[72:73]
	v_fmac_f64_e32 v[114:115], v[108:109], v[74:75]
	v_fma_f64 v[74:75], v[106:107], v[74:75], -v[76:77]
	v_add_f64_e32 v[4:5], v[4:5], v[66:67]
	v_add_f64_e32 v[8:9], v[8:9], v[118:119]
	ds_load_b128 v[62:65], v2 offset:560
	ds_load_b128 v[66:69], v2 offset:576
	s_wait_loadcnt_dscnt 0x901
	v_mul_f64_e32 v[116:117], v[62:63], v[80:81]
	v_mul_f64_e32 v[72:73], v[64:65], v[80:81]
	s_wait_loadcnt_dscnt 0x800
	v_mul_f64_e32 v[76:77], v[66:67], v[84:85]
	v_mul_f64_e32 v[80:81], v[68:69], v[84:85]
	v_add_f64_e32 v[4:5], v[4:5], v[70:71]
	v_add_f64_e32 v[8:9], v[8:9], v[124:125]
	v_fmac_f64_e32 v[116:117], v[64:65], v[78:79]
	v_fma_f64 v[78:79], v[62:63], v[78:79], -v[72:73]
	ds_load_b128 v[62:65], v2 offset:592
	ds_load_b128 v[70:73], v2 offset:608
	v_fmac_f64_e32 v[76:77], v[68:69], v[82:83]
	v_fma_f64 v[66:67], v[66:67], v[82:83], -v[80:81]
	v_add_f64_e32 v[4:5], v[4:5], v[74:75]
	v_add_f64_e32 v[8:9], v[8:9], v[114:115]
	s_wait_loadcnt_dscnt 0x701
	v_mul_f64_e32 v[74:75], v[62:63], v[88:89]
	v_mul_f64_e32 v[84:85], v[64:65], v[88:89]
	s_wait_loadcnt_dscnt 0x600
	v_mul_f64_e32 v[80:81], v[72:73], v[92:93]
	v_add_f64_e32 v[4:5], v[4:5], v[78:79]
	v_add_f64_e32 v[8:9], v[8:9], v[116:117]
	v_mul_f64_e32 v[78:79], v[70:71], v[92:93]
	v_fmac_f64_e32 v[74:75], v[64:65], v[86:87]
	v_fma_f64 v[82:83], v[62:63], v[86:87], -v[84:85]
	v_fma_f64 v[70:71], v[70:71], v[90:91], -v[80:81]
	v_add_f64_e32 v[4:5], v[4:5], v[66:67]
	v_add_f64_e32 v[8:9], v[8:9], v[76:77]
	ds_load_b128 v[62:65], v2 offset:624
	ds_load_b128 v[66:69], v2 offset:640
	v_fmac_f64_e32 v[78:79], v[72:73], v[90:91]
	s_wait_loadcnt_dscnt 0x501
	v_mul_f64_e32 v[76:77], v[62:63], v[100:101]
	v_mul_f64_e32 v[84:85], v[64:65], v[100:101]
	v_add_f64_e32 v[4:5], v[4:5], v[82:83]
	v_add_f64_e32 v[8:9], v[8:9], v[74:75]
	s_wait_loadcnt_dscnt 0x200
	v_mul_f64_e32 v[74:75], v[66:67], v[12:13]
	v_mul_f64_e32 v[12:13], v[68:69], v[12:13]
	v_fmac_f64_e32 v[76:77], v[64:65], v[98:99]
	v_fma_f64 v[80:81], v[62:63], v[98:99], -v[84:85]
	v_add_f64_e32 v[4:5], v[4:5], v[70:71]
	v_add_f64_e32 v[8:9], v[8:9], v[78:79]
	ds_load_b128 v[62:65], v2 offset:656
	ds_load_b128 v[70:73], v2 offset:672
	v_fmac_f64_e32 v[74:75], v[68:69], v[10:11]
	v_fma_f64 v[10:11], v[66:67], v[10:11], -v[12:13]
	s_wait_dscnt 0x1
	v_mul_f64_e32 v[78:79], v[62:63], v[112:113]
	v_mul_f64_e32 v[82:83], v[64:65], v[112:113]
	v_add_f64_e32 v[4:5], v[4:5], v[80:81]
	v_add_f64_e32 v[8:9], v[8:9], v[76:77]
	s_wait_loadcnt_dscnt 0x100
	v_mul_f64_e32 v[12:13], v[70:71], v[60:61]
	v_mul_f64_e32 v[60:61], v[72:73], v[60:61]
	v_fmac_f64_e32 v[78:79], v[64:65], v[110:111]
	v_fma_f64 v[62:63], v[62:63], v[110:111], -v[82:83]
	v_add_f64_e32 v[4:5], v[4:5], v[10:11]
	v_add_f64_e32 v[64:65], v[8:9], v[74:75]
	ds_load_b128 v[8:11], v2 offset:688
	v_fmac_f64_e32 v[12:13], v[72:73], v[58:59]
	v_fma_f64 v[58:59], v[70:71], v[58:59], -v[60:61]
	s_wait_loadcnt_dscnt 0x0
	v_mul_f64_e32 v[66:67], v[8:9], v[96:97]
	v_mul_f64_e32 v[68:69], v[10:11], v[96:97]
	v_add_f64_e32 v[4:5], v[4:5], v[62:63]
	v_add_f64_e32 v[60:61], v[64:65], v[78:79]
	s_delay_alu instid0(VALU_DEP_4) | instskip(NEXT) | instid1(VALU_DEP_4)
	v_fmac_f64_e32 v[66:67], v[10:11], v[94:95]
	v_fma_f64 v[8:9], v[8:9], v[94:95], -v[68:69]
	s_delay_alu instid0(VALU_DEP_4) | instskip(NEXT) | instid1(VALU_DEP_4)
	v_add_f64_e32 v[4:5], v[4:5], v[58:59]
	v_add_f64_e32 v[10:11], v[60:61], v[12:13]
	s_delay_alu instid0(VALU_DEP_2) | instskip(NEXT) | instid1(VALU_DEP_2)
	v_add_f64_e32 v[4:5], v[4:5], v[8:9]
	v_add_f64_e32 v[10:11], v[10:11], v[66:67]
	s_delay_alu instid0(VALU_DEP_2) | instskip(NEXT) | instid1(VALU_DEP_2)
	v_add_f64_e64 v[8:9], v[102:103], -v[4:5]
	v_add_f64_e64 v[10:11], v[104:105], -v[10:11]
	scratch_store_b128 off, v[8:11], off offset:96
	s_wait_xcnt 0x0
	v_cmpx_lt_u32_e32 5, v1
	s_cbranch_execz .LBB85_135
; %bb.134:
	scratch_load_b128 v[8:11], off, s12
	v_dual_mov_b32 v3, v2 :: v_dual_mov_b32 v4, v2
	v_mov_b32_e32 v5, v2
	scratch_store_b128 off, v[2:5], off offset:80
	s_wait_loadcnt 0x0
	ds_store_b128 v6, v[8:11]
.LBB85_135:
	s_wait_xcnt 0x0
	s_or_b32 exec_lo, exec_lo, s2
	s_wait_storecnt_dscnt 0x0
	s_barrier_signal -1
	s_barrier_wait -1
	s_clause 0x9
	scratch_load_b128 v[8:11], off, off offset:96
	scratch_load_b128 v[58:61], off, off offset:112
	;; [unrolled: 1-line block ×10, first 2 shown]
	ds_load_b128 v[94:97], v2 offset:448
	ds_load_b128 v[102:105], v2 offset:464
	s_clause 0x1
	scratch_load_b128 v[98:101], off, off offset:256
	scratch_load_b128 v[106:109], off, off offset:80
	s_mov_b32 s2, exec_lo
	s_wait_loadcnt_dscnt 0xb01
	v_mul_f64_e32 v[4:5], v[96:97], v[10:11]
	v_mul_f64_e32 v[118:119], v[94:95], v[10:11]
	scratch_load_b128 v[10:13], off, off offset:272
	s_wait_loadcnt_dscnt 0xb00
	v_mul_f64_e32 v[120:121], v[102:103], v[60:61]
	v_mul_f64_e32 v[60:61], v[104:105], v[60:61]
	v_fma_f64 v[4:5], v[94:95], v[8:9], -v[4:5]
	v_fmac_f64_e32 v[118:119], v[96:97], v[8:9]
	ds_load_b128 v[94:97], v2 offset:480
	ds_load_b128 v[110:113], v2 offset:496
	scratch_load_b128 v[114:117], off, off offset:288
	v_fmac_f64_e32 v[120:121], v[104:105], v[58:59]
	v_fma_f64 v[102:103], v[102:103], v[58:59], -v[60:61]
	scratch_load_b128 v[58:61], off, off offset:304
	s_wait_loadcnt_dscnt 0xc01
	v_mul_f64_e32 v[8:9], v[94:95], v[64:65]
	v_mul_f64_e32 v[64:65], v[96:97], v[64:65]
	v_add_f64_e32 v[4:5], 0, v[4:5]
	v_add_f64_e32 v[104:105], 0, v[118:119]
	s_wait_loadcnt_dscnt 0xb00
	v_mul_f64_e32 v[118:119], v[110:111], v[68:69]
	v_mul_f64_e32 v[68:69], v[112:113], v[68:69]
	v_fmac_f64_e32 v[8:9], v[96:97], v[62:63]
	v_fma_f64 v[122:123], v[94:95], v[62:63], -v[64:65]
	ds_load_b128 v[62:65], v2 offset:512
	ds_load_b128 v[94:97], v2 offset:528
	v_add_f64_e32 v[4:5], v[4:5], v[102:103]
	v_add_f64_e32 v[120:121], v[104:105], v[120:121]
	scratch_load_b128 v[102:105], off, off offset:320
	v_fmac_f64_e32 v[118:119], v[112:113], v[66:67]
	v_fma_f64 v[110:111], v[110:111], v[66:67], -v[68:69]
	scratch_load_b128 v[66:69], off, off offset:336
	s_wait_loadcnt_dscnt 0xc01
	v_mul_f64_e32 v[124:125], v[62:63], v[72:73]
	v_mul_f64_e32 v[72:73], v[64:65], v[72:73]
	s_wait_loadcnt_dscnt 0xb00
	v_mul_f64_e32 v[112:113], v[94:95], v[76:77]
	v_mul_f64_e32 v[76:77], v[96:97], v[76:77]
	v_add_f64_e32 v[4:5], v[4:5], v[122:123]
	v_add_f64_e32 v[8:9], v[120:121], v[8:9]
	v_fmac_f64_e32 v[124:125], v[64:65], v[70:71]
	v_fma_f64 v[120:121], v[62:63], v[70:71], -v[72:73]
	ds_load_b128 v[62:65], v2 offset:544
	ds_load_b128 v[70:73], v2 offset:560
	v_fmac_f64_e32 v[112:113], v[96:97], v[74:75]
	v_fma_f64 v[74:75], v[94:95], v[74:75], -v[76:77]
	s_wait_loadcnt_dscnt 0x900
	v_mul_f64_e32 v[94:95], v[70:71], v[84:85]
	v_add_f64_e32 v[4:5], v[4:5], v[110:111]
	v_add_f64_e32 v[8:9], v[8:9], v[118:119]
	v_mul_f64_e32 v[110:111], v[62:63], v[80:81]
	v_mul_f64_e32 v[80:81], v[64:65], v[80:81]
	;; [unrolled: 1-line block ×3, first 2 shown]
	v_fmac_f64_e32 v[94:95], v[72:73], v[82:83]
	v_add_f64_e32 v[4:5], v[4:5], v[120:121]
	v_add_f64_e32 v[8:9], v[8:9], v[124:125]
	v_fmac_f64_e32 v[110:111], v[64:65], v[78:79]
	v_fma_f64 v[78:79], v[62:63], v[78:79], -v[80:81]
	v_fma_f64 v[70:71], v[70:71], v[82:83], -v[84:85]
	v_add_f64_e32 v[4:5], v[4:5], v[74:75]
	v_add_f64_e32 v[8:9], v[8:9], v[112:113]
	ds_load_b128 v[62:65], v2 offset:576
	ds_load_b128 v[74:77], v2 offset:592
	s_wait_loadcnt_dscnt 0x801
	v_mul_f64_e32 v[80:81], v[62:63], v[88:89]
	v_mul_f64_e32 v[88:89], v[64:65], v[88:89]
	s_wait_loadcnt_dscnt 0x700
	v_mul_f64_e32 v[82:83], v[76:77], v[92:93]
	v_add_f64_e32 v[4:5], v[4:5], v[78:79]
	v_add_f64_e32 v[8:9], v[8:9], v[110:111]
	v_mul_f64_e32 v[78:79], v[74:75], v[92:93]
	v_fmac_f64_e32 v[80:81], v[64:65], v[86:87]
	v_fma_f64 v[84:85], v[62:63], v[86:87], -v[88:89]
	v_fma_f64 v[74:75], v[74:75], v[90:91], -v[82:83]
	v_add_f64_e32 v[4:5], v[4:5], v[70:71]
	v_add_f64_e32 v[8:9], v[8:9], v[94:95]
	ds_load_b128 v[62:65], v2 offset:608
	ds_load_b128 v[70:73], v2 offset:624
	v_fmac_f64_e32 v[78:79], v[76:77], v[90:91]
	s_wait_loadcnt_dscnt 0x601
	v_mul_f64_e32 v[86:87], v[62:63], v[100:101]
	v_mul_f64_e32 v[88:89], v[64:65], v[100:101]
	v_add_f64_e32 v[4:5], v[4:5], v[84:85]
	v_add_f64_e32 v[8:9], v[8:9], v[80:81]
	s_wait_loadcnt_dscnt 0x400
	v_mul_f64_e32 v[80:81], v[70:71], v[12:13]
	v_mul_f64_e32 v[12:13], v[72:73], v[12:13]
	v_fmac_f64_e32 v[86:87], v[64:65], v[98:99]
	v_fma_f64 v[82:83], v[62:63], v[98:99], -v[88:89]
	v_add_f64_e32 v[4:5], v[4:5], v[74:75]
	v_add_f64_e32 v[8:9], v[8:9], v[78:79]
	ds_load_b128 v[62:65], v2 offset:640
	ds_load_b128 v[74:77], v2 offset:656
	v_fmac_f64_e32 v[80:81], v[72:73], v[10:11]
	v_fma_f64 v[10:11], v[70:71], v[10:11], -v[12:13]
	s_wait_loadcnt_dscnt 0x301
	v_mul_f64_e32 v[78:79], v[62:63], v[116:117]
	v_mul_f64_e32 v[84:85], v[64:65], v[116:117]
	s_wait_loadcnt_dscnt 0x200
	v_mul_f64_e32 v[12:13], v[74:75], v[60:61]
	v_mul_f64_e32 v[60:61], v[76:77], v[60:61]
	v_add_f64_e32 v[4:5], v[4:5], v[82:83]
	v_add_f64_e32 v[8:9], v[8:9], v[86:87]
	v_fmac_f64_e32 v[78:79], v[64:65], v[114:115]
	v_fma_f64 v[62:63], v[62:63], v[114:115], -v[84:85]
	v_fmac_f64_e32 v[12:13], v[76:77], v[58:59]
	v_fma_f64 v[58:59], v[74:75], v[58:59], -v[60:61]
	v_add_f64_e32 v[64:65], v[4:5], v[10:11]
	v_add_f64_e32 v[70:71], v[8:9], v[80:81]
	ds_load_b128 v[8:11], v2 offset:672
	ds_load_b128 v[2:5], v2 offset:688
	s_wait_loadcnt_dscnt 0x101
	v_mul_f64_e32 v[72:73], v[8:9], v[104:105]
	v_mul_f64_e32 v[80:81], v[10:11], v[104:105]
	v_add_f64_e32 v[60:61], v[64:65], v[62:63]
	v_add_f64_e32 v[62:63], v[70:71], v[78:79]
	s_wait_loadcnt_dscnt 0x0
	v_mul_f64_e32 v[64:65], v[2:3], v[68:69]
	v_mul_f64_e32 v[68:69], v[4:5], v[68:69]
	v_fmac_f64_e32 v[72:73], v[10:11], v[102:103]
	v_fma_f64 v[8:9], v[8:9], v[102:103], -v[80:81]
	v_add_f64_e32 v[10:11], v[60:61], v[58:59]
	v_add_f64_e32 v[12:13], v[62:63], v[12:13]
	v_fmac_f64_e32 v[64:65], v[4:5], v[66:67]
	v_fma_f64 v[2:3], v[2:3], v[66:67], -v[68:69]
	s_delay_alu instid0(VALU_DEP_4) | instskip(NEXT) | instid1(VALU_DEP_4)
	v_add_f64_e32 v[4:5], v[10:11], v[8:9]
	v_add_f64_e32 v[8:9], v[12:13], v[72:73]
	s_delay_alu instid0(VALU_DEP_2) | instskip(NEXT) | instid1(VALU_DEP_2)
	v_add_f64_e32 v[2:3], v[4:5], v[2:3]
	v_add_f64_e32 v[4:5], v[8:9], v[64:65]
	s_delay_alu instid0(VALU_DEP_2) | instskip(NEXT) | instid1(VALU_DEP_2)
	v_add_f64_e64 v[2:3], v[106:107], -v[2:3]
	v_add_f64_e64 v[4:5], v[108:109], -v[4:5]
	scratch_store_b128 off, v[2:5], off offset:80
	s_wait_xcnt 0x0
	v_cmpx_lt_u32_e32 4, v1
	s_cbranch_execz .LBB85_137
; %bb.136:
	scratch_load_b128 v[2:5], off, s22
	v_mov_b32_e32 v8, 0
	s_delay_alu instid0(VALU_DEP_1)
	v_dual_mov_b32 v9, v8 :: v_dual_mov_b32 v10, v8
	v_mov_b32_e32 v11, v8
	scratch_store_b128 off, v[8:11], off offset:64
	s_wait_loadcnt 0x0
	ds_store_b128 v6, v[2:5]
.LBB85_137:
	s_wait_xcnt 0x0
	s_or_b32 exec_lo, exec_lo, s2
	s_wait_storecnt_dscnt 0x0
	s_barrier_signal -1
	s_barrier_wait -1
	s_clause 0x9
	scratch_load_b128 v[8:11], off, off offset:80
	scratch_load_b128 v[58:61], off, off offset:96
	scratch_load_b128 v[62:65], off, off offset:112
	scratch_load_b128 v[66:69], off, off offset:128
	scratch_load_b128 v[70:73], off, off offset:144
	scratch_load_b128 v[74:77], off, off offset:160
	scratch_load_b128 v[78:81], off, off offset:176
	scratch_load_b128 v[82:85], off, off offset:192
	scratch_load_b128 v[86:89], off, off offset:208
	scratch_load_b128 v[90:93], off, off offset:224
	v_mov_b32_e32 v2, 0
	s_mov_b32 s2, exec_lo
	ds_load_b128 v[94:97], v2 offset:432
	s_clause 0x2
	scratch_load_b128 v[98:101], off, off offset:240
	scratch_load_b128 v[102:105], off, off offset:64
	;; [unrolled: 1-line block ×3, first 2 shown]
	s_wait_loadcnt_dscnt 0xc00
	v_mul_f64_e32 v[4:5], v[96:97], v[10:11]
	v_mul_f64_e32 v[118:119], v[94:95], v[10:11]
	ds_load_b128 v[106:109], v2 offset:448
	scratch_load_b128 v[10:13], off, off offset:256
	ds_load_b128 v[114:117], v2 offset:480
	v_fma_f64 v[4:5], v[94:95], v[8:9], -v[4:5]
	v_fmac_f64_e32 v[118:119], v[96:97], v[8:9]
	ds_load_b128 v[94:97], v2 offset:464
	s_wait_loadcnt_dscnt 0xc02
	v_mul_f64_e32 v[120:121], v[106:107], v[60:61]
	v_mul_f64_e32 v[60:61], v[108:109], v[60:61]
	s_wait_loadcnt_dscnt 0xb00
	v_mul_f64_e32 v[8:9], v[94:95], v[64:65]
	v_mul_f64_e32 v[64:65], v[96:97], v[64:65]
	v_add_f64_e32 v[4:5], 0, v[4:5]
	v_fmac_f64_e32 v[120:121], v[108:109], v[58:59]
	v_fma_f64 v[106:107], v[106:107], v[58:59], -v[60:61]
	v_add_f64_e32 v[108:109], 0, v[118:119]
	scratch_load_b128 v[58:61], off, off offset:288
	v_fmac_f64_e32 v[8:9], v[96:97], v[62:63]
	v_fma_f64 v[122:123], v[94:95], v[62:63], -v[64:65]
	ds_load_b128 v[62:65], v2 offset:496
	s_wait_loadcnt 0xb
	v_mul_f64_e32 v[118:119], v[114:115], v[68:69]
	v_mul_f64_e32 v[68:69], v[116:117], v[68:69]
	scratch_load_b128 v[94:97], off, off offset:304
	v_add_f64_e32 v[4:5], v[4:5], v[106:107]
	v_add_f64_e32 v[120:121], v[108:109], v[120:121]
	ds_load_b128 v[106:109], v2 offset:512
	s_wait_loadcnt_dscnt 0xb01
	v_mul_f64_e32 v[124:125], v[62:63], v[72:73]
	v_mul_f64_e32 v[72:73], v[64:65], v[72:73]
	v_fmac_f64_e32 v[118:119], v[116:117], v[66:67]
	v_fma_f64 v[114:115], v[114:115], v[66:67], -v[68:69]
	scratch_load_b128 v[66:69], off, off offset:320
	v_add_f64_e32 v[4:5], v[4:5], v[122:123]
	v_add_f64_e32 v[8:9], v[120:121], v[8:9]
	v_fmac_f64_e32 v[124:125], v[64:65], v[70:71]
	v_fma_f64 v[122:123], v[62:63], v[70:71], -v[72:73]
	ds_load_b128 v[62:65], v2 offset:528
	s_wait_loadcnt_dscnt 0xb01
	v_mul_f64_e32 v[120:121], v[106:107], v[76:77]
	v_mul_f64_e32 v[76:77], v[108:109], v[76:77]
	scratch_load_b128 v[70:73], off, off offset:336
	v_add_f64_e32 v[4:5], v[4:5], v[114:115]
	v_add_f64_e32 v[8:9], v[8:9], v[118:119]
	s_wait_loadcnt_dscnt 0xb00
	v_mul_f64_e32 v[118:119], v[62:63], v[80:81]
	v_mul_f64_e32 v[80:81], v[64:65], v[80:81]
	ds_load_b128 v[114:117], v2 offset:544
	v_fmac_f64_e32 v[120:121], v[108:109], v[74:75]
	v_fma_f64 v[74:75], v[106:107], v[74:75], -v[76:77]
	s_wait_loadcnt_dscnt 0xa00
	v_mul_f64_e32 v[106:107], v[114:115], v[84:85]
	v_mul_f64_e32 v[84:85], v[116:117], v[84:85]
	v_add_f64_e32 v[4:5], v[4:5], v[122:123]
	v_add_f64_e32 v[8:9], v[8:9], v[124:125]
	v_fmac_f64_e32 v[118:119], v[64:65], v[78:79]
	v_fma_f64 v[78:79], v[62:63], v[78:79], -v[80:81]
	v_fmac_f64_e32 v[106:107], v[116:117], v[82:83]
	v_fma_f64 v[82:83], v[114:115], v[82:83], -v[84:85]
	v_add_f64_e32 v[4:5], v[4:5], v[74:75]
	v_add_f64_e32 v[8:9], v[8:9], v[120:121]
	ds_load_b128 v[62:65], v2 offset:560
	ds_load_b128 v[74:77], v2 offset:576
	s_wait_loadcnt_dscnt 0x901
	v_mul_f64_e32 v[108:109], v[62:63], v[88:89]
	v_mul_f64_e32 v[80:81], v[64:65], v[88:89]
	s_wait_loadcnt_dscnt 0x800
	v_mul_f64_e32 v[84:85], v[74:75], v[92:93]
	v_mul_f64_e32 v[88:89], v[76:77], v[92:93]
	v_add_f64_e32 v[4:5], v[4:5], v[78:79]
	v_add_f64_e32 v[8:9], v[8:9], v[118:119]
	v_fmac_f64_e32 v[108:109], v[64:65], v[86:87]
	v_fma_f64 v[86:87], v[62:63], v[86:87], -v[80:81]
	ds_load_b128 v[62:65], v2 offset:592
	ds_load_b128 v[78:81], v2 offset:608
	v_fmac_f64_e32 v[84:85], v[76:77], v[90:91]
	v_fma_f64 v[74:75], v[74:75], v[90:91], -v[88:89]
	v_add_f64_e32 v[4:5], v[4:5], v[82:83]
	v_add_f64_e32 v[8:9], v[8:9], v[106:107]
	s_wait_loadcnt_dscnt 0x701
	v_mul_f64_e32 v[82:83], v[62:63], v[100:101]
	v_mul_f64_e32 v[92:93], v[64:65], v[100:101]
	s_delay_alu instid0(VALU_DEP_4) | instskip(NEXT) | instid1(VALU_DEP_4)
	v_add_f64_e32 v[4:5], v[4:5], v[86:87]
	v_add_f64_e32 v[8:9], v[8:9], v[108:109]
	s_wait_loadcnt_dscnt 0x400
	v_mul_f64_e32 v[86:87], v[78:79], v[12:13]
	v_mul_f64_e32 v[12:13], v[80:81], v[12:13]
	v_fmac_f64_e32 v[82:83], v[64:65], v[98:99]
	v_fma_f64 v[88:89], v[62:63], v[98:99], -v[92:93]
	v_add_f64_e32 v[4:5], v[4:5], v[74:75]
	v_add_f64_e32 v[8:9], v[8:9], v[84:85]
	ds_load_b128 v[62:65], v2 offset:624
	ds_load_b128 v[74:77], v2 offset:640
	v_fmac_f64_e32 v[86:87], v[80:81], v[10:11]
	v_fma_f64 v[10:11], v[78:79], v[10:11], -v[12:13]
	s_wait_dscnt 0x1
	v_mul_f64_e32 v[84:85], v[62:63], v[112:113]
	v_mul_f64_e32 v[90:91], v[64:65], v[112:113]
	v_add_f64_e32 v[4:5], v[4:5], v[88:89]
	v_add_f64_e32 v[8:9], v[8:9], v[82:83]
	s_wait_loadcnt_dscnt 0x300
	v_mul_f64_e32 v[12:13], v[74:75], v[60:61]
	v_mul_f64_e32 v[78:79], v[76:77], v[60:61]
	v_fmac_f64_e32 v[84:85], v[64:65], v[110:111]
	v_fma_f64 v[64:65], v[62:63], v[110:111], -v[90:91]
	v_add_f64_e32 v[4:5], v[4:5], v[10:11]
	v_add_f64_e32 v[80:81], v[8:9], v[86:87]
	ds_load_b128 v[8:11], v2 offset:656
	ds_load_b128 v[60:63], v2 offset:672
	v_fmac_f64_e32 v[12:13], v[76:77], v[58:59]
	v_fma_f64 v[58:59], v[74:75], v[58:59], -v[78:79]
	s_wait_loadcnt_dscnt 0x201
	v_mul_f64_e32 v[82:83], v[8:9], v[96:97]
	v_mul_f64_e32 v[86:87], v[10:11], v[96:97]
	s_wait_loadcnt_dscnt 0x100
	v_mul_f64_e32 v[74:75], v[60:61], v[68:69]
	v_mul_f64_e32 v[68:69], v[62:63], v[68:69]
	v_add_f64_e32 v[4:5], v[4:5], v[64:65]
	v_add_f64_e32 v[64:65], v[80:81], v[84:85]
	v_fmac_f64_e32 v[82:83], v[10:11], v[94:95]
	v_fma_f64 v[76:77], v[8:9], v[94:95], -v[86:87]
	ds_load_b128 v[8:11], v2 offset:688
	v_fmac_f64_e32 v[74:75], v[62:63], v[66:67]
	v_fma_f64 v[60:61], v[60:61], v[66:67], -v[68:69]
	v_add_f64_e32 v[4:5], v[4:5], v[58:59]
	v_add_f64_e32 v[12:13], v[64:65], v[12:13]
	s_wait_loadcnt_dscnt 0x0
	v_mul_f64_e32 v[58:59], v[8:9], v[72:73]
	v_mul_f64_e32 v[64:65], v[10:11], v[72:73]
	s_delay_alu instid0(VALU_DEP_4) | instskip(NEXT) | instid1(VALU_DEP_4)
	v_add_f64_e32 v[4:5], v[4:5], v[76:77]
	v_add_f64_e32 v[12:13], v[12:13], v[82:83]
	s_delay_alu instid0(VALU_DEP_4) | instskip(NEXT) | instid1(VALU_DEP_4)
	v_fmac_f64_e32 v[58:59], v[10:11], v[70:71]
	v_fma_f64 v[8:9], v[8:9], v[70:71], -v[64:65]
	s_delay_alu instid0(VALU_DEP_4) | instskip(NEXT) | instid1(VALU_DEP_4)
	v_add_f64_e32 v[4:5], v[4:5], v[60:61]
	v_add_f64_e32 v[10:11], v[12:13], v[74:75]
	s_delay_alu instid0(VALU_DEP_2) | instskip(NEXT) | instid1(VALU_DEP_2)
	v_add_f64_e32 v[4:5], v[4:5], v[8:9]
	v_add_f64_e32 v[10:11], v[10:11], v[58:59]
	s_delay_alu instid0(VALU_DEP_2) | instskip(NEXT) | instid1(VALU_DEP_2)
	v_add_f64_e64 v[8:9], v[102:103], -v[4:5]
	v_add_f64_e64 v[10:11], v[104:105], -v[10:11]
	scratch_store_b128 off, v[8:11], off offset:64
	s_wait_xcnt 0x0
	v_cmpx_lt_u32_e32 3, v1
	s_cbranch_execz .LBB85_139
; %bb.138:
	scratch_load_b128 v[8:11], off, s21
	v_dual_mov_b32 v3, v2 :: v_dual_mov_b32 v4, v2
	v_mov_b32_e32 v5, v2
	scratch_store_b128 off, v[2:5], off offset:48
	s_wait_loadcnt 0x0
	ds_store_b128 v6, v[8:11]
.LBB85_139:
	s_wait_xcnt 0x0
	s_or_b32 exec_lo, exec_lo, s2
	s_wait_storecnt_dscnt 0x0
	s_barrier_signal -1
	s_barrier_wait -1
	s_clause 0x9
	scratch_load_b128 v[8:11], off, off offset:64
	scratch_load_b128 v[58:61], off, off offset:80
	;; [unrolled: 1-line block ×10, first 2 shown]
	ds_load_b128 v[94:97], v2 offset:416
	ds_load_b128 v[102:105], v2 offset:432
	s_clause 0x1
	scratch_load_b128 v[98:101], off, off offset:224
	scratch_load_b128 v[106:109], off, off offset:48
	s_mov_b32 s2, exec_lo
	s_wait_loadcnt_dscnt 0xb01
	v_mul_f64_e32 v[4:5], v[96:97], v[10:11]
	v_mul_f64_e32 v[118:119], v[94:95], v[10:11]
	scratch_load_b128 v[10:13], off, off offset:240
	s_wait_loadcnt_dscnt 0xb00
	v_mul_f64_e32 v[120:121], v[102:103], v[60:61]
	v_mul_f64_e32 v[60:61], v[104:105], v[60:61]
	v_fma_f64 v[4:5], v[94:95], v[8:9], -v[4:5]
	v_fmac_f64_e32 v[118:119], v[96:97], v[8:9]
	ds_load_b128 v[94:97], v2 offset:448
	ds_load_b128 v[110:113], v2 offset:464
	scratch_load_b128 v[114:117], off, off offset:256
	v_fmac_f64_e32 v[120:121], v[104:105], v[58:59]
	v_fma_f64 v[102:103], v[102:103], v[58:59], -v[60:61]
	scratch_load_b128 v[58:61], off, off offset:272
	s_wait_loadcnt_dscnt 0xc01
	v_mul_f64_e32 v[8:9], v[94:95], v[64:65]
	v_mul_f64_e32 v[64:65], v[96:97], v[64:65]
	v_add_f64_e32 v[4:5], 0, v[4:5]
	v_add_f64_e32 v[104:105], 0, v[118:119]
	s_wait_loadcnt_dscnt 0xb00
	v_mul_f64_e32 v[118:119], v[110:111], v[68:69]
	v_mul_f64_e32 v[68:69], v[112:113], v[68:69]
	v_fmac_f64_e32 v[8:9], v[96:97], v[62:63]
	v_fma_f64 v[122:123], v[94:95], v[62:63], -v[64:65]
	ds_load_b128 v[62:65], v2 offset:480
	ds_load_b128 v[94:97], v2 offset:496
	v_add_f64_e32 v[4:5], v[4:5], v[102:103]
	v_add_f64_e32 v[120:121], v[104:105], v[120:121]
	scratch_load_b128 v[102:105], off, off offset:288
	v_fmac_f64_e32 v[118:119], v[112:113], v[66:67]
	v_fma_f64 v[110:111], v[110:111], v[66:67], -v[68:69]
	scratch_load_b128 v[66:69], off, off offset:304
	s_wait_loadcnt_dscnt 0xc01
	v_mul_f64_e32 v[124:125], v[62:63], v[72:73]
	v_mul_f64_e32 v[72:73], v[64:65], v[72:73]
	v_add_f64_e32 v[4:5], v[4:5], v[122:123]
	v_add_f64_e32 v[8:9], v[120:121], v[8:9]
	s_wait_loadcnt_dscnt 0xb00
	v_mul_f64_e32 v[120:121], v[94:95], v[76:77]
	v_mul_f64_e32 v[76:77], v[96:97], v[76:77]
	v_fmac_f64_e32 v[124:125], v[64:65], v[70:71]
	v_fma_f64 v[122:123], v[62:63], v[70:71], -v[72:73]
	ds_load_b128 v[62:65], v2 offset:512
	ds_load_b128 v[70:73], v2 offset:528
	v_add_f64_e32 v[4:5], v[4:5], v[110:111]
	v_add_f64_e32 v[8:9], v[8:9], v[118:119]
	scratch_load_b128 v[110:113], off, off offset:320
	s_wait_loadcnt_dscnt 0xb01
	v_mul_f64_e32 v[118:119], v[62:63], v[80:81]
	v_mul_f64_e32 v[80:81], v[64:65], v[80:81]
	v_fmac_f64_e32 v[120:121], v[96:97], v[74:75]
	v_fma_f64 v[94:95], v[94:95], v[74:75], -v[76:77]
	scratch_load_b128 v[74:77], off, off offset:336
	s_wait_loadcnt_dscnt 0xb00
	v_mul_f64_e32 v[96:97], v[70:71], v[84:85]
	v_mul_f64_e32 v[84:85], v[72:73], v[84:85]
	v_add_f64_e32 v[4:5], v[4:5], v[122:123]
	v_add_f64_e32 v[8:9], v[8:9], v[124:125]
	v_fmac_f64_e32 v[118:119], v[64:65], v[78:79]
	v_fma_f64 v[122:123], v[62:63], v[78:79], -v[80:81]
	ds_load_b128 v[62:65], v2 offset:544
	ds_load_b128 v[78:81], v2 offset:560
	v_fmac_f64_e32 v[96:97], v[72:73], v[82:83]
	v_fma_f64 v[70:71], v[70:71], v[82:83], -v[84:85]
	s_wait_loadcnt_dscnt 0x900
	v_mul_f64_e32 v[82:83], v[78:79], v[92:93]
	v_mul_f64_e32 v[84:85], v[80:81], v[92:93]
	v_add_f64_e32 v[4:5], v[4:5], v[94:95]
	v_add_f64_e32 v[8:9], v[8:9], v[120:121]
	v_mul_f64_e32 v[94:95], v[62:63], v[88:89]
	v_mul_f64_e32 v[88:89], v[64:65], v[88:89]
	v_fmac_f64_e32 v[82:83], v[80:81], v[90:91]
	v_fma_f64 v[78:79], v[78:79], v[90:91], -v[84:85]
	v_add_f64_e32 v[4:5], v[4:5], v[122:123]
	v_add_f64_e32 v[8:9], v[8:9], v[118:119]
	v_fmac_f64_e32 v[94:95], v[64:65], v[86:87]
	v_fma_f64 v[86:87], v[62:63], v[86:87], -v[88:89]
	s_delay_alu instid0(VALU_DEP_4) | instskip(NEXT) | instid1(VALU_DEP_4)
	v_add_f64_e32 v[4:5], v[4:5], v[70:71]
	v_add_f64_e32 v[8:9], v[8:9], v[96:97]
	ds_load_b128 v[62:65], v2 offset:576
	ds_load_b128 v[70:73], v2 offset:592
	s_wait_loadcnt_dscnt 0x801
	v_mul_f64_e32 v[88:89], v[62:63], v[100:101]
	v_mul_f64_e32 v[92:93], v[64:65], v[100:101]
	v_add_f64_e32 v[4:5], v[4:5], v[86:87]
	v_add_f64_e32 v[8:9], v[8:9], v[94:95]
	s_wait_loadcnt_dscnt 0x600
	v_mul_f64_e32 v[84:85], v[70:71], v[12:13]
	v_mul_f64_e32 v[12:13], v[72:73], v[12:13]
	v_fmac_f64_e32 v[88:89], v[64:65], v[98:99]
	v_fma_f64 v[86:87], v[62:63], v[98:99], -v[92:93]
	v_add_f64_e32 v[4:5], v[4:5], v[78:79]
	v_add_f64_e32 v[8:9], v[8:9], v[82:83]
	ds_load_b128 v[62:65], v2 offset:608
	ds_load_b128 v[78:81], v2 offset:624
	v_fmac_f64_e32 v[84:85], v[72:73], v[10:11]
	v_fma_f64 v[10:11], v[70:71], v[10:11], -v[12:13]
	s_wait_loadcnt_dscnt 0x501
	v_mul_f64_e32 v[82:83], v[62:63], v[116:117]
	v_mul_f64_e32 v[90:91], v[64:65], v[116:117]
	s_wait_loadcnt_dscnt 0x400
	v_mul_f64_e32 v[12:13], v[78:79], v[60:61]
	v_mul_f64_e32 v[70:71], v[80:81], v[60:61]
	v_add_f64_e32 v[4:5], v[4:5], v[86:87]
	v_add_f64_e32 v[8:9], v[8:9], v[88:89]
	v_fmac_f64_e32 v[82:83], v[64:65], v[114:115]
	v_fma_f64 v[64:65], v[62:63], v[114:115], -v[90:91]
	v_fmac_f64_e32 v[12:13], v[80:81], v[58:59]
	v_fma_f64 v[58:59], v[78:79], v[58:59], -v[70:71]
	v_add_f64_e32 v[4:5], v[4:5], v[10:11]
	v_add_f64_e32 v[72:73], v[8:9], v[84:85]
	ds_load_b128 v[8:11], v2 offset:640
	ds_load_b128 v[60:63], v2 offset:656
	s_wait_loadcnt_dscnt 0x301
	v_mul_f64_e32 v[84:85], v[8:9], v[104:105]
	v_mul_f64_e32 v[86:87], v[10:11], v[104:105]
	s_wait_loadcnt_dscnt 0x200
	v_mul_f64_e32 v[70:71], v[60:61], v[68:69]
	v_mul_f64_e32 v[68:69], v[62:63], v[68:69]
	v_add_f64_e32 v[4:5], v[4:5], v[64:65]
	v_add_f64_e32 v[64:65], v[72:73], v[82:83]
	v_fmac_f64_e32 v[84:85], v[10:11], v[102:103]
	v_fma_f64 v[72:73], v[8:9], v[102:103], -v[86:87]
	v_fmac_f64_e32 v[70:71], v[62:63], v[66:67]
	v_fma_f64 v[60:61], v[60:61], v[66:67], -v[68:69]
	v_add_f64_e32 v[58:59], v[4:5], v[58:59]
	v_add_f64_e32 v[12:13], v[64:65], v[12:13]
	ds_load_b128 v[8:11], v2 offset:672
	ds_load_b128 v[2:5], v2 offset:688
	s_wait_loadcnt_dscnt 0x101
	v_mul_f64_e32 v[64:65], v[8:9], v[112:113]
	v_mul_f64_e32 v[78:79], v[10:11], v[112:113]
	s_wait_loadcnt_dscnt 0x0
	v_mul_f64_e32 v[62:63], v[2:3], v[76:77]
	v_mul_f64_e32 v[66:67], v[4:5], v[76:77]
	v_add_f64_e32 v[58:59], v[58:59], v[72:73]
	v_add_f64_e32 v[12:13], v[12:13], v[84:85]
	v_fmac_f64_e32 v[64:65], v[10:11], v[110:111]
	v_fma_f64 v[8:9], v[8:9], v[110:111], -v[78:79]
	v_fmac_f64_e32 v[62:63], v[4:5], v[74:75]
	v_fma_f64 v[2:3], v[2:3], v[74:75], -v[66:67]
	v_add_f64_e32 v[10:11], v[58:59], v[60:61]
	v_add_f64_e32 v[12:13], v[12:13], v[70:71]
	s_delay_alu instid0(VALU_DEP_2) | instskip(NEXT) | instid1(VALU_DEP_2)
	v_add_f64_e32 v[4:5], v[10:11], v[8:9]
	v_add_f64_e32 v[8:9], v[12:13], v[64:65]
	s_delay_alu instid0(VALU_DEP_2) | instskip(NEXT) | instid1(VALU_DEP_2)
	;; [unrolled: 3-line block ×3, first 2 shown]
	v_add_f64_e64 v[2:3], v[106:107], -v[2:3]
	v_add_f64_e64 v[4:5], v[108:109], -v[4:5]
	scratch_store_b128 off, v[2:5], off offset:48
	s_wait_xcnt 0x0
	v_cmpx_lt_u32_e32 2, v1
	s_cbranch_execz .LBB85_141
; %bb.140:
	scratch_load_b128 v[2:5], off, s31
	v_mov_b32_e32 v8, 0
	s_delay_alu instid0(VALU_DEP_1)
	v_dual_mov_b32 v9, v8 :: v_dual_mov_b32 v10, v8
	v_mov_b32_e32 v11, v8
	scratch_store_b128 off, v[8:11], off offset:32
	s_wait_loadcnt 0x0
	ds_store_b128 v6, v[2:5]
.LBB85_141:
	s_wait_xcnt 0x0
	s_or_b32 exec_lo, exec_lo, s2
	s_wait_storecnt_dscnt 0x0
	s_barrier_signal -1
	s_barrier_wait -1
	s_clause 0x9
	scratch_load_b128 v[8:11], off, off offset:48
	scratch_load_b128 v[58:61], off, off offset:64
	;; [unrolled: 1-line block ×10, first 2 shown]
	v_mov_b32_e32 v2, 0
	s_mov_b32 s2, exec_lo
	v_dual_ashrrev_i32 v21, 31, v20 :: v_dual_ashrrev_i32 v19, 31, v18
	v_ashrrev_i32_e32 v23, 31, v22
	ds_load_b128 v[94:97], v2 offset:400
	s_clause 0x2
	scratch_load_b128 v[98:101], off, off offset:208
	scratch_load_b128 v[102:105], off, off offset:32
	;; [unrolled: 1-line block ×3, first 2 shown]
	v_ashrrev_i32_e32 v27, 31, v26
	v_ashrrev_i32_e32 v31, 31, v30
	v_dual_ashrrev_i32 v35, 31, v34 :: v_dual_ashrrev_i32 v25, 31, v24
	v_dual_ashrrev_i32 v29, 31, v28 :: v_dual_ashrrev_i32 v39, 31, v38
	;; [unrolled: 1-line block ×4, first 2 shown]
	v_ashrrev_i32_e32 v51, 31, v50
	v_dual_ashrrev_i32 v55, 31, v54 :: v_dual_ashrrev_i32 v41, 31, v40
	v_ashrrev_i32_e32 v45, 31, v44
	v_ashrrev_i32_e32 v49, 31, v48
	;; [unrolled: 1-line block ×3, first 2 shown]
	s_wait_loadcnt_dscnt 0xc00
	v_dual_mul_f64 v[4:5], v[96:97], v[10:11] :: v_dual_ashrrev_i32 v57, 31, v56
	v_mul_f64_e32 v[118:119], v[94:95], v[10:11]
	ds_load_b128 v[106:109], v2 offset:416
	scratch_load_b128 v[10:13], off, off offset:224
	ds_load_b128 v[114:117], v2 offset:448
	v_fma_f64 v[4:5], v[94:95], v[8:9], -v[4:5]
	v_fmac_f64_e32 v[118:119], v[96:97], v[8:9]
	ds_load_b128 v[94:97], v2 offset:432
	s_wait_loadcnt_dscnt 0xc02
	v_mul_f64_e32 v[120:121], v[106:107], v[60:61]
	v_mul_f64_e32 v[60:61], v[108:109], v[60:61]
	s_wait_loadcnt_dscnt 0xb00
	v_mul_f64_e32 v[8:9], v[94:95], v[64:65]
	v_mul_f64_e32 v[64:65], v[96:97], v[64:65]
	v_add_f64_e32 v[4:5], 0, v[4:5]
	v_fmac_f64_e32 v[120:121], v[108:109], v[58:59]
	v_fma_f64 v[106:107], v[106:107], v[58:59], -v[60:61]
	v_add_f64_e32 v[108:109], 0, v[118:119]
	scratch_load_b128 v[58:61], off, off offset:256
	v_fmac_f64_e32 v[8:9], v[96:97], v[62:63]
	v_fma_f64 v[122:123], v[94:95], v[62:63], -v[64:65]
	ds_load_b128 v[62:65], v2 offset:464
	s_wait_loadcnt 0xb
	v_mul_f64_e32 v[118:119], v[114:115], v[68:69]
	v_mul_f64_e32 v[68:69], v[116:117], v[68:69]
	scratch_load_b128 v[94:97], off, off offset:272
	v_add_f64_e32 v[4:5], v[4:5], v[106:107]
	v_add_f64_e32 v[120:121], v[108:109], v[120:121]
	ds_load_b128 v[106:109], v2 offset:480
	s_wait_loadcnt_dscnt 0xb01
	v_mul_f64_e32 v[124:125], v[62:63], v[72:73]
	v_mul_f64_e32 v[72:73], v[64:65], v[72:73]
	v_fmac_f64_e32 v[118:119], v[116:117], v[66:67]
	v_fma_f64 v[114:115], v[114:115], v[66:67], -v[68:69]
	scratch_load_b128 v[66:69], off, off offset:288
	v_add_f64_e32 v[4:5], v[4:5], v[122:123]
	v_add_f64_e32 v[8:9], v[120:121], v[8:9]
	v_fmac_f64_e32 v[124:125], v[64:65], v[70:71]
	v_fma_f64 v[122:123], v[62:63], v[70:71], -v[72:73]
	ds_load_b128 v[62:65], v2 offset:496
	s_wait_loadcnt_dscnt 0xb01
	v_mul_f64_e32 v[120:121], v[106:107], v[76:77]
	v_mul_f64_e32 v[76:77], v[108:109], v[76:77]
	scratch_load_b128 v[70:73], off, off offset:304
	v_add_f64_e32 v[4:5], v[4:5], v[114:115]
	v_add_f64_e32 v[8:9], v[8:9], v[118:119]
	s_wait_loadcnt_dscnt 0xb00
	v_mul_f64_e32 v[118:119], v[62:63], v[80:81]
	v_mul_f64_e32 v[80:81], v[64:65], v[80:81]
	ds_load_b128 v[114:117], v2 offset:512
	v_fmac_f64_e32 v[120:121], v[108:109], v[74:75]
	v_fma_f64 v[106:107], v[106:107], v[74:75], -v[76:77]
	scratch_load_b128 v[74:77], off, off offset:320
	v_add_f64_e32 v[4:5], v[4:5], v[122:123]
	v_add_f64_e32 v[8:9], v[8:9], v[124:125]
	v_fmac_f64_e32 v[118:119], v[64:65], v[78:79]
	v_fma_f64 v[124:125], v[62:63], v[78:79], -v[80:81]
	ds_load_b128 v[62:65], v2 offset:528
	s_wait_loadcnt_dscnt 0xb01
	v_mul_f64_e32 v[122:123], v[114:115], v[84:85]
	v_mul_f64_e32 v[84:85], v[116:117], v[84:85]
	scratch_load_b128 v[78:81], off, off offset:336
	v_add_f64_e32 v[4:5], v[4:5], v[106:107]
	v_add_f64_e32 v[8:9], v[8:9], v[120:121]
	s_wait_loadcnt_dscnt 0xb00
	v_mul_f64_e32 v[120:121], v[62:63], v[88:89]
	ds_load_b128 v[106:109], v2 offset:544
	v_fmac_f64_e32 v[122:123], v[116:117], v[82:83]
	v_fma_f64 v[82:83], v[114:115], v[82:83], -v[84:85]
	v_mul_f64_e32 v[84:85], v[64:65], v[88:89]
	s_wait_loadcnt_dscnt 0xa00
	v_mul_f64_e32 v[88:89], v[106:107], v[92:93]
	v_mul_f64_e32 v[92:93], v[108:109], v[92:93]
	v_add_f64_e32 v[4:5], v[4:5], v[124:125]
	v_add_f64_e32 v[8:9], v[8:9], v[118:119]
	v_fmac_f64_e32 v[120:121], v[64:65], v[86:87]
	v_fma_f64 v[86:87], v[62:63], v[86:87], -v[84:85]
	v_fmac_f64_e32 v[88:89], v[108:109], v[90:91]
	v_fma_f64 v[90:91], v[106:107], v[90:91], -v[92:93]
	v_add_f64_e32 v[4:5], v[4:5], v[82:83]
	v_add_f64_e32 v[8:9], v[8:9], v[122:123]
	ds_load_b128 v[62:65], v2 offset:560
	ds_load_b128 v[82:85], v2 offset:576
	s_wait_loadcnt_dscnt 0x901
	v_mul_f64_e32 v[114:115], v[62:63], v[100:101]
	v_mul_f64_e32 v[100:101], v[64:65], v[100:101]
	s_wait_loadcnt_dscnt 0x600
	v_mul_f64_e32 v[92:93], v[82:83], v[12:13]
	v_add_f64_e32 v[4:5], v[4:5], v[86:87]
	v_add_f64_e32 v[8:9], v[8:9], v[120:121]
	v_mul_f64_e32 v[12:13], v[84:85], v[12:13]
	v_fmac_f64_e32 v[114:115], v[64:65], v[98:99]
	v_fma_f64 v[98:99], v[62:63], v[98:99], -v[100:101]
	v_fmac_f64_e32 v[92:93], v[84:85], v[10:11]
	v_add_f64_e32 v[4:5], v[4:5], v[90:91]
	v_add_f64_e32 v[8:9], v[8:9], v[88:89]
	ds_load_b128 v[62:65], v2 offset:592
	ds_load_b128 v[86:89], v2 offset:608
	v_fma_f64 v[10:11], v[82:83], v[10:11], -v[12:13]
	s_wait_dscnt 0x1
	v_mul_f64_e32 v[90:91], v[62:63], v[112:113]
	v_mul_f64_e32 v[100:101], v[64:65], v[112:113]
	v_add_f64_e32 v[4:5], v[4:5], v[98:99]
	v_add_f64_e32 v[8:9], v[8:9], v[114:115]
	s_wait_loadcnt_dscnt 0x500
	v_mul_f64_e32 v[12:13], v[86:87], v[60:61]
	v_mul_f64_e32 v[82:83], v[88:89], v[60:61]
	v_fmac_f64_e32 v[90:91], v[64:65], v[110:111]
	v_fma_f64 v[64:65], v[62:63], v[110:111], -v[100:101]
	v_add_f64_e32 v[4:5], v[4:5], v[10:11]
	v_add_f64_e32 v[84:85], v[8:9], v[92:93]
	ds_load_b128 v[8:11], v2 offset:624
	ds_load_b128 v[60:63], v2 offset:640
	v_fmac_f64_e32 v[12:13], v[88:89], v[58:59]
	v_fma_f64 v[58:59], v[86:87], v[58:59], -v[82:83]
	s_wait_loadcnt_dscnt 0x401
	v_mul_f64_e32 v[92:93], v[8:9], v[96:97]
	v_mul_f64_e32 v[96:97], v[10:11], v[96:97]
	s_wait_loadcnt_dscnt 0x300
	v_mul_f64_e32 v[86:87], v[60:61], v[68:69]
	v_mul_f64_e32 v[68:69], v[62:63], v[68:69]
	v_add_f64_e32 v[4:5], v[4:5], v[64:65]
	v_add_f64_e32 v[64:65], v[84:85], v[90:91]
	v_fmac_f64_e32 v[92:93], v[10:11], v[94:95]
	v_fma_f64 v[88:89], v[8:9], v[94:95], -v[96:97]
	ds_load_b128 v[8:11], v2 offset:656
	ds_load_b128 v[82:85], v2 offset:672
	v_fmac_f64_e32 v[86:87], v[62:63], v[66:67]
	v_fma_f64 v[60:61], v[60:61], v[66:67], -v[68:69]
	v_add_f64_e32 v[4:5], v[4:5], v[58:59]
	v_add_f64_e32 v[12:13], v[64:65], v[12:13]
	s_wait_loadcnt_dscnt 0x201
	v_mul_f64_e32 v[58:59], v[8:9], v[72:73]
	v_mul_f64_e32 v[64:65], v[10:11], v[72:73]
	s_wait_loadcnt_dscnt 0x100
	v_mul_f64_e32 v[62:63], v[82:83], v[76:77]
	v_mul_f64_e32 v[66:67], v[84:85], v[76:77]
	v_add_f64_e32 v[4:5], v[4:5], v[88:89]
	v_add_f64_e32 v[12:13], v[12:13], v[92:93]
	v_fmac_f64_e32 v[58:59], v[10:11], v[70:71]
	v_fma_f64 v[64:65], v[8:9], v[70:71], -v[64:65]
	ds_load_b128 v[8:11], v2 offset:688
	v_fmac_f64_e32 v[62:63], v[84:85], v[74:75]
	v_fma_f64 v[66:67], v[82:83], v[74:75], -v[66:67]
	s_wait_loadcnt_dscnt 0x0
	v_mul_f64_e32 v[68:69], v[10:11], v[80:81]
	v_add_f64_e32 v[4:5], v[4:5], v[60:61]
	v_add_f64_e32 v[12:13], v[12:13], v[86:87]
	v_mul_f64_e32 v[60:61], v[8:9], v[80:81]
	s_delay_alu instid0(VALU_DEP_4) | instskip(NEXT) | instid1(VALU_DEP_4)
	v_fma_f64 v[8:9], v[8:9], v[78:79], -v[68:69]
	v_add_f64_e32 v[4:5], v[4:5], v[64:65]
	s_delay_alu instid0(VALU_DEP_4) | instskip(NEXT) | instid1(VALU_DEP_4)
	v_add_f64_e32 v[12:13], v[12:13], v[58:59]
	v_fmac_f64_e32 v[60:61], v[10:11], v[78:79]
	s_delay_alu instid0(VALU_DEP_3) | instskip(NEXT) | instid1(VALU_DEP_3)
	v_add_f64_e32 v[4:5], v[4:5], v[66:67]
	v_add_f64_e32 v[10:11], v[12:13], v[62:63]
	s_delay_alu instid0(VALU_DEP_2) | instskip(NEXT) | instid1(VALU_DEP_2)
	v_add_f64_e32 v[4:5], v[4:5], v[8:9]
	v_add_f64_e32 v[10:11], v[10:11], v[60:61]
	s_delay_alu instid0(VALU_DEP_2) | instskip(NEXT) | instid1(VALU_DEP_2)
	v_add_f64_e64 v[8:9], v[102:103], -v[4:5]
	v_add_f64_e64 v[10:11], v[104:105], -v[10:11]
	scratch_store_b128 off, v[8:11], off offset:32
	s_wait_xcnt 0x0
	v_cmpx_lt_u32_e32 1, v1
	s_cbranch_execz .LBB85_143
; %bb.142:
	scratch_load_b128 v[8:11], off, s33
	v_dual_mov_b32 v3, v2 :: v_dual_mov_b32 v4, v2
	v_mov_b32_e32 v5, v2
	scratch_store_b128 off, v[2:5], off offset:16
	s_wait_loadcnt 0x0
	ds_store_b128 v6, v[8:11]
.LBB85_143:
	s_wait_xcnt 0x0
	s_or_b32 exec_lo, exec_lo, s2
	s_wait_storecnt_dscnt 0x0
	s_barrier_signal -1
	s_barrier_wait -1
	s_clause 0x9
	scratch_load_b128 v[8:11], off, off offset:32
	scratch_load_b128 v[58:61], off, off offset:48
	;; [unrolled: 1-line block ×10, first 2 shown]
	ds_load_b128 v[94:97], v2 offset:384
	s_clause 0x2
	scratch_load_b128 v[98:101], off, off offset:192
	scratch_load_b128 v[106:109], off, off offset:224
	;; [unrolled: 1-line block ×3, first 2 shown]
	s_mov_b32 s2, exec_lo
	s_wait_loadcnt_dscnt 0xc00
	v_mul_f64_e32 v[4:5], v[96:97], v[10:11]
	v_mul_f64_e32 v[110:111], v[94:95], v[10:11]
	ds_load_b128 v[10:13], v2 offset:400
	v_fma_f64 v[4:5], v[94:95], v[8:9], -v[4:5]
	v_fmac_f64_e32 v[110:111], v[96:97], v[8:9]
	ds_load_b128 v[94:97], v2 offset:416
	s_wait_loadcnt_dscnt 0xb01
	v_mul_f64_e32 v[112:113], v[10:11], v[60:61]
	v_mul_f64_e32 v[60:61], v[12:13], v[60:61]
	s_wait_loadcnt_dscnt 0xa00
	v_mul_f64_e32 v[114:115], v[94:95], v[64:65]
	v_mul_f64_e32 v[64:65], v[96:97], v[64:65]
	v_add_f64_e32 v[4:5], 0, v[4:5]
	v_add_f64_e32 v[110:111], 0, v[110:111]
	v_fmac_f64_e32 v[112:113], v[12:13], v[58:59]
	v_fma_f64 v[12:13], v[10:11], v[58:59], -v[60:61]
	ds_load_b128 v[8:11], v2 offset:432
	scratch_load_b128 v[58:61], off, off offset:240
	v_fmac_f64_e32 v[114:115], v[96:97], v[62:63]
	v_fma_f64 v[118:119], v[94:95], v[62:63], -v[64:65]
	ds_load_b128 v[62:65], v2 offset:448
	s_wait_loadcnt_dscnt 0xa01
	v_mul_f64_e32 v[116:117], v[8:9], v[68:69]
	v_mul_f64_e32 v[68:69], v[10:11], v[68:69]
	scratch_load_b128 v[94:97], off, off offset:256
	v_add_f64_e32 v[4:5], v[4:5], v[12:13]
	v_add_f64_e32 v[12:13], v[110:111], v[112:113]
	s_wait_loadcnt_dscnt 0xa00
	v_mul_f64_e32 v[110:111], v[62:63], v[72:73]
	v_mul_f64_e32 v[72:73], v[64:65], v[72:73]
	v_fmac_f64_e32 v[116:117], v[10:11], v[66:67]
	v_fma_f64 v[112:113], v[8:9], v[66:67], -v[68:69]
	ds_load_b128 v[8:11], v2 offset:464
	scratch_load_b128 v[66:69], off, off offset:272
	v_add_f64_e32 v[4:5], v[4:5], v[118:119]
	v_add_f64_e32 v[12:13], v[12:13], v[114:115]
	v_fmac_f64_e32 v[110:111], v[64:65], v[70:71]
	v_fma_f64 v[118:119], v[62:63], v[70:71], -v[72:73]
	ds_load_b128 v[62:65], v2 offset:480
	s_wait_loadcnt_dscnt 0xa01
	v_mul_f64_e32 v[114:115], v[8:9], v[76:77]
	v_mul_f64_e32 v[76:77], v[10:11], v[76:77]
	scratch_load_b128 v[70:73], off, off offset:288
	v_add_f64_e32 v[4:5], v[4:5], v[112:113]
	v_add_f64_e32 v[12:13], v[12:13], v[116:117]
	s_wait_loadcnt_dscnt 0xa00
	v_mul_f64_e32 v[112:113], v[62:63], v[80:81]
	v_mul_f64_e32 v[80:81], v[64:65], v[80:81]
	v_fmac_f64_e32 v[114:115], v[10:11], v[74:75]
	v_fma_f64 v[116:117], v[8:9], v[74:75], -v[76:77]
	ds_load_b128 v[8:11], v2 offset:496
	scratch_load_b128 v[74:77], off, off offset:304
	v_add_f64_e32 v[4:5], v[4:5], v[118:119]
	v_add_f64_e32 v[12:13], v[12:13], v[110:111]
	;; [unrolled: 18-line block ×3, first 2 shown]
	v_fmac_f64_e32 v[114:115], v[64:65], v[86:87]
	v_fma_f64 v[86:87], v[62:63], v[86:87], -v[88:89]
	ds_load_b128 v[62:65], v2 offset:544
	s_wait_loadcnt_dscnt 0xa01
	v_mul_f64_e32 v[112:113], v[8:9], v[92:93]
	v_mul_f64_e32 v[92:93], v[10:11], v[92:93]
	s_wait_loadcnt_dscnt 0x900
	v_mul_f64_e32 v[88:89], v[64:65], v[100:101]
	v_add_f64_e32 v[4:5], v[4:5], v[116:117]
	v_add_f64_e32 v[12:13], v[12:13], v[110:111]
	v_mul_f64_e32 v[110:111], v[62:63], v[100:101]
	v_fmac_f64_e32 v[112:113], v[10:11], v[90:91]
	v_fma_f64 v[90:91], v[8:9], v[90:91], -v[92:93]
	ds_load_b128 v[8:11], v2 offset:560
	v_add_f64_e32 v[4:5], v[4:5], v[86:87]
	v_add_f64_e32 v[12:13], v[12:13], v[114:115]
	v_fmac_f64_e32 v[110:111], v[64:65], v[98:99]
	v_fma_f64 v[98:99], v[62:63], v[98:99], -v[88:89]
	ds_load_b128 v[62:65], v2 offset:576
	scratch_load_b128 v[86:89], off, off offset:16
	s_wait_loadcnt_dscnt 0x801
	v_mul_f64_e32 v[92:93], v[8:9], v[104:105]
	v_mul_f64_e32 v[100:101], v[10:11], v[104:105]
	s_wait_dscnt 0x0
	v_mul_f64_e32 v[104:105], v[64:65], v[108:109]
	v_add_f64_e32 v[4:5], v[4:5], v[90:91]
	v_add_f64_e32 v[12:13], v[12:13], v[112:113]
	v_mul_f64_e32 v[90:91], v[62:63], v[108:109]
	v_fmac_f64_e32 v[92:93], v[10:11], v[102:103]
	v_fma_f64 v[100:101], v[8:9], v[102:103], -v[100:101]
	ds_load_b128 v[8:11], v2 offset:592
	v_add_f64_e32 v[4:5], v[4:5], v[98:99]
	v_add_f64_e32 v[12:13], v[12:13], v[110:111]
	s_wait_loadcnt_dscnt 0x700
	v_mul_f64_e32 v[98:99], v[8:9], v[60:61]
	v_mul_f64_e32 v[102:103], v[10:11], v[60:61]
	v_fmac_f64_e32 v[90:91], v[64:65], v[106:107]
	v_fma_f64 v[64:65], v[62:63], v[106:107], -v[104:105]
	ds_load_b128 v[60:63], v2 offset:608
	v_add_f64_e32 v[4:5], v[4:5], v[100:101]
	v_add_f64_e32 v[12:13], v[12:13], v[92:93]
	v_fmac_f64_e32 v[98:99], v[10:11], v[58:59]
	v_fma_f64 v[58:59], v[8:9], v[58:59], -v[102:103]
	ds_load_b128 v[8:11], v2 offset:624
	s_wait_loadcnt_dscnt 0x601
	v_mul_f64_e32 v[92:93], v[60:61], v[96:97]
	v_mul_f64_e32 v[96:97], v[62:63], v[96:97]
	v_add_f64_e32 v[4:5], v[4:5], v[64:65]
	v_add_f64_e32 v[12:13], v[12:13], v[90:91]
	s_wait_loadcnt_dscnt 0x500
	v_mul_f64_e32 v[64:65], v[8:9], v[68:69]
	v_mul_f64_e32 v[68:69], v[10:11], v[68:69]
	v_fmac_f64_e32 v[92:93], v[62:63], v[94:95]
	v_fma_f64 v[62:63], v[60:61], v[94:95], -v[96:97]
	v_add_f64_e32 v[4:5], v[4:5], v[58:59]
	v_add_f64_e32 v[12:13], v[12:13], v[98:99]
	ds_load_b128 v[58:61], v2 offset:640
	v_fmac_f64_e32 v[64:65], v[10:11], v[66:67]
	v_fma_f64 v[66:67], v[8:9], v[66:67], -v[68:69]
	ds_load_b128 v[8:11], v2 offset:656
	s_wait_loadcnt_dscnt 0x401
	v_mul_f64_e32 v[90:91], v[58:59], v[72:73]
	v_mul_f64_e32 v[72:73], v[60:61], v[72:73]
	s_wait_loadcnt_dscnt 0x300
	v_mul_f64_e32 v[68:69], v[10:11], v[76:77]
	v_add_f64_e32 v[4:5], v[4:5], v[62:63]
	v_add_f64_e32 v[12:13], v[12:13], v[92:93]
	v_mul_f64_e32 v[62:63], v[8:9], v[76:77]
	v_fmac_f64_e32 v[90:91], v[60:61], v[70:71]
	v_fma_f64 v[70:71], v[58:59], v[70:71], -v[72:73]
	ds_load_b128 v[58:61], v2 offset:672
	v_fma_f64 v[8:9], v[8:9], v[74:75], -v[68:69]
	v_add_f64_e32 v[4:5], v[4:5], v[66:67]
	v_add_f64_e32 v[12:13], v[12:13], v[64:65]
	v_fmac_f64_e32 v[62:63], v[10:11], v[74:75]
	s_wait_loadcnt_dscnt 0x200
	v_mul_f64_e32 v[64:65], v[58:59], v[80:81]
	v_mul_f64_e32 v[66:67], v[60:61], v[80:81]
	v_add_f64_e32 v[10:11], v[4:5], v[70:71]
	v_add_f64_e32 v[12:13], v[12:13], v[90:91]
	ds_load_b128 v[2:5], v2 offset:688
	v_fmac_f64_e32 v[64:65], v[60:61], v[78:79]
	v_fma_f64 v[58:59], v[58:59], v[78:79], -v[66:67]
	s_wait_loadcnt_dscnt 0x100
	v_mul_f64_e32 v[68:69], v[2:3], v[84:85]
	v_mul_f64_e32 v[70:71], v[4:5], v[84:85]
	v_add_f64_e32 v[8:9], v[10:11], v[8:9]
	v_add_f64_e32 v[10:11], v[12:13], v[62:63]
	s_delay_alu instid0(VALU_DEP_4) | instskip(NEXT) | instid1(VALU_DEP_4)
	v_fmac_f64_e32 v[68:69], v[4:5], v[82:83]
	v_fma_f64 v[2:3], v[2:3], v[82:83], -v[70:71]
	s_delay_alu instid0(VALU_DEP_4) | instskip(NEXT) | instid1(VALU_DEP_4)
	v_add_f64_e32 v[4:5], v[8:9], v[58:59]
	v_add_f64_e32 v[8:9], v[10:11], v[64:65]
	s_delay_alu instid0(VALU_DEP_2) | instskip(NEXT) | instid1(VALU_DEP_2)
	v_add_f64_e32 v[2:3], v[4:5], v[2:3]
	v_add_f64_e32 v[4:5], v[8:9], v[68:69]
	s_wait_loadcnt 0x0
	s_delay_alu instid0(VALU_DEP_2) | instskip(NEXT) | instid1(VALU_DEP_2)
	v_add_f64_e64 v[2:3], v[86:87], -v[2:3]
	v_add_f64_e64 v[4:5], v[88:89], -v[4:5]
	scratch_store_b128 off, v[2:5], off offset:16
	s_wait_xcnt 0x0
	v_cmpx_ne_u32_e32 0, v1
	s_cbranch_execz .LBB85_145
; %bb.144:
	scratch_load_b128 v[2:5], off, off
	v_mov_b32_e32 v8, 0
	s_delay_alu instid0(VALU_DEP_1)
	v_dual_mov_b32 v9, v8 :: v_dual_mov_b32 v10, v8
	v_mov_b32_e32 v11, v8
	scratch_store_b128 off, v[8:11], off
	s_wait_loadcnt 0x0
	ds_store_b128 v6, v[2:5]
.LBB85_145:
	s_wait_xcnt 0x0
	s_or_b32 exec_lo, exec_lo, s2
	s_wait_storecnt_dscnt 0x0
	s_barrier_signal -1
	s_barrier_wait -1
	s_clause 0x9
	scratch_load_b128 v[2:5], off, off offset:16
	scratch_load_b128 v[6:9], off, off offset:32
	;; [unrolled: 1-line block ×10, first 2 shown]
	v_mov_b32_e32 v72, 0
	s_and_b32 vcc_lo, exec_lo, s34
	ds_load_b128 v[90:93], v72 offset:368
	s_clause 0x2
	scratch_load_b128 v[94:97], off, off offset:176
	scratch_load_b128 v[98:101], off, off
	scratch_load_b128 v[106:109], off, off offset:192
	s_wait_loadcnt_dscnt 0xc00
	v_mul_f64_e32 v[70:71], v[92:93], v[4:5]
	v_mul_f64_e32 v[114:115], v[90:91], v[4:5]
	ds_load_b128 v[102:105], v72 offset:384
	ds_load_b128 v[110:113], v72 offset:416
	v_fma_f64 v[70:71], v[90:91], v[2:3], -v[70:71]
	v_fmac_f64_e32 v[114:115], v[92:93], v[2:3]
	ds_load_b128 v[2:5], v72 offset:400
	s_wait_loadcnt_dscnt 0xb02
	v_mul_f64_e32 v[116:117], v[102:103], v[8:9]
	v_mul_f64_e32 v[8:9], v[104:105], v[8:9]
	scratch_load_b128 v[90:93], off, off offset:208
	s_wait_loadcnt_dscnt 0xb00
	v_mul_f64_e32 v[118:119], v[2:3], v[12:13]
	v_mul_f64_e32 v[12:13], v[4:5], v[12:13]
	v_add_f64_e32 v[70:71], 0, v[70:71]
	v_fmac_f64_e32 v[116:117], v[104:105], v[6:7]
	v_fma_f64 v[102:103], v[102:103], v[6:7], -v[8:9]
	v_add_f64_e32 v[104:105], 0, v[114:115]
	scratch_load_b128 v[6:9], off, off offset:224
	v_fmac_f64_e32 v[118:119], v[4:5], v[10:11]
	v_fma_f64 v[120:121], v[2:3], v[10:11], -v[12:13]
	ds_load_b128 v[2:5], v72 offset:432
	s_wait_loadcnt 0xb
	v_mul_f64_e32 v[114:115], v[110:111], v[60:61]
	v_mul_f64_e32 v[60:61], v[112:113], v[60:61]
	scratch_load_b128 v[10:13], off, off offset:240
	v_add_f64_e32 v[70:71], v[70:71], v[102:103]
	v_add_f64_e32 v[116:117], v[104:105], v[116:117]
	ds_load_b128 v[102:105], v72 offset:448
	s_wait_loadcnt_dscnt 0xb01
	v_mul_f64_e32 v[122:123], v[2:3], v[64:65]
	v_mul_f64_e32 v[64:65], v[4:5], v[64:65]
	v_fmac_f64_e32 v[114:115], v[112:113], v[58:59]
	v_fma_f64 v[110:111], v[110:111], v[58:59], -v[60:61]
	scratch_load_b128 v[58:61], off, off offset:256
	v_add_f64_e32 v[70:71], v[70:71], v[120:121]
	v_add_f64_e32 v[112:113], v[116:117], v[118:119]
	v_fmac_f64_e32 v[122:123], v[4:5], v[62:63]
	v_fma_f64 v[120:121], v[2:3], v[62:63], -v[64:65]
	ds_load_b128 v[2:5], v72 offset:464
	s_wait_loadcnt_dscnt 0xb01
	v_mul_f64_e32 v[116:117], v[102:103], v[68:69]
	v_mul_f64_e32 v[118:119], v[104:105], v[68:69]
	scratch_load_b128 v[62:65], off, off offset:272
	v_add_f64_e32 v[110:111], v[70:71], v[110:111]
	v_add_f64_e32 v[112:113], v[112:113], v[114:115]
	s_wait_loadcnt_dscnt 0xb00
	v_mul_f64_e32 v[114:115], v[2:3], v[76:77]
	v_mul_f64_e32 v[76:77], v[4:5], v[76:77]
	ds_load_b128 v[68:71], v72 offset:480
	v_fmac_f64_e32 v[116:117], v[104:105], v[66:67]
	v_fma_f64 v[66:67], v[102:103], v[66:67], -v[118:119]
	scratch_load_b128 v[102:105], off, off offset:288
	v_add_f64_e32 v[110:111], v[110:111], v[120:121]
	v_add_f64_e32 v[112:113], v[112:113], v[122:123]
	v_fmac_f64_e32 v[114:115], v[4:5], v[74:75]
	v_fma_f64 v[120:121], v[2:3], v[74:75], -v[76:77]
	ds_load_b128 v[2:5], v72 offset:496
	s_wait_loadcnt_dscnt 0xb01
	v_mul_f64_e32 v[118:119], v[68:69], v[80:81]
	v_mul_f64_e32 v[80:81], v[70:71], v[80:81]
	scratch_load_b128 v[74:77], off, off offset:304
	s_wait_loadcnt_dscnt 0xb00
	v_mul_f64_e32 v[122:123], v[2:3], v[84:85]
	v_mul_f64_e32 v[84:85], v[4:5], v[84:85]
	v_add_f64_e32 v[66:67], v[110:111], v[66:67]
	v_add_f64_e32 v[116:117], v[112:113], v[116:117]
	ds_load_b128 v[110:113], v72 offset:512
	v_fmac_f64_e32 v[118:119], v[70:71], v[78:79]
	v_fma_f64 v[70:71], v[68:69], v[78:79], -v[80:81]
	v_fmac_f64_e32 v[122:123], v[4:5], v[82:83]
	v_add_f64_e32 v[78:79], v[66:67], v[120:121]
	v_add_f64_e32 v[80:81], v[116:117], v[114:115]
	scratch_load_b128 v[66:69], off, off offset:320
	v_fma_f64 v[116:117], v[2:3], v[82:83], -v[84:85]
	ds_load_b128 v[2:5], v72 offset:528
	s_wait_loadcnt_dscnt 0xb01
	v_mul_f64_e32 v[114:115], v[110:111], v[88:89]
	v_mul_f64_e32 v[88:89], v[112:113], v[88:89]
	ds_load_b128 v[82:85], v72 offset:544
	s_wait_loadcnt_dscnt 0xa01
	v_mul_f64_e32 v[120:121], v[2:3], v[96:97]
	v_mul_f64_e32 v[96:97], v[4:5], v[96:97]
	v_add_f64_e32 v[70:71], v[78:79], v[70:71]
	v_add_f64_e32 v[118:119], v[80:81], v[118:119]
	scratch_load_b128 v[78:81], off, off offset:336
	v_fmac_f64_e32 v[114:115], v[112:113], v[86:87]
	v_fma_f64 v[86:87], v[110:111], v[86:87], -v[88:89]
	s_wait_loadcnt_dscnt 0x900
	v_mul_f64_e32 v[110:111], v[82:83], v[108:109]
	v_mul_f64_e32 v[108:109], v[84:85], v[108:109]
	v_fmac_f64_e32 v[120:121], v[4:5], v[94:95]
	v_fma_f64 v[94:95], v[2:3], v[94:95], -v[96:97]
	v_add_f64_e32 v[70:71], v[70:71], v[116:117]
	v_add_f64_e32 v[88:89], v[118:119], v[122:123]
	v_fmac_f64_e32 v[110:111], v[84:85], v[106:107]
	v_fma_f64 v[82:83], v[82:83], v[106:107], -v[108:109]
	s_delay_alu instid0(VALU_DEP_4) | instskip(NEXT) | instid1(VALU_DEP_4)
	v_add_f64_e32 v[70:71], v[70:71], v[86:87]
	v_add_f64_e32 v[96:97], v[88:89], v[114:115]
	ds_load_b128 v[2:5], v72 offset:560
	ds_load_b128 v[86:89], v72 offset:576
	s_wait_loadcnt_dscnt 0x801
	v_mul_f64_e32 v[112:113], v[2:3], v[92:93]
	v_mul_f64_e32 v[92:93], v[4:5], v[92:93]
	v_add_f64_e32 v[70:71], v[70:71], v[94:95]
	v_add_f64_e32 v[84:85], v[96:97], v[120:121]
	s_wait_loadcnt_dscnt 0x700
	v_mul_f64_e32 v[94:95], v[86:87], v[8:9]
	v_mul_f64_e32 v[8:9], v[88:89], v[8:9]
	v_fmac_f64_e32 v[112:113], v[4:5], v[90:91]
	v_fma_f64 v[90:91], v[2:3], v[90:91], -v[92:93]
	v_add_f64_e32 v[70:71], v[70:71], v[82:83]
	v_add_f64_e32 v[92:93], v[84:85], v[110:111]
	ds_load_b128 v[2:5], v72 offset:592
	ds_load_b128 v[82:85], v72 offset:608
	v_fmac_f64_e32 v[94:95], v[88:89], v[6:7]
	v_fma_f64 v[6:7], v[86:87], v[6:7], -v[8:9]
	s_wait_loadcnt_dscnt 0x601
	v_mul_f64_e32 v[96:97], v[2:3], v[12:13]
	v_mul_f64_e32 v[12:13], v[4:5], v[12:13]
	s_wait_loadcnt_dscnt 0x500
	v_mul_f64_e32 v[86:87], v[82:83], v[60:61]
	v_mul_f64_e32 v[60:61], v[84:85], v[60:61]
	v_add_f64_e32 v[8:9], v[70:71], v[90:91]
	v_add_f64_e32 v[70:71], v[92:93], v[112:113]
	v_fmac_f64_e32 v[96:97], v[4:5], v[10:11]
	v_fma_f64 v[10:11], v[2:3], v[10:11], -v[12:13]
	v_fmac_f64_e32 v[86:87], v[84:85], v[58:59]
	v_fma_f64 v[58:59], v[82:83], v[58:59], -v[60:61]
	v_add_f64_e32 v[12:13], v[8:9], v[6:7]
	v_add_f64_e32 v[70:71], v[70:71], v[94:95]
	ds_load_b128 v[2:5], v72 offset:624
	ds_load_b128 v[6:9], v72 offset:640
	s_wait_loadcnt_dscnt 0x401
	v_mul_f64_e32 v[88:89], v[2:3], v[64:65]
	v_mul_f64_e32 v[64:65], v[4:5], v[64:65]
	s_wait_loadcnt_dscnt 0x300
	v_mul_f64_e32 v[60:61], v[6:7], v[104:105]
	v_add_f64_e32 v[10:11], v[12:13], v[10:11]
	v_add_f64_e32 v[12:13], v[70:71], v[96:97]
	v_mul_f64_e32 v[70:71], v[8:9], v[104:105]
	v_fmac_f64_e32 v[88:89], v[4:5], v[62:63]
	v_fma_f64 v[62:63], v[2:3], v[62:63], -v[64:65]
	v_fmac_f64_e32 v[60:61], v[8:9], v[102:103]
	v_add_f64_e32 v[58:59], v[10:11], v[58:59]
	v_add_f64_e32 v[64:65], v[12:13], v[86:87]
	ds_load_b128 v[2:5], v72 offset:656
	ds_load_b128 v[10:13], v72 offset:672
	v_fma_f64 v[6:7], v[6:7], v[102:103], -v[70:71]
	v_lshl_add_u64 v[70:71], v[18:19], 4, s[4:5]
	v_lshl_add_u64 v[18:19], v[44:45], 4, s[4:5]
	s_wait_loadcnt_dscnt 0x201
	v_mul_f64_e32 v[82:83], v[2:3], v[76:77]
	v_mul_f64_e32 v[76:77], v[4:5], v[76:77]
	v_add_f64_e32 v[8:9], v[58:59], v[62:63]
	v_add_f64_e32 v[58:59], v[64:65], v[88:89]
	s_wait_loadcnt_dscnt 0x100
	v_mul_f64_e32 v[62:63], v[10:11], v[68:69]
	v_mul_f64_e32 v[64:65], v[12:13], v[68:69]
	v_fmac_f64_e32 v[82:83], v[4:5], v[74:75]
	v_fma_f64 v[68:69], v[2:3], v[74:75], -v[76:77]
	ds_load_b128 v[2:5], v72 offset:688
	v_add_f64_e32 v[6:7], v[8:9], v[6:7]
	v_add_f64_e32 v[8:9], v[58:59], v[60:61]
	v_fmac_f64_e32 v[62:63], v[12:13], v[66:67]
	v_fma_f64 v[10:11], v[10:11], v[66:67], -v[64:65]
	v_lshl_add_u64 v[66:67], v[22:23], 4, s[4:5]
	v_lshl_add_u64 v[64:65], v[24:25], 4, s[4:5]
	;; [unrolled: 1-line block ×5, first 2 shown]
	s_wait_loadcnt_dscnt 0x0
	v_mul_f64_e32 v[58:59], v[2:3], v[80:81]
	v_mul_f64_e32 v[60:61], v[4:5], v[80:81]
	v_add_f64_e32 v[6:7], v[6:7], v[68:69]
	v_add_f64_e32 v[8:9], v[8:9], v[82:83]
	v_lshl_add_u64 v[68:69], v[20:21], 4, s[4:5]
	v_lshl_add_u64 v[20:21], v[42:43], 4, s[4:5]
	v_fmac_f64_e32 v[58:59], v[4:5], v[78:79]
	v_fma_f64 v[2:3], v[2:3], v[78:79], -v[60:61]
	v_lshl_add_u64 v[60:61], v[28:29], 4, s[4:5]
	v_lshl_add_u64 v[28:29], v[34:35], 4, s[4:5]
	v_add_f64_e32 v[4:5], v[6:7], v[10:11]
	v_add_f64_e32 v[6:7], v[8:9], v[62:63]
	v_lshl_add_u64 v[62:63], v[26:27], 4, s[4:5]
	v_lshl_add_u64 v[26:27], v[36:37], 4, s[4:5]
	v_lshl_add_u64 v[10:11], v[48:49], 4, s[4:5]
	v_lshl_add_u64 v[8:9], v[50:51], 4, s[4:5]
	v_add_f64_e32 v[2:3], v[4:5], v[2:3]
	v_add_f64_e32 v[4:5], v[6:7], v[58:59]
	v_lshl_add_u64 v[58:59], v[30:31], 4, s[4:5]
	v_lshl_add_u64 v[30:31], v[32:33], 4, s[4:5]
	;; [unrolled: 1-line block ×3, first 2 shown]
	v_add_f64_e64 v[74:75], v[98:99], -v[2:3]
	v_add_f64_e64 v[76:77], v[100:101], -v[4:5]
	v_lshl_add_u64 v[4:5], v[54:55], 4, s[4:5]
	v_lshl_add_u64 v[2:3], v[56:57], 4, s[4:5]
	scratch_store_b128 off, v[74:77], off
	s_cbranch_vccz .LBB85_188
; %bb.146:
	global_load_b32 v32, v72, s[8:9] offset:80
	s_load_b64 s[2:3], s[0:1], 0x4
	v_bfe_u32 v33, v0, 10, 10
	v_bfe_u32 v0, v0, 20, 10
	s_wait_kmcnt 0x0
	s_lshr_b32 s0, s2, 16
	s_delay_alu instid0(VALU_DEP_2) | instskip(SKIP_1) | instid1(SALU_CYCLE_1)
	v_mul_u32_u24_e32 v33, s3, v33
	s_mul_i32 s0, s0, s3
	v_mul_u32_u24_e32 v1, s0, v1
	s_delay_alu instid0(VALU_DEP_1) | instskip(NEXT) | instid1(VALU_DEP_1)
	v_add3_u32 v0, v1, v33, v0
	v_lshl_add_u32 v0, v0, 4, 0x2c8
	s_wait_loadcnt 0x0
	v_cmp_ne_u32_e32 vcc_lo, 21, v32
	s_cbranch_vccz .LBB85_148
; %bb.147:
	v_lshlrev_b32_e32 v1, 4, v32
	s_clause 0x1
	scratch_load_b128 v[32:35], off, s30
	scratch_load_b128 v[36:39], v1, off offset:-16
	s_wait_loadcnt 0x1
	ds_store_2addr_b64 v0, v[32:33], v[34:35] offset1:1
	s_wait_loadcnt 0x0
	s_clause 0x1
	scratch_store_b128 off, v[36:39], s30
	scratch_store_b128 v1, v[32:35], off offset:-16
.LBB85_148:
	s_wait_xcnt 0x0
	v_mov_b32_e32 v1, 0
	global_load_b32 v32, v1, s[8:9] offset:76
	s_wait_loadcnt 0x0
	v_cmp_eq_u32_e32 vcc_lo, 20, v32
	s_cbranch_vccnz .LBB85_150
; %bb.149:
	v_lshlrev_b32_e32 v32, 4, v32
	s_delay_alu instid0(VALU_DEP_1)
	v_mov_b32_e32 v40, v32
	s_clause 0x1
	scratch_load_b128 v[32:35], off, s19
	scratch_load_b128 v[36:39], v40, off offset:-16
	s_wait_loadcnt 0x1
	ds_store_2addr_b64 v0, v[32:33], v[34:35] offset1:1
	s_wait_loadcnt 0x0
	s_clause 0x1
	scratch_store_b128 off, v[36:39], s19
	scratch_store_b128 v40, v[32:35], off offset:-16
.LBB85_150:
	global_load_b32 v1, v1, s[8:9] offset:72
	s_wait_loadcnt 0x0
	v_cmp_eq_u32_e32 vcc_lo, 19, v1
	s_cbranch_vccnz .LBB85_152
; %bb.151:
	s_wait_xcnt 0x0
	v_lshlrev_b32_e32 v1, 4, v1
	s_clause 0x1
	scratch_load_b128 v[32:35], off, s29
	scratch_load_b128 v[36:39], v1, off offset:-16
	s_wait_loadcnt 0x1
	ds_store_2addr_b64 v0, v[32:33], v[34:35] offset1:1
	s_wait_loadcnt 0x0
	s_clause 0x1
	scratch_store_b128 off, v[36:39], s29
	scratch_store_b128 v1, v[32:35], off offset:-16
.LBB85_152:
	s_wait_xcnt 0x0
	v_mov_b32_e32 v1, 0
	global_load_b32 v32, v1, s[8:9] offset:68
	s_wait_loadcnt 0x0
	v_cmp_eq_u32_e32 vcc_lo, 18, v32
	s_cbranch_vccnz .LBB85_154
; %bb.153:
	v_lshlrev_b32_e32 v32, 4, v32
	s_delay_alu instid0(VALU_DEP_1)
	v_mov_b32_e32 v40, v32
	s_clause 0x1
	scratch_load_b128 v[32:35], off, s18
	scratch_load_b128 v[36:39], v40, off offset:-16
	s_wait_loadcnt 0x1
	ds_store_2addr_b64 v0, v[32:33], v[34:35] offset1:1
	s_wait_loadcnt 0x0
	s_clause 0x1
	scratch_store_b128 off, v[36:39], s18
	scratch_store_b128 v40, v[32:35], off offset:-16
.LBB85_154:
	global_load_b32 v1, v1, s[8:9] offset:64
	s_wait_loadcnt 0x0
	v_cmp_eq_u32_e32 vcc_lo, 17, v1
	s_cbranch_vccnz .LBB85_156
; %bb.155:
	s_wait_xcnt 0x0
	v_lshlrev_b32_e32 v1, 4, v1
	s_clause 0x1
	scratch_load_b128 v[32:35], off, s28
	scratch_load_b128 v[36:39], v1, off offset:-16
	s_wait_loadcnt 0x1
	ds_store_2addr_b64 v0, v[32:33], v[34:35] offset1:1
	s_wait_loadcnt 0x0
	s_clause 0x1
	scratch_store_b128 off, v[36:39], s28
	scratch_store_b128 v1, v[32:35], off offset:-16
.LBB85_156:
	;; [unrolled: 37-line block ×9, first 2 shown]
	s_wait_xcnt 0x0
	v_mov_b32_e32 v1, 0
	global_load_b32 v32, v1, s[8:9] offset:4
	s_wait_loadcnt 0x0
	v_cmp_eq_u32_e32 vcc_lo, 2, v32
	s_cbranch_vccnz .LBB85_186
; %bb.185:
	v_lshlrev_b32_e32 v32, 4, v32
	s_delay_alu instid0(VALU_DEP_1)
	v_mov_b32_e32 v40, v32
	s_clause 0x1
	scratch_load_b128 v[32:35], off, s33
	scratch_load_b128 v[36:39], v40, off offset:-16
	s_wait_loadcnt 0x1
	ds_store_2addr_b64 v0, v[32:33], v[34:35] offset1:1
	s_wait_loadcnt 0x0
	s_clause 0x1
	scratch_store_b128 off, v[36:39], s33
	scratch_store_b128 v40, v[32:35], off offset:-16
.LBB85_186:
	global_load_b32 v1, v1, s[8:9]
	s_wait_loadcnt 0x0
	v_cmp_eq_u32_e32 vcc_lo, 1, v1
	s_cbranch_vccnz .LBB85_188
; %bb.187:
	s_wait_xcnt 0x0
	v_lshlrev_b32_e32 v1, 4, v1
	scratch_load_b128 v[32:35], off, off
	scratch_load_b128 v[36:39], v1, off offset:-16
	s_wait_loadcnt 0x1
	ds_store_2addr_b64 v0, v[32:33], v[34:35] offset1:1
	s_wait_loadcnt 0x0
	scratch_store_b128 off, v[36:39], off
	scratch_store_b128 v1, v[32:35], off offset:-16
.LBB85_188:
	scratch_load_b128 v[32:35], off, off
	s_wait_loadcnt 0x0
	flat_store_b128 v[14:15], v[32:35]
	scratch_load_b128 v[32:35], off, s33
	s_wait_loadcnt 0x0
	flat_store_b128 v[16:17], v[32:35]
	scratch_load_b128 v[14:17], off, s31
	;; [unrolled: 3-line block ×21, first 2 shown]
	s_wait_loadcnt 0x0
	flat_store_b128 v[2:3], v[4:7]
	s_sendmsg sendmsg(MSG_DEALLOC_VGPRS)
	s_endpgm
	.section	.rodata,"a",@progbits
	.p2align	6, 0x0
	.amdhsa_kernel _ZN9rocsolver6v33100L18getri_kernel_smallILi22E19rocblas_complex_numIdEPKPS3_EEvT1_iilPiilS8_bb
		.amdhsa_group_segment_fixed_size 1736
		.amdhsa_private_segment_fixed_size 368
		.amdhsa_kernarg_size 60
		.amdhsa_user_sgpr_count 4
		.amdhsa_user_sgpr_dispatch_ptr 1
		.amdhsa_user_sgpr_queue_ptr 0
		.amdhsa_user_sgpr_kernarg_segment_ptr 1
		.amdhsa_user_sgpr_dispatch_id 0
		.amdhsa_user_sgpr_kernarg_preload_length 0
		.amdhsa_user_sgpr_kernarg_preload_offset 0
		.amdhsa_user_sgpr_private_segment_size 0
		.amdhsa_wavefront_size32 1
		.amdhsa_uses_dynamic_stack 0
		.amdhsa_enable_private_segment 1
		.amdhsa_system_sgpr_workgroup_id_x 1
		.amdhsa_system_sgpr_workgroup_id_y 0
		.amdhsa_system_sgpr_workgroup_id_z 0
		.amdhsa_system_sgpr_workgroup_info 0
		.amdhsa_system_vgpr_workitem_id 2
		.amdhsa_next_free_vgpr 126
		.amdhsa_next_free_sgpr 38
		.amdhsa_named_barrier_count 0
		.amdhsa_reserve_vcc 1
		.amdhsa_float_round_mode_32 0
		.amdhsa_float_round_mode_16_64 0
		.amdhsa_float_denorm_mode_32 3
		.amdhsa_float_denorm_mode_16_64 3
		.amdhsa_fp16_overflow 0
		.amdhsa_memory_ordered 1
		.amdhsa_forward_progress 1
		.amdhsa_inst_pref_size 203
		.amdhsa_round_robin_scheduling 0
		.amdhsa_exception_fp_ieee_invalid_op 0
		.amdhsa_exception_fp_denorm_src 0
		.amdhsa_exception_fp_ieee_div_zero 0
		.amdhsa_exception_fp_ieee_overflow 0
		.amdhsa_exception_fp_ieee_underflow 0
		.amdhsa_exception_fp_ieee_inexact 0
		.amdhsa_exception_int_div_zero 0
	.end_amdhsa_kernel
	.section	.text._ZN9rocsolver6v33100L18getri_kernel_smallILi22E19rocblas_complex_numIdEPKPS3_EEvT1_iilPiilS8_bb,"axG",@progbits,_ZN9rocsolver6v33100L18getri_kernel_smallILi22E19rocblas_complex_numIdEPKPS3_EEvT1_iilPiilS8_bb,comdat
.Lfunc_end85:
	.size	_ZN9rocsolver6v33100L18getri_kernel_smallILi22E19rocblas_complex_numIdEPKPS3_EEvT1_iilPiilS8_bb, .Lfunc_end85-_ZN9rocsolver6v33100L18getri_kernel_smallILi22E19rocblas_complex_numIdEPKPS3_EEvT1_iilPiilS8_bb
                                        ; -- End function
	.set _ZN9rocsolver6v33100L18getri_kernel_smallILi22E19rocblas_complex_numIdEPKPS3_EEvT1_iilPiilS8_bb.num_vgpr, 126
	.set _ZN9rocsolver6v33100L18getri_kernel_smallILi22E19rocblas_complex_numIdEPKPS3_EEvT1_iilPiilS8_bb.num_agpr, 0
	.set _ZN9rocsolver6v33100L18getri_kernel_smallILi22E19rocblas_complex_numIdEPKPS3_EEvT1_iilPiilS8_bb.numbered_sgpr, 38
	.set _ZN9rocsolver6v33100L18getri_kernel_smallILi22E19rocblas_complex_numIdEPKPS3_EEvT1_iilPiilS8_bb.num_named_barrier, 0
	.set _ZN9rocsolver6v33100L18getri_kernel_smallILi22E19rocblas_complex_numIdEPKPS3_EEvT1_iilPiilS8_bb.private_seg_size, 368
	.set _ZN9rocsolver6v33100L18getri_kernel_smallILi22E19rocblas_complex_numIdEPKPS3_EEvT1_iilPiilS8_bb.uses_vcc, 1
	.set _ZN9rocsolver6v33100L18getri_kernel_smallILi22E19rocblas_complex_numIdEPKPS3_EEvT1_iilPiilS8_bb.uses_flat_scratch, 1
	.set _ZN9rocsolver6v33100L18getri_kernel_smallILi22E19rocblas_complex_numIdEPKPS3_EEvT1_iilPiilS8_bb.has_dyn_sized_stack, 0
	.set _ZN9rocsolver6v33100L18getri_kernel_smallILi22E19rocblas_complex_numIdEPKPS3_EEvT1_iilPiilS8_bb.has_recursion, 0
	.set _ZN9rocsolver6v33100L18getri_kernel_smallILi22E19rocblas_complex_numIdEPKPS3_EEvT1_iilPiilS8_bb.has_indirect_call, 0
	.section	.AMDGPU.csdata,"",@progbits
; Kernel info:
; codeLenInByte = 25984
; TotalNumSgprs: 40
; NumVgprs: 126
; ScratchSize: 368
; MemoryBound: 0
; FloatMode: 240
; IeeeMode: 1
; LDSByteSize: 1736 bytes/workgroup (compile time only)
; SGPRBlocks: 0
; VGPRBlocks: 7
; NumSGPRsForWavesPerEU: 40
; NumVGPRsForWavesPerEU: 126
; NamedBarCnt: 0
; Occupancy: 8
; WaveLimiterHint : 1
; COMPUTE_PGM_RSRC2:SCRATCH_EN: 1
; COMPUTE_PGM_RSRC2:USER_SGPR: 4
; COMPUTE_PGM_RSRC2:TRAP_HANDLER: 0
; COMPUTE_PGM_RSRC2:TGID_X_EN: 1
; COMPUTE_PGM_RSRC2:TGID_Y_EN: 0
; COMPUTE_PGM_RSRC2:TGID_Z_EN: 0
; COMPUTE_PGM_RSRC2:TIDIG_COMP_CNT: 2
	.section	.text._ZN9rocsolver6v33100L18getri_kernel_smallILi23E19rocblas_complex_numIdEPKPS3_EEvT1_iilPiilS8_bb,"axG",@progbits,_ZN9rocsolver6v33100L18getri_kernel_smallILi23E19rocblas_complex_numIdEPKPS3_EEvT1_iilPiilS8_bb,comdat
	.globl	_ZN9rocsolver6v33100L18getri_kernel_smallILi23E19rocblas_complex_numIdEPKPS3_EEvT1_iilPiilS8_bb ; -- Begin function _ZN9rocsolver6v33100L18getri_kernel_smallILi23E19rocblas_complex_numIdEPKPS3_EEvT1_iilPiilS8_bb
	.p2align	8
	.type	_ZN9rocsolver6v33100L18getri_kernel_smallILi23E19rocblas_complex_numIdEPKPS3_EEvT1_iilPiilS8_bb,@function
_ZN9rocsolver6v33100L18getri_kernel_smallILi23E19rocblas_complex_numIdEPKPS3_EEvT1_iilPiilS8_bb: ; @_ZN9rocsolver6v33100L18getri_kernel_smallILi23E19rocblas_complex_numIdEPKPS3_EEvT1_iilPiilS8_bb
; %bb.0:
	v_and_b32_e32 v1, 0x3ff, v0
	s_mov_b32 s4, exec_lo
	s_delay_alu instid0(VALU_DEP_1)
	v_cmpx_gt_u32_e32 23, v1
	s_cbranch_execz .LBB86_106
; %bb.1:
	s_clause 0x1
	s_load_b32 s16, s[2:3], 0x38
	s_load_b64 s[8:9], s[2:3], 0x0
	s_getreg_b32 s6, hwreg(HW_REG_IB_STS2, 6, 4)
	s_wait_kmcnt 0x0
	s_bitcmp1_b32 s16, 8
	s_cselect_b32 s35, -1, 0
	s_bfe_u32 s4, ttmp6, 0x4000c
	s_and_b32 s5, ttmp6, 15
	s_add_co_i32 s4, s4, 1
	s_delay_alu instid0(SALU_CYCLE_1) | instskip(NEXT) | instid1(SALU_CYCLE_1)
	s_mul_i32 s4, ttmp9, s4
	s_add_co_i32 s5, s5, s4
	s_cmp_eq_u32 s6, 0
	s_cselect_b32 s10, ttmp9, s5
	s_load_b128 s[4:7], s[2:3], 0x28
	s_ashr_i32 s11, s10, 31
	s_delay_alu instid0(SALU_CYCLE_1) | instskip(NEXT) | instid1(SALU_CYCLE_1)
	s_lshl_b64 s[12:13], s[10:11], 3
	s_add_nc_u64 s[8:9], s[8:9], s[12:13]
	s_load_b64 s[14:15], s[8:9], 0x0
	s_wait_xcnt 0x0
	s_bfe_u32 s8, s16, 0x10008
	s_delay_alu instid0(SALU_CYCLE_1)
	s_cmp_eq_u32 s8, 0
                                        ; implicit-def: $sgpr8_sgpr9
	s_cbranch_scc1 .LBB86_3
; %bb.2:
	s_load_b96 s[16:18], s[2:3], 0x18
	s_wait_kmcnt 0x0
	s_mul_u64 s[4:5], s[4:5], s[10:11]
	s_delay_alu instid0(SALU_CYCLE_1) | instskip(SKIP_4) | instid1(SALU_CYCLE_1)
	s_lshl_b64 s[4:5], s[4:5], 2
	s_ashr_i32 s9, s18, 31
	s_mov_b32 s8, s18
	s_add_nc_u64 s[4:5], s[16:17], s[4:5]
	s_lshl_b64 s[8:9], s[8:9], 2
	s_add_nc_u64 s[8:9], s[4:5], s[8:9]
.LBB86_3:
	s_clause 0x1
	s_load_b64 s[12:13], s[2:3], 0x8
	s_load_b32 s36, s[2:3], 0x38
	v_dual_mov_b32 v61, 0 :: v_dual_lshlrev_b32 v60, 4, v1
	s_mov_b32 s34, 16
	s_mov_b32 s33, 32
	;; [unrolled: 1-line block ×3, first 2 shown]
	s_movk_i32 s23, 0x50
	s_movk_i32 s24, 0x70
	;; [unrolled: 1-line block ×13, first 2 shown]
	s_wait_kmcnt 0x0
	s_ashr_i32 s3, s12, 31
	s_mov_b32 s2, s12
	v_add3_u32 v18, s13, s13, v1
	s_lshl_b64 s[2:3], s[2:3], 4
	s_mov_b32 s12, 64
	s_add_nc_u64 s[4:5], s[14:15], s[2:3]
	s_ashr_i32 s3, s13, 31
	flat_load_b128 v[2:5], v1, s[4:5] scale_offset
	v_add_nc_u64_e32 v[14:15], s[4:5], v[60:61]
	s_mov_b32 s2, s13
	v_add_nc_u32_e32 v20, s13, v18
	s_movk_i32 s14, 0x80
	s_movk_i32 s15, 0xa0
	;; [unrolled: 1-line block ×4, first 2 shown]
	v_lshl_add_u64 v[16:17], s[2:3], 4, v[14:15]
	v_add_nc_u32_e32 v22, s13, v20
	s_bitcmp0_b32 s36, 0
	s_mov_b32 s3, -1
	s_delay_alu instid0(VALU_DEP_1) | instskip(NEXT) | instid1(VALU_DEP_1)
	v_add_nc_u32_e32 v24, s13, v22
	v_add_nc_u32_e32 v26, s13, v24
	s_delay_alu instid0(VALU_DEP_1) | instskip(NEXT) | instid1(VALU_DEP_1)
	v_add_nc_u32_e32 v28, s13, v26
	v_add_nc_u32_e32 v30, s13, v28
	;; [unrolled: 3-line block ×9, first 2 shown]
	s_movk_i32 s13, 0x60
	s_wait_loadcnt_dscnt 0x0
	scratch_store_b128 off, v[2:5], off
	flat_load_b128 v[2:5], v[16:17]
	s_wait_loadcnt_dscnt 0x0
	scratch_store_b128 off, v[2:5], off offset:16
	flat_load_b128 v[2:5], v18, s[4:5] scale_offset
	s_wait_loadcnt_dscnt 0x0
	scratch_store_b128 off, v[2:5], off offset:32
	flat_load_b128 v[2:5], v20, s[4:5] scale_offset
	;; [unrolled: 3-line block ×21, first 2 shown]
	s_wait_loadcnt_dscnt 0x0
	scratch_store_b128 off, v[2:5], off offset:352
	s_cbranch_scc1 .LBB86_104
; %bb.4:
	v_cmp_eq_u32_e64 s2, 0, v1
	s_wait_xcnt 0x0
	s_and_saveexec_b32 s3, s2
; %bb.5:
	v_mov_b32_e32 v2, 0
	ds_store_b32 v2, v2 offset:736
; %bb.6:
	s_or_b32 exec_lo, exec_lo, s3
	s_wait_storecnt_dscnt 0x0
	s_barrier_signal -1
	s_barrier_wait -1
	scratch_load_b128 v[2:5], v1, off scale_offset
	s_wait_loadcnt 0x0
	v_cmp_eq_f64_e32 vcc_lo, 0, v[2:3]
	v_cmp_eq_f64_e64 s3, 0, v[4:5]
	s_and_b32 s3, vcc_lo, s3
	s_delay_alu instid0(SALU_CYCLE_1)
	s_and_saveexec_b32 s36, s3
	s_cbranch_execz .LBB86_10
; %bb.7:
	v_mov_b32_e32 v2, 0
	s_mov_b32 s37, 0
	ds_load_b32 v3, v2 offset:736
	s_wait_dscnt 0x0
	v_readfirstlane_b32 s3, v3
	v_add_nc_u32_e32 v3, 1, v1
	s_cmp_eq_u32 s3, 0
	s_delay_alu instid0(VALU_DEP_1) | instskip(SKIP_1) | instid1(SALU_CYCLE_1)
	v_cmp_gt_i32_e32 vcc_lo, s3, v3
	s_cselect_b32 s38, -1, 0
	s_or_b32 s38, s38, vcc_lo
	s_delay_alu instid0(SALU_CYCLE_1)
	s_and_b32 exec_lo, exec_lo, s38
	s_cbranch_execz .LBB86_10
; %bb.8:
	v_mov_b32_e32 v4, s3
.LBB86_9:                               ; =>This Inner Loop Header: Depth=1
	ds_cmpstore_rtn_b32 v4, v2, v3, v4 offset:736
	s_wait_dscnt 0x0
	v_cmp_ne_u32_e32 vcc_lo, 0, v4
	v_cmp_le_i32_e64 s3, v4, v3
	s_and_b32 s3, vcc_lo, s3
	s_delay_alu instid0(SALU_CYCLE_1) | instskip(NEXT) | instid1(SALU_CYCLE_1)
	s_and_b32 s3, exec_lo, s3
	s_or_b32 s37, s3, s37
	s_delay_alu instid0(SALU_CYCLE_1)
	s_and_not1_b32 exec_lo, exec_lo, s37
	s_cbranch_execnz .LBB86_9
.LBB86_10:
	s_or_b32 exec_lo, exec_lo, s36
	v_mov_b32_e32 v2, 0
	s_barrier_signal -1
	s_barrier_wait -1
	ds_load_b32 v3, v2 offset:736
	s_and_saveexec_b32 s3, s2
	s_cbranch_execz .LBB86_12
; %bb.11:
	s_lshl_b64 s[36:37], s[10:11], 2
	s_delay_alu instid0(SALU_CYCLE_1)
	s_add_nc_u64 s[36:37], s[6:7], s[36:37]
	s_wait_dscnt 0x0
	global_store_b32 v2, v3, s[36:37]
.LBB86_12:
	s_wait_xcnt 0x0
	s_or_b32 exec_lo, exec_lo, s3
	s_wait_dscnt 0x0
	v_cmp_ne_u32_e32 vcc_lo, 0, v3
	s_mov_b32 s3, 0
	s_cbranch_vccnz .LBB86_104
; %bb.13:
	v_lshl_add_u32 v19, v1, 4, 0
                                        ; implicit-def: $vgpr6_vgpr7
                                        ; implicit-def: $vgpr10_vgpr11
	scratch_load_b128 v[2:5], v19, off
	s_wait_loadcnt 0x0
	v_cmp_ngt_f64_e64 s3, |v[2:3]|, |v[4:5]|
	s_wait_xcnt 0x0
	s_and_saveexec_b32 s36, s3
	s_delay_alu instid0(SALU_CYCLE_1)
	s_xor_b32 s3, exec_lo, s36
	s_cbranch_execz .LBB86_15
; %bb.14:
	v_div_scale_f64 v[6:7], null, v[4:5], v[4:5], v[2:3]
	v_div_scale_f64 v[12:13], vcc_lo, v[2:3], v[4:5], v[2:3]
	s_delay_alu instid0(VALU_DEP_2) | instskip(SKIP_1) | instid1(TRANS32_DEP_1)
	v_rcp_f64_e32 v[8:9], v[6:7]
	v_nop
	v_fma_f64 v[10:11], -v[6:7], v[8:9], 1.0
	s_delay_alu instid0(VALU_DEP_1) | instskip(NEXT) | instid1(VALU_DEP_1)
	v_fmac_f64_e32 v[8:9], v[8:9], v[10:11]
	v_fma_f64 v[10:11], -v[6:7], v[8:9], 1.0
	s_delay_alu instid0(VALU_DEP_1) | instskip(NEXT) | instid1(VALU_DEP_1)
	v_fmac_f64_e32 v[8:9], v[8:9], v[10:11]
	v_mul_f64_e32 v[10:11], v[12:13], v[8:9]
	s_delay_alu instid0(VALU_DEP_1) | instskip(NEXT) | instid1(VALU_DEP_1)
	v_fma_f64 v[6:7], -v[6:7], v[10:11], v[12:13]
	v_div_fmas_f64 v[6:7], v[6:7], v[8:9], v[10:11]
	s_delay_alu instid0(VALU_DEP_1) | instskip(NEXT) | instid1(VALU_DEP_1)
	v_div_fixup_f64 v[6:7], v[6:7], v[4:5], v[2:3]
	v_fmac_f64_e32 v[4:5], v[2:3], v[6:7]
	s_delay_alu instid0(VALU_DEP_1) | instskip(SKIP_1) | instid1(VALU_DEP_2)
	v_div_scale_f64 v[2:3], null, v[4:5], v[4:5], 1.0
	v_div_scale_f64 v[12:13], vcc_lo, 1.0, v[4:5], 1.0
	v_rcp_f64_e32 v[8:9], v[2:3]
	v_nop
	s_delay_alu instid0(TRANS32_DEP_1) | instskip(NEXT) | instid1(VALU_DEP_1)
	v_fma_f64 v[10:11], -v[2:3], v[8:9], 1.0
	v_fmac_f64_e32 v[8:9], v[8:9], v[10:11]
	s_delay_alu instid0(VALU_DEP_1) | instskip(NEXT) | instid1(VALU_DEP_1)
	v_fma_f64 v[10:11], -v[2:3], v[8:9], 1.0
	v_fmac_f64_e32 v[8:9], v[8:9], v[10:11]
	s_delay_alu instid0(VALU_DEP_1) | instskip(NEXT) | instid1(VALU_DEP_1)
	v_mul_f64_e32 v[10:11], v[12:13], v[8:9]
	v_fma_f64 v[2:3], -v[2:3], v[10:11], v[12:13]
	s_delay_alu instid0(VALU_DEP_1) | instskip(NEXT) | instid1(VALU_DEP_1)
	v_div_fmas_f64 v[2:3], v[2:3], v[8:9], v[10:11]
	v_div_fixup_f64 v[8:9], v[2:3], v[4:5], 1.0
                                        ; implicit-def: $vgpr2_vgpr3
	s_delay_alu instid0(VALU_DEP_1) | instskip(SKIP_1) | instid1(VALU_DEP_2)
	v_mul_f64_e32 v[6:7], v[6:7], v[8:9]
	v_xor_b32_e32 v9, 0x80000000, v9
	v_xor_b32_e32 v11, 0x80000000, v7
	s_delay_alu instid0(VALU_DEP_3)
	v_mov_b32_e32 v10, v6
.LBB86_15:
	s_and_not1_saveexec_b32 s3, s3
	s_cbranch_execz .LBB86_17
; %bb.16:
	v_div_scale_f64 v[6:7], null, v[2:3], v[2:3], v[4:5]
	v_div_scale_f64 v[12:13], vcc_lo, v[4:5], v[2:3], v[4:5]
	s_delay_alu instid0(VALU_DEP_2) | instskip(SKIP_1) | instid1(TRANS32_DEP_1)
	v_rcp_f64_e32 v[8:9], v[6:7]
	v_nop
	v_fma_f64 v[10:11], -v[6:7], v[8:9], 1.0
	s_delay_alu instid0(VALU_DEP_1) | instskip(NEXT) | instid1(VALU_DEP_1)
	v_fmac_f64_e32 v[8:9], v[8:9], v[10:11]
	v_fma_f64 v[10:11], -v[6:7], v[8:9], 1.0
	s_delay_alu instid0(VALU_DEP_1) | instskip(NEXT) | instid1(VALU_DEP_1)
	v_fmac_f64_e32 v[8:9], v[8:9], v[10:11]
	v_mul_f64_e32 v[10:11], v[12:13], v[8:9]
	s_delay_alu instid0(VALU_DEP_1) | instskip(NEXT) | instid1(VALU_DEP_1)
	v_fma_f64 v[6:7], -v[6:7], v[10:11], v[12:13]
	v_div_fmas_f64 v[6:7], v[6:7], v[8:9], v[10:11]
	s_delay_alu instid0(VALU_DEP_1) | instskip(NEXT) | instid1(VALU_DEP_1)
	v_div_fixup_f64 v[8:9], v[6:7], v[2:3], v[4:5]
	v_fmac_f64_e32 v[2:3], v[4:5], v[8:9]
	s_delay_alu instid0(VALU_DEP_1) | instskip(NEXT) | instid1(VALU_DEP_1)
	v_div_scale_f64 v[4:5], null, v[2:3], v[2:3], 1.0
	v_rcp_f64_e32 v[6:7], v[4:5]
	v_nop
	s_delay_alu instid0(TRANS32_DEP_1) | instskip(NEXT) | instid1(VALU_DEP_1)
	v_fma_f64 v[10:11], -v[4:5], v[6:7], 1.0
	v_fmac_f64_e32 v[6:7], v[6:7], v[10:11]
	s_delay_alu instid0(VALU_DEP_1) | instskip(NEXT) | instid1(VALU_DEP_1)
	v_fma_f64 v[10:11], -v[4:5], v[6:7], 1.0
	v_fmac_f64_e32 v[6:7], v[6:7], v[10:11]
	v_div_scale_f64 v[10:11], vcc_lo, 1.0, v[2:3], 1.0
	s_delay_alu instid0(VALU_DEP_1) | instskip(NEXT) | instid1(VALU_DEP_1)
	v_mul_f64_e32 v[12:13], v[10:11], v[6:7]
	v_fma_f64 v[4:5], -v[4:5], v[12:13], v[10:11]
	s_delay_alu instid0(VALU_DEP_1) | instskip(NEXT) | instid1(VALU_DEP_1)
	v_div_fmas_f64 v[4:5], v[4:5], v[6:7], v[12:13]
	v_div_fixup_f64 v[6:7], v[4:5], v[2:3], 1.0
	s_delay_alu instid0(VALU_DEP_1)
	v_mul_f64_e64 v[8:9], v[8:9], -v[6:7]
	v_xor_b32_e32 v11, 0x80000000, v7
	v_mov_b32_e32 v10, v6
.LBB86_17:
	s_or_b32 exec_lo, exec_lo, s3
	s_clause 0x1
	scratch_store_b128 v19, v[6:9], off
	scratch_load_b128 v[2:5], off, s34
	v_xor_b32_e32 v13, 0x80000000, v9
	v_mov_b32_e32 v12, v8
	s_wait_xcnt 0x1
	v_add_nc_u32_e32 v6, 0x170, v60
	ds_store_b128 v60, v[10:13]
	s_wait_loadcnt 0x0
	ds_store_b128 v60, v[2:5] offset:368
	s_wait_storecnt_dscnt 0x0
	s_barrier_signal -1
	s_barrier_wait -1
	s_wait_xcnt 0x0
	s_and_saveexec_b32 s3, s2
	s_cbranch_execz .LBB86_19
; %bb.18:
	scratch_load_b128 v[2:5], v19, off
	ds_load_b128 v[8:11], v6
	v_mov_b32_e32 v7, 0
	ds_load_b128 v[62:65], v7 offset:16
	s_wait_loadcnt_dscnt 0x1
	v_mul_f64_e32 v[12:13], v[8:9], v[4:5]
	v_mul_f64_e32 v[4:5], v[10:11], v[4:5]
	s_delay_alu instid0(VALU_DEP_2) | instskip(NEXT) | instid1(VALU_DEP_2)
	v_fmac_f64_e32 v[12:13], v[10:11], v[2:3]
	v_fma_f64 v[2:3], v[8:9], v[2:3], -v[4:5]
	s_delay_alu instid0(VALU_DEP_2) | instskip(NEXT) | instid1(VALU_DEP_2)
	v_add_f64_e32 v[8:9], 0, v[12:13]
	v_add_f64_e32 v[2:3], 0, v[2:3]
	s_wait_dscnt 0x0
	s_delay_alu instid0(VALU_DEP_2) | instskip(NEXT) | instid1(VALU_DEP_2)
	v_mul_f64_e32 v[10:11], v[8:9], v[64:65]
	v_mul_f64_e32 v[4:5], v[2:3], v[64:65]
	s_delay_alu instid0(VALU_DEP_2) | instskip(NEXT) | instid1(VALU_DEP_2)
	v_fma_f64 v[2:3], v[2:3], v[62:63], -v[10:11]
	v_fmac_f64_e32 v[4:5], v[8:9], v[62:63]
	scratch_store_b128 off, v[2:5], off offset:16
.LBB86_19:
	s_wait_xcnt 0x0
	s_or_b32 exec_lo, exec_lo, s3
	s_wait_storecnt 0x0
	s_barrier_signal -1
	s_barrier_wait -1
	scratch_load_b128 v[2:5], off, s33
	s_mov_b32 s3, exec_lo
	s_wait_loadcnt 0x0
	ds_store_b128 v6, v[2:5]
	s_wait_dscnt 0x0
	s_barrier_signal -1
	s_barrier_wait -1
	v_cmpx_gt_u32_e32 2, v1
	s_cbranch_execz .LBB86_23
; %bb.20:
	scratch_load_b128 v[2:5], v19, off
	ds_load_b128 v[8:11], v6
	s_wait_loadcnt_dscnt 0x0
	v_mul_f64_e32 v[12:13], v[10:11], v[4:5]
	v_mul_f64_e32 v[62:63], v[8:9], v[4:5]
	s_delay_alu instid0(VALU_DEP_2) | instskip(NEXT) | instid1(VALU_DEP_2)
	v_fma_f64 v[4:5], v[8:9], v[2:3], -v[12:13]
	v_fmac_f64_e32 v[62:63], v[10:11], v[2:3]
	s_delay_alu instid0(VALU_DEP_2) | instskip(NEXT) | instid1(VALU_DEP_2)
	v_add_f64_e32 v[4:5], 0, v[4:5]
	v_add_f64_e32 v[2:3], 0, v[62:63]
	s_and_saveexec_b32 s36, s2
	s_cbranch_execz .LBB86_22
; %bb.21:
	scratch_load_b128 v[8:11], off, off offset:16
	v_mov_b32_e32 v7, 0
	ds_load_b128 v[62:65], v7 offset:384
	s_wait_loadcnt_dscnt 0x0
	v_mul_f64_e32 v[12:13], v[62:63], v[10:11]
	v_mul_f64_e32 v[10:11], v[64:65], v[10:11]
	s_delay_alu instid0(VALU_DEP_2) | instskip(NEXT) | instid1(VALU_DEP_2)
	v_fmac_f64_e32 v[12:13], v[64:65], v[8:9]
	v_fma_f64 v[8:9], v[62:63], v[8:9], -v[10:11]
	s_delay_alu instid0(VALU_DEP_2) | instskip(NEXT) | instid1(VALU_DEP_2)
	v_add_f64_e32 v[2:3], v[2:3], v[12:13]
	v_add_f64_e32 v[4:5], v[4:5], v[8:9]
.LBB86_22:
	s_or_b32 exec_lo, exec_lo, s36
	v_mov_b32_e32 v7, 0
	ds_load_b128 v[8:11], v7 offset:32
	s_wait_dscnt 0x0
	v_mul_f64_e32 v[62:63], v[2:3], v[10:11]
	v_mul_f64_e32 v[12:13], v[4:5], v[10:11]
	s_delay_alu instid0(VALU_DEP_2) | instskip(NEXT) | instid1(VALU_DEP_2)
	v_fma_f64 v[10:11], v[4:5], v[8:9], -v[62:63]
	v_fmac_f64_e32 v[12:13], v[2:3], v[8:9]
	scratch_store_b128 off, v[10:13], off offset:32
.LBB86_23:
	s_wait_xcnt 0x0
	s_or_b32 exec_lo, exec_lo, s3
	s_wait_storecnt 0x0
	s_barrier_signal -1
	s_barrier_wait -1
	scratch_load_b128 v[2:5], off, s22
	v_add_nc_u32_e32 v7, -1, v1
	s_mov_b32 s2, exec_lo
	s_wait_loadcnt 0x0
	ds_store_b128 v6, v[2:5]
	s_wait_dscnt 0x0
	s_barrier_signal -1
	s_barrier_wait -1
	v_cmpx_gt_u32_e32 3, v1
	s_cbranch_execz .LBB86_27
; %bb.24:
	v_dual_mov_b32 v10, v60 :: v_dual_add_nc_u32 v8, -1, v1
	v_mov_b64_e32 v[2:3], 0
	v_mov_b64_e32 v[4:5], 0
	v_add_nc_u32_e32 v9, 0x170, v60
	s_delay_alu instid0(VALU_DEP_4)
	v_or_b32_e32 v10, 8, v10
	s_mov_b32 s3, 0
.LBB86_25:                              ; =>This Inner Loop Header: Depth=1
	scratch_load_b128 v[62:65], v10, off offset:-8
	ds_load_b128 v[66:69], v9
	s_wait_xcnt 0x0
	v_dual_add_nc_u32 v9, 16, v9 :: v_dual_add_nc_u32 v10, 16, v10
	v_add_nc_u32_e32 v8, 1, v8
	s_delay_alu instid0(VALU_DEP_1) | instskip(SKIP_4) | instid1(VALU_DEP_2)
	v_cmp_lt_u32_e32 vcc_lo, 1, v8
	s_or_b32 s3, vcc_lo, s3
	s_wait_loadcnt_dscnt 0x0
	v_mul_f64_e32 v[12:13], v[68:69], v[64:65]
	v_mul_f64_e32 v[64:65], v[66:67], v[64:65]
	v_fma_f64 v[12:13], v[66:67], v[62:63], -v[12:13]
	s_delay_alu instid0(VALU_DEP_2) | instskip(NEXT) | instid1(VALU_DEP_2)
	v_fmac_f64_e32 v[64:65], v[68:69], v[62:63]
	v_add_f64_e32 v[4:5], v[4:5], v[12:13]
	s_delay_alu instid0(VALU_DEP_2)
	v_add_f64_e32 v[2:3], v[2:3], v[64:65]
	s_and_not1_b32 exec_lo, exec_lo, s3
	s_cbranch_execnz .LBB86_25
; %bb.26:
	s_or_b32 exec_lo, exec_lo, s3
	v_mov_b32_e32 v8, 0
	ds_load_b128 v[8:11], v8 offset:48
	s_wait_dscnt 0x0
	v_mul_f64_e32 v[62:63], v[2:3], v[10:11]
	v_mul_f64_e32 v[12:13], v[4:5], v[10:11]
	s_delay_alu instid0(VALU_DEP_2) | instskip(NEXT) | instid1(VALU_DEP_2)
	v_fma_f64 v[10:11], v[4:5], v[8:9], -v[62:63]
	v_fmac_f64_e32 v[12:13], v[2:3], v[8:9]
	scratch_store_b128 off, v[10:13], off offset:48
.LBB86_27:
	s_wait_xcnt 0x0
	s_or_b32 exec_lo, exec_lo, s2
	s_wait_storecnt 0x0
	s_barrier_signal -1
	s_barrier_wait -1
	scratch_load_b128 v[2:5], off, s12
	s_mov_b32 s2, exec_lo
	s_wait_loadcnt 0x0
	ds_store_b128 v6, v[2:5]
	s_wait_dscnt 0x0
	s_barrier_signal -1
	s_barrier_wait -1
	v_cmpx_gt_u32_e32 4, v1
	s_cbranch_execz .LBB86_31
; %bb.28:
	v_dual_mov_b32 v10, v60 :: v_dual_add_nc_u32 v8, -1, v1
	v_mov_b64_e32 v[2:3], 0
	v_mov_b64_e32 v[4:5], 0
	v_add_nc_u32_e32 v9, 0x170, v60
	s_delay_alu instid0(VALU_DEP_4)
	v_or_b32_e32 v10, 8, v10
	s_mov_b32 s3, 0
.LBB86_29:                              ; =>This Inner Loop Header: Depth=1
	scratch_load_b128 v[62:65], v10, off offset:-8
	ds_load_b128 v[66:69], v9
	s_wait_xcnt 0x0
	v_dual_add_nc_u32 v9, 16, v9 :: v_dual_add_nc_u32 v10, 16, v10
	v_add_nc_u32_e32 v8, 1, v8
	s_delay_alu instid0(VALU_DEP_1) | instskip(SKIP_4) | instid1(VALU_DEP_2)
	v_cmp_lt_u32_e32 vcc_lo, 2, v8
	s_or_b32 s3, vcc_lo, s3
	s_wait_loadcnt_dscnt 0x0
	v_mul_f64_e32 v[12:13], v[68:69], v[64:65]
	v_mul_f64_e32 v[64:65], v[66:67], v[64:65]
	v_fma_f64 v[12:13], v[66:67], v[62:63], -v[12:13]
	s_delay_alu instid0(VALU_DEP_2) | instskip(NEXT) | instid1(VALU_DEP_2)
	v_fmac_f64_e32 v[64:65], v[68:69], v[62:63]
	v_add_f64_e32 v[4:5], v[4:5], v[12:13]
	s_delay_alu instid0(VALU_DEP_2)
	v_add_f64_e32 v[2:3], v[2:3], v[64:65]
	s_and_not1_b32 exec_lo, exec_lo, s3
	s_cbranch_execnz .LBB86_29
; %bb.30:
	s_or_b32 exec_lo, exec_lo, s3
	v_mov_b32_e32 v8, 0
	ds_load_b128 v[8:11], v8 offset:64
	s_wait_dscnt 0x0
	v_mul_f64_e32 v[62:63], v[2:3], v[10:11]
	v_mul_f64_e32 v[12:13], v[4:5], v[10:11]
	s_delay_alu instid0(VALU_DEP_2) | instskip(NEXT) | instid1(VALU_DEP_2)
	v_fma_f64 v[10:11], v[4:5], v[8:9], -v[62:63]
	v_fmac_f64_e32 v[12:13], v[2:3], v[8:9]
	scratch_store_b128 off, v[10:13], off offset:64
.LBB86_31:
	s_wait_xcnt 0x0
	s_or_b32 exec_lo, exec_lo, s2
	s_wait_storecnt 0x0
	s_barrier_signal -1
	s_barrier_wait -1
	scratch_load_b128 v[2:5], off, s23
	;; [unrolled: 54-line block ×19, first 2 shown]
	s_mov_b32 s2, exec_lo
	s_wait_loadcnt 0x0
	ds_store_b128 v6, v[2:5]
	s_wait_dscnt 0x0
	s_barrier_signal -1
	s_barrier_wait -1
	v_cmpx_ne_u32_e32 22, v1
	s_cbranch_execz .LBB86_103
; %bb.100:
	v_mov_b32_e32 v8, v60
	v_mov_b64_e32 v[2:3], 0
	v_mov_b64_e32 v[4:5], 0
	s_mov_b32 s3, 0
	s_delay_alu instid0(VALU_DEP_3)
	v_or_b32_e32 v8, 8, v8
.LBB86_101:                             ; =>This Inner Loop Header: Depth=1
	scratch_load_b128 v[10:13], v8, off offset:-8
	ds_load_b128 v[60:63], v6
	v_dual_add_nc_u32 v7, 1, v7 :: v_dual_add_nc_u32 v6, 16, v6
	s_wait_xcnt 0x0
	v_add_nc_u32_e32 v8, 16, v8
	s_delay_alu instid0(VALU_DEP_2) | instskip(SKIP_4) | instid1(VALU_DEP_2)
	v_cmp_lt_u32_e32 vcc_lo, 20, v7
	s_or_b32 s3, vcc_lo, s3
	s_wait_loadcnt_dscnt 0x0
	v_mul_f64_e32 v[64:65], v[62:63], v[12:13]
	v_mul_f64_e32 v[12:13], v[60:61], v[12:13]
	v_fma_f64 v[60:61], v[60:61], v[10:11], -v[64:65]
	s_delay_alu instid0(VALU_DEP_2) | instskip(NEXT) | instid1(VALU_DEP_2)
	v_fmac_f64_e32 v[12:13], v[62:63], v[10:11]
	v_add_f64_e32 v[4:5], v[4:5], v[60:61]
	s_delay_alu instid0(VALU_DEP_2)
	v_add_f64_e32 v[2:3], v[2:3], v[12:13]
	s_and_not1_b32 exec_lo, exec_lo, s3
	s_cbranch_execnz .LBB86_101
; %bb.102:
	s_or_b32 exec_lo, exec_lo, s3
	v_mov_b32_e32 v6, 0
	ds_load_b128 v[6:9], v6 offset:352
	s_wait_dscnt 0x0
	v_mul_f64_e32 v[12:13], v[2:3], v[8:9]
	v_mul_f64_e32 v[10:11], v[4:5], v[8:9]
	s_delay_alu instid0(VALU_DEP_2) | instskip(NEXT) | instid1(VALU_DEP_2)
	v_fma_f64 v[8:9], v[4:5], v[6:7], -v[12:13]
	v_fmac_f64_e32 v[10:11], v[2:3], v[6:7]
	scratch_store_b128 off, v[8:11], off offset:352
.LBB86_103:
	s_wait_xcnt 0x0
	s_or_b32 exec_lo, exec_lo, s2
	s_mov_b32 s3, -1
	s_wait_storecnt 0x0
	s_barrier_signal -1
	s_barrier_wait -1
.LBB86_104:
	s_and_b32 vcc_lo, exec_lo, s3
	s_cbranch_vccz .LBB86_106
; %bb.105:
	s_wait_xcnt 0x0
	v_mov_b32_e32 v2, 0
	s_lshl_b64 s[2:3], s[10:11], 2
	s_delay_alu instid0(SALU_CYCLE_1)
	s_add_nc_u64 s[2:3], s[6:7], s[2:3]
	global_load_b32 v2, v2, s[2:3]
	s_wait_loadcnt 0x0
	v_cmp_ne_u32_e32 vcc_lo, 0, v2
	s_cbranch_vccz .LBB86_107
.LBB86_106:
	s_sendmsg sendmsg(MSG_DEALLOC_VGPRS)
	s_endpgm
.LBB86_107:
	v_lshl_add_u32 v6, v1, 4, 0x170
	s_wait_xcnt 0x0
	s_mov_b32 s2, exec_lo
	v_cmpx_eq_u32_e32 22, v1
	s_cbranch_execz .LBB86_109
; %bb.108:
	scratch_load_b128 v[2:5], off, s31
	v_mov_b32_e32 v8, 0
	s_delay_alu instid0(VALU_DEP_1)
	v_dual_mov_b32 v9, v8 :: v_dual_mov_b32 v10, v8
	v_mov_b32_e32 v11, v8
	scratch_store_b128 off, v[8:11], off offset:336
	s_wait_loadcnt 0x0
	ds_store_b128 v6, v[2:5]
.LBB86_109:
	s_wait_xcnt 0x0
	s_or_b32 exec_lo, exec_lo, s2
	s_wait_storecnt_dscnt 0x0
	s_barrier_signal -1
	s_barrier_wait -1
	s_clause 0x1
	scratch_load_b128 v[8:11], off, off offset:352
	scratch_load_b128 v[60:63], off, off offset:336
	v_mov_b32_e32 v2, 0
	s_mov_b32 s2, exec_lo
	ds_load_b128 v[64:67], v2 offset:720
	s_wait_loadcnt_dscnt 0x100
	v_mul_f64_e32 v[4:5], v[66:67], v[10:11]
	v_mul_f64_e32 v[10:11], v[64:65], v[10:11]
	s_delay_alu instid0(VALU_DEP_2) | instskip(NEXT) | instid1(VALU_DEP_2)
	v_fma_f64 v[4:5], v[64:65], v[8:9], -v[4:5]
	v_fmac_f64_e32 v[10:11], v[66:67], v[8:9]
	s_delay_alu instid0(VALU_DEP_2) | instskip(NEXT) | instid1(VALU_DEP_2)
	v_add_f64_e32 v[4:5], 0, v[4:5]
	v_add_f64_e32 v[10:11], 0, v[10:11]
	s_wait_loadcnt 0x0
	s_delay_alu instid0(VALU_DEP_2) | instskip(NEXT) | instid1(VALU_DEP_2)
	v_add_f64_e64 v[8:9], v[60:61], -v[4:5]
	v_add_f64_e64 v[10:11], v[62:63], -v[10:11]
	scratch_store_b128 off, v[8:11], off offset:336
	s_wait_xcnt 0x0
	v_cmpx_lt_u32_e32 20, v1
	s_cbranch_execz .LBB86_111
; %bb.110:
	scratch_load_b128 v[8:11], off, s20
	v_dual_mov_b32 v3, v2 :: v_dual_mov_b32 v4, v2
	v_mov_b32_e32 v5, v2
	scratch_store_b128 off, v[2:5], off offset:320
	s_wait_loadcnt 0x0
	ds_store_b128 v6, v[8:11]
.LBB86_111:
	s_wait_xcnt 0x0
	s_or_b32 exec_lo, exec_lo, s2
	s_wait_storecnt_dscnt 0x0
	s_barrier_signal -1
	s_barrier_wait -1
	s_clause 0x2
	scratch_load_b128 v[8:11], off, off offset:336
	scratch_load_b128 v[60:63], off, off offset:352
	;; [unrolled: 1-line block ×3, first 2 shown]
	ds_load_b128 v[68:71], v2 offset:704
	ds_load_b128 v[2:5], v2 offset:720
	s_mov_b32 s2, exec_lo
	s_wait_loadcnt_dscnt 0x201
	v_mul_f64_e32 v[12:13], v[70:71], v[10:11]
	v_mul_f64_e32 v[10:11], v[68:69], v[10:11]
	s_wait_loadcnt_dscnt 0x100
	v_mul_f64_e32 v[72:73], v[2:3], v[62:63]
	v_mul_f64_e32 v[62:63], v[4:5], v[62:63]
	s_delay_alu instid0(VALU_DEP_4) | instskip(NEXT) | instid1(VALU_DEP_4)
	v_fma_f64 v[12:13], v[68:69], v[8:9], -v[12:13]
	v_fmac_f64_e32 v[10:11], v[70:71], v[8:9]
	s_delay_alu instid0(VALU_DEP_4) | instskip(NEXT) | instid1(VALU_DEP_4)
	v_fmac_f64_e32 v[72:73], v[4:5], v[60:61]
	v_fma_f64 v[2:3], v[2:3], v[60:61], -v[62:63]
	s_delay_alu instid0(VALU_DEP_4) | instskip(NEXT) | instid1(VALU_DEP_4)
	v_add_f64_e32 v[4:5], 0, v[12:13]
	v_add_f64_e32 v[8:9], 0, v[10:11]
	s_delay_alu instid0(VALU_DEP_2) | instskip(NEXT) | instid1(VALU_DEP_2)
	v_add_f64_e32 v[2:3], v[4:5], v[2:3]
	v_add_f64_e32 v[4:5], v[8:9], v[72:73]
	s_wait_loadcnt 0x0
	s_delay_alu instid0(VALU_DEP_2) | instskip(NEXT) | instid1(VALU_DEP_2)
	v_add_f64_e64 v[2:3], v[64:65], -v[2:3]
	v_add_f64_e64 v[4:5], v[66:67], -v[4:5]
	scratch_store_b128 off, v[2:5], off offset:320
	s_wait_xcnt 0x0
	v_cmpx_lt_u32_e32 19, v1
	s_cbranch_execz .LBB86_113
; %bb.112:
	scratch_load_b128 v[2:5], off, s30
	v_mov_b32_e32 v8, 0
	s_delay_alu instid0(VALU_DEP_1)
	v_dual_mov_b32 v9, v8 :: v_dual_mov_b32 v10, v8
	v_mov_b32_e32 v11, v8
	scratch_store_b128 off, v[8:11], off offset:304
	s_wait_loadcnt 0x0
	ds_store_b128 v6, v[2:5]
.LBB86_113:
	s_wait_xcnt 0x0
	s_or_b32 exec_lo, exec_lo, s2
	s_wait_storecnt_dscnt 0x0
	s_barrier_signal -1
	s_barrier_wait -1
	s_clause 0x3
	scratch_load_b128 v[8:11], off, off offset:320
	scratch_load_b128 v[60:63], off, off offset:336
	scratch_load_b128 v[64:67], off, off offset:352
	scratch_load_b128 v[68:71], off, off offset:304
	v_mov_b32_e32 v2, 0
	ds_load_b128 v[72:75], v2 offset:688
	ds_load_b128 v[76:79], v2 offset:704
	s_mov_b32 s2, exec_lo
	s_wait_loadcnt_dscnt 0x301
	v_mul_f64_e32 v[4:5], v[74:75], v[10:11]
	v_mul_f64_e32 v[12:13], v[72:73], v[10:11]
	s_wait_loadcnt_dscnt 0x200
	v_mul_f64_e32 v[80:81], v[76:77], v[62:63]
	v_mul_f64_e32 v[62:63], v[78:79], v[62:63]
	s_delay_alu instid0(VALU_DEP_4) | instskip(NEXT) | instid1(VALU_DEP_4)
	v_fma_f64 v[4:5], v[72:73], v[8:9], -v[4:5]
	v_fmac_f64_e32 v[12:13], v[74:75], v[8:9]
	ds_load_b128 v[8:11], v2 offset:720
	v_fmac_f64_e32 v[80:81], v[78:79], v[60:61]
	v_fma_f64 v[60:61], v[76:77], v[60:61], -v[62:63]
	s_wait_loadcnt_dscnt 0x100
	v_mul_f64_e32 v[72:73], v[8:9], v[66:67]
	v_mul_f64_e32 v[66:67], v[10:11], v[66:67]
	v_add_f64_e32 v[4:5], 0, v[4:5]
	v_add_f64_e32 v[12:13], 0, v[12:13]
	s_delay_alu instid0(VALU_DEP_4) | instskip(NEXT) | instid1(VALU_DEP_4)
	v_fmac_f64_e32 v[72:73], v[10:11], v[64:65]
	v_fma_f64 v[8:9], v[8:9], v[64:65], -v[66:67]
	s_delay_alu instid0(VALU_DEP_4) | instskip(NEXT) | instid1(VALU_DEP_4)
	v_add_f64_e32 v[4:5], v[4:5], v[60:61]
	v_add_f64_e32 v[10:11], v[12:13], v[80:81]
	s_delay_alu instid0(VALU_DEP_2) | instskip(NEXT) | instid1(VALU_DEP_2)
	v_add_f64_e32 v[4:5], v[4:5], v[8:9]
	v_add_f64_e32 v[10:11], v[10:11], v[72:73]
	s_wait_loadcnt 0x0
	s_delay_alu instid0(VALU_DEP_2) | instskip(NEXT) | instid1(VALU_DEP_2)
	v_add_f64_e64 v[8:9], v[68:69], -v[4:5]
	v_add_f64_e64 v[10:11], v[70:71], -v[10:11]
	scratch_store_b128 off, v[8:11], off offset:304
	s_wait_xcnt 0x0
	v_cmpx_lt_u32_e32 18, v1
	s_cbranch_execz .LBB86_115
; %bb.114:
	scratch_load_b128 v[8:11], off, s19
	v_dual_mov_b32 v3, v2 :: v_dual_mov_b32 v4, v2
	v_mov_b32_e32 v5, v2
	scratch_store_b128 off, v[2:5], off offset:288
	s_wait_loadcnt 0x0
	ds_store_b128 v6, v[8:11]
.LBB86_115:
	s_wait_xcnt 0x0
	s_or_b32 exec_lo, exec_lo, s2
	s_wait_storecnt_dscnt 0x0
	s_barrier_signal -1
	s_barrier_wait -1
	s_clause 0x4
	scratch_load_b128 v[8:11], off, off offset:304
	scratch_load_b128 v[60:63], off, off offset:320
	scratch_load_b128 v[64:67], off, off offset:336
	scratch_load_b128 v[68:71], off, off offset:352
	scratch_load_b128 v[72:75], off, off offset:288
	ds_load_b128 v[76:79], v2 offset:672
	ds_load_b128 v[80:83], v2 offset:688
	s_mov_b32 s2, exec_lo
	s_wait_loadcnt_dscnt 0x401
	v_mul_f64_e32 v[4:5], v[78:79], v[10:11]
	v_mul_f64_e32 v[12:13], v[76:77], v[10:11]
	s_wait_loadcnt_dscnt 0x300
	v_mul_f64_e32 v[84:85], v[80:81], v[62:63]
	v_mul_f64_e32 v[62:63], v[82:83], v[62:63]
	s_delay_alu instid0(VALU_DEP_4) | instskip(NEXT) | instid1(VALU_DEP_4)
	v_fma_f64 v[76:77], v[76:77], v[8:9], -v[4:5]
	v_fmac_f64_e32 v[12:13], v[78:79], v[8:9]
	ds_load_b128 v[8:11], v2 offset:704
	ds_load_b128 v[2:5], v2 offset:720
	v_fmac_f64_e32 v[84:85], v[82:83], v[60:61]
	v_fma_f64 v[60:61], v[80:81], v[60:61], -v[62:63]
	s_wait_loadcnt_dscnt 0x201
	v_mul_f64_e32 v[78:79], v[8:9], v[66:67]
	v_mul_f64_e32 v[66:67], v[10:11], v[66:67]
	v_add_f64_e32 v[62:63], 0, v[76:77]
	v_add_f64_e32 v[12:13], 0, v[12:13]
	s_wait_loadcnt_dscnt 0x100
	v_mul_f64_e32 v[76:77], v[2:3], v[70:71]
	v_mul_f64_e32 v[70:71], v[4:5], v[70:71]
	v_fmac_f64_e32 v[78:79], v[10:11], v[64:65]
	v_fma_f64 v[8:9], v[8:9], v[64:65], -v[66:67]
	v_add_f64_e32 v[10:11], v[62:63], v[60:61]
	v_add_f64_e32 v[12:13], v[12:13], v[84:85]
	v_fmac_f64_e32 v[76:77], v[4:5], v[68:69]
	v_fma_f64 v[2:3], v[2:3], v[68:69], -v[70:71]
	s_delay_alu instid0(VALU_DEP_4) | instskip(NEXT) | instid1(VALU_DEP_4)
	v_add_f64_e32 v[4:5], v[10:11], v[8:9]
	v_add_f64_e32 v[8:9], v[12:13], v[78:79]
	s_delay_alu instid0(VALU_DEP_2) | instskip(NEXT) | instid1(VALU_DEP_2)
	v_add_f64_e32 v[2:3], v[4:5], v[2:3]
	v_add_f64_e32 v[4:5], v[8:9], v[76:77]
	s_wait_loadcnt 0x0
	s_delay_alu instid0(VALU_DEP_2) | instskip(NEXT) | instid1(VALU_DEP_2)
	v_add_f64_e64 v[2:3], v[72:73], -v[2:3]
	v_add_f64_e64 v[4:5], v[74:75], -v[4:5]
	scratch_store_b128 off, v[2:5], off offset:288
	s_wait_xcnt 0x0
	v_cmpx_lt_u32_e32 17, v1
	s_cbranch_execz .LBB86_117
; %bb.116:
	scratch_load_b128 v[2:5], off, s29
	v_mov_b32_e32 v8, 0
	s_delay_alu instid0(VALU_DEP_1)
	v_dual_mov_b32 v9, v8 :: v_dual_mov_b32 v10, v8
	v_mov_b32_e32 v11, v8
	scratch_store_b128 off, v[8:11], off offset:272
	s_wait_loadcnt 0x0
	ds_store_b128 v6, v[2:5]
.LBB86_117:
	s_wait_xcnt 0x0
	s_or_b32 exec_lo, exec_lo, s2
	s_wait_storecnt_dscnt 0x0
	s_barrier_signal -1
	s_barrier_wait -1
	s_clause 0x5
	scratch_load_b128 v[8:11], off, off offset:288
	scratch_load_b128 v[60:63], off, off offset:304
	scratch_load_b128 v[64:67], off, off offset:320
	scratch_load_b128 v[68:71], off, off offset:336
	scratch_load_b128 v[72:75], off, off offset:352
	scratch_load_b128 v[76:79], off, off offset:272
	v_mov_b32_e32 v2, 0
	ds_load_b128 v[80:83], v2 offset:656
	ds_load_b128 v[84:87], v2 offset:672
	s_mov_b32 s2, exec_lo
	s_wait_loadcnt_dscnt 0x501
	v_mul_f64_e32 v[4:5], v[82:83], v[10:11]
	v_mul_f64_e32 v[12:13], v[80:81], v[10:11]
	s_wait_loadcnt_dscnt 0x400
	v_mul_f64_e32 v[88:89], v[84:85], v[62:63]
	v_mul_f64_e32 v[62:63], v[86:87], v[62:63]
	s_delay_alu instid0(VALU_DEP_4) | instskip(NEXT) | instid1(VALU_DEP_4)
	v_fma_f64 v[4:5], v[80:81], v[8:9], -v[4:5]
	v_fmac_f64_e32 v[12:13], v[82:83], v[8:9]
	ds_load_b128 v[8:11], v2 offset:688
	ds_load_b128 v[80:83], v2 offset:704
	v_fmac_f64_e32 v[88:89], v[86:87], v[60:61]
	v_fma_f64 v[60:61], v[84:85], v[60:61], -v[62:63]
	s_wait_loadcnt_dscnt 0x301
	v_mul_f64_e32 v[90:91], v[8:9], v[66:67]
	v_mul_f64_e32 v[66:67], v[10:11], v[66:67]
	s_wait_loadcnt_dscnt 0x200
	v_mul_f64_e32 v[62:63], v[80:81], v[70:71]
	v_mul_f64_e32 v[70:71], v[82:83], v[70:71]
	v_add_f64_e32 v[4:5], 0, v[4:5]
	v_add_f64_e32 v[12:13], 0, v[12:13]
	v_fmac_f64_e32 v[90:91], v[10:11], v[64:65]
	v_fma_f64 v[64:65], v[8:9], v[64:65], -v[66:67]
	ds_load_b128 v[8:11], v2 offset:720
	v_fmac_f64_e32 v[62:63], v[82:83], v[68:69]
	v_fma_f64 v[68:69], v[80:81], v[68:69], -v[70:71]
	v_add_f64_e32 v[4:5], v[4:5], v[60:61]
	v_add_f64_e32 v[12:13], v[12:13], v[88:89]
	s_wait_loadcnt_dscnt 0x100
	v_mul_f64_e32 v[60:61], v[8:9], v[74:75]
	v_mul_f64_e32 v[66:67], v[10:11], v[74:75]
	s_delay_alu instid0(VALU_DEP_4) | instskip(NEXT) | instid1(VALU_DEP_4)
	v_add_f64_e32 v[4:5], v[4:5], v[64:65]
	v_add_f64_e32 v[12:13], v[12:13], v[90:91]
	s_delay_alu instid0(VALU_DEP_4) | instskip(NEXT) | instid1(VALU_DEP_4)
	v_fmac_f64_e32 v[60:61], v[10:11], v[72:73]
	v_fma_f64 v[8:9], v[8:9], v[72:73], -v[66:67]
	s_delay_alu instid0(VALU_DEP_4) | instskip(NEXT) | instid1(VALU_DEP_4)
	v_add_f64_e32 v[4:5], v[4:5], v[68:69]
	v_add_f64_e32 v[10:11], v[12:13], v[62:63]
	s_delay_alu instid0(VALU_DEP_2) | instskip(NEXT) | instid1(VALU_DEP_2)
	v_add_f64_e32 v[4:5], v[4:5], v[8:9]
	v_add_f64_e32 v[10:11], v[10:11], v[60:61]
	s_wait_loadcnt 0x0
	s_delay_alu instid0(VALU_DEP_2) | instskip(NEXT) | instid1(VALU_DEP_2)
	v_add_f64_e64 v[8:9], v[76:77], -v[4:5]
	v_add_f64_e64 v[10:11], v[78:79], -v[10:11]
	scratch_store_b128 off, v[8:11], off offset:272
	s_wait_xcnt 0x0
	v_cmpx_lt_u32_e32 16, v1
	s_cbranch_execz .LBB86_119
; %bb.118:
	scratch_load_b128 v[8:11], off, s18
	v_dual_mov_b32 v3, v2 :: v_dual_mov_b32 v4, v2
	v_mov_b32_e32 v5, v2
	scratch_store_b128 off, v[2:5], off offset:256
	s_wait_loadcnt 0x0
	ds_store_b128 v6, v[8:11]
.LBB86_119:
	s_wait_xcnt 0x0
	s_or_b32 exec_lo, exec_lo, s2
	s_wait_storecnt_dscnt 0x0
	s_barrier_signal -1
	s_barrier_wait -1
	s_clause 0x6
	scratch_load_b128 v[8:11], off, off offset:272
	scratch_load_b128 v[60:63], off, off offset:288
	;; [unrolled: 1-line block ×7, first 2 shown]
	ds_load_b128 v[84:87], v2 offset:640
	ds_load_b128 v[88:91], v2 offset:656
	s_mov_b32 s2, exec_lo
	s_wait_loadcnt_dscnt 0x601
	v_mul_f64_e32 v[4:5], v[86:87], v[10:11]
	v_mul_f64_e32 v[12:13], v[84:85], v[10:11]
	s_wait_loadcnt_dscnt 0x500
	v_mul_f64_e32 v[92:93], v[88:89], v[62:63]
	v_mul_f64_e32 v[62:63], v[90:91], v[62:63]
	s_delay_alu instid0(VALU_DEP_4) | instskip(NEXT) | instid1(VALU_DEP_4)
	v_fma_f64 v[4:5], v[84:85], v[8:9], -v[4:5]
	v_fmac_f64_e32 v[12:13], v[86:87], v[8:9]
	ds_load_b128 v[8:11], v2 offset:672
	ds_load_b128 v[84:87], v2 offset:688
	v_fmac_f64_e32 v[92:93], v[90:91], v[60:61]
	v_fma_f64 v[60:61], v[88:89], v[60:61], -v[62:63]
	s_wait_loadcnt_dscnt 0x401
	v_mul_f64_e32 v[94:95], v[8:9], v[66:67]
	v_mul_f64_e32 v[66:67], v[10:11], v[66:67]
	s_wait_loadcnt_dscnt 0x300
	v_mul_f64_e32 v[62:63], v[84:85], v[70:71]
	v_mul_f64_e32 v[70:71], v[86:87], v[70:71]
	v_add_f64_e32 v[4:5], 0, v[4:5]
	v_add_f64_e32 v[12:13], 0, v[12:13]
	v_fmac_f64_e32 v[94:95], v[10:11], v[64:65]
	v_fma_f64 v[64:65], v[8:9], v[64:65], -v[66:67]
	v_fmac_f64_e32 v[62:63], v[86:87], v[68:69]
	v_fma_f64 v[68:69], v[84:85], v[68:69], -v[70:71]
	v_add_f64_e32 v[60:61], v[4:5], v[60:61]
	v_add_f64_e32 v[12:13], v[12:13], v[92:93]
	ds_load_b128 v[8:11], v2 offset:704
	ds_load_b128 v[2:5], v2 offset:720
	s_wait_loadcnt_dscnt 0x201
	v_mul_f64_e32 v[66:67], v[8:9], v[74:75]
	v_mul_f64_e32 v[74:75], v[10:11], v[74:75]
	s_wait_loadcnt_dscnt 0x100
	v_mul_f64_e32 v[70:71], v[4:5], v[78:79]
	v_add_f64_e32 v[60:61], v[60:61], v[64:65]
	v_add_f64_e32 v[12:13], v[12:13], v[94:95]
	v_mul_f64_e32 v[64:65], v[2:3], v[78:79]
	v_fmac_f64_e32 v[66:67], v[10:11], v[72:73]
	v_fma_f64 v[8:9], v[8:9], v[72:73], -v[74:75]
	v_fma_f64 v[2:3], v[2:3], v[76:77], -v[70:71]
	v_add_f64_e32 v[10:11], v[60:61], v[68:69]
	v_add_f64_e32 v[12:13], v[12:13], v[62:63]
	v_fmac_f64_e32 v[64:65], v[4:5], v[76:77]
	s_delay_alu instid0(VALU_DEP_3) | instskip(NEXT) | instid1(VALU_DEP_3)
	v_add_f64_e32 v[4:5], v[10:11], v[8:9]
	v_add_f64_e32 v[8:9], v[12:13], v[66:67]
	s_delay_alu instid0(VALU_DEP_2) | instskip(NEXT) | instid1(VALU_DEP_2)
	v_add_f64_e32 v[2:3], v[4:5], v[2:3]
	v_add_f64_e32 v[4:5], v[8:9], v[64:65]
	s_wait_loadcnt 0x0
	s_delay_alu instid0(VALU_DEP_2) | instskip(NEXT) | instid1(VALU_DEP_2)
	v_add_f64_e64 v[2:3], v[80:81], -v[2:3]
	v_add_f64_e64 v[4:5], v[82:83], -v[4:5]
	scratch_store_b128 off, v[2:5], off offset:256
	s_wait_xcnt 0x0
	v_cmpx_lt_u32_e32 15, v1
	s_cbranch_execz .LBB86_121
; %bb.120:
	scratch_load_b128 v[2:5], off, s28
	v_mov_b32_e32 v8, 0
	s_delay_alu instid0(VALU_DEP_1)
	v_dual_mov_b32 v9, v8 :: v_dual_mov_b32 v10, v8
	v_mov_b32_e32 v11, v8
	scratch_store_b128 off, v[8:11], off offset:240
	s_wait_loadcnt 0x0
	ds_store_b128 v6, v[2:5]
.LBB86_121:
	s_wait_xcnt 0x0
	s_or_b32 exec_lo, exec_lo, s2
	s_wait_storecnt_dscnt 0x0
	s_barrier_signal -1
	s_barrier_wait -1
	s_clause 0x7
	scratch_load_b128 v[8:11], off, off offset:256
	scratch_load_b128 v[60:63], off, off offset:272
	;; [unrolled: 1-line block ×8, first 2 shown]
	v_mov_b32_e32 v2, 0
	ds_load_b128 v[88:91], v2 offset:624
	ds_load_b128 v[92:95], v2 offset:640
	s_mov_b32 s2, exec_lo
	s_wait_loadcnt_dscnt 0x701
	v_mul_f64_e32 v[4:5], v[90:91], v[10:11]
	v_mul_f64_e32 v[12:13], v[88:89], v[10:11]
	s_wait_loadcnt_dscnt 0x600
	v_mul_f64_e32 v[96:97], v[92:93], v[62:63]
	v_mul_f64_e32 v[62:63], v[94:95], v[62:63]
	s_delay_alu instid0(VALU_DEP_4) | instskip(NEXT) | instid1(VALU_DEP_4)
	v_fma_f64 v[4:5], v[88:89], v[8:9], -v[4:5]
	v_fmac_f64_e32 v[12:13], v[90:91], v[8:9]
	ds_load_b128 v[8:11], v2 offset:656
	ds_load_b128 v[88:91], v2 offset:672
	v_fmac_f64_e32 v[96:97], v[94:95], v[60:61]
	v_fma_f64 v[60:61], v[92:93], v[60:61], -v[62:63]
	s_wait_loadcnt_dscnt 0x501
	v_mul_f64_e32 v[98:99], v[8:9], v[66:67]
	v_mul_f64_e32 v[66:67], v[10:11], v[66:67]
	s_wait_loadcnt_dscnt 0x400
	v_mul_f64_e32 v[92:93], v[88:89], v[70:71]
	v_mul_f64_e32 v[70:71], v[90:91], v[70:71]
	v_add_f64_e32 v[4:5], 0, v[4:5]
	v_add_f64_e32 v[12:13], 0, v[12:13]
	v_fmac_f64_e32 v[98:99], v[10:11], v[64:65]
	v_fma_f64 v[64:65], v[8:9], v[64:65], -v[66:67]
	v_fmac_f64_e32 v[92:93], v[90:91], v[68:69]
	v_fma_f64 v[68:69], v[88:89], v[68:69], -v[70:71]
	v_add_f64_e32 v[4:5], v[4:5], v[60:61]
	v_add_f64_e32 v[12:13], v[12:13], v[96:97]
	ds_load_b128 v[8:11], v2 offset:688
	ds_load_b128 v[60:63], v2 offset:704
	s_wait_loadcnt_dscnt 0x301
	v_mul_f64_e32 v[66:67], v[8:9], v[74:75]
	v_mul_f64_e32 v[74:75], v[10:11], v[74:75]
	s_wait_loadcnt_dscnt 0x200
	v_mul_f64_e32 v[70:71], v[62:63], v[78:79]
	v_add_f64_e32 v[4:5], v[4:5], v[64:65]
	v_add_f64_e32 v[12:13], v[12:13], v[98:99]
	v_mul_f64_e32 v[64:65], v[60:61], v[78:79]
	v_fmac_f64_e32 v[66:67], v[10:11], v[72:73]
	v_fma_f64 v[72:73], v[8:9], v[72:73], -v[74:75]
	ds_load_b128 v[8:11], v2 offset:720
	v_fma_f64 v[60:61], v[60:61], v[76:77], -v[70:71]
	v_add_f64_e32 v[4:5], v[4:5], v[68:69]
	v_add_f64_e32 v[12:13], v[12:13], v[92:93]
	v_fmac_f64_e32 v[64:65], v[62:63], v[76:77]
	s_wait_loadcnt_dscnt 0x100
	v_mul_f64_e32 v[68:69], v[8:9], v[82:83]
	v_mul_f64_e32 v[74:75], v[10:11], v[82:83]
	v_add_f64_e32 v[4:5], v[4:5], v[72:73]
	v_add_f64_e32 v[12:13], v[12:13], v[66:67]
	s_delay_alu instid0(VALU_DEP_4) | instskip(NEXT) | instid1(VALU_DEP_4)
	v_fmac_f64_e32 v[68:69], v[10:11], v[80:81]
	v_fma_f64 v[8:9], v[8:9], v[80:81], -v[74:75]
	s_delay_alu instid0(VALU_DEP_4) | instskip(NEXT) | instid1(VALU_DEP_4)
	v_add_f64_e32 v[4:5], v[4:5], v[60:61]
	v_add_f64_e32 v[10:11], v[12:13], v[64:65]
	s_delay_alu instid0(VALU_DEP_2) | instskip(NEXT) | instid1(VALU_DEP_2)
	v_add_f64_e32 v[4:5], v[4:5], v[8:9]
	v_add_f64_e32 v[10:11], v[10:11], v[68:69]
	s_wait_loadcnt 0x0
	s_delay_alu instid0(VALU_DEP_2) | instskip(NEXT) | instid1(VALU_DEP_2)
	v_add_f64_e64 v[8:9], v[84:85], -v[4:5]
	v_add_f64_e64 v[10:11], v[86:87], -v[10:11]
	scratch_store_b128 off, v[8:11], off offset:240
	s_wait_xcnt 0x0
	v_cmpx_lt_u32_e32 14, v1
	s_cbranch_execz .LBB86_123
; %bb.122:
	scratch_load_b128 v[8:11], off, s17
	v_dual_mov_b32 v3, v2 :: v_dual_mov_b32 v4, v2
	v_mov_b32_e32 v5, v2
	scratch_store_b128 off, v[2:5], off offset:224
	s_wait_loadcnt 0x0
	ds_store_b128 v6, v[8:11]
.LBB86_123:
	s_wait_xcnt 0x0
	s_or_b32 exec_lo, exec_lo, s2
	s_wait_storecnt_dscnt 0x0
	s_barrier_signal -1
	s_barrier_wait -1
	s_clause 0x7
	scratch_load_b128 v[8:11], off, off offset:240
	scratch_load_b128 v[60:63], off, off offset:256
	;; [unrolled: 1-line block ×8, first 2 shown]
	ds_load_b128 v[88:91], v2 offset:608
	ds_load_b128 v[92:95], v2 offset:624
	scratch_load_b128 v[96:99], off, off offset:224
	s_mov_b32 s2, exec_lo
	s_wait_loadcnt_dscnt 0x801
	v_mul_f64_e32 v[4:5], v[90:91], v[10:11]
	v_mul_f64_e32 v[12:13], v[88:89], v[10:11]
	s_wait_loadcnt_dscnt 0x700
	v_mul_f64_e32 v[100:101], v[92:93], v[62:63]
	v_mul_f64_e32 v[62:63], v[94:95], v[62:63]
	s_delay_alu instid0(VALU_DEP_4) | instskip(NEXT) | instid1(VALU_DEP_4)
	v_fma_f64 v[4:5], v[88:89], v[8:9], -v[4:5]
	v_fmac_f64_e32 v[12:13], v[90:91], v[8:9]
	ds_load_b128 v[8:11], v2 offset:640
	ds_load_b128 v[88:91], v2 offset:656
	v_fmac_f64_e32 v[100:101], v[94:95], v[60:61]
	v_fma_f64 v[60:61], v[92:93], v[60:61], -v[62:63]
	s_wait_loadcnt_dscnt 0x601
	v_mul_f64_e32 v[102:103], v[8:9], v[66:67]
	v_mul_f64_e32 v[66:67], v[10:11], v[66:67]
	s_wait_loadcnt_dscnt 0x500
	v_mul_f64_e32 v[92:93], v[88:89], v[70:71]
	v_mul_f64_e32 v[70:71], v[90:91], v[70:71]
	v_add_f64_e32 v[4:5], 0, v[4:5]
	v_add_f64_e32 v[12:13], 0, v[12:13]
	v_fmac_f64_e32 v[102:103], v[10:11], v[64:65]
	v_fma_f64 v[64:65], v[8:9], v[64:65], -v[66:67]
	v_fmac_f64_e32 v[92:93], v[90:91], v[68:69]
	v_fma_f64 v[68:69], v[88:89], v[68:69], -v[70:71]
	v_add_f64_e32 v[4:5], v[4:5], v[60:61]
	v_add_f64_e32 v[12:13], v[12:13], v[100:101]
	ds_load_b128 v[8:11], v2 offset:672
	ds_load_b128 v[60:63], v2 offset:688
	s_wait_loadcnt_dscnt 0x401
	v_mul_f64_e32 v[66:67], v[8:9], v[74:75]
	v_mul_f64_e32 v[74:75], v[10:11], v[74:75]
	s_wait_loadcnt_dscnt 0x300
	v_mul_f64_e32 v[70:71], v[62:63], v[78:79]
	v_add_f64_e32 v[4:5], v[4:5], v[64:65]
	v_add_f64_e32 v[12:13], v[12:13], v[102:103]
	v_mul_f64_e32 v[64:65], v[60:61], v[78:79]
	v_fmac_f64_e32 v[66:67], v[10:11], v[72:73]
	v_fma_f64 v[72:73], v[8:9], v[72:73], -v[74:75]
	v_fma_f64 v[60:61], v[60:61], v[76:77], -v[70:71]
	v_add_f64_e32 v[68:69], v[4:5], v[68:69]
	v_add_f64_e32 v[12:13], v[12:13], v[92:93]
	ds_load_b128 v[8:11], v2 offset:704
	ds_load_b128 v[2:5], v2 offset:720
	v_fmac_f64_e32 v[64:65], v[62:63], v[76:77]
	s_wait_loadcnt_dscnt 0x201
	v_mul_f64_e32 v[74:75], v[8:9], v[82:83]
	v_mul_f64_e32 v[78:79], v[10:11], v[82:83]
	v_add_f64_e32 v[62:63], v[68:69], v[72:73]
	v_add_f64_e32 v[12:13], v[12:13], v[66:67]
	s_wait_loadcnt_dscnt 0x100
	v_mul_f64_e32 v[66:67], v[2:3], v[86:87]
	v_mul_f64_e32 v[68:69], v[4:5], v[86:87]
	v_fmac_f64_e32 v[74:75], v[10:11], v[80:81]
	v_fma_f64 v[8:9], v[8:9], v[80:81], -v[78:79]
	v_add_f64_e32 v[10:11], v[62:63], v[60:61]
	v_add_f64_e32 v[12:13], v[12:13], v[64:65]
	v_fmac_f64_e32 v[66:67], v[4:5], v[84:85]
	v_fma_f64 v[2:3], v[2:3], v[84:85], -v[68:69]
	s_delay_alu instid0(VALU_DEP_4) | instskip(NEXT) | instid1(VALU_DEP_4)
	v_add_f64_e32 v[4:5], v[10:11], v[8:9]
	v_add_f64_e32 v[8:9], v[12:13], v[74:75]
	s_delay_alu instid0(VALU_DEP_2) | instskip(NEXT) | instid1(VALU_DEP_2)
	v_add_f64_e32 v[2:3], v[4:5], v[2:3]
	v_add_f64_e32 v[4:5], v[8:9], v[66:67]
	s_wait_loadcnt 0x0
	s_delay_alu instid0(VALU_DEP_2) | instskip(NEXT) | instid1(VALU_DEP_2)
	v_add_f64_e64 v[2:3], v[96:97], -v[2:3]
	v_add_f64_e64 v[4:5], v[98:99], -v[4:5]
	scratch_store_b128 off, v[2:5], off offset:224
	s_wait_xcnt 0x0
	v_cmpx_lt_u32_e32 13, v1
	s_cbranch_execz .LBB86_125
; %bb.124:
	scratch_load_b128 v[2:5], off, s27
	v_mov_b32_e32 v8, 0
	s_delay_alu instid0(VALU_DEP_1)
	v_dual_mov_b32 v9, v8 :: v_dual_mov_b32 v10, v8
	v_mov_b32_e32 v11, v8
	scratch_store_b128 off, v[8:11], off offset:208
	s_wait_loadcnt 0x0
	ds_store_b128 v6, v[2:5]
.LBB86_125:
	s_wait_xcnt 0x0
	s_or_b32 exec_lo, exec_lo, s2
	s_wait_storecnt_dscnt 0x0
	s_barrier_signal -1
	s_barrier_wait -1
	s_clause 0x8
	scratch_load_b128 v[8:11], off, off offset:224
	scratch_load_b128 v[60:63], off, off offset:240
	scratch_load_b128 v[64:67], off, off offset:256
	scratch_load_b128 v[68:71], off, off offset:272
	scratch_load_b128 v[72:75], off, off offset:288
	scratch_load_b128 v[76:79], off, off offset:304
	scratch_load_b128 v[80:83], off, off offset:320
	scratch_load_b128 v[84:87], off, off offset:336
	scratch_load_b128 v[88:91], off, off offset:352
	v_mov_b32_e32 v2, 0
	scratch_load_b128 v[96:99], off, off offset:208
	s_mov_b32 s2, exec_lo
	ds_load_b128 v[92:95], v2 offset:592
	ds_load_b128 v[100:103], v2 offset:608
	s_wait_loadcnt_dscnt 0x901
	v_mul_f64_e32 v[4:5], v[94:95], v[10:11]
	v_mul_f64_e32 v[12:13], v[92:93], v[10:11]
	s_wait_loadcnt_dscnt 0x800
	v_mul_f64_e32 v[104:105], v[100:101], v[62:63]
	v_mul_f64_e32 v[62:63], v[102:103], v[62:63]
	s_delay_alu instid0(VALU_DEP_4) | instskip(NEXT) | instid1(VALU_DEP_4)
	v_fma_f64 v[4:5], v[92:93], v[8:9], -v[4:5]
	v_fmac_f64_e32 v[12:13], v[94:95], v[8:9]
	ds_load_b128 v[8:11], v2 offset:624
	ds_load_b128 v[92:95], v2 offset:640
	v_fmac_f64_e32 v[104:105], v[102:103], v[60:61]
	v_fma_f64 v[60:61], v[100:101], v[60:61], -v[62:63]
	s_wait_loadcnt_dscnt 0x701
	v_mul_f64_e32 v[106:107], v[8:9], v[66:67]
	v_mul_f64_e32 v[66:67], v[10:11], v[66:67]
	s_wait_loadcnt_dscnt 0x600
	v_mul_f64_e32 v[100:101], v[92:93], v[70:71]
	v_mul_f64_e32 v[70:71], v[94:95], v[70:71]
	v_add_f64_e32 v[4:5], 0, v[4:5]
	v_add_f64_e32 v[12:13], 0, v[12:13]
	v_fmac_f64_e32 v[106:107], v[10:11], v[64:65]
	v_fma_f64 v[64:65], v[8:9], v[64:65], -v[66:67]
	v_fmac_f64_e32 v[100:101], v[94:95], v[68:69]
	v_fma_f64 v[68:69], v[92:93], v[68:69], -v[70:71]
	v_add_f64_e32 v[4:5], v[4:5], v[60:61]
	v_add_f64_e32 v[12:13], v[12:13], v[104:105]
	ds_load_b128 v[8:11], v2 offset:656
	ds_load_b128 v[60:63], v2 offset:672
	s_wait_loadcnt_dscnt 0x501
	v_mul_f64_e32 v[102:103], v[8:9], v[74:75]
	v_mul_f64_e32 v[66:67], v[10:11], v[74:75]
	s_wait_loadcnt_dscnt 0x400
	v_mul_f64_e32 v[70:71], v[60:61], v[78:79]
	v_mul_f64_e32 v[74:75], v[62:63], v[78:79]
	v_add_f64_e32 v[4:5], v[4:5], v[64:65]
	v_add_f64_e32 v[12:13], v[12:13], v[106:107]
	v_fmac_f64_e32 v[102:103], v[10:11], v[72:73]
	v_fma_f64 v[72:73], v[8:9], v[72:73], -v[66:67]
	ds_load_b128 v[8:11], v2 offset:688
	ds_load_b128 v[64:67], v2 offset:704
	v_fmac_f64_e32 v[70:71], v[62:63], v[76:77]
	v_fma_f64 v[60:61], v[60:61], v[76:77], -v[74:75]
	v_add_f64_e32 v[4:5], v[4:5], v[68:69]
	v_add_f64_e32 v[12:13], v[12:13], v[100:101]
	s_wait_loadcnt_dscnt 0x301
	v_mul_f64_e32 v[68:69], v[8:9], v[82:83]
	v_mul_f64_e32 v[78:79], v[10:11], v[82:83]
	s_wait_loadcnt_dscnt 0x200
	v_mul_f64_e32 v[62:63], v[64:65], v[86:87]
	v_add_f64_e32 v[4:5], v[4:5], v[72:73]
	v_add_f64_e32 v[12:13], v[12:13], v[102:103]
	v_mul_f64_e32 v[72:73], v[66:67], v[86:87]
	v_fmac_f64_e32 v[68:69], v[10:11], v[80:81]
	v_fma_f64 v[74:75], v[8:9], v[80:81], -v[78:79]
	ds_load_b128 v[8:11], v2 offset:720
	v_fmac_f64_e32 v[62:63], v[66:67], v[84:85]
	v_add_f64_e32 v[4:5], v[4:5], v[60:61]
	v_add_f64_e32 v[12:13], v[12:13], v[70:71]
	s_wait_loadcnt_dscnt 0x100
	v_mul_f64_e32 v[60:61], v[8:9], v[90:91]
	v_mul_f64_e32 v[70:71], v[10:11], v[90:91]
	v_fma_f64 v[64:65], v[64:65], v[84:85], -v[72:73]
	v_add_f64_e32 v[4:5], v[4:5], v[74:75]
	v_add_f64_e32 v[12:13], v[12:13], v[68:69]
	v_fmac_f64_e32 v[60:61], v[10:11], v[88:89]
	v_fma_f64 v[8:9], v[8:9], v[88:89], -v[70:71]
	s_delay_alu instid0(VALU_DEP_4) | instskip(NEXT) | instid1(VALU_DEP_4)
	v_add_f64_e32 v[4:5], v[4:5], v[64:65]
	v_add_f64_e32 v[10:11], v[12:13], v[62:63]
	s_delay_alu instid0(VALU_DEP_2) | instskip(NEXT) | instid1(VALU_DEP_2)
	v_add_f64_e32 v[4:5], v[4:5], v[8:9]
	v_add_f64_e32 v[10:11], v[10:11], v[60:61]
	s_wait_loadcnt 0x0
	s_delay_alu instid0(VALU_DEP_2) | instskip(NEXT) | instid1(VALU_DEP_2)
	v_add_f64_e64 v[8:9], v[96:97], -v[4:5]
	v_add_f64_e64 v[10:11], v[98:99], -v[10:11]
	scratch_store_b128 off, v[8:11], off offset:208
	s_wait_xcnt 0x0
	v_cmpx_lt_u32_e32 12, v1
	s_cbranch_execz .LBB86_127
; %bb.126:
	scratch_load_b128 v[8:11], off, s16
	v_dual_mov_b32 v3, v2 :: v_dual_mov_b32 v4, v2
	v_mov_b32_e32 v5, v2
	scratch_store_b128 off, v[2:5], off offset:192
	s_wait_loadcnt 0x0
	ds_store_b128 v6, v[8:11]
.LBB86_127:
	s_wait_xcnt 0x0
	s_or_b32 exec_lo, exec_lo, s2
	s_wait_storecnt_dscnt 0x0
	s_barrier_signal -1
	s_barrier_wait -1
	s_clause 0x9
	scratch_load_b128 v[8:11], off, off offset:208
	scratch_load_b128 v[60:63], off, off offset:224
	;; [unrolled: 1-line block ×10, first 2 shown]
	ds_load_b128 v[96:99], v2 offset:576
	ds_load_b128 v[100:103], v2 offset:592
	scratch_load_b128 v[104:107], off, off offset:192
	s_mov_b32 s2, exec_lo
	s_wait_loadcnt_dscnt 0xa01
	v_mul_f64_e32 v[4:5], v[98:99], v[10:11]
	v_mul_f64_e32 v[12:13], v[96:97], v[10:11]
	s_wait_loadcnt_dscnt 0x900
	v_mul_f64_e32 v[108:109], v[100:101], v[62:63]
	v_mul_f64_e32 v[62:63], v[102:103], v[62:63]
	s_delay_alu instid0(VALU_DEP_4) | instskip(NEXT) | instid1(VALU_DEP_4)
	v_fma_f64 v[4:5], v[96:97], v[8:9], -v[4:5]
	v_fmac_f64_e32 v[12:13], v[98:99], v[8:9]
	ds_load_b128 v[8:11], v2 offset:608
	ds_load_b128 v[96:99], v2 offset:624
	v_fmac_f64_e32 v[108:109], v[102:103], v[60:61]
	v_fma_f64 v[60:61], v[100:101], v[60:61], -v[62:63]
	s_wait_loadcnt_dscnt 0x801
	v_mul_f64_e32 v[110:111], v[8:9], v[66:67]
	v_mul_f64_e32 v[66:67], v[10:11], v[66:67]
	s_wait_loadcnt_dscnt 0x700
	v_mul_f64_e32 v[100:101], v[96:97], v[70:71]
	v_mul_f64_e32 v[70:71], v[98:99], v[70:71]
	v_add_f64_e32 v[4:5], 0, v[4:5]
	v_add_f64_e32 v[12:13], 0, v[12:13]
	v_fmac_f64_e32 v[110:111], v[10:11], v[64:65]
	v_fma_f64 v[64:65], v[8:9], v[64:65], -v[66:67]
	v_fmac_f64_e32 v[100:101], v[98:99], v[68:69]
	v_fma_f64 v[68:69], v[96:97], v[68:69], -v[70:71]
	v_add_f64_e32 v[4:5], v[4:5], v[60:61]
	v_add_f64_e32 v[12:13], v[12:13], v[108:109]
	ds_load_b128 v[8:11], v2 offset:640
	ds_load_b128 v[60:63], v2 offset:656
	s_wait_loadcnt_dscnt 0x601
	v_mul_f64_e32 v[102:103], v[8:9], v[74:75]
	v_mul_f64_e32 v[66:67], v[10:11], v[74:75]
	s_wait_loadcnt_dscnt 0x500
	v_mul_f64_e32 v[70:71], v[60:61], v[78:79]
	v_mul_f64_e32 v[74:75], v[62:63], v[78:79]
	v_add_f64_e32 v[4:5], v[4:5], v[64:65]
	v_add_f64_e32 v[12:13], v[12:13], v[110:111]
	v_fmac_f64_e32 v[102:103], v[10:11], v[72:73]
	v_fma_f64 v[72:73], v[8:9], v[72:73], -v[66:67]
	ds_load_b128 v[8:11], v2 offset:672
	ds_load_b128 v[64:67], v2 offset:688
	v_fmac_f64_e32 v[70:71], v[62:63], v[76:77]
	v_fma_f64 v[60:61], v[60:61], v[76:77], -v[74:75]
	v_add_f64_e32 v[4:5], v[4:5], v[68:69]
	v_add_f64_e32 v[12:13], v[12:13], v[100:101]
	s_wait_loadcnt_dscnt 0x401
	v_mul_f64_e32 v[68:69], v[8:9], v[82:83]
	v_mul_f64_e32 v[78:79], v[10:11], v[82:83]
	s_wait_loadcnt_dscnt 0x300
	v_mul_f64_e32 v[62:63], v[64:65], v[86:87]
	v_add_f64_e32 v[4:5], v[4:5], v[72:73]
	v_add_f64_e32 v[12:13], v[12:13], v[102:103]
	v_mul_f64_e32 v[72:73], v[66:67], v[86:87]
	v_fmac_f64_e32 v[68:69], v[10:11], v[80:81]
	v_fma_f64 v[74:75], v[8:9], v[80:81], -v[78:79]
	v_fmac_f64_e32 v[62:63], v[66:67], v[84:85]
	v_add_f64_e32 v[60:61], v[4:5], v[60:61]
	v_add_f64_e32 v[12:13], v[12:13], v[70:71]
	ds_load_b128 v[8:11], v2 offset:704
	ds_load_b128 v[2:5], v2 offset:720
	v_fma_f64 v[64:65], v[64:65], v[84:85], -v[72:73]
	s_wait_loadcnt_dscnt 0x201
	v_mul_f64_e32 v[70:71], v[8:9], v[90:91]
	v_mul_f64_e32 v[76:77], v[10:11], v[90:91]
	s_wait_loadcnt_dscnt 0x100
	v_mul_f64_e32 v[66:67], v[2:3], v[94:95]
	v_add_f64_e32 v[60:61], v[60:61], v[74:75]
	v_add_f64_e32 v[12:13], v[12:13], v[68:69]
	v_mul_f64_e32 v[68:69], v[4:5], v[94:95]
	v_fmac_f64_e32 v[70:71], v[10:11], v[88:89]
	v_fma_f64 v[8:9], v[8:9], v[88:89], -v[76:77]
	v_fmac_f64_e32 v[66:67], v[4:5], v[92:93]
	v_add_f64_e32 v[10:11], v[60:61], v[64:65]
	v_add_f64_e32 v[12:13], v[12:13], v[62:63]
	v_fma_f64 v[2:3], v[2:3], v[92:93], -v[68:69]
	s_delay_alu instid0(VALU_DEP_3) | instskip(NEXT) | instid1(VALU_DEP_3)
	v_add_f64_e32 v[4:5], v[10:11], v[8:9]
	v_add_f64_e32 v[8:9], v[12:13], v[70:71]
	s_delay_alu instid0(VALU_DEP_2) | instskip(NEXT) | instid1(VALU_DEP_2)
	v_add_f64_e32 v[2:3], v[4:5], v[2:3]
	v_add_f64_e32 v[4:5], v[8:9], v[66:67]
	s_wait_loadcnt 0x0
	s_delay_alu instid0(VALU_DEP_2) | instskip(NEXT) | instid1(VALU_DEP_2)
	v_add_f64_e64 v[2:3], v[104:105], -v[2:3]
	v_add_f64_e64 v[4:5], v[106:107], -v[4:5]
	scratch_store_b128 off, v[2:5], off offset:192
	s_wait_xcnt 0x0
	v_cmpx_lt_u32_e32 11, v1
	s_cbranch_execz .LBB86_129
; %bb.128:
	scratch_load_b128 v[2:5], off, s26
	v_mov_b32_e32 v8, 0
	s_delay_alu instid0(VALU_DEP_1)
	v_dual_mov_b32 v9, v8 :: v_dual_mov_b32 v10, v8
	v_mov_b32_e32 v11, v8
	scratch_store_b128 off, v[8:11], off offset:176
	s_wait_loadcnt 0x0
	ds_store_b128 v6, v[2:5]
.LBB86_129:
	s_wait_xcnt 0x0
	s_or_b32 exec_lo, exec_lo, s2
	s_wait_storecnt_dscnt 0x0
	s_barrier_signal -1
	s_barrier_wait -1
	s_clause 0x9
	scratch_load_b128 v[8:11], off, off offset:192
	scratch_load_b128 v[60:63], off, off offset:208
	;; [unrolled: 1-line block ×10, first 2 shown]
	v_mov_b32_e32 v2, 0
	s_mov_b32 s2, exec_lo
	ds_load_b128 v[96:99], v2 offset:560
	s_clause 0x1
	scratch_load_b128 v[100:103], off, off offset:352
	scratch_load_b128 v[104:107], off, off offset:176
	s_wait_loadcnt_dscnt 0xb00
	v_mul_f64_e32 v[4:5], v[98:99], v[10:11]
	v_mul_f64_e32 v[12:13], v[96:97], v[10:11]
	ds_load_b128 v[108:111], v2 offset:576
	s_wait_loadcnt_dscnt 0xa00
	v_mul_f64_e32 v[112:113], v[108:109], v[62:63]
	v_mul_f64_e32 v[62:63], v[110:111], v[62:63]
	v_fma_f64 v[4:5], v[96:97], v[8:9], -v[4:5]
	v_fmac_f64_e32 v[12:13], v[98:99], v[8:9]
	ds_load_b128 v[8:11], v2 offset:592
	ds_load_b128 v[96:99], v2 offset:608
	s_wait_loadcnt_dscnt 0x901
	v_mul_f64_e32 v[114:115], v[8:9], v[66:67]
	v_mul_f64_e32 v[66:67], v[10:11], v[66:67]
	v_fmac_f64_e32 v[112:113], v[110:111], v[60:61]
	v_fma_f64 v[60:61], v[108:109], v[60:61], -v[62:63]
	s_wait_loadcnt_dscnt 0x800
	v_mul_f64_e32 v[108:109], v[96:97], v[70:71]
	v_mul_f64_e32 v[70:71], v[98:99], v[70:71]
	v_add_f64_e32 v[4:5], 0, v[4:5]
	v_add_f64_e32 v[12:13], 0, v[12:13]
	v_fmac_f64_e32 v[114:115], v[10:11], v[64:65]
	v_fma_f64 v[64:65], v[8:9], v[64:65], -v[66:67]
	v_fmac_f64_e32 v[108:109], v[98:99], v[68:69]
	v_fma_f64 v[68:69], v[96:97], v[68:69], -v[70:71]
	v_add_f64_e32 v[4:5], v[4:5], v[60:61]
	v_add_f64_e32 v[12:13], v[12:13], v[112:113]
	ds_load_b128 v[8:11], v2 offset:624
	ds_load_b128 v[60:63], v2 offset:640
	s_wait_loadcnt_dscnt 0x701
	v_mul_f64_e32 v[110:111], v[8:9], v[74:75]
	v_mul_f64_e32 v[66:67], v[10:11], v[74:75]
	s_wait_loadcnt_dscnt 0x600
	v_mul_f64_e32 v[70:71], v[60:61], v[78:79]
	v_mul_f64_e32 v[74:75], v[62:63], v[78:79]
	v_add_f64_e32 v[4:5], v[4:5], v[64:65]
	v_add_f64_e32 v[12:13], v[12:13], v[114:115]
	v_fmac_f64_e32 v[110:111], v[10:11], v[72:73]
	v_fma_f64 v[72:73], v[8:9], v[72:73], -v[66:67]
	ds_load_b128 v[8:11], v2 offset:656
	ds_load_b128 v[64:67], v2 offset:672
	v_fmac_f64_e32 v[70:71], v[62:63], v[76:77]
	v_fma_f64 v[60:61], v[60:61], v[76:77], -v[74:75]
	v_add_f64_e32 v[4:5], v[4:5], v[68:69]
	v_add_f64_e32 v[12:13], v[12:13], v[108:109]
	s_wait_loadcnt_dscnt 0x501
	v_mul_f64_e32 v[68:69], v[8:9], v[82:83]
	v_mul_f64_e32 v[78:79], v[10:11], v[82:83]
	s_wait_loadcnt_dscnt 0x400
	v_mul_f64_e32 v[74:75], v[66:67], v[86:87]
	v_add_f64_e32 v[4:5], v[4:5], v[72:73]
	v_add_f64_e32 v[12:13], v[12:13], v[110:111]
	v_mul_f64_e32 v[72:73], v[64:65], v[86:87]
	v_fmac_f64_e32 v[68:69], v[10:11], v[80:81]
	v_fma_f64 v[76:77], v[8:9], v[80:81], -v[78:79]
	v_fma_f64 v[64:65], v[64:65], v[84:85], -v[74:75]
	v_add_f64_e32 v[4:5], v[4:5], v[60:61]
	v_add_f64_e32 v[12:13], v[12:13], v[70:71]
	ds_load_b128 v[8:11], v2 offset:688
	ds_load_b128 v[60:63], v2 offset:704
	v_fmac_f64_e32 v[72:73], v[66:67], v[84:85]
	s_wait_loadcnt_dscnt 0x301
	v_mul_f64_e32 v[70:71], v[8:9], v[90:91]
	v_mul_f64_e32 v[78:79], v[10:11], v[90:91]
	s_wait_loadcnt_dscnt 0x200
	v_mul_f64_e32 v[66:67], v[60:61], v[94:95]
	v_add_f64_e32 v[4:5], v[4:5], v[76:77]
	v_add_f64_e32 v[12:13], v[12:13], v[68:69]
	v_mul_f64_e32 v[68:69], v[62:63], v[94:95]
	v_fmac_f64_e32 v[70:71], v[10:11], v[88:89]
	v_fma_f64 v[74:75], v[8:9], v[88:89], -v[78:79]
	ds_load_b128 v[8:11], v2 offset:720
	v_fmac_f64_e32 v[66:67], v[62:63], v[92:93]
	v_add_f64_e32 v[4:5], v[4:5], v[64:65]
	v_add_f64_e32 v[12:13], v[12:13], v[72:73]
	v_fma_f64 v[60:61], v[60:61], v[92:93], -v[68:69]
	s_wait_loadcnt_dscnt 0x100
	v_mul_f64_e32 v[64:65], v[8:9], v[102:103]
	v_mul_f64_e32 v[72:73], v[10:11], v[102:103]
	v_add_f64_e32 v[4:5], v[4:5], v[74:75]
	v_add_f64_e32 v[12:13], v[12:13], v[70:71]
	s_delay_alu instid0(VALU_DEP_4) | instskip(NEXT) | instid1(VALU_DEP_4)
	v_fmac_f64_e32 v[64:65], v[10:11], v[100:101]
	v_fma_f64 v[8:9], v[8:9], v[100:101], -v[72:73]
	s_delay_alu instid0(VALU_DEP_4) | instskip(NEXT) | instid1(VALU_DEP_4)
	v_add_f64_e32 v[4:5], v[4:5], v[60:61]
	v_add_f64_e32 v[10:11], v[12:13], v[66:67]
	s_delay_alu instid0(VALU_DEP_2) | instskip(NEXT) | instid1(VALU_DEP_2)
	v_add_f64_e32 v[4:5], v[4:5], v[8:9]
	v_add_f64_e32 v[10:11], v[10:11], v[64:65]
	s_wait_loadcnt 0x0
	s_delay_alu instid0(VALU_DEP_2) | instskip(NEXT) | instid1(VALU_DEP_2)
	v_add_f64_e64 v[8:9], v[104:105], -v[4:5]
	v_add_f64_e64 v[10:11], v[106:107], -v[10:11]
	scratch_store_b128 off, v[8:11], off offset:176
	s_wait_xcnt 0x0
	v_cmpx_lt_u32_e32 10, v1
	s_cbranch_execz .LBB86_131
; %bb.130:
	scratch_load_b128 v[8:11], off, s15
	v_dual_mov_b32 v3, v2 :: v_dual_mov_b32 v4, v2
	v_mov_b32_e32 v5, v2
	scratch_store_b128 off, v[2:5], off offset:160
	s_wait_loadcnt 0x0
	ds_store_b128 v6, v[8:11]
.LBB86_131:
	s_wait_xcnt 0x0
	s_or_b32 exec_lo, exec_lo, s2
	s_wait_storecnt_dscnt 0x0
	s_barrier_signal -1
	s_barrier_wait -1
	s_clause 0x9
	scratch_load_b128 v[8:11], off, off offset:176
	scratch_load_b128 v[60:63], off, off offset:192
	;; [unrolled: 1-line block ×10, first 2 shown]
	ds_load_b128 v[96:99], v2 offset:544
	ds_load_b128 v[104:107], v2 offset:560
	s_clause 0x1
	scratch_load_b128 v[100:103], off, off offset:336
	scratch_load_b128 v[108:111], off, off offset:160
	s_mov_b32 s2, exec_lo
	s_wait_loadcnt_dscnt 0xb01
	v_mul_f64_e32 v[4:5], v[98:99], v[10:11]
	v_mul_f64_e32 v[116:117], v[96:97], v[10:11]
	scratch_load_b128 v[10:13], off, off offset:352
	s_wait_loadcnt_dscnt 0xb00
	v_mul_f64_e32 v[118:119], v[104:105], v[62:63]
	v_mul_f64_e32 v[62:63], v[106:107], v[62:63]
	v_fma_f64 v[4:5], v[96:97], v[8:9], -v[4:5]
	v_fmac_f64_e32 v[116:117], v[98:99], v[8:9]
	ds_load_b128 v[96:99], v2 offset:576
	ds_load_b128 v[112:115], v2 offset:592
	v_fmac_f64_e32 v[118:119], v[106:107], v[60:61]
	v_fma_f64 v[60:61], v[104:105], v[60:61], -v[62:63]
	s_wait_loadcnt_dscnt 0xa01
	v_mul_f64_e32 v[8:9], v[96:97], v[66:67]
	v_mul_f64_e32 v[66:67], v[98:99], v[66:67]
	s_wait_loadcnt_dscnt 0x900
	v_mul_f64_e32 v[104:105], v[112:113], v[70:71]
	v_mul_f64_e32 v[70:71], v[114:115], v[70:71]
	v_add_f64_e32 v[4:5], 0, v[4:5]
	v_add_f64_e32 v[62:63], 0, v[116:117]
	v_fmac_f64_e32 v[8:9], v[98:99], v[64:65]
	v_fma_f64 v[96:97], v[96:97], v[64:65], -v[66:67]
	v_fmac_f64_e32 v[104:105], v[114:115], v[68:69]
	v_fma_f64 v[68:69], v[112:113], v[68:69], -v[70:71]
	v_add_f64_e32 v[4:5], v[4:5], v[60:61]
	v_add_f64_e32 v[98:99], v[62:63], v[118:119]
	ds_load_b128 v[60:63], v2 offset:608
	ds_load_b128 v[64:67], v2 offset:624
	s_wait_loadcnt_dscnt 0x801
	v_mul_f64_e32 v[106:107], v[60:61], v[74:75]
	v_mul_f64_e32 v[74:75], v[62:63], v[74:75]
	v_add_f64_e32 v[4:5], v[4:5], v[96:97]
	v_add_f64_e32 v[8:9], v[98:99], v[8:9]
	s_wait_loadcnt_dscnt 0x700
	v_mul_f64_e32 v[96:97], v[64:65], v[78:79]
	v_mul_f64_e32 v[78:79], v[66:67], v[78:79]
	v_fmac_f64_e32 v[106:107], v[62:63], v[72:73]
	v_fma_f64 v[72:73], v[60:61], v[72:73], -v[74:75]
	v_add_f64_e32 v[4:5], v[4:5], v[68:69]
	v_add_f64_e32 v[8:9], v[8:9], v[104:105]
	ds_load_b128 v[60:63], v2 offset:640
	ds_load_b128 v[68:71], v2 offset:656
	v_fmac_f64_e32 v[96:97], v[66:67], v[76:77]
	v_fma_f64 v[64:65], v[64:65], v[76:77], -v[78:79]
	s_wait_loadcnt_dscnt 0x601
	v_mul_f64_e32 v[74:75], v[60:61], v[82:83]
	v_mul_f64_e32 v[82:83], v[62:63], v[82:83]
	s_wait_loadcnt_dscnt 0x500
	v_mul_f64_e32 v[76:77], v[70:71], v[86:87]
	v_add_f64_e32 v[4:5], v[4:5], v[72:73]
	v_add_f64_e32 v[8:9], v[8:9], v[106:107]
	v_mul_f64_e32 v[72:73], v[68:69], v[86:87]
	v_fmac_f64_e32 v[74:75], v[62:63], v[80:81]
	v_fma_f64 v[78:79], v[60:61], v[80:81], -v[82:83]
	v_fma_f64 v[68:69], v[68:69], v[84:85], -v[76:77]
	v_add_f64_e32 v[4:5], v[4:5], v[64:65]
	v_add_f64_e32 v[8:9], v[8:9], v[96:97]
	ds_load_b128 v[60:63], v2 offset:672
	ds_load_b128 v[64:67], v2 offset:688
	v_fmac_f64_e32 v[72:73], v[70:71], v[84:85]
	s_wait_loadcnt_dscnt 0x401
	v_mul_f64_e32 v[80:81], v[60:61], v[90:91]
	v_mul_f64_e32 v[82:83], v[62:63], v[90:91]
	s_wait_loadcnt_dscnt 0x300
	v_mul_f64_e32 v[70:71], v[64:65], v[94:95]
	v_add_f64_e32 v[4:5], v[4:5], v[78:79]
	v_add_f64_e32 v[8:9], v[8:9], v[74:75]
	v_mul_f64_e32 v[74:75], v[66:67], v[94:95]
	v_fmac_f64_e32 v[80:81], v[62:63], v[88:89]
	v_fma_f64 v[76:77], v[60:61], v[88:89], -v[82:83]
	v_fmac_f64_e32 v[70:71], v[66:67], v[92:93]
	v_add_f64_e32 v[68:69], v[4:5], v[68:69]
	v_add_f64_e32 v[8:9], v[8:9], v[72:73]
	ds_load_b128 v[60:63], v2 offset:704
	ds_load_b128 v[2:5], v2 offset:720
	v_fma_f64 v[64:65], v[64:65], v[92:93], -v[74:75]
	s_wait_loadcnt_dscnt 0x201
	v_mul_f64_e32 v[72:73], v[60:61], v[102:103]
	v_mul_f64_e32 v[78:79], v[62:63], v[102:103]
	v_add_f64_e32 v[66:67], v[68:69], v[76:77]
	v_add_f64_e32 v[8:9], v[8:9], v[80:81]
	s_wait_loadcnt_dscnt 0x0
	v_mul_f64_e32 v[68:69], v[2:3], v[12:13]
	v_mul_f64_e32 v[12:13], v[4:5], v[12:13]
	v_fmac_f64_e32 v[72:73], v[62:63], v[100:101]
	v_fma_f64 v[60:61], v[60:61], v[100:101], -v[78:79]
	v_add_f64_e32 v[62:63], v[66:67], v[64:65]
	v_add_f64_e32 v[8:9], v[8:9], v[70:71]
	v_fmac_f64_e32 v[68:69], v[4:5], v[10:11]
	v_fma_f64 v[2:3], v[2:3], v[10:11], -v[12:13]
	s_delay_alu instid0(VALU_DEP_4) | instskip(NEXT) | instid1(VALU_DEP_4)
	v_add_f64_e32 v[4:5], v[62:63], v[60:61]
	v_add_f64_e32 v[8:9], v[8:9], v[72:73]
	s_delay_alu instid0(VALU_DEP_2) | instskip(NEXT) | instid1(VALU_DEP_2)
	v_add_f64_e32 v[2:3], v[4:5], v[2:3]
	v_add_f64_e32 v[4:5], v[8:9], v[68:69]
	s_delay_alu instid0(VALU_DEP_2) | instskip(NEXT) | instid1(VALU_DEP_2)
	v_add_f64_e64 v[2:3], v[108:109], -v[2:3]
	v_add_f64_e64 v[4:5], v[110:111], -v[4:5]
	scratch_store_b128 off, v[2:5], off offset:160
	s_wait_xcnt 0x0
	v_cmpx_lt_u32_e32 9, v1
	s_cbranch_execz .LBB86_133
; %bb.132:
	scratch_load_b128 v[2:5], off, s25
	v_mov_b32_e32 v8, 0
	s_delay_alu instid0(VALU_DEP_1)
	v_dual_mov_b32 v9, v8 :: v_dual_mov_b32 v10, v8
	v_mov_b32_e32 v11, v8
	scratch_store_b128 off, v[8:11], off offset:144
	s_wait_loadcnt 0x0
	ds_store_b128 v6, v[2:5]
.LBB86_133:
	s_wait_xcnt 0x0
	s_or_b32 exec_lo, exec_lo, s2
	s_wait_storecnt_dscnt 0x0
	s_barrier_signal -1
	s_barrier_wait -1
	s_clause 0x9
	scratch_load_b128 v[8:11], off, off offset:160
	scratch_load_b128 v[60:63], off, off offset:176
	;; [unrolled: 1-line block ×10, first 2 shown]
	v_mov_b32_e32 v2, 0
	s_mov_b32 s2, exec_lo
	ds_load_b128 v[96:99], v2 offset:528
	s_clause 0x2
	scratch_load_b128 v[100:103], off, off offset:320
	scratch_load_b128 v[104:107], off, off offset:144
	;; [unrolled: 1-line block ×3, first 2 shown]
	s_wait_loadcnt_dscnt 0xc00
	v_mul_f64_e32 v[4:5], v[98:99], v[10:11]
	v_mul_f64_e32 v[120:121], v[96:97], v[10:11]
	ds_load_b128 v[108:111], v2 offset:544
	scratch_load_b128 v[10:13], off, off offset:336
	ds_load_b128 v[116:119], v2 offset:576
	v_fma_f64 v[4:5], v[96:97], v[8:9], -v[4:5]
	v_fmac_f64_e32 v[120:121], v[98:99], v[8:9]
	ds_load_b128 v[96:99], v2 offset:560
	s_wait_loadcnt_dscnt 0xc02
	v_mul_f64_e32 v[122:123], v[108:109], v[62:63]
	v_mul_f64_e32 v[62:63], v[110:111], v[62:63]
	s_wait_loadcnt_dscnt 0xb00
	v_mul_f64_e32 v[8:9], v[96:97], v[66:67]
	v_mul_f64_e32 v[66:67], v[98:99], v[66:67]
	v_add_f64_e32 v[4:5], 0, v[4:5]
	v_fmac_f64_e32 v[122:123], v[110:111], v[60:61]
	v_fma_f64 v[60:61], v[108:109], v[60:61], -v[62:63]
	v_add_f64_e32 v[62:63], 0, v[120:121]
	s_wait_loadcnt 0xa
	v_mul_f64_e32 v[108:109], v[116:117], v[70:71]
	v_mul_f64_e32 v[70:71], v[118:119], v[70:71]
	v_fmac_f64_e32 v[8:9], v[98:99], v[64:65]
	v_fma_f64 v[96:97], v[96:97], v[64:65], -v[66:67]
	v_add_f64_e32 v[4:5], v[4:5], v[60:61]
	v_add_f64_e32 v[98:99], v[62:63], v[122:123]
	ds_load_b128 v[60:63], v2 offset:592
	ds_load_b128 v[64:67], v2 offset:608
	v_fmac_f64_e32 v[108:109], v[118:119], v[68:69]
	v_fma_f64 v[68:69], v[116:117], v[68:69], -v[70:71]
	s_wait_loadcnt_dscnt 0x901
	v_mul_f64_e32 v[110:111], v[60:61], v[74:75]
	v_mul_f64_e32 v[74:75], v[62:63], v[74:75]
	v_add_f64_e32 v[4:5], v[4:5], v[96:97]
	v_add_f64_e32 v[8:9], v[98:99], v[8:9]
	s_wait_loadcnt_dscnt 0x800
	v_mul_f64_e32 v[96:97], v[64:65], v[78:79]
	v_mul_f64_e32 v[78:79], v[66:67], v[78:79]
	v_fmac_f64_e32 v[110:111], v[62:63], v[72:73]
	v_fma_f64 v[72:73], v[60:61], v[72:73], -v[74:75]
	v_add_f64_e32 v[4:5], v[4:5], v[68:69]
	v_add_f64_e32 v[8:9], v[8:9], v[108:109]
	ds_load_b128 v[60:63], v2 offset:624
	ds_load_b128 v[68:71], v2 offset:640
	v_fmac_f64_e32 v[96:97], v[66:67], v[76:77]
	v_fma_f64 v[64:65], v[64:65], v[76:77], -v[78:79]
	s_wait_loadcnt_dscnt 0x701
	v_mul_f64_e32 v[74:75], v[60:61], v[82:83]
	v_mul_f64_e32 v[82:83], v[62:63], v[82:83]
	s_wait_loadcnt_dscnt 0x600
	v_mul_f64_e32 v[76:77], v[70:71], v[86:87]
	v_add_f64_e32 v[4:5], v[4:5], v[72:73]
	v_add_f64_e32 v[8:9], v[8:9], v[110:111]
	v_mul_f64_e32 v[72:73], v[68:69], v[86:87]
	v_fmac_f64_e32 v[74:75], v[62:63], v[80:81]
	v_fma_f64 v[78:79], v[60:61], v[80:81], -v[82:83]
	v_fma_f64 v[68:69], v[68:69], v[84:85], -v[76:77]
	v_add_f64_e32 v[4:5], v[4:5], v[64:65]
	v_add_f64_e32 v[8:9], v[8:9], v[96:97]
	ds_load_b128 v[60:63], v2 offset:656
	ds_load_b128 v[64:67], v2 offset:672
	v_fmac_f64_e32 v[72:73], v[70:71], v[84:85]
	s_wait_loadcnt_dscnt 0x501
	v_mul_f64_e32 v[80:81], v[60:61], v[90:91]
	v_mul_f64_e32 v[82:83], v[62:63], v[90:91]
	s_wait_loadcnt_dscnt 0x400
	v_mul_f64_e32 v[76:77], v[66:67], v[94:95]
	v_add_f64_e32 v[4:5], v[4:5], v[78:79]
	v_add_f64_e32 v[8:9], v[8:9], v[74:75]
	v_mul_f64_e32 v[74:75], v[64:65], v[94:95]
	v_fmac_f64_e32 v[80:81], v[62:63], v[88:89]
	v_fma_f64 v[78:79], v[60:61], v[88:89], -v[82:83]
	v_fma_f64 v[64:65], v[64:65], v[92:93], -v[76:77]
	v_add_f64_e32 v[4:5], v[4:5], v[68:69]
	v_add_f64_e32 v[8:9], v[8:9], v[72:73]
	ds_load_b128 v[60:63], v2 offset:688
	ds_load_b128 v[68:71], v2 offset:704
	v_fmac_f64_e32 v[74:75], v[66:67], v[92:93]
	s_wait_loadcnt_dscnt 0x301
	v_mul_f64_e32 v[72:73], v[60:61], v[102:103]
	v_mul_f64_e32 v[82:83], v[62:63], v[102:103]
	s_wait_loadcnt_dscnt 0x0
	v_mul_f64_e32 v[66:67], v[68:69], v[12:13]
	v_add_f64_e32 v[4:5], v[4:5], v[78:79]
	v_add_f64_e32 v[8:9], v[8:9], v[80:81]
	v_mul_f64_e32 v[12:13], v[70:71], v[12:13]
	v_fmac_f64_e32 v[72:73], v[62:63], v[100:101]
	v_fma_f64 v[76:77], v[60:61], v[100:101], -v[82:83]
	ds_load_b128 v[60:63], v2 offset:720
	v_fmac_f64_e32 v[66:67], v[70:71], v[10:11]
	v_add_f64_e32 v[4:5], v[4:5], v[64:65]
	v_add_f64_e32 v[8:9], v[8:9], v[74:75]
	v_fma_f64 v[10:11], v[68:69], v[10:11], -v[12:13]
	s_wait_dscnt 0x0
	v_mul_f64_e32 v[64:65], v[60:61], v[114:115]
	v_mul_f64_e32 v[74:75], v[62:63], v[114:115]
	v_add_f64_e32 v[4:5], v[4:5], v[76:77]
	v_add_f64_e32 v[8:9], v[8:9], v[72:73]
	s_delay_alu instid0(VALU_DEP_4) | instskip(NEXT) | instid1(VALU_DEP_4)
	v_fmac_f64_e32 v[64:65], v[62:63], v[112:113]
	v_fma_f64 v[12:13], v[60:61], v[112:113], -v[74:75]
	s_delay_alu instid0(VALU_DEP_4) | instskip(NEXT) | instid1(VALU_DEP_4)
	v_add_f64_e32 v[4:5], v[4:5], v[10:11]
	v_add_f64_e32 v[8:9], v[8:9], v[66:67]
	s_delay_alu instid0(VALU_DEP_2) | instskip(NEXT) | instid1(VALU_DEP_2)
	v_add_f64_e32 v[4:5], v[4:5], v[12:13]
	v_add_f64_e32 v[10:11], v[8:9], v[64:65]
	s_delay_alu instid0(VALU_DEP_2) | instskip(NEXT) | instid1(VALU_DEP_2)
	v_add_f64_e64 v[8:9], v[104:105], -v[4:5]
	v_add_f64_e64 v[10:11], v[106:107], -v[10:11]
	scratch_store_b128 off, v[8:11], off offset:144
	s_wait_xcnt 0x0
	v_cmpx_lt_u32_e32 8, v1
	s_cbranch_execz .LBB86_135
; %bb.134:
	scratch_load_b128 v[8:11], off, s14
	v_dual_mov_b32 v3, v2 :: v_dual_mov_b32 v4, v2
	v_mov_b32_e32 v5, v2
	scratch_store_b128 off, v[2:5], off offset:128
	s_wait_loadcnt 0x0
	ds_store_b128 v6, v[8:11]
.LBB86_135:
	s_wait_xcnt 0x0
	s_or_b32 exec_lo, exec_lo, s2
	s_wait_storecnt_dscnt 0x0
	s_barrier_signal -1
	s_barrier_wait -1
	s_clause 0x9
	scratch_load_b128 v[8:11], off, off offset:144
	scratch_load_b128 v[60:63], off, off offset:160
	;; [unrolled: 1-line block ×10, first 2 shown]
	ds_load_b128 v[96:99], v2 offset:512
	ds_load_b128 v[104:107], v2 offset:528
	s_clause 0x1
	scratch_load_b128 v[100:103], off, off offset:304
	scratch_load_b128 v[108:111], off, off offset:128
	s_mov_b32 s2, exec_lo
	s_wait_loadcnt_dscnt 0xb01
	v_mul_f64_e32 v[4:5], v[98:99], v[10:11]
	v_mul_f64_e32 v[120:121], v[96:97], v[10:11]
	scratch_load_b128 v[10:13], off, off offset:320
	s_wait_loadcnt_dscnt 0xb00
	v_mul_f64_e32 v[122:123], v[104:105], v[62:63]
	v_mul_f64_e32 v[62:63], v[106:107], v[62:63]
	v_fma_f64 v[4:5], v[96:97], v[8:9], -v[4:5]
	v_fmac_f64_e32 v[120:121], v[98:99], v[8:9]
	ds_load_b128 v[96:99], v2 offset:544
	ds_load_b128 v[112:115], v2 offset:560
	scratch_load_b128 v[116:119], off, off offset:336
	v_fmac_f64_e32 v[122:123], v[106:107], v[60:61]
	v_fma_f64 v[104:105], v[104:105], v[60:61], -v[62:63]
	scratch_load_b128 v[60:63], off, off offset:352
	s_wait_loadcnt_dscnt 0xc01
	v_mul_f64_e32 v[8:9], v[96:97], v[66:67]
	v_mul_f64_e32 v[66:67], v[98:99], v[66:67]
	v_add_f64_e32 v[4:5], 0, v[4:5]
	v_add_f64_e32 v[106:107], 0, v[120:121]
	s_wait_loadcnt_dscnt 0xb00
	v_mul_f64_e32 v[120:121], v[112:113], v[70:71]
	v_mul_f64_e32 v[70:71], v[114:115], v[70:71]
	v_fmac_f64_e32 v[8:9], v[98:99], v[64:65]
	v_fma_f64 v[124:125], v[96:97], v[64:65], -v[66:67]
	ds_load_b128 v[64:67], v2 offset:576
	ds_load_b128 v[96:99], v2 offset:592
	v_add_f64_e32 v[4:5], v[4:5], v[104:105]
	v_add_f64_e32 v[104:105], v[106:107], v[122:123]
	v_fmac_f64_e32 v[120:121], v[114:115], v[68:69]
	v_fma_f64 v[68:69], v[112:113], v[68:69], -v[70:71]
	s_wait_loadcnt_dscnt 0xa01
	v_mul_f64_e32 v[106:107], v[64:65], v[74:75]
	v_mul_f64_e32 v[74:75], v[66:67], v[74:75]
	v_add_f64_e32 v[4:5], v[4:5], v[124:125]
	v_add_f64_e32 v[8:9], v[104:105], v[8:9]
	s_wait_loadcnt_dscnt 0x900
	v_mul_f64_e32 v[104:105], v[96:97], v[78:79]
	v_mul_f64_e32 v[78:79], v[98:99], v[78:79]
	v_fmac_f64_e32 v[106:107], v[66:67], v[72:73]
	v_fma_f64 v[72:73], v[64:65], v[72:73], -v[74:75]
	v_add_f64_e32 v[4:5], v[4:5], v[68:69]
	v_add_f64_e32 v[8:9], v[8:9], v[120:121]
	ds_load_b128 v[64:67], v2 offset:608
	ds_load_b128 v[68:71], v2 offset:624
	v_fmac_f64_e32 v[104:105], v[98:99], v[76:77]
	v_fma_f64 v[76:77], v[96:97], v[76:77], -v[78:79]
	s_wait_loadcnt_dscnt 0x801
	v_mul_f64_e32 v[112:113], v[64:65], v[82:83]
	v_mul_f64_e32 v[74:75], v[66:67], v[82:83]
	s_wait_loadcnt_dscnt 0x700
	v_mul_f64_e32 v[78:79], v[68:69], v[86:87]
	v_mul_f64_e32 v[82:83], v[70:71], v[86:87]
	v_add_f64_e32 v[4:5], v[4:5], v[72:73]
	v_add_f64_e32 v[8:9], v[8:9], v[106:107]
	v_fmac_f64_e32 v[112:113], v[66:67], v[80:81]
	v_fma_f64 v[80:81], v[64:65], v[80:81], -v[74:75]
	ds_load_b128 v[64:67], v2 offset:640
	ds_load_b128 v[72:75], v2 offset:656
	v_fmac_f64_e32 v[78:79], v[70:71], v[84:85]
	v_fma_f64 v[68:69], v[68:69], v[84:85], -v[82:83]
	v_add_f64_e32 v[4:5], v[4:5], v[76:77]
	v_add_f64_e32 v[8:9], v[8:9], v[104:105]
	s_wait_loadcnt_dscnt 0x601
	v_mul_f64_e32 v[76:77], v[64:65], v[90:91]
	v_mul_f64_e32 v[86:87], v[66:67], v[90:91]
	s_wait_loadcnt_dscnt 0x500
	v_mul_f64_e32 v[82:83], v[74:75], v[94:95]
	v_add_f64_e32 v[4:5], v[4:5], v[80:81]
	v_add_f64_e32 v[8:9], v[8:9], v[112:113]
	v_mul_f64_e32 v[80:81], v[72:73], v[94:95]
	v_fmac_f64_e32 v[76:77], v[66:67], v[88:89]
	v_fma_f64 v[84:85], v[64:65], v[88:89], -v[86:87]
	v_fma_f64 v[72:73], v[72:73], v[92:93], -v[82:83]
	v_add_f64_e32 v[4:5], v[4:5], v[68:69]
	v_add_f64_e32 v[8:9], v[8:9], v[78:79]
	ds_load_b128 v[64:67], v2 offset:672
	ds_load_b128 v[68:71], v2 offset:688
	v_fmac_f64_e32 v[80:81], v[74:75], v[92:93]
	s_wait_loadcnt_dscnt 0x401
	v_mul_f64_e32 v[78:79], v[64:65], v[102:103]
	v_mul_f64_e32 v[86:87], v[66:67], v[102:103]
	v_add_f64_e32 v[4:5], v[4:5], v[84:85]
	v_add_f64_e32 v[8:9], v[8:9], v[76:77]
	s_wait_loadcnt_dscnt 0x200
	v_mul_f64_e32 v[74:75], v[68:69], v[12:13]
	v_mul_f64_e32 v[12:13], v[70:71], v[12:13]
	v_fmac_f64_e32 v[78:79], v[66:67], v[100:101]
	v_fma_f64 v[76:77], v[64:65], v[100:101], -v[86:87]
	v_add_f64_e32 v[72:73], v[4:5], v[72:73]
	v_add_f64_e32 v[8:9], v[8:9], v[80:81]
	ds_load_b128 v[64:67], v2 offset:704
	ds_load_b128 v[2:5], v2 offset:720
	v_fmac_f64_e32 v[74:75], v[70:71], v[10:11]
	v_fma_f64 v[10:11], v[68:69], v[10:11], -v[12:13]
	s_wait_loadcnt_dscnt 0x101
	v_mul_f64_e32 v[80:81], v[64:65], v[118:119]
	v_mul_f64_e32 v[82:83], v[66:67], v[118:119]
	s_wait_loadcnt_dscnt 0x0
	v_mul_f64_e32 v[68:69], v[2:3], v[62:63]
	v_mul_f64_e32 v[62:63], v[4:5], v[62:63]
	v_add_f64_e32 v[12:13], v[72:73], v[76:77]
	v_add_f64_e32 v[8:9], v[8:9], v[78:79]
	v_fmac_f64_e32 v[80:81], v[66:67], v[116:117]
	v_fma_f64 v[64:65], v[64:65], v[116:117], -v[82:83]
	v_fmac_f64_e32 v[68:69], v[4:5], v[60:61]
	v_fma_f64 v[2:3], v[2:3], v[60:61], -v[62:63]
	v_add_f64_e32 v[10:11], v[12:13], v[10:11]
	v_add_f64_e32 v[8:9], v[8:9], v[74:75]
	s_delay_alu instid0(VALU_DEP_2) | instskip(NEXT) | instid1(VALU_DEP_2)
	v_add_f64_e32 v[4:5], v[10:11], v[64:65]
	v_add_f64_e32 v[8:9], v[8:9], v[80:81]
	s_delay_alu instid0(VALU_DEP_2) | instskip(NEXT) | instid1(VALU_DEP_2)
	v_add_f64_e32 v[2:3], v[4:5], v[2:3]
	v_add_f64_e32 v[4:5], v[8:9], v[68:69]
	s_delay_alu instid0(VALU_DEP_2) | instskip(NEXT) | instid1(VALU_DEP_2)
	v_add_f64_e64 v[2:3], v[108:109], -v[2:3]
	v_add_f64_e64 v[4:5], v[110:111], -v[4:5]
	scratch_store_b128 off, v[2:5], off offset:128
	s_wait_xcnt 0x0
	v_cmpx_lt_u32_e32 7, v1
	s_cbranch_execz .LBB86_137
; %bb.136:
	scratch_load_b128 v[2:5], off, s24
	v_mov_b32_e32 v8, 0
	s_delay_alu instid0(VALU_DEP_1)
	v_dual_mov_b32 v9, v8 :: v_dual_mov_b32 v10, v8
	v_mov_b32_e32 v11, v8
	scratch_store_b128 off, v[8:11], off offset:112
	s_wait_loadcnt 0x0
	ds_store_b128 v6, v[2:5]
.LBB86_137:
	s_wait_xcnt 0x0
	s_or_b32 exec_lo, exec_lo, s2
	s_wait_storecnt_dscnt 0x0
	s_barrier_signal -1
	s_barrier_wait -1
	s_clause 0x9
	scratch_load_b128 v[8:11], off, off offset:128
	scratch_load_b128 v[60:63], off, off offset:144
	;; [unrolled: 1-line block ×10, first 2 shown]
	v_mov_b32_e32 v2, 0
	s_mov_b32 s2, exec_lo
	ds_load_b128 v[96:99], v2 offset:496
	s_clause 0x2
	scratch_load_b128 v[100:103], off, off offset:288
	scratch_load_b128 v[104:107], off, off offset:112
	;; [unrolled: 1-line block ×3, first 2 shown]
	s_wait_loadcnt_dscnt 0xc00
	v_mul_f64_e32 v[4:5], v[98:99], v[10:11]
	v_mul_f64_e32 v[120:121], v[96:97], v[10:11]
	ds_load_b128 v[108:111], v2 offset:512
	scratch_load_b128 v[10:13], off, off offset:304
	ds_load_b128 v[116:119], v2 offset:544
	v_fma_f64 v[4:5], v[96:97], v[8:9], -v[4:5]
	v_fmac_f64_e32 v[120:121], v[98:99], v[8:9]
	ds_load_b128 v[96:99], v2 offset:528
	s_wait_loadcnt_dscnt 0xc02
	v_mul_f64_e32 v[122:123], v[108:109], v[62:63]
	v_mul_f64_e32 v[62:63], v[110:111], v[62:63]
	s_wait_loadcnt_dscnt 0xb00
	v_mul_f64_e32 v[8:9], v[96:97], v[66:67]
	v_mul_f64_e32 v[66:67], v[98:99], v[66:67]
	v_add_f64_e32 v[4:5], 0, v[4:5]
	v_fmac_f64_e32 v[122:123], v[110:111], v[60:61]
	v_fma_f64 v[108:109], v[108:109], v[60:61], -v[62:63]
	v_add_f64_e32 v[110:111], 0, v[120:121]
	scratch_load_b128 v[60:63], off, off offset:336
	v_fmac_f64_e32 v[8:9], v[98:99], v[64:65]
	v_fma_f64 v[124:125], v[96:97], v[64:65], -v[66:67]
	ds_load_b128 v[64:67], v2 offset:560
	s_wait_loadcnt 0xb
	v_mul_f64_e32 v[120:121], v[116:117], v[70:71]
	v_mul_f64_e32 v[70:71], v[118:119], v[70:71]
	scratch_load_b128 v[96:99], off, off offset:352
	v_add_f64_e32 v[4:5], v[4:5], v[108:109]
	v_add_f64_e32 v[122:123], v[110:111], v[122:123]
	ds_load_b128 v[108:111], v2 offset:576
	s_wait_loadcnt_dscnt 0xb01
	v_mul_f64_e32 v[126:127], v[64:65], v[74:75]
	v_mul_f64_e32 v[74:75], v[66:67], v[74:75]
	v_fmac_f64_e32 v[120:121], v[118:119], v[68:69]
	v_fma_f64 v[68:69], v[116:117], v[68:69], -v[70:71]
	s_wait_loadcnt_dscnt 0xa00
	v_mul_f64_e32 v[116:117], v[108:109], v[78:79]
	v_mul_f64_e32 v[78:79], v[110:111], v[78:79]
	v_add_f64_e32 v[4:5], v[4:5], v[124:125]
	v_add_f64_e32 v[8:9], v[122:123], v[8:9]
	v_fmac_f64_e32 v[126:127], v[66:67], v[72:73]
	v_fma_f64 v[72:73], v[64:65], v[72:73], -v[74:75]
	v_fmac_f64_e32 v[116:117], v[110:111], v[76:77]
	v_fma_f64 v[76:77], v[108:109], v[76:77], -v[78:79]
	v_add_f64_e32 v[4:5], v[4:5], v[68:69]
	v_add_f64_e32 v[8:9], v[8:9], v[120:121]
	ds_load_b128 v[64:67], v2 offset:592
	ds_load_b128 v[68:71], v2 offset:608
	s_wait_loadcnt_dscnt 0x901
	v_mul_f64_e32 v[118:119], v[64:65], v[82:83]
	v_mul_f64_e32 v[74:75], v[66:67], v[82:83]
	s_wait_loadcnt_dscnt 0x800
	v_mul_f64_e32 v[78:79], v[68:69], v[86:87]
	v_mul_f64_e32 v[82:83], v[70:71], v[86:87]
	v_add_f64_e32 v[4:5], v[4:5], v[72:73]
	v_add_f64_e32 v[8:9], v[8:9], v[126:127]
	v_fmac_f64_e32 v[118:119], v[66:67], v[80:81]
	v_fma_f64 v[80:81], v[64:65], v[80:81], -v[74:75]
	ds_load_b128 v[64:67], v2 offset:624
	ds_load_b128 v[72:75], v2 offset:640
	v_fmac_f64_e32 v[78:79], v[70:71], v[84:85]
	v_fma_f64 v[68:69], v[68:69], v[84:85], -v[82:83]
	v_add_f64_e32 v[4:5], v[4:5], v[76:77]
	v_add_f64_e32 v[8:9], v[8:9], v[116:117]
	s_wait_loadcnt_dscnt 0x701
	v_mul_f64_e32 v[76:77], v[64:65], v[90:91]
	v_mul_f64_e32 v[86:87], v[66:67], v[90:91]
	s_wait_loadcnt_dscnt 0x600
	v_mul_f64_e32 v[82:83], v[74:75], v[94:95]
	v_add_f64_e32 v[4:5], v[4:5], v[80:81]
	v_add_f64_e32 v[8:9], v[8:9], v[118:119]
	v_mul_f64_e32 v[80:81], v[72:73], v[94:95]
	v_fmac_f64_e32 v[76:77], v[66:67], v[88:89]
	v_fma_f64 v[84:85], v[64:65], v[88:89], -v[86:87]
	v_fma_f64 v[72:73], v[72:73], v[92:93], -v[82:83]
	v_add_f64_e32 v[4:5], v[4:5], v[68:69]
	v_add_f64_e32 v[8:9], v[8:9], v[78:79]
	ds_load_b128 v[64:67], v2 offset:656
	ds_load_b128 v[68:71], v2 offset:672
	v_fmac_f64_e32 v[80:81], v[74:75], v[92:93]
	s_wait_loadcnt_dscnt 0x501
	v_mul_f64_e32 v[78:79], v[64:65], v[102:103]
	v_mul_f64_e32 v[86:87], v[66:67], v[102:103]
	v_add_f64_e32 v[4:5], v[4:5], v[84:85]
	v_add_f64_e32 v[8:9], v[8:9], v[76:77]
	s_wait_loadcnt_dscnt 0x200
	v_mul_f64_e32 v[76:77], v[68:69], v[12:13]
	v_mul_f64_e32 v[12:13], v[70:71], v[12:13]
	v_fmac_f64_e32 v[78:79], v[66:67], v[100:101]
	v_fma_f64 v[82:83], v[64:65], v[100:101], -v[86:87]
	v_add_f64_e32 v[4:5], v[4:5], v[72:73]
	v_add_f64_e32 v[8:9], v[8:9], v[80:81]
	ds_load_b128 v[64:67], v2 offset:688
	ds_load_b128 v[72:75], v2 offset:704
	v_fmac_f64_e32 v[76:77], v[70:71], v[10:11]
	v_fma_f64 v[10:11], v[68:69], v[10:11], -v[12:13]
	s_wait_dscnt 0x1
	v_mul_f64_e32 v[80:81], v[64:65], v[114:115]
	v_mul_f64_e32 v[84:85], v[66:67], v[114:115]
	v_add_f64_e32 v[4:5], v[4:5], v[82:83]
	v_add_f64_e32 v[8:9], v[8:9], v[78:79]
	s_wait_loadcnt_dscnt 0x100
	v_mul_f64_e32 v[12:13], v[72:73], v[62:63]
	v_mul_f64_e32 v[62:63], v[74:75], v[62:63]
	v_fmac_f64_e32 v[80:81], v[66:67], v[112:113]
	v_fma_f64 v[64:65], v[64:65], v[112:113], -v[84:85]
	v_add_f64_e32 v[4:5], v[4:5], v[10:11]
	v_add_f64_e32 v[66:67], v[8:9], v[76:77]
	ds_load_b128 v[8:11], v2 offset:720
	v_fmac_f64_e32 v[12:13], v[74:75], v[60:61]
	v_fma_f64 v[60:61], v[72:73], v[60:61], -v[62:63]
	s_wait_loadcnt_dscnt 0x0
	v_mul_f64_e32 v[68:69], v[8:9], v[98:99]
	v_mul_f64_e32 v[70:71], v[10:11], v[98:99]
	v_add_f64_e32 v[4:5], v[4:5], v[64:65]
	v_add_f64_e32 v[62:63], v[66:67], v[80:81]
	s_delay_alu instid0(VALU_DEP_4) | instskip(NEXT) | instid1(VALU_DEP_4)
	v_fmac_f64_e32 v[68:69], v[10:11], v[96:97]
	v_fma_f64 v[8:9], v[8:9], v[96:97], -v[70:71]
	s_delay_alu instid0(VALU_DEP_4) | instskip(NEXT) | instid1(VALU_DEP_4)
	v_add_f64_e32 v[4:5], v[4:5], v[60:61]
	v_add_f64_e32 v[10:11], v[62:63], v[12:13]
	s_delay_alu instid0(VALU_DEP_2) | instskip(NEXT) | instid1(VALU_DEP_2)
	v_add_f64_e32 v[4:5], v[4:5], v[8:9]
	v_add_f64_e32 v[10:11], v[10:11], v[68:69]
	s_delay_alu instid0(VALU_DEP_2) | instskip(NEXT) | instid1(VALU_DEP_2)
	v_add_f64_e64 v[8:9], v[104:105], -v[4:5]
	v_add_f64_e64 v[10:11], v[106:107], -v[10:11]
	scratch_store_b128 off, v[8:11], off offset:112
	s_wait_xcnt 0x0
	v_cmpx_lt_u32_e32 6, v1
	s_cbranch_execz .LBB86_139
; %bb.138:
	scratch_load_b128 v[8:11], off, s13
	v_dual_mov_b32 v3, v2 :: v_dual_mov_b32 v4, v2
	v_mov_b32_e32 v5, v2
	scratch_store_b128 off, v[2:5], off offset:96
	s_wait_loadcnt 0x0
	ds_store_b128 v6, v[8:11]
.LBB86_139:
	s_wait_xcnt 0x0
	s_or_b32 exec_lo, exec_lo, s2
	s_wait_storecnt_dscnt 0x0
	s_barrier_signal -1
	s_barrier_wait -1
	s_clause 0x9
	scratch_load_b128 v[8:11], off, off offset:112
	scratch_load_b128 v[60:63], off, off offset:128
	;; [unrolled: 1-line block ×10, first 2 shown]
	ds_load_b128 v[96:99], v2 offset:480
	ds_load_b128 v[104:107], v2 offset:496
	s_clause 0x1
	scratch_load_b128 v[100:103], off, off offset:272
	scratch_load_b128 v[108:111], off, off offset:96
	s_mov_b32 s2, exec_lo
	s_wait_loadcnt_dscnt 0xb01
	v_mul_f64_e32 v[4:5], v[98:99], v[10:11]
	v_mul_f64_e32 v[120:121], v[96:97], v[10:11]
	scratch_load_b128 v[10:13], off, off offset:288
	s_wait_loadcnt_dscnt 0xb00
	v_mul_f64_e32 v[122:123], v[104:105], v[62:63]
	v_mul_f64_e32 v[62:63], v[106:107], v[62:63]
	v_fma_f64 v[4:5], v[96:97], v[8:9], -v[4:5]
	v_fmac_f64_e32 v[120:121], v[98:99], v[8:9]
	ds_load_b128 v[96:99], v2 offset:512
	ds_load_b128 v[112:115], v2 offset:528
	scratch_load_b128 v[116:119], off, off offset:304
	v_fmac_f64_e32 v[122:123], v[106:107], v[60:61]
	v_fma_f64 v[104:105], v[104:105], v[60:61], -v[62:63]
	scratch_load_b128 v[60:63], off, off offset:320
	s_wait_loadcnt_dscnt 0xc01
	v_mul_f64_e32 v[8:9], v[96:97], v[66:67]
	v_mul_f64_e32 v[66:67], v[98:99], v[66:67]
	v_add_f64_e32 v[4:5], 0, v[4:5]
	v_add_f64_e32 v[106:107], 0, v[120:121]
	s_wait_loadcnt_dscnt 0xb00
	v_mul_f64_e32 v[120:121], v[112:113], v[70:71]
	v_mul_f64_e32 v[70:71], v[114:115], v[70:71]
	v_fmac_f64_e32 v[8:9], v[98:99], v[64:65]
	v_fma_f64 v[124:125], v[96:97], v[64:65], -v[66:67]
	ds_load_b128 v[64:67], v2 offset:544
	ds_load_b128 v[96:99], v2 offset:560
	v_add_f64_e32 v[4:5], v[4:5], v[104:105]
	v_add_f64_e32 v[122:123], v[106:107], v[122:123]
	scratch_load_b128 v[104:107], off, off offset:336
	v_fmac_f64_e32 v[120:121], v[114:115], v[68:69]
	v_fma_f64 v[112:113], v[112:113], v[68:69], -v[70:71]
	scratch_load_b128 v[68:71], off, off offset:352
	s_wait_loadcnt_dscnt 0xc01
	v_mul_f64_e32 v[126:127], v[64:65], v[74:75]
	v_mul_f64_e32 v[74:75], v[66:67], v[74:75]
	s_wait_loadcnt_dscnt 0xb00
	v_mul_f64_e32 v[114:115], v[96:97], v[78:79]
	v_mul_f64_e32 v[78:79], v[98:99], v[78:79]
	v_add_f64_e32 v[4:5], v[4:5], v[124:125]
	v_add_f64_e32 v[8:9], v[122:123], v[8:9]
	v_fmac_f64_e32 v[126:127], v[66:67], v[72:73]
	v_fma_f64 v[122:123], v[64:65], v[72:73], -v[74:75]
	ds_load_b128 v[64:67], v2 offset:576
	ds_load_b128 v[72:75], v2 offset:592
	v_fmac_f64_e32 v[114:115], v[98:99], v[76:77]
	v_fma_f64 v[76:77], v[96:97], v[76:77], -v[78:79]
	s_wait_loadcnt_dscnt 0x900
	v_mul_f64_e32 v[96:97], v[72:73], v[86:87]
	v_add_f64_e32 v[4:5], v[4:5], v[112:113]
	v_add_f64_e32 v[8:9], v[8:9], v[120:121]
	v_mul_f64_e32 v[112:113], v[64:65], v[82:83]
	v_mul_f64_e32 v[82:83], v[66:67], v[82:83]
	;; [unrolled: 1-line block ×3, first 2 shown]
	v_fmac_f64_e32 v[96:97], v[74:75], v[84:85]
	v_add_f64_e32 v[4:5], v[4:5], v[122:123]
	v_add_f64_e32 v[8:9], v[8:9], v[126:127]
	v_fmac_f64_e32 v[112:113], v[66:67], v[80:81]
	v_fma_f64 v[80:81], v[64:65], v[80:81], -v[82:83]
	v_fma_f64 v[72:73], v[72:73], v[84:85], -v[86:87]
	v_add_f64_e32 v[4:5], v[4:5], v[76:77]
	v_add_f64_e32 v[8:9], v[8:9], v[114:115]
	ds_load_b128 v[64:67], v2 offset:608
	ds_load_b128 v[76:79], v2 offset:624
	s_wait_loadcnt_dscnt 0x801
	v_mul_f64_e32 v[82:83], v[64:65], v[90:91]
	v_mul_f64_e32 v[90:91], v[66:67], v[90:91]
	s_wait_loadcnt_dscnt 0x700
	v_mul_f64_e32 v[84:85], v[78:79], v[94:95]
	v_add_f64_e32 v[4:5], v[4:5], v[80:81]
	v_add_f64_e32 v[8:9], v[8:9], v[112:113]
	v_mul_f64_e32 v[80:81], v[76:77], v[94:95]
	v_fmac_f64_e32 v[82:83], v[66:67], v[88:89]
	v_fma_f64 v[86:87], v[64:65], v[88:89], -v[90:91]
	v_fma_f64 v[76:77], v[76:77], v[92:93], -v[84:85]
	v_add_f64_e32 v[4:5], v[4:5], v[72:73]
	v_add_f64_e32 v[8:9], v[8:9], v[96:97]
	ds_load_b128 v[64:67], v2 offset:640
	ds_load_b128 v[72:75], v2 offset:656
	v_fmac_f64_e32 v[80:81], v[78:79], v[92:93]
	s_wait_loadcnt_dscnt 0x601
	v_mul_f64_e32 v[88:89], v[64:65], v[102:103]
	v_mul_f64_e32 v[90:91], v[66:67], v[102:103]
	v_add_f64_e32 v[4:5], v[4:5], v[86:87]
	v_add_f64_e32 v[8:9], v[8:9], v[82:83]
	s_wait_loadcnt_dscnt 0x400
	v_mul_f64_e32 v[82:83], v[72:73], v[12:13]
	v_mul_f64_e32 v[12:13], v[74:75], v[12:13]
	v_fmac_f64_e32 v[88:89], v[66:67], v[100:101]
	v_fma_f64 v[84:85], v[64:65], v[100:101], -v[90:91]
	v_add_f64_e32 v[4:5], v[4:5], v[76:77]
	v_add_f64_e32 v[8:9], v[8:9], v[80:81]
	ds_load_b128 v[64:67], v2 offset:672
	ds_load_b128 v[76:79], v2 offset:688
	v_fmac_f64_e32 v[82:83], v[74:75], v[10:11]
	v_fma_f64 v[10:11], v[72:73], v[10:11], -v[12:13]
	s_wait_loadcnt_dscnt 0x301
	v_mul_f64_e32 v[80:81], v[64:65], v[118:119]
	v_mul_f64_e32 v[86:87], v[66:67], v[118:119]
	s_wait_loadcnt_dscnt 0x200
	v_mul_f64_e32 v[12:13], v[76:77], v[62:63]
	v_mul_f64_e32 v[62:63], v[78:79], v[62:63]
	v_add_f64_e32 v[4:5], v[4:5], v[84:85]
	v_add_f64_e32 v[8:9], v[8:9], v[88:89]
	v_fmac_f64_e32 v[80:81], v[66:67], v[116:117]
	v_fma_f64 v[64:65], v[64:65], v[116:117], -v[86:87]
	v_fmac_f64_e32 v[12:13], v[78:79], v[60:61]
	v_fma_f64 v[60:61], v[76:77], v[60:61], -v[62:63]
	v_add_f64_e32 v[66:67], v[4:5], v[10:11]
	v_add_f64_e32 v[72:73], v[8:9], v[82:83]
	ds_load_b128 v[8:11], v2 offset:704
	ds_load_b128 v[2:5], v2 offset:720
	s_wait_loadcnt_dscnt 0x101
	v_mul_f64_e32 v[74:75], v[8:9], v[106:107]
	v_mul_f64_e32 v[82:83], v[10:11], v[106:107]
	v_add_f64_e32 v[62:63], v[66:67], v[64:65]
	v_add_f64_e32 v[64:65], v[72:73], v[80:81]
	s_wait_loadcnt_dscnt 0x0
	v_mul_f64_e32 v[66:67], v[2:3], v[70:71]
	v_mul_f64_e32 v[70:71], v[4:5], v[70:71]
	v_fmac_f64_e32 v[74:75], v[10:11], v[104:105]
	v_fma_f64 v[8:9], v[8:9], v[104:105], -v[82:83]
	v_add_f64_e32 v[10:11], v[62:63], v[60:61]
	v_add_f64_e32 v[12:13], v[64:65], v[12:13]
	v_fmac_f64_e32 v[66:67], v[4:5], v[68:69]
	v_fma_f64 v[2:3], v[2:3], v[68:69], -v[70:71]
	s_delay_alu instid0(VALU_DEP_4) | instskip(NEXT) | instid1(VALU_DEP_4)
	v_add_f64_e32 v[4:5], v[10:11], v[8:9]
	v_add_f64_e32 v[8:9], v[12:13], v[74:75]
	s_delay_alu instid0(VALU_DEP_2) | instskip(NEXT) | instid1(VALU_DEP_2)
	v_add_f64_e32 v[2:3], v[4:5], v[2:3]
	v_add_f64_e32 v[4:5], v[8:9], v[66:67]
	s_delay_alu instid0(VALU_DEP_2) | instskip(NEXT) | instid1(VALU_DEP_2)
	v_add_f64_e64 v[2:3], v[108:109], -v[2:3]
	v_add_f64_e64 v[4:5], v[110:111], -v[4:5]
	scratch_store_b128 off, v[2:5], off offset:96
	s_wait_xcnt 0x0
	v_cmpx_lt_u32_e32 5, v1
	s_cbranch_execz .LBB86_141
; %bb.140:
	scratch_load_b128 v[2:5], off, s23
	v_mov_b32_e32 v8, 0
	s_delay_alu instid0(VALU_DEP_1)
	v_dual_mov_b32 v9, v8 :: v_dual_mov_b32 v10, v8
	v_mov_b32_e32 v11, v8
	scratch_store_b128 off, v[8:11], off offset:80
	s_wait_loadcnt 0x0
	ds_store_b128 v6, v[2:5]
.LBB86_141:
	s_wait_xcnt 0x0
	s_or_b32 exec_lo, exec_lo, s2
	s_wait_storecnt_dscnt 0x0
	s_barrier_signal -1
	s_barrier_wait -1
	s_clause 0x9
	scratch_load_b128 v[8:11], off, off offset:96
	scratch_load_b128 v[60:63], off, off offset:112
	;; [unrolled: 1-line block ×10, first 2 shown]
	v_mov_b32_e32 v2, 0
	s_mov_b32 s2, exec_lo
	ds_load_b128 v[96:99], v2 offset:464
	s_clause 0x2
	scratch_load_b128 v[100:103], off, off offset:256
	scratch_load_b128 v[104:107], off, off offset:80
	;; [unrolled: 1-line block ×3, first 2 shown]
	s_wait_loadcnt_dscnt 0xc00
	v_mul_f64_e32 v[4:5], v[98:99], v[10:11]
	v_mul_f64_e32 v[120:121], v[96:97], v[10:11]
	ds_load_b128 v[108:111], v2 offset:480
	scratch_load_b128 v[10:13], off, off offset:272
	ds_load_b128 v[116:119], v2 offset:512
	v_fma_f64 v[4:5], v[96:97], v[8:9], -v[4:5]
	v_fmac_f64_e32 v[120:121], v[98:99], v[8:9]
	ds_load_b128 v[96:99], v2 offset:496
	s_wait_loadcnt_dscnt 0xc02
	v_mul_f64_e32 v[122:123], v[108:109], v[62:63]
	v_mul_f64_e32 v[62:63], v[110:111], v[62:63]
	s_wait_loadcnt_dscnt 0xb00
	v_mul_f64_e32 v[8:9], v[96:97], v[66:67]
	v_mul_f64_e32 v[66:67], v[98:99], v[66:67]
	v_add_f64_e32 v[4:5], 0, v[4:5]
	v_fmac_f64_e32 v[122:123], v[110:111], v[60:61]
	v_fma_f64 v[108:109], v[108:109], v[60:61], -v[62:63]
	v_add_f64_e32 v[110:111], 0, v[120:121]
	scratch_load_b128 v[60:63], off, off offset:304
	v_fmac_f64_e32 v[8:9], v[98:99], v[64:65]
	v_fma_f64 v[124:125], v[96:97], v[64:65], -v[66:67]
	ds_load_b128 v[64:67], v2 offset:528
	s_wait_loadcnt 0xb
	v_mul_f64_e32 v[120:121], v[116:117], v[70:71]
	v_mul_f64_e32 v[70:71], v[118:119], v[70:71]
	scratch_load_b128 v[96:99], off, off offset:320
	v_add_f64_e32 v[4:5], v[4:5], v[108:109]
	v_add_f64_e32 v[122:123], v[110:111], v[122:123]
	ds_load_b128 v[108:111], v2 offset:544
	s_wait_loadcnt_dscnt 0xb01
	v_mul_f64_e32 v[126:127], v[64:65], v[74:75]
	v_mul_f64_e32 v[74:75], v[66:67], v[74:75]
	v_fmac_f64_e32 v[120:121], v[118:119], v[68:69]
	v_fma_f64 v[116:117], v[116:117], v[68:69], -v[70:71]
	scratch_load_b128 v[68:71], off, off offset:336
	v_add_f64_e32 v[4:5], v[4:5], v[124:125]
	v_add_f64_e32 v[8:9], v[122:123], v[8:9]
	v_fmac_f64_e32 v[126:127], v[66:67], v[72:73]
	v_fma_f64 v[124:125], v[64:65], v[72:73], -v[74:75]
	ds_load_b128 v[64:67], v2 offset:560
	s_wait_loadcnt_dscnt 0xb01
	v_mul_f64_e32 v[122:123], v[108:109], v[78:79]
	v_mul_f64_e32 v[78:79], v[110:111], v[78:79]
	scratch_load_b128 v[72:75], off, off offset:352
	v_add_f64_e32 v[4:5], v[4:5], v[116:117]
	v_add_f64_e32 v[8:9], v[8:9], v[120:121]
	s_wait_loadcnt_dscnt 0xb00
	v_mul_f64_e32 v[120:121], v[64:65], v[82:83]
	v_mul_f64_e32 v[82:83], v[66:67], v[82:83]
	ds_load_b128 v[116:119], v2 offset:576
	v_fmac_f64_e32 v[122:123], v[110:111], v[76:77]
	v_fma_f64 v[76:77], v[108:109], v[76:77], -v[78:79]
	s_wait_loadcnt_dscnt 0xa00
	v_mul_f64_e32 v[108:109], v[116:117], v[86:87]
	v_mul_f64_e32 v[86:87], v[118:119], v[86:87]
	v_add_f64_e32 v[4:5], v[4:5], v[124:125]
	v_add_f64_e32 v[8:9], v[8:9], v[126:127]
	v_fmac_f64_e32 v[120:121], v[66:67], v[80:81]
	v_fma_f64 v[80:81], v[64:65], v[80:81], -v[82:83]
	v_fmac_f64_e32 v[108:109], v[118:119], v[84:85]
	v_fma_f64 v[84:85], v[116:117], v[84:85], -v[86:87]
	v_add_f64_e32 v[4:5], v[4:5], v[76:77]
	v_add_f64_e32 v[8:9], v[8:9], v[122:123]
	ds_load_b128 v[64:67], v2 offset:592
	ds_load_b128 v[76:79], v2 offset:608
	s_wait_loadcnt_dscnt 0x901
	v_mul_f64_e32 v[110:111], v[64:65], v[90:91]
	v_mul_f64_e32 v[82:83], v[66:67], v[90:91]
	s_wait_loadcnt_dscnt 0x800
	v_mul_f64_e32 v[86:87], v[76:77], v[94:95]
	v_mul_f64_e32 v[90:91], v[78:79], v[94:95]
	v_add_f64_e32 v[4:5], v[4:5], v[80:81]
	v_add_f64_e32 v[8:9], v[8:9], v[120:121]
	v_fmac_f64_e32 v[110:111], v[66:67], v[88:89]
	v_fma_f64 v[88:89], v[64:65], v[88:89], -v[82:83]
	ds_load_b128 v[64:67], v2 offset:624
	ds_load_b128 v[80:83], v2 offset:640
	v_fmac_f64_e32 v[86:87], v[78:79], v[92:93]
	v_fma_f64 v[76:77], v[76:77], v[92:93], -v[90:91]
	v_add_f64_e32 v[4:5], v[4:5], v[84:85]
	v_add_f64_e32 v[8:9], v[8:9], v[108:109]
	s_wait_loadcnt_dscnt 0x701
	v_mul_f64_e32 v[84:85], v[64:65], v[102:103]
	v_mul_f64_e32 v[94:95], v[66:67], v[102:103]
	s_delay_alu instid0(VALU_DEP_4) | instskip(NEXT) | instid1(VALU_DEP_4)
	v_add_f64_e32 v[4:5], v[4:5], v[88:89]
	v_add_f64_e32 v[8:9], v[8:9], v[110:111]
	s_wait_loadcnt_dscnt 0x400
	v_mul_f64_e32 v[88:89], v[80:81], v[12:13]
	v_mul_f64_e32 v[12:13], v[82:83], v[12:13]
	v_fmac_f64_e32 v[84:85], v[66:67], v[100:101]
	v_fma_f64 v[90:91], v[64:65], v[100:101], -v[94:95]
	v_add_f64_e32 v[4:5], v[4:5], v[76:77]
	v_add_f64_e32 v[8:9], v[8:9], v[86:87]
	ds_load_b128 v[64:67], v2 offset:656
	ds_load_b128 v[76:79], v2 offset:672
	v_fmac_f64_e32 v[88:89], v[82:83], v[10:11]
	v_fma_f64 v[10:11], v[80:81], v[10:11], -v[12:13]
	s_wait_dscnt 0x1
	v_mul_f64_e32 v[86:87], v[64:65], v[114:115]
	v_mul_f64_e32 v[92:93], v[66:67], v[114:115]
	v_add_f64_e32 v[4:5], v[4:5], v[90:91]
	v_add_f64_e32 v[8:9], v[8:9], v[84:85]
	s_wait_loadcnt_dscnt 0x300
	v_mul_f64_e32 v[12:13], v[76:77], v[62:63]
	v_mul_f64_e32 v[80:81], v[78:79], v[62:63]
	v_fmac_f64_e32 v[86:87], v[66:67], v[112:113]
	v_fma_f64 v[66:67], v[64:65], v[112:113], -v[92:93]
	v_add_f64_e32 v[4:5], v[4:5], v[10:11]
	v_add_f64_e32 v[82:83], v[8:9], v[88:89]
	ds_load_b128 v[8:11], v2 offset:688
	ds_load_b128 v[62:65], v2 offset:704
	v_fmac_f64_e32 v[12:13], v[78:79], v[60:61]
	v_fma_f64 v[60:61], v[76:77], v[60:61], -v[80:81]
	s_wait_loadcnt_dscnt 0x201
	v_mul_f64_e32 v[84:85], v[8:9], v[98:99]
	v_mul_f64_e32 v[88:89], v[10:11], v[98:99]
	s_wait_loadcnt_dscnt 0x100
	v_mul_f64_e32 v[76:77], v[62:63], v[70:71]
	v_mul_f64_e32 v[70:71], v[64:65], v[70:71]
	v_add_f64_e32 v[4:5], v[4:5], v[66:67]
	v_add_f64_e32 v[66:67], v[82:83], v[86:87]
	v_fmac_f64_e32 v[84:85], v[10:11], v[96:97]
	v_fma_f64 v[78:79], v[8:9], v[96:97], -v[88:89]
	ds_load_b128 v[8:11], v2 offset:720
	v_fmac_f64_e32 v[76:77], v[64:65], v[68:69]
	v_fma_f64 v[62:63], v[62:63], v[68:69], -v[70:71]
	v_add_f64_e32 v[4:5], v[4:5], v[60:61]
	v_add_f64_e32 v[12:13], v[66:67], v[12:13]
	s_wait_loadcnt_dscnt 0x0
	v_mul_f64_e32 v[60:61], v[8:9], v[74:75]
	v_mul_f64_e32 v[66:67], v[10:11], v[74:75]
	s_delay_alu instid0(VALU_DEP_4) | instskip(NEXT) | instid1(VALU_DEP_4)
	v_add_f64_e32 v[4:5], v[4:5], v[78:79]
	v_add_f64_e32 v[12:13], v[12:13], v[84:85]
	s_delay_alu instid0(VALU_DEP_4) | instskip(NEXT) | instid1(VALU_DEP_4)
	v_fmac_f64_e32 v[60:61], v[10:11], v[72:73]
	v_fma_f64 v[8:9], v[8:9], v[72:73], -v[66:67]
	s_delay_alu instid0(VALU_DEP_4) | instskip(NEXT) | instid1(VALU_DEP_4)
	v_add_f64_e32 v[4:5], v[4:5], v[62:63]
	v_add_f64_e32 v[10:11], v[12:13], v[76:77]
	s_delay_alu instid0(VALU_DEP_2) | instskip(NEXT) | instid1(VALU_DEP_2)
	v_add_f64_e32 v[4:5], v[4:5], v[8:9]
	v_add_f64_e32 v[10:11], v[10:11], v[60:61]
	s_delay_alu instid0(VALU_DEP_2) | instskip(NEXT) | instid1(VALU_DEP_2)
	v_add_f64_e64 v[8:9], v[104:105], -v[4:5]
	v_add_f64_e64 v[10:11], v[106:107], -v[10:11]
	scratch_store_b128 off, v[8:11], off offset:80
	s_wait_xcnt 0x0
	v_cmpx_lt_u32_e32 4, v1
	s_cbranch_execz .LBB86_143
; %bb.142:
	scratch_load_b128 v[8:11], off, s12
	v_dual_mov_b32 v3, v2 :: v_dual_mov_b32 v4, v2
	v_mov_b32_e32 v5, v2
	scratch_store_b128 off, v[2:5], off offset:64
	s_wait_loadcnt 0x0
	ds_store_b128 v6, v[8:11]
.LBB86_143:
	s_wait_xcnt 0x0
	s_or_b32 exec_lo, exec_lo, s2
	s_wait_storecnt_dscnt 0x0
	s_barrier_signal -1
	s_barrier_wait -1
	s_clause 0x9
	scratch_load_b128 v[8:11], off, off offset:80
	scratch_load_b128 v[60:63], off, off offset:96
	scratch_load_b128 v[64:67], off, off offset:112
	scratch_load_b128 v[68:71], off, off offset:128
	scratch_load_b128 v[72:75], off, off offset:144
	scratch_load_b128 v[76:79], off, off offset:160
	scratch_load_b128 v[80:83], off, off offset:176
	scratch_load_b128 v[84:87], off, off offset:192
	scratch_load_b128 v[88:91], off, off offset:208
	scratch_load_b128 v[92:95], off, off offset:224
	ds_load_b128 v[96:99], v2 offset:448
	ds_load_b128 v[104:107], v2 offset:464
	s_clause 0x1
	scratch_load_b128 v[100:103], off, off offset:240
	scratch_load_b128 v[108:111], off, off offset:64
	s_mov_b32 s2, exec_lo
	s_wait_loadcnt_dscnt 0xb01
	v_mul_f64_e32 v[4:5], v[98:99], v[10:11]
	v_mul_f64_e32 v[120:121], v[96:97], v[10:11]
	scratch_load_b128 v[10:13], off, off offset:256
	s_wait_loadcnt_dscnt 0xb00
	v_mul_f64_e32 v[122:123], v[104:105], v[62:63]
	v_mul_f64_e32 v[62:63], v[106:107], v[62:63]
	v_fma_f64 v[4:5], v[96:97], v[8:9], -v[4:5]
	v_fmac_f64_e32 v[120:121], v[98:99], v[8:9]
	ds_load_b128 v[96:99], v2 offset:480
	ds_load_b128 v[112:115], v2 offset:496
	scratch_load_b128 v[116:119], off, off offset:272
	v_fmac_f64_e32 v[122:123], v[106:107], v[60:61]
	v_fma_f64 v[104:105], v[104:105], v[60:61], -v[62:63]
	scratch_load_b128 v[60:63], off, off offset:288
	s_wait_loadcnt_dscnt 0xc01
	v_mul_f64_e32 v[8:9], v[96:97], v[66:67]
	v_mul_f64_e32 v[66:67], v[98:99], v[66:67]
	v_add_f64_e32 v[4:5], 0, v[4:5]
	v_add_f64_e32 v[106:107], 0, v[120:121]
	s_wait_loadcnt_dscnt 0xb00
	v_mul_f64_e32 v[120:121], v[112:113], v[70:71]
	v_mul_f64_e32 v[70:71], v[114:115], v[70:71]
	v_fmac_f64_e32 v[8:9], v[98:99], v[64:65]
	v_fma_f64 v[124:125], v[96:97], v[64:65], -v[66:67]
	ds_load_b128 v[64:67], v2 offset:512
	ds_load_b128 v[96:99], v2 offset:528
	v_add_f64_e32 v[4:5], v[4:5], v[104:105]
	v_add_f64_e32 v[122:123], v[106:107], v[122:123]
	scratch_load_b128 v[104:107], off, off offset:304
	v_fmac_f64_e32 v[120:121], v[114:115], v[68:69]
	v_fma_f64 v[112:113], v[112:113], v[68:69], -v[70:71]
	scratch_load_b128 v[68:71], off, off offset:320
	s_wait_loadcnt_dscnt 0xc01
	v_mul_f64_e32 v[126:127], v[64:65], v[74:75]
	v_mul_f64_e32 v[74:75], v[66:67], v[74:75]
	v_add_f64_e32 v[4:5], v[4:5], v[124:125]
	v_add_f64_e32 v[8:9], v[122:123], v[8:9]
	s_wait_loadcnt_dscnt 0xb00
	v_mul_f64_e32 v[122:123], v[96:97], v[78:79]
	v_mul_f64_e32 v[78:79], v[98:99], v[78:79]
	v_fmac_f64_e32 v[126:127], v[66:67], v[72:73]
	v_fma_f64 v[124:125], v[64:65], v[72:73], -v[74:75]
	ds_load_b128 v[64:67], v2 offset:544
	ds_load_b128 v[72:75], v2 offset:560
	v_add_f64_e32 v[4:5], v[4:5], v[112:113]
	v_add_f64_e32 v[8:9], v[8:9], v[120:121]
	scratch_load_b128 v[112:115], off, off offset:336
	s_wait_loadcnt_dscnt 0xb01
	v_mul_f64_e32 v[120:121], v[64:65], v[82:83]
	v_mul_f64_e32 v[82:83], v[66:67], v[82:83]
	v_fmac_f64_e32 v[122:123], v[98:99], v[76:77]
	v_fma_f64 v[96:97], v[96:97], v[76:77], -v[78:79]
	scratch_load_b128 v[76:79], off, off offset:352
	s_wait_loadcnt_dscnt 0xb00
	v_mul_f64_e32 v[98:99], v[72:73], v[86:87]
	v_mul_f64_e32 v[86:87], v[74:75], v[86:87]
	v_add_f64_e32 v[4:5], v[4:5], v[124:125]
	v_add_f64_e32 v[8:9], v[8:9], v[126:127]
	v_fmac_f64_e32 v[120:121], v[66:67], v[80:81]
	v_fma_f64 v[124:125], v[64:65], v[80:81], -v[82:83]
	ds_load_b128 v[64:67], v2 offset:576
	ds_load_b128 v[80:83], v2 offset:592
	v_fmac_f64_e32 v[98:99], v[74:75], v[84:85]
	v_fma_f64 v[72:73], v[72:73], v[84:85], -v[86:87]
	s_wait_loadcnt_dscnt 0x900
	v_mul_f64_e32 v[84:85], v[80:81], v[94:95]
	v_mul_f64_e32 v[86:87], v[82:83], v[94:95]
	v_add_f64_e32 v[4:5], v[4:5], v[96:97]
	v_add_f64_e32 v[8:9], v[8:9], v[122:123]
	v_mul_f64_e32 v[96:97], v[64:65], v[90:91]
	v_mul_f64_e32 v[90:91], v[66:67], v[90:91]
	v_fmac_f64_e32 v[84:85], v[82:83], v[92:93]
	v_fma_f64 v[80:81], v[80:81], v[92:93], -v[86:87]
	v_add_f64_e32 v[4:5], v[4:5], v[124:125]
	v_add_f64_e32 v[8:9], v[8:9], v[120:121]
	v_fmac_f64_e32 v[96:97], v[66:67], v[88:89]
	v_fma_f64 v[88:89], v[64:65], v[88:89], -v[90:91]
	s_delay_alu instid0(VALU_DEP_4) | instskip(NEXT) | instid1(VALU_DEP_4)
	v_add_f64_e32 v[4:5], v[4:5], v[72:73]
	v_add_f64_e32 v[8:9], v[8:9], v[98:99]
	ds_load_b128 v[64:67], v2 offset:608
	ds_load_b128 v[72:75], v2 offset:624
	s_wait_loadcnt_dscnt 0x801
	v_mul_f64_e32 v[90:91], v[64:65], v[102:103]
	v_mul_f64_e32 v[94:95], v[66:67], v[102:103]
	v_add_f64_e32 v[4:5], v[4:5], v[88:89]
	v_add_f64_e32 v[8:9], v[8:9], v[96:97]
	s_wait_loadcnt_dscnt 0x600
	v_mul_f64_e32 v[86:87], v[72:73], v[12:13]
	v_mul_f64_e32 v[12:13], v[74:75], v[12:13]
	v_fmac_f64_e32 v[90:91], v[66:67], v[100:101]
	v_fma_f64 v[88:89], v[64:65], v[100:101], -v[94:95]
	v_add_f64_e32 v[4:5], v[4:5], v[80:81]
	v_add_f64_e32 v[8:9], v[8:9], v[84:85]
	ds_load_b128 v[64:67], v2 offset:640
	ds_load_b128 v[80:83], v2 offset:656
	v_fmac_f64_e32 v[86:87], v[74:75], v[10:11]
	v_fma_f64 v[10:11], v[72:73], v[10:11], -v[12:13]
	s_wait_loadcnt_dscnt 0x501
	v_mul_f64_e32 v[84:85], v[64:65], v[118:119]
	v_mul_f64_e32 v[92:93], v[66:67], v[118:119]
	s_wait_loadcnt_dscnt 0x400
	v_mul_f64_e32 v[12:13], v[80:81], v[62:63]
	v_mul_f64_e32 v[72:73], v[82:83], v[62:63]
	v_add_f64_e32 v[4:5], v[4:5], v[88:89]
	v_add_f64_e32 v[8:9], v[8:9], v[90:91]
	v_fmac_f64_e32 v[84:85], v[66:67], v[116:117]
	v_fma_f64 v[66:67], v[64:65], v[116:117], -v[92:93]
	v_fmac_f64_e32 v[12:13], v[82:83], v[60:61]
	v_fma_f64 v[60:61], v[80:81], v[60:61], -v[72:73]
	v_add_f64_e32 v[4:5], v[4:5], v[10:11]
	v_add_f64_e32 v[74:75], v[8:9], v[86:87]
	ds_load_b128 v[8:11], v2 offset:672
	ds_load_b128 v[62:65], v2 offset:688
	s_wait_loadcnt_dscnt 0x301
	v_mul_f64_e32 v[86:87], v[8:9], v[106:107]
	v_mul_f64_e32 v[88:89], v[10:11], v[106:107]
	s_wait_loadcnt_dscnt 0x200
	v_mul_f64_e32 v[72:73], v[62:63], v[70:71]
	v_mul_f64_e32 v[70:71], v[64:65], v[70:71]
	v_add_f64_e32 v[4:5], v[4:5], v[66:67]
	v_add_f64_e32 v[66:67], v[74:75], v[84:85]
	v_fmac_f64_e32 v[86:87], v[10:11], v[104:105]
	v_fma_f64 v[74:75], v[8:9], v[104:105], -v[88:89]
	v_fmac_f64_e32 v[72:73], v[64:65], v[68:69]
	v_fma_f64 v[62:63], v[62:63], v[68:69], -v[70:71]
	v_add_f64_e32 v[60:61], v[4:5], v[60:61]
	v_add_f64_e32 v[12:13], v[66:67], v[12:13]
	ds_load_b128 v[8:11], v2 offset:704
	ds_load_b128 v[2:5], v2 offset:720
	s_wait_loadcnt_dscnt 0x101
	v_mul_f64_e32 v[66:67], v[8:9], v[114:115]
	v_mul_f64_e32 v[80:81], v[10:11], v[114:115]
	s_wait_loadcnt_dscnt 0x0
	v_mul_f64_e32 v[64:65], v[2:3], v[78:79]
	v_mul_f64_e32 v[68:69], v[4:5], v[78:79]
	v_add_f64_e32 v[60:61], v[60:61], v[74:75]
	v_add_f64_e32 v[12:13], v[12:13], v[86:87]
	v_fmac_f64_e32 v[66:67], v[10:11], v[112:113]
	v_fma_f64 v[8:9], v[8:9], v[112:113], -v[80:81]
	v_fmac_f64_e32 v[64:65], v[4:5], v[76:77]
	v_fma_f64 v[2:3], v[2:3], v[76:77], -v[68:69]
	v_add_f64_e32 v[10:11], v[60:61], v[62:63]
	v_add_f64_e32 v[12:13], v[12:13], v[72:73]
	s_delay_alu instid0(VALU_DEP_2) | instskip(NEXT) | instid1(VALU_DEP_2)
	v_add_f64_e32 v[4:5], v[10:11], v[8:9]
	v_add_f64_e32 v[8:9], v[12:13], v[66:67]
	s_delay_alu instid0(VALU_DEP_2) | instskip(NEXT) | instid1(VALU_DEP_2)
	;; [unrolled: 3-line block ×3, first 2 shown]
	v_add_f64_e64 v[2:3], v[108:109], -v[2:3]
	v_add_f64_e64 v[4:5], v[110:111], -v[4:5]
	scratch_store_b128 off, v[2:5], off offset:64
	s_wait_xcnt 0x0
	v_cmpx_lt_u32_e32 3, v1
	s_cbranch_execz .LBB86_145
; %bb.144:
	scratch_load_b128 v[2:5], off, s22
	v_mov_b32_e32 v8, 0
	s_delay_alu instid0(VALU_DEP_1)
	v_dual_mov_b32 v9, v8 :: v_dual_mov_b32 v10, v8
	v_mov_b32_e32 v11, v8
	scratch_store_b128 off, v[8:11], off offset:48
	s_wait_loadcnt 0x0
	ds_store_b128 v6, v[2:5]
.LBB86_145:
	s_wait_xcnt 0x0
	s_or_b32 exec_lo, exec_lo, s2
	s_wait_storecnt_dscnt 0x0
	s_barrier_signal -1
	s_barrier_wait -1
	s_clause 0x9
	scratch_load_b128 v[8:11], off, off offset:64
	scratch_load_b128 v[60:63], off, off offset:80
	;; [unrolled: 1-line block ×10, first 2 shown]
	v_mov_b32_e32 v2, 0
	s_mov_b32 s2, exec_lo
	ds_load_b128 v[96:99], v2 offset:432
	s_clause 0x2
	scratch_load_b128 v[100:103], off, off offset:224
	scratch_load_b128 v[104:107], off, off offset:48
	;; [unrolled: 1-line block ×3, first 2 shown]
	s_wait_loadcnt_dscnt 0xc00
	v_mul_f64_e32 v[4:5], v[98:99], v[10:11]
	v_mul_f64_e32 v[120:121], v[96:97], v[10:11]
	ds_load_b128 v[108:111], v2 offset:448
	scratch_load_b128 v[10:13], off, off offset:240
	ds_load_b128 v[116:119], v2 offset:480
	v_fma_f64 v[4:5], v[96:97], v[8:9], -v[4:5]
	v_fmac_f64_e32 v[120:121], v[98:99], v[8:9]
	ds_load_b128 v[96:99], v2 offset:464
	s_wait_loadcnt_dscnt 0xc02
	v_mul_f64_e32 v[122:123], v[108:109], v[62:63]
	v_mul_f64_e32 v[62:63], v[110:111], v[62:63]
	s_wait_loadcnt_dscnt 0xb00
	v_mul_f64_e32 v[8:9], v[96:97], v[66:67]
	v_mul_f64_e32 v[66:67], v[98:99], v[66:67]
	v_add_f64_e32 v[4:5], 0, v[4:5]
	v_fmac_f64_e32 v[122:123], v[110:111], v[60:61]
	v_fma_f64 v[108:109], v[108:109], v[60:61], -v[62:63]
	v_add_f64_e32 v[110:111], 0, v[120:121]
	scratch_load_b128 v[60:63], off, off offset:272
	v_fmac_f64_e32 v[8:9], v[98:99], v[64:65]
	v_fma_f64 v[124:125], v[96:97], v[64:65], -v[66:67]
	ds_load_b128 v[64:67], v2 offset:496
	s_wait_loadcnt 0xb
	v_mul_f64_e32 v[120:121], v[116:117], v[70:71]
	v_mul_f64_e32 v[70:71], v[118:119], v[70:71]
	scratch_load_b128 v[96:99], off, off offset:288
	v_add_f64_e32 v[4:5], v[4:5], v[108:109]
	v_add_f64_e32 v[122:123], v[110:111], v[122:123]
	ds_load_b128 v[108:111], v2 offset:512
	s_wait_loadcnt_dscnt 0xb01
	v_mul_f64_e32 v[126:127], v[64:65], v[74:75]
	v_mul_f64_e32 v[74:75], v[66:67], v[74:75]
	v_fmac_f64_e32 v[120:121], v[118:119], v[68:69]
	v_fma_f64 v[116:117], v[116:117], v[68:69], -v[70:71]
	scratch_load_b128 v[68:71], off, off offset:304
	v_add_f64_e32 v[4:5], v[4:5], v[124:125]
	v_add_f64_e32 v[8:9], v[122:123], v[8:9]
	v_fmac_f64_e32 v[126:127], v[66:67], v[72:73]
	v_fma_f64 v[124:125], v[64:65], v[72:73], -v[74:75]
	ds_load_b128 v[64:67], v2 offset:528
	s_wait_loadcnt_dscnt 0xb01
	v_mul_f64_e32 v[122:123], v[108:109], v[78:79]
	v_mul_f64_e32 v[78:79], v[110:111], v[78:79]
	scratch_load_b128 v[72:75], off, off offset:320
	v_add_f64_e32 v[4:5], v[4:5], v[116:117]
	v_add_f64_e32 v[8:9], v[8:9], v[120:121]
	s_wait_loadcnt_dscnt 0xb00
	v_mul_f64_e32 v[120:121], v[64:65], v[82:83]
	v_mul_f64_e32 v[82:83], v[66:67], v[82:83]
	ds_load_b128 v[116:119], v2 offset:544
	v_fmac_f64_e32 v[122:123], v[110:111], v[76:77]
	v_fma_f64 v[108:109], v[108:109], v[76:77], -v[78:79]
	scratch_load_b128 v[76:79], off, off offset:336
	v_add_f64_e32 v[4:5], v[4:5], v[124:125]
	v_add_f64_e32 v[8:9], v[8:9], v[126:127]
	v_fmac_f64_e32 v[120:121], v[66:67], v[80:81]
	v_fma_f64 v[126:127], v[64:65], v[80:81], -v[82:83]
	ds_load_b128 v[64:67], v2 offset:560
	s_wait_loadcnt_dscnt 0xb01
	v_mul_f64_e32 v[124:125], v[116:117], v[86:87]
	v_mul_f64_e32 v[86:87], v[118:119], v[86:87]
	scratch_load_b128 v[80:83], off, off offset:352
	v_add_f64_e32 v[4:5], v[4:5], v[108:109]
	v_add_f64_e32 v[8:9], v[8:9], v[122:123]
	s_wait_loadcnt_dscnt 0xb00
	v_mul_f64_e32 v[122:123], v[64:65], v[90:91]
	v_mul_f64_e32 v[90:91], v[66:67], v[90:91]
	ds_load_b128 v[108:111], v2 offset:576
	v_fmac_f64_e32 v[124:125], v[118:119], v[84:85]
	v_fma_f64 v[84:85], v[116:117], v[84:85], -v[86:87]
	s_wait_loadcnt_dscnt 0xa00
	v_mul_f64_e32 v[116:117], v[108:109], v[94:95]
	v_mul_f64_e32 v[94:95], v[110:111], v[94:95]
	v_add_f64_e32 v[4:5], v[4:5], v[126:127]
	v_add_f64_e32 v[8:9], v[8:9], v[120:121]
	v_fmac_f64_e32 v[122:123], v[66:67], v[88:89]
	v_fma_f64 v[88:89], v[64:65], v[88:89], -v[90:91]
	v_fmac_f64_e32 v[116:117], v[110:111], v[92:93]
	v_fma_f64 v[92:93], v[108:109], v[92:93], -v[94:95]
	v_add_f64_e32 v[4:5], v[4:5], v[84:85]
	v_add_f64_e32 v[8:9], v[8:9], v[124:125]
	ds_load_b128 v[64:67], v2 offset:592
	ds_load_b128 v[84:87], v2 offset:608
	s_wait_loadcnt_dscnt 0x901
	v_mul_f64_e32 v[118:119], v[64:65], v[102:103]
	v_mul_f64_e32 v[90:91], v[66:67], v[102:103]
	s_wait_loadcnt_dscnt 0x600
	v_mul_f64_e32 v[94:95], v[84:85], v[12:13]
	v_add_f64_e32 v[4:5], v[4:5], v[88:89]
	v_add_f64_e32 v[8:9], v[8:9], v[122:123]
	v_mul_f64_e32 v[12:13], v[86:87], v[12:13]
	v_fmac_f64_e32 v[118:119], v[66:67], v[100:101]
	v_fma_f64 v[100:101], v[64:65], v[100:101], -v[90:91]
	ds_load_b128 v[64:67], v2 offset:624
	ds_load_b128 v[88:91], v2 offset:640
	v_fmac_f64_e32 v[94:95], v[86:87], v[10:11]
	v_add_f64_e32 v[4:5], v[4:5], v[92:93]
	v_add_f64_e32 v[8:9], v[8:9], v[116:117]
	v_fma_f64 v[10:11], v[84:85], v[10:11], -v[12:13]
	s_wait_dscnt 0x1
	v_mul_f64_e32 v[92:93], v[64:65], v[114:115]
	v_mul_f64_e32 v[102:103], v[66:67], v[114:115]
	v_add_f64_e32 v[4:5], v[4:5], v[100:101]
	v_add_f64_e32 v[8:9], v[8:9], v[118:119]
	s_wait_loadcnt_dscnt 0x500
	v_mul_f64_e32 v[12:13], v[88:89], v[62:63]
	v_mul_f64_e32 v[84:85], v[90:91], v[62:63]
	v_fmac_f64_e32 v[92:93], v[66:67], v[112:113]
	v_fma_f64 v[66:67], v[64:65], v[112:113], -v[102:103]
	v_add_f64_e32 v[4:5], v[4:5], v[10:11]
	v_add_f64_e32 v[86:87], v[8:9], v[94:95]
	ds_load_b128 v[8:11], v2 offset:656
	ds_load_b128 v[62:65], v2 offset:672
	v_fmac_f64_e32 v[12:13], v[90:91], v[60:61]
	v_fma_f64 v[60:61], v[88:89], v[60:61], -v[84:85]
	s_wait_loadcnt_dscnt 0x401
	v_mul_f64_e32 v[94:95], v[8:9], v[98:99]
	v_mul_f64_e32 v[98:99], v[10:11], v[98:99]
	s_wait_loadcnt_dscnt 0x300
	v_mul_f64_e32 v[88:89], v[62:63], v[70:71]
	v_mul_f64_e32 v[70:71], v[64:65], v[70:71]
	v_add_f64_e32 v[4:5], v[4:5], v[66:67]
	v_add_f64_e32 v[66:67], v[86:87], v[92:93]
	v_fmac_f64_e32 v[94:95], v[10:11], v[96:97]
	v_fma_f64 v[90:91], v[8:9], v[96:97], -v[98:99]
	ds_load_b128 v[8:11], v2 offset:688
	ds_load_b128 v[84:87], v2 offset:704
	v_fmac_f64_e32 v[88:89], v[64:65], v[68:69]
	v_fma_f64 v[62:63], v[62:63], v[68:69], -v[70:71]
	v_add_f64_e32 v[4:5], v[4:5], v[60:61]
	v_add_f64_e32 v[12:13], v[66:67], v[12:13]
	s_wait_loadcnt_dscnt 0x201
	v_mul_f64_e32 v[60:61], v[8:9], v[74:75]
	v_mul_f64_e32 v[66:67], v[10:11], v[74:75]
	s_wait_loadcnt_dscnt 0x100
	v_mul_f64_e32 v[64:65], v[84:85], v[78:79]
	v_mul_f64_e32 v[68:69], v[86:87], v[78:79]
	v_add_f64_e32 v[4:5], v[4:5], v[90:91]
	v_add_f64_e32 v[12:13], v[12:13], v[94:95]
	v_fmac_f64_e32 v[60:61], v[10:11], v[72:73]
	v_fma_f64 v[66:67], v[8:9], v[72:73], -v[66:67]
	ds_load_b128 v[8:11], v2 offset:720
	v_fmac_f64_e32 v[64:65], v[86:87], v[76:77]
	v_fma_f64 v[68:69], v[84:85], v[76:77], -v[68:69]
	s_wait_loadcnt_dscnt 0x0
	v_mul_f64_e32 v[70:71], v[10:11], v[82:83]
	v_add_f64_e32 v[4:5], v[4:5], v[62:63]
	v_add_f64_e32 v[12:13], v[12:13], v[88:89]
	v_mul_f64_e32 v[62:63], v[8:9], v[82:83]
	s_delay_alu instid0(VALU_DEP_4) | instskip(NEXT) | instid1(VALU_DEP_4)
	v_fma_f64 v[8:9], v[8:9], v[80:81], -v[70:71]
	v_add_f64_e32 v[4:5], v[4:5], v[66:67]
	s_delay_alu instid0(VALU_DEP_4) | instskip(NEXT) | instid1(VALU_DEP_4)
	v_add_f64_e32 v[12:13], v[12:13], v[60:61]
	v_fmac_f64_e32 v[62:63], v[10:11], v[80:81]
	s_delay_alu instid0(VALU_DEP_3) | instskip(NEXT) | instid1(VALU_DEP_3)
	v_add_f64_e32 v[4:5], v[4:5], v[68:69]
	v_add_f64_e32 v[10:11], v[12:13], v[64:65]
	s_delay_alu instid0(VALU_DEP_2) | instskip(NEXT) | instid1(VALU_DEP_2)
	v_add_f64_e32 v[4:5], v[4:5], v[8:9]
	v_add_f64_e32 v[10:11], v[10:11], v[62:63]
	s_delay_alu instid0(VALU_DEP_2) | instskip(NEXT) | instid1(VALU_DEP_2)
	v_add_f64_e64 v[8:9], v[104:105], -v[4:5]
	v_add_f64_e64 v[10:11], v[106:107], -v[10:11]
	scratch_store_b128 off, v[8:11], off offset:48
	s_wait_xcnt 0x0
	v_cmpx_lt_u32_e32 2, v1
	s_cbranch_execz .LBB86_147
; %bb.146:
	scratch_load_b128 v[8:11], off, s33
	v_dual_mov_b32 v3, v2 :: v_dual_mov_b32 v4, v2
	v_mov_b32_e32 v5, v2
	scratch_store_b128 off, v[2:5], off offset:32
	s_wait_loadcnt 0x0
	ds_store_b128 v6, v[8:11]
.LBB86_147:
	s_wait_xcnt 0x0
	s_or_b32 exec_lo, exec_lo, s2
	s_wait_storecnt_dscnt 0x0
	s_barrier_signal -1
	s_barrier_wait -1
	s_clause 0x9
	scratch_load_b128 v[8:11], off, off offset:48
	scratch_load_b128 v[60:63], off, off offset:64
	;; [unrolled: 1-line block ×10, first 2 shown]
	ds_load_b128 v[96:99], v2 offset:416
	ds_load_b128 v[104:107], v2 offset:432
	s_clause 0x1
	scratch_load_b128 v[100:103], off, off offset:208
	scratch_load_b128 v[108:111], off, off offset:32
	s_mov_b32 s2, exec_lo
	v_ashrrev_i32_e32 v21, 31, v20
	v_ashrrev_i32_e32 v25, 31, v24
	;; [unrolled: 1-line block ×3, first 2 shown]
	v_dual_ashrrev_i32 v33, 31, v32 :: v_dual_ashrrev_i32 v19, 31, v18
	v_dual_ashrrev_i32 v23, 31, v22 :: v_dual_ashrrev_i32 v37, 31, v36
	;; [unrolled: 1-line block ×7, first 2 shown]
	v_ashrrev_i32_e32 v47, 31, v46
	v_ashrrev_i32_e32 v51, 31, v50
	;; [unrolled: 1-line block ×4, first 2 shown]
	s_wait_loadcnt_dscnt 0xb01
	v_mul_f64_e32 v[4:5], v[98:99], v[10:11]
	v_mul_f64_e32 v[120:121], v[96:97], v[10:11]
	scratch_load_b128 v[10:13], off, off offset:224
	s_wait_loadcnt_dscnt 0xb00
	v_mul_f64_e32 v[122:123], v[104:105], v[62:63]
	v_mul_f64_e32 v[62:63], v[106:107], v[62:63]
	v_fma_f64 v[4:5], v[96:97], v[8:9], -v[4:5]
	v_fmac_f64_e32 v[120:121], v[98:99], v[8:9]
	ds_load_b128 v[96:99], v2 offset:448
	ds_load_b128 v[112:115], v2 offset:464
	scratch_load_b128 v[116:119], off, off offset:240
	v_fmac_f64_e32 v[122:123], v[106:107], v[60:61]
	v_fma_f64 v[104:105], v[104:105], v[60:61], -v[62:63]
	scratch_load_b128 v[60:63], off, off offset:256
	s_wait_loadcnt_dscnt 0xc01
	v_mul_f64_e32 v[8:9], v[96:97], v[66:67]
	v_mul_f64_e32 v[66:67], v[98:99], v[66:67]
	v_add_f64_e32 v[4:5], 0, v[4:5]
	v_add_f64_e32 v[106:107], 0, v[120:121]
	s_wait_loadcnt_dscnt 0xb00
	v_mul_f64_e32 v[120:121], v[112:113], v[70:71]
	v_mul_f64_e32 v[70:71], v[114:115], v[70:71]
	v_fmac_f64_e32 v[8:9], v[98:99], v[64:65]
	v_fma_f64 v[124:125], v[96:97], v[64:65], -v[66:67]
	ds_load_b128 v[64:67], v2 offset:480
	ds_load_b128 v[96:99], v2 offset:496
	v_add_f64_e32 v[4:5], v[4:5], v[104:105]
	v_add_f64_e32 v[122:123], v[106:107], v[122:123]
	scratch_load_b128 v[104:107], off, off offset:272
	v_fmac_f64_e32 v[120:121], v[114:115], v[68:69]
	v_fma_f64 v[112:113], v[112:113], v[68:69], -v[70:71]
	scratch_load_b128 v[68:71], off, off offset:288
	s_wait_loadcnt_dscnt 0xc01
	v_mul_f64_e32 v[126:127], v[64:65], v[74:75]
	v_mul_f64_e32 v[74:75], v[66:67], v[74:75]
	v_add_f64_e32 v[4:5], v[4:5], v[124:125]
	v_add_f64_e32 v[8:9], v[122:123], v[8:9]
	s_wait_loadcnt_dscnt 0xb00
	v_mul_f64_e32 v[122:123], v[96:97], v[78:79]
	v_mul_f64_e32 v[78:79], v[98:99], v[78:79]
	v_fmac_f64_e32 v[126:127], v[66:67], v[72:73]
	v_fma_f64 v[124:125], v[64:65], v[72:73], -v[74:75]
	ds_load_b128 v[64:67], v2 offset:512
	ds_load_b128 v[72:75], v2 offset:528
	v_add_f64_e32 v[4:5], v[4:5], v[112:113]
	v_add_f64_e32 v[8:9], v[8:9], v[120:121]
	scratch_load_b128 v[112:115], off, off offset:304
	v_fmac_f64_e32 v[122:123], v[98:99], v[76:77]
	v_fma_f64 v[96:97], v[96:97], v[76:77], -v[78:79]
	s_wait_loadcnt_dscnt 0xb01
	v_mul_f64_e32 v[120:121], v[64:65], v[82:83]
	v_mul_f64_e32 v[82:83], v[66:67], v[82:83]
	scratch_load_b128 v[76:79], off, off offset:320
	v_add_f64_e32 v[4:5], v[4:5], v[124:125]
	v_add_f64_e32 v[8:9], v[8:9], v[126:127]
	s_wait_loadcnt_dscnt 0xb00
	v_mul_f64_e32 v[124:125], v[72:73], v[86:87]
	v_mul_f64_e32 v[86:87], v[74:75], v[86:87]
	v_fmac_f64_e32 v[120:121], v[66:67], v[80:81]
	v_fma_f64 v[126:127], v[64:65], v[80:81], -v[82:83]
	ds_load_b128 v[64:67], v2 offset:544
	ds_load_b128 v[80:83], v2 offset:560
	v_add_f64_e32 v[4:5], v[4:5], v[96:97]
	v_add_f64_e32 v[8:9], v[8:9], v[122:123]
	scratch_load_b128 v[96:99], off, off offset:336
	v_fmac_f64_e32 v[124:125], v[74:75], v[84:85]
	v_fma_f64 v[84:85], v[72:73], v[84:85], -v[86:87]
	s_wait_loadcnt_dscnt 0xb01
	v_mul_f64_e32 v[122:123], v[64:65], v[90:91]
	v_mul_f64_e32 v[86:87], v[66:67], v[90:91]
	scratch_load_b128 v[72:75], off, off offset:352
	s_wait_loadcnt_dscnt 0xb00
	v_mul_f64_e32 v[90:91], v[80:81], v[94:95]
	v_mul_f64_e32 v[94:95], v[82:83], v[94:95]
	v_add_f64_e32 v[4:5], v[4:5], v[126:127]
	v_add_f64_e32 v[8:9], v[8:9], v[120:121]
	v_fmac_f64_e32 v[122:123], v[66:67], v[88:89]
	v_fma_f64 v[88:89], v[64:65], v[88:89], -v[86:87]
	v_fmac_f64_e32 v[90:91], v[82:83], v[92:93]
	v_fma_f64 v[80:81], v[80:81], v[92:93], -v[94:95]
	v_add_f64_e32 v[4:5], v[4:5], v[84:85]
	v_add_f64_e32 v[8:9], v[8:9], v[124:125]
	ds_load_b128 v[64:67], v2 offset:576
	ds_load_b128 v[84:87], v2 offset:592
	s_wait_loadcnt_dscnt 0xa01
	v_mul_f64_e32 v[120:121], v[64:65], v[102:103]
	v_mul_f64_e32 v[102:103], v[66:67], v[102:103]
	v_add_f64_e32 v[4:5], v[4:5], v[88:89]
	v_add_f64_e32 v[8:9], v[8:9], v[122:123]
	s_wait_loadcnt_dscnt 0x800
	v_mul_f64_e32 v[88:89], v[84:85], v[12:13]
	v_mul_f64_e32 v[12:13], v[86:87], v[12:13]
	v_fmac_f64_e32 v[120:121], v[66:67], v[100:101]
	v_fma_f64 v[92:93], v[64:65], v[100:101], -v[102:103]
	v_add_f64_e32 v[4:5], v[4:5], v[80:81]
	v_add_f64_e32 v[8:9], v[8:9], v[90:91]
	ds_load_b128 v[64:67], v2 offset:608
	ds_load_b128 v[80:83], v2 offset:624
	v_fmac_f64_e32 v[88:89], v[86:87], v[10:11]
	v_fma_f64 v[10:11], v[84:85], v[10:11], -v[12:13]
	s_wait_loadcnt_dscnt 0x701
	v_mul_f64_e32 v[90:91], v[64:65], v[118:119]
	v_mul_f64_e32 v[94:95], v[66:67], v[118:119]
	s_wait_loadcnt_dscnt 0x600
	v_mul_f64_e32 v[12:13], v[80:81], v[62:63]
	v_mul_f64_e32 v[84:85], v[82:83], v[62:63]
	v_add_f64_e32 v[4:5], v[4:5], v[92:93]
	v_add_f64_e32 v[8:9], v[8:9], v[120:121]
	v_fmac_f64_e32 v[90:91], v[66:67], v[116:117]
	v_fma_f64 v[66:67], v[64:65], v[116:117], -v[94:95]
	v_fmac_f64_e32 v[12:13], v[82:83], v[60:61]
	v_fma_f64 v[60:61], v[80:81], v[60:61], -v[84:85]
	v_add_f64_e32 v[4:5], v[4:5], v[10:11]
	v_add_f64_e32 v[86:87], v[8:9], v[88:89]
	ds_load_b128 v[8:11], v2 offset:640
	ds_load_b128 v[62:65], v2 offset:656
	s_wait_loadcnt_dscnt 0x501
	v_mul_f64_e32 v[88:89], v[8:9], v[106:107]
	v_mul_f64_e32 v[92:93], v[10:11], v[106:107]
	s_wait_loadcnt_dscnt 0x400
	v_mul_f64_e32 v[84:85], v[62:63], v[70:71]
	v_mul_f64_e32 v[70:71], v[64:65], v[70:71]
	v_add_f64_e32 v[4:5], v[4:5], v[66:67]
	v_add_f64_e32 v[66:67], v[86:87], v[90:91]
	v_fmac_f64_e32 v[88:89], v[10:11], v[104:105]
	v_fma_f64 v[86:87], v[8:9], v[104:105], -v[92:93]
	ds_load_b128 v[8:11], v2 offset:672
	ds_load_b128 v[80:83], v2 offset:688
	v_fmac_f64_e32 v[84:85], v[64:65], v[68:69]
	v_fma_f64 v[62:63], v[62:63], v[68:69], -v[70:71]
	v_add_f64_e32 v[4:5], v[4:5], v[60:61]
	v_add_f64_e32 v[12:13], v[66:67], v[12:13]
	s_wait_loadcnt_dscnt 0x301
	v_mul_f64_e32 v[60:61], v[8:9], v[114:115]
	v_mul_f64_e32 v[66:67], v[10:11], v[114:115]
	s_wait_loadcnt_dscnt 0x200
	v_mul_f64_e32 v[64:65], v[80:81], v[78:79]
	v_mul_f64_e32 v[68:69], v[82:83], v[78:79]
	v_add_f64_e32 v[4:5], v[4:5], v[86:87]
	v_add_f64_e32 v[12:13], v[12:13], v[88:89]
	v_fmac_f64_e32 v[60:61], v[10:11], v[112:113]
	v_fma_f64 v[66:67], v[8:9], v[112:113], -v[66:67]
	v_fmac_f64_e32 v[64:65], v[82:83], v[76:77]
	v_fma_f64 v[68:69], v[80:81], v[76:77], -v[68:69]
	v_add_f64_e32 v[62:63], v[4:5], v[62:63]
	v_add_f64_e32 v[12:13], v[12:13], v[84:85]
	ds_load_b128 v[8:11], v2 offset:704
	ds_load_b128 v[2:5], v2 offset:720
	s_wait_loadcnt_dscnt 0x101
	v_mul_f64_e32 v[70:71], v[8:9], v[98:99]
	v_mul_f64_e32 v[78:79], v[10:11], v[98:99]
	v_add_f64_e32 v[62:63], v[62:63], v[66:67]
	v_add_f64_e32 v[12:13], v[12:13], v[60:61]
	s_wait_loadcnt_dscnt 0x0
	v_mul_f64_e32 v[60:61], v[2:3], v[74:75]
	v_mul_f64_e32 v[66:67], v[4:5], v[74:75]
	v_fmac_f64_e32 v[70:71], v[10:11], v[96:97]
	v_fma_f64 v[8:9], v[8:9], v[96:97], -v[78:79]
	v_add_f64_e32 v[10:11], v[62:63], v[68:69]
	v_add_f64_e32 v[12:13], v[12:13], v[64:65]
	v_fmac_f64_e32 v[60:61], v[4:5], v[72:73]
	v_fma_f64 v[2:3], v[2:3], v[72:73], -v[66:67]
	s_delay_alu instid0(VALU_DEP_4) | instskip(NEXT) | instid1(VALU_DEP_4)
	v_add_f64_e32 v[4:5], v[10:11], v[8:9]
	v_add_f64_e32 v[8:9], v[12:13], v[70:71]
	s_delay_alu instid0(VALU_DEP_2) | instskip(NEXT) | instid1(VALU_DEP_2)
	v_add_f64_e32 v[2:3], v[4:5], v[2:3]
	v_add_f64_e32 v[4:5], v[8:9], v[60:61]
	s_delay_alu instid0(VALU_DEP_2) | instskip(NEXT) | instid1(VALU_DEP_2)
	v_add_f64_e64 v[2:3], v[108:109], -v[2:3]
	v_add_f64_e64 v[4:5], v[110:111], -v[4:5]
	scratch_store_b128 off, v[2:5], off offset:32
	s_wait_xcnt 0x0
	v_cmpx_lt_u32_e32 1, v1
	s_cbranch_execz .LBB86_149
; %bb.148:
	scratch_load_b128 v[2:5], off, s34
	v_mov_b32_e32 v8, 0
	s_delay_alu instid0(VALU_DEP_1)
	v_dual_mov_b32 v9, v8 :: v_dual_mov_b32 v10, v8
	v_mov_b32_e32 v11, v8
	scratch_store_b128 off, v[8:11], off offset:16
	s_wait_loadcnt 0x0
	ds_store_b128 v6, v[2:5]
.LBB86_149:
	s_wait_xcnt 0x0
	s_or_b32 exec_lo, exec_lo, s2
	s_wait_storecnt_dscnt 0x0
	s_barrier_signal -1
	s_barrier_wait -1
	s_clause 0x9
	scratch_load_b128 v[8:11], off, off offset:32
	scratch_load_b128 v[60:63], off, off offset:48
	;; [unrolled: 1-line block ×10, first 2 shown]
	v_mov_b32_e32 v2, 0
	s_clause 0x2
	scratch_load_b128 v[104:107], off, off offset:208
	scratch_load_b128 v[108:111], off, off offset:224
	;; [unrolled: 1-line block ×3, first 2 shown]
	s_mov_b32 s2, exec_lo
	ds_load_b128 v[96:99], v2 offset:400
	s_wait_loadcnt_dscnt 0xc00
	v_mul_f64_e32 v[4:5], v[98:99], v[10:11]
	v_mul_f64_e32 v[112:113], v[96:97], v[10:11]
	ds_load_b128 v[10:13], v2 offset:416
	v_fma_f64 v[4:5], v[96:97], v[8:9], -v[4:5]
	v_fmac_f64_e32 v[112:113], v[98:99], v[8:9]
	ds_load_b128 v[96:99], v2 offset:432
	s_wait_loadcnt_dscnt 0xb01
	v_mul_f64_e32 v[114:115], v[10:11], v[62:63]
	v_mul_f64_e32 v[62:63], v[12:13], v[62:63]
	s_wait_loadcnt_dscnt 0xa00
	v_mul_f64_e32 v[116:117], v[96:97], v[66:67]
	v_mul_f64_e32 v[66:67], v[98:99], v[66:67]
	v_add_f64_e32 v[4:5], 0, v[4:5]
	v_add_f64_e32 v[112:113], 0, v[112:113]
	v_fmac_f64_e32 v[114:115], v[12:13], v[60:61]
	v_fma_f64 v[12:13], v[10:11], v[60:61], -v[62:63]
	ds_load_b128 v[8:11], v2 offset:448
	scratch_load_b128 v[60:63], off, off offset:240
	v_fmac_f64_e32 v[116:117], v[98:99], v[64:65]
	v_fma_f64 v[120:121], v[96:97], v[64:65], -v[66:67]
	ds_load_b128 v[64:67], v2 offset:464
	s_wait_loadcnt_dscnt 0xa01
	v_mul_f64_e32 v[118:119], v[8:9], v[70:71]
	v_mul_f64_e32 v[70:71], v[10:11], v[70:71]
	scratch_load_b128 v[96:99], off, off offset:256
	v_add_f64_e32 v[4:5], v[4:5], v[12:13]
	v_add_f64_e32 v[12:13], v[112:113], v[114:115]
	s_wait_loadcnt_dscnt 0xa00
	v_mul_f64_e32 v[112:113], v[64:65], v[74:75]
	v_mul_f64_e32 v[74:75], v[66:67], v[74:75]
	v_fmac_f64_e32 v[118:119], v[10:11], v[68:69]
	v_fma_f64 v[114:115], v[8:9], v[68:69], -v[70:71]
	ds_load_b128 v[8:11], v2 offset:480
	scratch_load_b128 v[68:71], off, off offset:272
	v_add_f64_e32 v[4:5], v[4:5], v[120:121]
	v_add_f64_e32 v[12:13], v[12:13], v[116:117]
	v_fmac_f64_e32 v[112:113], v[66:67], v[72:73]
	v_fma_f64 v[120:121], v[64:65], v[72:73], -v[74:75]
	ds_load_b128 v[64:67], v2 offset:496
	s_wait_loadcnt_dscnt 0xa01
	v_mul_f64_e32 v[116:117], v[8:9], v[78:79]
	v_mul_f64_e32 v[78:79], v[10:11], v[78:79]
	scratch_load_b128 v[72:75], off, off offset:288
	v_add_f64_e32 v[4:5], v[4:5], v[114:115]
	v_add_f64_e32 v[12:13], v[12:13], v[118:119]
	s_wait_loadcnt_dscnt 0xa00
	v_mul_f64_e32 v[114:115], v[64:65], v[82:83]
	v_mul_f64_e32 v[82:83], v[66:67], v[82:83]
	v_fmac_f64_e32 v[116:117], v[10:11], v[76:77]
	v_fma_f64 v[118:119], v[8:9], v[76:77], -v[78:79]
	ds_load_b128 v[8:11], v2 offset:512
	scratch_load_b128 v[76:79], off, off offset:304
	v_add_f64_e32 v[4:5], v[4:5], v[120:121]
	v_add_f64_e32 v[12:13], v[12:13], v[112:113]
	;; [unrolled: 18-line block ×3, first 2 shown]
	v_fmac_f64_e32 v[116:117], v[66:67], v[88:89]
	v_fma_f64 v[120:121], v[64:65], v[88:89], -v[90:91]
	ds_load_b128 v[64:67], v2 offset:560
	s_wait_loadcnt_dscnt 0xa01
	v_mul_f64_e32 v[114:115], v[8:9], v[94:95]
	v_mul_f64_e32 v[94:95], v[10:11], v[94:95]
	scratch_load_b128 v[88:91], off, off offset:352
	v_add_f64_e32 v[4:5], v[4:5], v[118:119]
	v_add_f64_e32 v[12:13], v[12:13], v[112:113]
	v_fmac_f64_e32 v[114:115], v[10:11], v[92:93]
	v_fma_f64 v[92:93], v[8:9], v[92:93], -v[94:95]
	ds_load_b128 v[8:11], v2 offset:576
	s_wait_loadcnt_dscnt 0xa00
	v_mul_f64_e32 v[94:95], v[10:11], v[106:107]
	v_add_f64_e32 v[4:5], v[4:5], v[120:121]
	v_add_f64_e32 v[12:13], v[12:13], v[116:117]
	v_mul_f64_e32 v[116:117], v[8:9], v[106:107]
	s_delay_alu instid0(VALU_DEP_3) | instskip(NEXT) | instid1(VALU_DEP_3)
	v_add_f64_e32 v[4:5], v[4:5], v[92:93]
	v_add_f64_e32 v[12:13], v[12:13], v[114:115]
	s_delay_alu instid0(VALU_DEP_3)
	v_fmac_f64_e32 v[116:117], v[10:11], v[104:105]
	v_fma_f64 v[104:105], v[8:9], v[104:105], -v[94:95]
	scratch_load_b128 v[92:95], off, off offset:16
	s_wait_loadcnt 0x9
	v_mul_f64_e32 v[112:113], v[64:65], v[102:103]
	v_mul_f64_e32 v[102:103], v[66:67], v[102:103]
	ds_load_b128 v[8:11], v2 offset:608
	v_fmac_f64_e32 v[112:113], v[66:67], v[100:101]
	v_fma_f64 v[100:101], v[64:65], v[100:101], -v[102:103]
	ds_load_b128 v[64:67], v2 offset:592
	s_wait_dscnt 0x0
	v_mul_f64_e32 v[102:103], v[64:65], v[110:111]
	v_mul_f64_e32 v[106:107], v[66:67], v[110:111]
	s_wait_loadcnt 0x8
	v_mul_f64_e32 v[110:111], v[10:11], v[62:63]
	v_add_f64_e32 v[12:13], v[12:13], v[112:113]
	v_add_f64_e32 v[4:5], v[4:5], v[100:101]
	v_mul_f64_e32 v[100:101], v[8:9], v[62:63]
	v_fmac_f64_e32 v[102:103], v[66:67], v[108:109]
	v_fma_f64 v[66:67], v[64:65], v[108:109], -v[106:107]
	ds_load_b128 v[62:65], v2 offset:624
	v_add_f64_e32 v[12:13], v[12:13], v[116:117]
	v_add_f64_e32 v[4:5], v[4:5], v[104:105]
	v_fmac_f64_e32 v[100:101], v[10:11], v[60:61]
	v_fma_f64 v[60:61], v[8:9], v[60:61], -v[110:111]
	ds_load_b128 v[8:11], v2 offset:640
	s_wait_loadcnt_dscnt 0x701
	v_mul_f64_e32 v[104:105], v[62:63], v[98:99]
	v_mul_f64_e32 v[98:99], v[64:65], v[98:99]
	v_add_f64_e32 v[12:13], v[12:13], v[102:103]
	v_add_f64_e32 v[4:5], v[4:5], v[66:67]
	s_wait_loadcnt_dscnt 0x600
	v_mul_f64_e32 v[66:67], v[8:9], v[70:71]
	v_mul_f64_e32 v[70:71], v[10:11], v[70:71]
	v_fmac_f64_e32 v[104:105], v[64:65], v[96:97]
	v_fma_f64 v[64:65], v[62:63], v[96:97], -v[98:99]
	v_add_f64_e32 v[12:13], v[12:13], v[100:101]
	v_add_f64_e32 v[4:5], v[4:5], v[60:61]
	ds_load_b128 v[60:63], v2 offset:656
	v_fmac_f64_e32 v[66:67], v[10:11], v[68:69]
	v_fma_f64 v[68:69], v[8:9], v[68:69], -v[70:71]
	ds_load_b128 v[8:11], v2 offset:672
	s_wait_loadcnt_dscnt 0x501
	v_mul_f64_e32 v[96:97], v[60:61], v[74:75]
	v_mul_f64_e32 v[74:75], v[62:63], v[74:75]
	s_wait_loadcnt_dscnt 0x400
	v_mul_f64_e32 v[70:71], v[10:11], v[78:79]
	v_add_f64_e32 v[12:13], v[12:13], v[104:105]
	v_add_f64_e32 v[4:5], v[4:5], v[64:65]
	v_mul_f64_e32 v[64:65], v[8:9], v[78:79]
	v_fmac_f64_e32 v[96:97], v[62:63], v[72:73]
	v_fma_f64 v[72:73], v[60:61], v[72:73], -v[74:75]
	ds_load_b128 v[60:63], v2 offset:688
	v_fma_f64 v[70:71], v[8:9], v[76:77], -v[70:71]
	v_add_f64_e32 v[12:13], v[12:13], v[66:67]
	v_add_f64_e32 v[4:5], v[4:5], v[68:69]
	v_fmac_f64_e32 v[64:65], v[10:11], v[76:77]
	ds_load_b128 v[8:11], v2 offset:704
	s_wait_loadcnt_dscnt 0x301
	v_mul_f64_e32 v[66:67], v[60:61], v[82:83]
	v_mul_f64_e32 v[68:69], v[62:63], v[82:83]
	s_wait_loadcnt_dscnt 0x200
	v_mul_f64_e32 v[74:75], v[10:11], v[86:87]
	v_add_f64_e32 v[12:13], v[12:13], v[96:97]
	v_add_f64_e32 v[4:5], v[4:5], v[72:73]
	v_mul_f64_e32 v[72:73], v[8:9], v[86:87]
	v_fmac_f64_e32 v[66:67], v[62:63], v[80:81]
	v_fma_f64 v[68:69], v[60:61], v[80:81], -v[68:69]
	ds_load_b128 v[60:63], v2 offset:720
	v_fma_f64 v[8:9], v[8:9], v[84:85], -v[74:75]
	v_add_f64_e32 v[12:13], v[12:13], v[64:65]
	v_add_f64_e32 v[4:5], v[4:5], v[70:71]
	s_wait_loadcnt_dscnt 0x100
	v_mul_f64_e32 v[64:65], v[60:61], v[90:91]
	v_mul_f64_e32 v[70:71], v[62:63], v[90:91]
	v_fmac_f64_e32 v[72:73], v[10:11], v[84:85]
	v_add_f64_e32 v[10:11], v[12:13], v[66:67]
	v_add_f64_e32 v[4:5], v[4:5], v[68:69]
	v_fmac_f64_e32 v[64:65], v[62:63], v[88:89]
	v_fma_f64 v[12:13], v[60:61], v[88:89], -v[70:71]
	s_delay_alu instid0(VALU_DEP_3) | instskip(SKIP_1) | instid1(VALU_DEP_2)
	v_add_f64_e32 v[4:5], v[4:5], v[8:9]
	v_add_f64_e32 v[8:9], v[10:11], v[72:73]
	v_add_f64_e32 v[4:5], v[4:5], v[12:13]
	s_delay_alu instid0(VALU_DEP_2) | instskip(SKIP_1) | instid1(VALU_DEP_2)
	v_add_f64_e32 v[10:11], v[8:9], v[64:65]
	s_wait_loadcnt 0x0
	v_add_f64_e64 v[8:9], v[92:93], -v[4:5]
	s_delay_alu instid0(VALU_DEP_2)
	v_add_f64_e64 v[10:11], v[94:95], -v[10:11]
	scratch_store_b128 off, v[8:11], off offset:16
	s_wait_xcnt 0x0
	v_cmpx_ne_u32_e32 0, v1
	s_cbranch_execz .LBB86_151
; %bb.150:
	scratch_load_b128 v[8:11], off, off
	v_dual_mov_b32 v3, v2 :: v_dual_mov_b32 v4, v2
	v_mov_b32_e32 v5, v2
	scratch_store_b128 off, v[2:5], off
	s_wait_loadcnt 0x0
	ds_store_b128 v6, v[8:11]
.LBB86_151:
	s_wait_xcnt 0x0
	s_or_b32 exec_lo, exec_lo, s2
	s_wait_storecnt_dscnt 0x0
	s_barrier_signal -1
	s_barrier_wait -1
	s_clause 0x9
	scratch_load_b128 v[4:7], off, off offset:16
	scratch_load_b128 v[8:11], off, off offset:32
	;; [unrolled: 1-line block ×10, first 2 shown]
	ds_load_b128 v[92:95], v2 offset:384
	ds_load_b128 v[100:103], v2 offset:400
	s_clause 0x2
	scratch_load_b128 v[96:99], off, off offset:176
	scratch_load_b128 v[104:107], off, off
	scratch_load_b128 v[108:111], off, off offset:192
	v_lshl_add_u64 v[32:33], v[32:33], 4, s[4:5]
	s_and_b32 vcc_lo, exec_lo, s35
	s_wait_loadcnt_dscnt 0xc01
	v_mul_f64_e32 v[12:13], v[94:95], v[6:7]
	v_mul_f64_e32 v[112:113], v[92:93], v[6:7]
	s_wait_loadcnt_dscnt 0xb00
	v_mul_f64_e32 v[114:115], v[100:101], v[10:11]
	v_mul_f64_e32 v[116:117], v[102:103], v[10:11]
	s_delay_alu instid0(VALU_DEP_4) | instskip(NEXT) | instid1(VALU_DEP_4)
	v_fma_f64 v[118:119], v[92:93], v[4:5], -v[12:13]
	v_fmac_f64_e32 v[112:113], v[94:95], v[4:5]
	ds_load_b128 v[4:7], v2 offset:416
	ds_load_b128 v[10:13], v2 offset:432
	scratch_load_b128 v[92:95], off, off offset:208
	v_fmac_f64_e32 v[114:115], v[102:103], v[8:9]
	v_fma_f64 v[8:9], v[100:101], v[8:9], -v[116:117]
	scratch_load_b128 v[100:103], off, off offset:224
	s_wait_loadcnt_dscnt 0xc01
	v_mul_f64_e32 v[120:121], v[4:5], v[62:63]
	v_mul_f64_e32 v[62:63], v[6:7], v[62:63]
	v_add_f64_e32 v[116:117], 0, v[118:119]
	v_add_f64_e32 v[112:113], 0, v[112:113]
	s_wait_loadcnt_dscnt 0xb00
	v_mul_f64_e32 v[118:119], v[10:11], v[66:67]
	v_mul_f64_e32 v[66:67], v[12:13], v[66:67]
	v_fmac_f64_e32 v[120:121], v[6:7], v[60:61]
	v_fma_f64 v[122:123], v[4:5], v[60:61], -v[62:63]
	ds_load_b128 v[4:7], v2 offset:448
	ds_load_b128 v[60:63], v2 offset:464
	v_add_f64_e32 v[8:9], v[116:117], v[8:9]
	v_add_f64_e32 v[116:117], v[112:113], v[114:115]
	scratch_load_b128 v[112:115], off, off offset:240
	v_fmac_f64_e32 v[118:119], v[12:13], v[64:65]
	v_fma_f64 v[12:13], v[10:11], v[64:65], -v[66:67]
	s_wait_loadcnt_dscnt 0xb01
	v_mul_f64_e32 v[124:125], v[4:5], v[70:71]
	v_mul_f64_e32 v[64:65], v[6:7], v[70:71]
	v_add_f64_e32 v[66:67], v[8:9], v[122:123]
	v_add_f64_e32 v[70:71], v[116:117], v[120:121]
	scratch_load_b128 v[8:11], off, off offset:256
	s_wait_loadcnt_dscnt 0xb00
	v_mul_f64_e32 v[116:117], v[60:61], v[74:75]
	v_mul_f64_e32 v[74:75], v[62:63], v[74:75]
	v_fmac_f64_e32 v[124:125], v[6:7], v[68:69]
	v_fma_f64 v[120:121], v[4:5], v[68:69], -v[64:65]
	v_add_f64_e32 v[12:13], v[66:67], v[12:13]
	v_add_f64_e32 v[118:119], v[70:71], v[118:119]
	ds_load_b128 v[4:7], v2 offset:480
	ds_load_b128 v[64:67], v2 offset:496
	scratch_load_b128 v[68:71], off, off offset:272
	v_fmac_f64_e32 v[116:117], v[62:63], v[72:73]
	v_fma_f64 v[72:73], v[60:61], v[72:73], -v[74:75]
	scratch_load_b128 v[60:63], off, off offset:288
	s_wait_loadcnt_dscnt 0xc01
	v_mul_f64_e32 v[122:123], v[4:5], v[78:79]
	v_mul_f64_e32 v[74:75], v[6:7], v[78:79]
	v_add_f64_e32 v[12:13], v[12:13], v[120:121]
	v_add_f64_e32 v[78:79], v[118:119], v[124:125]
	s_wait_loadcnt_dscnt 0xb00
	v_mul_f64_e32 v[118:119], v[64:65], v[82:83]
	v_mul_f64_e32 v[82:83], v[66:67], v[82:83]
	v_fmac_f64_e32 v[122:123], v[6:7], v[76:77]
	v_fma_f64 v[120:121], v[4:5], v[76:77], -v[74:75]
	v_add_f64_e32 v[12:13], v[12:13], v[72:73]
	v_add_f64_e32 v[116:117], v[78:79], v[116:117]
	ds_load_b128 v[4:7], v2 offset:512
	ds_load_b128 v[72:75], v2 offset:528
	scratch_load_b128 v[76:79], off, off offset:304
	v_fmac_f64_e32 v[118:119], v[66:67], v[80:81]
	v_fma_f64 v[80:81], v[64:65], v[80:81], -v[82:83]
	scratch_load_b128 v[64:67], off, off offset:320
	s_wait_loadcnt_dscnt 0xc01
	v_mul_f64_e32 v[124:125], v[4:5], v[86:87]
	v_mul_f64_e32 v[82:83], v[6:7], v[86:87]
	v_add_f64_e32 v[12:13], v[12:13], v[120:121]
	v_add_f64_e32 v[86:87], v[116:117], v[122:123]
	;; [unrolled: 18-line block ×3, first 2 shown]
	s_wait_loadcnt_dscnt 0xa00
	v_mul_f64_e32 v[118:119], v[80:81], v[110:111]
	v_mul_f64_e32 v[110:111], v[82:83], v[110:111]
	v_fmac_f64_e32 v[122:123], v[6:7], v[96:97]
	v_fma_f64 v[96:97], v[4:5], v[96:97], -v[90:91]
	v_add_f64_e32 v[12:13], v[12:13], v[88:89]
	v_add_f64_e32 v[98:99], v[98:99], v[116:117]
	ds_load_b128 v[4:7], v2 offset:576
	ds_load_b128 v[88:91], v2 offset:592
	v_fmac_f64_e32 v[118:119], v[82:83], v[108:109]
	v_fma_f64 v[80:81], v[80:81], v[108:109], -v[110:111]
	s_wait_loadcnt_dscnt 0x901
	v_mul_f64_e32 v[116:117], v[4:5], v[94:95]
	v_mul_f64_e32 v[94:95], v[6:7], v[94:95]
	v_add_f64_e32 v[12:13], v[12:13], v[96:97]
	v_add_f64_e32 v[82:83], v[98:99], v[122:123]
	s_wait_loadcnt_dscnt 0x800
	v_mul_f64_e32 v[96:97], v[88:89], v[102:103]
	v_mul_f64_e32 v[98:99], v[90:91], v[102:103]
	v_fmac_f64_e32 v[116:117], v[6:7], v[92:93]
	v_fma_f64 v[92:93], v[4:5], v[92:93], -v[94:95]
	v_add_f64_e32 v[12:13], v[12:13], v[80:81]
	v_add_f64_e32 v[94:95], v[82:83], v[118:119]
	ds_load_b128 v[4:7], v2 offset:608
	ds_load_b128 v[80:83], v2 offset:624
	v_fmac_f64_e32 v[96:97], v[90:91], v[100:101]
	v_fma_f64 v[88:89], v[88:89], v[100:101], -v[98:99]
	s_wait_loadcnt_dscnt 0x701
	v_mul_f64_e32 v[102:103], v[4:5], v[114:115]
	v_mul_f64_e32 v[108:109], v[6:7], v[114:115]
	v_add_f64_e32 v[12:13], v[12:13], v[92:93]
	v_add_f64_e32 v[90:91], v[94:95], v[116:117]
	;; [unrolled: 16-line block ×3, first 2 shown]
	s_wait_loadcnt_dscnt 0x400
	v_mul_f64_e32 v[88:89], v[10:11], v[62:63]
	v_mul_f64_e32 v[62:63], v[12:13], v[62:63]
	v_fmac_f64_e32 v[96:97], v[6:7], v[68:69]
	v_fma_f64 v[90:91], v[4:5], v[68:69], -v[70:71]
	ds_load_b128 v[4:7], v2 offset:672
	ds_load_b128 v[68:71], v2 offset:688
	v_add_f64_e32 v[8:9], v[80:81], v[8:9]
	v_add_f64_e32 v[80:81], v[82:83], v[92:93]
	v_fmac_f64_e32 v[88:89], v[12:13], v[60:61]
	v_fma_f64 v[10:11], v[10:11], v[60:61], -v[62:63]
	s_wait_loadcnt_dscnt 0x301
	v_mul_f64_e32 v[82:83], v[4:5], v[78:79]
	v_mul_f64_e32 v[78:79], v[6:7], v[78:79]
	s_wait_loadcnt_dscnt 0x200
	v_mul_f64_e32 v[60:61], v[68:69], v[66:67]
	v_mul_f64_e32 v[62:63], v[70:71], v[66:67]
	v_add_f64_e32 v[8:9], v[8:9], v[90:91]
	v_add_f64_e32 v[12:13], v[80:81], v[96:97]
	v_fmac_f64_e32 v[82:83], v[6:7], v[76:77]
	v_fma_f64 v[66:67], v[4:5], v[76:77], -v[78:79]
	v_fmac_f64_e32 v[60:61], v[70:71], v[64:65]
	v_fma_f64 v[62:63], v[68:69], v[64:65], -v[62:63]
	v_lshl_add_u64 v[70:71], v[20:21], 4, s[4:5]
	v_lshl_add_u64 v[20:21], v[44:45], 4, s[4:5]
	v_add_f64_e32 v[76:77], v[8:9], v[10:11]
	v_add_f64_e32 v[12:13], v[12:13], v[88:89]
	ds_load_b128 v[4:7], v2 offset:704
	ds_load_b128 v[8:11], v2 offset:720
	s_wait_loadcnt_dscnt 0x101
	v_mul_f64_e32 v[2:3], v[4:5], v[86:87]
	v_mul_f64_e32 v[78:79], v[6:7], v[86:87]
	s_wait_loadcnt_dscnt 0x0
	v_mul_f64_e32 v[68:69], v[10:11], v[74:75]
	v_add_f64_e32 v[64:65], v[76:77], v[66:67]
	v_add_f64_e32 v[12:13], v[12:13], v[82:83]
	v_mul_f64_e32 v[66:67], v[8:9], v[74:75]
	v_fmac_f64_e32 v[2:3], v[6:7], v[84:85]
	v_fma_f64 v[4:5], v[4:5], v[84:85], -v[78:79]
	v_fma_f64 v[8:9], v[8:9], v[72:73], -v[68:69]
	v_lshl_add_u64 v[68:69], v[22:23], 4, s[4:5]
	v_lshl_add_u64 v[22:23], v[42:43], 4, s[4:5]
	v_add_f64_e32 v[6:7], v[64:65], v[62:63]
	v_add_f64_e32 v[12:13], v[12:13], v[60:61]
	v_fmac_f64_e32 v[66:67], v[10:11], v[72:73]
	v_lshl_add_u64 v[72:73], v[18:19], 4, s[4:5]
	v_lshl_add_u64 v[64:65], v[26:27], 4, s[4:5]
	;; [unrolled: 1-line block ×9, first 2 shown]
	v_add_f64_e32 v[4:5], v[6:7], v[4:5]
	v_add_f64_e32 v[2:3], v[12:13], v[2:3]
	v_lshl_add_u64 v[12:13], v[48:49], 4, s[4:5]
	v_lshl_add_u64 v[6:7], v[54:55], 4, s[4:5]
	s_delay_alu instid0(VALU_DEP_4) | instskip(NEXT) | instid1(VALU_DEP_4)
	v_add_f64_e32 v[4:5], v[4:5], v[8:9]
	v_add_f64_e32 v[2:3], v[2:3], v[66:67]
	v_lshl_add_u64 v[66:67], v[24:25], 4, s[4:5]
	v_lshl_add_u64 v[24:25], v[40:41], 4, s[4:5]
	;; [unrolled: 1-line block ×3, first 2 shown]
	v_add_f64_e64 v[74:75], v[104:105], -v[4:5]
	v_add_f64_e64 v[76:77], v[106:107], -v[2:3]
	v_lshl_add_u64 v[4:5], v[56:57], 4, s[4:5]
	v_lshl_add_u64 v[2:3], v[58:59], 4, s[4:5]
	scratch_store_b128 off, v[74:77], off
	s_cbranch_vccz .LBB86_196
; %bb.152:
	v_mov_b32_e32 v34, 0
	s_load_b64 s[2:3], s[0:1], 0x4
	v_bfe_u32 v36, v0, 10, 10
	v_bfe_u32 v0, v0, 20, 10
	global_load_b32 v35, v34, s[8:9] offset:84
	s_wait_kmcnt 0x0
	s_lshr_b32 s0, s2, 16
	v_mul_u32_u24_e32 v36, s3, v36
	s_mul_i32 s0, s0, s3
	s_delay_alu instid0(SALU_CYCLE_1) | instskip(NEXT) | instid1(VALU_DEP_1)
	v_mul_u32_u24_e32 v1, s0, v1
	v_add3_u32 v0, v1, v36, v0
	s_delay_alu instid0(VALU_DEP_1)
	v_lshl_add_u32 v0, v0, 4, 0x2e8
	s_wait_loadcnt 0x0
	v_cmp_ne_u32_e32 vcc_lo, 22, v35
	s_cbranch_vccz .LBB86_154
; %bb.153:
	v_lshlrev_b32_e32 v1, 4, v35
	s_clause 0x1
	scratch_load_b128 v[36:39], off, s31
	scratch_load_b128 v[40:43], v1, off offset:-16
	s_wait_loadcnt 0x1
	ds_store_2addr_b64 v0, v[36:37], v[38:39] offset1:1
	s_wait_loadcnt 0x0
	s_clause 0x1
	scratch_store_b128 off, v[40:43], s31
	scratch_store_b128 v1, v[36:39], off offset:-16
.LBB86_154:
	global_load_b32 v1, v34, s[8:9] offset:80
	s_wait_loadcnt 0x0
	v_cmp_eq_u32_e32 vcc_lo, 21, v1
	s_cbranch_vccnz .LBB86_156
; %bb.155:
	v_lshlrev_b32_e32 v1, 4, v1
	s_clause 0x1
	scratch_load_b128 v[34:37], off, s20
	scratch_load_b128 v[38:41], v1, off offset:-16
	s_wait_loadcnt 0x1
	ds_store_2addr_b64 v0, v[34:35], v[36:37] offset1:1
	s_wait_loadcnt 0x0
	s_clause 0x1
	scratch_store_b128 off, v[38:41], s20
	scratch_store_b128 v1, v[34:37], off offset:-16
.LBB86_156:
	s_wait_xcnt 0x0
	v_mov_b32_e32 v1, 0
	global_load_b32 v34, v1, s[8:9] offset:76
	s_wait_loadcnt 0x0
	v_cmp_eq_u32_e32 vcc_lo, 20, v34
	s_cbranch_vccnz .LBB86_158
; %bb.157:
	v_lshlrev_b32_e32 v34, 4, v34
	s_delay_alu instid0(VALU_DEP_1)
	v_mov_b32_e32 v42, v34
	s_clause 0x1
	scratch_load_b128 v[34:37], off, s30
	scratch_load_b128 v[38:41], v42, off offset:-16
	s_wait_loadcnt 0x1
	ds_store_2addr_b64 v0, v[34:35], v[36:37] offset1:1
	s_wait_loadcnt 0x0
	s_clause 0x1
	scratch_store_b128 off, v[38:41], s30
	scratch_store_b128 v42, v[34:37], off offset:-16
.LBB86_158:
	global_load_b32 v1, v1, s[8:9] offset:72
	s_wait_loadcnt 0x0
	v_cmp_eq_u32_e32 vcc_lo, 19, v1
	s_cbranch_vccnz .LBB86_160
; %bb.159:
	s_wait_xcnt 0x0
	v_lshlrev_b32_e32 v1, 4, v1
	s_clause 0x1
	scratch_load_b128 v[34:37], off, s19
	scratch_load_b128 v[38:41], v1, off offset:-16
	s_wait_loadcnt 0x1
	ds_store_2addr_b64 v0, v[34:35], v[36:37] offset1:1
	s_wait_loadcnt 0x0
	s_clause 0x1
	scratch_store_b128 off, v[38:41], s19
	scratch_store_b128 v1, v[34:37], off offset:-16
.LBB86_160:
	s_wait_xcnt 0x0
	v_mov_b32_e32 v1, 0
	global_load_b32 v34, v1, s[8:9] offset:68
	s_wait_loadcnt 0x0
	v_cmp_eq_u32_e32 vcc_lo, 18, v34
	s_cbranch_vccnz .LBB86_162
; %bb.161:
	v_lshlrev_b32_e32 v34, 4, v34
	s_delay_alu instid0(VALU_DEP_1)
	v_mov_b32_e32 v42, v34
	s_clause 0x1
	scratch_load_b128 v[34:37], off, s29
	scratch_load_b128 v[38:41], v42, off offset:-16
	s_wait_loadcnt 0x1
	ds_store_2addr_b64 v0, v[34:35], v[36:37] offset1:1
	s_wait_loadcnt 0x0
	s_clause 0x1
	scratch_store_b128 off, v[38:41], s29
	scratch_store_b128 v42, v[34:37], off offset:-16
.LBB86_162:
	global_load_b32 v1, v1, s[8:9] offset:64
	s_wait_loadcnt 0x0
	v_cmp_eq_u32_e32 vcc_lo, 17, v1
	s_cbranch_vccnz .LBB86_164
; %bb.163:
	s_wait_xcnt 0x0
	v_lshlrev_b32_e32 v1, 4, v1
	s_clause 0x1
	scratch_load_b128 v[34:37], off, s18
	scratch_load_b128 v[38:41], v1, off offset:-16
	s_wait_loadcnt 0x1
	ds_store_2addr_b64 v0, v[34:35], v[36:37] offset1:1
	s_wait_loadcnt 0x0
	s_clause 0x1
	scratch_store_b128 off, v[38:41], s18
	scratch_store_b128 v1, v[34:37], off offset:-16
.LBB86_164:
	;; [unrolled: 37-line block ×9, first 2 shown]
	s_wait_xcnt 0x0
	v_mov_b32_e32 v1, 0
	global_load_b32 v34, v1, s[8:9] offset:4
	s_wait_loadcnt 0x0
	v_cmp_eq_u32_e32 vcc_lo, 2, v34
	s_cbranch_vccnz .LBB86_194
; %bb.193:
	v_lshlrev_b32_e32 v34, 4, v34
	s_delay_alu instid0(VALU_DEP_1)
	v_mov_b32_e32 v42, v34
	s_clause 0x1
	scratch_load_b128 v[34:37], off, s34
	scratch_load_b128 v[38:41], v42, off offset:-16
	s_wait_loadcnt 0x1
	ds_store_2addr_b64 v0, v[34:35], v[36:37] offset1:1
	s_wait_loadcnt 0x0
	s_clause 0x1
	scratch_store_b128 off, v[38:41], s34
	scratch_store_b128 v42, v[34:37], off offset:-16
.LBB86_194:
	global_load_b32 v1, v1, s[8:9]
	s_wait_loadcnt 0x0
	v_cmp_eq_u32_e32 vcc_lo, 1, v1
	s_cbranch_vccnz .LBB86_196
; %bb.195:
	s_wait_xcnt 0x0
	v_lshlrev_b32_e32 v1, 4, v1
	scratch_load_b128 v[34:37], off, off
	scratch_load_b128 v[38:41], v1, off offset:-16
	s_wait_loadcnt 0x1
	ds_store_2addr_b64 v0, v[34:35], v[36:37] offset1:1
	s_wait_loadcnt 0x0
	scratch_store_b128 off, v[38:41], off
	scratch_store_b128 v1, v[34:37], off offset:-16
.LBB86_196:
	scratch_load_b128 v[34:37], off, off
	s_wait_loadcnt 0x0
	flat_store_b128 v[14:15], v[34:37]
	scratch_load_b128 v[34:37], off, s34
	s_wait_loadcnt 0x0
	flat_store_b128 v[16:17], v[34:37]
	scratch_load_b128 v[14:17], off, s33
	;; [unrolled: 3-line block ×22, first 2 shown]
	s_wait_loadcnt 0x0
	flat_store_b128 v[2:3], v[4:7]
	s_sendmsg sendmsg(MSG_DEALLOC_VGPRS)
	s_endpgm
	.section	.rodata,"a",@progbits
	.p2align	6, 0x0
	.amdhsa_kernel _ZN9rocsolver6v33100L18getri_kernel_smallILi23E19rocblas_complex_numIdEPKPS3_EEvT1_iilPiilS8_bb
		.amdhsa_group_segment_fixed_size 1768
		.amdhsa_private_segment_fixed_size 384
		.amdhsa_kernarg_size 60
		.amdhsa_user_sgpr_count 4
		.amdhsa_user_sgpr_dispatch_ptr 1
		.amdhsa_user_sgpr_queue_ptr 0
		.amdhsa_user_sgpr_kernarg_segment_ptr 1
		.amdhsa_user_sgpr_dispatch_id 0
		.amdhsa_user_sgpr_kernarg_preload_length 0
		.amdhsa_user_sgpr_kernarg_preload_offset 0
		.amdhsa_user_sgpr_private_segment_size 0
		.amdhsa_wavefront_size32 1
		.amdhsa_uses_dynamic_stack 0
		.amdhsa_enable_private_segment 1
		.amdhsa_system_sgpr_workgroup_id_x 1
		.amdhsa_system_sgpr_workgroup_id_y 0
		.amdhsa_system_sgpr_workgroup_id_z 0
		.amdhsa_system_sgpr_workgroup_info 0
		.amdhsa_system_vgpr_workitem_id 2
		.amdhsa_next_free_vgpr 128
		.amdhsa_next_free_sgpr 39
		.amdhsa_named_barrier_count 0
		.amdhsa_reserve_vcc 1
		.amdhsa_float_round_mode_32 0
		.amdhsa_float_round_mode_16_64 0
		.amdhsa_float_denorm_mode_32 3
		.amdhsa_float_denorm_mode_16_64 3
		.amdhsa_fp16_overflow 0
		.amdhsa_memory_ordered 1
		.amdhsa_forward_progress 1
		.amdhsa_inst_pref_size 217
		.amdhsa_round_robin_scheduling 0
		.amdhsa_exception_fp_ieee_invalid_op 0
		.amdhsa_exception_fp_denorm_src 0
		.amdhsa_exception_fp_ieee_div_zero 0
		.amdhsa_exception_fp_ieee_overflow 0
		.amdhsa_exception_fp_ieee_underflow 0
		.amdhsa_exception_fp_ieee_inexact 0
		.amdhsa_exception_int_div_zero 0
	.end_amdhsa_kernel
	.section	.text._ZN9rocsolver6v33100L18getri_kernel_smallILi23E19rocblas_complex_numIdEPKPS3_EEvT1_iilPiilS8_bb,"axG",@progbits,_ZN9rocsolver6v33100L18getri_kernel_smallILi23E19rocblas_complex_numIdEPKPS3_EEvT1_iilPiilS8_bb,comdat
.Lfunc_end86:
	.size	_ZN9rocsolver6v33100L18getri_kernel_smallILi23E19rocblas_complex_numIdEPKPS3_EEvT1_iilPiilS8_bb, .Lfunc_end86-_ZN9rocsolver6v33100L18getri_kernel_smallILi23E19rocblas_complex_numIdEPKPS3_EEvT1_iilPiilS8_bb
                                        ; -- End function
	.set _ZN9rocsolver6v33100L18getri_kernel_smallILi23E19rocblas_complex_numIdEPKPS3_EEvT1_iilPiilS8_bb.num_vgpr, 128
	.set _ZN9rocsolver6v33100L18getri_kernel_smallILi23E19rocblas_complex_numIdEPKPS3_EEvT1_iilPiilS8_bb.num_agpr, 0
	.set _ZN9rocsolver6v33100L18getri_kernel_smallILi23E19rocblas_complex_numIdEPKPS3_EEvT1_iilPiilS8_bb.numbered_sgpr, 39
	.set _ZN9rocsolver6v33100L18getri_kernel_smallILi23E19rocblas_complex_numIdEPKPS3_EEvT1_iilPiilS8_bb.num_named_barrier, 0
	.set _ZN9rocsolver6v33100L18getri_kernel_smallILi23E19rocblas_complex_numIdEPKPS3_EEvT1_iilPiilS8_bb.private_seg_size, 384
	.set _ZN9rocsolver6v33100L18getri_kernel_smallILi23E19rocblas_complex_numIdEPKPS3_EEvT1_iilPiilS8_bb.uses_vcc, 1
	.set _ZN9rocsolver6v33100L18getri_kernel_smallILi23E19rocblas_complex_numIdEPKPS3_EEvT1_iilPiilS8_bb.uses_flat_scratch, 1
	.set _ZN9rocsolver6v33100L18getri_kernel_smallILi23E19rocblas_complex_numIdEPKPS3_EEvT1_iilPiilS8_bb.has_dyn_sized_stack, 0
	.set _ZN9rocsolver6v33100L18getri_kernel_smallILi23E19rocblas_complex_numIdEPKPS3_EEvT1_iilPiilS8_bb.has_recursion, 0
	.set _ZN9rocsolver6v33100L18getri_kernel_smallILi23E19rocblas_complex_numIdEPKPS3_EEvT1_iilPiilS8_bb.has_indirect_call, 0
	.section	.AMDGPU.csdata,"",@progbits
; Kernel info:
; codeLenInByte = 27724
; TotalNumSgprs: 41
; NumVgprs: 128
; ScratchSize: 384
; MemoryBound: 0
; FloatMode: 240
; IeeeMode: 1
; LDSByteSize: 1768 bytes/workgroup (compile time only)
; SGPRBlocks: 0
; VGPRBlocks: 7
; NumSGPRsForWavesPerEU: 41
; NumVGPRsForWavesPerEU: 128
; NamedBarCnt: 0
; Occupancy: 8
; WaveLimiterHint : 1
; COMPUTE_PGM_RSRC2:SCRATCH_EN: 1
; COMPUTE_PGM_RSRC2:USER_SGPR: 4
; COMPUTE_PGM_RSRC2:TRAP_HANDLER: 0
; COMPUTE_PGM_RSRC2:TGID_X_EN: 1
; COMPUTE_PGM_RSRC2:TGID_Y_EN: 0
; COMPUTE_PGM_RSRC2:TGID_Z_EN: 0
; COMPUTE_PGM_RSRC2:TIDIG_COMP_CNT: 2
	.section	.text._ZN9rocsolver6v33100L18getri_kernel_smallILi24E19rocblas_complex_numIdEPKPS3_EEvT1_iilPiilS8_bb,"axG",@progbits,_ZN9rocsolver6v33100L18getri_kernel_smallILi24E19rocblas_complex_numIdEPKPS3_EEvT1_iilPiilS8_bb,comdat
	.globl	_ZN9rocsolver6v33100L18getri_kernel_smallILi24E19rocblas_complex_numIdEPKPS3_EEvT1_iilPiilS8_bb ; -- Begin function _ZN9rocsolver6v33100L18getri_kernel_smallILi24E19rocblas_complex_numIdEPKPS3_EEvT1_iilPiilS8_bb
	.p2align	8
	.type	_ZN9rocsolver6v33100L18getri_kernel_smallILi24E19rocblas_complex_numIdEPKPS3_EEvT1_iilPiilS8_bb,@function
_ZN9rocsolver6v33100L18getri_kernel_smallILi24E19rocblas_complex_numIdEPKPS3_EEvT1_iilPiilS8_bb: ; @_ZN9rocsolver6v33100L18getri_kernel_smallILi24E19rocblas_complex_numIdEPKPS3_EEvT1_iilPiilS8_bb
; %bb.0:
	v_and_b32_e32 v1, 0x3ff, v0
	s_mov_b32 s4, exec_lo
	s_delay_alu instid0(VALU_DEP_1)
	v_cmpx_gt_u32_e32 24, v1
	s_cbranch_execz .LBB87_110
; %bb.1:
	s_clause 0x1
	s_load_b32 s16, s[2:3], 0x38
	s_load_b64 s[8:9], s[2:3], 0x0
	s_getreg_b32 s6, hwreg(HW_REG_IB_STS2, 6, 4)
	s_wait_kmcnt 0x0
	s_bitcmp1_b32 s16, 8
	s_cselect_b32 s36, -1, 0
	s_bfe_u32 s4, ttmp6, 0x4000c
	s_and_b32 s5, ttmp6, 15
	s_add_co_i32 s4, s4, 1
	s_delay_alu instid0(SALU_CYCLE_1) | instskip(NEXT) | instid1(SALU_CYCLE_1)
	s_mul_i32 s4, ttmp9, s4
	s_add_co_i32 s5, s5, s4
	s_cmp_eq_u32 s6, 0
	s_cselect_b32 s10, ttmp9, s5
	s_load_b128 s[4:7], s[2:3], 0x28
	s_ashr_i32 s11, s10, 31
	s_delay_alu instid0(SALU_CYCLE_1) | instskip(NEXT) | instid1(SALU_CYCLE_1)
	s_lshl_b64 s[12:13], s[10:11], 3
	s_add_nc_u64 s[8:9], s[8:9], s[12:13]
	s_load_b64 s[14:15], s[8:9], 0x0
	s_wait_xcnt 0x0
	s_bfe_u32 s8, s16, 0x10008
	s_delay_alu instid0(SALU_CYCLE_1)
	s_cmp_eq_u32 s8, 0
                                        ; implicit-def: $sgpr8_sgpr9
	s_cbranch_scc1 .LBB87_3
; %bb.2:
	s_load_b96 s[16:18], s[2:3], 0x18
	s_wait_kmcnt 0x0
	s_mul_u64 s[4:5], s[4:5], s[10:11]
	s_delay_alu instid0(SALU_CYCLE_1) | instskip(SKIP_4) | instid1(SALU_CYCLE_1)
	s_lshl_b64 s[4:5], s[4:5], 2
	s_ashr_i32 s9, s18, 31
	s_mov_b32 s8, s18
	s_add_nc_u64 s[4:5], s[16:17], s[4:5]
	s_lshl_b64 s[8:9], s[8:9], 2
	s_add_nc_u64 s[8:9], s[4:5], s[8:9]
.LBB87_3:
	s_clause 0x1
	s_load_b64 s[12:13], s[2:3], 0x8
	s_load_b32 s37, s[2:3], 0x38
	v_dual_mov_b32 v63, 0 :: v_dual_lshlrev_b32 v62, 4, v1
	s_mov_b32 s35, 16
	s_mov_b32 s34, 32
	;; [unrolled: 1-line block ×4, first 2 shown]
	s_movk_i32 s24, 0x60
	s_movk_i32 s25, 0x80
	;; [unrolled: 1-line block ×12, first 2 shown]
	s_wait_kmcnt 0x0
	s_ashr_i32 s3, s12, 31
	s_mov_b32 s2, s12
	v_add3_u32 v18, s13, s13, v1
	s_lshl_b64 s[2:3], s[2:3], 4
	s_movk_i32 s12, 0x50
	s_add_nc_u64 s[4:5], s[14:15], s[2:3]
	s_ashr_i32 s3, s13, 31
	flat_load_b128 v[2:5], v1, s[4:5] scale_offset
	v_add_nc_u64_e32 v[14:15], s[4:5], v[62:63]
	s_mov_b32 s2, s13
	v_add_nc_u32_e32 v20, s13, v18
	s_movk_i32 s14, 0x90
	s_movk_i32 s15, 0xb0
	s_movk_i32 s20, 0x150
	s_movk_i32 s33, 0x160
	v_lshl_add_u64 v[16:17], s[2:3], 4, v[14:15]
	v_add_nc_u32_e32 v22, s13, v20
	s_movk_i32 s21, 0x170
	s_bitcmp0_b32 s37, 0
	s_mov_b32 s3, -1
	s_delay_alu instid0(VALU_DEP_1) | instskip(NEXT) | instid1(VALU_DEP_1)
	v_add_nc_u32_e32 v24, s13, v22
	v_add_nc_u32_e32 v26, s13, v24
	s_delay_alu instid0(VALU_DEP_1) | instskip(NEXT) | instid1(VALU_DEP_1)
	v_add_nc_u32_e32 v28, s13, v26
	v_add_nc_u32_e32 v30, s13, v28
	;; [unrolled: 3-line block ×9, first 2 shown]
	s_delay_alu instid0(VALU_DEP_1)
	v_add_nc_u32_e32 v60, s13, v58
	s_movk_i32 s13, 0x70
	s_wait_loadcnt_dscnt 0x0
	scratch_store_b128 off, v[2:5], off
	flat_load_b128 v[2:5], v[16:17]
	s_wait_loadcnt_dscnt 0x0
	scratch_store_b128 off, v[2:5], off offset:16
	flat_load_b128 v[2:5], v18, s[4:5] scale_offset
	s_wait_loadcnt_dscnt 0x0
	scratch_store_b128 off, v[2:5], off offset:32
	flat_load_b128 v[2:5], v20, s[4:5] scale_offset
	;; [unrolled: 3-line block ×22, first 2 shown]
	s_wait_loadcnt_dscnt 0x0
	scratch_store_b128 off, v[2:5], off offset:368
	s_cbranch_scc1 .LBB87_108
; %bb.4:
	v_cmp_eq_u32_e64 s2, 0, v1
	s_wait_xcnt 0x0
	s_and_saveexec_b32 s3, s2
; %bb.5:
	v_mov_b32_e32 v2, 0
	ds_store_b32 v2, v2 offset:768
; %bb.6:
	s_or_b32 exec_lo, exec_lo, s3
	s_wait_storecnt_dscnt 0x0
	s_barrier_signal -1
	s_barrier_wait -1
	scratch_load_b128 v[2:5], v1, off scale_offset
	s_wait_loadcnt 0x0
	v_cmp_eq_f64_e32 vcc_lo, 0, v[2:3]
	v_cmp_eq_f64_e64 s3, 0, v[4:5]
	s_and_b32 s3, vcc_lo, s3
	s_delay_alu instid0(SALU_CYCLE_1)
	s_and_saveexec_b32 s37, s3
	s_cbranch_execz .LBB87_10
; %bb.7:
	v_mov_b32_e32 v2, 0
	s_mov_b32 s38, 0
	ds_load_b32 v3, v2 offset:768
	s_wait_dscnt 0x0
	v_readfirstlane_b32 s3, v3
	v_add_nc_u32_e32 v3, 1, v1
	s_cmp_eq_u32 s3, 0
	s_delay_alu instid0(VALU_DEP_1) | instskip(SKIP_1) | instid1(SALU_CYCLE_1)
	v_cmp_gt_i32_e32 vcc_lo, s3, v3
	s_cselect_b32 s39, -1, 0
	s_or_b32 s39, s39, vcc_lo
	s_delay_alu instid0(SALU_CYCLE_1)
	s_and_b32 exec_lo, exec_lo, s39
	s_cbranch_execz .LBB87_10
; %bb.8:
	v_mov_b32_e32 v4, s3
.LBB87_9:                               ; =>This Inner Loop Header: Depth=1
	ds_cmpstore_rtn_b32 v4, v2, v3, v4 offset:768
	s_wait_dscnt 0x0
	v_cmp_ne_u32_e32 vcc_lo, 0, v4
	v_cmp_le_i32_e64 s3, v4, v3
	s_and_b32 s3, vcc_lo, s3
	s_delay_alu instid0(SALU_CYCLE_1) | instskip(NEXT) | instid1(SALU_CYCLE_1)
	s_and_b32 s3, exec_lo, s3
	s_or_b32 s38, s3, s38
	s_delay_alu instid0(SALU_CYCLE_1)
	s_and_not1_b32 exec_lo, exec_lo, s38
	s_cbranch_execnz .LBB87_9
.LBB87_10:
	s_or_b32 exec_lo, exec_lo, s37
	v_mov_b32_e32 v2, 0
	s_barrier_signal -1
	s_barrier_wait -1
	ds_load_b32 v3, v2 offset:768
	s_and_saveexec_b32 s3, s2
	s_cbranch_execz .LBB87_12
; %bb.11:
	s_lshl_b64 s[38:39], s[10:11], 2
	s_delay_alu instid0(SALU_CYCLE_1)
	s_add_nc_u64 s[38:39], s[6:7], s[38:39]
	s_wait_dscnt 0x0
	global_store_b32 v2, v3, s[38:39]
.LBB87_12:
	s_wait_xcnt 0x0
	s_or_b32 exec_lo, exec_lo, s3
	s_wait_dscnt 0x0
	v_cmp_ne_u32_e32 vcc_lo, 0, v3
	s_mov_b32 s3, 0
	s_cbranch_vccnz .LBB87_108
; %bb.13:
	v_lshl_add_u32 v19, v1, 4, 0
                                        ; implicit-def: $vgpr6_vgpr7
                                        ; implicit-def: $vgpr10_vgpr11
	scratch_load_b128 v[2:5], v19, off
	s_wait_loadcnt 0x0
	v_cmp_ngt_f64_e64 s3, |v[2:3]|, |v[4:5]|
	s_wait_xcnt 0x0
	s_and_saveexec_b32 s37, s3
	s_delay_alu instid0(SALU_CYCLE_1)
	s_xor_b32 s3, exec_lo, s37
	s_cbranch_execz .LBB87_15
; %bb.14:
	v_div_scale_f64 v[6:7], null, v[4:5], v[4:5], v[2:3]
	v_div_scale_f64 v[12:13], vcc_lo, v[2:3], v[4:5], v[2:3]
	s_delay_alu instid0(VALU_DEP_2) | instskip(SKIP_1) | instid1(TRANS32_DEP_1)
	v_rcp_f64_e32 v[8:9], v[6:7]
	v_nop
	v_fma_f64 v[10:11], -v[6:7], v[8:9], 1.0
	s_delay_alu instid0(VALU_DEP_1) | instskip(NEXT) | instid1(VALU_DEP_1)
	v_fmac_f64_e32 v[8:9], v[8:9], v[10:11]
	v_fma_f64 v[10:11], -v[6:7], v[8:9], 1.0
	s_delay_alu instid0(VALU_DEP_1) | instskip(NEXT) | instid1(VALU_DEP_1)
	v_fmac_f64_e32 v[8:9], v[8:9], v[10:11]
	v_mul_f64_e32 v[10:11], v[12:13], v[8:9]
	s_delay_alu instid0(VALU_DEP_1) | instskip(NEXT) | instid1(VALU_DEP_1)
	v_fma_f64 v[6:7], -v[6:7], v[10:11], v[12:13]
	v_div_fmas_f64 v[6:7], v[6:7], v[8:9], v[10:11]
	s_delay_alu instid0(VALU_DEP_1) | instskip(NEXT) | instid1(VALU_DEP_1)
	v_div_fixup_f64 v[6:7], v[6:7], v[4:5], v[2:3]
	v_fmac_f64_e32 v[4:5], v[2:3], v[6:7]
	s_delay_alu instid0(VALU_DEP_1) | instskip(SKIP_1) | instid1(VALU_DEP_2)
	v_div_scale_f64 v[2:3], null, v[4:5], v[4:5], 1.0
	v_div_scale_f64 v[12:13], vcc_lo, 1.0, v[4:5], 1.0
	v_rcp_f64_e32 v[8:9], v[2:3]
	v_nop
	s_delay_alu instid0(TRANS32_DEP_1) | instskip(NEXT) | instid1(VALU_DEP_1)
	v_fma_f64 v[10:11], -v[2:3], v[8:9], 1.0
	v_fmac_f64_e32 v[8:9], v[8:9], v[10:11]
	s_delay_alu instid0(VALU_DEP_1) | instskip(NEXT) | instid1(VALU_DEP_1)
	v_fma_f64 v[10:11], -v[2:3], v[8:9], 1.0
	v_fmac_f64_e32 v[8:9], v[8:9], v[10:11]
	s_delay_alu instid0(VALU_DEP_1) | instskip(NEXT) | instid1(VALU_DEP_1)
	v_mul_f64_e32 v[10:11], v[12:13], v[8:9]
	v_fma_f64 v[2:3], -v[2:3], v[10:11], v[12:13]
	s_delay_alu instid0(VALU_DEP_1) | instskip(NEXT) | instid1(VALU_DEP_1)
	v_div_fmas_f64 v[2:3], v[2:3], v[8:9], v[10:11]
	v_div_fixup_f64 v[8:9], v[2:3], v[4:5], 1.0
                                        ; implicit-def: $vgpr2_vgpr3
	s_delay_alu instid0(VALU_DEP_1) | instskip(SKIP_1) | instid1(VALU_DEP_2)
	v_mul_f64_e32 v[6:7], v[6:7], v[8:9]
	v_xor_b32_e32 v9, 0x80000000, v9
	v_xor_b32_e32 v11, 0x80000000, v7
	s_delay_alu instid0(VALU_DEP_3)
	v_mov_b32_e32 v10, v6
.LBB87_15:
	s_and_not1_saveexec_b32 s3, s3
	s_cbranch_execz .LBB87_17
; %bb.16:
	v_div_scale_f64 v[6:7], null, v[2:3], v[2:3], v[4:5]
	v_div_scale_f64 v[12:13], vcc_lo, v[4:5], v[2:3], v[4:5]
	s_delay_alu instid0(VALU_DEP_2) | instskip(SKIP_1) | instid1(TRANS32_DEP_1)
	v_rcp_f64_e32 v[8:9], v[6:7]
	v_nop
	v_fma_f64 v[10:11], -v[6:7], v[8:9], 1.0
	s_delay_alu instid0(VALU_DEP_1) | instskip(NEXT) | instid1(VALU_DEP_1)
	v_fmac_f64_e32 v[8:9], v[8:9], v[10:11]
	v_fma_f64 v[10:11], -v[6:7], v[8:9], 1.0
	s_delay_alu instid0(VALU_DEP_1) | instskip(NEXT) | instid1(VALU_DEP_1)
	v_fmac_f64_e32 v[8:9], v[8:9], v[10:11]
	v_mul_f64_e32 v[10:11], v[12:13], v[8:9]
	s_delay_alu instid0(VALU_DEP_1) | instskip(NEXT) | instid1(VALU_DEP_1)
	v_fma_f64 v[6:7], -v[6:7], v[10:11], v[12:13]
	v_div_fmas_f64 v[6:7], v[6:7], v[8:9], v[10:11]
	s_delay_alu instid0(VALU_DEP_1) | instskip(NEXT) | instid1(VALU_DEP_1)
	v_div_fixup_f64 v[8:9], v[6:7], v[2:3], v[4:5]
	v_fmac_f64_e32 v[2:3], v[4:5], v[8:9]
	s_delay_alu instid0(VALU_DEP_1) | instskip(NEXT) | instid1(VALU_DEP_1)
	v_div_scale_f64 v[4:5], null, v[2:3], v[2:3], 1.0
	v_rcp_f64_e32 v[6:7], v[4:5]
	v_nop
	s_delay_alu instid0(TRANS32_DEP_1) | instskip(NEXT) | instid1(VALU_DEP_1)
	v_fma_f64 v[10:11], -v[4:5], v[6:7], 1.0
	v_fmac_f64_e32 v[6:7], v[6:7], v[10:11]
	s_delay_alu instid0(VALU_DEP_1) | instskip(NEXT) | instid1(VALU_DEP_1)
	v_fma_f64 v[10:11], -v[4:5], v[6:7], 1.0
	v_fmac_f64_e32 v[6:7], v[6:7], v[10:11]
	v_div_scale_f64 v[10:11], vcc_lo, 1.0, v[2:3], 1.0
	s_delay_alu instid0(VALU_DEP_1) | instskip(NEXT) | instid1(VALU_DEP_1)
	v_mul_f64_e32 v[12:13], v[10:11], v[6:7]
	v_fma_f64 v[4:5], -v[4:5], v[12:13], v[10:11]
	s_delay_alu instid0(VALU_DEP_1) | instskip(NEXT) | instid1(VALU_DEP_1)
	v_div_fmas_f64 v[4:5], v[4:5], v[6:7], v[12:13]
	v_div_fixup_f64 v[6:7], v[4:5], v[2:3], 1.0
	s_delay_alu instid0(VALU_DEP_1)
	v_mul_f64_e64 v[8:9], v[8:9], -v[6:7]
	v_xor_b32_e32 v11, 0x80000000, v7
	v_mov_b32_e32 v10, v6
.LBB87_17:
	s_or_b32 exec_lo, exec_lo, s3
	s_clause 0x1
	scratch_store_b128 v19, v[6:9], off
	scratch_load_b128 v[2:5], off, s35
	v_xor_b32_e32 v13, 0x80000000, v9
	v_mov_b32_e32 v12, v8
	s_wait_xcnt 0x1
	v_add_nc_u32_e32 v6, 0x180, v62
	ds_store_b128 v62, v[10:13]
	s_wait_loadcnt 0x0
	ds_store_b128 v62, v[2:5] offset:384
	s_wait_storecnt_dscnt 0x0
	s_barrier_signal -1
	s_barrier_wait -1
	s_wait_xcnt 0x0
	s_and_saveexec_b32 s3, s2
	s_cbranch_execz .LBB87_19
; %bb.18:
	scratch_load_b128 v[2:5], v19, off
	ds_load_b128 v[8:11], v6
	v_mov_b32_e32 v7, 0
	ds_load_b128 v[64:67], v7 offset:16
	s_wait_loadcnt_dscnt 0x1
	v_mul_f64_e32 v[12:13], v[8:9], v[4:5]
	v_mul_f64_e32 v[4:5], v[10:11], v[4:5]
	s_delay_alu instid0(VALU_DEP_2) | instskip(NEXT) | instid1(VALU_DEP_2)
	v_fmac_f64_e32 v[12:13], v[10:11], v[2:3]
	v_fma_f64 v[2:3], v[8:9], v[2:3], -v[4:5]
	s_delay_alu instid0(VALU_DEP_2) | instskip(NEXT) | instid1(VALU_DEP_2)
	v_add_f64_e32 v[8:9], 0, v[12:13]
	v_add_f64_e32 v[2:3], 0, v[2:3]
	s_wait_dscnt 0x0
	s_delay_alu instid0(VALU_DEP_2) | instskip(NEXT) | instid1(VALU_DEP_2)
	v_mul_f64_e32 v[10:11], v[8:9], v[66:67]
	v_mul_f64_e32 v[4:5], v[2:3], v[66:67]
	s_delay_alu instid0(VALU_DEP_2) | instskip(NEXT) | instid1(VALU_DEP_2)
	v_fma_f64 v[2:3], v[2:3], v[64:65], -v[10:11]
	v_fmac_f64_e32 v[4:5], v[8:9], v[64:65]
	scratch_store_b128 off, v[2:5], off offset:16
.LBB87_19:
	s_wait_xcnt 0x0
	s_or_b32 exec_lo, exec_lo, s3
	s_wait_storecnt 0x0
	s_barrier_signal -1
	s_barrier_wait -1
	scratch_load_b128 v[2:5], off, s34
	s_mov_b32 s3, exec_lo
	s_wait_loadcnt 0x0
	ds_store_b128 v6, v[2:5]
	s_wait_dscnt 0x0
	s_barrier_signal -1
	s_barrier_wait -1
	v_cmpx_gt_u32_e32 2, v1
	s_cbranch_execz .LBB87_23
; %bb.20:
	scratch_load_b128 v[2:5], v19, off
	ds_load_b128 v[8:11], v6
	s_wait_loadcnt_dscnt 0x0
	v_mul_f64_e32 v[12:13], v[10:11], v[4:5]
	v_mul_f64_e32 v[64:65], v[8:9], v[4:5]
	s_delay_alu instid0(VALU_DEP_2) | instskip(NEXT) | instid1(VALU_DEP_2)
	v_fma_f64 v[4:5], v[8:9], v[2:3], -v[12:13]
	v_fmac_f64_e32 v[64:65], v[10:11], v[2:3]
	s_delay_alu instid0(VALU_DEP_2) | instskip(NEXT) | instid1(VALU_DEP_2)
	v_add_f64_e32 v[4:5], 0, v[4:5]
	v_add_f64_e32 v[2:3], 0, v[64:65]
	s_and_saveexec_b32 s37, s2
	s_cbranch_execz .LBB87_22
; %bb.21:
	scratch_load_b128 v[8:11], off, off offset:16
	v_mov_b32_e32 v7, 0
	ds_load_b128 v[64:67], v7 offset:400
	s_wait_loadcnt_dscnt 0x0
	v_mul_f64_e32 v[12:13], v[64:65], v[10:11]
	v_mul_f64_e32 v[10:11], v[66:67], v[10:11]
	s_delay_alu instid0(VALU_DEP_2) | instskip(NEXT) | instid1(VALU_DEP_2)
	v_fmac_f64_e32 v[12:13], v[66:67], v[8:9]
	v_fma_f64 v[8:9], v[64:65], v[8:9], -v[10:11]
	s_delay_alu instid0(VALU_DEP_2) | instskip(NEXT) | instid1(VALU_DEP_2)
	v_add_f64_e32 v[2:3], v[2:3], v[12:13]
	v_add_f64_e32 v[4:5], v[4:5], v[8:9]
.LBB87_22:
	s_or_b32 exec_lo, exec_lo, s37
	v_mov_b32_e32 v7, 0
	ds_load_b128 v[8:11], v7 offset:32
	s_wait_dscnt 0x0
	v_mul_f64_e32 v[64:65], v[2:3], v[10:11]
	v_mul_f64_e32 v[12:13], v[4:5], v[10:11]
	s_delay_alu instid0(VALU_DEP_2) | instskip(NEXT) | instid1(VALU_DEP_2)
	v_fma_f64 v[10:11], v[4:5], v[8:9], -v[64:65]
	v_fmac_f64_e32 v[12:13], v[2:3], v[8:9]
	scratch_store_b128 off, v[10:13], off offset:32
.LBB87_23:
	s_wait_xcnt 0x0
	s_or_b32 exec_lo, exec_lo, s3
	s_wait_storecnt 0x0
	s_barrier_signal -1
	s_barrier_wait -1
	scratch_load_b128 v[2:5], off, s22
	v_add_nc_u32_e32 v7, -1, v1
	s_mov_b32 s2, exec_lo
	s_wait_loadcnt 0x0
	ds_store_b128 v6, v[2:5]
	s_wait_dscnt 0x0
	s_barrier_signal -1
	s_barrier_wait -1
	v_cmpx_gt_u32_e32 3, v1
	s_cbranch_execz .LBB87_27
; %bb.24:
	v_dual_mov_b32 v10, v62 :: v_dual_add_nc_u32 v8, -1, v1
	v_mov_b64_e32 v[2:3], 0
	v_mov_b64_e32 v[4:5], 0
	v_add_nc_u32_e32 v9, 0x180, v62
	s_delay_alu instid0(VALU_DEP_4)
	v_or_b32_e32 v10, 8, v10
	s_mov_b32 s3, 0
.LBB87_25:                              ; =>This Inner Loop Header: Depth=1
	scratch_load_b128 v[64:67], v10, off offset:-8
	ds_load_b128 v[68:71], v9
	v_dual_add_nc_u32 v8, 1, v8 :: v_dual_add_nc_u32 v9, 16, v9
	s_wait_xcnt 0x0
	v_add_nc_u32_e32 v10, 16, v10
	s_delay_alu instid0(VALU_DEP_2) | instskip(SKIP_4) | instid1(VALU_DEP_2)
	v_cmp_lt_u32_e32 vcc_lo, 1, v8
	s_or_b32 s3, vcc_lo, s3
	s_wait_loadcnt_dscnt 0x0
	v_mul_f64_e32 v[12:13], v[70:71], v[66:67]
	v_mul_f64_e32 v[66:67], v[68:69], v[66:67]
	v_fma_f64 v[12:13], v[68:69], v[64:65], -v[12:13]
	s_delay_alu instid0(VALU_DEP_2) | instskip(NEXT) | instid1(VALU_DEP_2)
	v_fmac_f64_e32 v[66:67], v[70:71], v[64:65]
	v_add_f64_e32 v[4:5], v[4:5], v[12:13]
	s_delay_alu instid0(VALU_DEP_2)
	v_add_f64_e32 v[2:3], v[2:3], v[66:67]
	s_and_not1_b32 exec_lo, exec_lo, s3
	s_cbranch_execnz .LBB87_25
; %bb.26:
	s_or_b32 exec_lo, exec_lo, s3
	v_mov_b32_e32 v8, 0
	ds_load_b128 v[8:11], v8 offset:48
	s_wait_dscnt 0x0
	v_mul_f64_e32 v[64:65], v[2:3], v[10:11]
	v_mul_f64_e32 v[12:13], v[4:5], v[10:11]
	s_delay_alu instid0(VALU_DEP_2) | instskip(NEXT) | instid1(VALU_DEP_2)
	v_fma_f64 v[10:11], v[4:5], v[8:9], -v[64:65]
	v_fmac_f64_e32 v[12:13], v[2:3], v[8:9]
	scratch_store_b128 off, v[10:13], off offset:48
.LBB87_27:
	s_wait_xcnt 0x0
	s_or_b32 exec_lo, exec_lo, s2
	s_wait_storecnt 0x0
	s_barrier_signal -1
	s_barrier_wait -1
	scratch_load_b128 v[2:5], off, s23
	s_mov_b32 s2, exec_lo
	s_wait_loadcnt 0x0
	ds_store_b128 v6, v[2:5]
	s_wait_dscnt 0x0
	s_barrier_signal -1
	s_barrier_wait -1
	v_cmpx_gt_u32_e32 4, v1
	s_cbranch_execz .LBB87_31
; %bb.28:
	v_dual_mov_b32 v10, v62 :: v_dual_add_nc_u32 v8, -1, v1
	v_mov_b64_e32 v[2:3], 0
	v_mov_b64_e32 v[4:5], 0
	v_add_nc_u32_e32 v9, 0x180, v62
	s_delay_alu instid0(VALU_DEP_4)
	v_or_b32_e32 v10, 8, v10
	s_mov_b32 s3, 0
.LBB87_29:                              ; =>This Inner Loop Header: Depth=1
	scratch_load_b128 v[64:67], v10, off offset:-8
	ds_load_b128 v[68:71], v9
	v_dual_add_nc_u32 v8, 1, v8 :: v_dual_add_nc_u32 v9, 16, v9
	s_wait_xcnt 0x0
	v_add_nc_u32_e32 v10, 16, v10
	s_delay_alu instid0(VALU_DEP_2) | instskip(SKIP_4) | instid1(VALU_DEP_2)
	v_cmp_lt_u32_e32 vcc_lo, 2, v8
	s_or_b32 s3, vcc_lo, s3
	s_wait_loadcnt_dscnt 0x0
	v_mul_f64_e32 v[12:13], v[70:71], v[66:67]
	v_mul_f64_e32 v[66:67], v[68:69], v[66:67]
	v_fma_f64 v[12:13], v[68:69], v[64:65], -v[12:13]
	s_delay_alu instid0(VALU_DEP_2) | instskip(NEXT) | instid1(VALU_DEP_2)
	v_fmac_f64_e32 v[66:67], v[70:71], v[64:65]
	v_add_f64_e32 v[4:5], v[4:5], v[12:13]
	s_delay_alu instid0(VALU_DEP_2)
	v_add_f64_e32 v[2:3], v[2:3], v[66:67]
	s_and_not1_b32 exec_lo, exec_lo, s3
	s_cbranch_execnz .LBB87_29
; %bb.30:
	s_or_b32 exec_lo, exec_lo, s3
	v_mov_b32_e32 v8, 0
	ds_load_b128 v[8:11], v8 offset:64
	s_wait_dscnt 0x0
	v_mul_f64_e32 v[64:65], v[2:3], v[10:11]
	v_mul_f64_e32 v[12:13], v[4:5], v[10:11]
	s_delay_alu instid0(VALU_DEP_2) | instskip(NEXT) | instid1(VALU_DEP_2)
	v_fma_f64 v[10:11], v[4:5], v[8:9], -v[64:65]
	v_fmac_f64_e32 v[12:13], v[2:3], v[8:9]
	scratch_store_b128 off, v[10:13], off offset:64
.LBB87_31:
	s_wait_xcnt 0x0
	s_or_b32 exec_lo, exec_lo, s2
	s_wait_storecnt 0x0
	s_barrier_signal -1
	s_barrier_wait -1
	scratch_load_b128 v[2:5], off, s12
	;; [unrolled: 54-line block ×19, first 2 shown]
	s_mov_b32 s2, exec_lo
	s_wait_loadcnt 0x0
	ds_store_b128 v6, v[2:5]
	s_wait_dscnt 0x0
	s_barrier_signal -1
	s_barrier_wait -1
	v_cmpx_gt_u32_e32 22, v1
	s_cbranch_execz .LBB87_103
; %bb.100:
	v_dual_mov_b32 v10, v62 :: v_dual_add_nc_u32 v8, -1, v1
	v_mov_b64_e32 v[2:3], 0
	v_mov_b64_e32 v[4:5], 0
	v_add_nc_u32_e32 v9, 0x180, v62
	s_delay_alu instid0(VALU_DEP_4)
	v_or_b32_e32 v10, 8, v10
	s_mov_b32 s3, 0
.LBB87_101:                             ; =>This Inner Loop Header: Depth=1
	scratch_load_b128 v[64:67], v10, off offset:-8
	ds_load_b128 v[68:71], v9
	v_dual_add_nc_u32 v8, 1, v8 :: v_dual_add_nc_u32 v9, 16, v9
	s_wait_xcnt 0x0
	v_add_nc_u32_e32 v10, 16, v10
	s_delay_alu instid0(VALU_DEP_2) | instskip(SKIP_4) | instid1(VALU_DEP_2)
	v_cmp_lt_u32_e32 vcc_lo, 20, v8
	s_or_b32 s3, vcc_lo, s3
	s_wait_loadcnt_dscnt 0x0
	v_mul_f64_e32 v[12:13], v[70:71], v[66:67]
	v_mul_f64_e32 v[66:67], v[68:69], v[66:67]
	v_fma_f64 v[12:13], v[68:69], v[64:65], -v[12:13]
	s_delay_alu instid0(VALU_DEP_2) | instskip(NEXT) | instid1(VALU_DEP_2)
	v_fmac_f64_e32 v[66:67], v[70:71], v[64:65]
	v_add_f64_e32 v[4:5], v[4:5], v[12:13]
	s_delay_alu instid0(VALU_DEP_2)
	v_add_f64_e32 v[2:3], v[2:3], v[66:67]
	s_and_not1_b32 exec_lo, exec_lo, s3
	s_cbranch_execnz .LBB87_101
; %bb.102:
	s_or_b32 exec_lo, exec_lo, s3
	v_mov_b32_e32 v8, 0
	ds_load_b128 v[8:11], v8 offset:352
	s_wait_dscnt 0x0
	v_mul_f64_e32 v[64:65], v[2:3], v[10:11]
	v_mul_f64_e32 v[12:13], v[4:5], v[10:11]
	s_delay_alu instid0(VALU_DEP_2) | instskip(NEXT) | instid1(VALU_DEP_2)
	v_fma_f64 v[10:11], v[4:5], v[8:9], -v[64:65]
	v_fmac_f64_e32 v[12:13], v[2:3], v[8:9]
	scratch_store_b128 off, v[10:13], off offset:352
.LBB87_103:
	s_wait_xcnt 0x0
	s_or_b32 exec_lo, exec_lo, s2
	s_wait_storecnt 0x0
	s_barrier_signal -1
	s_barrier_wait -1
	scratch_load_b128 v[2:5], off, s21
	s_mov_b32 s2, exec_lo
	s_wait_loadcnt 0x0
	ds_store_b128 v6, v[2:5]
	s_wait_dscnt 0x0
	s_barrier_signal -1
	s_barrier_wait -1
	v_cmpx_ne_u32_e32 23, v1
	s_cbranch_execz .LBB87_107
; %bb.104:
	v_mov_b32_e32 v8, v62
	v_mov_b64_e32 v[2:3], 0
	v_mov_b64_e32 v[4:5], 0
	s_mov_b32 s3, 0
	s_delay_alu instid0(VALU_DEP_3)
	v_or_b32_e32 v8, 8, v8
.LBB87_105:                             ; =>This Inner Loop Header: Depth=1
	scratch_load_b128 v[10:13], v8, off offset:-8
	ds_load_b128 v[62:65], v6
	v_dual_add_nc_u32 v7, 1, v7 :: v_dual_add_nc_u32 v6, 16, v6
	s_wait_xcnt 0x0
	v_add_nc_u32_e32 v8, 16, v8
	s_delay_alu instid0(VALU_DEP_2) | instskip(SKIP_4) | instid1(VALU_DEP_2)
	v_cmp_lt_u32_e32 vcc_lo, 21, v7
	s_or_b32 s3, vcc_lo, s3
	s_wait_loadcnt_dscnt 0x0
	v_mul_f64_e32 v[66:67], v[64:65], v[12:13]
	v_mul_f64_e32 v[12:13], v[62:63], v[12:13]
	v_fma_f64 v[62:63], v[62:63], v[10:11], -v[66:67]
	s_delay_alu instid0(VALU_DEP_2) | instskip(NEXT) | instid1(VALU_DEP_2)
	v_fmac_f64_e32 v[12:13], v[64:65], v[10:11]
	v_add_f64_e32 v[4:5], v[4:5], v[62:63]
	s_delay_alu instid0(VALU_DEP_2)
	v_add_f64_e32 v[2:3], v[2:3], v[12:13]
	s_and_not1_b32 exec_lo, exec_lo, s3
	s_cbranch_execnz .LBB87_105
; %bb.106:
	s_or_b32 exec_lo, exec_lo, s3
	v_mov_b32_e32 v6, 0
	ds_load_b128 v[6:9], v6 offset:368
	s_wait_dscnt 0x0
	v_mul_f64_e32 v[12:13], v[2:3], v[8:9]
	v_mul_f64_e32 v[10:11], v[4:5], v[8:9]
	s_delay_alu instid0(VALU_DEP_2) | instskip(NEXT) | instid1(VALU_DEP_2)
	v_fma_f64 v[8:9], v[4:5], v[6:7], -v[12:13]
	v_fmac_f64_e32 v[10:11], v[2:3], v[6:7]
	scratch_store_b128 off, v[8:11], off offset:368
.LBB87_107:
	s_wait_xcnt 0x0
	s_or_b32 exec_lo, exec_lo, s2
	s_mov_b32 s3, -1
	s_wait_storecnt 0x0
	s_barrier_signal -1
	s_barrier_wait -1
.LBB87_108:
	s_and_b32 vcc_lo, exec_lo, s3
	s_cbranch_vccz .LBB87_110
; %bb.109:
	s_wait_xcnt 0x0
	v_mov_b32_e32 v2, 0
	s_lshl_b64 s[2:3], s[10:11], 2
	s_delay_alu instid0(SALU_CYCLE_1)
	s_add_nc_u64 s[2:3], s[6:7], s[2:3]
	global_load_b32 v2, v2, s[2:3]
	s_wait_loadcnt 0x0
	v_cmp_ne_u32_e32 vcc_lo, 0, v2
	s_cbranch_vccz .LBB87_111
.LBB87_110:
	s_sendmsg sendmsg(MSG_DEALLOC_VGPRS)
	s_endpgm
.LBB87_111:
	v_lshl_add_u32 v6, v1, 4, 0x180
	s_wait_xcnt 0x0
	s_mov_b32 s2, exec_lo
	v_cmpx_eq_u32_e32 23, v1
	s_cbranch_execz .LBB87_113
; %bb.112:
	scratch_load_b128 v[2:5], off, s33
	v_mov_b32_e32 v8, 0
	s_delay_alu instid0(VALU_DEP_1)
	v_dual_mov_b32 v9, v8 :: v_dual_mov_b32 v10, v8
	v_mov_b32_e32 v11, v8
	scratch_store_b128 off, v[8:11], off offset:352
	s_wait_loadcnt 0x0
	ds_store_b128 v6, v[2:5]
.LBB87_113:
	s_wait_xcnt 0x0
	s_or_b32 exec_lo, exec_lo, s2
	s_wait_storecnt_dscnt 0x0
	s_barrier_signal -1
	s_barrier_wait -1
	s_clause 0x1
	scratch_load_b128 v[8:11], off, off offset:368
	scratch_load_b128 v[62:65], off, off offset:352
	v_mov_b32_e32 v2, 0
	s_mov_b32 s2, exec_lo
	ds_load_b128 v[66:69], v2 offset:752
	s_wait_loadcnt_dscnt 0x100
	v_mul_f64_e32 v[4:5], v[68:69], v[10:11]
	v_mul_f64_e32 v[10:11], v[66:67], v[10:11]
	s_delay_alu instid0(VALU_DEP_2) | instskip(NEXT) | instid1(VALU_DEP_2)
	v_fma_f64 v[4:5], v[66:67], v[8:9], -v[4:5]
	v_fmac_f64_e32 v[10:11], v[68:69], v[8:9]
	s_delay_alu instid0(VALU_DEP_2) | instskip(NEXT) | instid1(VALU_DEP_2)
	v_add_f64_e32 v[4:5], 0, v[4:5]
	v_add_f64_e32 v[10:11], 0, v[10:11]
	s_wait_loadcnt 0x0
	s_delay_alu instid0(VALU_DEP_2) | instskip(NEXT) | instid1(VALU_DEP_2)
	v_add_f64_e64 v[8:9], v[62:63], -v[4:5]
	v_add_f64_e64 v[10:11], v[64:65], -v[10:11]
	scratch_store_b128 off, v[8:11], off offset:352
	s_wait_xcnt 0x0
	v_cmpx_lt_u32_e32 21, v1
	s_cbranch_execz .LBB87_115
; %bb.114:
	scratch_load_b128 v[8:11], off, s20
	v_dual_mov_b32 v3, v2 :: v_dual_mov_b32 v4, v2
	v_mov_b32_e32 v5, v2
	scratch_store_b128 off, v[2:5], off offset:336
	s_wait_loadcnt 0x0
	ds_store_b128 v6, v[8:11]
.LBB87_115:
	s_wait_xcnt 0x0
	s_or_b32 exec_lo, exec_lo, s2
	s_wait_storecnt_dscnt 0x0
	s_barrier_signal -1
	s_barrier_wait -1
	s_clause 0x2
	scratch_load_b128 v[8:11], off, off offset:352
	scratch_load_b128 v[62:65], off, off offset:368
	;; [unrolled: 1-line block ×3, first 2 shown]
	ds_load_b128 v[70:73], v2 offset:736
	ds_load_b128 v[2:5], v2 offset:752
	s_mov_b32 s2, exec_lo
	s_wait_loadcnt_dscnt 0x201
	v_mul_f64_e32 v[12:13], v[72:73], v[10:11]
	v_mul_f64_e32 v[10:11], v[70:71], v[10:11]
	s_wait_loadcnt_dscnt 0x100
	v_mul_f64_e32 v[74:75], v[2:3], v[64:65]
	v_mul_f64_e32 v[64:65], v[4:5], v[64:65]
	s_delay_alu instid0(VALU_DEP_4) | instskip(NEXT) | instid1(VALU_DEP_4)
	v_fma_f64 v[12:13], v[70:71], v[8:9], -v[12:13]
	v_fmac_f64_e32 v[10:11], v[72:73], v[8:9]
	s_delay_alu instid0(VALU_DEP_4) | instskip(NEXT) | instid1(VALU_DEP_4)
	v_fmac_f64_e32 v[74:75], v[4:5], v[62:63]
	v_fma_f64 v[2:3], v[2:3], v[62:63], -v[64:65]
	s_delay_alu instid0(VALU_DEP_4) | instskip(NEXT) | instid1(VALU_DEP_4)
	v_add_f64_e32 v[4:5], 0, v[12:13]
	v_add_f64_e32 v[8:9], 0, v[10:11]
	s_delay_alu instid0(VALU_DEP_2) | instskip(NEXT) | instid1(VALU_DEP_2)
	v_add_f64_e32 v[2:3], v[4:5], v[2:3]
	v_add_f64_e32 v[4:5], v[8:9], v[74:75]
	s_wait_loadcnt 0x0
	s_delay_alu instid0(VALU_DEP_2) | instskip(NEXT) | instid1(VALU_DEP_2)
	v_add_f64_e64 v[2:3], v[66:67], -v[2:3]
	v_add_f64_e64 v[4:5], v[68:69], -v[4:5]
	scratch_store_b128 off, v[2:5], off offset:336
	s_wait_xcnt 0x0
	v_cmpx_lt_u32_e32 20, v1
	s_cbranch_execz .LBB87_117
; %bb.116:
	scratch_load_b128 v[2:5], off, s31
	v_mov_b32_e32 v8, 0
	s_delay_alu instid0(VALU_DEP_1)
	v_dual_mov_b32 v9, v8 :: v_dual_mov_b32 v10, v8
	v_mov_b32_e32 v11, v8
	scratch_store_b128 off, v[8:11], off offset:320
	s_wait_loadcnt 0x0
	ds_store_b128 v6, v[2:5]
.LBB87_117:
	s_wait_xcnt 0x0
	s_or_b32 exec_lo, exec_lo, s2
	s_wait_storecnt_dscnt 0x0
	s_barrier_signal -1
	s_barrier_wait -1
	s_clause 0x3
	scratch_load_b128 v[8:11], off, off offset:336
	scratch_load_b128 v[62:65], off, off offset:352
	;; [unrolled: 1-line block ×4, first 2 shown]
	v_mov_b32_e32 v2, 0
	ds_load_b128 v[74:77], v2 offset:720
	ds_load_b128 v[78:81], v2 offset:736
	s_mov_b32 s2, exec_lo
	s_wait_loadcnt_dscnt 0x301
	v_mul_f64_e32 v[4:5], v[76:77], v[10:11]
	v_mul_f64_e32 v[12:13], v[74:75], v[10:11]
	s_wait_loadcnt_dscnt 0x200
	v_mul_f64_e32 v[82:83], v[78:79], v[64:65]
	v_mul_f64_e32 v[64:65], v[80:81], v[64:65]
	s_delay_alu instid0(VALU_DEP_4) | instskip(NEXT) | instid1(VALU_DEP_4)
	v_fma_f64 v[4:5], v[74:75], v[8:9], -v[4:5]
	v_fmac_f64_e32 v[12:13], v[76:77], v[8:9]
	ds_load_b128 v[8:11], v2 offset:752
	v_fmac_f64_e32 v[82:83], v[80:81], v[62:63]
	v_fma_f64 v[62:63], v[78:79], v[62:63], -v[64:65]
	s_wait_loadcnt_dscnt 0x100
	v_mul_f64_e32 v[74:75], v[8:9], v[68:69]
	v_mul_f64_e32 v[68:69], v[10:11], v[68:69]
	v_add_f64_e32 v[4:5], 0, v[4:5]
	v_add_f64_e32 v[12:13], 0, v[12:13]
	s_delay_alu instid0(VALU_DEP_4) | instskip(NEXT) | instid1(VALU_DEP_4)
	v_fmac_f64_e32 v[74:75], v[10:11], v[66:67]
	v_fma_f64 v[8:9], v[8:9], v[66:67], -v[68:69]
	s_delay_alu instid0(VALU_DEP_4) | instskip(NEXT) | instid1(VALU_DEP_4)
	v_add_f64_e32 v[4:5], v[4:5], v[62:63]
	v_add_f64_e32 v[10:11], v[12:13], v[82:83]
	s_delay_alu instid0(VALU_DEP_2) | instskip(NEXT) | instid1(VALU_DEP_2)
	v_add_f64_e32 v[4:5], v[4:5], v[8:9]
	v_add_f64_e32 v[10:11], v[10:11], v[74:75]
	s_wait_loadcnt 0x0
	s_delay_alu instid0(VALU_DEP_2) | instskip(NEXT) | instid1(VALU_DEP_2)
	v_add_f64_e64 v[8:9], v[70:71], -v[4:5]
	v_add_f64_e64 v[10:11], v[72:73], -v[10:11]
	scratch_store_b128 off, v[8:11], off offset:320
	s_wait_xcnt 0x0
	v_cmpx_lt_u32_e32 19, v1
	s_cbranch_execz .LBB87_119
; %bb.118:
	scratch_load_b128 v[8:11], off, s19
	v_dual_mov_b32 v3, v2 :: v_dual_mov_b32 v4, v2
	v_mov_b32_e32 v5, v2
	scratch_store_b128 off, v[2:5], off offset:304
	s_wait_loadcnt 0x0
	ds_store_b128 v6, v[8:11]
.LBB87_119:
	s_wait_xcnt 0x0
	s_or_b32 exec_lo, exec_lo, s2
	s_wait_storecnt_dscnt 0x0
	s_barrier_signal -1
	s_barrier_wait -1
	s_clause 0x4
	scratch_load_b128 v[8:11], off, off offset:320
	scratch_load_b128 v[62:65], off, off offset:336
	;; [unrolled: 1-line block ×5, first 2 shown]
	ds_load_b128 v[78:81], v2 offset:704
	ds_load_b128 v[82:85], v2 offset:720
	s_mov_b32 s2, exec_lo
	s_wait_loadcnt_dscnt 0x401
	v_mul_f64_e32 v[4:5], v[80:81], v[10:11]
	v_mul_f64_e32 v[12:13], v[78:79], v[10:11]
	s_wait_loadcnt_dscnt 0x300
	v_mul_f64_e32 v[86:87], v[82:83], v[64:65]
	v_mul_f64_e32 v[64:65], v[84:85], v[64:65]
	s_delay_alu instid0(VALU_DEP_4) | instskip(NEXT) | instid1(VALU_DEP_4)
	v_fma_f64 v[78:79], v[78:79], v[8:9], -v[4:5]
	v_fmac_f64_e32 v[12:13], v[80:81], v[8:9]
	ds_load_b128 v[8:11], v2 offset:736
	ds_load_b128 v[2:5], v2 offset:752
	v_fmac_f64_e32 v[86:87], v[84:85], v[62:63]
	v_fma_f64 v[62:63], v[82:83], v[62:63], -v[64:65]
	s_wait_loadcnt_dscnt 0x201
	v_mul_f64_e32 v[80:81], v[8:9], v[68:69]
	v_mul_f64_e32 v[68:69], v[10:11], v[68:69]
	v_add_f64_e32 v[64:65], 0, v[78:79]
	v_add_f64_e32 v[12:13], 0, v[12:13]
	s_wait_loadcnt_dscnt 0x100
	v_mul_f64_e32 v[78:79], v[2:3], v[72:73]
	v_mul_f64_e32 v[72:73], v[4:5], v[72:73]
	v_fmac_f64_e32 v[80:81], v[10:11], v[66:67]
	v_fma_f64 v[8:9], v[8:9], v[66:67], -v[68:69]
	v_add_f64_e32 v[10:11], v[64:65], v[62:63]
	v_add_f64_e32 v[12:13], v[12:13], v[86:87]
	v_fmac_f64_e32 v[78:79], v[4:5], v[70:71]
	v_fma_f64 v[2:3], v[2:3], v[70:71], -v[72:73]
	s_delay_alu instid0(VALU_DEP_4) | instskip(NEXT) | instid1(VALU_DEP_4)
	v_add_f64_e32 v[4:5], v[10:11], v[8:9]
	v_add_f64_e32 v[8:9], v[12:13], v[80:81]
	s_delay_alu instid0(VALU_DEP_2) | instskip(NEXT) | instid1(VALU_DEP_2)
	v_add_f64_e32 v[2:3], v[4:5], v[2:3]
	v_add_f64_e32 v[4:5], v[8:9], v[78:79]
	s_wait_loadcnt 0x0
	s_delay_alu instid0(VALU_DEP_2) | instskip(NEXT) | instid1(VALU_DEP_2)
	v_add_f64_e64 v[2:3], v[74:75], -v[2:3]
	v_add_f64_e64 v[4:5], v[76:77], -v[4:5]
	scratch_store_b128 off, v[2:5], off offset:304
	s_wait_xcnt 0x0
	v_cmpx_lt_u32_e32 18, v1
	s_cbranch_execz .LBB87_121
; %bb.120:
	scratch_load_b128 v[2:5], off, s30
	v_mov_b32_e32 v8, 0
	s_delay_alu instid0(VALU_DEP_1)
	v_dual_mov_b32 v9, v8 :: v_dual_mov_b32 v10, v8
	v_mov_b32_e32 v11, v8
	scratch_store_b128 off, v[8:11], off offset:288
	s_wait_loadcnt 0x0
	ds_store_b128 v6, v[2:5]
.LBB87_121:
	s_wait_xcnt 0x0
	s_or_b32 exec_lo, exec_lo, s2
	s_wait_storecnt_dscnt 0x0
	s_barrier_signal -1
	s_barrier_wait -1
	s_clause 0x5
	scratch_load_b128 v[8:11], off, off offset:304
	scratch_load_b128 v[62:65], off, off offset:320
	;; [unrolled: 1-line block ×6, first 2 shown]
	v_mov_b32_e32 v2, 0
	ds_load_b128 v[82:85], v2 offset:688
	ds_load_b128 v[86:89], v2 offset:704
	s_mov_b32 s2, exec_lo
	s_wait_loadcnt_dscnt 0x501
	v_mul_f64_e32 v[4:5], v[84:85], v[10:11]
	v_mul_f64_e32 v[12:13], v[82:83], v[10:11]
	s_wait_loadcnt_dscnt 0x400
	v_mul_f64_e32 v[90:91], v[86:87], v[64:65]
	v_mul_f64_e32 v[64:65], v[88:89], v[64:65]
	s_delay_alu instid0(VALU_DEP_4) | instskip(NEXT) | instid1(VALU_DEP_4)
	v_fma_f64 v[4:5], v[82:83], v[8:9], -v[4:5]
	v_fmac_f64_e32 v[12:13], v[84:85], v[8:9]
	ds_load_b128 v[8:11], v2 offset:720
	ds_load_b128 v[82:85], v2 offset:736
	v_fmac_f64_e32 v[90:91], v[88:89], v[62:63]
	v_fma_f64 v[62:63], v[86:87], v[62:63], -v[64:65]
	s_wait_loadcnt_dscnt 0x301
	v_mul_f64_e32 v[92:93], v[8:9], v[68:69]
	v_mul_f64_e32 v[68:69], v[10:11], v[68:69]
	s_wait_loadcnt_dscnt 0x200
	v_mul_f64_e32 v[64:65], v[82:83], v[72:73]
	v_mul_f64_e32 v[72:73], v[84:85], v[72:73]
	v_add_f64_e32 v[4:5], 0, v[4:5]
	v_add_f64_e32 v[12:13], 0, v[12:13]
	v_fmac_f64_e32 v[92:93], v[10:11], v[66:67]
	v_fma_f64 v[66:67], v[8:9], v[66:67], -v[68:69]
	ds_load_b128 v[8:11], v2 offset:752
	v_fmac_f64_e32 v[64:65], v[84:85], v[70:71]
	v_fma_f64 v[70:71], v[82:83], v[70:71], -v[72:73]
	v_add_f64_e32 v[4:5], v[4:5], v[62:63]
	v_add_f64_e32 v[12:13], v[12:13], v[90:91]
	s_wait_loadcnt_dscnt 0x100
	v_mul_f64_e32 v[62:63], v[8:9], v[76:77]
	v_mul_f64_e32 v[68:69], v[10:11], v[76:77]
	s_delay_alu instid0(VALU_DEP_4) | instskip(NEXT) | instid1(VALU_DEP_4)
	v_add_f64_e32 v[4:5], v[4:5], v[66:67]
	v_add_f64_e32 v[12:13], v[12:13], v[92:93]
	s_delay_alu instid0(VALU_DEP_4) | instskip(NEXT) | instid1(VALU_DEP_4)
	v_fmac_f64_e32 v[62:63], v[10:11], v[74:75]
	v_fma_f64 v[8:9], v[8:9], v[74:75], -v[68:69]
	s_delay_alu instid0(VALU_DEP_4) | instskip(NEXT) | instid1(VALU_DEP_4)
	v_add_f64_e32 v[4:5], v[4:5], v[70:71]
	v_add_f64_e32 v[10:11], v[12:13], v[64:65]
	s_delay_alu instid0(VALU_DEP_2) | instskip(NEXT) | instid1(VALU_DEP_2)
	v_add_f64_e32 v[4:5], v[4:5], v[8:9]
	v_add_f64_e32 v[10:11], v[10:11], v[62:63]
	s_wait_loadcnt 0x0
	s_delay_alu instid0(VALU_DEP_2) | instskip(NEXT) | instid1(VALU_DEP_2)
	v_add_f64_e64 v[8:9], v[78:79], -v[4:5]
	v_add_f64_e64 v[10:11], v[80:81], -v[10:11]
	scratch_store_b128 off, v[8:11], off offset:288
	s_wait_xcnt 0x0
	v_cmpx_lt_u32_e32 17, v1
	s_cbranch_execz .LBB87_123
; %bb.122:
	scratch_load_b128 v[8:11], off, s18
	v_dual_mov_b32 v3, v2 :: v_dual_mov_b32 v4, v2
	v_mov_b32_e32 v5, v2
	scratch_store_b128 off, v[2:5], off offset:272
	s_wait_loadcnt 0x0
	ds_store_b128 v6, v[8:11]
.LBB87_123:
	s_wait_xcnt 0x0
	s_or_b32 exec_lo, exec_lo, s2
	s_wait_storecnt_dscnt 0x0
	s_barrier_signal -1
	s_barrier_wait -1
	s_clause 0x6
	scratch_load_b128 v[8:11], off, off offset:288
	scratch_load_b128 v[62:65], off, off offset:304
	;; [unrolled: 1-line block ×7, first 2 shown]
	ds_load_b128 v[86:89], v2 offset:672
	ds_load_b128 v[90:93], v2 offset:688
	s_mov_b32 s2, exec_lo
	s_wait_loadcnt_dscnt 0x601
	v_mul_f64_e32 v[4:5], v[88:89], v[10:11]
	v_mul_f64_e32 v[12:13], v[86:87], v[10:11]
	s_wait_loadcnt_dscnt 0x500
	v_mul_f64_e32 v[94:95], v[90:91], v[64:65]
	v_mul_f64_e32 v[64:65], v[92:93], v[64:65]
	s_delay_alu instid0(VALU_DEP_4) | instskip(NEXT) | instid1(VALU_DEP_4)
	v_fma_f64 v[4:5], v[86:87], v[8:9], -v[4:5]
	v_fmac_f64_e32 v[12:13], v[88:89], v[8:9]
	ds_load_b128 v[8:11], v2 offset:704
	ds_load_b128 v[86:89], v2 offset:720
	v_fmac_f64_e32 v[94:95], v[92:93], v[62:63]
	v_fma_f64 v[62:63], v[90:91], v[62:63], -v[64:65]
	s_wait_loadcnt_dscnt 0x401
	v_mul_f64_e32 v[96:97], v[8:9], v[68:69]
	v_mul_f64_e32 v[68:69], v[10:11], v[68:69]
	s_wait_loadcnt_dscnt 0x300
	v_mul_f64_e32 v[64:65], v[86:87], v[72:73]
	v_mul_f64_e32 v[72:73], v[88:89], v[72:73]
	v_add_f64_e32 v[4:5], 0, v[4:5]
	v_add_f64_e32 v[12:13], 0, v[12:13]
	v_fmac_f64_e32 v[96:97], v[10:11], v[66:67]
	v_fma_f64 v[66:67], v[8:9], v[66:67], -v[68:69]
	v_fmac_f64_e32 v[64:65], v[88:89], v[70:71]
	v_fma_f64 v[70:71], v[86:87], v[70:71], -v[72:73]
	v_add_f64_e32 v[62:63], v[4:5], v[62:63]
	v_add_f64_e32 v[12:13], v[12:13], v[94:95]
	ds_load_b128 v[8:11], v2 offset:736
	ds_load_b128 v[2:5], v2 offset:752
	s_wait_loadcnt_dscnt 0x201
	v_mul_f64_e32 v[68:69], v[8:9], v[76:77]
	v_mul_f64_e32 v[76:77], v[10:11], v[76:77]
	s_wait_loadcnt_dscnt 0x100
	v_mul_f64_e32 v[72:73], v[4:5], v[80:81]
	v_add_f64_e32 v[62:63], v[62:63], v[66:67]
	v_add_f64_e32 v[12:13], v[12:13], v[96:97]
	v_mul_f64_e32 v[66:67], v[2:3], v[80:81]
	v_fmac_f64_e32 v[68:69], v[10:11], v[74:75]
	v_fma_f64 v[8:9], v[8:9], v[74:75], -v[76:77]
	v_fma_f64 v[2:3], v[2:3], v[78:79], -v[72:73]
	v_add_f64_e32 v[10:11], v[62:63], v[70:71]
	v_add_f64_e32 v[12:13], v[12:13], v[64:65]
	v_fmac_f64_e32 v[66:67], v[4:5], v[78:79]
	s_delay_alu instid0(VALU_DEP_3) | instskip(NEXT) | instid1(VALU_DEP_3)
	v_add_f64_e32 v[4:5], v[10:11], v[8:9]
	v_add_f64_e32 v[8:9], v[12:13], v[68:69]
	s_delay_alu instid0(VALU_DEP_2) | instskip(NEXT) | instid1(VALU_DEP_2)
	v_add_f64_e32 v[2:3], v[4:5], v[2:3]
	v_add_f64_e32 v[4:5], v[8:9], v[66:67]
	s_wait_loadcnt 0x0
	s_delay_alu instid0(VALU_DEP_2) | instskip(NEXT) | instid1(VALU_DEP_2)
	v_add_f64_e64 v[2:3], v[82:83], -v[2:3]
	v_add_f64_e64 v[4:5], v[84:85], -v[4:5]
	scratch_store_b128 off, v[2:5], off offset:272
	s_wait_xcnt 0x0
	v_cmpx_lt_u32_e32 16, v1
	s_cbranch_execz .LBB87_125
; %bb.124:
	scratch_load_b128 v[2:5], off, s29
	v_mov_b32_e32 v8, 0
	s_delay_alu instid0(VALU_DEP_1)
	v_dual_mov_b32 v9, v8 :: v_dual_mov_b32 v10, v8
	v_mov_b32_e32 v11, v8
	scratch_store_b128 off, v[8:11], off offset:256
	s_wait_loadcnt 0x0
	ds_store_b128 v6, v[2:5]
.LBB87_125:
	s_wait_xcnt 0x0
	s_or_b32 exec_lo, exec_lo, s2
	s_wait_storecnt_dscnt 0x0
	s_barrier_signal -1
	s_barrier_wait -1
	s_clause 0x7
	scratch_load_b128 v[8:11], off, off offset:272
	scratch_load_b128 v[62:65], off, off offset:288
	;; [unrolled: 1-line block ×8, first 2 shown]
	v_mov_b32_e32 v2, 0
	ds_load_b128 v[90:93], v2 offset:656
	ds_load_b128 v[94:97], v2 offset:672
	s_mov_b32 s2, exec_lo
	s_wait_loadcnt_dscnt 0x701
	v_mul_f64_e32 v[4:5], v[92:93], v[10:11]
	v_mul_f64_e32 v[12:13], v[90:91], v[10:11]
	s_wait_loadcnt_dscnt 0x600
	v_mul_f64_e32 v[98:99], v[94:95], v[64:65]
	v_mul_f64_e32 v[64:65], v[96:97], v[64:65]
	s_delay_alu instid0(VALU_DEP_4) | instskip(NEXT) | instid1(VALU_DEP_4)
	v_fma_f64 v[4:5], v[90:91], v[8:9], -v[4:5]
	v_fmac_f64_e32 v[12:13], v[92:93], v[8:9]
	ds_load_b128 v[8:11], v2 offset:688
	ds_load_b128 v[90:93], v2 offset:704
	v_fmac_f64_e32 v[98:99], v[96:97], v[62:63]
	v_fma_f64 v[62:63], v[94:95], v[62:63], -v[64:65]
	s_wait_loadcnt_dscnt 0x501
	v_mul_f64_e32 v[100:101], v[8:9], v[68:69]
	v_mul_f64_e32 v[68:69], v[10:11], v[68:69]
	s_wait_loadcnt_dscnt 0x400
	v_mul_f64_e32 v[94:95], v[90:91], v[72:73]
	v_mul_f64_e32 v[72:73], v[92:93], v[72:73]
	v_add_f64_e32 v[4:5], 0, v[4:5]
	v_add_f64_e32 v[12:13], 0, v[12:13]
	v_fmac_f64_e32 v[100:101], v[10:11], v[66:67]
	v_fma_f64 v[66:67], v[8:9], v[66:67], -v[68:69]
	v_fmac_f64_e32 v[94:95], v[92:93], v[70:71]
	v_fma_f64 v[70:71], v[90:91], v[70:71], -v[72:73]
	v_add_f64_e32 v[4:5], v[4:5], v[62:63]
	v_add_f64_e32 v[12:13], v[12:13], v[98:99]
	ds_load_b128 v[8:11], v2 offset:720
	ds_load_b128 v[62:65], v2 offset:736
	s_wait_loadcnt_dscnt 0x301
	v_mul_f64_e32 v[68:69], v[8:9], v[76:77]
	v_mul_f64_e32 v[76:77], v[10:11], v[76:77]
	s_wait_loadcnt_dscnt 0x200
	v_mul_f64_e32 v[72:73], v[64:65], v[80:81]
	v_add_f64_e32 v[4:5], v[4:5], v[66:67]
	v_add_f64_e32 v[12:13], v[12:13], v[100:101]
	v_mul_f64_e32 v[66:67], v[62:63], v[80:81]
	v_fmac_f64_e32 v[68:69], v[10:11], v[74:75]
	v_fma_f64 v[74:75], v[8:9], v[74:75], -v[76:77]
	ds_load_b128 v[8:11], v2 offset:752
	v_fma_f64 v[62:63], v[62:63], v[78:79], -v[72:73]
	v_add_f64_e32 v[4:5], v[4:5], v[70:71]
	v_add_f64_e32 v[12:13], v[12:13], v[94:95]
	v_fmac_f64_e32 v[66:67], v[64:65], v[78:79]
	s_wait_loadcnt_dscnt 0x100
	v_mul_f64_e32 v[70:71], v[8:9], v[84:85]
	v_mul_f64_e32 v[76:77], v[10:11], v[84:85]
	v_add_f64_e32 v[4:5], v[4:5], v[74:75]
	v_add_f64_e32 v[12:13], v[12:13], v[68:69]
	s_delay_alu instid0(VALU_DEP_4) | instskip(NEXT) | instid1(VALU_DEP_4)
	v_fmac_f64_e32 v[70:71], v[10:11], v[82:83]
	v_fma_f64 v[8:9], v[8:9], v[82:83], -v[76:77]
	s_delay_alu instid0(VALU_DEP_4) | instskip(NEXT) | instid1(VALU_DEP_4)
	v_add_f64_e32 v[4:5], v[4:5], v[62:63]
	v_add_f64_e32 v[10:11], v[12:13], v[66:67]
	s_delay_alu instid0(VALU_DEP_2) | instskip(NEXT) | instid1(VALU_DEP_2)
	v_add_f64_e32 v[4:5], v[4:5], v[8:9]
	v_add_f64_e32 v[10:11], v[10:11], v[70:71]
	s_wait_loadcnt 0x0
	s_delay_alu instid0(VALU_DEP_2) | instskip(NEXT) | instid1(VALU_DEP_2)
	v_add_f64_e64 v[8:9], v[86:87], -v[4:5]
	v_add_f64_e64 v[10:11], v[88:89], -v[10:11]
	scratch_store_b128 off, v[8:11], off offset:256
	s_wait_xcnt 0x0
	v_cmpx_lt_u32_e32 15, v1
	s_cbranch_execz .LBB87_127
; %bb.126:
	scratch_load_b128 v[8:11], off, s17
	v_dual_mov_b32 v3, v2 :: v_dual_mov_b32 v4, v2
	v_mov_b32_e32 v5, v2
	scratch_store_b128 off, v[2:5], off offset:240
	s_wait_loadcnt 0x0
	ds_store_b128 v6, v[8:11]
.LBB87_127:
	s_wait_xcnt 0x0
	s_or_b32 exec_lo, exec_lo, s2
	s_wait_storecnt_dscnt 0x0
	s_barrier_signal -1
	s_barrier_wait -1
	s_clause 0x7
	scratch_load_b128 v[8:11], off, off offset:256
	scratch_load_b128 v[62:65], off, off offset:272
	;; [unrolled: 1-line block ×8, first 2 shown]
	ds_load_b128 v[90:93], v2 offset:640
	ds_load_b128 v[94:97], v2 offset:656
	scratch_load_b128 v[98:101], off, off offset:240
	s_mov_b32 s2, exec_lo
	s_wait_loadcnt_dscnt 0x801
	v_mul_f64_e32 v[4:5], v[92:93], v[10:11]
	v_mul_f64_e32 v[12:13], v[90:91], v[10:11]
	s_wait_loadcnt_dscnt 0x700
	v_mul_f64_e32 v[102:103], v[94:95], v[64:65]
	v_mul_f64_e32 v[64:65], v[96:97], v[64:65]
	s_delay_alu instid0(VALU_DEP_4) | instskip(NEXT) | instid1(VALU_DEP_4)
	v_fma_f64 v[4:5], v[90:91], v[8:9], -v[4:5]
	v_fmac_f64_e32 v[12:13], v[92:93], v[8:9]
	ds_load_b128 v[8:11], v2 offset:672
	ds_load_b128 v[90:93], v2 offset:688
	v_fmac_f64_e32 v[102:103], v[96:97], v[62:63]
	v_fma_f64 v[62:63], v[94:95], v[62:63], -v[64:65]
	s_wait_loadcnt_dscnt 0x601
	v_mul_f64_e32 v[104:105], v[8:9], v[68:69]
	v_mul_f64_e32 v[68:69], v[10:11], v[68:69]
	s_wait_loadcnt_dscnt 0x500
	v_mul_f64_e32 v[94:95], v[90:91], v[72:73]
	v_mul_f64_e32 v[72:73], v[92:93], v[72:73]
	v_add_f64_e32 v[4:5], 0, v[4:5]
	v_add_f64_e32 v[12:13], 0, v[12:13]
	v_fmac_f64_e32 v[104:105], v[10:11], v[66:67]
	v_fma_f64 v[66:67], v[8:9], v[66:67], -v[68:69]
	v_fmac_f64_e32 v[94:95], v[92:93], v[70:71]
	v_fma_f64 v[70:71], v[90:91], v[70:71], -v[72:73]
	v_add_f64_e32 v[4:5], v[4:5], v[62:63]
	v_add_f64_e32 v[12:13], v[12:13], v[102:103]
	ds_load_b128 v[8:11], v2 offset:704
	ds_load_b128 v[62:65], v2 offset:720
	s_wait_loadcnt_dscnt 0x401
	v_mul_f64_e32 v[68:69], v[8:9], v[76:77]
	v_mul_f64_e32 v[76:77], v[10:11], v[76:77]
	s_wait_loadcnt_dscnt 0x300
	v_mul_f64_e32 v[72:73], v[64:65], v[80:81]
	v_add_f64_e32 v[4:5], v[4:5], v[66:67]
	v_add_f64_e32 v[12:13], v[12:13], v[104:105]
	v_mul_f64_e32 v[66:67], v[62:63], v[80:81]
	v_fmac_f64_e32 v[68:69], v[10:11], v[74:75]
	v_fma_f64 v[74:75], v[8:9], v[74:75], -v[76:77]
	v_fma_f64 v[62:63], v[62:63], v[78:79], -v[72:73]
	v_add_f64_e32 v[70:71], v[4:5], v[70:71]
	v_add_f64_e32 v[12:13], v[12:13], v[94:95]
	ds_load_b128 v[8:11], v2 offset:736
	ds_load_b128 v[2:5], v2 offset:752
	v_fmac_f64_e32 v[66:67], v[64:65], v[78:79]
	s_wait_loadcnt_dscnt 0x201
	v_mul_f64_e32 v[76:77], v[8:9], v[84:85]
	v_mul_f64_e32 v[80:81], v[10:11], v[84:85]
	v_add_f64_e32 v[64:65], v[70:71], v[74:75]
	v_add_f64_e32 v[12:13], v[12:13], v[68:69]
	s_wait_loadcnt_dscnt 0x100
	v_mul_f64_e32 v[68:69], v[2:3], v[88:89]
	v_mul_f64_e32 v[70:71], v[4:5], v[88:89]
	v_fmac_f64_e32 v[76:77], v[10:11], v[82:83]
	v_fma_f64 v[8:9], v[8:9], v[82:83], -v[80:81]
	v_add_f64_e32 v[10:11], v[64:65], v[62:63]
	v_add_f64_e32 v[12:13], v[12:13], v[66:67]
	v_fmac_f64_e32 v[68:69], v[4:5], v[86:87]
	v_fma_f64 v[2:3], v[2:3], v[86:87], -v[70:71]
	s_delay_alu instid0(VALU_DEP_4) | instskip(NEXT) | instid1(VALU_DEP_4)
	v_add_f64_e32 v[4:5], v[10:11], v[8:9]
	v_add_f64_e32 v[8:9], v[12:13], v[76:77]
	s_delay_alu instid0(VALU_DEP_2) | instskip(NEXT) | instid1(VALU_DEP_2)
	v_add_f64_e32 v[2:3], v[4:5], v[2:3]
	v_add_f64_e32 v[4:5], v[8:9], v[68:69]
	s_wait_loadcnt 0x0
	s_delay_alu instid0(VALU_DEP_2) | instskip(NEXT) | instid1(VALU_DEP_2)
	v_add_f64_e64 v[2:3], v[98:99], -v[2:3]
	v_add_f64_e64 v[4:5], v[100:101], -v[4:5]
	scratch_store_b128 off, v[2:5], off offset:240
	s_wait_xcnt 0x0
	v_cmpx_lt_u32_e32 14, v1
	s_cbranch_execz .LBB87_129
; %bb.128:
	scratch_load_b128 v[2:5], off, s28
	v_mov_b32_e32 v8, 0
	s_delay_alu instid0(VALU_DEP_1)
	v_dual_mov_b32 v9, v8 :: v_dual_mov_b32 v10, v8
	v_mov_b32_e32 v11, v8
	scratch_store_b128 off, v[8:11], off offset:224
	s_wait_loadcnt 0x0
	ds_store_b128 v6, v[2:5]
.LBB87_129:
	s_wait_xcnt 0x0
	s_or_b32 exec_lo, exec_lo, s2
	s_wait_storecnt_dscnt 0x0
	s_barrier_signal -1
	s_barrier_wait -1
	s_clause 0x8
	scratch_load_b128 v[8:11], off, off offset:240
	scratch_load_b128 v[62:65], off, off offset:256
	;; [unrolled: 1-line block ×9, first 2 shown]
	v_mov_b32_e32 v2, 0
	scratch_load_b128 v[98:101], off, off offset:224
	s_mov_b32 s2, exec_lo
	ds_load_b128 v[94:97], v2 offset:624
	ds_load_b128 v[102:105], v2 offset:640
	s_wait_loadcnt_dscnt 0x901
	v_mul_f64_e32 v[4:5], v[96:97], v[10:11]
	v_mul_f64_e32 v[12:13], v[94:95], v[10:11]
	s_wait_loadcnt_dscnt 0x800
	v_mul_f64_e32 v[106:107], v[102:103], v[64:65]
	v_mul_f64_e32 v[64:65], v[104:105], v[64:65]
	s_delay_alu instid0(VALU_DEP_4) | instskip(NEXT) | instid1(VALU_DEP_4)
	v_fma_f64 v[4:5], v[94:95], v[8:9], -v[4:5]
	v_fmac_f64_e32 v[12:13], v[96:97], v[8:9]
	ds_load_b128 v[8:11], v2 offset:656
	ds_load_b128 v[94:97], v2 offset:672
	v_fmac_f64_e32 v[106:107], v[104:105], v[62:63]
	v_fma_f64 v[62:63], v[102:103], v[62:63], -v[64:65]
	s_wait_loadcnt_dscnt 0x701
	v_mul_f64_e32 v[108:109], v[8:9], v[68:69]
	v_mul_f64_e32 v[68:69], v[10:11], v[68:69]
	s_wait_loadcnt_dscnt 0x600
	v_mul_f64_e32 v[102:103], v[94:95], v[72:73]
	v_mul_f64_e32 v[72:73], v[96:97], v[72:73]
	v_add_f64_e32 v[4:5], 0, v[4:5]
	v_add_f64_e32 v[12:13], 0, v[12:13]
	v_fmac_f64_e32 v[108:109], v[10:11], v[66:67]
	v_fma_f64 v[66:67], v[8:9], v[66:67], -v[68:69]
	v_fmac_f64_e32 v[102:103], v[96:97], v[70:71]
	v_fma_f64 v[70:71], v[94:95], v[70:71], -v[72:73]
	v_add_f64_e32 v[4:5], v[4:5], v[62:63]
	v_add_f64_e32 v[12:13], v[12:13], v[106:107]
	ds_load_b128 v[8:11], v2 offset:688
	ds_load_b128 v[62:65], v2 offset:704
	s_wait_loadcnt_dscnt 0x501
	v_mul_f64_e32 v[104:105], v[8:9], v[76:77]
	v_mul_f64_e32 v[68:69], v[10:11], v[76:77]
	s_wait_loadcnt_dscnt 0x400
	v_mul_f64_e32 v[72:73], v[62:63], v[80:81]
	v_mul_f64_e32 v[76:77], v[64:65], v[80:81]
	v_add_f64_e32 v[4:5], v[4:5], v[66:67]
	v_add_f64_e32 v[12:13], v[12:13], v[108:109]
	v_fmac_f64_e32 v[104:105], v[10:11], v[74:75]
	v_fma_f64 v[74:75], v[8:9], v[74:75], -v[68:69]
	ds_load_b128 v[8:11], v2 offset:720
	ds_load_b128 v[66:69], v2 offset:736
	v_fmac_f64_e32 v[72:73], v[64:65], v[78:79]
	v_fma_f64 v[62:63], v[62:63], v[78:79], -v[76:77]
	v_add_f64_e32 v[4:5], v[4:5], v[70:71]
	v_add_f64_e32 v[12:13], v[12:13], v[102:103]
	s_wait_loadcnt_dscnt 0x301
	v_mul_f64_e32 v[70:71], v[8:9], v[84:85]
	v_mul_f64_e32 v[80:81], v[10:11], v[84:85]
	s_wait_loadcnt_dscnt 0x200
	v_mul_f64_e32 v[64:65], v[66:67], v[88:89]
	v_add_f64_e32 v[4:5], v[4:5], v[74:75]
	v_add_f64_e32 v[12:13], v[12:13], v[104:105]
	v_mul_f64_e32 v[74:75], v[68:69], v[88:89]
	v_fmac_f64_e32 v[70:71], v[10:11], v[82:83]
	v_fma_f64 v[76:77], v[8:9], v[82:83], -v[80:81]
	ds_load_b128 v[8:11], v2 offset:752
	v_fmac_f64_e32 v[64:65], v[68:69], v[86:87]
	v_add_f64_e32 v[4:5], v[4:5], v[62:63]
	v_add_f64_e32 v[12:13], v[12:13], v[72:73]
	s_wait_loadcnt_dscnt 0x100
	v_mul_f64_e32 v[62:63], v[8:9], v[92:93]
	v_mul_f64_e32 v[72:73], v[10:11], v[92:93]
	v_fma_f64 v[66:67], v[66:67], v[86:87], -v[74:75]
	v_add_f64_e32 v[4:5], v[4:5], v[76:77]
	v_add_f64_e32 v[12:13], v[12:13], v[70:71]
	v_fmac_f64_e32 v[62:63], v[10:11], v[90:91]
	v_fma_f64 v[8:9], v[8:9], v[90:91], -v[72:73]
	s_delay_alu instid0(VALU_DEP_4) | instskip(NEXT) | instid1(VALU_DEP_4)
	v_add_f64_e32 v[4:5], v[4:5], v[66:67]
	v_add_f64_e32 v[10:11], v[12:13], v[64:65]
	s_delay_alu instid0(VALU_DEP_2) | instskip(NEXT) | instid1(VALU_DEP_2)
	v_add_f64_e32 v[4:5], v[4:5], v[8:9]
	v_add_f64_e32 v[10:11], v[10:11], v[62:63]
	s_wait_loadcnt 0x0
	s_delay_alu instid0(VALU_DEP_2) | instskip(NEXT) | instid1(VALU_DEP_2)
	v_add_f64_e64 v[8:9], v[98:99], -v[4:5]
	v_add_f64_e64 v[10:11], v[100:101], -v[10:11]
	scratch_store_b128 off, v[8:11], off offset:224
	s_wait_xcnt 0x0
	v_cmpx_lt_u32_e32 13, v1
	s_cbranch_execz .LBB87_131
; %bb.130:
	scratch_load_b128 v[8:11], off, s16
	v_dual_mov_b32 v3, v2 :: v_dual_mov_b32 v4, v2
	v_mov_b32_e32 v5, v2
	scratch_store_b128 off, v[2:5], off offset:208
	s_wait_loadcnt 0x0
	ds_store_b128 v6, v[8:11]
.LBB87_131:
	s_wait_xcnt 0x0
	s_or_b32 exec_lo, exec_lo, s2
	s_wait_storecnt_dscnt 0x0
	s_barrier_signal -1
	s_barrier_wait -1
	s_clause 0x9
	scratch_load_b128 v[8:11], off, off offset:224
	scratch_load_b128 v[62:65], off, off offset:240
	;; [unrolled: 1-line block ×10, first 2 shown]
	ds_load_b128 v[98:101], v2 offset:608
	ds_load_b128 v[102:105], v2 offset:624
	scratch_load_b128 v[106:109], off, off offset:208
	s_mov_b32 s2, exec_lo
	s_wait_loadcnt_dscnt 0xa01
	v_mul_f64_e32 v[4:5], v[100:101], v[10:11]
	v_mul_f64_e32 v[12:13], v[98:99], v[10:11]
	s_wait_loadcnt_dscnt 0x900
	v_mul_f64_e32 v[110:111], v[102:103], v[64:65]
	v_mul_f64_e32 v[64:65], v[104:105], v[64:65]
	s_delay_alu instid0(VALU_DEP_4) | instskip(NEXT) | instid1(VALU_DEP_4)
	v_fma_f64 v[4:5], v[98:99], v[8:9], -v[4:5]
	v_fmac_f64_e32 v[12:13], v[100:101], v[8:9]
	ds_load_b128 v[8:11], v2 offset:640
	ds_load_b128 v[98:101], v2 offset:656
	v_fmac_f64_e32 v[110:111], v[104:105], v[62:63]
	v_fma_f64 v[62:63], v[102:103], v[62:63], -v[64:65]
	s_wait_loadcnt_dscnt 0x801
	v_mul_f64_e32 v[112:113], v[8:9], v[68:69]
	v_mul_f64_e32 v[68:69], v[10:11], v[68:69]
	s_wait_loadcnt_dscnt 0x700
	v_mul_f64_e32 v[102:103], v[98:99], v[72:73]
	v_mul_f64_e32 v[72:73], v[100:101], v[72:73]
	v_add_f64_e32 v[4:5], 0, v[4:5]
	v_add_f64_e32 v[12:13], 0, v[12:13]
	v_fmac_f64_e32 v[112:113], v[10:11], v[66:67]
	v_fma_f64 v[66:67], v[8:9], v[66:67], -v[68:69]
	v_fmac_f64_e32 v[102:103], v[100:101], v[70:71]
	v_fma_f64 v[70:71], v[98:99], v[70:71], -v[72:73]
	v_add_f64_e32 v[4:5], v[4:5], v[62:63]
	v_add_f64_e32 v[12:13], v[12:13], v[110:111]
	ds_load_b128 v[8:11], v2 offset:672
	ds_load_b128 v[62:65], v2 offset:688
	s_wait_loadcnt_dscnt 0x601
	v_mul_f64_e32 v[104:105], v[8:9], v[76:77]
	v_mul_f64_e32 v[68:69], v[10:11], v[76:77]
	s_wait_loadcnt_dscnt 0x500
	v_mul_f64_e32 v[72:73], v[62:63], v[80:81]
	v_mul_f64_e32 v[76:77], v[64:65], v[80:81]
	v_add_f64_e32 v[4:5], v[4:5], v[66:67]
	v_add_f64_e32 v[12:13], v[12:13], v[112:113]
	v_fmac_f64_e32 v[104:105], v[10:11], v[74:75]
	v_fma_f64 v[74:75], v[8:9], v[74:75], -v[68:69]
	ds_load_b128 v[8:11], v2 offset:704
	ds_load_b128 v[66:69], v2 offset:720
	v_fmac_f64_e32 v[72:73], v[64:65], v[78:79]
	v_fma_f64 v[62:63], v[62:63], v[78:79], -v[76:77]
	v_add_f64_e32 v[4:5], v[4:5], v[70:71]
	v_add_f64_e32 v[12:13], v[12:13], v[102:103]
	s_wait_loadcnt_dscnt 0x401
	v_mul_f64_e32 v[70:71], v[8:9], v[84:85]
	v_mul_f64_e32 v[80:81], v[10:11], v[84:85]
	s_wait_loadcnt_dscnt 0x300
	v_mul_f64_e32 v[64:65], v[66:67], v[88:89]
	v_add_f64_e32 v[4:5], v[4:5], v[74:75]
	v_add_f64_e32 v[12:13], v[12:13], v[104:105]
	v_mul_f64_e32 v[74:75], v[68:69], v[88:89]
	v_fmac_f64_e32 v[70:71], v[10:11], v[82:83]
	v_fma_f64 v[76:77], v[8:9], v[82:83], -v[80:81]
	v_fmac_f64_e32 v[64:65], v[68:69], v[86:87]
	v_add_f64_e32 v[62:63], v[4:5], v[62:63]
	v_add_f64_e32 v[12:13], v[12:13], v[72:73]
	ds_load_b128 v[8:11], v2 offset:736
	ds_load_b128 v[2:5], v2 offset:752
	v_fma_f64 v[66:67], v[66:67], v[86:87], -v[74:75]
	s_wait_loadcnt_dscnt 0x201
	v_mul_f64_e32 v[72:73], v[8:9], v[92:93]
	v_mul_f64_e32 v[78:79], v[10:11], v[92:93]
	s_wait_loadcnt_dscnt 0x100
	v_mul_f64_e32 v[68:69], v[2:3], v[96:97]
	v_add_f64_e32 v[62:63], v[62:63], v[76:77]
	v_add_f64_e32 v[12:13], v[12:13], v[70:71]
	v_mul_f64_e32 v[70:71], v[4:5], v[96:97]
	v_fmac_f64_e32 v[72:73], v[10:11], v[90:91]
	v_fma_f64 v[8:9], v[8:9], v[90:91], -v[78:79]
	v_fmac_f64_e32 v[68:69], v[4:5], v[94:95]
	v_add_f64_e32 v[10:11], v[62:63], v[66:67]
	v_add_f64_e32 v[12:13], v[12:13], v[64:65]
	v_fma_f64 v[2:3], v[2:3], v[94:95], -v[70:71]
	s_delay_alu instid0(VALU_DEP_3) | instskip(NEXT) | instid1(VALU_DEP_3)
	v_add_f64_e32 v[4:5], v[10:11], v[8:9]
	v_add_f64_e32 v[8:9], v[12:13], v[72:73]
	s_delay_alu instid0(VALU_DEP_2) | instskip(NEXT) | instid1(VALU_DEP_2)
	v_add_f64_e32 v[2:3], v[4:5], v[2:3]
	v_add_f64_e32 v[4:5], v[8:9], v[68:69]
	s_wait_loadcnt 0x0
	s_delay_alu instid0(VALU_DEP_2) | instskip(NEXT) | instid1(VALU_DEP_2)
	v_add_f64_e64 v[2:3], v[106:107], -v[2:3]
	v_add_f64_e64 v[4:5], v[108:109], -v[4:5]
	scratch_store_b128 off, v[2:5], off offset:208
	s_wait_xcnt 0x0
	v_cmpx_lt_u32_e32 12, v1
	s_cbranch_execz .LBB87_133
; %bb.132:
	scratch_load_b128 v[2:5], off, s27
	v_mov_b32_e32 v8, 0
	s_delay_alu instid0(VALU_DEP_1)
	v_dual_mov_b32 v9, v8 :: v_dual_mov_b32 v10, v8
	v_mov_b32_e32 v11, v8
	scratch_store_b128 off, v[8:11], off offset:192
	s_wait_loadcnt 0x0
	ds_store_b128 v6, v[2:5]
.LBB87_133:
	s_wait_xcnt 0x0
	s_or_b32 exec_lo, exec_lo, s2
	s_wait_storecnt_dscnt 0x0
	s_barrier_signal -1
	s_barrier_wait -1
	s_clause 0x9
	scratch_load_b128 v[8:11], off, off offset:208
	scratch_load_b128 v[62:65], off, off offset:224
	;; [unrolled: 1-line block ×10, first 2 shown]
	v_mov_b32_e32 v2, 0
	s_mov_b32 s2, exec_lo
	ds_load_b128 v[98:101], v2 offset:592
	s_clause 0x1
	scratch_load_b128 v[102:105], off, off offset:368
	scratch_load_b128 v[106:109], off, off offset:192
	s_wait_loadcnt_dscnt 0xb00
	v_mul_f64_e32 v[4:5], v[100:101], v[10:11]
	v_mul_f64_e32 v[12:13], v[98:99], v[10:11]
	ds_load_b128 v[110:113], v2 offset:608
	s_wait_loadcnt_dscnt 0xa00
	v_mul_f64_e32 v[114:115], v[110:111], v[64:65]
	v_mul_f64_e32 v[64:65], v[112:113], v[64:65]
	v_fma_f64 v[4:5], v[98:99], v[8:9], -v[4:5]
	v_fmac_f64_e32 v[12:13], v[100:101], v[8:9]
	ds_load_b128 v[8:11], v2 offset:624
	ds_load_b128 v[98:101], v2 offset:640
	s_wait_loadcnt_dscnt 0x901
	v_mul_f64_e32 v[116:117], v[8:9], v[68:69]
	v_mul_f64_e32 v[68:69], v[10:11], v[68:69]
	v_fmac_f64_e32 v[114:115], v[112:113], v[62:63]
	v_fma_f64 v[62:63], v[110:111], v[62:63], -v[64:65]
	s_wait_loadcnt_dscnt 0x800
	v_mul_f64_e32 v[110:111], v[98:99], v[72:73]
	v_mul_f64_e32 v[72:73], v[100:101], v[72:73]
	v_add_f64_e32 v[4:5], 0, v[4:5]
	v_add_f64_e32 v[12:13], 0, v[12:13]
	v_fmac_f64_e32 v[116:117], v[10:11], v[66:67]
	v_fma_f64 v[66:67], v[8:9], v[66:67], -v[68:69]
	v_fmac_f64_e32 v[110:111], v[100:101], v[70:71]
	v_fma_f64 v[70:71], v[98:99], v[70:71], -v[72:73]
	v_add_f64_e32 v[4:5], v[4:5], v[62:63]
	v_add_f64_e32 v[12:13], v[12:13], v[114:115]
	ds_load_b128 v[8:11], v2 offset:656
	ds_load_b128 v[62:65], v2 offset:672
	s_wait_loadcnt_dscnt 0x701
	v_mul_f64_e32 v[112:113], v[8:9], v[76:77]
	v_mul_f64_e32 v[68:69], v[10:11], v[76:77]
	s_wait_loadcnt_dscnt 0x600
	v_mul_f64_e32 v[72:73], v[62:63], v[80:81]
	v_mul_f64_e32 v[76:77], v[64:65], v[80:81]
	v_add_f64_e32 v[4:5], v[4:5], v[66:67]
	v_add_f64_e32 v[12:13], v[12:13], v[116:117]
	v_fmac_f64_e32 v[112:113], v[10:11], v[74:75]
	v_fma_f64 v[74:75], v[8:9], v[74:75], -v[68:69]
	ds_load_b128 v[8:11], v2 offset:688
	ds_load_b128 v[66:69], v2 offset:704
	v_fmac_f64_e32 v[72:73], v[64:65], v[78:79]
	v_fma_f64 v[62:63], v[62:63], v[78:79], -v[76:77]
	v_add_f64_e32 v[4:5], v[4:5], v[70:71]
	v_add_f64_e32 v[12:13], v[12:13], v[110:111]
	s_wait_loadcnt_dscnt 0x501
	v_mul_f64_e32 v[70:71], v[8:9], v[84:85]
	v_mul_f64_e32 v[80:81], v[10:11], v[84:85]
	s_wait_loadcnt_dscnt 0x400
	v_mul_f64_e32 v[76:77], v[68:69], v[88:89]
	v_add_f64_e32 v[4:5], v[4:5], v[74:75]
	v_add_f64_e32 v[12:13], v[12:13], v[112:113]
	v_mul_f64_e32 v[74:75], v[66:67], v[88:89]
	v_fmac_f64_e32 v[70:71], v[10:11], v[82:83]
	v_fma_f64 v[78:79], v[8:9], v[82:83], -v[80:81]
	v_fma_f64 v[66:67], v[66:67], v[86:87], -v[76:77]
	v_add_f64_e32 v[4:5], v[4:5], v[62:63]
	v_add_f64_e32 v[12:13], v[12:13], v[72:73]
	ds_load_b128 v[8:11], v2 offset:720
	ds_load_b128 v[62:65], v2 offset:736
	v_fmac_f64_e32 v[74:75], v[68:69], v[86:87]
	s_wait_loadcnt_dscnt 0x301
	v_mul_f64_e32 v[72:73], v[8:9], v[92:93]
	v_mul_f64_e32 v[80:81], v[10:11], v[92:93]
	s_wait_loadcnt_dscnt 0x200
	v_mul_f64_e32 v[68:69], v[62:63], v[96:97]
	v_add_f64_e32 v[4:5], v[4:5], v[78:79]
	v_add_f64_e32 v[12:13], v[12:13], v[70:71]
	v_mul_f64_e32 v[70:71], v[64:65], v[96:97]
	v_fmac_f64_e32 v[72:73], v[10:11], v[90:91]
	v_fma_f64 v[76:77], v[8:9], v[90:91], -v[80:81]
	ds_load_b128 v[8:11], v2 offset:752
	v_fmac_f64_e32 v[68:69], v[64:65], v[94:95]
	v_add_f64_e32 v[4:5], v[4:5], v[66:67]
	v_add_f64_e32 v[12:13], v[12:13], v[74:75]
	v_fma_f64 v[62:63], v[62:63], v[94:95], -v[70:71]
	s_wait_loadcnt_dscnt 0x100
	v_mul_f64_e32 v[66:67], v[8:9], v[104:105]
	v_mul_f64_e32 v[74:75], v[10:11], v[104:105]
	v_add_f64_e32 v[4:5], v[4:5], v[76:77]
	v_add_f64_e32 v[12:13], v[12:13], v[72:73]
	s_delay_alu instid0(VALU_DEP_4) | instskip(NEXT) | instid1(VALU_DEP_4)
	v_fmac_f64_e32 v[66:67], v[10:11], v[102:103]
	v_fma_f64 v[8:9], v[8:9], v[102:103], -v[74:75]
	s_delay_alu instid0(VALU_DEP_4) | instskip(NEXT) | instid1(VALU_DEP_4)
	v_add_f64_e32 v[4:5], v[4:5], v[62:63]
	v_add_f64_e32 v[10:11], v[12:13], v[68:69]
	s_delay_alu instid0(VALU_DEP_2) | instskip(NEXT) | instid1(VALU_DEP_2)
	v_add_f64_e32 v[4:5], v[4:5], v[8:9]
	v_add_f64_e32 v[10:11], v[10:11], v[66:67]
	s_wait_loadcnt 0x0
	s_delay_alu instid0(VALU_DEP_2) | instskip(NEXT) | instid1(VALU_DEP_2)
	v_add_f64_e64 v[8:9], v[106:107], -v[4:5]
	v_add_f64_e64 v[10:11], v[108:109], -v[10:11]
	scratch_store_b128 off, v[8:11], off offset:192
	s_wait_xcnt 0x0
	v_cmpx_lt_u32_e32 11, v1
	s_cbranch_execz .LBB87_135
; %bb.134:
	scratch_load_b128 v[8:11], off, s15
	v_dual_mov_b32 v3, v2 :: v_dual_mov_b32 v4, v2
	v_mov_b32_e32 v5, v2
	scratch_store_b128 off, v[2:5], off offset:176
	s_wait_loadcnt 0x0
	ds_store_b128 v6, v[8:11]
.LBB87_135:
	s_wait_xcnt 0x0
	s_or_b32 exec_lo, exec_lo, s2
	s_wait_storecnt_dscnt 0x0
	s_barrier_signal -1
	s_barrier_wait -1
	s_clause 0x9
	scratch_load_b128 v[8:11], off, off offset:192
	scratch_load_b128 v[62:65], off, off offset:208
	;; [unrolled: 1-line block ×10, first 2 shown]
	ds_load_b128 v[98:101], v2 offset:576
	ds_load_b128 v[106:109], v2 offset:592
	s_clause 0x1
	scratch_load_b128 v[102:105], off, off offset:352
	scratch_load_b128 v[110:113], off, off offset:176
	s_mov_b32 s2, exec_lo
	s_wait_loadcnt_dscnt 0xb01
	v_mul_f64_e32 v[4:5], v[100:101], v[10:11]
	v_mul_f64_e32 v[118:119], v[98:99], v[10:11]
	scratch_load_b128 v[10:13], off, off offset:368
	s_wait_loadcnt_dscnt 0xb00
	v_mul_f64_e32 v[120:121], v[106:107], v[64:65]
	v_mul_f64_e32 v[64:65], v[108:109], v[64:65]
	v_fma_f64 v[4:5], v[98:99], v[8:9], -v[4:5]
	v_fmac_f64_e32 v[118:119], v[100:101], v[8:9]
	ds_load_b128 v[98:101], v2 offset:608
	ds_load_b128 v[114:117], v2 offset:624
	v_fmac_f64_e32 v[120:121], v[108:109], v[62:63]
	v_fma_f64 v[62:63], v[106:107], v[62:63], -v[64:65]
	s_wait_loadcnt_dscnt 0xa01
	v_mul_f64_e32 v[8:9], v[98:99], v[68:69]
	v_mul_f64_e32 v[68:69], v[100:101], v[68:69]
	s_wait_loadcnt_dscnt 0x900
	v_mul_f64_e32 v[106:107], v[114:115], v[72:73]
	v_mul_f64_e32 v[72:73], v[116:117], v[72:73]
	v_add_f64_e32 v[4:5], 0, v[4:5]
	v_add_f64_e32 v[64:65], 0, v[118:119]
	v_fmac_f64_e32 v[8:9], v[100:101], v[66:67]
	v_fma_f64 v[98:99], v[98:99], v[66:67], -v[68:69]
	v_fmac_f64_e32 v[106:107], v[116:117], v[70:71]
	v_fma_f64 v[70:71], v[114:115], v[70:71], -v[72:73]
	v_add_f64_e32 v[4:5], v[4:5], v[62:63]
	v_add_f64_e32 v[100:101], v[64:65], v[120:121]
	ds_load_b128 v[62:65], v2 offset:640
	ds_load_b128 v[66:69], v2 offset:656
	s_wait_loadcnt_dscnt 0x801
	v_mul_f64_e32 v[108:109], v[62:63], v[76:77]
	v_mul_f64_e32 v[76:77], v[64:65], v[76:77]
	v_add_f64_e32 v[4:5], v[4:5], v[98:99]
	v_add_f64_e32 v[8:9], v[100:101], v[8:9]
	s_wait_loadcnt_dscnt 0x700
	v_mul_f64_e32 v[98:99], v[66:67], v[80:81]
	v_mul_f64_e32 v[80:81], v[68:69], v[80:81]
	v_fmac_f64_e32 v[108:109], v[64:65], v[74:75]
	v_fma_f64 v[74:75], v[62:63], v[74:75], -v[76:77]
	v_add_f64_e32 v[4:5], v[4:5], v[70:71]
	v_add_f64_e32 v[8:9], v[8:9], v[106:107]
	ds_load_b128 v[62:65], v2 offset:672
	ds_load_b128 v[70:73], v2 offset:688
	v_fmac_f64_e32 v[98:99], v[68:69], v[78:79]
	v_fma_f64 v[66:67], v[66:67], v[78:79], -v[80:81]
	s_wait_loadcnt_dscnt 0x601
	v_mul_f64_e32 v[76:77], v[62:63], v[84:85]
	v_mul_f64_e32 v[84:85], v[64:65], v[84:85]
	s_wait_loadcnt_dscnt 0x500
	v_mul_f64_e32 v[78:79], v[72:73], v[88:89]
	v_add_f64_e32 v[4:5], v[4:5], v[74:75]
	v_add_f64_e32 v[8:9], v[8:9], v[108:109]
	v_mul_f64_e32 v[74:75], v[70:71], v[88:89]
	v_fmac_f64_e32 v[76:77], v[64:65], v[82:83]
	v_fma_f64 v[80:81], v[62:63], v[82:83], -v[84:85]
	v_fma_f64 v[70:71], v[70:71], v[86:87], -v[78:79]
	v_add_f64_e32 v[4:5], v[4:5], v[66:67]
	v_add_f64_e32 v[8:9], v[8:9], v[98:99]
	ds_load_b128 v[62:65], v2 offset:704
	ds_load_b128 v[66:69], v2 offset:720
	v_fmac_f64_e32 v[74:75], v[72:73], v[86:87]
	s_wait_loadcnt_dscnt 0x401
	v_mul_f64_e32 v[82:83], v[62:63], v[92:93]
	v_mul_f64_e32 v[84:85], v[64:65], v[92:93]
	s_wait_loadcnt_dscnt 0x300
	v_mul_f64_e32 v[72:73], v[66:67], v[96:97]
	v_add_f64_e32 v[4:5], v[4:5], v[80:81]
	v_add_f64_e32 v[8:9], v[8:9], v[76:77]
	v_mul_f64_e32 v[76:77], v[68:69], v[96:97]
	v_fmac_f64_e32 v[82:83], v[64:65], v[90:91]
	v_fma_f64 v[78:79], v[62:63], v[90:91], -v[84:85]
	v_fmac_f64_e32 v[72:73], v[68:69], v[94:95]
	v_add_f64_e32 v[70:71], v[4:5], v[70:71]
	v_add_f64_e32 v[8:9], v[8:9], v[74:75]
	ds_load_b128 v[62:65], v2 offset:736
	ds_load_b128 v[2:5], v2 offset:752
	v_fma_f64 v[66:67], v[66:67], v[94:95], -v[76:77]
	s_wait_loadcnt_dscnt 0x201
	v_mul_f64_e32 v[74:75], v[62:63], v[104:105]
	v_mul_f64_e32 v[80:81], v[64:65], v[104:105]
	v_add_f64_e32 v[68:69], v[70:71], v[78:79]
	v_add_f64_e32 v[8:9], v[8:9], v[82:83]
	s_wait_loadcnt_dscnt 0x0
	v_mul_f64_e32 v[70:71], v[2:3], v[12:13]
	v_mul_f64_e32 v[12:13], v[4:5], v[12:13]
	v_fmac_f64_e32 v[74:75], v[64:65], v[102:103]
	v_fma_f64 v[62:63], v[62:63], v[102:103], -v[80:81]
	v_add_f64_e32 v[64:65], v[68:69], v[66:67]
	v_add_f64_e32 v[8:9], v[8:9], v[72:73]
	v_fmac_f64_e32 v[70:71], v[4:5], v[10:11]
	v_fma_f64 v[2:3], v[2:3], v[10:11], -v[12:13]
	s_delay_alu instid0(VALU_DEP_4) | instskip(NEXT) | instid1(VALU_DEP_4)
	v_add_f64_e32 v[4:5], v[64:65], v[62:63]
	v_add_f64_e32 v[8:9], v[8:9], v[74:75]
	s_delay_alu instid0(VALU_DEP_2) | instskip(NEXT) | instid1(VALU_DEP_2)
	v_add_f64_e32 v[2:3], v[4:5], v[2:3]
	v_add_f64_e32 v[4:5], v[8:9], v[70:71]
	s_delay_alu instid0(VALU_DEP_2) | instskip(NEXT) | instid1(VALU_DEP_2)
	v_add_f64_e64 v[2:3], v[110:111], -v[2:3]
	v_add_f64_e64 v[4:5], v[112:113], -v[4:5]
	scratch_store_b128 off, v[2:5], off offset:176
	s_wait_xcnt 0x0
	v_cmpx_lt_u32_e32 10, v1
	s_cbranch_execz .LBB87_137
; %bb.136:
	scratch_load_b128 v[2:5], off, s26
	v_mov_b32_e32 v8, 0
	s_delay_alu instid0(VALU_DEP_1)
	v_dual_mov_b32 v9, v8 :: v_dual_mov_b32 v10, v8
	v_mov_b32_e32 v11, v8
	scratch_store_b128 off, v[8:11], off offset:160
	s_wait_loadcnt 0x0
	ds_store_b128 v6, v[2:5]
.LBB87_137:
	s_wait_xcnt 0x0
	s_or_b32 exec_lo, exec_lo, s2
	s_wait_storecnt_dscnt 0x0
	s_barrier_signal -1
	s_barrier_wait -1
	s_clause 0x9
	scratch_load_b128 v[8:11], off, off offset:176
	scratch_load_b128 v[62:65], off, off offset:192
	;; [unrolled: 1-line block ×10, first 2 shown]
	v_mov_b32_e32 v2, 0
	s_mov_b32 s2, exec_lo
	ds_load_b128 v[98:101], v2 offset:560
	s_clause 0x2
	scratch_load_b128 v[102:105], off, off offset:336
	scratch_load_b128 v[106:109], off, off offset:160
	;; [unrolled: 1-line block ×3, first 2 shown]
	s_wait_loadcnt_dscnt 0xc00
	v_mul_f64_e32 v[4:5], v[100:101], v[10:11]
	v_mul_f64_e32 v[122:123], v[98:99], v[10:11]
	ds_load_b128 v[110:113], v2 offset:576
	scratch_load_b128 v[10:13], off, off offset:352
	ds_load_b128 v[118:121], v2 offset:608
	v_fma_f64 v[4:5], v[98:99], v[8:9], -v[4:5]
	v_fmac_f64_e32 v[122:123], v[100:101], v[8:9]
	ds_load_b128 v[98:101], v2 offset:592
	s_wait_loadcnt_dscnt 0xc02
	v_mul_f64_e32 v[124:125], v[110:111], v[64:65]
	v_mul_f64_e32 v[64:65], v[112:113], v[64:65]
	s_wait_loadcnt_dscnt 0xb00
	v_mul_f64_e32 v[8:9], v[98:99], v[68:69]
	v_mul_f64_e32 v[68:69], v[100:101], v[68:69]
	v_add_f64_e32 v[4:5], 0, v[4:5]
	v_fmac_f64_e32 v[124:125], v[112:113], v[62:63]
	v_fma_f64 v[62:63], v[110:111], v[62:63], -v[64:65]
	v_add_f64_e32 v[64:65], 0, v[122:123]
	s_wait_loadcnt 0xa
	v_mul_f64_e32 v[110:111], v[118:119], v[72:73]
	v_mul_f64_e32 v[72:73], v[120:121], v[72:73]
	v_fmac_f64_e32 v[8:9], v[100:101], v[66:67]
	v_fma_f64 v[98:99], v[98:99], v[66:67], -v[68:69]
	v_add_f64_e32 v[4:5], v[4:5], v[62:63]
	v_add_f64_e32 v[100:101], v[64:65], v[124:125]
	ds_load_b128 v[62:65], v2 offset:624
	ds_load_b128 v[66:69], v2 offset:640
	v_fmac_f64_e32 v[110:111], v[120:121], v[70:71]
	v_fma_f64 v[70:71], v[118:119], v[70:71], -v[72:73]
	s_wait_loadcnt_dscnt 0x901
	v_mul_f64_e32 v[112:113], v[62:63], v[76:77]
	v_mul_f64_e32 v[76:77], v[64:65], v[76:77]
	v_add_f64_e32 v[4:5], v[4:5], v[98:99]
	v_add_f64_e32 v[8:9], v[100:101], v[8:9]
	s_wait_loadcnt_dscnt 0x800
	v_mul_f64_e32 v[98:99], v[66:67], v[80:81]
	v_mul_f64_e32 v[80:81], v[68:69], v[80:81]
	v_fmac_f64_e32 v[112:113], v[64:65], v[74:75]
	v_fma_f64 v[74:75], v[62:63], v[74:75], -v[76:77]
	v_add_f64_e32 v[4:5], v[4:5], v[70:71]
	v_add_f64_e32 v[8:9], v[8:9], v[110:111]
	ds_load_b128 v[62:65], v2 offset:656
	ds_load_b128 v[70:73], v2 offset:672
	v_fmac_f64_e32 v[98:99], v[68:69], v[78:79]
	v_fma_f64 v[66:67], v[66:67], v[78:79], -v[80:81]
	s_wait_loadcnt_dscnt 0x701
	v_mul_f64_e32 v[76:77], v[62:63], v[84:85]
	v_mul_f64_e32 v[84:85], v[64:65], v[84:85]
	s_wait_loadcnt_dscnt 0x600
	v_mul_f64_e32 v[78:79], v[72:73], v[88:89]
	v_add_f64_e32 v[4:5], v[4:5], v[74:75]
	v_add_f64_e32 v[8:9], v[8:9], v[112:113]
	v_mul_f64_e32 v[74:75], v[70:71], v[88:89]
	v_fmac_f64_e32 v[76:77], v[64:65], v[82:83]
	v_fma_f64 v[80:81], v[62:63], v[82:83], -v[84:85]
	v_fma_f64 v[70:71], v[70:71], v[86:87], -v[78:79]
	v_add_f64_e32 v[4:5], v[4:5], v[66:67]
	v_add_f64_e32 v[8:9], v[8:9], v[98:99]
	ds_load_b128 v[62:65], v2 offset:688
	ds_load_b128 v[66:69], v2 offset:704
	v_fmac_f64_e32 v[74:75], v[72:73], v[86:87]
	s_wait_loadcnt_dscnt 0x501
	v_mul_f64_e32 v[82:83], v[62:63], v[92:93]
	v_mul_f64_e32 v[84:85], v[64:65], v[92:93]
	s_wait_loadcnt_dscnt 0x400
	v_mul_f64_e32 v[78:79], v[68:69], v[96:97]
	v_add_f64_e32 v[4:5], v[4:5], v[80:81]
	v_add_f64_e32 v[8:9], v[8:9], v[76:77]
	v_mul_f64_e32 v[76:77], v[66:67], v[96:97]
	v_fmac_f64_e32 v[82:83], v[64:65], v[90:91]
	v_fma_f64 v[80:81], v[62:63], v[90:91], -v[84:85]
	v_fma_f64 v[66:67], v[66:67], v[94:95], -v[78:79]
	v_add_f64_e32 v[4:5], v[4:5], v[70:71]
	v_add_f64_e32 v[8:9], v[8:9], v[74:75]
	ds_load_b128 v[62:65], v2 offset:720
	ds_load_b128 v[70:73], v2 offset:736
	v_fmac_f64_e32 v[76:77], v[68:69], v[94:95]
	s_wait_loadcnt_dscnt 0x301
	v_mul_f64_e32 v[74:75], v[62:63], v[104:105]
	v_mul_f64_e32 v[84:85], v[64:65], v[104:105]
	s_wait_loadcnt_dscnt 0x0
	v_mul_f64_e32 v[68:69], v[70:71], v[12:13]
	v_add_f64_e32 v[4:5], v[4:5], v[80:81]
	v_add_f64_e32 v[8:9], v[8:9], v[82:83]
	v_mul_f64_e32 v[12:13], v[72:73], v[12:13]
	v_fmac_f64_e32 v[74:75], v[64:65], v[102:103]
	v_fma_f64 v[78:79], v[62:63], v[102:103], -v[84:85]
	ds_load_b128 v[62:65], v2 offset:752
	v_fmac_f64_e32 v[68:69], v[72:73], v[10:11]
	v_add_f64_e32 v[4:5], v[4:5], v[66:67]
	v_add_f64_e32 v[8:9], v[8:9], v[76:77]
	v_fma_f64 v[10:11], v[70:71], v[10:11], -v[12:13]
	s_wait_dscnt 0x0
	v_mul_f64_e32 v[66:67], v[62:63], v[116:117]
	v_mul_f64_e32 v[76:77], v[64:65], v[116:117]
	v_add_f64_e32 v[4:5], v[4:5], v[78:79]
	v_add_f64_e32 v[8:9], v[8:9], v[74:75]
	s_delay_alu instid0(VALU_DEP_4) | instskip(NEXT) | instid1(VALU_DEP_4)
	v_fmac_f64_e32 v[66:67], v[64:65], v[114:115]
	v_fma_f64 v[12:13], v[62:63], v[114:115], -v[76:77]
	s_delay_alu instid0(VALU_DEP_4) | instskip(NEXT) | instid1(VALU_DEP_4)
	v_add_f64_e32 v[4:5], v[4:5], v[10:11]
	v_add_f64_e32 v[8:9], v[8:9], v[68:69]
	s_delay_alu instid0(VALU_DEP_2) | instskip(NEXT) | instid1(VALU_DEP_2)
	v_add_f64_e32 v[4:5], v[4:5], v[12:13]
	v_add_f64_e32 v[10:11], v[8:9], v[66:67]
	s_delay_alu instid0(VALU_DEP_2) | instskip(NEXT) | instid1(VALU_DEP_2)
	v_add_f64_e64 v[8:9], v[106:107], -v[4:5]
	v_add_f64_e64 v[10:11], v[108:109], -v[10:11]
	scratch_store_b128 off, v[8:11], off offset:160
	s_wait_xcnt 0x0
	v_cmpx_lt_u32_e32 9, v1
	s_cbranch_execz .LBB87_139
; %bb.138:
	scratch_load_b128 v[8:11], off, s14
	v_dual_mov_b32 v3, v2 :: v_dual_mov_b32 v4, v2
	v_mov_b32_e32 v5, v2
	scratch_store_b128 off, v[2:5], off offset:144
	s_wait_loadcnt 0x0
	ds_store_b128 v6, v[8:11]
.LBB87_139:
	s_wait_xcnt 0x0
	s_or_b32 exec_lo, exec_lo, s2
	s_wait_storecnt_dscnt 0x0
	s_barrier_signal -1
	s_barrier_wait -1
	s_clause 0x9
	scratch_load_b128 v[8:11], off, off offset:160
	scratch_load_b128 v[62:65], off, off offset:176
	;; [unrolled: 1-line block ×10, first 2 shown]
	ds_load_b128 v[98:101], v2 offset:544
	ds_load_b128 v[106:109], v2 offset:560
	s_clause 0x1
	scratch_load_b128 v[102:105], off, off offset:320
	scratch_load_b128 v[110:113], off, off offset:144
	s_mov_b32 s2, exec_lo
	s_wait_loadcnt_dscnt 0xb01
	v_mul_f64_e32 v[4:5], v[100:101], v[10:11]
	v_mul_f64_e32 v[122:123], v[98:99], v[10:11]
	scratch_load_b128 v[10:13], off, off offset:336
	s_wait_loadcnt_dscnt 0xb00
	v_mul_f64_e32 v[124:125], v[106:107], v[64:65]
	v_mul_f64_e32 v[64:65], v[108:109], v[64:65]
	v_fma_f64 v[4:5], v[98:99], v[8:9], -v[4:5]
	v_fmac_f64_e32 v[122:123], v[100:101], v[8:9]
	ds_load_b128 v[98:101], v2 offset:576
	ds_load_b128 v[114:117], v2 offset:592
	scratch_load_b128 v[118:121], off, off offset:352
	v_fmac_f64_e32 v[124:125], v[108:109], v[62:63]
	v_fma_f64 v[106:107], v[106:107], v[62:63], -v[64:65]
	scratch_load_b128 v[62:65], off, off offset:368
	s_wait_loadcnt_dscnt 0xc01
	v_mul_f64_e32 v[8:9], v[98:99], v[68:69]
	v_mul_f64_e32 v[68:69], v[100:101], v[68:69]
	v_add_f64_e32 v[4:5], 0, v[4:5]
	v_add_f64_e32 v[108:109], 0, v[122:123]
	s_wait_loadcnt_dscnt 0xb00
	v_mul_f64_e32 v[122:123], v[114:115], v[72:73]
	v_mul_f64_e32 v[72:73], v[116:117], v[72:73]
	v_fmac_f64_e32 v[8:9], v[100:101], v[66:67]
	v_fma_f64 v[126:127], v[98:99], v[66:67], -v[68:69]
	ds_load_b128 v[66:69], v2 offset:608
	ds_load_b128 v[98:101], v2 offset:624
	v_add_f64_e32 v[4:5], v[4:5], v[106:107]
	v_add_f64_e32 v[106:107], v[108:109], v[124:125]
	v_fmac_f64_e32 v[122:123], v[116:117], v[70:71]
	v_fma_f64 v[70:71], v[114:115], v[70:71], -v[72:73]
	s_wait_loadcnt_dscnt 0xa01
	v_mul_f64_e32 v[108:109], v[66:67], v[76:77]
	v_mul_f64_e32 v[76:77], v[68:69], v[76:77]
	v_add_f64_e32 v[4:5], v[4:5], v[126:127]
	v_add_f64_e32 v[8:9], v[106:107], v[8:9]
	s_wait_loadcnt_dscnt 0x900
	v_mul_f64_e32 v[106:107], v[98:99], v[80:81]
	v_mul_f64_e32 v[80:81], v[100:101], v[80:81]
	v_fmac_f64_e32 v[108:109], v[68:69], v[74:75]
	v_fma_f64 v[74:75], v[66:67], v[74:75], -v[76:77]
	v_add_f64_e32 v[4:5], v[4:5], v[70:71]
	v_add_f64_e32 v[8:9], v[8:9], v[122:123]
	ds_load_b128 v[66:69], v2 offset:640
	ds_load_b128 v[70:73], v2 offset:656
	v_fmac_f64_e32 v[106:107], v[100:101], v[78:79]
	v_fma_f64 v[78:79], v[98:99], v[78:79], -v[80:81]
	s_wait_loadcnt_dscnt 0x801
	v_mul_f64_e32 v[114:115], v[66:67], v[84:85]
	v_mul_f64_e32 v[76:77], v[68:69], v[84:85]
	s_wait_loadcnt_dscnt 0x700
	v_mul_f64_e32 v[80:81], v[70:71], v[88:89]
	v_mul_f64_e32 v[84:85], v[72:73], v[88:89]
	v_add_f64_e32 v[4:5], v[4:5], v[74:75]
	v_add_f64_e32 v[8:9], v[8:9], v[108:109]
	v_fmac_f64_e32 v[114:115], v[68:69], v[82:83]
	v_fma_f64 v[82:83], v[66:67], v[82:83], -v[76:77]
	ds_load_b128 v[66:69], v2 offset:672
	ds_load_b128 v[74:77], v2 offset:688
	v_fmac_f64_e32 v[80:81], v[72:73], v[86:87]
	v_fma_f64 v[70:71], v[70:71], v[86:87], -v[84:85]
	v_add_f64_e32 v[4:5], v[4:5], v[78:79]
	v_add_f64_e32 v[8:9], v[8:9], v[106:107]
	s_wait_loadcnt_dscnt 0x601
	v_mul_f64_e32 v[78:79], v[66:67], v[92:93]
	v_mul_f64_e32 v[88:89], v[68:69], v[92:93]
	s_wait_loadcnt_dscnt 0x500
	v_mul_f64_e32 v[84:85], v[76:77], v[96:97]
	v_add_f64_e32 v[4:5], v[4:5], v[82:83]
	v_add_f64_e32 v[8:9], v[8:9], v[114:115]
	v_mul_f64_e32 v[82:83], v[74:75], v[96:97]
	v_fmac_f64_e32 v[78:79], v[68:69], v[90:91]
	v_fma_f64 v[86:87], v[66:67], v[90:91], -v[88:89]
	v_fma_f64 v[74:75], v[74:75], v[94:95], -v[84:85]
	v_add_f64_e32 v[4:5], v[4:5], v[70:71]
	v_add_f64_e32 v[8:9], v[8:9], v[80:81]
	ds_load_b128 v[66:69], v2 offset:704
	ds_load_b128 v[70:73], v2 offset:720
	v_fmac_f64_e32 v[82:83], v[76:77], v[94:95]
	s_wait_loadcnt_dscnt 0x401
	v_mul_f64_e32 v[80:81], v[66:67], v[104:105]
	v_mul_f64_e32 v[88:89], v[68:69], v[104:105]
	v_add_f64_e32 v[4:5], v[4:5], v[86:87]
	v_add_f64_e32 v[8:9], v[8:9], v[78:79]
	s_wait_loadcnt_dscnt 0x200
	v_mul_f64_e32 v[76:77], v[70:71], v[12:13]
	v_mul_f64_e32 v[12:13], v[72:73], v[12:13]
	v_fmac_f64_e32 v[80:81], v[68:69], v[102:103]
	v_fma_f64 v[78:79], v[66:67], v[102:103], -v[88:89]
	v_add_f64_e32 v[74:75], v[4:5], v[74:75]
	v_add_f64_e32 v[8:9], v[8:9], v[82:83]
	ds_load_b128 v[66:69], v2 offset:736
	ds_load_b128 v[2:5], v2 offset:752
	v_fmac_f64_e32 v[76:77], v[72:73], v[10:11]
	v_fma_f64 v[10:11], v[70:71], v[10:11], -v[12:13]
	s_wait_loadcnt_dscnt 0x101
	v_mul_f64_e32 v[82:83], v[66:67], v[120:121]
	v_mul_f64_e32 v[84:85], v[68:69], v[120:121]
	s_wait_loadcnt_dscnt 0x0
	v_mul_f64_e32 v[70:71], v[2:3], v[64:65]
	v_mul_f64_e32 v[64:65], v[4:5], v[64:65]
	v_add_f64_e32 v[12:13], v[74:75], v[78:79]
	v_add_f64_e32 v[8:9], v[8:9], v[80:81]
	v_fmac_f64_e32 v[82:83], v[68:69], v[118:119]
	v_fma_f64 v[66:67], v[66:67], v[118:119], -v[84:85]
	v_fmac_f64_e32 v[70:71], v[4:5], v[62:63]
	v_fma_f64 v[2:3], v[2:3], v[62:63], -v[64:65]
	v_add_f64_e32 v[10:11], v[12:13], v[10:11]
	v_add_f64_e32 v[8:9], v[8:9], v[76:77]
	s_delay_alu instid0(VALU_DEP_2) | instskip(NEXT) | instid1(VALU_DEP_2)
	v_add_f64_e32 v[4:5], v[10:11], v[66:67]
	v_add_f64_e32 v[8:9], v[8:9], v[82:83]
	s_delay_alu instid0(VALU_DEP_2) | instskip(NEXT) | instid1(VALU_DEP_2)
	;; [unrolled: 3-line block ×3, first 2 shown]
	v_add_f64_e64 v[2:3], v[110:111], -v[2:3]
	v_add_f64_e64 v[4:5], v[112:113], -v[4:5]
	scratch_store_b128 off, v[2:5], off offset:144
	s_wait_xcnt 0x0
	v_cmpx_lt_u32_e32 8, v1
	s_cbranch_execz .LBB87_141
; %bb.140:
	scratch_load_b128 v[2:5], off, s25
	v_mov_b32_e32 v8, 0
	s_delay_alu instid0(VALU_DEP_1)
	v_dual_mov_b32 v9, v8 :: v_dual_mov_b32 v10, v8
	v_mov_b32_e32 v11, v8
	scratch_store_b128 off, v[8:11], off offset:128
	s_wait_loadcnt 0x0
	ds_store_b128 v6, v[2:5]
.LBB87_141:
	s_wait_xcnt 0x0
	s_or_b32 exec_lo, exec_lo, s2
	s_wait_storecnt_dscnt 0x0
	s_barrier_signal -1
	s_barrier_wait -1
	s_clause 0x9
	scratch_load_b128 v[8:11], off, off offset:144
	scratch_load_b128 v[62:65], off, off offset:160
	;; [unrolled: 1-line block ×10, first 2 shown]
	v_mov_b32_e32 v2, 0
	s_mov_b32 s2, exec_lo
	ds_load_b128 v[98:101], v2 offset:528
	s_clause 0x2
	scratch_load_b128 v[102:105], off, off offset:304
	scratch_load_b128 v[106:109], off, off offset:128
	;; [unrolled: 1-line block ×3, first 2 shown]
	s_wait_loadcnt_dscnt 0xc00
	v_mul_f64_e32 v[4:5], v[100:101], v[10:11]
	v_mul_f64_e32 v[122:123], v[98:99], v[10:11]
	ds_load_b128 v[110:113], v2 offset:544
	scratch_load_b128 v[10:13], off, off offset:320
	ds_load_b128 v[118:121], v2 offset:576
	v_fma_f64 v[4:5], v[98:99], v[8:9], -v[4:5]
	v_fmac_f64_e32 v[122:123], v[100:101], v[8:9]
	ds_load_b128 v[98:101], v2 offset:560
	s_wait_loadcnt_dscnt 0xc02
	v_mul_f64_e32 v[124:125], v[110:111], v[64:65]
	v_mul_f64_e32 v[64:65], v[112:113], v[64:65]
	s_wait_loadcnt_dscnt 0xb00
	v_mul_f64_e32 v[8:9], v[98:99], v[68:69]
	v_mul_f64_e32 v[68:69], v[100:101], v[68:69]
	v_add_f64_e32 v[4:5], 0, v[4:5]
	v_fmac_f64_e32 v[124:125], v[112:113], v[62:63]
	v_fma_f64 v[110:111], v[110:111], v[62:63], -v[64:65]
	v_add_f64_e32 v[112:113], 0, v[122:123]
	scratch_load_b128 v[62:65], off, off offset:352
	v_fmac_f64_e32 v[8:9], v[100:101], v[66:67]
	v_fma_f64 v[126:127], v[98:99], v[66:67], -v[68:69]
	ds_load_b128 v[66:69], v2 offset:592
	s_wait_loadcnt 0xb
	v_mul_f64_e32 v[122:123], v[118:119], v[72:73]
	v_mul_f64_e32 v[72:73], v[120:121], v[72:73]
	scratch_load_b128 v[98:101], off, off offset:368
	v_add_f64_e32 v[4:5], v[4:5], v[110:111]
	v_add_f64_e32 v[124:125], v[112:113], v[124:125]
	ds_load_b128 v[110:113], v2 offset:608
	s_wait_loadcnt_dscnt 0xb01
	v_mul_f64_e32 v[128:129], v[66:67], v[76:77]
	v_mul_f64_e32 v[76:77], v[68:69], v[76:77]
	v_fmac_f64_e32 v[122:123], v[120:121], v[70:71]
	v_fma_f64 v[70:71], v[118:119], v[70:71], -v[72:73]
	s_wait_loadcnt_dscnt 0xa00
	v_mul_f64_e32 v[118:119], v[110:111], v[80:81]
	v_mul_f64_e32 v[80:81], v[112:113], v[80:81]
	v_add_f64_e32 v[4:5], v[4:5], v[126:127]
	v_add_f64_e32 v[8:9], v[124:125], v[8:9]
	v_fmac_f64_e32 v[128:129], v[68:69], v[74:75]
	v_fma_f64 v[74:75], v[66:67], v[74:75], -v[76:77]
	v_fmac_f64_e32 v[118:119], v[112:113], v[78:79]
	v_fma_f64 v[78:79], v[110:111], v[78:79], -v[80:81]
	v_add_f64_e32 v[4:5], v[4:5], v[70:71]
	v_add_f64_e32 v[8:9], v[8:9], v[122:123]
	ds_load_b128 v[66:69], v2 offset:624
	ds_load_b128 v[70:73], v2 offset:640
	s_wait_loadcnt_dscnt 0x901
	v_mul_f64_e32 v[120:121], v[66:67], v[84:85]
	v_mul_f64_e32 v[76:77], v[68:69], v[84:85]
	s_wait_loadcnt_dscnt 0x800
	v_mul_f64_e32 v[80:81], v[70:71], v[88:89]
	v_mul_f64_e32 v[84:85], v[72:73], v[88:89]
	v_add_f64_e32 v[4:5], v[4:5], v[74:75]
	v_add_f64_e32 v[8:9], v[8:9], v[128:129]
	v_fmac_f64_e32 v[120:121], v[68:69], v[82:83]
	v_fma_f64 v[82:83], v[66:67], v[82:83], -v[76:77]
	ds_load_b128 v[66:69], v2 offset:656
	ds_load_b128 v[74:77], v2 offset:672
	v_fmac_f64_e32 v[80:81], v[72:73], v[86:87]
	v_fma_f64 v[70:71], v[70:71], v[86:87], -v[84:85]
	v_add_f64_e32 v[4:5], v[4:5], v[78:79]
	v_add_f64_e32 v[8:9], v[8:9], v[118:119]
	s_wait_loadcnt_dscnt 0x701
	v_mul_f64_e32 v[78:79], v[66:67], v[92:93]
	v_mul_f64_e32 v[88:89], v[68:69], v[92:93]
	s_wait_loadcnt_dscnt 0x600
	v_mul_f64_e32 v[84:85], v[76:77], v[96:97]
	v_add_f64_e32 v[4:5], v[4:5], v[82:83]
	v_add_f64_e32 v[8:9], v[8:9], v[120:121]
	v_mul_f64_e32 v[82:83], v[74:75], v[96:97]
	v_fmac_f64_e32 v[78:79], v[68:69], v[90:91]
	v_fma_f64 v[86:87], v[66:67], v[90:91], -v[88:89]
	v_fma_f64 v[74:75], v[74:75], v[94:95], -v[84:85]
	v_add_f64_e32 v[4:5], v[4:5], v[70:71]
	v_add_f64_e32 v[8:9], v[8:9], v[80:81]
	ds_load_b128 v[66:69], v2 offset:688
	ds_load_b128 v[70:73], v2 offset:704
	v_fmac_f64_e32 v[82:83], v[76:77], v[94:95]
	s_wait_loadcnt_dscnt 0x501
	v_mul_f64_e32 v[80:81], v[66:67], v[104:105]
	v_mul_f64_e32 v[88:89], v[68:69], v[104:105]
	v_add_f64_e32 v[4:5], v[4:5], v[86:87]
	v_add_f64_e32 v[8:9], v[8:9], v[78:79]
	s_wait_loadcnt_dscnt 0x200
	v_mul_f64_e32 v[78:79], v[70:71], v[12:13]
	v_mul_f64_e32 v[12:13], v[72:73], v[12:13]
	v_fmac_f64_e32 v[80:81], v[68:69], v[102:103]
	v_fma_f64 v[84:85], v[66:67], v[102:103], -v[88:89]
	v_add_f64_e32 v[4:5], v[4:5], v[74:75]
	v_add_f64_e32 v[8:9], v[8:9], v[82:83]
	ds_load_b128 v[66:69], v2 offset:720
	ds_load_b128 v[74:77], v2 offset:736
	v_fmac_f64_e32 v[78:79], v[72:73], v[10:11]
	v_fma_f64 v[10:11], v[70:71], v[10:11], -v[12:13]
	s_wait_dscnt 0x1
	v_mul_f64_e32 v[82:83], v[66:67], v[116:117]
	v_mul_f64_e32 v[86:87], v[68:69], v[116:117]
	v_add_f64_e32 v[4:5], v[4:5], v[84:85]
	v_add_f64_e32 v[8:9], v[8:9], v[80:81]
	s_wait_loadcnt_dscnt 0x100
	v_mul_f64_e32 v[12:13], v[74:75], v[64:65]
	v_mul_f64_e32 v[64:65], v[76:77], v[64:65]
	v_fmac_f64_e32 v[82:83], v[68:69], v[114:115]
	v_fma_f64 v[66:67], v[66:67], v[114:115], -v[86:87]
	v_add_f64_e32 v[4:5], v[4:5], v[10:11]
	v_add_f64_e32 v[68:69], v[8:9], v[78:79]
	ds_load_b128 v[8:11], v2 offset:752
	v_fmac_f64_e32 v[12:13], v[76:77], v[62:63]
	v_fma_f64 v[62:63], v[74:75], v[62:63], -v[64:65]
	s_wait_loadcnt_dscnt 0x0
	v_mul_f64_e32 v[70:71], v[8:9], v[100:101]
	v_mul_f64_e32 v[72:73], v[10:11], v[100:101]
	v_add_f64_e32 v[4:5], v[4:5], v[66:67]
	v_add_f64_e32 v[64:65], v[68:69], v[82:83]
	s_delay_alu instid0(VALU_DEP_4) | instskip(NEXT) | instid1(VALU_DEP_4)
	v_fmac_f64_e32 v[70:71], v[10:11], v[98:99]
	v_fma_f64 v[8:9], v[8:9], v[98:99], -v[72:73]
	s_delay_alu instid0(VALU_DEP_4) | instskip(NEXT) | instid1(VALU_DEP_4)
	v_add_f64_e32 v[4:5], v[4:5], v[62:63]
	v_add_f64_e32 v[10:11], v[64:65], v[12:13]
	s_delay_alu instid0(VALU_DEP_2) | instskip(NEXT) | instid1(VALU_DEP_2)
	v_add_f64_e32 v[4:5], v[4:5], v[8:9]
	v_add_f64_e32 v[10:11], v[10:11], v[70:71]
	s_delay_alu instid0(VALU_DEP_2) | instskip(NEXT) | instid1(VALU_DEP_2)
	v_add_f64_e64 v[8:9], v[106:107], -v[4:5]
	v_add_f64_e64 v[10:11], v[108:109], -v[10:11]
	scratch_store_b128 off, v[8:11], off offset:128
	s_wait_xcnt 0x0
	v_cmpx_lt_u32_e32 7, v1
	s_cbranch_execz .LBB87_143
; %bb.142:
	scratch_load_b128 v[8:11], off, s13
	v_dual_mov_b32 v3, v2 :: v_dual_mov_b32 v4, v2
	v_mov_b32_e32 v5, v2
	scratch_store_b128 off, v[2:5], off offset:112
	s_wait_loadcnt 0x0
	ds_store_b128 v6, v[8:11]
.LBB87_143:
	s_wait_xcnt 0x0
	s_or_b32 exec_lo, exec_lo, s2
	s_wait_storecnt_dscnt 0x0
	s_barrier_signal -1
	s_barrier_wait -1
	s_clause 0x9
	scratch_load_b128 v[8:11], off, off offset:128
	scratch_load_b128 v[62:65], off, off offset:144
	;; [unrolled: 1-line block ×10, first 2 shown]
	ds_load_b128 v[98:101], v2 offset:512
	ds_load_b128 v[106:109], v2 offset:528
	s_clause 0x1
	scratch_load_b128 v[102:105], off, off offset:288
	scratch_load_b128 v[110:113], off, off offset:112
	s_mov_b32 s2, exec_lo
	s_wait_loadcnt_dscnt 0xb01
	v_mul_f64_e32 v[4:5], v[100:101], v[10:11]
	v_mul_f64_e32 v[122:123], v[98:99], v[10:11]
	scratch_load_b128 v[10:13], off, off offset:304
	s_wait_loadcnt_dscnt 0xb00
	v_mul_f64_e32 v[124:125], v[106:107], v[64:65]
	v_mul_f64_e32 v[64:65], v[108:109], v[64:65]
	v_fma_f64 v[4:5], v[98:99], v[8:9], -v[4:5]
	v_fmac_f64_e32 v[122:123], v[100:101], v[8:9]
	ds_load_b128 v[98:101], v2 offset:544
	ds_load_b128 v[114:117], v2 offset:560
	scratch_load_b128 v[118:121], off, off offset:320
	v_fmac_f64_e32 v[124:125], v[108:109], v[62:63]
	v_fma_f64 v[106:107], v[106:107], v[62:63], -v[64:65]
	scratch_load_b128 v[62:65], off, off offset:336
	s_wait_loadcnt_dscnt 0xc01
	v_mul_f64_e32 v[8:9], v[98:99], v[68:69]
	v_mul_f64_e32 v[68:69], v[100:101], v[68:69]
	v_add_f64_e32 v[4:5], 0, v[4:5]
	v_add_f64_e32 v[108:109], 0, v[122:123]
	s_wait_loadcnt_dscnt 0xb00
	v_mul_f64_e32 v[122:123], v[114:115], v[72:73]
	v_mul_f64_e32 v[72:73], v[116:117], v[72:73]
	v_fmac_f64_e32 v[8:9], v[100:101], v[66:67]
	v_fma_f64 v[126:127], v[98:99], v[66:67], -v[68:69]
	ds_load_b128 v[66:69], v2 offset:576
	ds_load_b128 v[98:101], v2 offset:592
	v_add_f64_e32 v[4:5], v[4:5], v[106:107]
	v_add_f64_e32 v[124:125], v[108:109], v[124:125]
	scratch_load_b128 v[106:109], off, off offset:352
	v_fmac_f64_e32 v[122:123], v[116:117], v[70:71]
	v_fma_f64 v[114:115], v[114:115], v[70:71], -v[72:73]
	scratch_load_b128 v[70:73], off, off offset:368
	s_wait_loadcnt_dscnt 0xc01
	v_mul_f64_e32 v[128:129], v[66:67], v[76:77]
	v_mul_f64_e32 v[76:77], v[68:69], v[76:77]
	s_wait_loadcnt_dscnt 0xb00
	v_mul_f64_e32 v[116:117], v[98:99], v[80:81]
	v_mul_f64_e32 v[80:81], v[100:101], v[80:81]
	v_add_f64_e32 v[4:5], v[4:5], v[126:127]
	v_add_f64_e32 v[8:9], v[124:125], v[8:9]
	v_fmac_f64_e32 v[128:129], v[68:69], v[74:75]
	v_fma_f64 v[124:125], v[66:67], v[74:75], -v[76:77]
	ds_load_b128 v[66:69], v2 offset:608
	ds_load_b128 v[74:77], v2 offset:624
	v_fmac_f64_e32 v[116:117], v[100:101], v[78:79]
	v_fma_f64 v[78:79], v[98:99], v[78:79], -v[80:81]
	s_wait_loadcnt_dscnt 0x900
	v_mul_f64_e32 v[98:99], v[74:75], v[88:89]
	v_add_f64_e32 v[4:5], v[4:5], v[114:115]
	v_add_f64_e32 v[8:9], v[8:9], v[122:123]
	v_mul_f64_e32 v[114:115], v[66:67], v[84:85]
	v_mul_f64_e32 v[84:85], v[68:69], v[84:85]
	;; [unrolled: 1-line block ×3, first 2 shown]
	v_fmac_f64_e32 v[98:99], v[76:77], v[86:87]
	v_add_f64_e32 v[4:5], v[4:5], v[124:125]
	v_add_f64_e32 v[8:9], v[8:9], v[128:129]
	v_fmac_f64_e32 v[114:115], v[68:69], v[82:83]
	v_fma_f64 v[82:83], v[66:67], v[82:83], -v[84:85]
	v_fma_f64 v[74:75], v[74:75], v[86:87], -v[88:89]
	v_add_f64_e32 v[4:5], v[4:5], v[78:79]
	v_add_f64_e32 v[8:9], v[8:9], v[116:117]
	ds_load_b128 v[66:69], v2 offset:640
	ds_load_b128 v[78:81], v2 offset:656
	s_wait_loadcnt_dscnt 0x801
	v_mul_f64_e32 v[84:85], v[66:67], v[92:93]
	v_mul_f64_e32 v[92:93], v[68:69], v[92:93]
	s_wait_loadcnt_dscnt 0x700
	v_mul_f64_e32 v[86:87], v[80:81], v[96:97]
	v_add_f64_e32 v[4:5], v[4:5], v[82:83]
	v_add_f64_e32 v[8:9], v[8:9], v[114:115]
	v_mul_f64_e32 v[82:83], v[78:79], v[96:97]
	v_fmac_f64_e32 v[84:85], v[68:69], v[90:91]
	v_fma_f64 v[88:89], v[66:67], v[90:91], -v[92:93]
	v_fma_f64 v[78:79], v[78:79], v[94:95], -v[86:87]
	v_add_f64_e32 v[4:5], v[4:5], v[74:75]
	v_add_f64_e32 v[8:9], v[8:9], v[98:99]
	ds_load_b128 v[66:69], v2 offset:672
	ds_load_b128 v[74:77], v2 offset:688
	v_fmac_f64_e32 v[82:83], v[80:81], v[94:95]
	s_wait_loadcnt_dscnt 0x601
	v_mul_f64_e32 v[90:91], v[66:67], v[104:105]
	v_mul_f64_e32 v[92:93], v[68:69], v[104:105]
	v_add_f64_e32 v[4:5], v[4:5], v[88:89]
	v_add_f64_e32 v[8:9], v[8:9], v[84:85]
	s_wait_loadcnt_dscnt 0x400
	v_mul_f64_e32 v[84:85], v[74:75], v[12:13]
	v_mul_f64_e32 v[12:13], v[76:77], v[12:13]
	v_fmac_f64_e32 v[90:91], v[68:69], v[102:103]
	v_fma_f64 v[86:87], v[66:67], v[102:103], -v[92:93]
	v_add_f64_e32 v[4:5], v[4:5], v[78:79]
	v_add_f64_e32 v[8:9], v[8:9], v[82:83]
	ds_load_b128 v[66:69], v2 offset:704
	ds_load_b128 v[78:81], v2 offset:720
	v_fmac_f64_e32 v[84:85], v[76:77], v[10:11]
	v_fma_f64 v[10:11], v[74:75], v[10:11], -v[12:13]
	s_wait_loadcnt_dscnt 0x301
	v_mul_f64_e32 v[82:83], v[66:67], v[120:121]
	v_mul_f64_e32 v[88:89], v[68:69], v[120:121]
	s_wait_loadcnt_dscnt 0x200
	v_mul_f64_e32 v[12:13], v[78:79], v[64:65]
	v_mul_f64_e32 v[64:65], v[80:81], v[64:65]
	v_add_f64_e32 v[4:5], v[4:5], v[86:87]
	v_add_f64_e32 v[8:9], v[8:9], v[90:91]
	v_fmac_f64_e32 v[82:83], v[68:69], v[118:119]
	v_fma_f64 v[66:67], v[66:67], v[118:119], -v[88:89]
	v_fmac_f64_e32 v[12:13], v[80:81], v[62:63]
	v_fma_f64 v[62:63], v[78:79], v[62:63], -v[64:65]
	v_add_f64_e32 v[68:69], v[4:5], v[10:11]
	v_add_f64_e32 v[74:75], v[8:9], v[84:85]
	ds_load_b128 v[8:11], v2 offset:736
	ds_load_b128 v[2:5], v2 offset:752
	s_wait_loadcnt_dscnt 0x101
	v_mul_f64_e32 v[76:77], v[8:9], v[108:109]
	v_mul_f64_e32 v[84:85], v[10:11], v[108:109]
	v_add_f64_e32 v[64:65], v[68:69], v[66:67]
	v_add_f64_e32 v[66:67], v[74:75], v[82:83]
	s_wait_loadcnt_dscnt 0x0
	v_mul_f64_e32 v[68:69], v[2:3], v[72:73]
	v_mul_f64_e32 v[72:73], v[4:5], v[72:73]
	v_fmac_f64_e32 v[76:77], v[10:11], v[106:107]
	v_fma_f64 v[8:9], v[8:9], v[106:107], -v[84:85]
	v_add_f64_e32 v[10:11], v[64:65], v[62:63]
	v_add_f64_e32 v[12:13], v[66:67], v[12:13]
	v_fmac_f64_e32 v[68:69], v[4:5], v[70:71]
	v_fma_f64 v[2:3], v[2:3], v[70:71], -v[72:73]
	s_delay_alu instid0(VALU_DEP_4) | instskip(NEXT) | instid1(VALU_DEP_4)
	v_add_f64_e32 v[4:5], v[10:11], v[8:9]
	v_add_f64_e32 v[8:9], v[12:13], v[76:77]
	s_delay_alu instid0(VALU_DEP_2) | instskip(NEXT) | instid1(VALU_DEP_2)
	v_add_f64_e32 v[2:3], v[4:5], v[2:3]
	v_add_f64_e32 v[4:5], v[8:9], v[68:69]
	s_delay_alu instid0(VALU_DEP_2) | instskip(NEXT) | instid1(VALU_DEP_2)
	v_add_f64_e64 v[2:3], v[110:111], -v[2:3]
	v_add_f64_e64 v[4:5], v[112:113], -v[4:5]
	scratch_store_b128 off, v[2:5], off offset:112
	s_wait_xcnt 0x0
	v_cmpx_lt_u32_e32 6, v1
	s_cbranch_execz .LBB87_145
; %bb.144:
	scratch_load_b128 v[2:5], off, s24
	v_mov_b32_e32 v8, 0
	s_delay_alu instid0(VALU_DEP_1)
	v_dual_mov_b32 v9, v8 :: v_dual_mov_b32 v10, v8
	v_mov_b32_e32 v11, v8
	scratch_store_b128 off, v[8:11], off offset:96
	s_wait_loadcnt 0x0
	ds_store_b128 v6, v[2:5]
.LBB87_145:
	s_wait_xcnt 0x0
	s_or_b32 exec_lo, exec_lo, s2
	s_wait_storecnt_dscnt 0x0
	s_barrier_signal -1
	s_barrier_wait -1
	s_clause 0x9
	scratch_load_b128 v[8:11], off, off offset:112
	scratch_load_b128 v[62:65], off, off offset:128
	;; [unrolled: 1-line block ×10, first 2 shown]
	v_mov_b32_e32 v2, 0
	s_mov_b32 s2, exec_lo
	ds_load_b128 v[98:101], v2 offset:496
	s_clause 0x2
	scratch_load_b128 v[102:105], off, off offset:272
	scratch_load_b128 v[106:109], off, off offset:96
	;; [unrolled: 1-line block ×3, first 2 shown]
	s_wait_loadcnt_dscnt 0xc00
	v_mul_f64_e32 v[4:5], v[100:101], v[10:11]
	v_mul_f64_e32 v[122:123], v[98:99], v[10:11]
	ds_load_b128 v[110:113], v2 offset:512
	scratch_load_b128 v[10:13], off, off offset:288
	ds_load_b128 v[118:121], v2 offset:544
	v_fma_f64 v[4:5], v[98:99], v[8:9], -v[4:5]
	v_fmac_f64_e32 v[122:123], v[100:101], v[8:9]
	ds_load_b128 v[98:101], v2 offset:528
	s_wait_loadcnt_dscnt 0xc02
	v_mul_f64_e32 v[124:125], v[110:111], v[64:65]
	v_mul_f64_e32 v[64:65], v[112:113], v[64:65]
	s_wait_loadcnt_dscnt 0xb00
	v_mul_f64_e32 v[8:9], v[98:99], v[68:69]
	v_mul_f64_e32 v[68:69], v[100:101], v[68:69]
	v_add_f64_e32 v[4:5], 0, v[4:5]
	v_fmac_f64_e32 v[124:125], v[112:113], v[62:63]
	v_fma_f64 v[110:111], v[110:111], v[62:63], -v[64:65]
	v_add_f64_e32 v[112:113], 0, v[122:123]
	scratch_load_b128 v[62:65], off, off offset:320
	v_fmac_f64_e32 v[8:9], v[100:101], v[66:67]
	v_fma_f64 v[126:127], v[98:99], v[66:67], -v[68:69]
	ds_load_b128 v[66:69], v2 offset:560
	s_wait_loadcnt 0xb
	v_mul_f64_e32 v[122:123], v[118:119], v[72:73]
	v_mul_f64_e32 v[72:73], v[120:121], v[72:73]
	scratch_load_b128 v[98:101], off, off offset:336
	v_add_f64_e32 v[4:5], v[4:5], v[110:111]
	v_add_f64_e32 v[124:125], v[112:113], v[124:125]
	ds_load_b128 v[110:113], v2 offset:576
	s_wait_loadcnt_dscnt 0xb01
	v_mul_f64_e32 v[128:129], v[66:67], v[76:77]
	v_mul_f64_e32 v[76:77], v[68:69], v[76:77]
	v_fmac_f64_e32 v[122:123], v[120:121], v[70:71]
	v_fma_f64 v[118:119], v[118:119], v[70:71], -v[72:73]
	scratch_load_b128 v[70:73], off, off offset:352
	v_add_f64_e32 v[4:5], v[4:5], v[126:127]
	v_add_f64_e32 v[8:9], v[124:125], v[8:9]
	v_fmac_f64_e32 v[128:129], v[68:69], v[74:75]
	v_fma_f64 v[126:127], v[66:67], v[74:75], -v[76:77]
	ds_load_b128 v[66:69], v2 offset:592
	s_wait_loadcnt_dscnt 0xb01
	v_mul_f64_e32 v[124:125], v[110:111], v[80:81]
	v_mul_f64_e32 v[80:81], v[112:113], v[80:81]
	scratch_load_b128 v[74:77], off, off offset:368
	v_add_f64_e32 v[4:5], v[4:5], v[118:119]
	v_add_f64_e32 v[8:9], v[8:9], v[122:123]
	s_wait_loadcnt_dscnt 0xb00
	v_mul_f64_e32 v[122:123], v[66:67], v[84:85]
	v_mul_f64_e32 v[84:85], v[68:69], v[84:85]
	ds_load_b128 v[118:121], v2 offset:608
	v_fmac_f64_e32 v[124:125], v[112:113], v[78:79]
	v_fma_f64 v[78:79], v[110:111], v[78:79], -v[80:81]
	s_wait_loadcnt_dscnt 0xa00
	v_mul_f64_e32 v[110:111], v[118:119], v[88:89]
	v_mul_f64_e32 v[88:89], v[120:121], v[88:89]
	v_add_f64_e32 v[4:5], v[4:5], v[126:127]
	v_add_f64_e32 v[8:9], v[8:9], v[128:129]
	v_fmac_f64_e32 v[122:123], v[68:69], v[82:83]
	v_fma_f64 v[82:83], v[66:67], v[82:83], -v[84:85]
	v_fmac_f64_e32 v[110:111], v[120:121], v[86:87]
	v_fma_f64 v[86:87], v[118:119], v[86:87], -v[88:89]
	v_add_f64_e32 v[4:5], v[4:5], v[78:79]
	v_add_f64_e32 v[8:9], v[8:9], v[124:125]
	ds_load_b128 v[66:69], v2 offset:624
	ds_load_b128 v[78:81], v2 offset:640
	s_wait_loadcnt_dscnt 0x901
	v_mul_f64_e32 v[112:113], v[66:67], v[92:93]
	v_mul_f64_e32 v[84:85], v[68:69], v[92:93]
	s_wait_loadcnt_dscnt 0x800
	v_mul_f64_e32 v[88:89], v[78:79], v[96:97]
	v_mul_f64_e32 v[92:93], v[80:81], v[96:97]
	v_add_f64_e32 v[4:5], v[4:5], v[82:83]
	v_add_f64_e32 v[8:9], v[8:9], v[122:123]
	v_fmac_f64_e32 v[112:113], v[68:69], v[90:91]
	v_fma_f64 v[90:91], v[66:67], v[90:91], -v[84:85]
	ds_load_b128 v[66:69], v2 offset:656
	ds_load_b128 v[82:85], v2 offset:672
	v_fmac_f64_e32 v[88:89], v[80:81], v[94:95]
	v_fma_f64 v[78:79], v[78:79], v[94:95], -v[92:93]
	v_add_f64_e32 v[4:5], v[4:5], v[86:87]
	v_add_f64_e32 v[8:9], v[8:9], v[110:111]
	s_wait_loadcnt_dscnt 0x701
	v_mul_f64_e32 v[86:87], v[66:67], v[104:105]
	v_mul_f64_e32 v[96:97], v[68:69], v[104:105]
	s_delay_alu instid0(VALU_DEP_4) | instskip(NEXT) | instid1(VALU_DEP_4)
	v_add_f64_e32 v[4:5], v[4:5], v[90:91]
	v_add_f64_e32 v[8:9], v[8:9], v[112:113]
	s_wait_loadcnt_dscnt 0x400
	v_mul_f64_e32 v[90:91], v[82:83], v[12:13]
	v_mul_f64_e32 v[12:13], v[84:85], v[12:13]
	v_fmac_f64_e32 v[86:87], v[68:69], v[102:103]
	v_fma_f64 v[92:93], v[66:67], v[102:103], -v[96:97]
	v_add_f64_e32 v[4:5], v[4:5], v[78:79]
	v_add_f64_e32 v[8:9], v[8:9], v[88:89]
	ds_load_b128 v[66:69], v2 offset:688
	ds_load_b128 v[78:81], v2 offset:704
	v_fmac_f64_e32 v[90:91], v[84:85], v[10:11]
	v_fma_f64 v[10:11], v[82:83], v[10:11], -v[12:13]
	s_wait_dscnt 0x1
	v_mul_f64_e32 v[88:89], v[66:67], v[116:117]
	v_mul_f64_e32 v[94:95], v[68:69], v[116:117]
	v_add_f64_e32 v[4:5], v[4:5], v[92:93]
	v_add_f64_e32 v[8:9], v[8:9], v[86:87]
	s_wait_loadcnt_dscnt 0x300
	v_mul_f64_e32 v[12:13], v[78:79], v[64:65]
	v_mul_f64_e32 v[82:83], v[80:81], v[64:65]
	v_fmac_f64_e32 v[88:89], v[68:69], v[114:115]
	v_fma_f64 v[68:69], v[66:67], v[114:115], -v[94:95]
	v_add_f64_e32 v[4:5], v[4:5], v[10:11]
	v_add_f64_e32 v[84:85], v[8:9], v[90:91]
	ds_load_b128 v[8:11], v2 offset:720
	ds_load_b128 v[64:67], v2 offset:736
	v_fmac_f64_e32 v[12:13], v[80:81], v[62:63]
	v_fma_f64 v[62:63], v[78:79], v[62:63], -v[82:83]
	s_wait_loadcnt_dscnt 0x201
	v_mul_f64_e32 v[86:87], v[8:9], v[100:101]
	v_mul_f64_e32 v[90:91], v[10:11], v[100:101]
	s_wait_loadcnt_dscnt 0x100
	v_mul_f64_e32 v[78:79], v[64:65], v[72:73]
	v_mul_f64_e32 v[72:73], v[66:67], v[72:73]
	v_add_f64_e32 v[4:5], v[4:5], v[68:69]
	v_add_f64_e32 v[68:69], v[84:85], v[88:89]
	v_fmac_f64_e32 v[86:87], v[10:11], v[98:99]
	v_fma_f64 v[80:81], v[8:9], v[98:99], -v[90:91]
	ds_load_b128 v[8:11], v2 offset:752
	v_fmac_f64_e32 v[78:79], v[66:67], v[70:71]
	v_fma_f64 v[64:65], v[64:65], v[70:71], -v[72:73]
	v_add_f64_e32 v[4:5], v[4:5], v[62:63]
	v_add_f64_e32 v[12:13], v[68:69], v[12:13]
	s_wait_loadcnt_dscnt 0x0
	v_mul_f64_e32 v[62:63], v[8:9], v[76:77]
	v_mul_f64_e32 v[68:69], v[10:11], v[76:77]
	s_delay_alu instid0(VALU_DEP_4) | instskip(NEXT) | instid1(VALU_DEP_4)
	v_add_f64_e32 v[4:5], v[4:5], v[80:81]
	v_add_f64_e32 v[12:13], v[12:13], v[86:87]
	s_delay_alu instid0(VALU_DEP_4) | instskip(NEXT) | instid1(VALU_DEP_4)
	v_fmac_f64_e32 v[62:63], v[10:11], v[74:75]
	v_fma_f64 v[8:9], v[8:9], v[74:75], -v[68:69]
	s_delay_alu instid0(VALU_DEP_4) | instskip(NEXT) | instid1(VALU_DEP_4)
	v_add_f64_e32 v[4:5], v[4:5], v[64:65]
	v_add_f64_e32 v[10:11], v[12:13], v[78:79]
	s_delay_alu instid0(VALU_DEP_2) | instskip(NEXT) | instid1(VALU_DEP_2)
	v_add_f64_e32 v[4:5], v[4:5], v[8:9]
	v_add_f64_e32 v[10:11], v[10:11], v[62:63]
	s_delay_alu instid0(VALU_DEP_2) | instskip(NEXT) | instid1(VALU_DEP_2)
	v_add_f64_e64 v[8:9], v[106:107], -v[4:5]
	v_add_f64_e64 v[10:11], v[108:109], -v[10:11]
	scratch_store_b128 off, v[8:11], off offset:96
	s_wait_xcnt 0x0
	v_cmpx_lt_u32_e32 5, v1
	s_cbranch_execz .LBB87_147
; %bb.146:
	scratch_load_b128 v[8:11], off, s12
	v_dual_mov_b32 v3, v2 :: v_dual_mov_b32 v4, v2
	v_mov_b32_e32 v5, v2
	scratch_store_b128 off, v[2:5], off offset:80
	s_wait_loadcnt 0x0
	ds_store_b128 v6, v[8:11]
.LBB87_147:
	s_wait_xcnt 0x0
	s_or_b32 exec_lo, exec_lo, s2
	s_wait_storecnt_dscnt 0x0
	s_barrier_signal -1
	s_barrier_wait -1
	s_clause 0x9
	scratch_load_b128 v[8:11], off, off offset:96
	scratch_load_b128 v[62:65], off, off offset:112
	;; [unrolled: 1-line block ×10, first 2 shown]
	ds_load_b128 v[98:101], v2 offset:480
	ds_load_b128 v[106:109], v2 offset:496
	s_clause 0x1
	scratch_load_b128 v[102:105], off, off offset:256
	scratch_load_b128 v[110:113], off, off offset:80
	s_mov_b32 s2, exec_lo
	s_wait_loadcnt_dscnt 0xb01
	v_mul_f64_e32 v[4:5], v[100:101], v[10:11]
	v_mul_f64_e32 v[122:123], v[98:99], v[10:11]
	scratch_load_b128 v[10:13], off, off offset:272
	s_wait_loadcnt_dscnt 0xb00
	v_mul_f64_e32 v[124:125], v[106:107], v[64:65]
	v_mul_f64_e32 v[64:65], v[108:109], v[64:65]
	v_fma_f64 v[4:5], v[98:99], v[8:9], -v[4:5]
	v_fmac_f64_e32 v[122:123], v[100:101], v[8:9]
	ds_load_b128 v[98:101], v2 offset:512
	ds_load_b128 v[114:117], v2 offset:528
	scratch_load_b128 v[118:121], off, off offset:288
	v_fmac_f64_e32 v[124:125], v[108:109], v[62:63]
	v_fma_f64 v[106:107], v[106:107], v[62:63], -v[64:65]
	scratch_load_b128 v[62:65], off, off offset:304
	s_wait_loadcnt_dscnt 0xc01
	v_mul_f64_e32 v[8:9], v[98:99], v[68:69]
	v_mul_f64_e32 v[68:69], v[100:101], v[68:69]
	v_add_f64_e32 v[4:5], 0, v[4:5]
	v_add_f64_e32 v[108:109], 0, v[122:123]
	s_wait_loadcnt_dscnt 0xb00
	v_mul_f64_e32 v[122:123], v[114:115], v[72:73]
	v_mul_f64_e32 v[72:73], v[116:117], v[72:73]
	v_fmac_f64_e32 v[8:9], v[100:101], v[66:67]
	v_fma_f64 v[126:127], v[98:99], v[66:67], -v[68:69]
	ds_load_b128 v[66:69], v2 offset:544
	ds_load_b128 v[98:101], v2 offset:560
	v_add_f64_e32 v[4:5], v[4:5], v[106:107]
	v_add_f64_e32 v[124:125], v[108:109], v[124:125]
	scratch_load_b128 v[106:109], off, off offset:320
	v_fmac_f64_e32 v[122:123], v[116:117], v[70:71]
	v_fma_f64 v[114:115], v[114:115], v[70:71], -v[72:73]
	scratch_load_b128 v[70:73], off, off offset:336
	s_wait_loadcnt_dscnt 0xc01
	v_mul_f64_e32 v[128:129], v[66:67], v[76:77]
	v_mul_f64_e32 v[76:77], v[68:69], v[76:77]
	v_add_f64_e32 v[4:5], v[4:5], v[126:127]
	v_add_f64_e32 v[8:9], v[124:125], v[8:9]
	s_wait_loadcnt_dscnt 0xb00
	v_mul_f64_e32 v[124:125], v[98:99], v[80:81]
	v_mul_f64_e32 v[80:81], v[100:101], v[80:81]
	v_fmac_f64_e32 v[128:129], v[68:69], v[74:75]
	v_fma_f64 v[126:127], v[66:67], v[74:75], -v[76:77]
	ds_load_b128 v[66:69], v2 offset:576
	ds_load_b128 v[74:77], v2 offset:592
	v_add_f64_e32 v[4:5], v[4:5], v[114:115]
	v_add_f64_e32 v[8:9], v[8:9], v[122:123]
	scratch_load_b128 v[114:117], off, off offset:352
	s_wait_loadcnt_dscnt 0xb01
	v_mul_f64_e32 v[122:123], v[66:67], v[84:85]
	v_mul_f64_e32 v[84:85], v[68:69], v[84:85]
	v_fmac_f64_e32 v[124:125], v[100:101], v[78:79]
	v_fma_f64 v[98:99], v[98:99], v[78:79], -v[80:81]
	scratch_load_b128 v[78:81], off, off offset:368
	s_wait_loadcnt_dscnt 0xb00
	v_mul_f64_e32 v[100:101], v[74:75], v[88:89]
	v_mul_f64_e32 v[88:89], v[76:77], v[88:89]
	v_add_f64_e32 v[4:5], v[4:5], v[126:127]
	v_add_f64_e32 v[8:9], v[8:9], v[128:129]
	v_fmac_f64_e32 v[122:123], v[68:69], v[82:83]
	v_fma_f64 v[126:127], v[66:67], v[82:83], -v[84:85]
	ds_load_b128 v[66:69], v2 offset:608
	ds_load_b128 v[82:85], v2 offset:624
	v_fmac_f64_e32 v[100:101], v[76:77], v[86:87]
	v_fma_f64 v[74:75], v[74:75], v[86:87], -v[88:89]
	s_wait_loadcnt_dscnt 0x900
	v_mul_f64_e32 v[86:87], v[82:83], v[96:97]
	v_mul_f64_e32 v[88:89], v[84:85], v[96:97]
	v_add_f64_e32 v[4:5], v[4:5], v[98:99]
	v_add_f64_e32 v[8:9], v[8:9], v[124:125]
	v_mul_f64_e32 v[98:99], v[66:67], v[92:93]
	v_mul_f64_e32 v[92:93], v[68:69], v[92:93]
	v_fmac_f64_e32 v[86:87], v[84:85], v[94:95]
	v_fma_f64 v[82:83], v[82:83], v[94:95], -v[88:89]
	v_add_f64_e32 v[4:5], v[4:5], v[126:127]
	v_add_f64_e32 v[8:9], v[8:9], v[122:123]
	v_fmac_f64_e32 v[98:99], v[68:69], v[90:91]
	v_fma_f64 v[90:91], v[66:67], v[90:91], -v[92:93]
	s_delay_alu instid0(VALU_DEP_4) | instskip(NEXT) | instid1(VALU_DEP_4)
	v_add_f64_e32 v[4:5], v[4:5], v[74:75]
	v_add_f64_e32 v[8:9], v[8:9], v[100:101]
	ds_load_b128 v[66:69], v2 offset:640
	ds_load_b128 v[74:77], v2 offset:656
	s_wait_loadcnt_dscnt 0x801
	v_mul_f64_e32 v[92:93], v[66:67], v[104:105]
	v_mul_f64_e32 v[96:97], v[68:69], v[104:105]
	v_add_f64_e32 v[4:5], v[4:5], v[90:91]
	v_add_f64_e32 v[8:9], v[8:9], v[98:99]
	s_wait_loadcnt_dscnt 0x600
	v_mul_f64_e32 v[88:89], v[74:75], v[12:13]
	v_mul_f64_e32 v[12:13], v[76:77], v[12:13]
	v_fmac_f64_e32 v[92:93], v[68:69], v[102:103]
	v_fma_f64 v[90:91], v[66:67], v[102:103], -v[96:97]
	v_add_f64_e32 v[4:5], v[4:5], v[82:83]
	v_add_f64_e32 v[8:9], v[8:9], v[86:87]
	ds_load_b128 v[66:69], v2 offset:672
	ds_load_b128 v[82:85], v2 offset:688
	v_fmac_f64_e32 v[88:89], v[76:77], v[10:11]
	v_fma_f64 v[10:11], v[74:75], v[10:11], -v[12:13]
	s_wait_loadcnt_dscnt 0x501
	v_mul_f64_e32 v[86:87], v[66:67], v[120:121]
	v_mul_f64_e32 v[94:95], v[68:69], v[120:121]
	s_wait_loadcnt_dscnt 0x400
	v_mul_f64_e32 v[12:13], v[82:83], v[64:65]
	v_mul_f64_e32 v[74:75], v[84:85], v[64:65]
	v_add_f64_e32 v[4:5], v[4:5], v[90:91]
	v_add_f64_e32 v[8:9], v[8:9], v[92:93]
	v_fmac_f64_e32 v[86:87], v[68:69], v[118:119]
	v_fma_f64 v[68:69], v[66:67], v[118:119], -v[94:95]
	v_fmac_f64_e32 v[12:13], v[84:85], v[62:63]
	v_fma_f64 v[62:63], v[82:83], v[62:63], -v[74:75]
	v_add_f64_e32 v[4:5], v[4:5], v[10:11]
	v_add_f64_e32 v[76:77], v[8:9], v[88:89]
	ds_load_b128 v[8:11], v2 offset:704
	ds_load_b128 v[64:67], v2 offset:720
	s_wait_loadcnt_dscnt 0x301
	v_mul_f64_e32 v[88:89], v[8:9], v[108:109]
	v_mul_f64_e32 v[90:91], v[10:11], v[108:109]
	s_wait_loadcnt_dscnt 0x200
	v_mul_f64_e32 v[74:75], v[64:65], v[72:73]
	v_mul_f64_e32 v[72:73], v[66:67], v[72:73]
	v_add_f64_e32 v[4:5], v[4:5], v[68:69]
	v_add_f64_e32 v[68:69], v[76:77], v[86:87]
	v_fmac_f64_e32 v[88:89], v[10:11], v[106:107]
	v_fma_f64 v[76:77], v[8:9], v[106:107], -v[90:91]
	v_fmac_f64_e32 v[74:75], v[66:67], v[70:71]
	v_fma_f64 v[64:65], v[64:65], v[70:71], -v[72:73]
	v_add_f64_e32 v[62:63], v[4:5], v[62:63]
	v_add_f64_e32 v[12:13], v[68:69], v[12:13]
	ds_load_b128 v[8:11], v2 offset:736
	ds_load_b128 v[2:5], v2 offset:752
	s_wait_loadcnt_dscnt 0x101
	v_mul_f64_e32 v[68:69], v[8:9], v[116:117]
	v_mul_f64_e32 v[82:83], v[10:11], v[116:117]
	s_wait_loadcnt_dscnt 0x0
	v_mul_f64_e32 v[66:67], v[2:3], v[80:81]
	v_mul_f64_e32 v[70:71], v[4:5], v[80:81]
	v_add_f64_e32 v[62:63], v[62:63], v[76:77]
	v_add_f64_e32 v[12:13], v[12:13], v[88:89]
	v_fmac_f64_e32 v[68:69], v[10:11], v[114:115]
	v_fma_f64 v[8:9], v[8:9], v[114:115], -v[82:83]
	v_fmac_f64_e32 v[66:67], v[4:5], v[78:79]
	v_fma_f64 v[2:3], v[2:3], v[78:79], -v[70:71]
	v_add_f64_e32 v[10:11], v[62:63], v[64:65]
	v_add_f64_e32 v[12:13], v[12:13], v[74:75]
	s_delay_alu instid0(VALU_DEP_2) | instskip(NEXT) | instid1(VALU_DEP_2)
	v_add_f64_e32 v[4:5], v[10:11], v[8:9]
	v_add_f64_e32 v[8:9], v[12:13], v[68:69]
	s_delay_alu instid0(VALU_DEP_2) | instskip(NEXT) | instid1(VALU_DEP_2)
	v_add_f64_e32 v[2:3], v[4:5], v[2:3]
	v_add_f64_e32 v[4:5], v[8:9], v[66:67]
	s_delay_alu instid0(VALU_DEP_2) | instskip(NEXT) | instid1(VALU_DEP_2)
	v_add_f64_e64 v[2:3], v[110:111], -v[2:3]
	v_add_f64_e64 v[4:5], v[112:113], -v[4:5]
	scratch_store_b128 off, v[2:5], off offset:80
	s_wait_xcnt 0x0
	v_cmpx_lt_u32_e32 4, v1
	s_cbranch_execz .LBB87_149
; %bb.148:
	scratch_load_b128 v[2:5], off, s23
	v_mov_b32_e32 v8, 0
	s_delay_alu instid0(VALU_DEP_1)
	v_dual_mov_b32 v9, v8 :: v_dual_mov_b32 v10, v8
	v_mov_b32_e32 v11, v8
	scratch_store_b128 off, v[8:11], off offset:64
	s_wait_loadcnt 0x0
	ds_store_b128 v6, v[2:5]
.LBB87_149:
	s_wait_xcnt 0x0
	s_or_b32 exec_lo, exec_lo, s2
	s_wait_storecnt_dscnt 0x0
	s_barrier_signal -1
	s_barrier_wait -1
	s_clause 0x9
	scratch_load_b128 v[8:11], off, off offset:80
	scratch_load_b128 v[62:65], off, off offset:96
	;; [unrolled: 1-line block ×10, first 2 shown]
	v_mov_b32_e32 v2, 0
	s_mov_b32 s2, exec_lo
	ds_load_b128 v[98:101], v2 offset:464
	s_clause 0x2
	scratch_load_b128 v[102:105], off, off offset:240
	scratch_load_b128 v[106:109], off, off offset:64
	;; [unrolled: 1-line block ×3, first 2 shown]
	s_wait_loadcnt_dscnt 0xc00
	v_mul_f64_e32 v[4:5], v[100:101], v[10:11]
	v_mul_f64_e32 v[122:123], v[98:99], v[10:11]
	ds_load_b128 v[110:113], v2 offset:480
	scratch_load_b128 v[10:13], off, off offset:256
	ds_load_b128 v[118:121], v2 offset:512
	v_fma_f64 v[4:5], v[98:99], v[8:9], -v[4:5]
	v_fmac_f64_e32 v[122:123], v[100:101], v[8:9]
	ds_load_b128 v[98:101], v2 offset:496
	s_wait_loadcnt_dscnt 0xc02
	v_mul_f64_e32 v[124:125], v[110:111], v[64:65]
	v_mul_f64_e32 v[64:65], v[112:113], v[64:65]
	s_wait_loadcnt_dscnt 0xb00
	v_mul_f64_e32 v[8:9], v[98:99], v[68:69]
	v_mul_f64_e32 v[68:69], v[100:101], v[68:69]
	v_add_f64_e32 v[4:5], 0, v[4:5]
	v_fmac_f64_e32 v[124:125], v[112:113], v[62:63]
	v_fma_f64 v[110:111], v[110:111], v[62:63], -v[64:65]
	v_add_f64_e32 v[112:113], 0, v[122:123]
	scratch_load_b128 v[62:65], off, off offset:288
	v_fmac_f64_e32 v[8:9], v[100:101], v[66:67]
	v_fma_f64 v[126:127], v[98:99], v[66:67], -v[68:69]
	ds_load_b128 v[66:69], v2 offset:528
	s_wait_loadcnt 0xb
	v_mul_f64_e32 v[122:123], v[118:119], v[72:73]
	v_mul_f64_e32 v[72:73], v[120:121], v[72:73]
	scratch_load_b128 v[98:101], off, off offset:304
	v_add_f64_e32 v[4:5], v[4:5], v[110:111]
	v_add_f64_e32 v[124:125], v[112:113], v[124:125]
	ds_load_b128 v[110:113], v2 offset:544
	s_wait_loadcnt_dscnt 0xb01
	v_mul_f64_e32 v[128:129], v[66:67], v[76:77]
	v_mul_f64_e32 v[76:77], v[68:69], v[76:77]
	v_fmac_f64_e32 v[122:123], v[120:121], v[70:71]
	v_fma_f64 v[118:119], v[118:119], v[70:71], -v[72:73]
	scratch_load_b128 v[70:73], off, off offset:320
	v_add_f64_e32 v[4:5], v[4:5], v[126:127]
	v_add_f64_e32 v[8:9], v[124:125], v[8:9]
	v_fmac_f64_e32 v[128:129], v[68:69], v[74:75]
	v_fma_f64 v[126:127], v[66:67], v[74:75], -v[76:77]
	ds_load_b128 v[66:69], v2 offset:560
	s_wait_loadcnt_dscnt 0xb01
	v_mul_f64_e32 v[124:125], v[110:111], v[80:81]
	v_mul_f64_e32 v[80:81], v[112:113], v[80:81]
	scratch_load_b128 v[74:77], off, off offset:336
	v_add_f64_e32 v[4:5], v[4:5], v[118:119]
	v_add_f64_e32 v[8:9], v[8:9], v[122:123]
	s_wait_loadcnt_dscnt 0xb00
	v_mul_f64_e32 v[122:123], v[66:67], v[84:85]
	v_mul_f64_e32 v[84:85], v[68:69], v[84:85]
	ds_load_b128 v[118:121], v2 offset:576
	v_fmac_f64_e32 v[124:125], v[112:113], v[78:79]
	v_fma_f64 v[110:111], v[110:111], v[78:79], -v[80:81]
	scratch_load_b128 v[78:81], off, off offset:352
	v_add_f64_e32 v[4:5], v[4:5], v[126:127]
	v_add_f64_e32 v[8:9], v[8:9], v[128:129]
	v_fmac_f64_e32 v[122:123], v[68:69], v[82:83]
	v_fma_f64 v[128:129], v[66:67], v[82:83], -v[84:85]
	ds_load_b128 v[66:69], v2 offset:592
	s_wait_loadcnt_dscnt 0xb01
	v_mul_f64_e32 v[126:127], v[118:119], v[88:89]
	v_mul_f64_e32 v[88:89], v[120:121], v[88:89]
	scratch_load_b128 v[82:85], off, off offset:368
	v_add_f64_e32 v[4:5], v[4:5], v[110:111]
	v_add_f64_e32 v[8:9], v[8:9], v[124:125]
	s_wait_loadcnt_dscnt 0xb00
	v_mul_f64_e32 v[124:125], v[66:67], v[92:93]
	v_mul_f64_e32 v[92:93], v[68:69], v[92:93]
	ds_load_b128 v[110:113], v2 offset:608
	v_fmac_f64_e32 v[126:127], v[120:121], v[86:87]
	v_fma_f64 v[86:87], v[118:119], v[86:87], -v[88:89]
	s_wait_loadcnt_dscnt 0xa00
	v_mul_f64_e32 v[118:119], v[110:111], v[96:97]
	v_mul_f64_e32 v[96:97], v[112:113], v[96:97]
	v_add_f64_e32 v[4:5], v[4:5], v[128:129]
	v_add_f64_e32 v[8:9], v[8:9], v[122:123]
	v_fmac_f64_e32 v[124:125], v[68:69], v[90:91]
	v_fma_f64 v[90:91], v[66:67], v[90:91], -v[92:93]
	v_fmac_f64_e32 v[118:119], v[112:113], v[94:95]
	v_fma_f64 v[94:95], v[110:111], v[94:95], -v[96:97]
	v_add_f64_e32 v[4:5], v[4:5], v[86:87]
	v_add_f64_e32 v[8:9], v[8:9], v[126:127]
	ds_load_b128 v[66:69], v2 offset:624
	ds_load_b128 v[86:89], v2 offset:640
	s_wait_loadcnt_dscnt 0x901
	v_mul_f64_e32 v[120:121], v[66:67], v[104:105]
	v_mul_f64_e32 v[92:93], v[68:69], v[104:105]
	s_wait_loadcnt_dscnt 0x600
	v_mul_f64_e32 v[96:97], v[86:87], v[12:13]
	v_add_f64_e32 v[4:5], v[4:5], v[90:91]
	v_add_f64_e32 v[8:9], v[8:9], v[124:125]
	v_mul_f64_e32 v[12:13], v[88:89], v[12:13]
	v_fmac_f64_e32 v[120:121], v[68:69], v[102:103]
	v_fma_f64 v[102:103], v[66:67], v[102:103], -v[92:93]
	ds_load_b128 v[66:69], v2 offset:656
	ds_load_b128 v[90:93], v2 offset:672
	v_fmac_f64_e32 v[96:97], v[88:89], v[10:11]
	v_add_f64_e32 v[4:5], v[4:5], v[94:95]
	v_add_f64_e32 v[8:9], v[8:9], v[118:119]
	v_fma_f64 v[10:11], v[86:87], v[10:11], -v[12:13]
	s_wait_dscnt 0x1
	v_mul_f64_e32 v[94:95], v[66:67], v[116:117]
	v_mul_f64_e32 v[104:105], v[68:69], v[116:117]
	v_add_f64_e32 v[4:5], v[4:5], v[102:103]
	v_add_f64_e32 v[8:9], v[8:9], v[120:121]
	s_wait_loadcnt_dscnt 0x500
	v_mul_f64_e32 v[12:13], v[90:91], v[64:65]
	v_mul_f64_e32 v[86:87], v[92:93], v[64:65]
	v_fmac_f64_e32 v[94:95], v[68:69], v[114:115]
	v_fma_f64 v[68:69], v[66:67], v[114:115], -v[104:105]
	v_add_f64_e32 v[4:5], v[4:5], v[10:11]
	v_add_f64_e32 v[88:89], v[8:9], v[96:97]
	ds_load_b128 v[8:11], v2 offset:688
	ds_load_b128 v[64:67], v2 offset:704
	v_fmac_f64_e32 v[12:13], v[92:93], v[62:63]
	v_fma_f64 v[62:63], v[90:91], v[62:63], -v[86:87]
	s_wait_loadcnt_dscnt 0x401
	v_mul_f64_e32 v[96:97], v[8:9], v[100:101]
	v_mul_f64_e32 v[100:101], v[10:11], v[100:101]
	s_wait_loadcnt_dscnt 0x300
	v_mul_f64_e32 v[90:91], v[64:65], v[72:73]
	v_mul_f64_e32 v[72:73], v[66:67], v[72:73]
	v_add_f64_e32 v[4:5], v[4:5], v[68:69]
	v_add_f64_e32 v[68:69], v[88:89], v[94:95]
	v_fmac_f64_e32 v[96:97], v[10:11], v[98:99]
	v_fma_f64 v[92:93], v[8:9], v[98:99], -v[100:101]
	ds_load_b128 v[8:11], v2 offset:720
	ds_load_b128 v[86:89], v2 offset:736
	v_fmac_f64_e32 v[90:91], v[66:67], v[70:71]
	v_fma_f64 v[64:65], v[64:65], v[70:71], -v[72:73]
	v_add_f64_e32 v[4:5], v[4:5], v[62:63]
	v_add_f64_e32 v[12:13], v[68:69], v[12:13]
	s_wait_loadcnt_dscnt 0x201
	v_mul_f64_e32 v[62:63], v[8:9], v[76:77]
	v_mul_f64_e32 v[68:69], v[10:11], v[76:77]
	s_wait_loadcnt_dscnt 0x100
	v_mul_f64_e32 v[66:67], v[86:87], v[80:81]
	v_mul_f64_e32 v[70:71], v[88:89], v[80:81]
	v_add_f64_e32 v[4:5], v[4:5], v[92:93]
	v_add_f64_e32 v[12:13], v[12:13], v[96:97]
	v_fmac_f64_e32 v[62:63], v[10:11], v[74:75]
	v_fma_f64 v[68:69], v[8:9], v[74:75], -v[68:69]
	ds_load_b128 v[8:11], v2 offset:752
	v_fmac_f64_e32 v[66:67], v[88:89], v[78:79]
	v_fma_f64 v[70:71], v[86:87], v[78:79], -v[70:71]
	s_wait_loadcnt_dscnt 0x0
	v_mul_f64_e32 v[72:73], v[10:11], v[84:85]
	v_add_f64_e32 v[4:5], v[4:5], v[64:65]
	v_add_f64_e32 v[12:13], v[12:13], v[90:91]
	v_mul_f64_e32 v[64:65], v[8:9], v[84:85]
	s_delay_alu instid0(VALU_DEP_4) | instskip(NEXT) | instid1(VALU_DEP_4)
	v_fma_f64 v[8:9], v[8:9], v[82:83], -v[72:73]
	v_add_f64_e32 v[4:5], v[4:5], v[68:69]
	s_delay_alu instid0(VALU_DEP_4) | instskip(NEXT) | instid1(VALU_DEP_4)
	v_add_f64_e32 v[12:13], v[12:13], v[62:63]
	v_fmac_f64_e32 v[64:65], v[10:11], v[82:83]
	s_delay_alu instid0(VALU_DEP_3) | instskip(NEXT) | instid1(VALU_DEP_3)
	v_add_f64_e32 v[4:5], v[4:5], v[70:71]
	v_add_f64_e32 v[10:11], v[12:13], v[66:67]
	s_delay_alu instid0(VALU_DEP_2) | instskip(NEXT) | instid1(VALU_DEP_2)
	v_add_f64_e32 v[4:5], v[4:5], v[8:9]
	v_add_f64_e32 v[10:11], v[10:11], v[64:65]
	s_delay_alu instid0(VALU_DEP_2) | instskip(NEXT) | instid1(VALU_DEP_2)
	v_add_f64_e64 v[8:9], v[106:107], -v[4:5]
	v_add_f64_e64 v[10:11], v[108:109], -v[10:11]
	scratch_store_b128 off, v[8:11], off offset:64
	s_wait_xcnt 0x0
	v_cmpx_lt_u32_e32 3, v1
	s_cbranch_execz .LBB87_151
; %bb.150:
	scratch_load_b128 v[8:11], off, s22
	v_dual_mov_b32 v3, v2 :: v_dual_mov_b32 v4, v2
	v_mov_b32_e32 v5, v2
	scratch_store_b128 off, v[2:5], off offset:48
	s_wait_loadcnt 0x0
	ds_store_b128 v6, v[8:11]
.LBB87_151:
	s_wait_xcnt 0x0
	s_or_b32 exec_lo, exec_lo, s2
	s_wait_storecnt_dscnt 0x0
	s_barrier_signal -1
	s_barrier_wait -1
	s_clause 0x9
	scratch_load_b128 v[8:11], off, off offset:64
	scratch_load_b128 v[62:65], off, off offset:80
	;; [unrolled: 1-line block ×10, first 2 shown]
	ds_load_b128 v[98:101], v2 offset:448
	ds_load_b128 v[106:109], v2 offset:464
	s_clause 0x1
	scratch_load_b128 v[102:105], off, off offset:224
	scratch_load_b128 v[110:113], off, off offset:48
	s_mov_b32 s2, exec_lo
	s_wait_loadcnt_dscnt 0xb01
	v_mul_f64_e32 v[4:5], v[100:101], v[10:11]
	v_mul_f64_e32 v[122:123], v[98:99], v[10:11]
	scratch_load_b128 v[10:13], off, off offset:240
	s_wait_loadcnt_dscnt 0xb00
	v_mul_f64_e32 v[124:125], v[106:107], v[64:65]
	v_mul_f64_e32 v[64:65], v[108:109], v[64:65]
	v_fma_f64 v[4:5], v[98:99], v[8:9], -v[4:5]
	v_fmac_f64_e32 v[122:123], v[100:101], v[8:9]
	ds_load_b128 v[98:101], v2 offset:480
	ds_load_b128 v[114:117], v2 offset:496
	scratch_load_b128 v[118:121], off, off offset:256
	v_fmac_f64_e32 v[124:125], v[108:109], v[62:63]
	v_fma_f64 v[106:107], v[106:107], v[62:63], -v[64:65]
	scratch_load_b128 v[62:65], off, off offset:272
	s_wait_loadcnt_dscnt 0xc01
	v_mul_f64_e32 v[8:9], v[98:99], v[68:69]
	v_mul_f64_e32 v[68:69], v[100:101], v[68:69]
	v_add_f64_e32 v[4:5], 0, v[4:5]
	v_add_f64_e32 v[108:109], 0, v[122:123]
	s_wait_loadcnt_dscnt 0xb00
	v_mul_f64_e32 v[122:123], v[114:115], v[72:73]
	v_mul_f64_e32 v[72:73], v[116:117], v[72:73]
	v_fmac_f64_e32 v[8:9], v[100:101], v[66:67]
	v_fma_f64 v[126:127], v[98:99], v[66:67], -v[68:69]
	ds_load_b128 v[66:69], v2 offset:512
	ds_load_b128 v[98:101], v2 offset:528
	v_add_f64_e32 v[4:5], v[4:5], v[106:107]
	v_add_f64_e32 v[124:125], v[108:109], v[124:125]
	scratch_load_b128 v[106:109], off, off offset:288
	v_fmac_f64_e32 v[122:123], v[116:117], v[70:71]
	v_fma_f64 v[114:115], v[114:115], v[70:71], -v[72:73]
	scratch_load_b128 v[70:73], off, off offset:304
	s_wait_loadcnt_dscnt 0xc01
	v_mul_f64_e32 v[128:129], v[66:67], v[76:77]
	v_mul_f64_e32 v[76:77], v[68:69], v[76:77]
	v_add_f64_e32 v[4:5], v[4:5], v[126:127]
	v_add_f64_e32 v[8:9], v[124:125], v[8:9]
	s_wait_loadcnt_dscnt 0xb00
	v_mul_f64_e32 v[124:125], v[98:99], v[80:81]
	v_mul_f64_e32 v[80:81], v[100:101], v[80:81]
	v_fmac_f64_e32 v[128:129], v[68:69], v[74:75]
	v_fma_f64 v[126:127], v[66:67], v[74:75], -v[76:77]
	ds_load_b128 v[66:69], v2 offset:544
	ds_load_b128 v[74:77], v2 offset:560
	v_add_f64_e32 v[4:5], v[4:5], v[114:115]
	v_add_f64_e32 v[8:9], v[8:9], v[122:123]
	scratch_load_b128 v[114:117], off, off offset:320
	s_wait_loadcnt_dscnt 0xb01
	v_mul_f64_e32 v[122:123], v[66:67], v[84:85]
	v_mul_f64_e32 v[84:85], v[68:69], v[84:85]
	v_fmac_f64_e32 v[124:125], v[100:101], v[78:79]
	v_fma_f64 v[98:99], v[98:99], v[78:79], -v[80:81]
	scratch_load_b128 v[78:81], off, off offset:336
	v_add_f64_e32 v[4:5], v[4:5], v[126:127]
	v_add_f64_e32 v[8:9], v[8:9], v[128:129]
	s_wait_loadcnt_dscnt 0xb00
	v_mul_f64_e32 v[126:127], v[74:75], v[88:89]
	v_mul_f64_e32 v[88:89], v[76:77], v[88:89]
	v_fmac_f64_e32 v[122:123], v[68:69], v[82:83]
	v_fma_f64 v[128:129], v[66:67], v[82:83], -v[84:85]
	ds_load_b128 v[66:69], v2 offset:576
	ds_load_b128 v[82:85], v2 offset:592
	v_add_f64_e32 v[4:5], v[4:5], v[98:99]
	v_add_f64_e32 v[8:9], v[8:9], v[124:125]
	scratch_load_b128 v[98:101], off, off offset:352
	s_wait_loadcnt_dscnt 0xb01
	v_mul_f64_e32 v[124:125], v[66:67], v[92:93]
	v_mul_f64_e32 v[92:93], v[68:69], v[92:93]
	v_fmac_f64_e32 v[126:127], v[76:77], v[86:87]
	v_fma_f64 v[86:87], v[74:75], v[86:87], -v[88:89]
	scratch_load_b128 v[74:77], off, off offset:368
	v_add_f64_e32 v[4:5], v[4:5], v[128:129]
	v_add_f64_e32 v[8:9], v[8:9], v[122:123]
	s_wait_loadcnt_dscnt 0xb00
	v_mul_f64_e32 v[122:123], v[82:83], v[96:97]
	v_mul_f64_e32 v[96:97], v[84:85], v[96:97]
	v_fmac_f64_e32 v[124:125], v[68:69], v[90:91]
	v_fma_f64 v[90:91], v[66:67], v[90:91], -v[92:93]
	v_add_f64_e32 v[4:5], v[4:5], v[86:87]
	v_add_f64_e32 v[8:9], v[8:9], v[126:127]
	ds_load_b128 v[66:69], v2 offset:608
	ds_load_b128 v[86:89], v2 offset:624
	v_fmac_f64_e32 v[122:123], v[84:85], v[94:95]
	v_fma_f64 v[82:83], v[82:83], v[94:95], -v[96:97]
	s_wait_loadcnt_dscnt 0xa01
	v_mul_f64_e32 v[92:93], v[66:67], v[104:105]
	v_mul_f64_e32 v[104:105], v[68:69], v[104:105]
	v_add_f64_e32 v[4:5], v[4:5], v[90:91]
	v_add_f64_e32 v[8:9], v[8:9], v[124:125]
	s_wait_loadcnt_dscnt 0x800
	v_mul_f64_e32 v[90:91], v[86:87], v[12:13]
	v_mul_f64_e32 v[12:13], v[88:89], v[12:13]
	v_fmac_f64_e32 v[92:93], v[68:69], v[102:103]
	v_fma_f64 v[94:95], v[66:67], v[102:103], -v[104:105]
	v_add_f64_e32 v[4:5], v[4:5], v[82:83]
	v_add_f64_e32 v[8:9], v[8:9], v[122:123]
	ds_load_b128 v[66:69], v2 offset:640
	ds_load_b128 v[82:85], v2 offset:656
	v_fmac_f64_e32 v[90:91], v[88:89], v[10:11]
	v_fma_f64 v[10:11], v[86:87], v[10:11], -v[12:13]
	s_wait_loadcnt_dscnt 0x701
	v_mul_f64_e32 v[96:97], v[66:67], v[120:121]
	v_mul_f64_e32 v[102:103], v[68:69], v[120:121]
	s_wait_loadcnt_dscnt 0x600
	v_mul_f64_e32 v[12:13], v[82:83], v[64:65]
	v_mul_f64_e32 v[86:87], v[84:85], v[64:65]
	v_add_f64_e32 v[4:5], v[4:5], v[94:95]
	v_add_f64_e32 v[8:9], v[8:9], v[92:93]
	v_fmac_f64_e32 v[96:97], v[68:69], v[118:119]
	v_fma_f64 v[68:69], v[66:67], v[118:119], -v[102:103]
	v_fmac_f64_e32 v[12:13], v[84:85], v[62:63]
	v_fma_f64 v[62:63], v[82:83], v[62:63], -v[86:87]
	v_add_f64_e32 v[4:5], v[4:5], v[10:11]
	v_add_f64_e32 v[88:89], v[8:9], v[90:91]
	ds_load_b128 v[8:11], v2 offset:672
	ds_load_b128 v[64:67], v2 offset:688
	s_wait_loadcnt_dscnt 0x501
	v_mul_f64_e32 v[90:91], v[8:9], v[108:109]
	v_mul_f64_e32 v[92:93], v[10:11], v[108:109]
	s_wait_loadcnt_dscnt 0x400
	v_mul_f64_e32 v[86:87], v[64:65], v[72:73]
	v_mul_f64_e32 v[72:73], v[66:67], v[72:73]
	v_add_f64_e32 v[4:5], v[4:5], v[68:69]
	v_add_f64_e32 v[68:69], v[88:89], v[96:97]
	v_fmac_f64_e32 v[90:91], v[10:11], v[106:107]
	v_fma_f64 v[88:89], v[8:9], v[106:107], -v[92:93]
	ds_load_b128 v[8:11], v2 offset:704
	ds_load_b128 v[82:85], v2 offset:720
	v_fmac_f64_e32 v[86:87], v[66:67], v[70:71]
	v_fma_f64 v[64:65], v[64:65], v[70:71], -v[72:73]
	v_add_f64_e32 v[4:5], v[4:5], v[62:63]
	v_add_f64_e32 v[12:13], v[68:69], v[12:13]
	s_wait_loadcnt_dscnt 0x301
	v_mul_f64_e32 v[62:63], v[8:9], v[116:117]
	v_mul_f64_e32 v[68:69], v[10:11], v[116:117]
	s_wait_loadcnt_dscnt 0x200
	v_mul_f64_e32 v[66:67], v[82:83], v[80:81]
	v_mul_f64_e32 v[70:71], v[84:85], v[80:81]
	v_add_f64_e32 v[4:5], v[4:5], v[88:89]
	v_add_f64_e32 v[12:13], v[12:13], v[90:91]
	v_fmac_f64_e32 v[62:63], v[10:11], v[114:115]
	v_fma_f64 v[68:69], v[8:9], v[114:115], -v[68:69]
	v_fmac_f64_e32 v[66:67], v[84:85], v[78:79]
	v_fma_f64 v[70:71], v[82:83], v[78:79], -v[70:71]
	v_add_f64_e32 v[64:65], v[4:5], v[64:65]
	v_add_f64_e32 v[12:13], v[12:13], v[86:87]
	ds_load_b128 v[8:11], v2 offset:736
	ds_load_b128 v[2:5], v2 offset:752
	s_wait_loadcnt_dscnt 0x101
	v_mul_f64_e32 v[72:73], v[8:9], v[100:101]
	v_mul_f64_e32 v[80:81], v[10:11], v[100:101]
	v_add_f64_e32 v[64:65], v[64:65], v[68:69]
	v_add_f64_e32 v[12:13], v[12:13], v[62:63]
	s_wait_loadcnt_dscnt 0x0
	v_mul_f64_e32 v[62:63], v[2:3], v[76:77]
	v_mul_f64_e32 v[68:69], v[4:5], v[76:77]
	v_fmac_f64_e32 v[72:73], v[10:11], v[98:99]
	v_fma_f64 v[8:9], v[8:9], v[98:99], -v[80:81]
	v_add_f64_e32 v[10:11], v[64:65], v[70:71]
	v_add_f64_e32 v[12:13], v[12:13], v[66:67]
	v_fmac_f64_e32 v[62:63], v[4:5], v[74:75]
	v_fma_f64 v[2:3], v[2:3], v[74:75], -v[68:69]
	s_delay_alu instid0(VALU_DEP_4) | instskip(NEXT) | instid1(VALU_DEP_4)
	v_add_f64_e32 v[4:5], v[10:11], v[8:9]
	v_add_f64_e32 v[8:9], v[12:13], v[72:73]
	s_delay_alu instid0(VALU_DEP_2) | instskip(NEXT) | instid1(VALU_DEP_2)
	v_add_f64_e32 v[2:3], v[4:5], v[2:3]
	v_add_f64_e32 v[4:5], v[8:9], v[62:63]
	s_delay_alu instid0(VALU_DEP_2) | instskip(NEXT) | instid1(VALU_DEP_2)
	v_add_f64_e64 v[2:3], v[110:111], -v[2:3]
	v_add_f64_e64 v[4:5], v[112:113], -v[4:5]
	scratch_store_b128 off, v[2:5], off offset:48
	s_wait_xcnt 0x0
	v_cmpx_lt_u32_e32 2, v1
	s_cbranch_execz .LBB87_153
; %bb.152:
	scratch_load_b128 v[2:5], off, s34
	v_mov_b32_e32 v8, 0
	s_delay_alu instid0(VALU_DEP_1)
	v_dual_mov_b32 v9, v8 :: v_dual_mov_b32 v10, v8
	v_mov_b32_e32 v11, v8
	scratch_store_b128 off, v[8:11], off offset:32
	s_wait_loadcnt 0x0
	ds_store_b128 v6, v[2:5]
.LBB87_153:
	s_wait_xcnt 0x0
	s_or_b32 exec_lo, exec_lo, s2
	s_wait_storecnt_dscnt 0x0
	s_barrier_signal -1
	s_barrier_wait -1
	s_clause 0x9
	scratch_load_b128 v[8:11], off, off offset:48
	scratch_load_b128 v[62:65], off, off offset:64
	;; [unrolled: 1-line block ×10, first 2 shown]
	v_mov_b32_e32 v2, 0
	s_mov_b32 s2, exec_lo
	v_dual_ashrrev_i32 v21, 31, v20 :: v_dual_ashrrev_i32 v19, 31, v18
	v_ashrrev_i32_e32 v23, 31, v22
	ds_load_b128 v[98:101], v2 offset:432
	s_clause 0x1
	scratch_load_b128 v[102:105], off, off offset:32
	scratch_load_b128 v[106:109], off, off offset:208
	v_ashrrev_i32_e32 v27, 31, v26
	v_ashrrev_i32_e32 v31, 31, v30
	v_dual_ashrrev_i32 v35, 31, v34 :: v_dual_ashrrev_i32 v25, 31, v24
	v_dual_ashrrev_i32 v29, 31, v28 :: v_dual_ashrrev_i32 v39, 31, v38
	v_ashrrev_i32_e32 v43, 31, v42
	v_dual_ashrrev_i32 v47, 31, v46 :: v_dual_ashrrev_i32 v33, 31, v32
	v_dual_ashrrev_i32 v37, 31, v36 :: v_dual_ashrrev_i32 v51, 31, v50
	;; [unrolled: 1-line block ×4, first 2 shown]
	v_ashrrev_i32_e32 v49, 31, v48
	v_ashrrev_i32_e32 v53, 31, v52
	;; [unrolled: 1-line block ×3, first 2 shown]
	s_wait_loadcnt_dscnt 0xb00
	v_dual_mul_f64 v[4:5], v[100:101], v[10:11] :: v_dual_ashrrev_i32 v61, 31, v60
	v_mul_f64_e32 v[118:119], v[98:99], v[10:11]
	ds_load_b128 v[110:113], v2 offset:448
	scratch_load_b128 v[10:13], off, off offset:224
	s_wait_loadcnt_dscnt 0xb00
	v_mul_f64_e32 v[120:121], v[110:111], v[64:65]
	v_mul_f64_e32 v[64:65], v[112:113], v[64:65]
	v_fma_f64 v[4:5], v[98:99], v[8:9], -v[4:5]
	v_fmac_f64_e32 v[118:119], v[100:101], v[8:9]
	ds_load_b128 v[98:101], v2 offset:464
	ds_load_b128 v[114:117], v2 offset:480
	s_wait_loadcnt_dscnt 0xa01
	v_mul_f64_e32 v[8:9], v[98:99], v[68:69]
	v_mul_f64_e32 v[68:69], v[100:101], v[68:69]
	v_fmac_f64_e32 v[120:121], v[112:113], v[62:63]
	v_fma_f64 v[110:111], v[110:111], v[62:63], -v[64:65]
	scratch_load_b128 v[62:65], off, off offset:240
	v_add_f64_e32 v[4:5], 0, v[4:5]
	v_add_f64_e32 v[112:113], 0, v[118:119]
	s_wait_loadcnt_dscnt 0xa00
	v_mul_f64_e32 v[118:119], v[114:115], v[72:73]
	v_mul_f64_e32 v[72:73], v[116:117], v[72:73]
	v_fmac_f64_e32 v[8:9], v[100:101], v[66:67]
	v_fma_f64 v[122:123], v[98:99], v[66:67], -v[68:69]
	scratch_load_b128 v[66:69], off, off offset:256
	v_add_f64_e32 v[4:5], v[4:5], v[110:111]
	v_add_f64_e32 v[120:121], v[112:113], v[120:121]
	ds_load_b128 v[98:101], v2 offset:496
	ds_load_b128 v[110:113], v2 offset:512
	v_fmac_f64_e32 v[118:119], v[116:117], v[70:71]
	v_fma_f64 v[114:115], v[114:115], v[70:71], -v[72:73]
	scratch_load_b128 v[70:73], off, off offset:272
	s_wait_loadcnt_dscnt 0xb01
	v_mul_f64_e32 v[124:125], v[98:99], v[76:77]
	v_mul_f64_e32 v[76:77], v[100:101], v[76:77]
	v_add_f64_e32 v[4:5], v[4:5], v[122:123]
	v_add_f64_e32 v[8:9], v[120:121], v[8:9]
	s_wait_loadcnt_dscnt 0xa00
	v_mul_f64_e32 v[120:121], v[110:111], v[80:81]
	v_mul_f64_e32 v[80:81], v[112:113], v[80:81]
	v_fmac_f64_e32 v[124:125], v[100:101], v[74:75]
	v_fma_f64 v[122:123], v[98:99], v[74:75], -v[76:77]
	scratch_load_b128 v[74:77], off, off offset:288
	v_add_f64_e32 v[4:5], v[4:5], v[114:115]
	v_add_f64_e32 v[8:9], v[8:9], v[118:119]
	ds_load_b128 v[98:101], v2 offset:528
	ds_load_b128 v[114:117], v2 offset:544
	v_fmac_f64_e32 v[120:121], v[112:113], v[78:79]
	v_fma_f64 v[110:111], v[110:111], v[78:79], -v[80:81]
	scratch_load_b128 v[78:81], off, off offset:304
	s_wait_loadcnt_dscnt 0xb01
	v_mul_f64_e32 v[118:119], v[98:99], v[84:85]
	v_mul_f64_e32 v[84:85], v[100:101], v[84:85]
	v_add_f64_e32 v[4:5], v[4:5], v[122:123]
	v_add_f64_e32 v[8:9], v[8:9], v[124:125]
	s_wait_loadcnt_dscnt 0xa00
	v_mul_f64_e32 v[122:123], v[114:115], v[88:89]
	v_mul_f64_e32 v[88:89], v[116:117], v[88:89]
	v_fmac_f64_e32 v[118:119], v[100:101], v[82:83]
	v_fma_f64 v[124:125], v[98:99], v[82:83], -v[84:85]
	scratch_load_b128 v[82:85], off, off offset:320
	v_add_f64_e32 v[4:5], v[4:5], v[110:111]
	v_add_f64_e32 v[8:9], v[8:9], v[120:121]
	ds_load_b128 v[98:101], v2 offset:560
	ds_load_b128 v[110:113], v2 offset:576
	v_fmac_f64_e32 v[122:123], v[116:117], v[86:87]
	v_fma_f64 v[126:127], v[114:115], v[86:87], -v[88:89]
	s_clause 0x1
	scratch_load_b128 v[86:89], off, off offset:336
	scratch_load_b128 v[114:117], off, off offset:352
	s_wait_loadcnt_dscnt 0xc01
	v_mul_f64_e32 v[120:121], v[98:99], v[92:93]
	v_mul_f64_e32 v[92:93], v[100:101], v[92:93]
	v_add_f64_e32 v[4:5], v[4:5], v[124:125]
	v_add_f64_e32 v[8:9], v[8:9], v[118:119]
	s_wait_loadcnt_dscnt 0xb00
	v_mul_f64_e32 v[118:119], v[110:111], v[96:97]
	v_mul_f64_e32 v[124:125], v[112:113], v[96:97]
	v_fmac_f64_e32 v[120:121], v[100:101], v[90:91]
	v_fma_f64 v[100:101], v[98:99], v[90:91], -v[92:93]
	ds_load_b128 v[90:93], v2 offset:592
	scratch_load_b128 v[96:99], off, off offset:368
	v_add_f64_e32 v[4:5], v[4:5], v[126:127]
	v_add_f64_e32 v[8:9], v[8:9], v[122:123]
	v_fmac_f64_e32 v[118:119], v[112:113], v[94:95]
	v_fma_f64 v[94:95], v[110:111], v[94:95], -v[124:125]
	ds_load_b128 v[110:113], v2 offset:608
	s_wait_loadcnt_dscnt 0xa01
	v_mul_f64_e32 v[122:123], v[90:91], v[108:109]
	v_mul_f64_e32 v[108:109], v[92:93], v[108:109]
	v_add_f64_e32 v[4:5], v[4:5], v[100:101]
	v_add_f64_e32 v[8:9], v[8:9], v[120:121]
	s_wait_loadcnt_dscnt 0x900
	v_mul_f64_e32 v[100:101], v[110:111], v[12:13]
	v_mul_f64_e32 v[12:13], v[112:113], v[12:13]
	v_fmac_f64_e32 v[122:123], v[92:93], v[106:107]
	v_fma_f64 v[120:121], v[90:91], v[106:107], -v[108:109]
	ds_load_b128 v[90:93], v2 offset:624
	ds_load_b128 v[106:109], v2 offset:640
	v_add_f64_e32 v[4:5], v[4:5], v[94:95]
	v_add_f64_e32 v[8:9], v[8:9], v[118:119]
	v_fmac_f64_e32 v[100:101], v[112:113], v[10:11]
	v_fma_f64 v[10:11], v[110:111], v[10:11], -v[12:13]
	s_wait_loadcnt_dscnt 0x801
	v_mul_f64_e32 v[94:95], v[90:91], v[64:65]
	v_mul_f64_e32 v[64:65], v[92:93], v[64:65]
	v_add_f64_e32 v[4:5], v[4:5], v[120:121]
	v_add_f64_e32 v[8:9], v[8:9], v[122:123]
	s_wait_loadcnt_dscnt 0x700
	v_mul_f64_e32 v[12:13], v[106:107], v[68:69]
	v_mul_f64_e32 v[68:69], v[108:109], v[68:69]
	v_fmac_f64_e32 v[94:95], v[92:93], v[62:63]
	v_fma_f64 v[90:91], v[90:91], v[62:63], -v[64:65]
	v_add_f64_e32 v[4:5], v[4:5], v[10:11]
	v_add_f64_e32 v[92:93], v[8:9], v[100:101]
	ds_load_b128 v[8:11], v2 offset:656
	ds_load_b128 v[62:65], v2 offset:672
	s_wait_loadcnt_dscnt 0x601
	v_mul_f64_e32 v[100:101], v[8:9], v[72:73]
	v_mul_f64_e32 v[72:73], v[10:11], v[72:73]
	v_fmac_f64_e32 v[12:13], v[108:109], v[66:67]
	v_fma_f64 v[66:67], v[106:107], v[66:67], -v[68:69]
	v_add_f64_e32 v[4:5], v[4:5], v[90:91]
	v_add_f64_e32 v[68:69], v[92:93], v[94:95]
	v_fmac_f64_e32 v[100:101], v[10:11], v[70:71]
	v_fma_f64 v[70:71], v[8:9], v[70:71], -v[72:73]
	s_wait_loadcnt_dscnt 0x500
	v_mul_f64_e32 v[90:91], v[62:63], v[76:77]
	v_mul_f64_e32 v[76:77], v[64:65], v[76:77]
	v_add_f64_e32 v[4:5], v[4:5], v[66:67]
	v_add_f64_e32 v[12:13], v[68:69], v[12:13]
	ds_load_b128 v[8:11], v2 offset:688
	ds_load_b128 v[66:69], v2 offset:704
	s_wait_loadcnt_dscnt 0x401
	v_mul_f64_e32 v[72:73], v[8:9], v[80:81]
	v_mul_f64_e32 v[80:81], v[10:11], v[80:81]
	v_fmac_f64_e32 v[90:91], v[64:65], v[74:75]
	v_fma_f64 v[62:63], v[62:63], v[74:75], -v[76:77]
	v_add_f64_e32 v[4:5], v[4:5], v[70:71]
	v_add_f64_e32 v[12:13], v[12:13], v[100:101]
	v_fmac_f64_e32 v[72:73], v[10:11], v[78:79]
	v_fma_f64 v[76:77], v[8:9], v[78:79], -v[80:81]
	s_wait_loadcnt_dscnt 0x300
	v_mul_f64_e32 v[70:71], v[66:67], v[84:85]
	v_mul_f64_e32 v[74:75], v[68:69], v[84:85]
	v_add_f64_e32 v[4:5], v[4:5], v[62:63]
	v_add_f64_e32 v[12:13], v[12:13], v[90:91]
	ds_load_b128 v[8:11], v2 offset:720
	ds_load_b128 v[62:65], v2 offset:736
	s_wait_loadcnt_dscnt 0x201
	v_mul_f64_e32 v[78:79], v[8:9], v[88:89]
	v_mul_f64_e32 v[80:81], v[10:11], v[88:89]
	v_fmac_f64_e32 v[70:71], v[68:69], v[82:83]
	v_fma_f64 v[66:67], v[66:67], v[82:83], -v[74:75]
	s_wait_loadcnt_dscnt 0x100
	v_mul_f64_e32 v[68:69], v[62:63], v[116:117]
	v_add_f64_e32 v[4:5], v[4:5], v[76:77]
	v_add_f64_e32 v[12:13], v[12:13], v[72:73]
	v_mul_f64_e32 v[72:73], v[64:65], v[116:117]
	v_fmac_f64_e32 v[78:79], v[10:11], v[86:87]
	v_fma_f64 v[74:75], v[8:9], v[86:87], -v[80:81]
	ds_load_b128 v[8:11], v2 offset:752
	v_fmac_f64_e32 v[68:69], v[64:65], v[114:115]
	v_add_f64_e32 v[4:5], v[4:5], v[66:67]
	v_add_f64_e32 v[12:13], v[12:13], v[70:71]
	v_fma_f64 v[62:63], v[62:63], v[114:115], -v[72:73]
	s_wait_loadcnt_dscnt 0x0
	v_mul_f64_e32 v[66:67], v[8:9], v[98:99]
	v_mul_f64_e32 v[70:71], v[10:11], v[98:99]
	v_add_f64_e32 v[4:5], v[4:5], v[74:75]
	v_add_f64_e32 v[12:13], v[12:13], v[78:79]
	s_delay_alu instid0(VALU_DEP_4) | instskip(NEXT) | instid1(VALU_DEP_4)
	v_fmac_f64_e32 v[66:67], v[10:11], v[96:97]
	v_fma_f64 v[8:9], v[8:9], v[96:97], -v[70:71]
	s_delay_alu instid0(VALU_DEP_4) | instskip(NEXT) | instid1(VALU_DEP_4)
	v_add_f64_e32 v[4:5], v[4:5], v[62:63]
	v_add_f64_e32 v[10:11], v[12:13], v[68:69]
	s_delay_alu instid0(VALU_DEP_2) | instskip(NEXT) | instid1(VALU_DEP_2)
	v_add_f64_e32 v[4:5], v[4:5], v[8:9]
	v_add_f64_e32 v[10:11], v[10:11], v[66:67]
	s_delay_alu instid0(VALU_DEP_2) | instskip(NEXT) | instid1(VALU_DEP_2)
	v_add_f64_e64 v[8:9], v[102:103], -v[4:5]
	v_add_f64_e64 v[10:11], v[104:105], -v[10:11]
	scratch_store_b128 off, v[8:11], off offset:32
	s_wait_xcnt 0x0
	v_cmpx_lt_u32_e32 1, v1
	s_cbranch_execz .LBB87_155
; %bb.154:
	scratch_load_b128 v[8:11], off, s35
	v_dual_mov_b32 v3, v2 :: v_dual_mov_b32 v4, v2
	v_mov_b32_e32 v5, v2
	scratch_store_b128 off, v[2:5], off offset:16
	s_wait_loadcnt 0x0
	ds_store_b128 v6, v[8:11]
.LBB87_155:
	s_wait_xcnt 0x0
	s_or_b32 exec_lo, exec_lo, s2
	s_wait_storecnt_dscnt 0x0
	s_barrier_signal -1
	s_barrier_wait -1
	s_clause 0x9
	scratch_load_b128 v[8:11], off, off offset:32
	scratch_load_b128 v[62:65], off, off offset:48
	;; [unrolled: 1-line block ×10, first 2 shown]
	ds_load_b128 v[98:101], v2 offset:416
	s_clause 0x2
	scratch_load_b128 v[102:105], off, off offset:192
	scratch_load_b128 v[110:113], off, off offset:224
	;; [unrolled: 1-line block ×3, first 2 shown]
	s_mov_b32 s2, exec_lo
	s_wait_loadcnt_dscnt 0xc00
	v_mul_f64_e32 v[4:5], v[100:101], v[10:11]
	v_mul_f64_e32 v[114:115], v[98:99], v[10:11]
	ds_load_b128 v[10:13], v2 offset:432
	v_fma_f64 v[4:5], v[98:99], v[8:9], -v[4:5]
	v_fmac_f64_e32 v[114:115], v[100:101], v[8:9]
	ds_load_b128 v[98:101], v2 offset:448
	s_wait_loadcnt_dscnt 0xb01
	v_mul_f64_e32 v[116:117], v[10:11], v[64:65]
	v_mul_f64_e32 v[64:65], v[12:13], v[64:65]
	s_wait_loadcnt_dscnt 0xa00
	v_mul_f64_e32 v[118:119], v[98:99], v[68:69]
	v_mul_f64_e32 v[68:69], v[100:101], v[68:69]
	v_add_f64_e32 v[4:5], 0, v[4:5]
	v_add_f64_e32 v[114:115], 0, v[114:115]
	v_fmac_f64_e32 v[116:117], v[12:13], v[62:63]
	v_fma_f64 v[12:13], v[10:11], v[62:63], -v[64:65]
	ds_load_b128 v[8:11], v2 offset:464
	scratch_load_b128 v[62:65], off, off offset:240
	v_fmac_f64_e32 v[118:119], v[100:101], v[66:67]
	v_fma_f64 v[122:123], v[98:99], v[66:67], -v[68:69]
	ds_load_b128 v[66:69], v2 offset:480
	s_wait_loadcnt_dscnt 0xa01
	v_mul_f64_e32 v[120:121], v[8:9], v[72:73]
	v_mul_f64_e32 v[72:73], v[10:11], v[72:73]
	scratch_load_b128 v[98:101], off, off offset:256
	v_add_f64_e32 v[4:5], v[4:5], v[12:13]
	v_add_f64_e32 v[12:13], v[114:115], v[116:117]
	s_wait_loadcnt_dscnt 0xa00
	v_mul_f64_e32 v[114:115], v[66:67], v[76:77]
	v_mul_f64_e32 v[76:77], v[68:69], v[76:77]
	v_fmac_f64_e32 v[120:121], v[10:11], v[70:71]
	v_fma_f64 v[116:117], v[8:9], v[70:71], -v[72:73]
	ds_load_b128 v[8:11], v2 offset:496
	scratch_load_b128 v[70:73], off, off offset:272
	v_add_f64_e32 v[4:5], v[4:5], v[122:123]
	v_add_f64_e32 v[12:13], v[12:13], v[118:119]
	v_fmac_f64_e32 v[114:115], v[68:69], v[74:75]
	v_fma_f64 v[122:123], v[66:67], v[74:75], -v[76:77]
	ds_load_b128 v[66:69], v2 offset:512
	s_wait_loadcnt_dscnt 0xa01
	v_mul_f64_e32 v[118:119], v[8:9], v[80:81]
	v_mul_f64_e32 v[80:81], v[10:11], v[80:81]
	scratch_load_b128 v[74:77], off, off offset:288
	v_add_f64_e32 v[4:5], v[4:5], v[116:117]
	v_add_f64_e32 v[12:13], v[12:13], v[120:121]
	s_wait_loadcnt_dscnt 0xa00
	v_mul_f64_e32 v[116:117], v[66:67], v[84:85]
	v_mul_f64_e32 v[84:85], v[68:69], v[84:85]
	v_fmac_f64_e32 v[118:119], v[10:11], v[78:79]
	v_fma_f64 v[120:121], v[8:9], v[78:79], -v[80:81]
	ds_load_b128 v[8:11], v2 offset:528
	scratch_load_b128 v[78:81], off, off offset:304
	v_add_f64_e32 v[4:5], v[4:5], v[122:123]
	v_add_f64_e32 v[12:13], v[12:13], v[114:115]
	;; [unrolled: 18-line block ×4, first 2 shown]
	v_fmac_f64_e32 v[114:115], v[68:69], v[102:103]
	v_fma_f64 v[102:103], v[66:67], v[102:103], -v[104:105]
	ds_load_b128 v[66:69], v2 offset:608
	s_wait_loadcnt_dscnt 0xa00
	v_mul_f64_e32 v[104:105], v[68:69], v[112:113]
	v_add_f64_e32 v[4:5], v[4:5], v[120:121]
	v_add_f64_e32 v[12:13], v[12:13], v[116:117]
	v_mul_f64_e32 v[116:117], v[66:67], v[112:113]
	s_delay_alu instid0(VALU_DEP_3) | instskip(NEXT) | instid1(VALU_DEP_3)
	v_add_f64_e32 v[4:5], v[4:5], v[102:103]
	v_add_f64_e32 v[12:13], v[12:13], v[114:115]
	s_delay_alu instid0(VALU_DEP_3)
	v_fmac_f64_e32 v[116:117], v[68:69], v[110:111]
	v_fma_f64 v[68:69], v[66:67], v[110:111], -v[104:105]
	scratch_load_b128 v[102:105], off, off offset:16
	s_wait_loadcnt 0xa
	v_mul_f64_e32 v[118:119], v[8:9], v[108:109]
	v_mul_f64_e32 v[108:109], v[10:11], v[108:109]
	s_delay_alu instid0(VALU_DEP_2) | instskip(NEXT) | instid1(VALU_DEP_2)
	v_fmac_f64_e32 v[118:119], v[10:11], v[106:107]
	v_fma_f64 v[106:107], v[8:9], v[106:107], -v[108:109]
	ds_load_b128 v[8:11], v2 offset:624
	s_wait_loadcnt_dscnt 0x900
	v_mul_f64_e32 v[108:109], v[8:9], v[64:65]
	v_mul_f64_e32 v[112:113], v[10:11], v[64:65]
	ds_load_b128 v[64:67], v2 offset:640
	v_add_f64_e32 v[12:13], v[12:13], v[118:119]
	v_add_f64_e32 v[4:5], v[4:5], v[106:107]
	v_fmac_f64_e32 v[108:109], v[10:11], v[62:63]
	v_fma_f64 v[62:63], v[8:9], v[62:63], -v[112:113]
	ds_load_b128 v[8:11], v2 offset:656
	s_wait_loadcnt_dscnt 0x801
	v_mul_f64_e32 v[106:107], v[64:65], v[100:101]
	v_mul_f64_e32 v[100:101], v[66:67], v[100:101]
	v_add_f64_e32 v[12:13], v[12:13], v[116:117]
	v_add_f64_e32 v[4:5], v[4:5], v[68:69]
	s_wait_loadcnt_dscnt 0x700
	v_mul_f64_e32 v[68:69], v[8:9], v[72:73]
	v_mul_f64_e32 v[72:73], v[10:11], v[72:73]
	v_fmac_f64_e32 v[106:107], v[66:67], v[98:99]
	v_fma_f64 v[66:67], v[64:65], v[98:99], -v[100:101]
	v_add_f64_e32 v[12:13], v[12:13], v[108:109]
	v_add_f64_e32 v[4:5], v[4:5], v[62:63]
	ds_load_b128 v[62:65], v2 offset:672
	v_fmac_f64_e32 v[68:69], v[10:11], v[70:71]
	v_fma_f64 v[70:71], v[8:9], v[70:71], -v[72:73]
	ds_load_b128 v[8:11], v2 offset:688
	s_wait_loadcnt_dscnt 0x601
	v_mul_f64_e32 v[98:99], v[62:63], v[76:77]
	v_mul_f64_e32 v[76:77], v[64:65], v[76:77]
	v_add_f64_e32 v[12:13], v[12:13], v[106:107]
	v_add_f64_e32 v[4:5], v[4:5], v[66:67]
	s_wait_loadcnt_dscnt 0x500
	v_mul_f64_e32 v[66:67], v[8:9], v[80:81]
	v_mul_f64_e32 v[72:73], v[10:11], v[80:81]
	v_fmac_f64_e32 v[98:99], v[64:65], v[74:75]
	v_fma_f64 v[74:75], v[62:63], v[74:75], -v[76:77]
	ds_load_b128 v[62:65], v2 offset:704
	v_add_f64_e32 v[12:13], v[12:13], v[68:69]
	v_add_f64_e32 v[4:5], v[4:5], v[70:71]
	v_fmac_f64_e32 v[66:67], v[10:11], v[78:79]
	v_fma_f64 v[72:73], v[8:9], v[78:79], -v[72:73]
	ds_load_b128 v[8:11], v2 offset:720
	s_wait_loadcnt_dscnt 0x401
	v_mul_f64_e32 v[68:69], v[62:63], v[84:85]
	v_mul_f64_e32 v[70:71], v[64:65], v[84:85]
	s_wait_loadcnt_dscnt 0x300
	v_mul_f64_e32 v[76:77], v[10:11], v[88:89]
	v_add_f64_e32 v[12:13], v[12:13], v[98:99]
	v_add_f64_e32 v[4:5], v[4:5], v[74:75]
	v_mul_f64_e32 v[74:75], v[8:9], v[88:89]
	v_fmac_f64_e32 v[68:69], v[64:65], v[82:83]
	v_fma_f64 v[70:71], v[62:63], v[82:83], -v[70:71]
	ds_load_b128 v[62:65], v2 offset:736
	v_fma_f64 v[8:9], v[8:9], v[86:87], -v[76:77]
	v_add_f64_e32 v[12:13], v[12:13], v[66:67]
	v_add_f64_e32 v[4:5], v[4:5], v[72:73]
	s_wait_loadcnt_dscnt 0x200
	v_mul_f64_e32 v[66:67], v[62:63], v[92:93]
	v_mul_f64_e32 v[72:73], v[64:65], v[92:93]
	v_fmac_f64_e32 v[74:75], v[10:11], v[86:87]
	v_add_f64_e32 v[12:13], v[12:13], v[68:69]
	v_add_f64_e32 v[10:11], v[4:5], v[70:71]
	ds_load_b128 v[2:5], v2 offset:752
	v_fmac_f64_e32 v[66:67], v[64:65], v[90:91]
	v_fma_f64 v[62:63], v[62:63], v[90:91], -v[72:73]
	s_wait_loadcnt_dscnt 0x100
	v_mul_f64_e32 v[68:69], v[2:3], v[96:97]
	v_mul_f64_e32 v[70:71], v[4:5], v[96:97]
	v_add_f64_e32 v[8:9], v[10:11], v[8:9]
	v_add_f64_e32 v[10:11], v[12:13], v[74:75]
	s_delay_alu instid0(VALU_DEP_4) | instskip(NEXT) | instid1(VALU_DEP_4)
	v_fmac_f64_e32 v[68:69], v[4:5], v[94:95]
	v_fma_f64 v[2:3], v[2:3], v[94:95], -v[70:71]
	s_delay_alu instid0(VALU_DEP_4) | instskip(NEXT) | instid1(VALU_DEP_4)
	v_add_f64_e32 v[4:5], v[8:9], v[62:63]
	v_add_f64_e32 v[8:9], v[10:11], v[66:67]
	s_delay_alu instid0(VALU_DEP_2) | instskip(NEXT) | instid1(VALU_DEP_2)
	v_add_f64_e32 v[2:3], v[4:5], v[2:3]
	v_add_f64_e32 v[4:5], v[8:9], v[68:69]
	s_wait_loadcnt 0x0
	s_delay_alu instid0(VALU_DEP_2) | instskip(NEXT) | instid1(VALU_DEP_2)
	v_add_f64_e64 v[2:3], v[102:103], -v[2:3]
	v_add_f64_e64 v[4:5], v[104:105], -v[4:5]
	scratch_store_b128 off, v[2:5], off offset:16
	s_wait_xcnt 0x0
	v_cmpx_ne_u32_e32 0, v1
	s_cbranch_execz .LBB87_157
; %bb.156:
	scratch_load_b128 v[2:5], off, off
	v_mov_b32_e32 v8, 0
	s_delay_alu instid0(VALU_DEP_1)
	v_dual_mov_b32 v9, v8 :: v_dual_mov_b32 v10, v8
	v_mov_b32_e32 v11, v8
	scratch_store_b128 off, v[8:11], off
	s_wait_loadcnt 0x0
	ds_store_b128 v6, v[2:5]
.LBB87_157:
	s_wait_xcnt 0x0
	s_or_b32 exec_lo, exec_lo, s2
	s_wait_storecnt_dscnt 0x0
	s_barrier_signal -1
	s_barrier_wait -1
	s_clause 0x9
	scratch_load_b128 v[2:5], off, off offset:16
	scratch_load_b128 v[6:9], off, off offset:32
	;; [unrolled: 1-line block ×10, first 2 shown]
	v_mov_b32_e32 v78, 0
	s_and_b32 vcc_lo, exec_lo, s36
	ds_load_b128 v[92:95], v78 offset:400
	s_clause 0x2
	scratch_load_b128 v[96:99], off, off offset:176
	scratch_load_b128 v[100:103], off, off
	scratch_load_b128 v[108:111], off, off offset:192
	s_wait_loadcnt_dscnt 0xc00
	v_mul_f64_e32 v[112:113], v[94:95], v[4:5]
	v_mul_f64_e32 v[116:117], v[92:93], v[4:5]
	ds_load_b128 v[104:107], v78 offset:416
	v_fma_f64 v[120:121], v[92:93], v[2:3], -v[112:113]
	v_fmac_f64_e32 v[116:117], v[94:95], v[2:3]
	ds_load_b128 v[2:5], v78 offset:432
	s_wait_loadcnt_dscnt 0xb01
	v_mul_f64_e32 v[118:119], v[104:105], v[8:9]
	v_mul_f64_e32 v[8:9], v[106:107], v[8:9]
	scratch_load_b128 v[92:95], off, off offset:208
	ds_load_b128 v[112:115], v78 offset:448
	s_wait_loadcnt_dscnt 0xb01
	v_mul_f64_e32 v[122:123], v[2:3], v[12:13]
	v_mul_f64_e32 v[12:13], v[4:5], v[12:13]
	v_add_f64_e32 v[116:117], 0, v[116:117]
	v_fmac_f64_e32 v[118:119], v[106:107], v[6:7]
	v_fma_f64 v[104:105], v[104:105], v[6:7], -v[8:9]
	v_add_f64_e32 v[106:107], 0, v[120:121]
	scratch_load_b128 v[6:9], off, off offset:224
	v_fmac_f64_e32 v[122:123], v[4:5], v[10:11]
	v_fma_f64 v[124:125], v[2:3], v[10:11], -v[12:13]
	ds_load_b128 v[2:5], v78 offset:464
	s_wait_loadcnt_dscnt 0xb01
	v_mul_f64_e32 v[120:121], v[112:113], v[64:65]
	v_mul_f64_e32 v[64:65], v[114:115], v[64:65]
	scratch_load_b128 v[10:13], off, off offset:240
	v_add_f64_e32 v[116:117], v[116:117], v[118:119]
	v_add_f64_e32 v[126:127], v[106:107], v[104:105]
	ds_load_b128 v[104:107], v78 offset:480
	s_wait_loadcnt_dscnt 0xb01
	v_mul_f64_e32 v[118:119], v[2:3], v[68:69]
	v_mul_f64_e32 v[68:69], v[4:5], v[68:69]
	v_fmac_f64_e32 v[120:121], v[114:115], v[62:63]
	v_fma_f64 v[112:113], v[112:113], v[62:63], -v[64:65]
	scratch_load_b128 v[62:65], off, off offset:256
	v_add_f64_e32 v[116:117], v[116:117], v[122:123]
	v_add_f64_e32 v[114:115], v[126:127], v[124:125]
	v_fmac_f64_e32 v[118:119], v[4:5], v[66:67]
	v_fma_f64 v[124:125], v[2:3], v[66:67], -v[68:69]
	ds_load_b128 v[2:5], v78 offset:496
	s_wait_loadcnt_dscnt 0xb01
	v_mul_f64_e32 v[122:123], v[104:105], v[72:73]
	v_mul_f64_e32 v[72:73], v[106:107], v[72:73]
	scratch_load_b128 v[66:69], off, off offset:272
	v_add_f64_e32 v[116:117], v[116:117], v[120:121]
	s_wait_loadcnt_dscnt 0xb00
	v_mul_f64_e32 v[120:121], v[2:3], v[76:77]
	v_add_f64_e32 v[126:127], v[114:115], v[112:113]
	v_mul_f64_e32 v[76:77], v[4:5], v[76:77]
	ds_load_b128 v[112:115], v78 offset:512
	v_fmac_f64_e32 v[122:123], v[106:107], v[70:71]
	v_fma_f64 v[104:105], v[104:105], v[70:71], -v[72:73]
	scratch_load_b128 v[70:73], off, off offset:288
	v_add_f64_e32 v[116:117], v[116:117], v[118:119]
	v_fmac_f64_e32 v[120:121], v[4:5], v[74:75]
	v_add_f64_e32 v[106:107], v[126:127], v[124:125]
	v_fma_f64 v[124:125], v[2:3], v[74:75], -v[76:77]
	ds_load_b128 v[2:5], v78 offset:528
	s_wait_loadcnt_dscnt 0xb01
	v_mul_f64_e32 v[118:119], v[112:113], v[82:83]
	v_mul_f64_e32 v[82:83], v[114:115], v[82:83]
	scratch_load_b128 v[74:77], off, off offset:304
	v_add_f64_e32 v[116:117], v[116:117], v[122:123]
	s_wait_loadcnt_dscnt 0xb00
	v_mul_f64_e32 v[122:123], v[2:3], v[86:87]
	v_add_f64_e32 v[126:127], v[106:107], v[104:105]
	v_mul_f64_e32 v[86:87], v[4:5], v[86:87]
	ds_load_b128 v[104:107], v78 offset:544
	v_fmac_f64_e32 v[118:119], v[114:115], v[80:81]
	v_fma_f64 v[112:113], v[112:113], v[80:81], -v[82:83]
	scratch_load_b128 v[80:83], off, off offset:320
	v_add_f64_e32 v[116:117], v[116:117], v[120:121]
	v_fmac_f64_e32 v[122:123], v[4:5], v[84:85]
	v_add_f64_e32 v[114:115], v[126:127], v[124:125]
	;; [unrolled: 18-line block ×3, first 2 shown]
	v_fma_f64 v[124:125], v[2:3], v[96:97], -v[98:99]
	ds_load_b128 v[2:5], v78 offset:592
	s_wait_loadcnt_dscnt 0xa01
	v_mul_f64_e32 v[122:123], v[112:113], v[110:111]
	v_mul_f64_e32 v[110:111], v[114:115], v[110:111]
	scratch_load_b128 v[96:99], off, off offset:368
	v_add_f64_e32 v[116:117], v[116:117], v[120:121]
	v_add_f64_e32 v[126:127], v[106:107], v[104:105]
	s_wait_loadcnt_dscnt 0xa00
	v_mul_f64_e32 v[120:121], v[2:3], v[94:95]
	v_mul_f64_e32 v[94:95], v[4:5], v[94:95]
	v_fmac_f64_e32 v[122:123], v[114:115], v[108:109]
	v_fma_f64 v[108:109], v[112:113], v[108:109], -v[110:111]
	ds_load_b128 v[104:107], v78 offset:608
	v_add_f64_e32 v[112:113], v[116:117], v[118:119]
	v_add_f64_e32 v[110:111], v[126:127], v[124:125]
	s_wait_loadcnt_dscnt 0x900
	v_mul_f64_e32 v[114:115], v[104:105], v[8:9]
	v_mul_f64_e32 v[8:9], v[106:107], v[8:9]
	v_fmac_f64_e32 v[120:121], v[4:5], v[92:93]
	v_fma_f64 v[116:117], v[2:3], v[92:93], -v[94:95]
	ds_load_b128 v[2:5], v78 offset:624
	ds_load_b128 v[92:95], v78 offset:640
	v_add_f64_e32 v[108:109], v[110:111], v[108:109]
	v_add_f64_e32 v[110:111], v[112:113], v[122:123]
	s_wait_loadcnt_dscnt 0x801
	v_mul_f64_e32 v[112:113], v[2:3], v[12:13]
	v_mul_f64_e32 v[12:13], v[4:5], v[12:13]
	v_fmac_f64_e32 v[114:115], v[106:107], v[6:7]
	v_fma_f64 v[6:7], v[104:105], v[6:7], -v[8:9]
	s_wait_loadcnt_dscnt 0x700
	v_mul_f64_e32 v[106:107], v[92:93], v[64:65]
	v_mul_f64_e32 v[64:65], v[94:95], v[64:65]
	v_add_f64_e32 v[8:9], v[108:109], v[116:117]
	v_add_f64_e32 v[104:105], v[110:111], v[120:121]
	v_fmac_f64_e32 v[112:113], v[4:5], v[10:11]
	v_fma_f64 v[10:11], v[2:3], v[10:11], -v[12:13]
	v_fmac_f64_e32 v[106:107], v[94:95], v[62:63]
	v_fma_f64 v[62:63], v[92:93], v[62:63], -v[64:65]
	v_add_f64_e32 v[12:13], v[8:9], v[6:7]
	v_add_f64_e32 v[104:105], v[104:105], v[114:115]
	ds_load_b128 v[2:5], v78 offset:656
	ds_load_b128 v[6:9], v78 offset:672
	s_wait_loadcnt_dscnt 0x601
	v_mul_f64_e32 v[108:109], v[2:3], v[68:69]
	v_mul_f64_e32 v[68:69], v[4:5], v[68:69]
	s_wait_loadcnt_dscnt 0x500
	v_mul_f64_e32 v[64:65], v[6:7], v[72:73]
	v_mul_f64_e32 v[72:73], v[8:9], v[72:73]
	v_add_f64_e32 v[10:11], v[12:13], v[10:11]
	v_add_f64_e32 v[12:13], v[104:105], v[112:113]
	v_fmac_f64_e32 v[108:109], v[4:5], v[66:67]
	v_fma_f64 v[66:67], v[2:3], v[66:67], -v[68:69]
	v_fmac_f64_e32 v[64:65], v[8:9], v[70:71]
	v_fma_f64 v[6:7], v[6:7], v[70:71], -v[72:73]
	v_add_f64_e32 v[62:63], v[10:11], v[62:63]
	v_add_f64_e32 v[68:69], v[12:13], v[106:107]
	ds_load_b128 v[2:5], v78 offset:688
	ds_load_b128 v[10:13], v78 offset:704
	s_wait_loadcnt_dscnt 0x401
	v_mul_f64_e32 v[92:93], v[2:3], v[76:77]
	v_mul_f64_e32 v[76:77], v[4:5], v[76:77]
	v_add_f64_e32 v[8:9], v[62:63], v[66:67]
	v_add_f64_e32 v[62:63], v[68:69], v[108:109]
	s_wait_loadcnt_dscnt 0x300
	v_mul_f64_e32 v[66:67], v[10:11], v[82:83]
	v_mul_f64_e32 v[68:69], v[12:13], v[82:83]
	v_fmac_f64_e32 v[92:93], v[4:5], v[74:75]
	v_fma_f64 v[70:71], v[2:3], v[74:75], -v[76:77]
	v_lshl_add_u64 v[76:77], v[18:19], 4, s[4:5]
	v_lshl_add_u64 v[18:19], v[48:49], 4, s[4:5]
	v_add_f64_e32 v[72:73], v[8:9], v[6:7]
	v_add_f64_e32 v[62:63], v[62:63], v[64:65]
	ds_load_b128 v[2:5], v78 offset:720
	ds_load_b128 v[6:9], v78 offset:736
	v_fmac_f64_e32 v[66:67], v[12:13], v[80:81]
	v_fma_f64 v[10:11], v[10:11], v[80:81], -v[68:69]
	s_wait_loadcnt_dscnt 0x201
	v_mul_f64_e32 v[64:65], v[2:3], v[86:87]
	v_mul_f64_e32 v[74:75], v[4:5], v[86:87]
	s_wait_loadcnt_dscnt 0x100
	v_mul_f64_e32 v[68:69], v[6:7], v[90:91]
	v_add_f64_e32 v[12:13], v[72:73], v[70:71]
	v_add_f64_e32 v[62:63], v[62:63], v[92:93]
	v_mul_f64_e32 v[70:71], v[8:9], v[90:91]
	v_fmac_f64_e32 v[64:65], v[4:5], v[84:85]
	v_fma_f64 v[72:73], v[2:3], v[84:85], -v[74:75]
	ds_load_b128 v[2:5], v78 offset:752
	v_fmac_f64_e32 v[68:69], v[8:9], v[88:89]
	v_lshl_add_u64 v[74:75], v[20:21], 4, s[4:5]
	v_lshl_add_u64 v[20:21], v[46:47], 4, s[4:5]
	v_add_f64_e32 v[10:11], v[12:13], v[10:11]
	v_add_f64_e32 v[12:13], v[62:63], v[66:67]
	v_fma_f64 v[6:7], v[6:7], v[88:89], -v[70:71]
	v_lshl_add_u64 v[70:71], v[24:25], 4, s[4:5]
	v_lshl_add_u64 v[24:25], v[42:43], 4, s[4:5]
	s_wait_loadcnt_dscnt 0x0
	v_mul_f64_e32 v[62:63], v[2:3], v[98:99]
	v_mul_f64_e32 v[66:67], v[4:5], v[98:99]
	v_add_f64_e32 v[8:9], v[10:11], v[72:73]
	v_add_f64_e32 v[10:11], v[12:13], v[64:65]
	v_lshl_add_u64 v[72:73], v[22:23], 4, s[4:5]
	v_lshl_add_u64 v[64:65], v[30:31], 4, s[4:5]
	;; [unrolled: 1-line block ×5, first 2 shown]
	v_fmac_f64_e32 v[62:63], v[4:5], v[96:97]
	v_fma_f64 v[2:3], v[2:3], v[96:97], -v[66:67]
	v_lshl_add_u64 v[66:67], v[28:29], 4, s[4:5]
	v_lshl_add_u64 v[28:29], v[38:39], 4, s[4:5]
	v_add_f64_e32 v[4:5], v[8:9], v[6:7]
	v_add_f64_e32 v[6:7], v[10:11], v[68:69]
	v_lshl_add_u64 v[68:69], v[26:27], 4, s[4:5]
	v_lshl_add_u64 v[26:27], v[40:41], 4, s[4:5]
	;; [unrolled: 1-line block ×4, first 2 shown]
	v_add_f64_e32 v[2:3], v[4:5], v[2:3]
	v_add_f64_e32 v[4:5], v[6:7], v[62:63]
	v_lshl_add_u64 v[62:63], v[32:33], 4, s[4:5]
	v_lshl_add_u64 v[32:33], v[34:35], 4, s[4:5]
	;; [unrolled: 1-line block ×3, first 2 shown]
	v_add_f64_e64 v[80:81], v[100:101], -v[2:3]
	v_add_f64_e64 v[82:83], v[102:103], -v[4:5]
	v_lshl_add_u64 v[4:5], v[58:59], 4, s[4:5]
	v_lshl_add_u64 v[2:3], v[60:61], 4, s[4:5]
	scratch_store_b128 off, v[80:83], off
	s_cbranch_vccz .LBB87_204
; %bb.158:
	global_load_b32 v34, v78, s[8:9] offset:88
	s_load_b64 s[2:3], s[0:1], 0x4
	v_bfe_u32 v35, v0, 10, 10
	v_bfe_u32 v0, v0, 20, 10
	s_wait_kmcnt 0x0
	s_lshr_b32 s0, s2, 16
	s_delay_alu instid0(VALU_DEP_2) | instskip(SKIP_1) | instid1(SALU_CYCLE_1)
	v_mul_u32_u24_e32 v35, s3, v35
	s_mul_i32 s0, s0, s3
	v_mul_u32_u24_e32 v1, s0, v1
	s_delay_alu instid0(VALU_DEP_1) | instskip(NEXT) | instid1(VALU_DEP_1)
	v_add3_u32 v0, v1, v35, v0
	v_lshl_add_u32 v0, v0, 4, 0x308
	s_wait_loadcnt 0x0
	v_cmp_ne_u32_e32 vcc_lo, 23, v34
	s_cbranch_vccz .LBB87_160
; %bb.159:
	v_lshlrev_b32_e32 v1, 4, v34
	s_clause 0x1
	scratch_load_b128 v[34:37], off, s33
	scratch_load_b128 v[38:41], v1, off offset:-16
	s_wait_loadcnt 0x1
	ds_store_2addr_b64 v0, v[34:35], v[36:37] offset1:1
	s_wait_loadcnt 0x0
	s_clause 0x1
	scratch_store_b128 off, v[38:41], s33
	scratch_store_b128 v1, v[34:37], off offset:-16
.LBB87_160:
	s_wait_xcnt 0x0
	v_mov_b32_e32 v1, 0
	global_load_b32 v34, v1, s[8:9] offset:84
	s_wait_loadcnt 0x0
	v_cmp_eq_u32_e32 vcc_lo, 22, v34
	s_cbranch_vccnz .LBB87_162
; %bb.161:
	v_lshlrev_b32_e32 v34, 4, v34
	s_delay_alu instid0(VALU_DEP_1)
	v_mov_b32_e32 v42, v34
	s_clause 0x1
	scratch_load_b128 v[34:37], off, s20
	scratch_load_b128 v[38:41], v42, off offset:-16
	s_wait_loadcnt 0x1
	ds_store_2addr_b64 v0, v[34:35], v[36:37] offset1:1
	s_wait_loadcnt 0x0
	s_clause 0x1
	scratch_store_b128 off, v[38:41], s20
	scratch_store_b128 v42, v[34:37], off offset:-16
.LBB87_162:
	global_load_b32 v1, v1, s[8:9] offset:80
	s_wait_loadcnt 0x0
	v_cmp_eq_u32_e32 vcc_lo, 21, v1
	s_cbranch_vccnz .LBB87_164
; %bb.163:
	s_wait_xcnt 0x0
	v_lshlrev_b32_e32 v1, 4, v1
	s_clause 0x1
	scratch_load_b128 v[34:37], off, s31
	scratch_load_b128 v[38:41], v1, off offset:-16
	s_wait_loadcnt 0x1
	ds_store_2addr_b64 v0, v[34:35], v[36:37] offset1:1
	s_wait_loadcnt 0x0
	s_clause 0x1
	scratch_store_b128 off, v[38:41], s31
	scratch_store_b128 v1, v[34:37], off offset:-16
.LBB87_164:
	s_wait_xcnt 0x0
	v_mov_b32_e32 v1, 0
	global_load_b32 v34, v1, s[8:9] offset:76
	s_wait_loadcnt 0x0
	v_cmp_eq_u32_e32 vcc_lo, 20, v34
	s_cbranch_vccnz .LBB87_166
; %bb.165:
	v_lshlrev_b32_e32 v34, 4, v34
	s_delay_alu instid0(VALU_DEP_1)
	v_mov_b32_e32 v42, v34
	s_clause 0x1
	scratch_load_b128 v[34:37], off, s19
	scratch_load_b128 v[38:41], v42, off offset:-16
	s_wait_loadcnt 0x1
	ds_store_2addr_b64 v0, v[34:35], v[36:37] offset1:1
	s_wait_loadcnt 0x0
	s_clause 0x1
	scratch_store_b128 off, v[38:41], s19
	scratch_store_b128 v42, v[34:37], off offset:-16
.LBB87_166:
	global_load_b32 v1, v1, s[8:9] offset:72
	s_wait_loadcnt 0x0
	v_cmp_eq_u32_e32 vcc_lo, 19, v1
	s_cbranch_vccnz .LBB87_168
; %bb.167:
	s_wait_xcnt 0x0
	v_lshlrev_b32_e32 v1, 4, v1
	s_clause 0x1
	scratch_load_b128 v[34:37], off, s30
	scratch_load_b128 v[38:41], v1, off offset:-16
	s_wait_loadcnt 0x1
	ds_store_2addr_b64 v0, v[34:35], v[36:37] offset1:1
	s_wait_loadcnt 0x0
	s_clause 0x1
	scratch_store_b128 off, v[38:41], s30
	scratch_store_b128 v1, v[34:37], off offset:-16
.LBB87_168:
	;; [unrolled: 37-line block ×10, first 2 shown]
	s_wait_xcnt 0x0
	v_mov_b32_e32 v1, 0
	global_load_b32 v34, v1, s[8:9] offset:4
	s_wait_loadcnt 0x0
	v_cmp_eq_u32_e32 vcc_lo, 2, v34
	s_cbranch_vccnz .LBB87_202
; %bb.201:
	v_lshlrev_b32_e32 v34, 4, v34
	s_delay_alu instid0(VALU_DEP_1)
	v_mov_b32_e32 v42, v34
	s_clause 0x1
	scratch_load_b128 v[34:37], off, s35
	scratch_load_b128 v[38:41], v42, off offset:-16
	s_wait_loadcnt 0x1
	ds_store_2addr_b64 v0, v[34:35], v[36:37] offset1:1
	s_wait_loadcnt 0x0
	s_clause 0x1
	scratch_store_b128 off, v[38:41], s35
	scratch_store_b128 v42, v[34:37], off offset:-16
.LBB87_202:
	global_load_b32 v1, v1, s[8:9]
	s_wait_loadcnt 0x0
	v_cmp_eq_u32_e32 vcc_lo, 1, v1
	s_cbranch_vccnz .LBB87_204
; %bb.203:
	s_wait_xcnt 0x0
	v_lshlrev_b32_e32 v1, 4, v1
	scratch_load_b128 v[34:37], off, off
	scratch_load_b128 v[38:41], v1, off offset:-16
	s_wait_loadcnt 0x1
	ds_store_2addr_b64 v0, v[34:35], v[36:37] offset1:1
	s_wait_loadcnt 0x0
	scratch_store_b128 off, v[38:41], off
	scratch_store_b128 v1, v[34:37], off offset:-16
.LBB87_204:
	scratch_load_b128 v[34:37], off, off
	s_wait_loadcnt 0x0
	flat_store_b128 v[14:15], v[34:37]
	scratch_load_b128 v[34:37], off, s35
	s_wait_loadcnt 0x0
	flat_store_b128 v[16:17], v[34:37]
	scratch_load_b128 v[14:17], off, s34
	;; [unrolled: 3-line block ×23, first 2 shown]
	s_wait_loadcnt 0x0
	flat_store_b128 v[2:3], v[4:7]
	s_sendmsg sendmsg(MSG_DEALLOC_VGPRS)
	s_endpgm
	.section	.rodata,"a",@progbits
	.p2align	6, 0x0
	.amdhsa_kernel _ZN9rocsolver6v33100L18getri_kernel_smallILi24E19rocblas_complex_numIdEPKPS3_EEvT1_iilPiilS8_bb
		.amdhsa_group_segment_fixed_size 1800
		.amdhsa_private_segment_fixed_size 400
		.amdhsa_kernarg_size 60
		.amdhsa_user_sgpr_count 4
		.amdhsa_user_sgpr_dispatch_ptr 1
		.amdhsa_user_sgpr_queue_ptr 0
		.amdhsa_user_sgpr_kernarg_segment_ptr 1
		.amdhsa_user_sgpr_dispatch_id 0
		.amdhsa_user_sgpr_kernarg_preload_length 0
		.amdhsa_user_sgpr_kernarg_preload_offset 0
		.amdhsa_user_sgpr_private_segment_size 0
		.amdhsa_wavefront_size32 1
		.amdhsa_uses_dynamic_stack 0
		.amdhsa_enable_private_segment 1
		.amdhsa_system_sgpr_workgroup_id_x 1
		.amdhsa_system_sgpr_workgroup_id_y 0
		.amdhsa_system_sgpr_workgroup_id_z 0
		.amdhsa_system_sgpr_workgroup_info 0
		.amdhsa_system_vgpr_workitem_id 2
		.amdhsa_next_free_vgpr 130
		.amdhsa_next_free_sgpr 40
		.amdhsa_named_barrier_count 0
		.amdhsa_reserve_vcc 1
		.amdhsa_float_round_mode_32 0
		.amdhsa_float_round_mode_16_64 0
		.amdhsa_float_denorm_mode_32 3
		.amdhsa_float_denorm_mode_16_64 3
		.amdhsa_fp16_overflow 0
		.amdhsa_memory_ordered 1
		.amdhsa_forward_progress 1
		.amdhsa_inst_pref_size 231
		.amdhsa_round_robin_scheduling 0
		.amdhsa_exception_fp_ieee_invalid_op 0
		.amdhsa_exception_fp_denorm_src 0
		.amdhsa_exception_fp_ieee_div_zero 0
		.amdhsa_exception_fp_ieee_overflow 0
		.amdhsa_exception_fp_ieee_underflow 0
		.amdhsa_exception_fp_ieee_inexact 0
		.amdhsa_exception_int_div_zero 0
	.end_amdhsa_kernel
	.section	.text._ZN9rocsolver6v33100L18getri_kernel_smallILi24E19rocblas_complex_numIdEPKPS3_EEvT1_iilPiilS8_bb,"axG",@progbits,_ZN9rocsolver6v33100L18getri_kernel_smallILi24E19rocblas_complex_numIdEPKPS3_EEvT1_iilPiilS8_bb,comdat
.Lfunc_end87:
	.size	_ZN9rocsolver6v33100L18getri_kernel_smallILi24E19rocblas_complex_numIdEPKPS3_EEvT1_iilPiilS8_bb, .Lfunc_end87-_ZN9rocsolver6v33100L18getri_kernel_smallILi24E19rocblas_complex_numIdEPKPS3_EEvT1_iilPiilS8_bb
                                        ; -- End function
	.set _ZN9rocsolver6v33100L18getri_kernel_smallILi24E19rocblas_complex_numIdEPKPS3_EEvT1_iilPiilS8_bb.num_vgpr, 130
	.set _ZN9rocsolver6v33100L18getri_kernel_smallILi24E19rocblas_complex_numIdEPKPS3_EEvT1_iilPiilS8_bb.num_agpr, 0
	.set _ZN9rocsolver6v33100L18getri_kernel_smallILi24E19rocblas_complex_numIdEPKPS3_EEvT1_iilPiilS8_bb.numbered_sgpr, 40
	.set _ZN9rocsolver6v33100L18getri_kernel_smallILi24E19rocblas_complex_numIdEPKPS3_EEvT1_iilPiilS8_bb.num_named_barrier, 0
	.set _ZN9rocsolver6v33100L18getri_kernel_smallILi24E19rocblas_complex_numIdEPKPS3_EEvT1_iilPiilS8_bb.private_seg_size, 400
	.set _ZN9rocsolver6v33100L18getri_kernel_smallILi24E19rocblas_complex_numIdEPKPS3_EEvT1_iilPiilS8_bb.uses_vcc, 1
	.set _ZN9rocsolver6v33100L18getri_kernel_smallILi24E19rocblas_complex_numIdEPKPS3_EEvT1_iilPiilS8_bb.uses_flat_scratch, 1
	.set _ZN9rocsolver6v33100L18getri_kernel_smallILi24E19rocblas_complex_numIdEPKPS3_EEvT1_iilPiilS8_bb.has_dyn_sized_stack, 0
	.set _ZN9rocsolver6v33100L18getri_kernel_smallILi24E19rocblas_complex_numIdEPKPS3_EEvT1_iilPiilS8_bb.has_recursion, 0
	.set _ZN9rocsolver6v33100L18getri_kernel_smallILi24E19rocblas_complex_numIdEPKPS3_EEvT1_iilPiilS8_bb.has_indirect_call, 0
	.section	.AMDGPU.csdata,"",@progbits
; Kernel info:
; codeLenInByte = 29548
; TotalNumSgprs: 42
; NumVgprs: 130
; ScratchSize: 400
; MemoryBound: 0
; FloatMode: 240
; IeeeMode: 1
; LDSByteSize: 1800 bytes/workgroup (compile time only)
; SGPRBlocks: 0
; VGPRBlocks: 8
; NumSGPRsForWavesPerEU: 42
; NumVGPRsForWavesPerEU: 130
; NamedBarCnt: 0
; Occupancy: 7
; WaveLimiterHint : 1
; COMPUTE_PGM_RSRC2:SCRATCH_EN: 1
; COMPUTE_PGM_RSRC2:USER_SGPR: 4
; COMPUTE_PGM_RSRC2:TRAP_HANDLER: 0
; COMPUTE_PGM_RSRC2:TGID_X_EN: 1
; COMPUTE_PGM_RSRC2:TGID_Y_EN: 0
; COMPUTE_PGM_RSRC2:TGID_Z_EN: 0
; COMPUTE_PGM_RSRC2:TIDIG_COMP_CNT: 2
	.section	.text._ZN9rocsolver6v33100L18getri_kernel_smallILi25E19rocblas_complex_numIdEPKPS3_EEvT1_iilPiilS8_bb,"axG",@progbits,_ZN9rocsolver6v33100L18getri_kernel_smallILi25E19rocblas_complex_numIdEPKPS3_EEvT1_iilPiilS8_bb,comdat
	.globl	_ZN9rocsolver6v33100L18getri_kernel_smallILi25E19rocblas_complex_numIdEPKPS3_EEvT1_iilPiilS8_bb ; -- Begin function _ZN9rocsolver6v33100L18getri_kernel_smallILi25E19rocblas_complex_numIdEPKPS3_EEvT1_iilPiilS8_bb
	.p2align	8
	.type	_ZN9rocsolver6v33100L18getri_kernel_smallILi25E19rocblas_complex_numIdEPKPS3_EEvT1_iilPiilS8_bb,@function
_ZN9rocsolver6v33100L18getri_kernel_smallILi25E19rocblas_complex_numIdEPKPS3_EEvT1_iilPiilS8_bb: ; @_ZN9rocsolver6v33100L18getri_kernel_smallILi25E19rocblas_complex_numIdEPKPS3_EEvT1_iilPiilS8_bb
; %bb.0:
	v_and_b32_e32 v1, 0x3ff, v0
	s_mov_b32 s4, exec_lo
	s_delay_alu instid0(VALU_DEP_1)
	v_cmpx_gt_u32_e32 25, v1
	s_cbranch_execz .LBB88_114
; %bb.1:
	s_clause 0x1
	s_load_b32 s16, s[2:3], 0x38
	s_load_b64 s[8:9], s[2:3], 0x0
	s_getreg_b32 s6, hwreg(HW_REG_IB_STS2, 6, 4)
	s_wait_kmcnt 0x0
	s_bitcmp1_b32 s16, 8
	s_cselect_b32 s37, -1, 0
	s_bfe_u32 s4, ttmp6, 0x4000c
	s_and_b32 s5, ttmp6, 15
	s_add_co_i32 s4, s4, 1
	s_delay_alu instid0(SALU_CYCLE_1) | instskip(NEXT) | instid1(SALU_CYCLE_1)
	s_mul_i32 s4, ttmp9, s4
	s_add_co_i32 s5, s5, s4
	s_cmp_eq_u32 s6, 0
	s_cselect_b32 s10, ttmp9, s5
	s_load_b128 s[4:7], s[2:3], 0x28
	s_ashr_i32 s11, s10, 31
	s_delay_alu instid0(SALU_CYCLE_1) | instskip(NEXT) | instid1(SALU_CYCLE_1)
	s_lshl_b64 s[12:13], s[10:11], 3
	s_add_nc_u64 s[8:9], s[8:9], s[12:13]
	s_load_b64 s[14:15], s[8:9], 0x0
	s_wait_xcnt 0x0
	s_bfe_u32 s8, s16, 0x10008
	s_delay_alu instid0(SALU_CYCLE_1)
	s_cmp_eq_u32 s8, 0
                                        ; implicit-def: $sgpr8_sgpr9
	s_cbranch_scc1 .LBB88_3
; %bb.2:
	s_load_b96 s[16:18], s[2:3], 0x18
	s_wait_kmcnt 0x0
	s_mul_u64 s[4:5], s[4:5], s[10:11]
	s_delay_alu instid0(SALU_CYCLE_1) | instskip(SKIP_4) | instid1(SALU_CYCLE_1)
	s_lshl_b64 s[4:5], s[4:5], 2
	s_ashr_i32 s9, s18, 31
	s_mov_b32 s8, s18
	s_add_nc_u64 s[4:5], s[16:17], s[4:5]
	s_lshl_b64 s[8:9], s[8:9], 2
	s_add_nc_u64 s[8:9], s[4:5], s[8:9]
.LBB88_3:
	s_clause 0x1
	s_load_b64 s[12:13], s[2:3], 0x8
	s_load_b32 s38, s[2:3], 0x38
	v_dual_mov_b32 v65, 0 :: v_dual_lshlrev_b32 v64, 4, v1
	s_mov_b32 s36, 16
	s_mov_b32 s35, 32
	;; [unrolled: 1-line block ×3, first 2 shown]
	s_movk_i32 s24, 0x50
	s_movk_i32 s25, 0x70
	;; [unrolled: 1-line block ×13, first 2 shown]
	s_wait_kmcnt 0x0
	s_ashr_i32 s3, s12, 31
	s_mov_b32 s2, s12
	v_add3_u32 v18, s13, s13, v1
	s_lshl_b64 s[2:3], s[2:3], 4
	s_mov_b32 s12, 64
	s_add_nc_u64 s[4:5], s[14:15], s[2:3]
	s_ashr_i32 s3, s13, 31
	flat_load_b128 v[2:5], v1, s[4:5] scale_offset
	v_add_nc_u64_e32 v[14:15], s[4:5], v[64:65]
	s_mov_b32 s2, s13
	v_add_nc_u32_e32 v20, s13, v18
	s_movk_i32 s14, 0x80
	s_movk_i32 s15, 0xa0
	;; [unrolled: 1-line block ×4, first 2 shown]
	v_lshl_add_u64 v[16:17], s[2:3], 4, v[14:15]
	v_add_nc_u32_e32 v22, s13, v20
	s_movk_i32 s34, 0x170
	s_movk_i32 s22, 0x180
	s_bitcmp0_b32 s38, 0
	s_mov_b32 s3, -1
	v_add_nc_u32_e32 v24, s13, v22
	s_delay_alu instid0(VALU_DEP_1) | instskip(NEXT) | instid1(VALU_DEP_1)
	v_add_nc_u32_e32 v26, s13, v24
	v_add_nc_u32_e32 v28, s13, v26
	s_delay_alu instid0(VALU_DEP_1) | instskip(NEXT) | instid1(VALU_DEP_1)
	v_add_nc_u32_e32 v30, s13, v28
	;; [unrolled: 3-line block ×9, first 2 shown]
	v_add_nc_u32_e32 v60, s13, v58
	s_delay_alu instid0(VALU_DEP_1)
	v_add_nc_u32_e32 v62, s13, v60
	s_movk_i32 s13, 0x60
	s_wait_loadcnt_dscnt 0x0
	scratch_store_b128 off, v[2:5], off
	flat_load_b128 v[2:5], v[16:17]
	s_wait_loadcnt_dscnt 0x0
	scratch_store_b128 off, v[2:5], off offset:16
	flat_load_b128 v[2:5], v18, s[4:5] scale_offset
	s_wait_loadcnt_dscnt 0x0
	scratch_store_b128 off, v[2:5], off offset:32
	flat_load_b128 v[2:5], v20, s[4:5] scale_offset
	;; [unrolled: 3-line block ×23, first 2 shown]
	s_wait_loadcnt_dscnt 0x0
	scratch_store_b128 off, v[2:5], off offset:384
	s_cbranch_scc1 .LBB88_112
; %bb.4:
	v_cmp_eq_u32_e64 s2, 0, v1
	s_wait_xcnt 0x0
	s_and_saveexec_b32 s3, s2
; %bb.5:
	v_mov_b32_e32 v2, 0
	ds_store_b32 v2, v2 offset:800
; %bb.6:
	s_or_b32 exec_lo, exec_lo, s3
	s_wait_storecnt_dscnt 0x0
	s_barrier_signal -1
	s_barrier_wait -1
	scratch_load_b128 v[2:5], v1, off scale_offset
	s_wait_loadcnt 0x0
	v_cmp_eq_f64_e32 vcc_lo, 0, v[2:3]
	v_cmp_eq_f64_e64 s3, 0, v[4:5]
	s_and_b32 s3, vcc_lo, s3
	s_delay_alu instid0(SALU_CYCLE_1)
	s_and_saveexec_b32 s38, s3
	s_cbranch_execz .LBB88_10
; %bb.7:
	v_mov_b32_e32 v2, 0
	s_mov_b32 s39, 0
	ds_load_b32 v3, v2 offset:800
	s_wait_dscnt 0x0
	v_readfirstlane_b32 s3, v3
	v_add_nc_u32_e32 v3, 1, v1
	s_cmp_eq_u32 s3, 0
	s_delay_alu instid0(VALU_DEP_1) | instskip(SKIP_1) | instid1(SALU_CYCLE_1)
	v_cmp_gt_i32_e32 vcc_lo, s3, v3
	s_cselect_b32 s40, -1, 0
	s_or_b32 s40, s40, vcc_lo
	s_delay_alu instid0(SALU_CYCLE_1)
	s_and_b32 exec_lo, exec_lo, s40
	s_cbranch_execz .LBB88_10
; %bb.8:
	v_mov_b32_e32 v4, s3
.LBB88_9:                               ; =>This Inner Loop Header: Depth=1
	ds_cmpstore_rtn_b32 v4, v2, v3, v4 offset:800
	s_wait_dscnt 0x0
	v_cmp_ne_u32_e32 vcc_lo, 0, v4
	v_cmp_le_i32_e64 s3, v4, v3
	s_and_b32 s3, vcc_lo, s3
	s_delay_alu instid0(SALU_CYCLE_1) | instskip(NEXT) | instid1(SALU_CYCLE_1)
	s_and_b32 s3, exec_lo, s3
	s_or_b32 s39, s3, s39
	s_delay_alu instid0(SALU_CYCLE_1)
	s_and_not1_b32 exec_lo, exec_lo, s39
	s_cbranch_execnz .LBB88_9
.LBB88_10:
	s_or_b32 exec_lo, exec_lo, s38
	v_mov_b32_e32 v2, 0
	s_barrier_signal -1
	s_barrier_wait -1
	ds_load_b32 v3, v2 offset:800
	s_and_saveexec_b32 s3, s2
	s_cbranch_execz .LBB88_12
; %bb.11:
	s_lshl_b64 s[38:39], s[10:11], 2
	s_delay_alu instid0(SALU_CYCLE_1)
	s_add_nc_u64 s[38:39], s[6:7], s[38:39]
	s_wait_dscnt 0x0
	global_store_b32 v2, v3, s[38:39]
.LBB88_12:
	s_wait_xcnt 0x0
	s_or_b32 exec_lo, exec_lo, s3
	s_wait_dscnt 0x0
	v_cmp_ne_u32_e32 vcc_lo, 0, v3
	s_mov_b32 s3, 0
	s_cbranch_vccnz .LBB88_112
; %bb.13:
	v_lshl_add_u32 v19, v1, 4, 0
                                        ; implicit-def: $vgpr6_vgpr7
                                        ; implicit-def: $vgpr10_vgpr11
	scratch_load_b128 v[2:5], v19, off
	s_wait_loadcnt 0x0
	v_cmp_ngt_f64_e64 s3, |v[2:3]|, |v[4:5]|
	s_wait_xcnt 0x0
	s_and_saveexec_b32 s38, s3
	s_delay_alu instid0(SALU_CYCLE_1)
	s_xor_b32 s3, exec_lo, s38
	s_cbranch_execz .LBB88_15
; %bb.14:
	v_div_scale_f64 v[6:7], null, v[4:5], v[4:5], v[2:3]
	v_div_scale_f64 v[12:13], vcc_lo, v[2:3], v[4:5], v[2:3]
	s_delay_alu instid0(VALU_DEP_2) | instskip(SKIP_1) | instid1(TRANS32_DEP_1)
	v_rcp_f64_e32 v[8:9], v[6:7]
	v_nop
	v_fma_f64 v[10:11], -v[6:7], v[8:9], 1.0
	s_delay_alu instid0(VALU_DEP_1) | instskip(NEXT) | instid1(VALU_DEP_1)
	v_fmac_f64_e32 v[8:9], v[8:9], v[10:11]
	v_fma_f64 v[10:11], -v[6:7], v[8:9], 1.0
	s_delay_alu instid0(VALU_DEP_1) | instskip(NEXT) | instid1(VALU_DEP_1)
	v_fmac_f64_e32 v[8:9], v[8:9], v[10:11]
	v_mul_f64_e32 v[10:11], v[12:13], v[8:9]
	s_delay_alu instid0(VALU_DEP_1) | instskip(NEXT) | instid1(VALU_DEP_1)
	v_fma_f64 v[6:7], -v[6:7], v[10:11], v[12:13]
	v_div_fmas_f64 v[6:7], v[6:7], v[8:9], v[10:11]
	s_delay_alu instid0(VALU_DEP_1) | instskip(NEXT) | instid1(VALU_DEP_1)
	v_div_fixup_f64 v[6:7], v[6:7], v[4:5], v[2:3]
	v_fmac_f64_e32 v[4:5], v[2:3], v[6:7]
	s_delay_alu instid0(VALU_DEP_1) | instskip(SKIP_1) | instid1(VALU_DEP_2)
	v_div_scale_f64 v[2:3], null, v[4:5], v[4:5], 1.0
	v_div_scale_f64 v[12:13], vcc_lo, 1.0, v[4:5], 1.0
	v_rcp_f64_e32 v[8:9], v[2:3]
	v_nop
	s_delay_alu instid0(TRANS32_DEP_1) | instskip(NEXT) | instid1(VALU_DEP_1)
	v_fma_f64 v[10:11], -v[2:3], v[8:9], 1.0
	v_fmac_f64_e32 v[8:9], v[8:9], v[10:11]
	s_delay_alu instid0(VALU_DEP_1) | instskip(NEXT) | instid1(VALU_DEP_1)
	v_fma_f64 v[10:11], -v[2:3], v[8:9], 1.0
	v_fmac_f64_e32 v[8:9], v[8:9], v[10:11]
	s_delay_alu instid0(VALU_DEP_1) | instskip(NEXT) | instid1(VALU_DEP_1)
	v_mul_f64_e32 v[10:11], v[12:13], v[8:9]
	v_fma_f64 v[2:3], -v[2:3], v[10:11], v[12:13]
	s_delay_alu instid0(VALU_DEP_1) | instskip(NEXT) | instid1(VALU_DEP_1)
	v_div_fmas_f64 v[2:3], v[2:3], v[8:9], v[10:11]
	v_div_fixup_f64 v[8:9], v[2:3], v[4:5], 1.0
                                        ; implicit-def: $vgpr2_vgpr3
	s_delay_alu instid0(VALU_DEP_1) | instskip(SKIP_1) | instid1(VALU_DEP_2)
	v_mul_f64_e32 v[6:7], v[6:7], v[8:9]
	v_xor_b32_e32 v9, 0x80000000, v9
	v_xor_b32_e32 v11, 0x80000000, v7
	s_delay_alu instid0(VALU_DEP_3)
	v_mov_b32_e32 v10, v6
.LBB88_15:
	s_and_not1_saveexec_b32 s3, s3
	s_cbranch_execz .LBB88_17
; %bb.16:
	v_div_scale_f64 v[6:7], null, v[2:3], v[2:3], v[4:5]
	v_div_scale_f64 v[12:13], vcc_lo, v[4:5], v[2:3], v[4:5]
	s_delay_alu instid0(VALU_DEP_2) | instskip(SKIP_1) | instid1(TRANS32_DEP_1)
	v_rcp_f64_e32 v[8:9], v[6:7]
	v_nop
	v_fma_f64 v[10:11], -v[6:7], v[8:9], 1.0
	s_delay_alu instid0(VALU_DEP_1) | instskip(NEXT) | instid1(VALU_DEP_1)
	v_fmac_f64_e32 v[8:9], v[8:9], v[10:11]
	v_fma_f64 v[10:11], -v[6:7], v[8:9], 1.0
	s_delay_alu instid0(VALU_DEP_1) | instskip(NEXT) | instid1(VALU_DEP_1)
	v_fmac_f64_e32 v[8:9], v[8:9], v[10:11]
	v_mul_f64_e32 v[10:11], v[12:13], v[8:9]
	s_delay_alu instid0(VALU_DEP_1) | instskip(NEXT) | instid1(VALU_DEP_1)
	v_fma_f64 v[6:7], -v[6:7], v[10:11], v[12:13]
	v_div_fmas_f64 v[6:7], v[6:7], v[8:9], v[10:11]
	s_delay_alu instid0(VALU_DEP_1) | instskip(NEXT) | instid1(VALU_DEP_1)
	v_div_fixup_f64 v[8:9], v[6:7], v[2:3], v[4:5]
	v_fmac_f64_e32 v[2:3], v[4:5], v[8:9]
	s_delay_alu instid0(VALU_DEP_1) | instskip(NEXT) | instid1(VALU_DEP_1)
	v_div_scale_f64 v[4:5], null, v[2:3], v[2:3], 1.0
	v_rcp_f64_e32 v[6:7], v[4:5]
	v_nop
	s_delay_alu instid0(TRANS32_DEP_1) | instskip(NEXT) | instid1(VALU_DEP_1)
	v_fma_f64 v[10:11], -v[4:5], v[6:7], 1.0
	v_fmac_f64_e32 v[6:7], v[6:7], v[10:11]
	s_delay_alu instid0(VALU_DEP_1) | instskip(NEXT) | instid1(VALU_DEP_1)
	v_fma_f64 v[10:11], -v[4:5], v[6:7], 1.0
	v_fmac_f64_e32 v[6:7], v[6:7], v[10:11]
	v_div_scale_f64 v[10:11], vcc_lo, 1.0, v[2:3], 1.0
	s_delay_alu instid0(VALU_DEP_1) | instskip(NEXT) | instid1(VALU_DEP_1)
	v_mul_f64_e32 v[12:13], v[10:11], v[6:7]
	v_fma_f64 v[4:5], -v[4:5], v[12:13], v[10:11]
	s_delay_alu instid0(VALU_DEP_1) | instskip(NEXT) | instid1(VALU_DEP_1)
	v_div_fmas_f64 v[4:5], v[4:5], v[6:7], v[12:13]
	v_div_fixup_f64 v[6:7], v[4:5], v[2:3], 1.0
	s_delay_alu instid0(VALU_DEP_1)
	v_mul_f64_e64 v[8:9], v[8:9], -v[6:7]
	v_xor_b32_e32 v11, 0x80000000, v7
	v_mov_b32_e32 v10, v6
.LBB88_17:
	s_or_b32 exec_lo, exec_lo, s3
	s_clause 0x1
	scratch_store_b128 v19, v[6:9], off
	scratch_load_b128 v[2:5], off, s36
	v_xor_b32_e32 v13, 0x80000000, v9
	v_mov_b32_e32 v12, v8
	s_wait_xcnt 0x1
	v_add_nc_u32_e32 v6, 0x190, v64
	ds_store_b128 v64, v[10:13]
	s_wait_loadcnt 0x0
	ds_store_b128 v64, v[2:5] offset:400
	s_wait_storecnt_dscnt 0x0
	s_barrier_signal -1
	s_barrier_wait -1
	s_wait_xcnt 0x0
	s_and_saveexec_b32 s3, s2
	s_cbranch_execz .LBB88_19
; %bb.18:
	scratch_load_b128 v[2:5], v19, off
	ds_load_b128 v[8:11], v6
	v_mov_b32_e32 v7, 0
	ds_load_b128 v[66:69], v7 offset:16
	s_wait_loadcnt_dscnt 0x1
	v_mul_f64_e32 v[12:13], v[8:9], v[4:5]
	v_mul_f64_e32 v[4:5], v[10:11], v[4:5]
	s_delay_alu instid0(VALU_DEP_2) | instskip(NEXT) | instid1(VALU_DEP_2)
	v_fmac_f64_e32 v[12:13], v[10:11], v[2:3]
	v_fma_f64 v[2:3], v[8:9], v[2:3], -v[4:5]
	s_delay_alu instid0(VALU_DEP_2) | instskip(NEXT) | instid1(VALU_DEP_2)
	v_add_f64_e32 v[8:9], 0, v[12:13]
	v_add_f64_e32 v[2:3], 0, v[2:3]
	s_wait_dscnt 0x0
	s_delay_alu instid0(VALU_DEP_2) | instskip(NEXT) | instid1(VALU_DEP_2)
	v_mul_f64_e32 v[10:11], v[8:9], v[68:69]
	v_mul_f64_e32 v[4:5], v[2:3], v[68:69]
	s_delay_alu instid0(VALU_DEP_2) | instskip(NEXT) | instid1(VALU_DEP_2)
	v_fma_f64 v[2:3], v[2:3], v[66:67], -v[10:11]
	v_fmac_f64_e32 v[4:5], v[8:9], v[66:67]
	scratch_store_b128 off, v[2:5], off offset:16
.LBB88_19:
	s_wait_xcnt 0x0
	s_or_b32 exec_lo, exec_lo, s3
	s_wait_storecnt 0x0
	s_barrier_signal -1
	s_barrier_wait -1
	scratch_load_b128 v[2:5], off, s35
	s_mov_b32 s3, exec_lo
	s_wait_loadcnt 0x0
	ds_store_b128 v6, v[2:5]
	s_wait_dscnt 0x0
	s_barrier_signal -1
	s_barrier_wait -1
	v_cmpx_gt_u32_e32 2, v1
	s_cbranch_execz .LBB88_23
; %bb.20:
	scratch_load_b128 v[2:5], v19, off
	ds_load_b128 v[8:11], v6
	s_wait_loadcnt_dscnt 0x0
	v_mul_f64_e32 v[12:13], v[10:11], v[4:5]
	v_mul_f64_e32 v[66:67], v[8:9], v[4:5]
	s_delay_alu instid0(VALU_DEP_2) | instskip(NEXT) | instid1(VALU_DEP_2)
	v_fma_f64 v[4:5], v[8:9], v[2:3], -v[12:13]
	v_fmac_f64_e32 v[66:67], v[10:11], v[2:3]
	s_delay_alu instid0(VALU_DEP_2) | instskip(NEXT) | instid1(VALU_DEP_2)
	v_add_f64_e32 v[4:5], 0, v[4:5]
	v_add_f64_e32 v[2:3], 0, v[66:67]
	s_and_saveexec_b32 s38, s2
	s_cbranch_execz .LBB88_22
; %bb.21:
	scratch_load_b128 v[8:11], off, off offset:16
	v_mov_b32_e32 v7, 0
	ds_load_b128 v[66:69], v7 offset:416
	s_wait_loadcnt_dscnt 0x0
	v_mul_f64_e32 v[12:13], v[66:67], v[10:11]
	v_mul_f64_e32 v[10:11], v[68:69], v[10:11]
	s_delay_alu instid0(VALU_DEP_2) | instskip(NEXT) | instid1(VALU_DEP_2)
	v_fmac_f64_e32 v[12:13], v[68:69], v[8:9]
	v_fma_f64 v[8:9], v[66:67], v[8:9], -v[10:11]
	s_delay_alu instid0(VALU_DEP_2) | instskip(NEXT) | instid1(VALU_DEP_2)
	v_add_f64_e32 v[2:3], v[2:3], v[12:13]
	v_add_f64_e32 v[4:5], v[4:5], v[8:9]
.LBB88_22:
	s_or_b32 exec_lo, exec_lo, s38
	v_mov_b32_e32 v7, 0
	ds_load_b128 v[8:11], v7 offset:32
	s_wait_dscnt 0x0
	v_mul_f64_e32 v[66:67], v[2:3], v[10:11]
	v_mul_f64_e32 v[12:13], v[4:5], v[10:11]
	s_delay_alu instid0(VALU_DEP_2) | instskip(NEXT) | instid1(VALU_DEP_2)
	v_fma_f64 v[10:11], v[4:5], v[8:9], -v[66:67]
	v_fmac_f64_e32 v[12:13], v[2:3], v[8:9]
	scratch_store_b128 off, v[10:13], off offset:32
.LBB88_23:
	s_wait_xcnt 0x0
	s_or_b32 exec_lo, exec_lo, s3
	s_wait_storecnt 0x0
	s_barrier_signal -1
	s_barrier_wait -1
	scratch_load_b128 v[2:5], off, s23
	v_add_nc_u32_e32 v7, -1, v1
	s_mov_b32 s2, exec_lo
	s_wait_loadcnt 0x0
	ds_store_b128 v6, v[2:5]
	s_wait_dscnt 0x0
	s_barrier_signal -1
	s_barrier_wait -1
	v_cmpx_gt_u32_e32 3, v1
	s_cbranch_execz .LBB88_27
; %bb.24:
	v_dual_mov_b32 v10, v64 :: v_dual_add_nc_u32 v8, -1, v1
	v_mov_b64_e32 v[2:3], 0
	v_mov_b64_e32 v[4:5], 0
	v_add_nc_u32_e32 v9, 0x190, v64
	s_delay_alu instid0(VALU_DEP_4)
	v_or_b32_e32 v10, 8, v10
	s_mov_b32 s3, 0
.LBB88_25:                              ; =>This Inner Loop Header: Depth=1
	scratch_load_b128 v[66:69], v10, off offset:-8
	ds_load_b128 v[70:73], v9
	s_wait_xcnt 0x0
	v_dual_add_nc_u32 v9, 16, v9 :: v_dual_add_nc_u32 v10, 16, v10
	v_add_nc_u32_e32 v8, 1, v8
	s_delay_alu instid0(VALU_DEP_1) | instskip(SKIP_4) | instid1(VALU_DEP_2)
	v_cmp_lt_u32_e32 vcc_lo, 1, v8
	s_or_b32 s3, vcc_lo, s3
	s_wait_loadcnt_dscnt 0x0
	v_mul_f64_e32 v[12:13], v[72:73], v[68:69]
	v_mul_f64_e32 v[68:69], v[70:71], v[68:69]
	v_fma_f64 v[12:13], v[70:71], v[66:67], -v[12:13]
	s_delay_alu instid0(VALU_DEP_2) | instskip(NEXT) | instid1(VALU_DEP_2)
	v_fmac_f64_e32 v[68:69], v[72:73], v[66:67]
	v_add_f64_e32 v[4:5], v[4:5], v[12:13]
	s_delay_alu instid0(VALU_DEP_2)
	v_add_f64_e32 v[2:3], v[2:3], v[68:69]
	s_and_not1_b32 exec_lo, exec_lo, s3
	s_cbranch_execnz .LBB88_25
; %bb.26:
	s_or_b32 exec_lo, exec_lo, s3
	v_mov_b32_e32 v8, 0
	ds_load_b128 v[8:11], v8 offset:48
	s_wait_dscnt 0x0
	v_mul_f64_e32 v[66:67], v[2:3], v[10:11]
	v_mul_f64_e32 v[12:13], v[4:5], v[10:11]
	s_delay_alu instid0(VALU_DEP_2) | instskip(NEXT) | instid1(VALU_DEP_2)
	v_fma_f64 v[10:11], v[4:5], v[8:9], -v[66:67]
	v_fmac_f64_e32 v[12:13], v[2:3], v[8:9]
	scratch_store_b128 off, v[10:13], off offset:48
.LBB88_27:
	s_wait_xcnt 0x0
	s_or_b32 exec_lo, exec_lo, s2
	s_wait_storecnt 0x0
	s_barrier_signal -1
	s_barrier_wait -1
	scratch_load_b128 v[2:5], off, s12
	s_mov_b32 s2, exec_lo
	s_wait_loadcnt 0x0
	ds_store_b128 v6, v[2:5]
	s_wait_dscnt 0x0
	s_barrier_signal -1
	s_barrier_wait -1
	v_cmpx_gt_u32_e32 4, v1
	s_cbranch_execz .LBB88_31
; %bb.28:
	v_dual_mov_b32 v10, v64 :: v_dual_add_nc_u32 v8, -1, v1
	v_mov_b64_e32 v[2:3], 0
	v_mov_b64_e32 v[4:5], 0
	v_add_nc_u32_e32 v9, 0x190, v64
	s_delay_alu instid0(VALU_DEP_4)
	v_or_b32_e32 v10, 8, v10
	s_mov_b32 s3, 0
.LBB88_29:                              ; =>This Inner Loop Header: Depth=1
	scratch_load_b128 v[66:69], v10, off offset:-8
	ds_load_b128 v[70:73], v9
	s_wait_xcnt 0x0
	v_dual_add_nc_u32 v9, 16, v9 :: v_dual_add_nc_u32 v10, 16, v10
	v_add_nc_u32_e32 v8, 1, v8
	s_delay_alu instid0(VALU_DEP_1) | instskip(SKIP_4) | instid1(VALU_DEP_2)
	v_cmp_lt_u32_e32 vcc_lo, 2, v8
	s_or_b32 s3, vcc_lo, s3
	s_wait_loadcnt_dscnt 0x0
	v_mul_f64_e32 v[12:13], v[72:73], v[68:69]
	v_mul_f64_e32 v[68:69], v[70:71], v[68:69]
	v_fma_f64 v[12:13], v[70:71], v[66:67], -v[12:13]
	s_delay_alu instid0(VALU_DEP_2) | instskip(NEXT) | instid1(VALU_DEP_2)
	v_fmac_f64_e32 v[68:69], v[72:73], v[66:67]
	v_add_f64_e32 v[4:5], v[4:5], v[12:13]
	s_delay_alu instid0(VALU_DEP_2)
	v_add_f64_e32 v[2:3], v[2:3], v[68:69]
	s_and_not1_b32 exec_lo, exec_lo, s3
	s_cbranch_execnz .LBB88_29
; %bb.30:
	s_or_b32 exec_lo, exec_lo, s3
	v_mov_b32_e32 v8, 0
	ds_load_b128 v[8:11], v8 offset:64
	s_wait_dscnt 0x0
	v_mul_f64_e32 v[66:67], v[2:3], v[10:11]
	v_mul_f64_e32 v[12:13], v[4:5], v[10:11]
	s_delay_alu instid0(VALU_DEP_2) | instskip(NEXT) | instid1(VALU_DEP_2)
	v_fma_f64 v[10:11], v[4:5], v[8:9], -v[66:67]
	v_fmac_f64_e32 v[12:13], v[2:3], v[8:9]
	scratch_store_b128 off, v[10:13], off offset:64
.LBB88_31:
	s_wait_xcnt 0x0
	s_or_b32 exec_lo, exec_lo, s2
	s_wait_storecnt 0x0
	s_barrier_signal -1
	s_barrier_wait -1
	scratch_load_b128 v[2:5], off, s24
	;; [unrolled: 54-line block ×19, first 2 shown]
	s_mov_b32 s2, exec_lo
	s_wait_loadcnt 0x0
	ds_store_b128 v6, v[2:5]
	s_wait_dscnt 0x0
	s_barrier_signal -1
	s_barrier_wait -1
	v_cmpx_gt_u32_e32 22, v1
	s_cbranch_execz .LBB88_103
; %bb.100:
	v_dual_mov_b32 v10, v64 :: v_dual_add_nc_u32 v8, -1, v1
	v_mov_b64_e32 v[2:3], 0
	v_mov_b64_e32 v[4:5], 0
	v_add_nc_u32_e32 v9, 0x190, v64
	s_delay_alu instid0(VALU_DEP_4)
	v_or_b32_e32 v10, 8, v10
	s_mov_b32 s3, 0
.LBB88_101:                             ; =>This Inner Loop Header: Depth=1
	scratch_load_b128 v[66:69], v10, off offset:-8
	ds_load_b128 v[70:73], v9
	s_wait_xcnt 0x0
	v_dual_add_nc_u32 v9, 16, v9 :: v_dual_add_nc_u32 v10, 16, v10
	v_add_nc_u32_e32 v8, 1, v8
	s_delay_alu instid0(VALU_DEP_1) | instskip(SKIP_4) | instid1(VALU_DEP_2)
	v_cmp_lt_u32_e32 vcc_lo, 20, v8
	s_or_b32 s3, vcc_lo, s3
	s_wait_loadcnt_dscnt 0x0
	v_mul_f64_e32 v[12:13], v[72:73], v[68:69]
	v_mul_f64_e32 v[68:69], v[70:71], v[68:69]
	v_fma_f64 v[12:13], v[70:71], v[66:67], -v[12:13]
	s_delay_alu instid0(VALU_DEP_2) | instskip(NEXT) | instid1(VALU_DEP_2)
	v_fmac_f64_e32 v[68:69], v[72:73], v[66:67]
	v_add_f64_e32 v[4:5], v[4:5], v[12:13]
	s_delay_alu instid0(VALU_DEP_2)
	v_add_f64_e32 v[2:3], v[2:3], v[68:69]
	s_and_not1_b32 exec_lo, exec_lo, s3
	s_cbranch_execnz .LBB88_101
; %bb.102:
	s_or_b32 exec_lo, exec_lo, s3
	v_mov_b32_e32 v8, 0
	ds_load_b128 v[8:11], v8 offset:352
	s_wait_dscnt 0x0
	v_mul_f64_e32 v[66:67], v[2:3], v[10:11]
	v_mul_f64_e32 v[12:13], v[4:5], v[10:11]
	s_delay_alu instid0(VALU_DEP_2) | instskip(NEXT) | instid1(VALU_DEP_2)
	v_fma_f64 v[10:11], v[4:5], v[8:9], -v[66:67]
	v_fmac_f64_e32 v[12:13], v[2:3], v[8:9]
	scratch_store_b128 off, v[10:13], off offset:352
.LBB88_103:
	s_wait_xcnt 0x0
	s_or_b32 exec_lo, exec_lo, s2
	s_wait_storecnt 0x0
	s_barrier_signal -1
	s_barrier_wait -1
	scratch_load_b128 v[2:5], off, s34
	s_mov_b32 s2, exec_lo
	s_wait_loadcnt 0x0
	ds_store_b128 v6, v[2:5]
	s_wait_dscnt 0x0
	s_barrier_signal -1
	s_barrier_wait -1
	v_cmpx_gt_u32_e32 23, v1
	s_cbranch_execz .LBB88_107
; %bb.104:
	v_dual_mov_b32 v10, v64 :: v_dual_add_nc_u32 v8, -1, v1
	v_mov_b64_e32 v[2:3], 0
	v_mov_b64_e32 v[4:5], 0
	v_add_nc_u32_e32 v9, 0x190, v64
	s_delay_alu instid0(VALU_DEP_4)
	v_or_b32_e32 v10, 8, v10
	s_mov_b32 s3, 0
.LBB88_105:                             ; =>This Inner Loop Header: Depth=1
	scratch_load_b128 v[66:69], v10, off offset:-8
	ds_load_b128 v[70:73], v9
	s_wait_xcnt 0x0
	v_dual_add_nc_u32 v9, 16, v9 :: v_dual_add_nc_u32 v10, 16, v10
	v_add_nc_u32_e32 v8, 1, v8
	s_delay_alu instid0(VALU_DEP_1) | instskip(SKIP_4) | instid1(VALU_DEP_2)
	v_cmp_lt_u32_e32 vcc_lo, 21, v8
	s_or_b32 s3, vcc_lo, s3
	s_wait_loadcnt_dscnt 0x0
	v_mul_f64_e32 v[12:13], v[72:73], v[68:69]
	v_mul_f64_e32 v[68:69], v[70:71], v[68:69]
	v_fma_f64 v[12:13], v[70:71], v[66:67], -v[12:13]
	s_delay_alu instid0(VALU_DEP_2) | instskip(NEXT) | instid1(VALU_DEP_2)
	v_fmac_f64_e32 v[68:69], v[72:73], v[66:67]
	v_add_f64_e32 v[4:5], v[4:5], v[12:13]
	s_delay_alu instid0(VALU_DEP_2)
	v_add_f64_e32 v[2:3], v[2:3], v[68:69]
	s_and_not1_b32 exec_lo, exec_lo, s3
	s_cbranch_execnz .LBB88_105
; %bb.106:
	s_or_b32 exec_lo, exec_lo, s3
	v_mov_b32_e32 v8, 0
	ds_load_b128 v[8:11], v8 offset:368
	s_wait_dscnt 0x0
	v_mul_f64_e32 v[66:67], v[2:3], v[10:11]
	v_mul_f64_e32 v[12:13], v[4:5], v[10:11]
	s_delay_alu instid0(VALU_DEP_2) | instskip(NEXT) | instid1(VALU_DEP_2)
	v_fma_f64 v[10:11], v[4:5], v[8:9], -v[66:67]
	v_fmac_f64_e32 v[12:13], v[2:3], v[8:9]
	scratch_store_b128 off, v[10:13], off offset:368
.LBB88_107:
	s_wait_xcnt 0x0
	s_or_b32 exec_lo, exec_lo, s2
	s_wait_storecnt 0x0
	s_barrier_signal -1
	s_barrier_wait -1
	scratch_load_b128 v[2:5], off, s22
	s_mov_b32 s2, exec_lo
	s_wait_loadcnt 0x0
	ds_store_b128 v6, v[2:5]
	s_wait_dscnt 0x0
	s_barrier_signal -1
	s_barrier_wait -1
	v_cmpx_ne_u32_e32 24, v1
	s_cbranch_execz .LBB88_111
; %bb.108:
	v_mov_b32_e32 v8, v64
	v_mov_b64_e32 v[2:3], 0
	v_mov_b64_e32 v[4:5], 0
	s_mov_b32 s3, 0
	s_delay_alu instid0(VALU_DEP_3)
	v_or_b32_e32 v8, 8, v8
.LBB88_109:                             ; =>This Inner Loop Header: Depth=1
	scratch_load_b128 v[10:13], v8, off offset:-8
	ds_load_b128 v[64:67], v6
	v_dual_add_nc_u32 v7, 1, v7 :: v_dual_add_nc_u32 v6, 16, v6
	s_wait_xcnt 0x0
	v_add_nc_u32_e32 v8, 16, v8
	s_delay_alu instid0(VALU_DEP_2) | instskip(SKIP_4) | instid1(VALU_DEP_2)
	v_cmp_lt_u32_e32 vcc_lo, 22, v7
	s_or_b32 s3, vcc_lo, s3
	s_wait_loadcnt_dscnt 0x0
	v_mul_f64_e32 v[68:69], v[66:67], v[12:13]
	v_mul_f64_e32 v[12:13], v[64:65], v[12:13]
	v_fma_f64 v[64:65], v[64:65], v[10:11], -v[68:69]
	s_delay_alu instid0(VALU_DEP_2) | instskip(NEXT) | instid1(VALU_DEP_2)
	v_fmac_f64_e32 v[12:13], v[66:67], v[10:11]
	v_add_f64_e32 v[4:5], v[4:5], v[64:65]
	s_delay_alu instid0(VALU_DEP_2)
	v_add_f64_e32 v[2:3], v[2:3], v[12:13]
	s_and_not1_b32 exec_lo, exec_lo, s3
	s_cbranch_execnz .LBB88_109
; %bb.110:
	s_or_b32 exec_lo, exec_lo, s3
	v_mov_b32_e32 v6, 0
	ds_load_b128 v[6:9], v6 offset:384
	s_wait_dscnt 0x0
	v_mul_f64_e32 v[12:13], v[2:3], v[8:9]
	v_mul_f64_e32 v[10:11], v[4:5], v[8:9]
	s_delay_alu instid0(VALU_DEP_2) | instskip(NEXT) | instid1(VALU_DEP_2)
	v_fma_f64 v[8:9], v[4:5], v[6:7], -v[12:13]
	v_fmac_f64_e32 v[10:11], v[2:3], v[6:7]
	scratch_store_b128 off, v[8:11], off offset:384
.LBB88_111:
	s_wait_xcnt 0x0
	s_or_b32 exec_lo, exec_lo, s2
	s_mov_b32 s3, -1
	s_wait_storecnt 0x0
	s_barrier_signal -1
	s_barrier_wait -1
.LBB88_112:
	s_and_b32 vcc_lo, exec_lo, s3
	s_cbranch_vccz .LBB88_114
; %bb.113:
	s_wait_xcnt 0x0
	v_mov_b32_e32 v2, 0
	s_lshl_b64 s[2:3], s[10:11], 2
	s_delay_alu instid0(SALU_CYCLE_1)
	s_add_nc_u64 s[2:3], s[6:7], s[2:3]
	global_load_b32 v2, v2, s[2:3]
	s_wait_loadcnt 0x0
	v_cmp_ne_u32_e32 vcc_lo, 0, v2
	s_cbranch_vccz .LBB88_115
.LBB88_114:
	s_sendmsg sendmsg(MSG_DEALLOC_VGPRS)
	s_endpgm
.LBB88_115:
	v_lshl_add_u32 v6, v1, 4, 0x190
	s_wait_xcnt 0x0
	s_mov_b32 s2, exec_lo
	v_cmpx_eq_u32_e32 24, v1
	s_cbranch_execz .LBB88_117
; %bb.116:
	scratch_load_b128 v[2:5], off, s34
	v_mov_b32_e32 v8, 0
	s_delay_alu instid0(VALU_DEP_1)
	v_dual_mov_b32 v9, v8 :: v_dual_mov_b32 v10, v8
	v_mov_b32_e32 v11, v8
	scratch_store_b128 off, v[8:11], off offset:368
	s_wait_loadcnt 0x0
	ds_store_b128 v6, v[2:5]
.LBB88_117:
	s_wait_xcnt 0x0
	s_or_b32 exec_lo, exec_lo, s2
	s_wait_storecnt_dscnt 0x0
	s_barrier_signal -1
	s_barrier_wait -1
	s_clause 0x1
	scratch_load_b128 v[8:11], off, off offset:384
	scratch_load_b128 v[64:67], off, off offset:368
	v_mov_b32_e32 v2, 0
	s_mov_b32 s2, exec_lo
	ds_load_b128 v[68:71], v2 offset:784
	s_wait_loadcnt_dscnt 0x100
	v_mul_f64_e32 v[4:5], v[70:71], v[10:11]
	v_mul_f64_e32 v[10:11], v[68:69], v[10:11]
	s_delay_alu instid0(VALU_DEP_2) | instskip(NEXT) | instid1(VALU_DEP_2)
	v_fma_f64 v[4:5], v[68:69], v[8:9], -v[4:5]
	v_fmac_f64_e32 v[10:11], v[70:71], v[8:9]
	s_delay_alu instid0(VALU_DEP_2) | instskip(NEXT) | instid1(VALU_DEP_2)
	v_add_f64_e32 v[4:5], 0, v[4:5]
	v_add_f64_e32 v[10:11], 0, v[10:11]
	s_wait_loadcnt 0x0
	s_delay_alu instid0(VALU_DEP_2) | instskip(NEXT) | instid1(VALU_DEP_2)
	v_add_f64_e64 v[8:9], v[64:65], -v[4:5]
	v_add_f64_e64 v[10:11], v[66:67], -v[10:11]
	scratch_store_b128 off, v[8:11], off offset:368
	s_wait_xcnt 0x0
	v_cmpx_lt_u32_e32 22, v1
	s_cbranch_execz .LBB88_119
; %bb.118:
	scratch_load_b128 v[8:11], off, s21
	v_dual_mov_b32 v3, v2 :: v_dual_mov_b32 v4, v2
	v_mov_b32_e32 v5, v2
	scratch_store_b128 off, v[2:5], off offset:352
	s_wait_loadcnt 0x0
	ds_store_b128 v6, v[8:11]
.LBB88_119:
	s_wait_xcnt 0x0
	s_or_b32 exec_lo, exec_lo, s2
	s_wait_storecnt_dscnt 0x0
	s_barrier_signal -1
	s_barrier_wait -1
	s_clause 0x2
	scratch_load_b128 v[8:11], off, off offset:368
	scratch_load_b128 v[64:67], off, off offset:384
	;; [unrolled: 1-line block ×3, first 2 shown]
	ds_load_b128 v[72:75], v2 offset:768
	ds_load_b128 v[2:5], v2 offset:784
	s_mov_b32 s2, exec_lo
	s_wait_loadcnt_dscnt 0x201
	v_mul_f64_e32 v[12:13], v[74:75], v[10:11]
	v_mul_f64_e32 v[10:11], v[72:73], v[10:11]
	s_wait_loadcnt_dscnt 0x100
	v_mul_f64_e32 v[76:77], v[2:3], v[66:67]
	v_mul_f64_e32 v[66:67], v[4:5], v[66:67]
	s_delay_alu instid0(VALU_DEP_4) | instskip(NEXT) | instid1(VALU_DEP_4)
	v_fma_f64 v[12:13], v[72:73], v[8:9], -v[12:13]
	v_fmac_f64_e32 v[10:11], v[74:75], v[8:9]
	s_delay_alu instid0(VALU_DEP_4) | instskip(NEXT) | instid1(VALU_DEP_4)
	v_fmac_f64_e32 v[76:77], v[4:5], v[64:65]
	v_fma_f64 v[2:3], v[2:3], v[64:65], -v[66:67]
	s_delay_alu instid0(VALU_DEP_4) | instskip(NEXT) | instid1(VALU_DEP_4)
	v_add_f64_e32 v[4:5], 0, v[12:13]
	v_add_f64_e32 v[8:9], 0, v[10:11]
	s_delay_alu instid0(VALU_DEP_2) | instskip(NEXT) | instid1(VALU_DEP_2)
	v_add_f64_e32 v[2:3], v[4:5], v[2:3]
	v_add_f64_e32 v[4:5], v[8:9], v[76:77]
	s_wait_loadcnt 0x0
	s_delay_alu instid0(VALU_DEP_2) | instskip(NEXT) | instid1(VALU_DEP_2)
	v_add_f64_e64 v[2:3], v[68:69], -v[2:3]
	v_add_f64_e64 v[4:5], v[70:71], -v[4:5]
	scratch_store_b128 off, v[2:5], off offset:352
	s_wait_xcnt 0x0
	v_cmpx_lt_u32_e32 21, v1
	s_cbranch_execz .LBB88_121
; %bb.120:
	scratch_load_b128 v[2:5], off, s33
	v_mov_b32_e32 v8, 0
	s_delay_alu instid0(VALU_DEP_1)
	v_dual_mov_b32 v9, v8 :: v_dual_mov_b32 v10, v8
	v_mov_b32_e32 v11, v8
	scratch_store_b128 off, v[8:11], off offset:336
	s_wait_loadcnt 0x0
	ds_store_b128 v6, v[2:5]
.LBB88_121:
	s_wait_xcnt 0x0
	s_or_b32 exec_lo, exec_lo, s2
	s_wait_storecnt_dscnt 0x0
	s_barrier_signal -1
	s_barrier_wait -1
	s_clause 0x3
	scratch_load_b128 v[8:11], off, off offset:352
	scratch_load_b128 v[64:67], off, off offset:368
	;; [unrolled: 1-line block ×4, first 2 shown]
	v_mov_b32_e32 v2, 0
	ds_load_b128 v[76:79], v2 offset:752
	ds_load_b128 v[80:83], v2 offset:768
	s_mov_b32 s2, exec_lo
	s_wait_loadcnt_dscnt 0x301
	v_mul_f64_e32 v[4:5], v[78:79], v[10:11]
	v_mul_f64_e32 v[12:13], v[76:77], v[10:11]
	s_wait_loadcnt_dscnt 0x200
	v_mul_f64_e32 v[84:85], v[80:81], v[66:67]
	v_mul_f64_e32 v[66:67], v[82:83], v[66:67]
	s_delay_alu instid0(VALU_DEP_4) | instskip(NEXT) | instid1(VALU_DEP_4)
	v_fma_f64 v[4:5], v[76:77], v[8:9], -v[4:5]
	v_fmac_f64_e32 v[12:13], v[78:79], v[8:9]
	ds_load_b128 v[8:11], v2 offset:784
	v_fmac_f64_e32 v[84:85], v[82:83], v[64:65]
	v_fma_f64 v[64:65], v[80:81], v[64:65], -v[66:67]
	s_wait_loadcnt_dscnt 0x100
	v_mul_f64_e32 v[76:77], v[8:9], v[70:71]
	v_mul_f64_e32 v[70:71], v[10:11], v[70:71]
	v_add_f64_e32 v[4:5], 0, v[4:5]
	v_add_f64_e32 v[12:13], 0, v[12:13]
	s_delay_alu instid0(VALU_DEP_4) | instskip(NEXT) | instid1(VALU_DEP_4)
	v_fmac_f64_e32 v[76:77], v[10:11], v[68:69]
	v_fma_f64 v[8:9], v[8:9], v[68:69], -v[70:71]
	s_delay_alu instid0(VALU_DEP_4) | instskip(NEXT) | instid1(VALU_DEP_4)
	v_add_f64_e32 v[4:5], v[4:5], v[64:65]
	v_add_f64_e32 v[10:11], v[12:13], v[84:85]
	s_delay_alu instid0(VALU_DEP_2) | instskip(NEXT) | instid1(VALU_DEP_2)
	v_add_f64_e32 v[4:5], v[4:5], v[8:9]
	v_add_f64_e32 v[10:11], v[10:11], v[76:77]
	s_wait_loadcnt 0x0
	s_delay_alu instid0(VALU_DEP_2) | instskip(NEXT) | instid1(VALU_DEP_2)
	v_add_f64_e64 v[8:9], v[72:73], -v[4:5]
	v_add_f64_e64 v[10:11], v[74:75], -v[10:11]
	scratch_store_b128 off, v[8:11], off offset:336
	s_wait_xcnt 0x0
	v_cmpx_lt_u32_e32 20, v1
	s_cbranch_execz .LBB88_123
; %bb.122:
	scratch_load_b128 v[8:11], off, s20
	v_dual_mov_b32 v3, v2 :: v_dual_mov_b32 v4, v2
	v_mov_b32_e32 v5, v2
	scratch_store_b128 off, v[2:5], off offset:320
	s_wait_loadcnt 0x0
	ds_store_b128 v6, v[8:11]
.LBB88_123:
	s_wait_xcnt 0x0
	s_or_b32 exec_lo, exec_lo, s2
	s_wait_storecnt_dscnt 0x0
	s_barrier_signal -1
	s_barrier_wait -1
	s_clause 0x4
	scratch_load_b128 v[8:11], off, off offset:336
	scratch_load_b128 v[64:67], off, off offset:352
	;; [unrolled: 1-line block ×5, first 2 shown]
	ds_load_b128 v[80:83], v2 offset:736
	ds_load_b128 v[84:87], v2 offset:752
	s_mov_b32 s2, exec_lo
	s_wait_loadcnt_dscnt 0x401
	v_mul_f64_e32 v[4:5], v[82:83], v[10:11]
	v_mul_f64_e32 v[12:13], v[80:81], v[10:11]
	s_wait_loadcnt_dscnt 0x300
	v_mul_f64_e32 v[88:89], v[84:85], v[66:67]
	v_mul_f64_e32 v[66:67], v[86:87], v[66:67]
	s_delay_alu instid0(VALU_DEP_4) | instskip(NEXT) | instid1(VALU_DEP_4)
	v_fma_f64 v[80:81], v[80:81], v[8:9], -v[4:5]
	v_fmac_f64_e32 v[12:13], v[82:83], v[8:9]
	ds_load_b128 v[8:11], v2 offset:768
	ds_load_b128 v[2:5], v2 offset:784
	v_fmac_f64_e32 v[88:89], v[86:87], v[64:65]
	v_fma_f64 v[64:65], v[84:85], v[64:65], -v[66:67]
	s_wait_loadcnt_dscnt 0x201
	v_mul_f64_e32 v[82:83], v[8:9], v[70:71]
	v_mul_f64_e32 v[70:71], v[10:11], v[70:71]
	v_add_f64_e32 v[66:67], 0, v[80:81]
	v_add_f64_e32 v[12:13], 0, v[12:13]
	s_wait_loadcnt_dscnt 0x100
	v_mul_f64_e32 v[80:81], v[2:3], v[74:75]
	v_mul_f64_e32 v[74:75], v[4:5], v[74:75]
	v_fmac_f64_e32 v[82:83], v[10:11], v[68:69]
	v_fma_f64 v[8:9], v[8:9], v[68:69], -v[70:71]
	v_add_f64_e32 v[10:11], v[66:67], v[64:65]
	v_add_f64_e32 v[12:13], v[12:13], v[88:89]
	v_fmac_f64_e32 v[80:81], v[4:5], v[72:73]
	v_fma_f64 v[2:3], v[2:3], v[72:73], -v[74:75]
	s_delay_alu instid0(VALU_DEP_4) | instskip(NEXT) | instid1(VALU_DEP_4)
	v_add_f64_e32 v[4:5], v[10:11], v[8:9]
	v_add_f64_e32 v[8:9], v[12:13], v[82:83]
	s_delay_alu instid0(VALU_DEP_2) | instskip(NEXT) | instid1(VALU_DEP_2)
	v_add_f64_e32 v[2:3], v[4:5], v[2:3]
	v_add_f64_e32 v[4:5], v[8:9], v[80:81]
	s_wait_loadcnt 0x0
	s_delay_alu instid0(VALU_DEP_2) | instskip(NEXT) | instid1(VALU_DEP_2)
	v_add_f64_e64 v[2:3], v[76:77], -v[2:3]
	v_add_f64_e64 v[4:5], v[78:79], -v[4:5]
	scratch_store_b128 off, v[2:5], off offset:320
	s_wait_xcnt 0x0
	v_cmpx_lt_u32_e32 19, v1
	s_cbranch_execz .LBB88_125
; %bb.124:
	scratch_load_b128 v[2:5], off, s31
	v_mov_b32_e32 v8, 0
	s_delay_alu instid0(VALU_DEP_1)
	v_dual_mov_b32 v9, v8 :: v_dual_mov_b32 v10, v8
	v_mov_b32_e32 v11, v8
	scratch_store_b128 off, v[8:11], off offset:304
	s_wait_loadcnt 0x0
	ds_store_b128 v6, v[2:5]
.LBB88_125:
	s_wait_xcnt 0x0
	s_or_b32 exec_lo, exec_lo, s2
	s_wait_storecnt_dscnt 0x0
	s_barrier_signal -1
	s_barrier_wait -1
	s_clause 0x5
	scratch_load_b128 v[8:11], off, off offset:320
	scratch_load_b128 v[64:67], off, off offset:336
	;; [unrolled: 1-line block ×6, first 2 shown]
	v_mov_b32_e32 v2, 0
	ds_load_b128 v[84:87], v2 offset:720
	ds_load_b128 v[88:91], v2 offset:736
	s_mov_b32 s2, exec_lo
	s_wait_loadcnt_dscnt 0x501
	v_mul_f64_e32 v[4:5], v[86:87], v[10:11]
	v_mul_f64_e32 v[12:13], v[84:85], v[10:11]
	s_wait_loadcnt_dscnt 0x400
	v_mul_f64_e32 v[92:93], v[88:89], v[66:67]
	v_mul_f64_e32 v[66:67], v[90:91], v[66:67]
	s_delay_alu instid0(VALU_DEP_4) | instskip(NEXT) | instid1(VALU_DEP_4)
	v_fma_f64 v[4:5], v[84:85], v[8:9], -v[4:5]
	v_fmac_f64_e32 v[12:13], v[86:87], v[8:9]
	ds_load_b128 v[8:11], v2 offset:752
	ds_load_b128 v[84:87], v2 offset:768
	v_fmac_f64_e32 v[92:93], v[90:91], v[64:65]
	v_fma_f64 v[64:65], v[88:89], v[64:65], -v[66:67]
	s_wait_loadcnt_dscnt 0x301
	v_mul_f64_e32 v[94:95], v[8:9], v[70:71]
	v_mul_f64_e32 v[70:71], v[10:11], v[70:71]
	s_wait_loadcnt_dscnt 0x200
	v_mul_f64_e32 v[66:67], v[84:85], v[74:75]
	v_mul_f64_e32 v[74:75], v[86:87], v[74:75]
	v_add_f64_e32 v[4:5], 0, v[4:5]
	v_add_f64_e32 v[12:13], 0, v[12:13]
	v_fmac_f64_e32 v[94:95], v[10:11], v[68:69]
	v_fma_f64 v[68:69], v[8:9], v[68:69], -v[70:71]
	ds_load_b128 v[8:11], v2 offset:784
	v_fmac_f64_e32 v[66:67], v[86:87], v[72:73]
	v_fma_f64 v[72:73], v[84:85], v[72:73], -v[74:75]
	v_add_f64_e32 v[4:5], v[4:5], v[64:65]
	v_add_f64_e32 v[12:13], v[12:13], v[92:93]
	s_wait_loadcnt_dscnt 0x100
	v_mul_f64_e32 v[64:65], v[8:9], v[78:79]
	v_mul_f64_e32 v[70:71], v[10:11], v[78:79]
	s_delay_alu instid0(VALU_DEP_4) | instskip(NEXT) | instid1(VALU_DEP_4)
	v_add_f64_e32 v[4:5], v[4:5], v[68:69]
	v_add_f64_e32 v[12:13], v[12:13], v[94:95]
	s_delay_alu instid0(VALU_DEP_4) | instskip(NEXT) | instid1(VALU_DEP_4)
	v_fmac_f64_e32 v[64:65], v[10:11], v[76:77]
	v_fma_f64 v[8:9], v[8:9], v[76:77], -v[70:71]
	s_delay_alu instid0(VALU_DEP_4) | instskip(NEXT) | instid1(VALU_DEP_4)
	v_add_f64_e32 v[4:5], v[4:5], v[72:73]
	v_add_f64_e32 v[10:11], v[12:13], v[66:67]
	s_delay_alu instid0(VALU_DEP_2) | instskip(NEXT) | instid1(VALU_DEP_2)
	v_add_f64_e32 v[4:5], v[4:5], v[8:9]
	v_add_f64_e32 v[10:11], v[10:11], v[64:65]
	s_wait_loadcnt 0x0
	s_delay_alu instid0(VALU_DEP_2) | instskip(NEXT) | instid1(VALU_DEP_2)
	v_add_f64_e64 v[8:9], v[80:81], -v[4:5]
	v_add_f64_e64 v[10:11], v[82:83], -v[10:11]
	scratch_store_b128 off, v[8:11], off offset:304
	s_wait_xcnt 0x0
	v_cmpx_lt_u32_e32 18, v1
	s_cbranch_execz .LBB88_127
; %bb.126:
	scratch_load_b128 v[8:11], off, s19
	v_dual_mov_b32 v3, v2 :: v_dual_mov_b32 v4, v2
	v_mov_b32_e32 v5, v2
	scratch_store_b128 off, v[2:5], off offset:288
	s_wait_loadcnt 0x0
	ds_store_b128 v6, v[8:11]
.LBB88_127:
	s_wait_xcnt 0x0
	s_or_b32 exec_lo, exec_lo, s2
	s_wait_storecnt_dscnt 0x0
	s_barrier_signal -1
	s_barrier_wait -1
	s_clause 0x6
	scratch_load_b128 v[8:11], off, off offset:304
	scratch_load_b128 v[64:67], off, off offset:320
	;; [unrolled: 1-line block ×7, first 2 shown]
	ds_load_b128 v[88:91], v2 offset:704
	ds_load_b128 v[92:95], v2 offset:720
	s_mov_b32 s2, exec_lo
	s_wait_loadcnt_dscnt 0x601
	v_mul_f64_e32 v[4:5], v[90:91], v[10:11]
	v_mul_f64_e32 v[12:13], v[88:89], v[10:11]
	s_wait_loadcnt_dscnt 0x500
	v_mul_f64_e32 v[96:97], v[92:93], v[66:67]
	v_mul_f64_e32 v[66:67], v[94:95], v[66:67]
	s_delay_alu instid0(VALU_DEP_4) | instskip(NEXT) | instid1(VALU_DEP_4)
	v_fma_f64 v[4:5], v[88:89], v[8:9], -v[4:5]
	v_fmac_f64_e32 v[12:13], v[90:91], v[8:9]
	ds_load_b128 v[8:11], v2 offset:736
	ds_load_b128 v[88:91], v2 offset:752
	v_fmac_f64_e32 v[96:97], v[94:95], v[64:65]
	v_fma_f64 v[64:65], v[92:93], v[64:65], -v[66:67]
	s_wait_loadcnt_dscnt 0x401
	v_mul_f64_e32 v[98:99], v[8:9], v[70:71]
	v_mul_f64_e32 v[70:71], v[10:11], v[70:71]
	s_wait_loadcnt_dscnt 0x300
	v_mul_f64_e32 v[66:67], v[88:89], v[74:75]
	v_mul_f64_e32 v[74:75], v[90:91], v[74:75]
	v_add_f64_e32 v[4:5], 0, v[4:5]
	v_add_f64_e32 v[12:13], 0, v[12:13]
	v_fmac_f64_e32 v[98:99], v[10:11], v[68:69]
	v_fma_f64 v[68:69], v[8:9], v[68:69], -v[70:71]
	v_fmac_f64_e32 v[66:67], v[90:91], v[72:73]
	v_fma_f64 v[72:73], v[88:89], v[72:73], -v[74:75]
	v_add_f64_e32 v[64:65], v[4:5], v[64:65]
	v_add_f64_e32 v[12:13], v[12:13], v[96:97]
	ds_load_b128 v[8:11], v2 offset:768
	ds_load_b128 v[2:5], v2 offset:784
	s_wait_loadcnt_dscnt 0x201
	v_mul_f64_e32 v[70:71], v[8:9], v[78:79]
	v_mul_f64_e32 v[78:79], v[10:11], v[78:79]
	s_wait_loadcnt_dscnt 0x100
	v_mul_f64_e32 v[74:75], v[4:5], v[82:83]
	v_add_f64_e32 v[64:65], v[64:65], v[68:69]
	v_add_f64_e32 v[12:13], v[12:13], v[98:99]
	v_mul_f64_e32 v[68:69], v[2:3], v[82:83]
	v_fmac_f64_e32 v[70:71], v[10:11], v[76:77]
	v_fma_f64 v[8:9], v[8:9], v[76:77], -v[78:79]
	v_fma_f64 v[2:3], v[2:3], v[80:81], -v[74:75]
	v_add_f64_e32 v[10:11], v[64:65], v[72:73]
	v_add_f64_e32 v[12:13], v[12:13], v[66:67]
	v_fmac_f64_e32 v[68:69], v[4:5], v[80:81]
	s_delay_alu instid0(VALU_DEP_3) | instskip(NEXT) | instid1(VALU_DEP_3)
	v_add_f64_e32 v[4:5], v[10:11], v[8:9]
	v_add_f64_e32 v[8:9], v[12:13], v[70:71]
	s_delay_alu instid0(VALU_DEP_2) | instskip(NEXT) | instid1(VALU_DEP_2)
	v_add_f64_e32 v[2:3], v[4:5], v[2:3]
	v_add_f64_e32 v[4:5], v[8:9], v[68:69]
	s_wait_loadcnt 0x0
	s_delay_alu instid0(VALU_DEP_2) | instskip(NEXT) | instid1(VALU_DEP_2)
	v_add_f64_e64 v[2:3], v[84:85], -v[2:3]
	v_add_f64_e64 v[4:5], v[86:87], -v[4:5]
	scratch_store_b128 off, v[2:5], off offset:288
	s_wait_xcnt 0x0
	v_cmpx_lt_u32_e32 17, v1
	s_cbranch_execz .LBB88_129
; %bb.128:
	scratch_load_b128 v[2:5], off, s30
	v_mov_b32_e32 v8, 0
	s_delay_alu instid0(VALU_DEP_1)
	v_dual_mov_b32 v9, v8 :: v_dual_mov_b32 v10, v8
	v_mov_b32_e32 v11, v8
	scratch_store_b128 off, v[8:11], off offset:272
	s_wait_loadcnt 0x0
	ds_store_b128 v6, v[2:5]
.LBB88_129:
	s_wait_xcnt 0x0
	s_or_b32 exec_lo, exec_lo, s2
	s_wait_storecnt_dscnt 0x0
	s_barrier_signal -1
	s_barrier_wait -1
	s_clause 0x7
	scratch_load_b128 v[8:11], off, off offset:288
	scratch_load_b128 v[64:67], off, off offset:304
	;; [unrolled: 1-line block ×8, first 2 shown]
	v_mov_b32_e32 v2, 0
	ds_load_b128 v[92:95], v2 offset:688
	ds_load_b128 v[96:99], v2 offset:704
	s_mov_b32 s2, exec_lo
	s_wait_loadcnt_dscnt 0x701
	v_mul_f64_e32 v[4:5], v[94:95], v[10:11]
	v_mul_f64_e32 v[12:13], v[92:93], v[10:11]
	s_wait_loadcnt_dscnt 0x600
	v_mul_f64_e32 v[100:101], v[96:97], v[66:67]
	v_mul_f64_e32 v[66:67], v[98:99], v[66:67]
	s_delay_alu instid0(VALU_DEP_4) | instskip(NEXT) | instid1(VALU_DEP_4)
	v_fma_f64 v[4:5], v[92:93], v[8:9], -v[4:5]
	v_fmac_f64_e32 v[12:13], v[94:95], v[8:9]
	ds_load_b128 v[8:11], v2 offset:720
	ds_load_b128 v[92:95], v2 offset:736
	v_fmac_f64_e32 v[100:101], v[98:99], v[64:65]
	v_fma_f64 v[64:65], v[96:97], v[64:65], -v[66:67]
	s_wait_loadcnt_dscnt 0x501
	v_mul_f64_e32 v[102:103], v[8:9], v[70:71]
	v_mul_f64_e32 v[70:71], v[10:11], v[70:71]
	s_wait_loadcnt_dscnt 0x400
	v_mul_f64_e32 v[96:97], v[92:93], v[74:75]
	v_mul_f64_e32 v[74:75], v[94:95], v[74:75]
	v_add_f64_e32 v[4:5], 0, v[4:5]
	v_add_f64_e32 v[12:13], 0, v[12:13]
	v_fmac_f64_e32 v[102:103], v[10:11], v[68:69]
	v_fma_f64 v[68:69], v[8:9], v[68:69], -v[70:71]
	v_fmac_f64_e32 v[96:97], v[94:95], v[72:73]
	v_fma_f64 v[72:73], v[92:93], v[72:73], -v[74:75]
	v_add_f64_e32 v[4:5], v[4:5], v[64:65]
	v_add_f64_e32 v[12:13], v[12:13], v[100:101]
	ds_load_b128 v[8:11], v2 offset:752
	ds_load_b128 v[64:67], v2 offset:768
	s_wait_loadcnt_dscnt 0x301
	v_mul_f64_e32 v[70:71], v[8:9], v[78:79]
	v_mul_f64_e32 v[78:79], v[10:11], v[78:79]
	s_wait_loadcnt_dscnt 0x200
	v_mul_f64_e32 v[74:75], v[66:67], v[82:83]
	v_add_f64_e32 v[4:5], v[4:5], v[68:69]
	v_add_f64_e32 v[12:13], v[12:13], v[102:103]
	v_mul_f64_e32 v[68:69], v[64:65], v[82:83]
	v_fmac_f64_e32 v[70:71], v[10:11], v[76:77]
	v_fma_f64 v[76:77], v[8:9], v[76:77], -v[78:79]
	ds_load_b128 v[8:11], v2 offset:784
	v_fma_f64 v[64:65], v[64:65], v[80:81], -v[74:75]
	v_add_f64_e32 v[4:5], v[4:5], v[72:73]
	v_add_f64_e32 v[12:13], v[12:13], v[96:97]
	v_fmac_f64_e32 v[68:69], v[66:67], v[80:81]
	s_wait_loadcnt_dscnt 0x100
	v_mul_f64_e32 v[72:73], v[8:9], v[86:87]
	v_mul_f64_e32 v[78:79], v[10:11], v[86:87]
	v_add_f64_e32 v[4:5], v[4:5], v[76:77]
	v_add_f64_e32 v[12:13], v[12:13], v[70:71]
	s_delay_alu instid0(VALU_DEP_4) | instskip(NEXT) | instid1(VALU_DEP_4)
	v_fmac_f64_e32 v[72:73], v[10:11], v[84:85]
	v_fma_f64 v[8:9], v[8:9], v[84:85], -v[78:79]
	s_delay_alu instid0(VALU_DEP_4) | instskip(NEXT) | instid1(VALU_DEP_4)
	v_add_f64_e32 v[4:5], v[4:5], v[64:65]
	v_add_f64_e32 v[10:11], v[12:13], v[68:69]
	s_delay_alu instid0(VALU_DEP_2) | instskip(NEXT) | instid1(VALU_DEP_2)
	v_add_f64_e32 v[4:5], v[4:5], v[8:9]
	v_add_f64_e32 v[10:11], v[10:11], v[72:73]
	s_wait_loadcnt 0x0
	s_delay_alu instid0(VALU_DEP_2) | instskip(NEXT) | instid1(VALU_DEP_2)
	v_add_f64_e64 v[8:9], v[88:89], -v[4:5]
	v_add_f64_e64 v[10:11], v[90:91], -v[10:11]
	scratch_store_b128 off, v[8:11], off offset:272
	s_wait_xcnt 0x0
	v_cmpx_lt_u32_e32 16, v1
	s_cbranch_execz .LBB88_131
; %bb.130:
	scratch_load_b128 v[8:11], off, s18
	v_dual_mov_b32 v3, v2 :: v_dual_mov_b32 v4, v2
	v_mov_b32_e32 v5, v2
	scratch_store_b128 off, v[2:5], off offset:256
	s_wait_loadcnt 0x0
	ds_store_b128 v6, v[8:11]
.LBB88_131:
	s_wait_xcnt 0x0
	s_or_b32 exec_lo, exec_lo, s2
	s_wait_storecnt_dscnt 0x0
	s_barrier_signal -1
	s_barrier_wait -1
	s_clause 0x7
	scratch_load_b128 v[8:11], off, off offset:272
	scratch_load_b128 v[64:67], off, off offset:288
	;; [unrolled: 1-line block ×8, first 2 shown]
	ds_load_b128 v[92:95], v2 offset:672
	ds_load_b128 v[96:99], v2 offset:688
	scratch_load_b128 v[100:103], off, off offset:256
	s_mov_b32 s2, exec_lo
	s_wait_loadcnt_dscnt 0x801
	v_mul_f64_e32 v[4:5], v[94:95], v[10:11]
	v_mul_f64_e32 v[12:13], v[92:93], v[10:11]
	s_wait_loadcnt_dscnt 0x700
	v_mul_f64_e32 v[104:105], v[96:97], v[66:67]
	v_mul_f64_e32 v[66:67], v[98:99], v[66:67]
	s_delay_alu instid0(VALU_DEP_4) | instskip(NEXT) | instid1(VALU_DEP_4)
	v_fma_f64 v[4:5], v[92:93], v[8:9], -v[4:5]
	v_fmac_f64_e32 v[12:13], v[94:95], v[8:9]
	ds_load_b128 v[8:11], v2 offset:704
	ds_load_b128 v[92:95], v2 offset:720
	v_fmac_f64_e32 v[104:105], v[98:99], v[64:65]
	v_fma_f64 v[64:65], v[96:97], v[64:65], -v[66:67]
	s_wait_loadcnt_dscnt 0x601
	v_mul_f64_e32 v[106:107], v[8:9], v[70:71]
	v_mul_f64_e32 v[70:71], v[10:11], v[70:71]
	s_wait_loadcnt_dscnt 0x500
	v_mul_f64_e32 v[96:97], v[92:93], v[74:75]
	v_mul_f64_e32 v[74:75], v[94:95], v[74:75]
	v_add_f64_e32 v[4:5], 0, v[4:5]
	v_add_f64_e32 v[12:13], 0, v[12:13]
	v_fmac_f64_e32 v[106:107], v[10:11], v[68:69]
	v_fma_f64 v[68:69], v[8:9], v[68:69], -v[70:71]
	v_fmac_f64_e32 v[96:97], v[94:95], v[72:73]
	v_fma_f64 v[72:73], v[92:93], v[72:73], -v[74:75]
	v_add_f64_e32 v[4:5], v[4:5], v[64:65]
	v_add_f64_e32 v[12:13], v[12:13], v[104:105]
	ds_load_b128 v[8:11], v2 offset:736
	ds_load_b128 v[64:67], v2 offset:752
	s_wait_loadcnt_dscnt 0x401
	v_mul_f64_e32 v[70:71], v[8:9], v[78:79]
	v_mul_f64_e32 v[78:79], v[10:11], v[78:79]
	s_wait_loadcnt_dscnt 0x300
	v_mul_f64_e32 v[74:75], v[66:67], v[82:83]
	v_add_f64_e32 v[4:5], v[4:5], v[68:69]
	v_add_f64_e32 v[12:13], v[12:13], v[106:107]
	v_mul_f64_e32 v[68:69], v[64:65], v[82:83]
	v_fmac_f64_e32 v[70:71], v[10:11], v[76:77]
	v_fma_f64 v[76:77], v[8:9], v[76:77], -v[78:79]
	v_fma_f64 v[64:65], v[64:65], v[80:81], -v[74:75]
	v_add_f64_e32 v[72:73], v[4:5], v[72:73]
	v_add_f64_e32 v[12:13], v[12:13], v[96:97]
	ds_load_b128 v[8:11], v2 offset:768
	ds_load_b128 v[2:5], v2 offset:784
	v_fmac_f64_e32 v[68:69], v[66:67], v[80:81]
	s_wait_loadcnt_dscnt 0x201
	v_mul_f64_e32 v[78:79], v[8:9], v[86:87]
	v_mul_f64_e32 v[82:83], v[10:11], v[86:87]
	v_add_f64_e32 v[66:67], v[72:73], v[76:77]
	v_add_f64_e32 v[12:13], v[12:13], v[70:71]
	s_wait_loadcnt_dscnt 0x100
	v_mul_f64_e32 v[70:71], v[2:3], v[90:91]
	v_mul_f64_e32 v[72:73], v[4:5], v[90:91]
	v_fmac_f64_e32 v[78:79], v[10:11], v[84:85]
	v_fma_f64 v[8:9], v[8:9], v[84:85], -v[82:83]
	v_add_f64_e32 v[10:11], v[66:67], v[64:65]
	v_add_f64_e32 v[12:13], v[12:13], v[68:69]
	v_fmac_f64_e32 v[70:71], v[4:5], v[88:89]
	v_fma_f64 v[2:3], v[2:3], v[88:89], -v[72:73]
	s_delay_alu instid0(VALU_DEP_4) | instskip(NEXT) | instid1(VALU_DEP_4)
	v_add_f64_e32 v[4:5], v[10:11], v[8:9]
	v_add_f64_e32 v[8:9], v[12:13], v[78:79]
	s_delay_alu instid0(VALU_DEP_2) | instskip(NEXT) | instid1(VALU_DEP_2)
	v_add_f64_e32 v[2:3], v[4:5], v[2:3]
	v_add_f64_e32 v[4:5], v[8:9], v[70:71]
	s_wait_loadcnt 0x0
	s_delay_alu instid0(VALU_DEP_2) | instskip(NEXT) | instid1(VALU_DEP_2)
	v_add_f64_e64 v[2:3], v[100:101], -v[2:3]
	v_add_f64_e64 v[4:5], v[102:103], -v[4:5]
	scratch_store_b128 off, v[2:5], off offset:256
	s_wait_xcnt 0x0
	v_cmpx_lt_u32_e32 15, v1
	s_cbranch_execz .LBB88_133
; %bb.132:
	scratch_load_b128 v[2:5], off, s29
	v_mov_b32_e32 v8, 0
	s_delay_alu instid0(VALU_DEP_1)
	v_dual_mov_b32 v9, v8 :: v_dual_mov_b32 v10, v8
	v_mov_b32_e32 v11, v8
	scratch_store_b128 off, v[8:11], off offset:240
	s_wait_loadcnt 0x0
	ds_store_b128 v6, v[2:5]
.LBB88_133:
	s_wait_xcnt 0x0
	s_or_b32 exec_lo, exec_lo, s2
	s_wait_storecnt_dscnt 0x0
	s_barrier_signal -1
	s_barrier_wait -1
	s_clause 0x8
	scratch_load_b128 v[8:11], off, off offset:256
	scratch_load_b128 v[64:67], off, off offset:272
	;; [unrolled: 1-line block ×9, first 2 shown]
	v_mov_b32_e32 v2, 0
	scratch_load_b128 v[100:103], off, off offset:240
	s_mov_b32 s2, exec_lo
	ds_load_b128 v[96:99], v2 offset:656
	ds_load_b128 v[104:107], v2 offset:672
	s_wait_loadcnt_dscnt 0x901
	v_mul_f64_e32 v[4:5], v[98:99], v[10:11]
	v_mul_f64_e32 v[12:13], v[96:97], v[10:11]
	s_wait_loadcnt_dscnt 0x800
	v_mul_f64_e32 v[108:109], v[104:105], v[66:67]
	v_mul_f64_e32 v[66:67], v[106:107], v[66:67]
	s_delay_alu instid0(VALU_DEP_4) | instskip(NEXT) | instid1(VALU_DEP_4)
	v_fma_f64 v[4:5], v[96:97], v[8:9], -v[4:5]
	v_fmac_f64_e32 v[12:13], v[98:99], v[8:9]
	ds_load_b128 v[8:11], v2 offset:688
	ds_load_b128 v[96:99], v2 offset:704
	v_fmac_f64_e32 v[108:109], v[106:107], v[64:65]
	v_fma_f64 v[64:65], v[104:105], v[64:65], -v[66:67]
	s_wait_loadcnt_dscnt 0x701
	v_mul_f64_e32 v[110:111], v[8:9], v[70:71]
	v_mul_f64_e32 v[70:71], v[10:11], v[70:71]
	s_wait_loadcnt_dscnt 0x600
	v_mul_f64_e32 v[104:105], v[96:97], v[74:75]
	v_mul_f64_e32 v[74:75], v[98:99], v[74:75]
	v_add_f64_e32 v[4:5], 0, v[4:5]
	v_add_f64_e32 v[12:13], 0, v[12:13]
	v_fmac_f64_e32 v[110:111], v[10:11], v[68:69]
	v_fma_f64 v[68:69], v[8:9], v[68:69], -v[70:71]
	v_fmac_f64_e32 v[104:105], v[98:99], v[72:73]
	v_fma_f64 v[72:73], v[96:97], v[72:73], -v[74:75]
	v_add_f64_e32 v[4:5], v[4:5], v[64:65]
	v_add_f64_e32 v[12:13], v[12:13], v[108:109]
	ds_load_b128 v[8:11], v2 offset:720
	ds_load_b128 v[64:67], v2 offset:736
	s_wait_loadcnt_dscnt 0x501
	v_mul_f64_e32 v[106:107], v[8:9], v[78:79]
	v_mul_f64_e32 v[70:71], v[10:11], v[78:79]
	s_wait_loadcnt_dscnt 0x400
	v_mul_f64_e32 v[74:75], v[64:65], v[82:83]
	v_mul_f64_e32 v[78:79], v[66:67], v[82:83]
	v_add_f64_e32 v[4:5], v[4:5], v[68:69]
	v_add_f64_e32 v[12:13], v[12:13], v[110:111]
	v_fmac_f64_e32 v[106:107], v[10:11], v[76:77]
	v_fma_f64 v[76:77], v[8:9], v[76:77], -v[70:71]
	ds_load_b128 v[8:11], v2 offset:752
	ds_load_b128 v[68:71], v2 offset:768
	v_fmac_f64_e32 v[74:75], v[66:67], v[80:81]
	v_fma_f64 v[64:65], v[64:65], v[80:81], -v[78:79]
	v_add_f64_e32 v[4:5], v[4:5], v[72:73]
	v_add_f64_e32 v[12:13], v[12:13], v[104:105]
	s_wait_loadcnt_dscnt 0x301
	v_mul_f64_e32 v[72:73], v[8:9], v[86:87]
	v_mul_f64_e32 v[82:83], v[10:11], v[86:87]
	s_wait_loadcnt_dscnt 0x200
	v_mul_f64_e32 v[66:67], v[68:69], v[90:91]
	v_add_f64_e32 v[4:5], v[4:5], v[76:77]
	v_add_f64_e32 v[12:13], v[12:13], v[106:107]
	v_mul_f64_e32 v[76:77], v[70:71], v[90:91]
	v_fmac_f64_e32 v[72:73], v[10:11], v[84:85]
	v_fma_f64 v[78:79], v[8:9], v[84:85], -v[82:83]
	ds_load_b128 v[8:11], v2 offset:784
	v_fmac_f64_e32 v[66:67], v[70:71], v[88:89]
	v_add_f64_e32 v[4:5], v[4:5], v[64:65]
	v_add_f64_e32 v[12:13], v[12:13], v[74:75]
	s_wait_loadcnt_dscnt 0x100
	v_mul_f64_e32 v[64:65], v[8:9], v[94:95]
	v_mul_f64_e32 v[74:75], v[10:11], v[94:95]
	v_fma_f64 v[68:69], v[68:69], v[88:89], -v[76:77]
	v_add_f64_e32 v[4:5], v[4:5], v[78:79]
	v_add_f64_e32 v[12:13], v[12:13], v[72:73]
	v_fmac_f64_e32 v[64:65], v[10:11], v[92:93]
	v_fma_f64 v[8:9], v[8:9], v[92:93], -v[74:75]
	s_delay_alu instid0(VALU_DEP_4) | instskip(NEXT) | instid1(VALU_DEP_4)
	v_add_f64_e32 v[4:5], v[4:5], v[68:69]
	v_add_f64_e32 v[10:11], v[12:13], v[66:67]
	s_delay_alu instid0(VALU_DEP_2) | instskip(NEXT) | instid1(VALU_DEP_2)
	v_add_f64_e32 v[4:5], v[4:5], v[8:9]
	v_add_f64_e32 v[10:11], v[10:11], v[64:65]
	s_wait_loadcnt 0x0
	s_delay_alu instid0(VALU_DEP_2) | instskip(NEXT) | instid1(VALU_DEP_2)
	v_add_f64_e64 v[8:9], v[100:101], -v[4:5]
	v_add_f64_e64 v[10:11], v[102:103], -v[10:11]
	scratch_store_b128 off, v[8:11], off offset:240
	s_wait_xcnt 0x0
	v_cmpx_lt_u32_e32 14, v1
	s_cbranch_execz .LBB88_135
; %bb.134:
	scratch_load_b128 v[8:11], off, s17
	v_dual_mov_b32 v3, v2 :: v_dual_mov_b32 v4, v2
	v_mov_b32_e32 v5, v2
	scratch_store_b128 off, v[2:5], off offset:224
	s_wait_loadcnt 0x0
	ds_store_b128 v6, v[8:11]
.LBB88_135:
	s_wait_xcnt 0x0
	s_or_b32 exec_lo, exec_lo, s2
	s_wait_storecnt_dscnt 0x0
	s_barrier_signal -1
	s_barrier_wait -1
	s_clause 0x9
	scratch_load_b128 v[8:11], off, off offset:240
	scratch_load_b128 v[64:67], off, off offset:256
	;; [unrolled: 1-line block ×10, first 2 shown]
	ds_load_b128 v[100:103], v2 offset:640
	ds_load_b128 v[104:107], v2 offset:656
	scratch_load_b128 v[108:111], off, off offset:224
	s_mov_b32 s2, exec_lo
	s_wait_loadcnt_dscnt 0xa01
	v_mul_f64_e32 v[4:5], v[102:103], v[10:11]
	v_mul_f64_e32 v[12:13], v[100:101], v[10:11]
	s_wait_loadcnt_dscnt 0x900
	v_mul_f64_e32 v[112:113], v[104:105], v[66:67]
	v_mul_f64_e32 v[66:67], v[106:107], v[66:67]
	s_delay_alu instid0(VALU_DEP_4) | instskip(NEXT) | instid1(VALU_DEP_4)
	v_fma_f64 v[4:5], v[100:101], v[8:9], -v[4:5]
	v_fmac_f64_e32 v[12:13], v[102:103], v[8:9]
	ds_load_b128 v[8:11], v2 offset:672
	ds_load_b128 v[100:103], v2 offset:688
	v_fmac_f64_e32 v[112:113], v[106:107], v[64:65]
	v_fma_f64 v[64:65], v[104:105], v[64:65], -v[66:67]
	s_wait_loadcnt_dscnt 0x801
	v_mul_f64_e32 v[114:115], v[8:9], v[70:71]
	v_mul_f64_e32 v[70:71], v[10:11], v[70:71]
	s_wait_loadcnt_dscnt 0x700
	v_mul_f64_e32 v[104:105], v[100:101], v[74:75]
	v_mul_f64_e32 v[74:75], v[102:103], v[74:75]
	v_add_f64_e32 v[4:5], 0, v[4:5]
	v_add_f64_e32 v[12:13], 0, v[12:13]
	v_fmac_f64_e32 v[114:115], v[10:11], v[68:69]
	v_fma_f64 v[68:69], v[8:9], v[68:69], -v[70:71]
	v_fmac_f64_e32 v[104:105], v[102:103], v[72:73]
	v_fma_f64 v[72:73], v[100:101], v[72:73], -v[74:75]
	v_add_f64_e32 v[4:5], v[4:5], v[64:65]
	v_add_f64_e32 v[12:13], v[12:13], v[112:113]
	ds_load_b128 v[8:11], v2 offset:704
	ds_load_b128 v[64:67], v2 offset:720
	s_wait_loadcnt_dscnt 0x601
	v_mul_f64_e32 v[106:107], v[8:9], v[78:79]
	v_mul_f64_e32 v[70:71], v[10:11], v[78:79]
	s_wait_loadcnt_dscnt 0x500
	v_mul_f64_e32 v[74:75], v[64:65], v[82:83]
	v_mul_f64_e32 v[78:79], v[66:67], v[82:83]
	v_add_f64_e32 v[4:5], v[4:5], v[68:69]
	v_add_f64_e32 v[12:13], v[12:13], v[114:115]
	v_fmac_f64_e32 v[106:107], v[10:11], v[76:77]
	v_fma_f64 v[76:77], v[8:9], v[76:77], -v[70:71]
	ds_load_b128 v[8:11], v2 offset:736
	ds_load_b128 v[68:71], v2 offset:752
	v_fmac_f64_e32 v[74:75], v[66:67], v[80:81]
	v_fma_f64 v[64:65], v[64:65], v[80:81], -v[78:79]
	v_add_f64_e32 v[4:5], v[4:5], v[72:73]
	v_add_f64_e32 v[12:13], v[12:13], v[104:105]
	s_wait_loadcnt_dscnt 0x401
	v_mul_f64_e32 v[72:73], v[8:9], v[86:87]
	v_mul_f64_e32 v[82:83], v[10:11], v[86:87]
	s_wait_loadcnt_dscnt 0x300
	v_mul_f64_e32 v[66:67], v[68:69], v[90:91]
	v_add_f64_e32 v[4:5], v[4:5], v[76:77]
	v_add_f64_e32 v[12:13], v[12:13], v[106:107]
	v_mul_f64_e32 v[76:77], v[70:71], v[90:91]
	v_fmac_f64_e32 v[72:73], v[10:11], v[84:85]
	v_fma_f64 v[78:79], v[8:9], v[84:85], -v[82:83]
	v_fmac_f64_e32 v[66:67], v[70:71], v[88:89]
	v_add_f64_e32 v[64:65], v[4:5], v[64:65]
	v_add_f64_e32 v[12:13], v[12:13], v[74:75]
	ds_load_b128 v[8:11], v2 offset:768
	ds_load_b128 v[2:5], v2 offset:784
	v_fma_f64 v[68:69], v[68:69], v[88:89], -v[76:77]
	s_wait_loadcnt_dscnt 0x201
	v_mul_f64_e32 v[74:75], v[8:9], v[94:95]
	v_mul_f64_e32 v[80:81], v[10:11], v[94:95]
	s_wait_loadcnt_dscnt 0x100
	v_mul_f64_e32 v[70:71], v[2:3], v[98:99]
	v_add_f64_e32 v[64:65], v[64:65], v[78:79]
	v_add_f64_e32 v[12:13], v[12:13], v[72:73]
	v_mul_f64_e32 v[72:73], v[4:5], v[98:99]
	v_fmac_f64_e32 v[74:75], v[10:11], v[92:93]
	v_fma_f64 v[8:9], v[8:9], v[92:93], -v[80:81]
	v_fmac_f64_e32 v[70:71], v[4:5], v[96:97]
	v_add_f64_e32 v[10:11], v[64:65], v[68:69]
	v_add_f64_e32 v[12:13], v[12:13], v[66:67]
	v_fma_f64 v[2:3], v[2:3], v[96:97], -v[72:73]
	s_delay_alu instid0(VALU_DEP_3) | instskip(NEXT) | instid1(VALU_DEP_3)
	v_add_f64_e32 v[4:5], v[10:11], v[8:9]
	v_add_f64_e32 v[8:9], v[12:13], v[74:75]
	s_delay_alu instid0(VALU_DEP_2) | instskip(NEXT) | instid1(VALU_DEP_2)
	v_add_f64_e32 v[2:3], v[4:5], v[2:3]
	v_add_f64_e32 v[4:5], v[8:9], v[70:71]
	s_wait_loadcnt 0x0
	s_delay_alu instid0(VALU_DEP_2) | instskip(NEXT) | instid1(VALU_DEP_2)
	v_add_f64_e64 v[2:3], v[108:109], -v[2:3]
	v_add_f64_e64 v[4:5], v[110:111], -v[4:5]
	scratch_store_b128 off, v[2:5], off offset:224
	s_wait_xcnt 0x0
	v_cmpx_lt_u32_e32 13, v1
	s_cbranch_execz .LBB88_137
; %bb.136:
	scratch_load_b128 v[2:5], off, s28
	v_mov_b32_e32 v8, 0
	s_delay_alu instid0(VALU_DEP_1)
	v_dual_mov_b32 v9, v8 :: v_dual_mov_b32 v10, v8
	v_mov_b32_e32 v11, v8
	scratch_store_b128 off, v[8:11], off offset:208
	s_wait_loadcnt 0x0
	ds_store_b128 v6, v[2:5]
.LBB88_137:
	s_wait_xcnt 0x0
	s_or_b32 exec_lo, exec_lo, s2
	s_wait_storecnt_dscnt 0x0
	s_barrier_signal -1
	s_barrier_wait -1
	s_clause 0x9
	scratch_load_b128 v[8:11], off, off offset:224
	scratch_load_b128 v[64:67], off, off offset:240
	;; [unrolled: 1-line block ×10, first 2 shown]
	v_mov_b32_e32 v2, 0
	s_mov_b32 s2, exec_lo
	ds_load_b128 v[100:103], v2 offset:624
	s_clause 0x1
	scratch_load_b128 v[104:107], off, off offset:384
	scratch_load_b128 v[108:111], off, off offset:208
	s_wait_loadcnt_dscnt 0xb00
	v_mul_f64_e32 v[4:5], v[102:103], v[10:11]
	v_mul_f64_e32 v[12:13], v[100:101], v[10:11]
	ds_load_b128 v[112:115], v2 offset:640
	s_wait_loadcnt_dscnt 0xa00
	v_mul_f64_e32 v[116:117], v[112:113], v[66:67]
	v_mul_f64_e32 v[66:67], v[114:115], v[66:67]
	v_fma_f64 v[4:5], v[100:101], v[8:9], -v[4:5]
	v_fmac_f64_e32 v[12:13], v[102:103], v[8:9]
	ds_load_b128 v[8:11], v2 offset:656
	ds_load_b128 v[100:103], v2 offset:672
	s_wait_loadcnt_dscnt 0x901
	v_mul_f64_e32 v[118:119], v[8:9], v[70:71]
	v_mul_f64_e32 v[70:71], v[10:11], v[70:71]
	v_fmac_f64_e32 v[116:117], v[114:115], v[64:65]
	v_fma_f64 v[64:65], v[112:113], v[64:65], -v[66:67]
	s_wait_loadcnt_dscnt 0x800
	v_mul_f64_e32 v[112:113], v[100:101], v[74:75]
	v_mul_f64_e32 v[74:75], v[102:103], v[74:75]
	v_add_f64_e32 v[4:5], 0, v[4:5]
	v_add_f64_e32 v[12:13], 0, v[12:13]
	v_fmac_f64_e32 v[118:119], v[10:11], v[68:69]
	v_fma_f64 v[68:69], v[8:9], v[68:69], -v[70:71]
	v_fmac_f64_e32 v[112:113], v[102:103], v[72:73]
	v_fma_f64 v[72:73], v[100:101], v[72:73], -v[74:75]
	v_add_f64_e32 v[4:5], v[4:5], v[64:65]
	v_add_f64_e32 v[12:13], v[12:13], v[116:117]
	ds_load_b128 v[8:11], v2 offset:688
	ds_load_b128 v[64:67], v2 offset:704
	s_wait_loadcnt_dscnt 0x701
	v_mul_f64_e32 v[114:115], v[8:9], v[78:79]
	v_mul_f64_e32 v[70:71], v[10:11], v[78:79]
	s_wait_loadcnt_dscnt 0x600
	v_mul_f64_e32 v[74:75], v[64:65], v[82:83]
	v_mul_f64_e32 v[78:79], v[66:67], v[82:83]
	v_add_f64_e32 v[4:5], v[4:5], v[68:69]
	v_add_f64_e32 v[12:13], v[12:13], v[118:119]
	v_fmac_f64_e32 v[114:115], v[10:11], v[76:77]
	v_fma_f64 v[76:77], v[8:9], v[76:77], -v[70:71]
	ds_load_b128 v[8:11], v2 offset:720
	ds_load_b128 v[68:71], v2 offset:736
	v_fmac_f64_e32 v[74:75], v[66:67], v[80:81]
	v_fma_f64 v[64:65], v[64:65], v[80:81], -v[78:79]
	v_add_f64_e32 v[4:5], v[4:5], v[72:73]
	v_add_f64_e32 v[12:13], v[12:13], v[112:113]
	s_wait_loadcnt_dscnt 0x501
	v_mul_f64_e32 v[72:73], v[8:9], v[86:87]
	v_mul_f64_e32 v[82:83], v[10:11], v[86:87]
	s_wait_loadcnt_dscnt 0x400
	v_mul_f64_e32 v[78:79], v[70:71], v[90:91]
	v_add_f64_e32 v[4:5], v[4:5], v[76:77]
	v_add_f64_e32 v[12:13], v[12:13], v[114:115]
	v_mul_f64_e32 v[76:77], v[68:69], v[90:91]
	v_fmac_f64_e32 v[72:73], v[10:11], v[84:85]
	v_fma_f64 v[80:81], v[8:9], v[84:85], -v[82:83]
	v_fma_f64 v[68:69], v[68:69], v[88:89], -v[78:79]
	v_add_f64_e32 v[4:5], v[4:5], v[64:65]
	v_add_f64_e32 v[12:13], v[12:13], v[74:75]
	ds_load_b128 v[8:11], v2 offset:752
	ds_load_b128 v[64:67], v2 offset:768
	v_fmac_f64_e32 v[76:77], v[70:71], v[88:89]
	s_wait_loadcnt_dscnt 0x301
	v_mul_f64_e32 v[74:75], v[8:9], v[94:95]
	v_mul_f64_e32 v[82:83], v[10:11], v[94:95]
	s_wait_loadcnt_dscnt 0x200
	v_mul_f64_e32 v[70:71], v[64:65], v[98:99]
	v_add_f64_e32 v[4:5], v[4:5], v[80:81]
	v_add_f64_e32 v[12:13], v[12:13], v[72:73]
	v_mul_f64_e32 v[72:73], v[66:67], v[98:99]
	v_fmac_f64_e32 v[74:75], v[10:11], v[92:93]
	v_fma_f64 v[78:79], v[8:9], v[92:93], -v[82:83]
	ds_load_b128 v[8:11], v2 offset:784
	v_fmac_f64_e32 v[70:71], v[66:67], v[96:97]
	v_add_f64_e32 v[4:5], v[4:5], v[68:69]
	v_add_f64_e32 v[12:13], v[12:13], v[76:77]
	v_fma_f64 v[64:65], v[64:65], v[96:97], -v[72:73]
	s_wait_loadcnt_dscnt 0x100
	v_mul_f64_e32 v[68:69], v[8:9], v[106:107]
	v_mul_f64_e32 v[76:77], v[10:11], v[106:107]
	v_add_f64_e32 v[4:5], v[4:5], v[78:79]
	v_add_f64_e32 v[12:13], v[12:13], v[74:75]
	s_delay_alu instid0(VALU_DEP_4) | instskip(NEXT) | instid1(VALU_DEP_4)
	v_fmac_f64_e32 v[68:69], v[10:11], v[104:105]
	v_fma_f64 v[8:9], v[8:9], v[104:105], -v[76:77]
	s_delay_alu instid0(VALU_DEP_4) | instskip(NEXT) | instid1(VALU_DEP_4)
	v_add_f64_e32 v[4:5], v[4:5], v[64:65]
	v_add_f64_e32 v[10:11], v[12:13], v[70:71]
	s_delay_alu instid0(VALU_DEP_2) | instskip(NEXT) | instid1(VALU_DEP_2)
	v_add_f64_e32 v[4:5], v[4:5], v[8:9]
	v_add_f64_e32 v[10:11], v[10:11], v[68:69]
	s_wait_loadcnt 0x0
	s_delay_alu instid0(VALU_DEP_2) | instskip(NEXT) | instid1(VALU_DEP_2)
	v_add_f64_e64 v[8:9], v[108:109], -v[4:5]
	v_add_f64_e64 v[10:11], v[110:111], -v[10:11]
	scratch_store_b128 off, v[8:11], off offset:208
	s_wait_xcnt 0x0
	v_cmpx_lt_u32_e32 12, v1
	s_cbranch_execz .LBB88_139
; %bb.138:
	scratch_load_b128 v[8:11], off, s16
	v_dual_mov_b32 v3, v2 :: v_dual_mov_b32 v4, v2
	v_mov_b32_e32 v5, v2
	scratch_store_b128 off, v[2:5], off offset:192
	s_wait_loadcnt 0x0
	ds_store_b128 v6, v[8:11]
.LBB88_139:
	s_wait_xcnt 0x0
	s_or_b32 exec_lo, exec_lo, s2
	s_wait_storecnt_dscnt 0x0
	s_barrier_signal -1
	s_barrier_wait -1
	s_clause 0x9
	scratch_load_b128 v[8:11], off, off offset:208
	scratch_load_b128 v[64:67], off, off offset:224
	;; [unrolled: 1-line block ×10, first 2 shown]
	ds_load_b128 v[100:103], v2 offset:608
	ds_load_b128 v[108:111], v2 offset:624
	s_clause 0x1
	scratch_load_b128 v[104:107], off, off offset:368
	scratch_load_b128 v[112:115], off, off offset:192
	s_mov_b32 s2, exec_lo
	s_wait_loadcnt_dscnt 0xb01
	v_mul_f64_e32 v[4:5], v[102:103], v[10:11]
	v_mul_f64_e32 v[120:121], v[100:101], v[10:11]
	scratch_load_b128 v[10:13], off, off offset:384
	s_wait_loadcnt_dscnt 0xb00
	v_mul_f64_e32 v[122:123], v[108:109], v[66:67]
	v_mul_f64_e32 v[66:67], v[110:111], v[66:67]
	v_fma_f64 v[4:5], v[100:101], v[8:9], -v[4:5]
	v_fmac_f64_e32 v[120:121], v[102:103], v[8:9]
	ds_load_b128 v[100:103], v2 offset:640
	ds_load_b128 v[116:119], v2 offset:656
	v_fmac_f64_e32 v[122:123], v[110:111], v[64:65]
	v_fma_f64 v[64:65], v[108:109], v[64:65], -v[66:67]
	s_wait_loadcnt_dscnt 0xa01
	v_mul_f64_e32 v[8:9], v[100:101], v[70:71]
	v_mul_f64_e32 v[70:71], v[102:103], v[70:71]
	s_wait_loadcnt_dscnt 0x900
	v_mul_f64_e32 v[108:109], v[116:117], v[74:75]
	v_mul_f64_e32 v[74:75], v[118:119], v[74:75]
	v_add_f64_e32 v[4:5], 0, v[4:5]
	v_add_f64_e32 v[66:67], 0, v[120:121]
	v_fmac_f64_e32 v[8:9], v[102:103], v[68:69]
	v_fma_f64 v[100:101], v[100:101], v[68:69], -v[70:71]
	v_fmac_f64_e32 v[108:109], v[118:119], v[72:73]
	v_fma_f64 v[72:73], v[116:117], v[72:73], -v[74:75]
	v_add_f64_e32 v[4:5], v[4:5], v[64:65]
	v_add_f64_e32 v[102:103], v[66:67], v[122:123]
	ds_load_b128 v[64:67], v2 offset:672
	ds_load_b128 v[68:71], v2 offset:688
	s_wait_loadcnt_dscnt 0x801
	v_mul_f64_e32 v[110:111], v[64:65], v[78:79]
	v_mul_f64_e32 v[78:79], v[66:67], v[78:79]
	v_add_f64_e32 v[4:5], v[4:5], v[100:101]
	v_add_f64_e32 v[8:9], v[102:103], v[8:9]
	s_wait_loadcnt_dscnt 0x700
	v_mul_f64_e32 v[100:101], v[68:69], v[82:83]
	v_mul_f64_e32 v[82:83], v[70:71], v[82:83]
	v_fmac_f64_e32 v[110:111], v[66:67], v[76:77]
	v_fma_f64 v[76:77], v[64:65], v[76:77], -v[78:79]
	v_add_f64_e32 v[4:5], v[4:5], v[72:73]
	v_add_f64_e32 v[8:9], v[8:9], v[108:109]
	ds_load_b128 v[64:67], v2 offset:704
	ds_load_b128 v[72:75], v2 offset:720
	v_fmac_f64_e32 v[100:101], v[70:71], v[80:81]
	v_fma_f64 v[68:69], v[68:69], v[80:81], -v[82:83]
	s_wait_loadcnt_dscnt 0x601
	v_mul_f64_e32 v[78:79], v[64:65], v[86:87]
	v_mul_f64_e32 v[86:87], v[66:67], v[86:87]
	s_wait_loadcnt_dscnt 0x500
	v_mul_f64_e32 v[80:81], v[74:75], v[90:91]
	v_add_f64_e32 v[4:5], v[4:5], v[76:77]
	v_add_f64_e32 v[8:9], v[8:9], v[110:111]
	v_mul_f64_e32 v[76:77], v[72:73], v[90:91]
	v_fmac_f64_e32 v[78:79], v[66:67], v[84:85]
	v_fma_f64 v[82:83], v[64:65], v[84:85], -v[86:87]
	v_fma_f64 v[72:73], v[72:73], v[88:89], -v[80:81]
	v_add_f64_e32 v[4:5], v[4:5], v[68:69]
	v_add_f64_e32 v[8:9], v[8:9], v[100:101]
	ds_load_b128 v[64:67], v2 offset:736
	ds_load_b128 v[68:71], v2 offset:752
	v_fmac_f64_e32 v[76:77], v[74:75], v[88:89]
	s_wait_loadcnt_dscnt 0x401
	v_mul_f64_e32 v[84:85], v[64:65], v[94:95]
	v_mul_f64_e32 v[86:87], v[66:67], v[94:95]
	s_wait_loadcnt_dscnt 0x300
	v_mul_f64_e32 v[74:75], v[68:69], v[98:99]
	v_add_f64_e32 v[4:5], v[4:5], v[82:83]
	v_add_f64_e32 v[8:9], v[8:9], v[78:79]
	v_mul_f64_e32 v[78:79], v[70:71], v[98:99]
	v_fmac_f64_e32 v[84:85], v[66:67], v[92:93]
	v_fma_f64 v[80:81], v[64:65], v[92:93], -v[86:87]
	v_fmac_f64_e32 v[74:75], v[70:71], v[96:97]
	v_add_f64_e32 v[72:73], v[4:5], v[72:73]
	v_add_f64_e32 v[8:9], v[8:9], v[76:77]
	ds_load_b128 v[64:67], v2 offset:768
	ds_load_b128 v[2:5], v2 offset:784
	v_fma_f64 v[68:69], v[68:69], v[96:97], -v[78:79]
	s_wait_loadcnt_dscnt 0x201
	v_mul_f64_e32 v[76:77], v[64:65], v[106:107]
	v_mul_f64_e32 v[82:83], v[66:67], v[106:107]
	v_add_f64_e32 v[70:71], v[72:73], v[80:81]
	v_add_f64_e32 v[8:9], v[8:9], v[84:85]
	s_wait_loadcnt_dscnt 0x0
	v_mul_f64_e32 v[72:73], v[2:3], v[12:13]
	v_mul_f64_e32 v[12:13], v[4:5], v[12:13]
	v_fmac_f64_e32 v[76:77], v[66:67], v[104:105]
	v_fma_f64 v[64:65], v[64:65], v[104:105], -v[82:83]
	v_add_f64_e32 v[66:67], v[70:71], v[68:69]
	v_add_f64_e32 v[8:9], v[8:9], v[74:75]
	v_fmac_f64_e32 v[72:73], v[4:5], v[10:11]
	v_fma_f64 v[2:3], v[2:3], v[10:11], -v[12:13]
	s_delay_alu instid0(VALU_DEP_4) | instskip(NEXT) | instid1(VALU_DEP_4)
	v_add_f64_e32 v[4:5], v[66:67], v[64:65]
	v_add_f64_e32 v[8:9], v[8:9], v[76:77]
	s_delay_alu instid0(VALU_DEP_2) | instskip(NEXT) | instid1(VALU_DEP_2)
	v_add_f64_e32 v[2:3], v[4:5], v[2:3]
	v_add_f64_e32 v[4:5], v[8:9], v[72:73]
	s_delay_alu instid0(VALU_DEP_2) | instskip(NEXT) | instid1(VALU_DEP_2)
	v_add_f64_e64 v[2:3], v[112:113], -v[2:3]
	v_add_f64_e64 v[4:5], v[114:115], -v[4:5]
	scratch_store_b128 off, v[2:5], off offset:192
	s_wait_xcnt 0x0
	v_cmpx_lt_u32_e32 11, v1
	s_cbranch_execz .LBB88_141
; %bb.140:
	scratch_load_b128 v[2:5], off, s27
	v_mov_b32_e32 v8, 0
	s_delay_alu instid0(VALU_DEP_1)
	v_dual_mov_b32 v9, v8 :: v_dual_mov_b32 v10, v8
	v_mov_b32_e32 v11, v8
	scratch_store_b128 off, v[8:11], off offset:176
	s_wait_loadcnt 0x0
	ds_store_b128 v6, v[2:5]
.LBB88_141:
	s_wait_xcnt 0x0
	s_or_b32 exec_lo, exec_lo, s2
	s_wait_storecnt_dscnt 0x0
	s_barrier_signal -1
	s_barrier_wait -1
	s_clause 0x9
	scratch_load_b128 v[8:11], off, off offset:192
	scratch_load_b128 v[64:67], off, off offset:208
	;; [unrolled: 1-line block ×10, first 2 shown]
	v_mov_b32_e32 v2, 0
	s_mov_b32 s2, exec_lo
	ds_load_b128 v[100:103], v2 offset:592
	s_clause 0x2
	scratch_load_b128 v[104:107], off, off offset:352
	scratch_load_b128 v[108:111], off, off offset:176
	;; [unrolled: 1-line block ×3, first 2 shown]
	s_wait_loadcnt_dscnt 0xc00
	v_mul_f64_e32 v[4:5], v[102:103], v[10:11]
	v_mul_f64_e32 v[124:125], v[100:101], v[10:11]
	ds_load_b128 v[112:115], v2 offset:608
	scratch_load_b128 v[10:13], off, off offset:368
	ds_load_b128 v[120:123], v2 offset:640
	v_fma_f64 v[4:5], v[100:101], v[8:9], -v[4:5]
	v_fmac_f64_e32 v[124:125], v[102:103], v[8:9]
	ds_load_b128 v[100:103], v2 offset:624
	s_wait_loadcnt_dscnt 0xc02
	v_mul_f64_e32 v[126:127], v[112:113], v[66:67]
	v_mul_f64_e32 v[66:67], v[114:115], v[66:67]
	s_wait_loadcnt_dscnt 0xb00
	v_mul_f64_e32 v[8:9], v[100:101], v[70:71]
	v_mul_f64_e32 v[70:71], v[102:103], v[70:71]
	v_add_f64_e32 v[4:5], 0, v[4:5]
	v_fmac_f64_e32 v[126:127], v[114:115], v[64:65]
	v_fma_f64 v[64:65], v[112:113], v[64:65], -v[66:67]
	v_add_f64_e32 v[66:67], 0, v[124:125]
	s_wait_loadcnt 0xa
	v_mul_f64_e32 v[112:113], v[120:121], v[74:75]
	v_mul_f64_e32 v[74:75], v[122:123], v[74:75]
	v_fmac_f64_e32 v[8:9], v[102:103], v[68:69]
	v_fma_f64 v[100:101], v[100:101], v[68:69], -v[70:71]
	v_add_f64_e32 v[4:5], v[4:5], v[64:65]
	v_add_f64_e32 v[102:103], v[66:67], v[126:127]
	ds_load_b128 v[64:67], v2 offset:656
	ds_load_b128 v[68:71], v2 offset:672
	v_fmac_f64_e32 v[112:113], v[122:123], v[72:73]
	v_fma_f64 v[72:73], v[120:121], v[72:73], -v[74:75]
	s_wait_loadcnt_dscnt 0x901
	v_mul_f64_e32 v[114:115], v[64:65], v[78:79]
	v_mul_f64_e32 v[78:79], v[66:67], v[78:79]
	v_add_f64_e32 v[4:5], v[4:5], v[100:101]
	v_add_f64_e32 v[8:9], v[102:103], v[8:9]
	s_wait_loadcnt_dscnt 0x800
	v_mul_f64_e32 v[100:101], v[68:69], v[82:83]
	v_mul_f64_e32 v[82:83], v[70:71], v[82:83]
	v_fmac_f64_e32 v[114:115], v[66:67], v[76:77]
	v_fma_f64 v[76:77], v[64:65], v[76:77], -v[78:79]
	v_add_f64_e32 v[4:5], v[4:5], v[72:73]
	v_add_f64_e32 v[8:9], v[8:9], v[112:113]
	ds_load_b128 v[64:67], v2 offset:688
	ds_load_b128 v[72:75], v2 offset:704
	v_fmac_f64_e32 v[100:101], v[70:71], v[80:81]
	v_fma_f64 v[68:69], v[68:69], v[80:81], -v[82:83]
	s_wait_loadcnt_dscnt 0x701
	v_mul_f64_e32 v[78:79], v[64:65], v[86:87]
	v_mul_f64_e32 v[86:87], v[66:67], v[86:87]
	s_wait_loadcnt_dscnt 0x600
	v_mul_f64_e32 v[80:81], v[74:75], v[90:91]
	v_add_f64_e32 v[4:5], v[4:5], v[76:77]
	v_add_f64_e32 v[8:9], v[8:9], v[114:115]
	v_mul_f64_e32 v[76:77], v[72:73], v[90:91]
	v_fmac_f64_e32 v[78:79], v[66:67], v[84:85]
	v_fma_f64 v[82:83], v[64:65], v[84:85], -v[86:87]
	v_fma_f64 v[72:73], v[72:73], v[88:89], -v[80:81]
	v_add_f64_e32 v[4:5], v[4:5], v[68:69]
	v_add_f64_e32 v[8:9], v[8:9], v[100:101]
	ds_load_b128 v[64:67], v2 offset:720
	ds_load_b128 v[68:71], v2 offset:736
	v_fmac_f64_e32 v[76:77], v[74:75], v[88:89]
	s_wait_loadcnt_dscnt 0x501
	v_mul_f64_e32 v[84:85], v[64:65], v[94:95]
	v_mul_f64_e32 v[86:87], v[66:67], v[94:95]
	s_wait_loadcnt_dscnt 0x400
	v_mul_f64_e32 v[80:81], v[70:71], v[98:99]
	v_add_f64_e32 v[4:5], v[4:5], v[82:83]
	v_add_f64_e32 v[8:9], v[8:9], v[78:79]
	v_mul_f64_e32 v[78:79], v[68:69], v[98:99]
	v_fmac_f64_e32 v[84:85], v[66:67], v[92:93]
	v_fma_f64 v[82:83], v[64:65], v[92:93], -v[86:87]
	v_fma_f64 v[68:69], v[68:69], v[96:97], -v[80:81]
	v_add_f64_e32 v[4:5], v[4:5], v[72:73]
	v_add_f64_e32 v[8:9], v[8:9], v[76:77]
	ds_load_b128 v[64:67], v2 offset:752
	ds_load_b128 v[72:75], v2 offset:768
	v_fmac_f64_e32 v[78:79], v[70:71], v[96:97]
	s_wait_loadcnt_dscnt 0x301
	v_mul_f64_e32 v[76:77], v[64:65], v[106:107]
	v_mul_f64_e32 v[86:87], v[66:67], v[106:107]
	s_wait_loadcnt_dscnt 0x0
	v_mul_f64_e32 v[70:71], v[72:73], v[12:13]
	v_add_f64_e32 v[4:5], v[4:5], v[82:83]
	v_add_f64_e32 v[8:9], v[8:9], v[84:85]
	v_mul_f64_e32 v[12:13], v[74:75], v[12:13]
	v_fmac_f64_e32 v[76:77], v[66:67], v[104:105]
	v_fma_f64 v[80:81], v[64:65], v[104:105], -v[86:87]
	ds_load_b128 v[64:67], v2 offset:784
	v_fmac_f64_e32 v[70:71], v[74:75], v[10:11]
	v_add_f64_e32 v[4:5], v[4:5], v[68:69]
	v_add_f64_e32 v[8:9], v[8:9], v[78:79]
	v_fma_f64 v[10:11], v[72:73], v[10:11], -v[12:13]
	s_wait_dscnt 0x0
	v_mul_f64_e32 v[68:69], v[64:65], v[118:119]
	v_mul_f64_e32 v[78:79], v[66:67], v[118:119]
	v_add_f64_e32 v[4:5], v[4:5], v[80:81]
	v_add_f64_e32 v[8:9], v[8:9], v[76:77]
	s_delay_alu instid0(VALU_DEP_4) | instskip(NEXT) | instid1(VALU_DEP_4)
	v_fmac_f64_e32 v[68:69], v[66:67], v[116:117]
	v_fma_f64 v[12:13], v[64:65], v[116:117], -v[78:79]
	s_delay_alu instid0(VALU_DEP_4) | instskip(NEXT) | instid1(VALU_DEP_4)
	v_add_f64_e32 v[4:5], v[4:5], v[10:11]
	v_add_f64_e32 v[8:9], v[8:9], v[70:71]
	s_delay_alu instid0(VALU_DEP_2) | instskip(NEXT) | instid1(VALU_DEP_2)
	v_add_f64_e32 v[4:5], v[4:5], v[12:13]
	v_add_f64_e32 v[10:11], v[8:9], v[68:69]
	s_delay_alu instid0(VALU_DEP_2) | instskip(NEXT) | instid1(VALU_DEP_2)
	v_add_f64_e64 v[8:9], v[108:109], -v[4:5]
	v_add_f64_e64 v[10:11], v[110:111], -v[10:11]
	scratch_store_b128 off, v[8:11], off offset:176
	s_wait_xcnt 0x0
	v_cmpx_lt_u32_e32 10, v1
	s_cbranch_execz .LBB88_143
; %bb.142:
	scratch_load_b128 v[8:11], off, s15
	v_dual_mov_b32 v3, v2 :: v_dual_mov_b32 v4, v2
	v_mov_b32_e32 v5, v2
	scratch_store_b128 off, v[2:5], off offset:160
	s_wait_loadcnt 0x0
	ds_store_b128 v6, v[8:11]
.LBB88_143:
	s_wait_xcnt 0x0
	s_or_b32 exec_lo, exec_lo, s2
	s_wait_storecnt_dscnt 0x0
	s_barrier_signal -1
	s_barrier_wait -1
	s_clause 0x9
	scratch_load_b128 v[8:11], off, off offset:176
	scratch_load_b128 v[64:67], off, off offset:192
	;; [unrolled: 1-line block ×10, first 2 shown]
	ds_load_b128 v[100:103], v2 offset:576
	ds_load_b128 v[108:111], v2 offset:592
	s_clause 0x1
	scratch_load_b128 v[104:107], off, off offset:336
	scratch_load_b128 v[112:115], off, off offset:160
	s_mov_b32 s2, exec_lo
	s_wait_loadcnt_dscnt 0xb01
	v_mul_f64_e32 v[4:5], v[102:103], v[10:11]
	v_mul_f64_e32 v[124:125], v[100:101], v[10:11]
	scratch_load_b128 v[10:13], off, off offset:352
	s_wait_loadcnt_dscnt 0xb00
	v_mul_f64_e32 v[126:127], v[108:109], v[66:67]
	v_mul_f64_e32 v[66:67], v[110:111], v[66:67]
	v_fma_f64 v[4:5], v[100:101], v[8:9], -v[4:5]
	v_fmac_f64_e32 v[124:125], v[102:103], v[8:9]
	ds_load_b128 v[100:103], v2 offset:608
	ds_load_b128 v[116:119], v2 offset:624
	scratch_load_b128 v[120:123], off, off offset:368
	v_fmac_f64_e32 v[126:127], v[110:111], v[64:65]
	v_fma_f64 v[108:109], v[108:109], v[64:65], -v[66:67]
	scratch_load_b128 v[64:67], off, off offset:384
	s_wait_loadcnt_dscnt 0xc01
	v_mul_f64_e32 v[8:9], v[100:101], v[70:71]
	v_mul_f64_e32 v[70:71], v[102:103], v[70:71]
	v_add_f64_e32 v[4:5], 0, v[4:5]
	v_add_f64_e32 v[110:111], 0, v[124:125]
	s_wait_loadcnt_dscnt 0xb00
	v_mul_f64_e32 v[124:125], v[116:117], v[74:75]
	v_mul_f64_e32 v[74:75], v[118:119], v[74:75]
	v_fmac_f64_e32 v[8:9], v[102:103], v[68:69]
	v_fma_f64 v[128:129], v[100:101], v[68:69], -v[70:71]
	ds_load_b128 v[68:71], v2 offset:640
	ds_load_b128 v[100:103], v2 offset:656
	v_add_f64_e32 v[4:5], v[4:5], v[108:109]
	v_add_f64_e32 v[108:109], v[110:111], v[126:127]
	v_fmac_f64_e32 v[124:125], v[118:119], v[72:73]
	v_fma_f64 v[72:73], v[116:117], v[72:73], -v[74:75]
	s_wait_loadcnt_dscnt 0xa01
	v_mul_f64_e32 v[110:111], v[68:69], v[78:79]
	v_mul_f64_e32 v[78:79], v[70:71], v[78:79]
	v_add_f64_e32 v[4:5], v[4:5], v[128:129]
	v_add_f64_e32 v[8:9], v[108:109], v[8:9]
	s_wait_loadcnt_dscnt 0x900
	v_mul_f64_e32 v[108:109], v[100:101], v[82:83]
	v_mul_f64_e32 v[82:83], v[102:103], v[82:83]
	v_fmac_f64_e32 v[110:111], v[70:71], v[76:77]
	v_fma_f64 v[76:77], v[68:69], v[76:77], -v[78:79]
	v_add_f64_e32 v[4:5], v[4:5], v[72:73]
	v_add_f64_e32 v[8:9], v[8:9], v[124:125]
	ds_load_b128 v[68:71], v2 offset:672
	ds_load_b128 v[72:75], v2 offset:688
	v_fmac_f64_e32 v[108:109], v[102:103], v[80:81]
	v_fma_f64 v[80:81], v[100:101], v[80:81], -v[82:83]
	s_wait_loadcnt_dscnt 0x801
	v_mul_f64_e32 v[116:117], v[68:69], v[86:87]
	v_mul_f64_e32 v[78:79], v[70:71], v[86:87]
	s_wait_loadcnt_dscnt 0x700
	v_mul_f64_e32 v[82:83], v[72:73], v[90:91]
	v_mul_f64_e32 v[86:87], v[74:75], v[90:91]
	v_add_f64_e32 v[4:5], v[4:5], v[76:77]
	v_add_f64_e32 v[8:9], v[8:9], v[110:111]
	v_fmac_f64_e32 v[116:117], v[70:71], v[84:85]
	v_fma_f64 v[84:85], v[68:69], v[84:85], -v[78:79]
	ds_load_b128 v[68:71], v2 offset:704
	ds_load_b128 v[76:79], v2 offset:720
	v_fmac_f64_e32 v[82:83], v[74:75], v[88:89]
	v_fma_f64 v[72:73], v[72:73], v[88:89], -v[86:87]
	v_add_f64_e32 v[4:5], v[4:5], v[80:81]
	v_add_f64_e32 v[8:9], v[8:9], v[108:109]
	s_wait_loadcnt_dscnt 0x601
	v_mul_f64_e32 v[80:81], v[68:69], v[94:95]
	v_mul_f64_e32 v[90:91], v[70:71], v[94:95]
	s_wait_loadcnt_dscnt 0x500
	v_mul_f64_e32 v[86:87], v[78:79], v[98:99]
	v_add_f64_e32 v[4:5], v[4:5], v[84:85]
	v_add_f64_e32 v[8:9], v[8:9], v[116:117]
	v_mul_f64_e32 v[84:85], v[76:77], v[98:99]
	v_fmac_f64_e32 v[80:81], v[70:71], v[92:93]
	v_fma_f64 v[88:89], v[68:69], v[92:93], -v[90:91]
	v_fma_f64 v[76:77], v[76:77], v[96:97], -v[86:87]
	v_add_f64_e32 v[4:5], v[4:5], v[72:73]
	v_add_f64_e32 v[8:9], v[8:9], v[82:83]
	ds_load_b128 v[68:71], v2 offset:736
	ds_load_b128 v[72:75], v2 offset:752
	v_fmac_f64_e32 v[84:85], v[78:79], v[96:97]
	s_wait_loadcnt_dscnt 0x401
	v_mul_f64_e32 v[82:83], v[68:69], v[106:107]
	v_mul_f64_e32 v[90:91], v[70:71], v[106:107]
	v_add_f64_e32 v[4:5], v[4:5], v[88:89]
	v_add_f64_e32 v[8:9], v[8:9], v[80:81]
	s_wait_loadcnt_dscnt 0x200
	v_mul_f64_e32 v[78:79], v[72:73], v[12:13]
	v_mul_f64_e32 v[12:13], v[74:75], v[12:13]
	v_fmac_f64_e32 v[82:83], v[70:71], v[104:105]
	v_fma_f64 v[80:81], v[68:69], v[104:105], -v[90:91]
	v_add_f64_e32 v[76:77], v[4:5], v[76:77]
	v_add_f64_e32 v[8:9], v[8:9], v[84:85]
	ds_load_b128 v[68:71], v2 offset:768
	ds_load_b128 v[2:5], v2 offset:784
	v_fmac_f64_e32 v[78:79], v[74:75], v[10:11]
	v_fma_f64 v[10:11], v[72:73], v[10:11], -v[12:13]
	s_wait_loadcnt_dscnt 0x101
	v_mul_f64_e32 v[84:85], v[68:69], v[122:123]
	v_mul_f64_e32 v[86:87], v[70:71], v[122:123]
	s_wait_loadcnt_dscnt 0x0
	v_mul_f64_e32 v[72:73], v[2:3], v[66:67]
	v_mul_f64_e32 v[66:67], v[4:5], v[66:67]
	v_add_f64_e32 v[12:13], v[76:77], v[80:81]
	v_add_f64_e32 v[8:9], v[8:9], v[82:83]
	v_fmac_f64_e32 v[84:85], v[70:71], v[120:121]
	v_fma_f64 v[68:69], v[68:69], v[120:121], -v[86:87]
	v_fmac_f64_e32 v[72:73], v[4:5], v[64:65]
	v_fma_f64 v[2:3], v[2:3], v[64:65], -v[66:67]
	v_add_f64_e32 v[10:11], v[12:13], v[10:11]
	v_add_f64_e32 v[8:9], v[8:9], v[78:79]
	s_delay_alu instid0(VALU_DEP_2) | instskip(NEXT) | instid1(VALU_DEP_2)
	v_add_f64_e32 v[4:5], v[10:11], v[68:69]
	v_add_f64_e32 v[8:9], v[8:9], v[84:85]
	s_delay_alu instid0(VALU_DEP_2) | instskip(NEXT) | instid1(VALU_DEP_2)
	;; [unrolled: 3-line block ×3, first 2 shown]
	v_add_f64_e64 v[2:3], v[112:113], -v[2:3]
	v_add_f64_e64 v[4:5], v[114:115], -v[4:5]
	scratch_store_b128 off, v[2:5], off offset:160
	s_wait_xcnt 0x0
	v_cmpx_lt_u32_e32 9, v1
	s_cbranch_execz .LBB88_145
; %bb.144:
	scratch_load_b128 v[2:5], off, s26
	v_mov_b32_e32 v8, 0
	s_delay_alu instid0(VALU_DEP_1)
	v_dual_mov_b32 v9, v8 :: v_dual_mov_b32 v10, v8
	v_mov_b32_e32 v11, v8
	scratch_store_b128 off, v[8:11], off offset:144
	s_wait_loadcnt 0x0
	ds_store_b128 v6, v[2:5]
.LBB88_145:
	s_wait_xcnt 0x0
	s_or_b32 exec_lo, exec_lo, s2
	s_wait_storecnt_dscnt 0x0
	s_barrier_signal -1
	s_barrier_wait -1
	s_clause 0x9
	scratch_load_b128 v[8:11], off, off offset:160
	scratch_load_b128 v[64:67], off, off offset:176
	;; [unrolled: 1-line block ×10, first 2 shown]
	v_mov_b32_e32 v2, 0
	s_mov_b32 s2, exec_lo
	ds_load_b128 v[100:103], v2 offset:560
	s_clause 0x2
	scratch_load_b128 v[104:107], off, off offset:320
	scratch_load_b128 v[108:111], off, off offset:144
	;; [unrolled: 1-line block ×3, first 2 shown]
	s_wait_loadcnt_dscnt 0xc00
	v_mul_f64_e32 v[4:5], v[102:103], v[10:11]
	v_mul_f64_e32 v[124:125], v[100:101], v[10:11]
	ds_load_b128 v[112:115], v2 offset:576
	scratch_load_b128 v[10:13], off, off offset:336
	ds_load_b128 v[120:123], v2 offset:608
	v_fma_f64 v[4:5], v[100:101], v[8:9], -v[4:5]
	v_fmac_f64_e32 v[124:125], v[102:103], v[8:9]
	ds_load_b128 v[100:103], v2 offset:592
	s_wait_loadcnt_dscnt 0xc02
	v_mul_f64_e32 v[126:127], v[112:113], v[66:67]
	v_mul_f64_e32 v[66:67], v[114:115], v[66:67]
	s_wait_loadcnt_dscnt 0xb00
	v_mul_f64_e32 v[8:9], v[100:101], v[70:71]
	v_mul_f64_e32 v[70:71], v[102:103], v[70:71]
	v_add_f64_e32 v[4:5], 0, v[4:5]
	v_fmac_f64_e32 v[126:127], v[114:115], v[64:65]
	v_fma_f64 v[112:113], v[112:113], v[64:65], -v[66:67]
	v_add_f64_e32 v[114:115], 0, v[124:125]
	scratch_load_b128 v[64:67], off, off offset:368
	v_fmac_f64_e32 v[8:9], v[102:103], v[68:69]
	v_fma_f64 v[128:129], v[100:101], v[68:69], -v[70:71]
	ds_load_b128 v[68:71], v2 offset:624
	s_wait_loadcnt 0xb
	v_mul_f64_e32 v[124:125], v[120:121], v[74:75]
	v_mul_f64_e32 v[74:75], v[122:123], v[74:75]
	scratch_load_b128 v[100:103], off, off offset:384
	v_add_f64_e32 v[4:5], v[4:5], v[112:113]
	v_add_f64_e32 v[126:127], v[114:115], v[126:127]
	ds_load_b128 v[112:115], v2 offset:640
	s_wait_loadcnt_dscnt 0xb01
	v_mul_f64_e32 v[130:131], v[68:69], v[78:79]
	v_mul_f64_e32 v[78:79], v[70:71], v[78:79]
	v_fmac_f64_e32 v[124:125], v[122:123], v[72:73]
	v_fma_f64 v[72:73], v[120:121], v[72:73], -v[74:75]
	s_wait_loadcnt_dscnt 0xa00
	v_mul_f64_e32 v[120:121], v[112:113], v[82:83]
	v_mul_f64_e32 v[82:83], v[114:115], v[82:83]
	v_add_f64_e32 v[4:5], v[4:5], v[128:129]
	v_add_f64_e32 v[8:9], v[126:127], v[8:9]
	v_fmac_f64_e32 v[130:131], v[70:71], v[76:77]
	v_fma_f64 v[76:77], v[68:69], v[76:77], -v[78:79]
	v_fmac_f64_e32 v[120:121], v[114:115], v[80:81]
	v_fma_f64 v[80:81], v[112:113], v[80:81], -v[82:83]
	v_add_f64_e32 v[4:5], v[4:5], v[72:73]
	v_add_f64_e32 v[8:9], v[8:9], v[124:125]
	ds_load_b128 v[68:71], v2 offset:656
	ds_load_b128 v[72:75], v2 offset:672
	s_wait_loadcnt_dscnt 0x901
	v_mul_f64_e32 v[122:123], v[68:69], v[86:87]
	v_mul_f64_e32 v[78:79], v[70:71], v[86:87]
	s_wait_loadcnt_dscnt 0x800
	v_mul_f64_e32 v[82:83], v[72:73], v[90:91]
	v_mul_f64_e32 v[86:87], v[74:75], v[90:91]
	v_add_f64_e32 v[4:5], v[4:5], v[76:77]
	v_add_f64_e32 v[8:9], v[8:9], v[130:131]
	v_fmac_f64_e32 v[122:123], v[70:71], v[84:85]
	v_fma_f64 v[84:85], v[68:69], v[84:85], -v[78:79]
	ds_load_b128 v[68:71], v2 offset:688
	ds_load_b128 v[76:79], v2 offset:704
	v_fmac_f64_e32 v[82:83], v[74:75], v[88:89]
	v_fma_f64 v[72:73], v[72:73], v[88:89], -v[86:87]
	v_add_f64_e32 v[4:5], v[4:5], v[80:81]
	v_add_f64_e32 v[8:9], v[8:9], v[120:121]
	s_wait_loadcnt_dscnt 0x701
	v_mul_f64_e32 v[80:81], v[68:69], v[94:95]
	v_mul_f64_e32 v[90:91], v[70:71], v[94:95]
	s_wait_loadcnt_dscnt 0x600
	v_mul_f64_e32 v[86:87], v[78:79], v[98:99]
	v_add_f64_e32 v[4:5], v[4:5], v[84:85]
	v_add_f64_e32 v[8:9], v[8:9], v[122:123]
	v_mul_f64_e32 v[84:85], v[76:77], v[98:99]
	v_fmac_f64_e32 v[80:81], v[70:71], v[92:93]
	v_fma_f64 v[88:89], v[68:69], v[92:93], -v[90:91]
	v_fma_f64 v[76:77], v[76:77], v[96:97], -v[86:87]
	v_add_f64_e32 v[4:5], v[4:5], v[72:73]
	v_add_f64_e32 v[8:9], v[8:9], v[82:83]
	ds_load_b128 v[68:71], v2 offset:720
	ds_load_b128 v[72:75], v2 offset:736
	v_fmac_f64_e32 v[84:85], v[78:79], v[96:97]
	s_wait_loadcnt_dscnt 0x501
	v_mul_f64_e32 v[82:83], v[68:69], v[106:107]
	v_mul_f64_e32 v[90:91], v[70:71], v[106:107]
	v_add_f64_e32 v[4:5], v[4:5], v[88:89]
	v_add_f64_e32 v[8:9], v[8:9], v[80:81]
	s_wait_loadcnt_dscnt 0x200
	v_mul_f64_e32 v[80:81], v[72:73], v[12:13]
	v_mul_f64_e32 v[12:13], v[74:75], v[12:13]
	v_fmac_f64_e32 v[82:83], v[70:71], v[104:105]
	v_fma_f64 v[86:87], v[68:69], v[104:105], -v[90:91]
	v_add_f64_e32 v[4:5], v[4:5], v[76:77]
	v_add_f64_e32 v[8:9], v[8:9], v[84:85]
	ds_load_b128 v[68:71], v2 offset:752
	ds_load_b128 v[76:79], v2 offset:768
	v_fmac_f64_e32 v[80:81], v[74:75], v[10:11]
	v_fma_f64 v[10:11], v[72:73], v[10:11], -v[12:13]
	s_wait_dscnt 0x1
	v_mul_f64_e32 v[84:85], v[68:69], v[118:119]
	v_mul_f64_e32 v[88:89], v[70:71], v[118:119]
	v_add_f64_e32 v[4:5], v[4:5], v[86:87]
	v_add_f64_e32 v[8:9], v[8:9], v[82:83]
	s_wait_loadcnt_dscnt 0x100
	v_mul_f64_e32 v[12:13], v[76:77], v[66:67]
	v_mul_f64_e32 v[66:67], v[78:79], v[66:67]
	v_fmac_f64_e32 v[84:85], v[70:71], v[116:117]
	v_fma_f64 v[68:69], v[68:69], v[116:117], -v[88:89]
	v_add_f64_e32 v[4:5], v[4:5], v[10:11]
	v_add_f64_e32 v[70:71], v[8:9], v[80:81]
	ds_load_b128 v[8:11], v2 offset:784
	v_fmac_f64_e32 v[12:13], v[78:79], v[64:65]
	v_fma_f64 v[64:65], v[76:77], v[64:65], -v[66:67]
	s_wait_loadcnt_dscnt 0x0
	v_mul_f64_e32 v[72:73], v[8:9], v[102:103]
	v_mul_f64_e32 v[74:75], v[10:11], v[102:103]
	v_add_f64_e32 v[4:5], v[4:5], v[68:69]
	v_add_f64_e32 v[66:67], v[70:71], v[84:85]
	s_delay_alu instid0(VALU_DEP_4) | instskip(NEXT) | instid1(VALU_DEP_4)
	v_fmac_f64_e32 v[72:73], v[10:11], v[100:101]
	v_fma_f64 v[8:9], v[8:9], v[100:101], -v[74:75]
	s_delay_alu instid0(VALU_DEP_4) | instskip(NEXT) | instid1(VALU_DEP_4)
	v_add_f64_e32 v[4:5], v[4:5], v[64:65]
	v_add_f64_e32 v[10:11], v[66:67], v[12:13]
	s_delay_alu instid0(VALU_DEP_2) | instskip(NEXT) | instid1(VALU_DEP_2)
	v_add_f64_e32 v[4:5], v[4:5], v[8:9]
	v_add_f64_e32 v[10:11], v[10:11], v[72:73]
	s_delay_alu instid0(VALU_DEP_2) | instskip(NEXT) | instid1(VALU_DEP_2)
	v_add_f64_e64 v[8:9], v[108:109], -v[4:5]
	v_add_f64_e64 v[10:11], v[110:111], -v[10:11]
	scratch_store_b128 off, v[8:11], off offset:144
	s_wait_xcnt 0x0
	v_cmpx_lt_u32_e32 8, v1
	s_cbranch_execz .LBB88_147
; %bb.146:
	scratch_load_b128 v[8:11], off, s14
	v_dual_mov_b32 v3, v2 :: v_dual_mov_b32 v4, v2
	v_mov_b32_e32 v5, v2
	scratch_store_b128 off, v[2:5], off offset:128
	s_wait_loadcnt 0x0
	ds_store_b128 v6, v[8:11]
.LBB88_147:
	s_wait_xcnt 0x0
	s_or_b32 exec_lo, exec_lo, s2
	s_wait_storecnt_dscnt 0x0
	s_barrier_signal -1
	s_barrier_wait -1
	s_clause 0x9
	scratch_load_b128 v[8:11], off, off offset:144
	scratch_load_b128 v[64:67], off, off offset:160
	;; [unrolled: 1-line block ×10, first 2 shown]
	ds_load_b128 v[100:103], v2 offset:544
	ds_load_b128 v[108:111], v2 offset:560
	s_clause 0x1
	scratch_load_b128 v[104:107], off, off offset:304
	scratch_load_b128 v[112:115], off, off offset:128
	s_mov_b32 s2, exec_lo
	s_wait_loadcnt_dscnt 0xb01
	v_mul_f64_e32 v[4:5], v[102:103], v[10:11]
	v_mul_f64_e32 v[124:125], v[100:101], v[10:11]
	scratch_load_b128 v[10:13], off, off offset:320
	s_wait_loadcnt_dscnt 0xb00
	v_mul_f64_e32 v[126:127], v[108:109], v[66:67]
	v_mul_f64_e32 v[66:67], v[110:111], v[66:67]
	v_fma_f64 v[4:5], v[100:101], v[8:9], -v[4:5]
	v_fmac_f64_e32 v[124:125], v[102:103], v[8:9]
	ds_load_b128 v[100:103], v2 offset:576
	ds_load_b128 v[116:119], v2 offset:592
	scratch_load_b128 v[120:123], off, off offset:336
	v_fmac_f64_e32 v[126:127], v[110:111], v[64:65]
	v_fma_f64 v[108:109], v[108:109], v[64:65], -v[66:67]
	scratch_load_b128 v[64:67], off, off offset:352
	s_wait_loadcnt_dscnt 0xc01
	v_mul_f64_e32 v[8:9], v[100:101], v[70:71]
	v_mul_f64_e32 v[70:71], v[102:103], v[70:71]
	v_add_f64_e32 v[4:5], 0, v[4:5]
	v_add_f64_e32 v[110:111], 0, v[124:125]
	s_wait_loadcnt_dscnt 0xb00
	v_mul_f64_e32 v[124:125], v[116:117], v[74:75]
	v_mul_f64_e32 v[74:75], v[118:119], v[74:75]
	v_fmac_f64_e32 v[8:9], v[102:103], v[68:69]
	v_fma_f64 v[128:129], v[100:101], v[68:69], -v[70:71]
	ds_load_b128 v[68:71], v2 offset:608
	ds_load_b128 v[100:103], v2 offset:624
	v_add_f64_e32 v[4:5], v[4:5], v[108:109]
	v_add_f64_e32 v[126:127], v[110:111], v[126:127]
	scratch_load_b128 v[108:111], off, off offset:368
	v_fmac_f64_e32 v[124:125], v[118:119], v[72:73]
	v_fma_f64 v[116:117], v[116:117], v[72:73], -v[74:75]
	scratch_load_b128 v[72:75], off, off offset:384
	s_wait_loadcnt_dscnt 0xc01
	v_mul_f64_e32 v[130:131], v[68:69], v[78:79]
	v_mul_f64_e32 v[78:79], v[70:71], v[78:79]
	s_wait_loadcnt_dscnt 0xb00
	v_mul_f64_e32 v[118:119], v[100:101], v[82:83]
	v_mul_f64_e32 v[82:83], v[102:103], v[82:83]
	v_add_f64_e32 v[4:5], v[4:5], v[128:129]
	v_add_f64_e32 v[8:9], v[126:127], v[8:9]
	v_fmac_f64_e32 v[130:131], v[70:71], v[76:77]
	v_fma_f64 v[126:127], v[68:69], v[76:77], -v[78:79]
	ds_load_b128 v[68:71], v2 offset:640
	ds_load_b128 v[76:79], v2 offset:656
	v_fmac_f64_e32 v[118:119], v[102:103], v[80:81]
	v_fma_f64 v[80:81], v[100:101], v[80:81], -v[82:83]
	s_wait_loadcnt_dscnt 0x900
	v_mul_f64_e32 v[100:101], v[76:77], v[90:91]
	v_add_f64_e32 v[4:5], v[4:5], v[116:117]
	v_add_f64_e32 v[8:9], v[8:9], v[124:125]
	v_mul_f64_e32 v[116:117], v[68:69], v[86:87]
	v_mul_f64_e32 v[86:87], v[70:71], v[86:87]
	;; [unrolled: 1-line block ×3, first 2 shown]
	v_fmac_f64_e32 v[100:101], v[78:79], v[88:89]
	v_add_f64_e32 v[4:5], v[4:5], v[126:127]
	v_add_f64_e32 v[8:9], v[8:9], v[130:131]
	v_fmac_f64_e32 v[116:117], v[70:71], v[84:85]
	v_fma_f64 v[84:85], v[68:69], v[84:85], -v[86:87]
	v_fma_f64 v[76:77], v[76:77], v[88:89], -v[90:91]
	v_add_f64_e32 v[4:5], v[4:5], v[80:81]
	v_add_f64_e32 v[8:9], v[8:9], v[118:119]
	ds_load_b128 v[68:71], v2 offset:672
	ds_load_b128 v[80:83], v2 offset:688
	s_wait_loadcnt_dscnt 0x801
	v_mul_f64_e32 v[86:87], v[68:69], v[94:95]
	v_mul_f64_e32 v[94:95], v[70:71], v[94:95]
	s_wait_loadcnt_dscnt 0x700
	v_mul_f64_e32 v[88:89], v[82:83], v[98:99]
	v_add_f64_e32 v[4:5], v[4:5], v[84:85]
	v_add_f64_e32 v[8:9], v[8:9], v[116:117]
	v_mul_f64_e32 v[84:85], v[80:81], v[98:99]
	v_fmac_f64_e32 v[86:87], v[70:71], v[92:93]
	v_fma_f64 v[90:91], v[68:69], v[92:93], -v[94:95]
	v_fma_f64 v[80:81], v[80:81], v[96:97], -v[88:89]
	v_add_f64_e32 v[4:5], v[4:5], v[76:77]
	v_add_f64_e32 v[8:9], v[8:9], v[100:101]
	ds_load_b128 v[68:71], v2 offset:704
	ds_load_b128 v[76:79], v2 offset:720
	v_fmac_f64_e32 v[84:85], v[82:83], v[96:97]
	s_wait_loadcnt_dscnt 0x601
	v_mul_f64_e32 v[92:93], v[68:69], v[106:107]
	v_mul_f64_e32 v[94:95], v[70:71], v[106:107]
	v_add_f64_e32 v[4:5], v[4:5], v[90:91]
	v_add_f64_e32 v[8:9], v[8:9], v[86:87]
	s_wait_loadcnt_dscnt 0x400
	v_mul_f64_e32 v[86:87], v[76:77], v[12:13]
	v_mul_f64_e32 v[12:13], v[78:79], v[12:13]
	v_fmac_f64_e32 v[92:93], v[70:71], v[104:105]
	v_fma_f64 v[88:89], v[68:69], v[104:105], -v[94:95]
	v_add_f64_e32 v[4:5], v[4:5], v[80:81]
	v_add_f64_e32 v[8:9], v[8:9], v[84:85]
	ds_load_b128 v[68:71], v2 offset:736
	ds_load_b128 v[80:83], v2 offset:752
	v_fmac_f64_e32 v[86:87], v[78:79], v[10:11]
	v_fma_f64 v[10:11], v[76:77], v[10:11], -v[12:13]
	s_wait_loadcnt_dscnt 0x301
	v_mul_f64_e32 v[84:85], v[68:69], v[122:123]
	v_mul_f64_e32 v[90:91], v[70:71], v[122:123]
	s_wait_loadcnt_dscnt 0x200
	v_mul_f64_e32 v[12:13], v[80:81], v[66:67]
	v_mul_f64_e32 v[66:67], v[82:83], v[66:67]
	v_add_f64_e32 v[4:5], v[4:5], v[88:89]
	v_add_f64_e32 v[8:9], v[8:9], v[92:93]
	v_fmac_f64_e32 v[84:85], v[70:71], v[120:121]
	v_fma_f64 v[68:69], v[68:69], v[120:121], -v[90:91]
	v_fmac_f64_e32 v[12:13], v[82:83], v[64:65]
	v_fma_f64 v[64:65], v[80:81], v[64:65], -v[66:67]
	v_add_f64_e32 v[70:71], v[4:5], v[10:11]
	v_add_f64_e32 v[76:77], v[8:9], v[86:87]
	ds_load_b128 v[8:11], v2 offset:768
	ds_load_b128 v[2:5], v2 offset:784
	s_wait_loadcnt_dscnt 0x101
	v_mul_f64_e32 v[78:79], v[8:9], v[110:111]
	v_mul_f64_e32 v[86:87], v[10:11], v[110:111]
	v_add_f64_e32 v[66:67], v[70:71], v[68:69]
	v_add_f64_e32 v[68:69], v[76:77], v[84:85]
	s_wait_loadcnt_dscnt 0x0
	v_mul_f64_e32 v[70:71], v[2:3], v[74:75]
	v_mul_f64_e32 v[74:75], v[4:5], v[74:75]
	v_fmac_f64_e32 v[78:79], v[10:11], v[108:109]
	v_fma_f64 v[8:9], v[8:9], v[108:109], -v[86:87]
	v_add_f64_e32 v[10:11], v[66:67], v[64:65]
	v_add_f64_e32 v[12:13], v[68:69], v[12:13]
	v_fmac_f64_e32 v[70:71], v[4:5], v[72:73]
	v_fma_f64 v[2:3], v[2:3], v[72:73], -v[74:75]
	s_delay_alu instid0(VALU_DEP_4) | instskip(NEXT) | instid1(VALU_DEP_4)
	v_add_f64_e32 v[4:5], v[10:11], v[8:9]
	v_add_f64_e32 v[8:9], v[12:13], v[78:79]
	s_delay_alu instid0(VALU_DEP_2) | instskip(NEXT) | instid1(VALU_DEP_2)
	v_add_f64_e32 v[2:3], v[4:5], v[2:3]
	v_add_f64_e32 v[4:5], v[8:9], v[70:71]
	s_delay_alu instid0(VALU_DEP_2) | instskip(NEXT) | instid1(VALU_DEP_2)
	v_add_f64_e64 v[2:3], v[112:113], -v[2:3]
	v_add_f64_e64 v[4:5], v[114:115], -v[4:5]
	scratch_store_b128 off, v[2:5], off offset:128
	s_wait_xcnt 0x0
	v_cmpx_lt_u32_e32 7, v1
	s_cbranch_execz .LBB88_149
; %bb.148:
	scratch_load_b128 v[2:5], off, s25
	v_mov_b32_e32 v8, 0
	s_delay_alu instid0(VALU_DEP_1)
	v_dual_mov_b32 v9, v8 :: v_dual_mov_b32 v10, v8
	v_mov_b32_e32 v11, v8
	scratch_store_b128 off, v[8:11], off offset:112
	s_wait_loadcnt 0x0
	ds_store_b128 v6, v[2:5]
.LBB88_149:
	s_wait_xcnt 0x0
	s_or_b32 exec_lo, exec_lo, s2
	s_wait_storecnt_dscnt 0x0
	s_barrier_signal -1
	s_barrier_wait -1
	s_clause 0x9
	scratch_load_b128 v[8:11], off, off offset:128
	scratch_load_b128 v[64:67], off, off offset:144
	;; [unrolled: 1-line block ×10, first 2 shown]
	v_mov_b32_e32 v2, 0
	s_mov_b32 s2, exec_lo
	ds_load_b128 v[100:103], v2 offset:528
	s_clause 0x2
	scratch_load_b128 v[104:107], off, off offset:288
	scratch_load_b128 v[108:111], off, off offset:112
	scratch_load_b128 v[116:119], off, off offset:320
	s_wait_loadcnt_dscnt 0xc00
	v_mul_f64_e32 v[4:5], v[102:103], v[10:11]
	v_mul_f64_e32 v[124:125], v[100:101], v[10:11]
	ds_load_b128 v[112:115], v2 offset:544
	scratch_load_b128 v[10:13], off, off offset:304
	ds_load_b128 v[120:123], v2 offset:576
	v_fma_f64 v[4:5], v[100:101], v[8:9], -v[4:5]
	v_fmac_f64_e32 v[124:125], v[102:103], v[8:9]
	ds_load_b128 v[100:103], v2 offset:560
	s_wait_loadcnt_dscnt 0xc02
	v_mul_f64_e32 v[126:127], v[112:113], v[66:67]
	v_mul_f64_e32 v[66:67], v[114:115], v[66:67]
	s_wait_loadcnt_dscnt 0xb00
	v_mul_f64_e32 v[8:9], v[100:101], v[70:71]
	v_mul_f64_e32 v[70:71], v[102:103], v[70:71]
	v_add_f64_e32 v[4:5], 0, v[4:5]
	v_fmac_f64_e32 v[126:127], v[114:115], v[64:65]
	v_fma_f64 v[112:113], v[112:113], v[64:65], -v[66:67]
	v_add_f64_e32 v[114:115], 0, v[124:125]
	scratch_load_b128 v[64:67], off, off offset:336
	v_fmac_f64_e32 v[8:9], v[102:103], v[68:69]
	v_fma_f64 v[128:129], v[100:101], v[68:69], -v[70:71]
	ds_load_b128 v[68:71], v2 offset:592
	s_wait_loadcnt 0xb
	v_mul_f64_e32 v[124:125], v[120:121], v[74:75]
	v_mul_f64_e32 v[74:75], v[122:123], v[74:75]
	scratch_load_b128 v[100:103], off, off offset:352
	v_add_f64_e32 v[4:5], v[4:5], v[112:113]
	v_add_f64_e32 v[126:127], v[114:115], v[126:127]
	ds_load_b128 v[112:115], v2 offset:608
	s_wait_loadcnt_dscnt 0xb01
	v_mul_f64_e32 v[130:131], v[68:69], v[78:79]
	v_mul_f64_e32 v[78:79], v[70:71], v[78:79]
	v_fmac_f64_e32 v[124:125], v[122:123], v[72:73]
	v_fma_f64 v[120:121], v[120:121], v[72:73], -v[74:75]
	scratch_load_b128 v[72:75], off, off offset:368
	v_add_f64_e32 v[4:5], v[4:5], v[128:129]
	v_add_f64_e32 v[8:9], v[126:127], v[8:9]
	v_fmac_f64_e32 v[130:131], v[70:71], v[76:77]
	v_fma_f64 v[128:129], v[68:69], v[76:77], -v[78:79]
	ds_load_b128 v[68:71], v2 offset:624
	s_wait_loadcnt_dscnt 0xb01
	v_mul_f64_e32 v[126:127], v[112:113], v[82:83]
	v_mul_f64_e32 v[82:83], v[114:115], v[82:83]
	scratch_load_b128 v[76:79], off, off offset:384
	v_add_f64_e32 v[4:5], v[4:5], v[120:121]
	v_add_f64_e32 v[8:9], v[8:9], v[124:125]
	s_wait_loadcnt_dscnt 0xb00
	v_mul_f64_e32 v[124:125], v[68:69], v[86:87]
	v_mul_f64_e32 v[86:87], v[70:71], v[86:87]
	ds_load_b128 v[120:123], v2 offset:640
	v_fmac_f64_e32 v[126:127], v[114:115], v[80:81]
	v_fma_f64 v[80:81], v[112:113], v[80:81], -v[82:83]
	s_wait_loadcnt_dscnt 0xa00
	v_mul_f64_e32 v[112:113], v[120:121], v[90:91]
	v_mul_f64_e32 v[90:91], v[122:123], v[90:91]
	v_add_f64_e32 v[4:5], v[4:5], v[128:129]
	v_add_f64_e32 v[8:9], v[8:9], v[130:131]
	v_fmac_f64_e32 v[124:125], v[70:71], v[84:85]
	v_fma_f64 v[84:85], v[68:69], v[84:85], -v[86:87]
	v_fmac_f64_e32 v[112:113], v[122:123], v[88:89]
	v_fma_f64 v[88:89], v[120:121], v[88:89], -v[90:91]
	v_add_f64_e32 v[4:5], v[4:5], v[80:81]
	v_add_f64_e32 v[8:9], v[8:9], v[126:127]
	ds_load_b128 v[68:71], v2 offset:656
	ds_load_b128 v[80:83], v2 offset:672
	s_wait_loadcnt_dscnt 0x901
	v_mul_f64_e32 v[114:115], v[68:69], v[94:95]
	v_mul_f64_e32 v[86:87], v[70:71], v[94:95]
	s_wait_loadcnt_dscnt 0x800
	v_mul_f64_e32 v[90:91], v[80:81], v[98:99]
	v_mul_f64_e32 v[94:95], v[82:83], v[98:99]
	v_add_f64_e32 v[4:5], v[4:5], v[84:85]
	v_add_f64_e32 v[8:9], v[8:9], v[124:125]
	v_fmac_f64_e32 v[114:115], v[70:71], v[92:93]
	v_fma_f64 v[92:93], v[68:69], v[92:93], -v[86:87]
	ds_load_b128 v[68:71], v2 offset:688
	ds_load_b128 v[84:87], v2 offset:704
	v_fmac_f64_e32 v[90:91], v[82:83], v[96:97]
	v_fma_f64 v[80:81], v[80:81], v[96:97], -v[94:95]
	v_add_f64_e32 v[4:5], v[4:5], v[88:89]
	v_add_f64_e32 v[8:9], v[8:9], v[112:113]
	s_wait_loadcnt_dscnt 0x701
	v_mul_f64_e32 v[88:89], v[68:69], v[106:107]
	v_mul_f64_e32 v[98:99], v[70:71], v[106:107]
	s_delay_alu instid0(VALU_DEP_4) | instskip(NEXT) | instid1(VALU_DEP_4)
	v_add_f64_e32 v[4:5], v[4:5], v[92:93]
	v_add_f64_e32 v[8:9], v[8:9], v[114:115]
	s_wait_loadcnt_dscnt 0x400
	v_mul_f64_e32 v[92:93], v[84:85], v[12:13]
	v_mul_f64_e32 v[12:13], v[86:87], v[12:13]
	v_fmac_f64_e32 v[88:89], v[70:71], v[104:105]
	v_fma_f64 v[94:95], v[68:69], v[104:105], -v[98:99]
	v_add_f64_e32 v[4:5], v[4:5], v[80:81]
	v_add_f64_e32 v[8:9], v[8:9], v[90:91]
	ds_load_b128 v[68:71], v2 offset:720
	ds_load_b128 v[80:83], v2 offset:736
	v_fmac_f64_e32 v[92:93], v[86:87], v[10:11]
	v_fma_f64 v[10:11], v[84:85], v[10:11], -v[12:13]
	s_wait_dscnt 0x1
	v_mul_f64_e32 v[90:91], v[68:69], v[118:119]
	v_mul_f64_e32 v[96:97], v[70:71], v[118:119]
	v_add_f64_e32 v[4:5], v[4:5], v[94:95]
	v_add_f64_e32 v[8:9], v[8:9], v[88:89]
	s_wait_loadcnt_dscnt 0x300
	v_mul_f64_e32 v[12:13], v[80:81], v[66:67]
	v_mul_f64_e32 v[84:85], v[82:83], v[66:67]
	v_fmac_f64_e32 v[90:91], v[70:71], v[116:117]
	v_fma_f64 v[70:71], v[68:69], v[116:117], -v[96:97]
	v_add_f64_e32 v[4:5], v[4:5], v[10:11]
	v_add_f64_e32 v[86:87], v[8:9], v[92:93]
	ds_load_b128 v[8:11], v2 offset:752
	ds_load_b128 v[66:69], v2 offset:768
	v_fmac_f64_e32 v[12:13], v[82:83], v[64:65]
	v_fma_f64 v[64:65], v[80:81], v[64:65], -v[84:85]
	s_wait_loadcnt_dscnt 0x201
	v_mul_f64_e32 v[88:89], v[8:9], v[102:103]
	v_mul_f64_e32 v[92:93], v[10:11], v[102:103]
	s_wait_loadcnt_dscnt 0x100
	v_mul_f64_e32 v[80:81], v[66:67], v[74:75]
	v_mul_f64_e32 v[74:75], v[68:69], v[74:75]
	v_add_f64_e32 v[4:5], v[4:5], v[70:71]
	v_add_f64_e32 v[70:71], v[86:87], v[90:91]
	v_fmac_f64_e32 v[88:89], v[10:11], v[100:101]
	v_fma_f64 v[82:83], v[8:9], v[100:101], -v[92:93]
	ds_load_b128 v[8:11], v2 offset:784
	v_fmac_f64_e32 v[80:81], v[68:69], v[72:73]
	v_fma_f64 v[66:67], v[66:67], v[72:73], -v[74:75]
	v_add_f64_e32 v[4:5], v[4:5], v[64:65]
	v_add_f64_e32 v[12:13], v[70:71], v[12:13]
	s_wait_loadcnt_dscnt 0x0
	v_mul_f64_e32 v[64:65], v[8:9], v[78:79]
	v_mul_f64_e32 v[70:71], v[10:11], v[78:79]
	s_delay_alu instid0(VALU_DEP_4) | instskip(NEXT) | instid1(VALU_DEP_4)
	v_add_f64_e32 v[4:5], v[4:5], v[82:83]
	v_add_f64_e32 v[12:13], v[12:13], v[88:89]
	s_delay_alu instid0(VALU_DEP_4) | instskip(NEXT) | instid1(VALU_DEP_4)
	v_fmac_f64_e32 v[64:65], v[10:11], v[76:77]
	v_fma_f64 v[8:9], v[8:9], v[76:77], -v[70:71]
	s_delay_alu instid0(VALU_DEP_4) | instskip(NEXT) | instid1(VALU_DEP_4)
	v_add_f64_e32 v[4:5], v[4:5], v[66:67]
	v_add_f64_e32 v[10:11], v[12:13], v[80:81]
	s_delay_alu instid0(VALU_DEP_2) | instskip(NEXT) | instid1(VALU_DEP_2)
	v_add_f64_e32 v[4:5], v[4:5], v[8:9]
	v_add_f64_e32 v[10:11], v[10:11], v[64:65]
	s_delay_alu instid0(VALU_DEP_2) | instskip(NEXT) | instid1(VALU_DEP_2)
	v_add_f64_e64 v[8:9], v[108:109], -v[4:5]
	v_add_f64_e64 v[10:11], v[110:111], -v[10:11]
	scratch_store_b128 off, v[8:11], off offset:112
	s_wait_xcnt 0x0
	v_cmpx_lt_u32_e32 6, v1
	s_cbranch_execz .LBB88_151
; %bb.150:
	scratch_load_b128 v[8:11], off, s13
	v_dual_mov_b32 v3, v2 :: v_dual_mov_b32 v4, v2
	v_mov_b32_e32 v5, v2
	scratch_store_b128 off, v[2:5], off offset:96
	s_wait_loadcnt 0x0
	ds_store_b128 v6, v[8:11]
.LBB88_151:
	s_wait_xcnt 0x0
	s_or_b32 exec_lo, exec_lo, s2
	s_wait_storecnt_dscnt 0x0
	s_barrier_signal -1
	s_barrier_wait -1
	s_clause 0x9
	scratch_load_b128 v[8:11], off, off offset:112
	scratch_load_b128 v[64:67], off, off offset:128
	;; [unrolled: 1-line block ×10, first 2 shown]
	ds_load_b128 v[100:103], v2 offset:512
	ds_load_b128 v[108:111], v2 offset:528
	s_clause 0x1
	scratch_load_b128 v[104:107], off, off offset:272
	scratch_load_b128 v[112:115], off, off offset:96
	s_mov_b32 s2, exec_lo
	s_wait_loadcnt_dscnt 0xb01
	v_mul_f64_e32 v[4:5], v[102:103], v[10:11]
	v_mul_f64_e32 v[124:125], v[100:101], v[10:11]
	scratch_load_b128 v[10:13], off, off offset:288
	s_wait_loadcnt_dscnt 0xb00
	v_mul_f64_e32 v[126:127], v[108:109], v[66:67]
	v_mul_f64_e32 v[66:67], v[110:111], v[66:67]
	v_fma_f64 v[4:5], v[100:101], v[8:9], -v[4:5]
	v_fmac_f64_e32 v[124:125], v[102:103], v[8:9]
	ds_load_b128 v[100:103], v2 offset:544
	ds_load_b128 v[116:119], v2 offset:560
	scratch_load_b128 v[120:123], off, off offset:304
	v_fmac_f64_e32 v[126:127], v[110:111], v[64:65]
	v_fma_f64 v[108:109], v[108:109], v[64:65], -v[66:67]
	scratch_load_b128 v[64:67], off, off offset:320
	s_wait_loadcnt_dscnt 0xc01
	v_mul_f64_e32 v[8:9], v[100:101], v[70:71]
	v_mul_f64_e32 v[70:71], v[102:103], v[70:71]
	v_add_f64_e32 v[4:5], 0, v[4:5]
	v_add_f64_e32 v[110:111], 0, v[124:125]
	s_wait_loadcnt_dscnt 0xb00
	v_mul_f64_e32 v[124:125], v[116:117], v[74:75]
	v_mul_f64_e32 v[74:75], v[118:119], v[74:75]
	v_fmac_f64_e32 v[8:9], v[102:103], v[68:69]
	v_fma_f64 v[128:129], v[100:101], v[68:69], -v[70:71]
	ds_load_b128 v[68:71], v2 offset:576
	ds_load_b128 v[100:103], v2 offset:592
	v_add_f64_e32 v[4:5], v[4:5], v[108:109]
	v_add_f64_e32 v[126:127], v[110:111], v[126:127]
	scratch_load_b128 v[108:111], off, off offset:336
	v_fmac_f64_e32 v[124:125], v[118:119], v[72:73]
	v_fma_f64 v[116:117], v[116:117], v[72:73], -v[74:75]
	scratch_load_b128 v[72:75], off, off offset:352
	s_wait_loadcnt_dscnt 0xc01
	v_mul_f64_e32 v[130:131], v[68:69], v[78:79]
	v_mul_f64_e32 v[78:79], v[70:71], v[78:79]
	v_add_f64_e32 v[4:5], v[4:5], v[128:129]
	v_add_f64_e32 v[8:9], v[126:127], v[8:9]
	s_wait_loadcnt_dscnt 0xb00
	v_mul_f64_e32 v[126:127], v[100:101], v[82:83]
	v_mul_f64_e32 v[82:83], v[102:103], v[82:83]
	v_fmac_f64_e32 v[130:131], v[70:71], v[76:77]
	v_fma_f64 v[128:129], v[68:69], v[76:77], -v[78:79]
	ds_load_b128 v[68:71], v2 offset:608
	ds_load_b128 v[76:79], v2 offset:624
	v_add_f64_e32 v[4:5], v[4:5], v[116:117]
	v_add_f64_e32 v[8:9], v[8:9], v[124:125]
	scratch_load_b128 v[116:119], off, off offset:368
	s_wait_loadcnt_dscnt 0xb01
	v_mul_f64_e32 v[124:125], v[68:69], v[86:87]
	v_mul_f64_e32 v[86:87], v[70:71], v[86:87]
	v_fmac_f64_e32 v[126:127], v[102:103], v[80:81]
	v_fma_f64 v[100:101], v[100:101], v[80:81], -v[82:83]
	scratch_load_b128 v[80:83], off, off offset:384
	s_wait_loadcnt_dscnt 0xb00
	v_mul_f64_e32 v[102:103], v[76:77], v[90:91]
	v_mul_f64_e32 v[90:91], v[78:79], v[90:91]
	v_add_f64_e32 v[4:5], v[4:5], v[128:129]
	v_add_f64_e32 v[8:9], v[8:9], v[130:131]
	v_fmac_f64_e32 v[124:125], v[70:71], v[84:85]
	v_fma_f64 v[128:129], v[68:69], v[84:85], -v[86:87]
	ds_load_b128 v[68:71], v2 offset:640
	ds_load_b128 v[84:87], v2 offset:656
	v_fmac_f64_e32 v[102:103], v[78:79], v[88:89]
	v_fma_f64 v[76:77], v[76:77], v[88:89], -v[90:91]
	s_wait_loadcnt_dscnt 0x900
	v_mul_f64_e32 v[88:89], v[84:85], v[98:99]
	v_mul_f64_e32 v[90:91], v[86:87], v[98:99]
	v_add_f64_e32 v[4:5], v[4:5], v[100:101]
	v_add_f64_e32 v[8:9], v[8:9], v[126:127]
	v_mul_f64_e32 v[100:101], v[68:69], v[94:95]
	v_mul_f64_e32 v[94:95], v[70:71], v[94:95]
	v_fmac_f64_e32 v[88:89], v[86:87], v[96:97]
	v_fma_f64 v[84:85], v[84:85], v[96:97], -v[90:91]
	v_add_f64_e32 v[4:5], v[4:5], v[128:129]
	v_add_f64_e32 v[8:9], v[8:9], v[124:125]
	v_fmac_f64_e32 v[100:101], v[70:71], v[92:93]
	v_fma_f64 v[92:93], v[68:69], v[92:93], -v[94:95]
	s_delay_alu instid0(VALU_DEP_4) | instskip(NEXT) | instid1(VALU_DEP_4)
	v_add_f64_e32 v[4:5], v[4:5], v[76:77]
	v_add_f64_e32 v[8:9], v[8:9], v[102:103]
	ds_load_b128 v[68:71], v2 offset:672
	ds_load_b128 v[76:79], v2 offset:688
	s_wait_loadcnt_dscnt 0x801
	v_mul_f64_e32 v[94:95], v[68:69], v[106:107]
	v_mul_f64_e32 v[98:99], v[70:71], v[106:107]
	v_add_f64_e32 v[4:5], v[4:5], v[92:93]
	v_add_f64_e32 v[8:9], v[8:9], v[100:101]
	s_wait_loadcnt_dscnt 0x600
	v_mul_f64_e32 v[90:91], v[76:77], v[12:13]
	v_mul_f64_e32 v[12:13], v[78:79], v[12:13]
	v_fmac_f64_e32 v[94:95], v[70:71], v[104:105]
	v_fma_f64 v[92:93], v[68:69], v[104:105], -v[98:99]
	v_add_f64_e32 v[4:5], v[4:5], v[84:85]
	v_add_f64_e32 v[8:9], v[8:9], v[88:89]
	ds_load_b128 v[68:71], v2 offset:704
	ds_load_b128 v[84:87], v2 offset:720
	v_fmac_f64_e32 v[90:91], v[78:79], v[10:11]
	v_fma_f64 v[10:11], v[76:77], v[10:11], -v[12:13]
	s_wait_loadcnt_dscnt 0x501
	v_mul_f64_e32 v[88:89], v[68:69], v[122:123]
	v_mul_f64_e32 v[96:97], v[70:71], v[122:123]
	s_wait_loadcnt_dscnt 0x400
	v_mul_f64_e32 v[12:13], v[84:85], v[66:67]
	v_mul_f64_e32 v[76:77], v[86:87], v[66:67]
	v_add_f64_e32 v[4:5], v[4:5], v[92:93]
	v_add_f64_e32 v[8:9], v[8:9], v[94:95]
	v_fmac_f64_e32 v[88:89], v[70:71], v[120:121]
	v_fma_f64 v[70:71], v[68:69], v[120:121], -v[96:97]
	v_fmac_f64_e32 v[12:13], v[86:87], v[64:65]
	v_fma_f64 v[64:65], v[84:85], v[64:65], -v[76:77]
	v_add_f64_e32 v[4:5], v[4:5], v[10:11]
	v_add_f64_e32 v[78:79], v[8:9], v[90:91]
	ds_load_b128 v[8:11], v2 offset:736
	ds_load_b128 v[66:69], v2 offset:752
	s_wait_loadcnt_dscnt 0x301
	v_mul_f64_e32 v[90:91], v[8:9], v[110:111]
	v_mul_f64_e32 v[92:93], v[10:11], v[110:111]
	s_wait_loadcnt_dscnt 0x200
	v_mul_f64_e32 v[76:77], v[66:67], v[74:75]
	v_mul_f64_e32 v[74:75], v[68:69], v[74:75]
	v_add_f64_e32 v[4:5], v[4:5], v[70:71]
	v_add_f64_e32 v[70:71], v[78:79], v[88:89]
	v_fmac_f64_e32 v[90:91], v[10:11], v[108:109]
	v_fma_f64 v[78:79], v[8:9], v[108:109], -v[92:93]
	v_fmac_f64_e32 v[76:77], v[68:69], v[72:73]
	v_fma_f64 v[66:67], v[66:67], v[72:73], -v[74:75]
	v_add_f64_e32 v[64:65], v[4:5], v[64:65]
	v_add_f64_e32 v[12:13], v[70:71], v[12:13]
	ds_load_b128 v[8:11], v2 offset:768
	ds_load_b128 v[2:5], v2 offset:784
	s_wait_loadcnt_dscnt 0x101
	v_mul_f64_e32 v[70:71], v[8:9], v[118:119]
	v_mul_f64_e32 v[84:85], v[10:11], v[118:119]
	s_wait_loadcnt_dscnt 0x0
	v_mul_f64_e32 v[68:69], v[2:3], v[82:83]
	v_mul_f64_e32 v[72:73], v[4:5], v[82:83]
	v_add_f64_e32 v[64:65], v[64:65], v[78:79]
	v_add_f64_e32 v[12:13], v[12:13], v[90:91]
	v_fmac_f64_e32 v[70:71], v[10:11], v[116:117]
	v_fma_f64 v[8:9], v[8:9], v[116:117], -v[84:85]
	v_fmac_f64_e32 v[68:69], v[4:5], v[80:81]
	v_fma_f64 v[2:3], v[2:3], v[80:81], -v[72:73]
	v_add_f64_e32 v[10:11], v[64:65], v[66:67]
	v_add_f64_e32 v[12:13], v[12:13], v[76:77]
	s_delay_alu instid0(VALU_DEP_2) | instskip(NEXT) | instid1(VALU_DEP_2)
	v_add_f64_e32 v[4:5], v[10:11], v[8:9]
	v_add_f64_e32 v[8:9], v[12:13], v[70:71]
	s_delay_alu instid0(VALU_DEP_2) | instskip(NEXT) | instid1(VALU_DEP_2)
	;; [unrolled: 3-line block ×3, first 2 shown]
	v_add_f64_e64 v[2:3], v[112:113], -v[2:3]
	v_add_f64_e64 v[4:5], v[114:115], -v[4:5]
	scratch_store_b128 off, v[2:5], off offset:96
	s_wait_xcnt 0x0
	v_cmpx_lt_u32_e32 5, v1
	s_cbranch_execz .LBB88_153
; %bb.152:
	scratch_load_b128 v[2:5], off, s24
	v_mov_b32_e32 v8, 0
	s_delay_alu instid0(VALU_DEP_1)
	v_dual_mov_b32 v9, v8 :: v_dual_mov_b32 v10, v8
	v_mov_b32_e32 v11, v8
	scratch_store_b128 off, v[8:11], off offset:80
	s_wait_loadcnt 0x0
	ds_store_b128 v6, v[2:5]
.LBB88_153:
	s_wait_xcnt 0x0
	s_or_b32 exec_lo, exec_lo, s2
	s_wait_storecnt_dscnt 0x0
	s_barrier_signal -1
	s_barrier_wait -1
	s_clause 0x9
	scratch_load_b128 v[8:11], off, off offset:96
	scratch_load_b128 v[64:67], off, off offset:112
	;; [unrolled: 1-line block ×10, first 2 shown]
	v_mov_b32_e32 v2, 0
	s_mov_b32 s2, exec_lo
	ds_load_b128 v[100:103], v2 offset:496
	s_clause 0x2
	scratch_load_b128 v[104:107], off, off offset:256
	scratch_load_b128 v[108:111], off, off offset:80
	scratch_load_b128 v[116:119], off, off offset:288
	s_wait_loadcnt_dscnt 0xc00
	v_mul_f64_e32 v[4:5], v[102:103], v[10:11]
	v_mul_f64_e32 v[124:125], v[100:101], v[10:11]
	ds_load_b128 v[112:115], v2 offset:512
	scratch_load_b128 v[10:13], off, off offset:272
	ds_load_b128 v[120:123], v2 offset:544
	v_fma_f64 v[4:5], v[100:101], v[8:9], -v[4:5]
	v_fmac_f64_e32 v[124:125], v[102:103], v[8:9]
	ds_load_b128 v[100:103], v2 offset:528
	s_wait_loadcnt_dscnt 0xc02
	v_mul_f64_e32 v[126:127], v[112:113], v[66:67]
	v_mul_f64_e32 v[66:67], v[114:115], v[66:67]
	s_wait_loadcnt_dscnt 0xb00
	v_mul_f64_e32 v[8:9], v[100:101], v[70:71]
	v_mul_f64_e32 v[70:71], v[102:103], v[70:71]
	v_add_f64_e32 v[4:5], 0, v[4:5]
	v_fmac_f64_e32 v[126:127], v[114:115], v[64:65]
	v_fma_f64 v[112:113], v[112:113], v[64:65], -v[66:67]
	v_add_f64_e32 v[114:115], 0, v[124:125]
	scratch_load_b128 v[64:67], off, off offset:304
	v_fmac_f64_e32 v[8:9], v[102:103], v[68:69]
	v_fma_f64 v[128:129], v[100:101], v[68:69], -v[70:71]
	ds_load_b128 v[68:71], v2 offset:560
	s_wait_loadcnt 0xb
	v_mul_f64_e32 v[124:125], v[120:121], v[74:75]
	v_mul_f64_e32 v[74:75], v[122:123], v[74:75]
	scratch_load_b128 v[100:103], off, off offset:320
	v_add_f64_e32 v[4:5], v[4:5], v[112:113]
	v_add_f64_e32 v[126:127], v[114:115], v[126:127]
	ds_load_b128 v[112:115], v2 offset:576
	s_wait_loadcnt_dscnt 0xb01
	v_mul_f64_e32 v[130:131], v[68:69], v[78:79]
	v_mul_f64_e32 v[78:79], v[70:71], v[78:79]
	v_fmac_f64_e32 v[124:125], v[122:123], v[72:73]
	v_fma_f64 v[120:121], v[120:121], v[72:73], -v[74:75]
	scratch_load_b128 v[72:75], off, off offset:336
	v_add_f64_e32 v[4:5], v[4:5], v[128:129]
	v_add_f64_e32 v[8:9], v[126:127], v[8:9]
	v_fmac_f64_e32 v[130:131], v[70:71], v[76:77]
	v_fma_f64 v[128:129], v[68:69], v[76:77], -v[78:79]
	ds_load_b128 v[68:71], v2 offset:592
	s_wait_loadcnt_dscnt 0xb01
	v_mul_f64_e32 v[126:127], v[112:113], v[82:83]
	v_mul_f64_e32 v[82:83], v[114:115], v[82:83]
	scratch_load_b128 v[76:79], off, off offset:352
	v_add_f64_e32 v[4:5], v[4:5], v[120:121]
	v_add_f64_e32 v[8:9], v[8:9], v[124:125]
	s_wait_loadcnt_dscnt 0xb00
	v_mul_f64_e32 v[124:125], v[68:69], v[86:87]
	v_mul_f64_e32 v[86:87], v[70:71], v[86:87]
	ds_load_b128 v[120:123], v2 offset:608
	v_fmac_f64_e32 v[126:127], v[114:115], v[80:81]
	v_fma_f64 v[112:113], v[112:113], v[80:81], -v[82:83]
	scratch_load_b128 v[80:83], off, off offset:368
	v_add_f64_e32 v[4:5], v[4:5], v[128:129]
	v_add_f64_e32 v[8:9], v[8:9], v[130:131]
	v_fmac_f64_e32 v[124:125], v[70:71], v[84:85]
	v_fma_f64 v[130:131], v[68:69], v[84:85], -v[86:87]
	ds_load_b128 v[68:71], v2 offset:624
	s_wait_loadcnt_dscnt 0xb01
	v_mul_f64_e32 v[128:129], v[120:121], v[90:91]
	v_mul_f64_e32 v[90:91], v[122:123], v[90:91]
	scratch_load_b128 v[84:87], off, off offset:384
	v_add_f64_e32 v[4:5], v[4:5], v[112:113]
	v_add_f64_e32 v[8:9], v[8:9], v[126:127]
	s_wait_loadcnt_dscnt 0xb00
	v_mul_f64_e32 v[126:127], v[68:69], v[94:95]
	v_mul_f64_e32 v[94:95], v[70:71], v[94:95]
	ds_load_b128 v[112:115], v2 offset:640
	v_fmac_f64_e32 v[128:129], v[122:123], v[88:89]
	v_fma_f64 v[88:89], v[120:121], v[88:89], -v[90:91]
	s_wait_loadcnt_dscnt 0xa00
	v_mul_f64_e32 v[120:121], v[112:113], v[98:99]
	v_mul_f64_e32 v[98:99], v[114:115], v[98:99]
	v_add_f64_e32 v[4:5], v[4:5], v[130:131]
	v_add_f64_e32 v[8:9], v[8:9], v[124:125]
	v_fmac_f64_e32 v[126:127], v[70:71], v[92:93]
	v_fma_f64 v[92:93], v[68:69], v[92:93], -v[94:95]
	v_fmac_f64_e32 v[120:121], v[114:115], v[96:97]
	v_fma_f64 v[96:97], v[112:113], v[96:97], -v[98:99]
	v_add_f64_e32 v[4:5], v[4:5], v[88:89]
	v_add_f64_e32 v[8:9], v[8:9], v[128:129]
	ds_load_b128 v[68:71], v2 offset:656
	ds_load_b128 v[88:91], v2 offset:672
	s_wait_loadcnt_dscnt 0x901
	v_mul_f64_e32 v[122:123], v[68:69], v[106:107]
	v_mul_f64_e32 v[94:95], v[70:71], v[106:107]
	s_wait_loadcnt_dscnt 0x600
	v_mul_f64_e32 v[98:99], v[88:89], v[12:13]
	v_add_f64_e32 v[4:5], v[4:5], v[92:93]
	v_add_f64_e32 v[8:9], v[8:9], v[126:127]
	v_mul_f64_e32 v[12:13], v[90:91], v[12:13]
	v_fmac_f64_e32 v[122:123], v[70:71], v[104:105]
	v_fma_f64 v[104:105], v[68:69], v[104:105], -v[94:95]
	ds_load_b128 v[68:71], v2 offset:688
	ds_load_b128 v[92:95], v2 offset:704
	v_fmac_f64_e32 v[98:99], v[90:91], v[10:11]
	v_add_f64_e32 v[4:5], v[4:5], v[96:97]
	v_add_f64_e32 v[8:9], v[8:9], v[120:121]
	v_fma_f64 v[10:11], v[88:89], v[10:11], -v[12:13]
	s_wait_dscnt 0x1
	v_mul_f64_e32 v[96:97], v[68:69], v[118:119]
	v_mul_f64_e32 v[106:107], v[70:71], v[118:119]
	v_add_f64_e32 v[4:5], v[4:5], v[104:105]
	v_add_f64_e32 v[8:9], v[8:9], v[122:123]
	s_wait_loadcnt_dscnt 0x500
	v_mul_f64_e32 v[12:13], v[92:93], v[66:67]
	v_mul_f64_e32 v[88:89], v[94:95], v[66:67]
	v_fmac_f64_e32 v[96:97], v[70:71], v[116:117]
	v_fma_f64 v[70:71], v[68:69], v[116:117], -v[106:107]
	v_add_f64_e32 v[4:5], v[4:5], v[10:11]
	v_add_f64_e32 v[90:91], v[8:9], v[98:99]
	ds_load_b128 v[8:11], v2 offset:720
	ds_load_b128 v[66:69], v2 offset:736
	v_fmac_f64_e32 v[12:13], v[94:95], v[64:65]
	v_fma_f64 v[64:65], v[92:93], v[64:65], -v[88:89]
	s_wait_loadcnt_dscnt 0x401
	v_mul_f64_e32 v[98:99], v[8:9], v[102:103]
	v_mul_f64_e32 v[102:103], v[10:11], v[102:103]
	s_wait_loadcnt_dscnt 0x300
	v_mul_f64_e32 v[92:93], v[66:67], v[74:75]
	v_mul_f64_e32 v[74:75], v[68:69], v[74:75]
	v_add_f64_e32 v[4:5], v[4:5], v[70:71]
	v_add_f64_e32 v[70:71], v[90:91], v[96:97]
	v_fmac_f64_e32 v[98:99], v[10:11], v[100:101]
	v_fma_f64 v[94:95], v[8:9], v[100:101], -v[102:103]
	ds_load_b128 v[8:11], v2 offset:752
	ds_load_b128 v[88:91], v2 offset:768
	v_fmac_f64_e32 v[92:93], v[68:69], v[72:73]
	v_fma_f64 v[66:67], v[66:67], v[72:73], -v[74:75]
	v_add_f64_e32 v[4:5], v[4:5], v[64:65]
	v_add_f64_e32 v[12:13], v[70:71], v[12:13]
	s_wait_loadcnt_dscnt 0x201
	v_mul_f64_e32 v[64:65], v[8:9], v[78:79]
	v_mul_f64_e32 v[70:71], v[10:11], v[78:79]
	s_wait_loadcnt_dscnt 0x100
	v_mul_f64_e32 v[68:69], v[88:89], v[82:83]
	v_mul_f64_e32 v[72:73], v[90:91], v[82:83]
	v_add_f64_e32 v[4:5], v[4:5], v[94:95]
	v_add_f64_e32 v[12:13], v[12:13], v[98:99]
	v_fmac_f64_e32 v[64:65], v[10:11], v[76:77]
	v_fma_f64 v[70:71], v[8:9], v[76:77], -v[70:71]
	ds_load_b128 v[8:11], v2 offset:784
	v_fmac_f64_e32 v[68:69], v[90:91], v[80:81]
	v_fma_f64 v[72:73], v[88:89], v[80:81], -v[72:73]
	s_wait_loadcnt_dscnt 0x0
	v_mul_f64_e32 v[74:75], v[10:11], v[86:87]
	v_add_f64_e32 v[4:5], v[4:5], v[66:67]
	v_add_f64_e32 v[12:13], v[12:13], v[92:93]
	v_mul_f64_e32 v[66:67], v[8:9], v[86:87]
	s_delay_alu instid0(VALU_DEP_4) | instskip(NEXT) | instid1(VALU_DEP_4)
	v_fma_f64 v[8:9], v[8:9], v[84:85], -v[74:75]
	v_add_f64_e32 v[4:5], v[4:5], v[70:71]
	s_delay_alu instid0(VALU_DEP_4) | instskip(NEXT) | instid1(VALU_DEP_4)
	v_add_f64_e32 v[12:13], v[12:13], v[64:65]
	v_fmac_f64_e32 v[66:67], v[10:11], v[84:85]
	s_delay_alu instid0(VALU_DEP_3) | instskip(NEXT) | instid1(VALU_DEP_3)
	v_add_f64_e32 v[4:5], v[4:5], v[72:73]
	v_add_f64_e32 v[10:11], v[12:13], v[68:69]
	s_delay_alu instid0(VALU_DEP_2) | instskip(NEXT) | instid1(VALU_DEP_2)
	v_add_f64_e32 v[4:5], v[4:5], v[8:9]
	v_add_f64_e32 v[10:11], v[10:11], v[66:67]
	s_delay_alu instid0(VALU_DEP_2) | instskip(NEXT) | instid1(VALU_DEP_2)
	v_add_f64_e64 v[8:9], v[108:109], -v[4:5]
	v_add_f64_e64 v[10:11], v[110:111], -v[10:11]
	scratch_store_b128 off, v[8:11], off offset:80
	s_wait_xcnt 0x0
	v_cmpx_lt_u32_e32 4, v1
	s_cbranch_execz .LBB88_155
; %bb.154:
	scratch_load_b128 v[8:11], off, s12
	v_dual_mov_b32 v3, v2 :: v_dual_mov_b32 v4, v2
	v_mov_b32_e32 v5, v2
	scratch_store_b128 off, v[2:5], off offset:64
	s_wait_loadcnt 0x0
	ds_store_b128 v6, v[8:11]
.LBB88_155:
	s_wait_xcnt 0x0
	s_or_b32 exec_lo, exec_lo, s2
	s_wait_storecnt_dscnt 0x0
	s_barrier_signal -1
	s_barrier_wait -1
	s_clause 0x9
	scratch_load_b128 v[8:11], off, off offset:80
	scratch_load_b128 v[64:67], off, off offset:96
	;; [unrolled: 1-line block ×10, first 2 shown]
	ds_load_b128 v[100:103], v2 offset:480
	ds_load_b128 v[108:111], v2 offset:496
	s_clause 0x1
	scratch_load_b128 v[104:107], off, off offset:240
	scratch_load_b128 v[112:115], off, off offset:64
	s_mov_b32 s2, exec_lo
	s_wait_loadcnt_dscnt 0xb01
	v_mul_f64_e32 v[4:5], v[102:103], v[10:11]
	v_mul_f64_e32 v[124:125], v[100:101], v[10:11]
	scratch_load_b128 v[10:13], off, off offset:256
	s_wait_loadcnt_dscnt 0xb00
	v_mul_f64_e32 v[126:127], v[108:109], v[66:67]
	v_mul_f64_e32 v[66:67], v[110:111], v[66:67]
	v_fma_f64 v[4:5], v[100:101], v[8:9], -v[4:5]
	v_fmac_f64_e32 v[124:125], v[102:103], v[8:9]
	ds_load_b128 v[100:103], v2 offset:512
	ds_load_b128 v[116:119], v2 offset:528
	scratch_load_b128 v[120:123], off, off offset:272
	v_fmac_f64_e32 v[126:127], v[110:111], v[64:65]
	v_fma_f64 v[108:109], v[108:109], v[64:65], -v[66:67]
	scratch_load_b128 v[64:67], off, off offset:288
	s_wait_loadcnt_dscnt 0xc01
	v_mul_f64_e32 v[8:9], v[100:101], v[70:71]
	v_mul_f64_e32 v[70:71], v[102:103], v[70:71]
	v_add_f64_e32 v[4:5], 0, v[4:5]
	v_add_f64_e32 v[110:111], 0, v[124:125]
	s_wait_loadcnt_dscnt 0xb00
	v_mul_f64_e32 v[124:125], v[116:117], v[74:75]
	v_mul_f64_e32 v[74:75], v[118:119], v[74:75]
	v_fmac_f64_e32 v[8:9], v[102:103], v[68:69]
	v_fma_f64 v[128:129], v[100:101], v[68:69], -v[70:71]
	ds_load_b128 v[68:71], v2 offset:544
	ds_load_b128 v[100:103], v2 offset:560
	v_add_f64_e32 v[4:5], v[4:5], v[108:109]
	v_add_f64_e32 v[126:127], v[110:111], v[126:127]
	scratch_load_b128 v[108:111], off, off offset:304
	v_fmac_f64_e32 v[124:125], v[118:119], v[72:73]
	v_fma_f64 v[116:117], v[116:117], v[72:73], -v[74:75]
	scratch_load_b128 v[72:75], off, off offset:320
	s_wait_loadcnt_dscnt 0xc01
	v_mul_f64_e32 v[130:131], v[68:69], v[78:79]
	v_mul_f64_e32 v[78:79], v[70:71], v[78:79]
	v_add_f64_e32 v[4:5], v[4:5], v[128:129]
	v_add_f64_e32 v[8:9], v[126:127], v[8:9]
	s_wait_loadcnt_dscnt 0xb00
	v_mul_f64_e32 v[126:127], v[100:101], v[82:83]
	v_mul_f64_e32 v[82:83], v[102:103], v[82:83]
	v_fmac_f64_e32 v[130:131], v[70:71], v[76:77]
	v_fma_f64 v[128:129], v[68:69], v[76:77], -v[78:79]
	ds_load_b128 v[68:71], v2 offset:576
	ds_load_b128 v[76:79], v2 offset:592
	v_add_f64_e32 v[4:5], v[4:5], v[116:117]
	v_add_f64_e32 v[8:9], v[8:9], v[124:125]
	scratch_load_b128 v[116:119], off, off offset:336
	s_wait_loadcnt_dscnt 0xb01
	v_mul_f64_e32 v[124:125], v[68:69], v[86:87]
	v_mul_f64_e32 v[86:87], v[70:71], v[86:87]
	v_fmac_f64_e32 v[126:127], v[102:103], v[80:81]
	v_fma_f64 v[100:101], v[100:101], v[80:81], -v[82:83]
	scratch_load_b128 v[80:83], off, off offset:352
	v_add_f64_e32 v[4:5], v[4:5], v[128:129]
	v_add_f64_e32 v[8:9], v[8:9], v[130:131]
	s_wait_loadcnt_dscnt 0xb00
	v_mul_f64_e32 v[128:129], v[76:77], v[90:91]
	v_mul_f64_e32 v[90:91], v[78:79], v[90:91]
	v_fmac_f64_e32 v[124:125], v[70:71], v[84:85]
	v_fma_f64 v[130:131], v[68:69], v[84:85], -v[86:87]
	ds_load_b128 v[68:71], v2 offset:608
	ds_load_b128 v[84:87], v2 offset:624
	v_add_f64_e32 v[4:5], v[4:5], v[100:101]
	v_add_f64_e32 v[8:9], v[8:9], v[126:127]
	scratch_load_b128 v[100:103], off, off offset:368
	s_wait_loadcnt_dscnt 0xb01
	v_mul_f64_e32 v[126:127], v[68:69], v[94:95]
	v_mul_f64_e32 v[94:95], v[70:71], v[94:95]
	v_fmac_f64_e32 v[128:129], v[78:79], v[88:89]
	v_fma_f64 v[88:89], v[76:77], v[88:89], -v[90:91]
	scratch_load_b128 v[76:79], off, off offset:384
	v_add_f64_e32 v[4:5], v[4:5], v[130:131]
	v_add_f64_e32 v[8:9], v[8:9], v[124:125]
	s_wait_loadcnt_dscnt 0xb00
	v_mul_f64_e32 v[124:125], v[84:85], v[98:99]
	v_mul_f64_e32 v[98:99], v[86:87], v[98:99]
	v_fmac_f64_e32 v[126:127], v[70:71], v[92:93]
	v_fma_f64 v[92:93], v[68:69], v[92:93], -v[94:95]
	v_add_f64_e32 v[4:5], v[4:5], v[88:89]
	v_add_f64_e32 v[8:9], v[8:9], v[128:129]
	ds_load_b128 v[68:71], v2 offset:640
	ds_load_b128 v[88:91], v2 offset:656
	v_fmac_f64_e32 v[124:125], v[86:87], v[96:97]
	v_fma_f64 v[84:85], v[84:85], v[96:97], -v[98:99]
	s_wait_loadcnt_dscnt 0xa01
	v_mul_f64_e32 v[94:95], v[68:69], v[106:107]
	v_mul_f64_e32 v[106:107], v[70:71], v[106:107]
	v_add_f64_e32 v[4:5], v[4:5], v[92:93]
	v_add_f64_e32 v[8:9], v[8:9], v[126:127]
	s_wait_loadcnt_dscnt 0x800
	v_mul_f64_e32 v[92:93], v[88:89], v[12:13]
	v_mul_f64_e32 v[12:13], v[90:91], v[12:13]
	v_fmac_f64_e32 v[94:95], v[70:71], v[104:105]
	v_fma_f64 v[96:97], v[68:69], v[104:105], -v[106:107]
	v_add_f64_e32 v[4:5], v[4:5], v[84:85]
	v_add_f64_e32 v[8:9], v[8:9], v[124:125]
	ds_load_b128 v[68:71], v2 offset:672
	ds_load_b128 v[84:87], v2 offset:688
	v_fmac_f64_e32 v[92:93], v[90:91], v[10:11]
	v_fma_f64 v[10:11], v[88:89], v[10:11], -v[12:13]
	s_wait_loadcnt_dscnt 0x701
	v_mul_f64_e32 v[98:99], v[68:69], v[122:123]
	v_mul_f64_e32 v[104:105], v[70:71], v[122:123]
	s_wait_loadcnt_dscnt 0x600
	v_mul_f64_e32 v[12:13], v[84:85], v[66:67]
	v_mul_f64_e32 v[88:89], v[86:87], v[66:67]
	v_add_f64_e32 v[4:5], v[4:5], v[96:97]
	v_add_f64_e32 v[8:9], v[8:9], v[94:95]
	v_fmac_f64_e32 v[98:99], v[70:71], v[120:121]
	v_fma_f64 v[70:71], v[68:69], v[120:121], -v[104:105]
	v_fmac_f64_e32 v[12:13], v[86:87], v[64:65]
	v_fma_f64 v[64:65], v[84:85], v[64:65], -v[88:89]
	v_add_f64_e32 v[4:5], v[4:5], v[10:11]
	v_add_f64_e32 v[90:91], v[8:9], v[92:93]
	ds_load_b128 v[8:11], v2 offset:704
	ds_load_b128 v[66:69], v2 offset:720
	s_wait_loadcnt_dscnt 0x501
	v_mul_f64_e32 v[92:93], v[8:9], v[110:111]
	v_mul_f64_e32 v[94:95], v[10:11], v[110:111]
	s_wait_loadcnt_dscnt 0x400
	v_mul_f64_e32 v[88:89], v[66:67], v[74:75]
	v_mul_f64_e32 v[74:75], v[68:69], v[74:75]
	v_add_f64_e32 v[4:5], v[4:5], v[70:71]
	v_add_f64_e32 v[70:71], v[90:91], v[98:99]
	v_fmac_f64_e32 v[92:93], v[10:11], v[108:109]
	v_fma_f64 v[90:91], v[8:9], v[108:109], -v[94:95]
	ds_load_b128 v[8:11], v2 offset:736
	ds_load_b128 v[84:87], v2 offset:752
	v_fmac_f64_e32 v[88:89], v[68:69], v[72:73]
	v_fma_f64 v[66:67], v[66:67], v[72:73], -v[74:75]
	v_add_f64_e32 v[4:5], v[4:5], v[64:65]
	v_add_f64_e32 v[12:13], v[70:71], v[12:13]
	s_wait_loadcnt_dscnt 0x301
	v_mul_f64_e32 v[64:65], v[8:9], v[118:119]
	v_mul_f64_e32 v[70:71], v[10:11], v[118:119]
	s_wait_loadcnt_dscnt 0x200
	v_mul_f64_e32 v[68:69], v[84:85], v[82:83]
	v_mul_f64_e32 v[72:73], v[86:87], v[82:83]
	v_add_f64_e32 v[4:5], v[4:5], v[90:91]
	v_add_f64_e32 v[12:13], v[12:13], v[92:93]
	v_fmac_f64_e32 v[64:65], v[10:11], v[116:117]
	v_fma_f64 v[70:71], v[8:9], v[116:117], -v[70:71]
	v_fmac_f64_e32 v[68:69], v[86:87], v[80:81]
	v_fma_f64 v[72:73], v[84:85], v[80:81], -v[72:73]
	v_add_f64_e32 v[66:67], v[4:5], v[66:67]
	v_add_f64_e32 v[12:13], v[12:13], v[88:89]
	ds_load_b128 v[8:11], v2 offset:768
	ds_load_b128 v[2:5], v2 offset:784
	s_wait_loadcnt_dscnt 0x101
	v_mul_f64_e32 v[74:75], v[8:9], v[102:103]
	v_mul_f64_e32 v[82:83], v[10:11], v[102:103]
	v_add_f64_e32 v[66:67], v[66:67], v[70:71]
	v_add_f64_e32 v[12:13], v[12:13], v[64:65]
	s_wait_loadcnt_dscnt 0x0
	v_mul_f64_e32 v[64:65], v[2:3], v[78:79]
	v_mul_f64_e32 v[70:71], v[4:5], v[78:79]
	v_fmac_f64_e32 v[74:75], v[10:11], v[100:101]
	v_fma_f64 v[8:9], v[8:9], v[100:101], -v[82:83]
	v_add_f64_e32 v[10:11], v[66:67], v[72:73]
	v_add_f64_e32 v[12:13], v[12:13], v[68:69]
	v_fmac_f64_e32 v[64:65], v[4:5], v[76:77]
	v_fma_f64 v[2:3], v[2:3], v[76:77], -v[70:71]
	s_delay_alu instid0(VALU_DEP_4) | instskip(NEXT) | instid1(VALU_DEP_4)
	v_add_f64_e32 v[4:5], v[10:11], v[8:9]
	v_add_f64_e32 v[8:9], v[12:13], v[74:75]
	s_delay_alu instid0(VALU_DEP_2) | instskip(NEXT) | instid1(VALU_DEP_2)
	v_add_f64_e32 v[2:3], v[4:5], v[2:3]
	v_add_f64_e32 v[4:5], v[8:9], v[64:65]
	s_delay_alu instid0(VALU_DEP_2) | instskip(NEXT) | instid1(VALU_DEP_2)
	v_add_f64_e64 v[2:3], v[112:113], -v[2:3]
	v_add_f64_e64 v[4:5], v[114:115], -v[4:5]
	scratch_store_b128 off, v[2:5], off offset:64
	s_wait_xcnt 0x0
	v_cmpx_lt_u32_e32 3, v1
	s_cbranch_execz .LBB88_157
; %bb.156:
	scratch_load_b128 v[2:5], off, s23
	v_mov_b32_e32 v8, 0
	s_delay_alu instid0(VALU_DEP_1)
	v_dual_mov_b32 v9, v8 :: v_dual_mov_b32 v10, v8
	v_mov_b32_e32 v11, v8
	scratch_store_b128 off, v[8:11], off offset:48
	s_wait_loadcnt 0x0
	ds_store_b128 v6, v[2:5]
.LBB88_157:
	s_wait_xcnt 0x0
	s_or_b32 exec_lo, exec_lo, s2
	s_wait_storecnt_dscnt 0x0
	s_barrier_signal -1
	s_barrier_wait -1
	s_clause 0x9
	scratch_load_b128 v[8:11], off, off offset:64
	scratch_load_b128 v[64:67], off, off offset:80
	;; [unrolled: 1-line block ×10, first 2 shown]
	v_mov_b32_e32 v2, 0
	s_mov_b32 s2, exec_lo
	ds_load_b128 v[100:103], v2 offset:464
	s_clause 0x2
	scratch_load_b128 v[104:107], off, off offset:224
	scratch_load_b128 v[108:111], off, off offset:48
	;; [unrolled: 1-line block ×3, first 2 shown]
	s_wait_loadcnt_dscnt 0xc00
	v_mul_f64_e32 v[4:5], v[102:103], v[10:11]
	v_mul_f64_e32 v[124:125], v[100:101], v[10:11]
	ds_load_b128 v[112:115], v2 offset:480
	scratch_load_b128 v[10:13], off, off offset:240
	ds_load_b128 v[120:123], v2 offset:512
	v_fma_f64 v[4:5], v[100:101], v[8:9], -v[4:5]
	v_fmac_f64_e32 v[124:125], v[102:103], v[8:9]
	ds_load_b128 v[100:103], v2 offset:496
	s_wait_loadcnt_dscnt 0xc02
	v_mul_f64_e32 v[126:127], v[112:113], v[66:67]
	v_mul_f64_e32 v[66:67], v[114:115], v[66:67]
	s_wait_loadcnt_dscnt 0xb00
	v_mul_f64_e32 v[8:9], v[100:101], v[70:71]
	v_mul_f64_e32 v[70:71], v[102:103], v[70:71]
	v_add_f64_e32 v[4:5], 0, v[4:5]
	v_fmac_f64_e32 v[126:127], v[114:115], v[64:65]
	v_fma_f64 v[112:113], v[112:113], v[64:65], -v[66:67]
	v_add_f64_e32 v[114:115], 0, v[124:125]
	scratch_load_b128 v[64:67], off, off offset:272
	v_fmac_f64_e32 v[8:9], v[102:103], v[68:69]
	v_fma_f64 v[128:129], v[100:101], v[68:69], -v[70:71]
	ds_load_b128 v[68:71], v2 offset:528
	s_wait_loadcnt 0xb
	v_mul_f64_e32 v[124:125], v[120:121], v[74:75]
	v_mul_f64_e32 v[74:75], v[122:123], v[74:75]
	scratch_load_b128 v[100:103], off, off offset:288
	v_add_f64_e32 v[4:5], v[4:5], v[112:113]
	v_add_f64_e32 v[126:127], v[114:115], v[126:127]
	ds_load_b128 v[112:115], v2 offset:544
	s_wait_loadcnt_dscnt 0xb01
	v_mul_f64_e32 v[130:131], v[68:69], v[78:79]
	v_mul_f64_e32 v[78:79], v[70:71], v[78:79]
	v_fmac_f64_e32 v[124:125], v[122:123], v[72:73]
	v_fma_f64 v[120:121], v[120:121], v[72:73], -v[74:75]
	scratch_load_b128 v[72:75], off, off offset:304
	v_add_f64_e32 v[4:5], v[4:5], v[128:129]
	v_add_f64_e32 v[8:9], v[126:127], v[8:9]
	v_fmac_f64_e32 v[130:131], v[70:71], v[76:77]
	v_fma_f64 v[128:129], v[68:69], v[76:77], -v[78:79]
	ds_load_b128 v[68:71], v2 offset:560
	s_wait_loadcnt_dscnt 0xb01
	v_mul_f64_e32 v[126:127], v[112:113], v[82:83]
	v_mul_f64_e32 v[82:83], v[114:115], v[82:83]
	scratch_load_b128 v[76:79], off, off offset:320
	v_add_f64_e32 v[4:5], v[4:5], v[120:121]
	v_add_f64_e32 v[8:9], v[8:9], v[124:125]
	s_wait_loadcnt_dscnt 0xb00
	v_mul_f64_e32 v[124:125], v[68:69], v[86:87]
	v_mul_f64_e32 v[86:87], v[70:71], v[86:87]
	ds_load_b128 v[120:123], v2 offset:576
	v_fmac_f64_e32 v[126:127], v[114:115], v[80:81]
	v_fma_f64 v[112:113], v[112:113], v[80:81], -v[82:83]
	scratch_load_b128 v[80:83], off, off offset:336
	v_add_f64_e32 v[4:5], v[4:5], v[128:129]
	v_add_f64_e32 v[8:9], v[8:9], v[130:131]
	v_fmac_f64_e32 v[124:125], v[70:71], v[84:85]
	v_fma_f64 v[130:131], v[68:69], v[84:85], -v[86:87]
	ds_load_b128 v[68:71], v2 offset:592
	s_wait_loadcnt_dscnt 0xb01
	v_mul_f64_e32 v[128:129], v[120:121], v[90:91]
	v_mul_f64_e32 v[90:91], v[122:123], v[90:91]
	scratch_load_b128 v[84:87], off, off offset:352
	v_add_f64_e32 v[4:5], v[4:5], v[112:113]
	v_add_f64_e32 v[8:9], v[8:9], v[126:127]
	s_wait_loadcnt_dscnt 0xb00
	v_mul_f64_e32 v[126:127], v[68:69], v[94:95]
	v_mul_f64_e32 v[94:95], v[70:71], v[94:95]
	ds_load_b128 v[112:115], v2 offset:608
	;; [unrolled: 18-line block ×3, first 2 shown]
	v_fmac_f64_e32 v[124:125], v[114:115], v[96:97]
	v_fma_f64 v[96:97], v[112:113], v[96:97], -v[98:99]
	s_wait_loadcnt_dscnt 0x800
	v_mul_f64_e32 v[112:113], v[120:121], v[12:13]
	v_add_f64_e32 v[4:5], v[4:5], v[130:131]
	v_add_f64_e32 v[8:9], v[8:9], v[126:127]
	v_mul_f64_e32 v[12:13], v[122:123], v[12:13]
	v_fmac_f64_e32 v[128:129], v[70:71], v[104:105]
	v_fma_f64 v[104:105], v[68:69], v[104:105], -v[106:107]
	v_fmac_f64_e32 v[112:113], v[122:123], v[10:11]
	v_add_f64_e32 v[4:5], v[4:5], v[96:97]
	v_add_f64_e32 v[8:9], v[8:9], v[124:125]
	ds_load_b128 v[68:71], v2 offset:656
	ds_load_b128 v[96:99], v2 offset:672
	v_fma_f64 v[10:11], v[120:121], v[10:11], -v[12:13]
	s_wait_dscnt 0x1
	v_mul_f64_e32 v[106:107], v[68:69], v[118:119]
	v_mul_f64_e32 v[114:115], v[70:71], v[118:119]
	v_add_f64_e32 v[4:5], v[4:5], v[104:105]
	v_add_f64_e32 v[8:9], v[8:9], v[128:129]
	s_wait_loadcnt_dscnt 0x700
	v_mul_f64_e32 v[12:13], v[96:97], v[66:67]
	v_mul_f64_e32 v[104:105], v[98:99], v[66:67]
	v_fmac_f64_e32 v[106:107], v[70:71], v[116:117]
	v_fma_f64 v[70:71], v[68:69], v[116:117], -v[114:115]
	v_add_f64_e32 v[4:5], v[4:5], v[10:11]
	v_add_f64_e32 v[112:113], v[8:9], v[112:113]
	ds_load_b128 v[8:11], v2 offset:688
	ds_load_b128 v[66:69], v2 offset:704
	v_fmac_f64_e32 v[12:13], v[98:99], v[64:65]
	v_fma_f64 v[64:65], v[96:97], v[64:65], -v[104:105]
	s_wait_loadcnt_dscnt 0x601
	v_mul_f64_e32 v[114:115], v[8:9], v[102:103]
	v_mul_f64_e32 v[102:103], v[10:11], v[102:103]
	s_wait_loadcnt_dscnt 0x500
	v_mul_f64_e32 v[104:105], v[66:67], v[74:75]
	v_mul_f64_e32 v[74:75], v[68:69], v[74:75]
	v_add_f64_e32 v[4:5], v[4:5], v[70:71]
	v_add_f64_e32 v[70:71], v[112:113], v[106:107]
	v_fmac_f64_e32 v[114:115], v[10:11], v[100:101]
	v_fma_f64 v[100:101], v[8:9], v[100:101], -v[102:103]
	ds_load_b128 v[8:11], v2 offset:720
	ds_load_b128 v[96:99], v2 offset:736
	v_fmac_f64_e32 v[104:105], v[68:69], v[72:73]
	v_fma_f64 v[66:67], v[66:67], v[72:73], -v[74:75]
	v_add_f64_e32 v[4:5], v[4:5], v[64:65]
	v_add_f64_e32 v[12:13], v[70:71], v[12:13]
	s_wait_loadcnt_dscnt 0x401
	v_mul_f64_e32 v[70:71], v[8:9], v[78:79]
	v_mul_f64_e32 v[64:65], v[10:11], v[78:79]
	s_wait_loadcnt_dscnt 0x300
	v_mul_f64_e32 v[68:69], v[96:97], v[82:83]
	v_mul_f64_e32 v[72:73], v[98:99], v[82:83]
	v_add_f64_e32 v[4:5], v[4:5], v[100:101]
	v_add_f64_e32 v[12:13], v[12:13], v[114:115]
	v_fmac_f64_e32 v[70:71], v[10:11], v[76:77]
	v_fma_f64 v[74:75], v[8:9], v[76:77], -v[64:65]
	v_fmac_f64_e32 v[68:69], v[98:99], v[80:81]
	v_fma_f64 v[72:73], v[96:97], v[80:81], -v[72:73]
	v_add_f64_e32 v[4:5], v[4:5], v[66:67]
	v_add_f64_e32 v[12:13], v[12:13], v[104:105]
	ds_load_b128 v[8:11], v2 offset:752
	ds_load_b128 v[64:67], v2 offset:768
	s_wait_loadcnt_dscnt 0x201
	v_mul_f64_e32 v[76:77], v[8:9], v[86:87]
	v_mul_f64_e32 v[78:79], v[10:11], v[86:87]
	v_add_f64_e32 v[4:5], v[4:5], v[74:75]
	v_add_f64_e32 v[12:13], v[12:13], v[70:71]
	s_wait_loadcnt_dscnt 0x100
	v_mul_f64_e32 v[70:71], v[64:65], v[90:91]
	v_mul_f64_e32 v[74:75], v[66:67], v[90:91]
	v_fmac_f64_e32 v[76:77], v[10:11], v[84:85]
	v_fma_f64 v[78:79], v[8:9], v[84:85], -v[78:79]
	ds_load_b128 v[8:11], v2 offset:784
	v_add_f64_e32 v[4:5], v[4:5], v[72:73]
	v_add_f64_e32 v[12:13], v[12:13], v[68:69]
	v_fmac_f64_e32 v[70:71], v[66:67], v[88:89]
	v_fma_f64 v[64:65], v[64:65], v[88:89], -v[74:75]
	s_wait_loadcnt_dscnt 0x0
	v_mul_f64_e32 v[68:69], v[8:9], v[94:95]
	v_mul_f64_e32 v[72:73], v[10:11], v[94:95]
	v_add_f64_e32 v[4:5], v[4:5], v[78:79]
	v_add_f64_e32 v[12:13], v[12:13], v[76:77]
	s_delay_alu instid0(VALU_DEP_4) | instskip(NEXT) | instid1(VALU_DEP_4)
	v_fmac_f64_e32 v[68:69], v[10:11], v[92:93]
	v_fma_f64 v[8:9], v[8:9], v[92:93], -v[72:73]
	s_delay_alu instid0(VALU_DEP_4) | instskip(NEXT) | instid1(VALU_DEP_4)
	v_add_f64_e32 v[4:5], v[4:5], v[64:65]
	v_add_f64_e32 v[10:11], v[12:13], v[70:71]
	s_delay_alu instid0(VALU_DEP_2) | instskip(NEXT) | instid1(VALU_DEP_2)
	v_add_f64_e32 v[4:5], v[4:5], v[8:9]
	v_add_f64_e32 v[10:11], v[10:11], v[68:69]
	s_delay_alu instid0(VALU_DEP_2) | instskip(NEXT) | instid1(VALU_DEP_2)
	v_add_f64_e64 v[8:9], v[108:109], -v[4:5]
	v_add_f64_e64 v[10:11], v[110:111], -v[10:11]
	scratch_store_b128 off, v[8:11], off offset:48
	s_wait_xcnt 0x0
	v_cmpx_lt_u32_e32 2, v1
	s_cbranch_execz .LBB88_159
; %bb.158:
	scratch_load_b128 v[8:11], off, s35
	v_dual_mov_b32 v3, v2 :: v_dual_mov_b32 v4, v2
	v_mov_b32_e32 v5, v2
	scratch_store_b128 off, v[2:5], off offset:32
	s_wait_loadcnt 0x0
	ds_store_b128 v6, v[8:11]
.LBB88_159:
	s_wait_xcnt 0x0
	s_or_b32 exec_lo, exec_lo, s2
	s_wait_storecnt_dscnt 0x0
	s_barrier_signal -1
	s_barrier_wait -1
	s_clause 0x9
	scratch_load_b128 v[8:11], off, off offset:48
	scratch_load_b128 v[64:67], off, off offset:64
	;; [unrolled: 1-line block ×10, first 2 shown]
	ds_load_b128 v[100:103], v2 offset:448
	ds_load_b128 v[108:111], v2 offset:464
	s_clause 0x1
	scratch_load_b128 v[104:107], off, off offset:208
	scratch_load_b128 v[112:115], off, off offset:32
	s_mov_b32 s2, exec_lo
	v_ashrrev_i32_e32 v21, 31, v20
	v_ashrrev_i32_e32 v25, 31, v24
	;; [unrolled: 1-line block ×3, first 2 shown]
	v_dual_ashrrev_i32 v33, 31, v32 :: v_dual_ashrrev_i32 v19, 31, v18
	v_dual_ashrrev_i32 v23, 31, v22 :: v_dual_ashrrev_i32 v37, 31, v36
	;; [unrolled: 1-line block ×8, first 2 shown]
	v_ashrrev_i32_e32 v51, 31, v50
	v_ashrrev_i32_e32 v55, 31, v54
	;; [unrolled: 1-line block ×4, first 2 shown]
	s_wait_loadcnt_dscnt 0xb01
	v_mul_f64_e32 v[4:5], v[102:103], v[10:11]
	v_mul_f64_e32 v[120:121], v[100:101], v[10:11]
	scratch_load_b128 v[10:13], off, off offset:224
	s_wait_loadcnt_dscnt 0xb00
	v_mul_f64_e32 v[122:123], v[108:109], v[66:67]
	v_mul_f64_e32 v[66:67], v[110:111], v[66:67]
	v_fma_f64 v[4:5], v[100:101], v[8:9], -v[4:5]
	v_fmac_f64_e32 v[120:121], v[102:103], v[8:9]
	ds_load_b128 v[100:103], v2 offset:480
	ds_load_b128 v[116:119], v2 offset:496
	v_fmac_f64_e32 v[122:123], v[110:111], v[64:65]
	v_fma_f64 v[108:109], v[108:109], v[64:65], -v[66:67]
	scratch_load_b128 v[64:67], off, off offset:240
	s_wait_loadcnt_dscnt 0xb01
	v_mul_f64_e32 v[8:9], v[100:101], v[70:71]
	v_mul_f64_e32 v[70:71], v[102:103], v[70:71]
	v_add_f64_e32 v[4:5], 0, v[4:5]
	v_add_f64_e32 v[110:111], 0, v[120:121]
	s_wait_loadcnt_dscnt 0xa00
	v_mul_f64_e32 v[120:121], v[116:117], v[74:75]
	v_mul_f64_e32 v[74:75], v[118:119], v[74:75]
	v_fmac_f64_e32 v[8:9], v[102:103], v[68:69]
	v_fma_f64 v[124:125], v[100:101], v[68:69], -v[70:71]
	scratch_load_b128 v[68:71], off, off offset:256
	v_add_f64_e32 v[4:5], v[4:5], v[108:109]
	v_add_f64_e32 v[122:123], v[110:111], v[122:123]
	ds_load_b128 v[100:103], v2 offset:512
	ds_load_b128 v[108:111], v2 offset:528
	v_fmac_f64_e32 v[120:121], v[118:119], v[72:73]
	v_fma_f64 v[116:117], v[116:117], v[72:73], -v[74:75]
	scratch_load_b128 v[72:75], off, off offset:272
	s_wait_loadcnt_dscnt 0xb01
	v_mul_f64_e32 v[126:127], v[100:101], v[78:79]
	v_mul_f64_e32 v[78:79], v[102:103], v[78:79]
	v_add_f64_e32 v[4:5], v[4:5], v[124:125]
	v_add_f64_e32 v[8:9], v[122:123], v[8:9]
	s_wait_loadcnt_dscnt 0xa00
	v_mul_f64_e32 v[122:123], v[108:109], v[82:83]
	v_mul_f64_e32 v[82:83], v[110:111], v[82:83]
	v_fmac_f64_e32 v[126:127], v[102:103], v[76:77]
	v_fma_f64 v[124:125], v[100:101], v[76:77], -v[78:79]
	scratch_load_b128 v[76:79], off, off offset:288
	v_add_f64_e32 v[4:5], v[4:5], v[116:117]
	v_add_f64_e32 v[8:9], v[8:9], v[120:121]
	;; [unrolled: 18-line block ×4, first 2 shown]
	ds_load_b128 v[98:101], v2 offset:608
	ds_load_b128 v[116:119], v2 offset:624
	v_fmac_f64_e32 v[126:127], v[110:111], v[96:97]
	v_fma_f64 v[96:97], v[108:109], v[96:97], -v[120:121]
	s_wait_loadcnt_dscnt 0xa01
	v_mul_f64_e32 v[110:111], v[98:99], v[106:107]
	v_mul_f64_e32 v[124:125], v[100:101], v[106:107]
	scratch_load_b128 v[106:109], off, off offset:368
	v_add_f64_e32 v[4:5], v[4:5], v[102:103]
	v_add_f64_e32 v[8:9], v[8:9], v[122:123]
	scratch_load_b128 v[120:123], off, off offset:384
	v_fmac_f64_e32 v[110:111], v[100:101], v[104:105]
	v_fma_f64 v[104:105], v[98:99], v[104:105], -v[124:125]
	s_wait_loadcnt_dscnt 0xa00
	v_mul_f64_e32 v[124:125], v[116:117], v[12:13]
	v_mul_f64_e32 v[12:13], v[118:119], v[12:13]
	v_add_f64_e32 v[4:5], v[4:5], v[96:97]
	v_add_f64_e32 v[8:9], v[8:9], v[126:127]
	ds_load_b128 v[96:99], v2 offset:640
	ds_load_b128 v[100:103], v2 offset:656
	v_fmac_f64_e32 v[124:125], v[118:119], v[10:11]
	v_fma_f64 v[10:11], v[116:117], v[10:11], -v[12:13]
	s_wait_loadcnt_dscnt 0x901
	v_mul_f64_e32 v[12:13], v[96:97], v[66:67]
	v_mul_f64_e32 v[66:67], v[98:99], v[66:67]
	v_add_f64_e32 v[4:5], v[4:5], v[104:105]
	v_add_f64_e32 v[8:9], v[8:9], v[110:111]
	s_wait_loadcnt_dscnt 0x800
	v_mul_f64_e32 v[104:105], v[100:101], v[70:71]
	v_mul_f64_e32 v[70:71], v[102:103], v[70:71]
	v_fmac_f64_e32 v[12:13], v[98:99], v[64:65]
	v_fma_f64 v[96:97], v[96:97], v[64:65], -v[66:67]
	v_add_f64_e32 v[4:5], v[4:5], v[10:11]
	v_add_f64_e32 v[98:99], v[8:9], v[124:125]
	ds_load_b128 v[8:11], v2 offset:672
	ds_load_b128 v[64:67], v2 offset:688
	s_wait_loadcnt_dscnt 0x701
	v_mul_f64_e32 v[110:111], v[8:9], v[74:75]
	v_mul_f64_e32 v[74:75], v[10:11], v[74:75]
	v_fmac_f64_e32 v[104:105], v[102:103], v[68:69]
	v_fma_f64 v[68:69], v[100:101], v[68:69], -v[70:71]
	v_add_f64_e32 v[4:5], v[4:5], v[96:97]
	v_add_f64_e32 v[12:13], v[98:99], v[12:13]
	v_fmac_f64_e32 v[110:111], v[10:11], v[72:73]
	v_fma_f64 v[72:73], v[8:9], v[72:73], -v[74:75]
	s_wait_loadcnt_dscnt 0x600
	v_mul_f64_e32 v[96:97], v[64:65], v[78:79]
	v_mul_f64_e32 v[78:79], v[66:67], v[78:79]
	v_add_f64_e32 v[4:5], v[4:5], v[68:69]
	v_add_f64_e32 v[12:13], v[12:13], v[104:105]
	ds_load_b128 v[8:11], v2 offset:704
	ds_load_b128 v[68:71], v2 offset:720
	s_wait_loadcnt_dscnt 0x501
	v_mul_f64_e32 v[74:75], v[8:9], v[82:83]
	v_mul_f64_e32 v[82:83], v[10:11], v[82:83]
	v_fmac_f64_e32 v[96:97], v[66:67], v[76:77]
	v_fma_f64 v[64:65], v[64:65], v[76:77], -v[78:79]
	v_add_f64_e32 v[4:5], v[4:5], v[72:73]
	v_add_f64_e32 v[12:13], v[12:13], v[110:111]
	v_fmac_f64_e32 v[74:75], v[10:11], v[80:81]
	v_fma_f64 v[78:79], v[8:9], v[80:81], -v[82:83]
	s_wait_loadcnt_dscnt 0x400
	v_mul_f64_e32 v[72:73], v[68:69], v[86:87]
	v_mul_f64_e32 v[76:77], v[70:71], v[86:87]
	;; [unrolled: 16-line block ×3, first 2 shown]
	v_add_f64_e32 v[68:69], v[4:5], v[68:69]
	v_add_f64_e32 v[12:13], v[12:13], v[72:73]
	ds_load_b128 v[8:11], v2 offset:768
	ds_load_b128 v[2:5], v2 offset:784
	s_wait_loadcnt_dscnt 0x101
	v_mul_f64_e32 v[72:73], v[8:9], v[108:109]
	v_mul_f64_e32 v[78:79], v[10:11], v[108:109]
	v_fmac_f64_e32 v[70:71], v[66:67], v[92:93]
	v_fma_f64 v[64:65], v[64:65], v[92:93], -v[74:75]
	v_add_f64_e32 v[66:67], v[68:69], v[76:77]
	v_add_f64_e32 v[12:13], v[12:13], v[80:81]
	s_wait_loadcnt_dscnt 0x0
	v_mul_f64_e32 v[68:69], v[2:3], v[122:123]
	v_mul_f64_e32 v[74:75], v[4:5], v[122:123]
	v_fmac_f64_e32 v[72:73], v[10:11], v[106:107]
	v_fma_f64 v[8:9], v[8:9], v[106:107], -v[78:79]
	v_add_f64_e32 v[10:11], v[66:67], v[64:65]
	v_add_f64_e32 v[12:13], v[12:13], v[70:71]
	v_fmac_f64_e32 v[68:69], v[4:5], v[120:121]
	v_fma_f64 v[2:3], v[2:3], v[120:121], -v[74:75]
	s_delay_alu instid0(VALU_DEP_4) | instskip(NEXT) | instid1(VALU_DEP_4)
	v_add_f64_e32 v[4:5], v[10:11], v[8:9]
	v_add_f64_e32 v[8:9], v[12:13], v[72:73]
	s_delay_alu instid0(VALU_DEP_2) | instskip(NEXT) | instid1(VALU_DEP_2)
	v_add_f64_e32 v[2:3], v[4:5], v[2:3]
	v_add_f64_e32 v[4:5], v[8:9], v[68:69]
	s_delay_alu instid0(VALU_DEP_2) | instskip(NEXT) | instid1(VALU_DEP_2)
	v_add_f64_e64 v[2:3], v[112:113], -v[2:3]
	v_add_f64_e64 v[4:5], v[114:115], -v[4:5]
	scratch_store_b128 off, v[2:5], off offset:32
	s_wait_xcnt 0x0
	v_cmpx_lt_u32_e32 1, v1
	s_cbranch_execz .LBB88_161
; %bb.160:
	scratch_load_b128 v[2:5], off, s36
	v_mov_b32_e32 v8, 0
	s_delay_alu instid0(VALU_DEP_1)
	v_dual_mov_b32 v9, v8 :: v_dual_mov_b32 v10, v8
	v_mov_b32_e32 v11, v8
	scratch_store_b128 off, v[8:11], off offset:16
	s_wait_loadcnt 0x0
	ds_store_b128 v6, v[2:5]
.LBB88_161:
	s_wait_xcnt 0x0
	s_or_b32 exec_lo, exec_lo, s2
	s_wait_storecnt_dscnt 0x0
	s_barrier_signal -1
	s_barrier_wait -1
	s_clause 0x9
	scratch_load_b128 v[8:11], off, off offset:32
	scratch_load_b128 v[64:67], off, off offset:48
	scratch_load_b128 v[68:71], off, off offset:64
	scratch_load_b128 v[72:75], off, off offset:80
	scratch_load_b128 v[76:79], off, off offset:96
	scratch_load_b128 v[80:83], off, off offset:112
	scratch_load_b128 v[84:87], off, off offset:128
	scratch_load_b128 v[88:91], off, off offset:144
	scratch_load_b128 v[92:95], off, off offset:160
	scratch_load_b128 v[96:99], off, off offset:176
	v_mov_b32_e32 v2, 0
	s_clause 0x2
	scratch_load_b128 v[104:107], off, off offset:192
	scratch_load_b128 v[108:111], off, off offset:208
	;; [unrolled: 1-line block ×3, first 2 shown]
	s_mov_b32 s2, exec_lo
	ds_load_b128 v[100:103], v2 offset:432
	s_wait_loadcnt_dscnt 0xc00
	v_mul_f64_e32 v[4:5], v[102:103], v[10:11]
	v_mul_f64_e32 v[116:117], v[100:101], v[10:11]
	ds_load_b128 v[10:13], v2 offset:448
	v_fma_f64 v[4:5], v[100:101], v[8:9], -v[4:5]
	v_fmac_f64_e32 v[116:117], v[102:103], v[8:9]
	ds_load_b128 v[100:103], v2 offset:464
	s_wait_loadcnt_dscnt 0xb01
	v_mul_f64_e32 v[118:119], v[10:11], v[66:67]
	v_mul_f64_e32 v[66:67], v[12:13], v[66:67]
	s_wait_loadcnt_dscnt 0xa00
	v_mul_f64_e32 v[120:121], v[100:101], v[70:71]
	v_mul_f64_e32 v[70:71], v[102:103], v[70:71]
	v_add_f64_e32 v[4:5], 0, v[4:5]
	v_add_f64_e32 v[116:117], 0, v[116:117]
	v_fmac_f64_e32 v[118:119], v[12:13], v[64:65]
	v_fma_f64 v[12:13], v[10:11], v[64:65], -v[66:67]
	scratch_load_b128 v[64:67], off, off offset:240
	ds_load_b128 v[8:11], v2 offset:480
	v_fmac_f64_e32 v[120:121], v[102:103], v[68:69]
	v_fma_f64 v[124:125], v[100:101], v[68:69], -v[70:71]
	ds_load_b128 v[68:71], v2 offset:496
	scratch_load_b128 v[100:103], off, off offset:256
	s_wait_loadcnt_dscnt 0xb01
	v_mul_f64_e32 v[122:123], v[8:9], v[74:75]
	v_mul_f64_e32 v[74:75], v[10:11], v[74:75]
	v_add_f64_e32 v[4:5], v[4:5], v[12:13]
	v_add_f64_e32 v[12:13], v[116:117], v[118:119]
	s_wait_loadcnt_dscnt 0xa00
	v_mul_f64_e32 v[116:117], v[68:69], v[78:79]
	v_mul_f64_e32 v[78:79], v[70:71], v[78:79]
	v_fmac_f64_e32 v[122:123], v[10:11], v[72:73]
	v_fma_f64 v[118:119], v[8:9], v[72:73], -v[74:75]
	ds_load_b128 v[8:11], v2 offset:512
	scratch_load_b128 v[72:75], off, off offset:272
	v_add_f64_e32 v[4:5], v[4:5], v[124:125]
	v_add_f64_e32 v[12:13], v[12:13], v[120:121]
	v_fmac_f64_e32 v[116:117], v[70:71], v[76:77]
	v_fma_f64 v[124:125], v[68:69], v[76:77], -v[78:79]
	ds_load_b128 v[68:71], v2 offset:528
	scratch_load_b128 v[76:79], off, off offset:288
	s_wait_loadcnt_dscnt 0xb01
	v_mul_f64_e32 v[120:121], v[8:9], v[82:83]
	v_mul_f64_e32 v[82:83], v[10:11], v[82:83]
	v_add_f64_e32 v[4:5], v[4:5], v[118:119]
	v_add_f64_e32 v[12:13], v[12:13], v[122:123]
	s_wait_loadcnt_dscnt 0xa00
	v_mul_f64_e32 v[118:119], v[68:69], v[86:87]
	v_mul_f64_e32 v[86:87], v[70:71], v[86:87]
	v_fmac_f64_e32 v[120:121], v[10:11], v[80:81]
	v_fma_f64 v[122:123], v[8:9], v[80:81], -v[82:83]
	ds_load_b128 v[8:11], v2 offset:544
	scratch_load_b128 v[80:83], off, off offset:304
	v_add_f64_e32 v[4:5], v[4:5], v[124:125]
	v_add_f64_e32 v[12:13], v[12:13], v[116:117]
	v_fmac_f64_e32 v[118:119], v[70:71], v[84:85]
	v_fma_f64 v[124:125], v[68:69], v[84:85], -v[86:87]
	ds_load_b128 v[68:71], v2 offset:560
	s_wait_loadcnt_dscnt 0xa01
	v_mul_f64_e32 v[116:117], v[8:9], v[90:91]
	v_mul_f64_e32 v[90:91], v[10:11], v[90:91]
	scratch_load_b128 v[84:87], off, off offset:320
	v_add_f64_e32 v[4:5], v[4:5], v[122:123]
	v_add_f64_e32 v[12:13], v[12:13], v[120:121]
	s_wait_loadcnt_dscnt 0xa00
	v_mul_f64_e32 v[120:121], v[68:69], v[94:95]
	v_mul_f64_e32 v[94:95], v[70:71], v[94:95]
	v_fmac_f64_e32 v[116:117], v[10:11], v[88:89]
	v_fma_f64 v[122:123], v[8:9], v[88:89], -v[90:91]
	ds_load_b128 v[8:11], v2 offset:576
	scratch_load_b128 v[88:91], off, off offset:336
	v_add_f64_e32 v[4:5], v[4:5], v[124:125]
	v_add_f64_e32 v[12:13], v[12:13], v[118:119]
	v_fmac_f64_e32 v[120:121], v[70:71], v[92:93]
	v_fma_f64 v[124:125], v[68:69], v[92:93], -v[94:95]
	ds_load_b128 v[68:71], v2 offset:592
	s_wait_loadcnt_dscnt 0xa01
	v_mul_f64_e32 v[118:119], v[8:9], v[98:99]
	v_mul_f64_e32 v[98:99], v[10:11], v[98:99]
	scratch_load_b128 v[92:95], off, off offset:352
	v_add_f64_e32 v[4:5], v[4:5], v[122:123]
	v_add_f64_e32 v[12:13], v[12:13], v[116:117]
	s_wait_loadcnt_dscnt 0xa00
	v_mul_f64_e32 v[116:117], v[68:69], v[106:107]
	v_mul_f64_e32 v[106:107], v[70:71], v[106:107]
	v_fmac_f64_e32 v[118:119], v[10:11], v[96:97]
	v_fma_f64 v[122:123], v[8:9], v[96:97], -v[98:99]
	ds_load_b128 v[8:11], v2 offset:608
	scratch_load_b128 v[96:99], off, off offset:368
	v_add_f64_e32 v[4:5], v[4:5], v[124:125]
	v_add_f64_e32 v[12:13], v[12:13], v[120:121]
	v_fmac_f64_e32 v[116:117], v[70:71], v[104:105]
	v_fma_f64 v[124:125], v[68:69], v[104:105], -v[106:107]
	ds_load_b128 v[68:71], v2 offset:624
	s_wait_loadcnt_dscnt 0xa01
	v_mul_f64_e32 v[120:121], v[8:9], v[110:111]
	v_mul_f64_e32 v[110:111], v[10:11], v[110:111]
	scratch_load_b128 v[104:107], off, off offset:384
	v_add_f64_e32 v[4:5], v[4:5], v[122:123]
	v_add_f64_e32 v[12:13], v[12:13], v[118:119]
	v_fmac_f64_e32 v[120:121], v[10:11], v[108:109]
	v_fma_f64 v[108:109], v[8:9], v[108:109], -v[110:111]
	ds_load_b128 v[8:11], v2 offset:640
	v_add_f64_e32 v[4:5], v[4:5], v[124:125]
	v_add_f64_e32 v[12:13], v[12:13], v[116:117]
	s_wait_loadcnt_dscnt 0x900
	v_mul_f64_e32 v[116:117], v[8:9], v[66:67]
	v_mul_f64_e32 v[110:111], v[10:11], v[66:67]
	s_delay_alu instid0(VALU_DEP_4) | instskip(NEXT) | instid1(VALU_DEP_4)
	v_add_f64_e32 v[4:5], v[4:5], v[108:109]
	v_add_f64_e32 v[12:13], v[12:13], v[120:121]
	s_delay_alu instid0(VALU_DEP_4) | instskip(NEXT) | instid1(VALU_DEP_4)
	v_fmac_f64_e32 v[116:117], v[10:11], v[64:65]
	v_fma_f64 v[64:65], v[8:9], v[64:65], -v[110:111]
	scratch_load_b128 v[108:111], off, off offset:16
	v_mul_f64_e32 v[118:119], v[68:69], v[114:115]
	v_mul_f64_e32 v[114:115], v[70:71], v[114:115]
	ds_load_b128 v[8:11], v2 offset:672
	v_fmac_f64_e32 v[118:119], v[70:71], v[112:113]
	v_fma_f64 v[70:71], v[68:69], v[112:113], -v[114:115]
	ds_load_b128 v[66:69], v2 offset:656
	s_wait_loadcnt_dscnt 0x900
	v_mul_f64_e32 v[112:113], v[66:67], v[102:103]
	v_mul_f64_e32 v[102:103], v[68:69], v[102:103]
	v_add_f64_e32 v[12:13], v[12:13], v[118:119]
	v_add_f64_e32 v[4:5], v[4:5], v[70:71]
	s_wait_loadcnt 0x8
	v_mul_f64_e32 v[70:71], v[8:9], v[74:75]
	v_mul_f64_e32 v[74:75], v[10:11], v[74:75]
	v_fmac_f64_e32 v[112:113], v[68:69], v[100:101]
	v_fma_f64 v[68:69], v[66:67], v[100:101], -v[102:103]
	v_add_f64_e32 v[12:13], v[12:13], v[116:117]
	v_add_f64_e32 v[4:5], v[4:5], v[64:65]
	ds_load_b128 v[64:67], v2 offset:688
	v_fmac_f64_e32 v[70:71], v[10:11], v[72:73]
	v_fma_f64 v[72:73], v[8:9], v[72:73], -v[74:75]
	ds_load_b128 v[8:11], v2 offset:704
	s_wait_loadcnt_dscnt 0x701
	v_mul_f64_e32 v[100:101], v[64:65], v[78:79]
	v_mul_f64_e32 v[78:79], v[66:67], v[78:79]
	s_wait_loadcnt_dscnt 0x600
	v_mul_f64_e32 v[74:75], v[10:11], v[82:83]
	v_add_f64_e32 v[12:13], v[12:13], v[112:113]
	v_add_f64_e32 v[4:5], v[4:5], v[68:69]
	v_mul_f64_e32 v[68:69], v[8:9], v[82:83]
	v_fmac_f64_e32 v[100:101], v[66:67], v[76:77]
	v_fma_f64 v[76:77], v[64:65], v[76:77], -v[78:79]
	ds_load_b128 v[64:67], v2 offset:720
	v_fma_f64 v[74:75], v[8:9], v[80:81], -v[74:75]
	v_add_f64_e32 v[12:13], v[12:13], v[70:71]
	v_add_f64_e32 v[4:5], v[4:5], v[72:73]
	v_fmac_f64_e32 v[68:69], v[10:11], v[80:81]
	ds_load_b128 v[8:11], v2 offset:736
	s_wait_loadcnt_dscnt 0x501
	v_mul_f64_e32 v[70:71], v[64:65], v[86:87]
	v_mul_f64_e32 v[72:73], v[66:67], v[86:87]
	s_wait_loadcnt_dscnt 0x400
	v_mul_f64_e32 v[78:79], v[10:11], v[90:91]
	v_add_f64_e32 v[12:13], v[12:13], v[100:101]
	v_add_f64_e32 v[4:5], v[4:5], v[76:77]
	v_mul_f64_e32 v[76:77], v[8:9], v[90:91]
	v_fmac_f64_e32 v[70:71], v[66:67], v[84:85]
	v_fma_f64 v[72:73], v[64:65], v[84:85], -v[72:73]
	ds_load_b128 v[64:67], v2 offset:752
	v_fma_f64 v[78:79], v[8:9], v[88:89], -v[78:79]
	v_add_f64_e32 v[12:13], v[12:13], v[68:69]
	v_add_f64_e32 v[4:5], v[4:5], v[74:75]
	v_fmac_f64_e32 v[76:77], v[10:11], v[88:89]
	ds_load_b128 v[8:11], v2 offset:768
	s_wait_loadcnt_dscnt 0x301
	v_mul_f64_e32 v[68:69], v[64:65], v[94:95]
	v_mul_f64_e32 v[74:75], v[66:67], v[94:95]
	v_add_f64_e32 v[12:13], v[12:13], v[70:71]
	v_add_f64_e32 v[4:5], v[4:5], v[72:73]
	s_wait_loadcnt_dscnt 0x200
	v_mul_f64_e32 v[70:71], v[8:9], v[98:99]
	v_mul_f64_e32 v[72:73], v[10:11], v[98:99]
	v_fmac_f64_e32 v[68:69], v[66:67], v[92:93]
	v_fma_f64 v[74:75], v[64:65], v[92:93], -v[74:75]
	ds_load_b128 v[64:67], v2 offset:784
	v_add_f64_e32 v[12:13], v[12:13], v[76:77]
	v_add_f64_e32 v[4:5], v[4:5], v[78:79]
	s_wait_loadcnt_dscnt 0x100
	v_mul_f64_e32 v[76:77], v[64:65], v[106:107]
	v_mul_f64_e32 v[78:79], v[66:67], v[106:107]
	v_fmac_f64_e32 v[70:71], v[10:11], v[96:97]
	v_fma_f64 v[8:9], v[8:9], v[96:97], -v[72:73]
	v_add_f64_e32 v[10:11], v[12:13], v[68:69]
	v_add_f64_e32 v[4:5], v[4:5], v[74:75]
	v_fmac_f64_e32 v[76:77], v[66:67], v[104:105]
	v_fma_f64 v[12:13], v[64:65], v[104:105], -v[78:79]
	s_delay_alu instid0(VALU_DEP_3) | instskip(SKIP_1) | instid1(VALU_DEP_2)
	v_add_f64_e32 v[4:5], v[4:5], v[8:9]
	v_add_f64_e32 v[8:9], v[10:11], v[70:71]
	;; [unrolled: 1-line block ×3, first 2 shown]
	s_delay_alu instid0(VALU_DEP_2) | instskip(SKIP_1) | instid1(VALU_DEP_2)
	v_add_f64_e32 v[10:11], v[8:9], v[76:77]
	s_wait_loadcnt 0x0
	v_add_f64_e64 v[8:9], v[108:109], -v[4:5]
	s_delay_alu instid0(VALU_DEP_2)
	v_add_f64_e64 v[10:11], v[110:111], -v[10:11]
	scratch_store_b128 off, v[8:11], off offset:16
	s_wait_xcnt 0x0
	v_cmpx_ne_u32_e32 0, v1
	s_cbranch_execz .LBB88_163
; %bb.162:
	scratch_load_b128 v[8:11], off, off
	v_dual_mov_b32 v3, v2 :: v_dual_mov_b32 v4, v2
	v_mov_b32_e32 v5, v2
	scratch_store_b128 off, v[2:5], off
	s_wait_loadcnt 0x0
	ds_store_b128 v6, v[8:11]
.LBB88_163:
	s_wait_xcnt 0x0
	s_or_b32 exec_lo, exec_lo, s2
	s_wait_storecnt_dscnt 0x0
	s_barrier_signal -1
	s_barrier_wait -1
	s_clause 0x9
	scratch_load_b128 v[4:7], off, off offset:16
	scratch_load_b128 v[8:11], off, off offset:32
	;; [unrolled: 1-line block ×10, first 2 shown]
	ds_load_b128 v[96:99], v2 offset:416
	ds_load_b128 v[104:107], v2 offset:432
	s_clause 0x2
	scratch_load_b128 v[100:103], off, off offset:176
	scratch_load_b128 v[108:111], off, off
	scratch_load_b128 v[112:115], off, off offset:192
	v_lshl_add_u64 v[34:35], v[34:35], 4, s[4:5]
	s_and_b32 vcc_lo, exec_lo, s37
	s_wait_loadcnt_dscnt 0xc01
	v_mul_f64_e32 v[12:13], v[98:99], v[6:7]
	v_mul_f64_e32 v[116:117], v[96:97], v[6:7]
	s_wait_loadcnt_dscnt 0xb00
	v_mul_f64_e32 v[118:119], v[104:105], v[10:11]
	v_mul_f64_e32 v[120:121], v[106:107], v[10:11]
	s_delay_alu instid0(VALU_DEP_4) | instskip(NEXT) | instid1(VALU_DEP_4)
	v_fma_f64 v[122:123], v[96:97], v[4:5], -v[12:13]
	v_fmac_f64_e32 v[116:117], v[98:99], v[4:5]
	ds_load_b128 v[4:7], v2 offset:448
	ds_load_b128 v[10:13], v2 offset:464
	v_fmac_f64_e32 v[118:119], v[106:107], v[8:9]
	v_fma_f64 v[8:9], v[104:105], v[8:9], -v[120:121]
	scratch_load_b128 v[96:99], off, off offset:208
	s_wait_loadcnt_dscnt 0xb01
	v_mul_f64_e32 v[124:125], v[4:5], v[66:67]
	v_mul_f64_e32 v[66:67], v[6:7], v[66:67]
	v_add_f64_e32 v[104:105], 0, v[122:123]
	v_add_f64_e32 v[106:107], 0, v[116:117]
	s_wait_loadcnt_dscnt 0xa00
	v_mul_f64_e32 v[116:117], v[10:11], v[70:71]
	v_mul_f64_e32 v[70:71], v[12:13], v[70:71]
	v_fmac_f64_e32 v[124:125], v[6:7], v[64:65]
	v_fma_f64 v[120:121], v[4:5], v[64:65], -v[66:67]
	scratch_load_b128 v[4:7], off, off offset:224
	v_add_f64_e32 v[122:123], v[104:105], v[8:9]
	v_add_f64_e32 v[118:119], v[106:107], v[118:119]
	ds_load_b128 v[64:67], v2 offset:480
	ds_load_b128 v[104:107], v2 offset:496
	v_fmac_f64_e32 v[116:117], v[12:13], v[68:69]
	v_fma_f64 v[12:13], v[10:11], v[68:69], -v[70:71]
	scratch_load_b128 v[8:11], off, off offset:240
	s_wait_loadcnt_dscnt 0xb01
	v_mul_f64_e32 v[126:127], v[64:65], v[74:75]
	v_mul_f64_e32 v[68:69], v[66:67], v[74:75]
	v_add_f64_e32 v[70:71], v[122:123], v[120:121]
	v_add_f64_e32 v[74:75], v[118:119], v[124:125]
	s_wait_loadcnt_dscnt 0xa00
	v_mul_f64_e32 v[118:119], v[104:105], v[78:79]
	v_mul_f64_e32 v[78:79], v[106:107], v[78:79]
	v_fmac_f64_e32 v[126:127], v[66:67], v[72:73]
	v_fma_f64 v[120:121], v[64:65], v[72:73], -v[68:69]
	scratch_load_b128 v[64:67], off, off offset:256
	v_add_f64_e32 v[12:13], v[70:71], v[12:13]
	v_add_f64_e32 v[116:117], v[74:75], v[116:117]
	;; [unrolled: 18-line block ×4, first 2 shown]
	ds_load_b128 v[84:87], v2 offset:576
	ds_load_b128 v[88:91], v2 offset:592
	v_fmac_f64_e32 v[118:119], v[106:107], v[92:93]
	v_fma_f64 v[104:105], v[104:105], v[92:93], -v[94:95]
	scratch_load_b128 v[92:95], off, off offset:336
	s_wait_loadcnt_dscnt 0xb01
	v_mul_f64_e32 v[122:123], v[84:85], v[102:103]
	v_mul_f64_e32 v[102:103], v[86:87], v[102:103]
	v_add_f64_e32 v[12:13], v[12:13], v[120:121]
	v_add_f64_e32 v[106:107], v[116:117], v[124:125]
	s_wait_loadcnt_dscnt 0x900
	v_mul_f64_e32 v[116:117], v[88:89], v[114:115]
	v_mul_f64_e32 v[114:115], v[90:91], v[114:115]
	v_fmac_f64_e32 v[122:123], v[86:87], v[100:101]
	v_fma_f64 v[120:121], v[84:85], v[100:101], -v[102:103]
	scratch_load_b128 v[84:87], off, off offset:352
	ds_load_b128 v[100:103], v2 offset:608
	v_add_f64_e32 v[12:13], v[12:13], v[104:105]
	v_add_f64_e32 v[118:119], v[106:107], v[118:119]
	scratch_load_b128 v[104:107], off, off offset:368
	v_fmac_f64_e32 v[116:117], v[90:91], v[112:113]
	v_fma_f64 v[124:125], v[88:89], v[112:113], -v[114:115]
	ds_load_b128 v[88:91], v2 offset:624
	scratch_load_b128 v[112:115], off, off offset:384
	s_wait_loadcnt_dscnt 0xb01
	v_mul_f64_e32 v[126:127], v[100:101], v[98:99]
	v_mul_f64_e32 v[98:99], v[102:103], v[98:99]
	v_add_f64_e32 v[12:13], v[12:13], v[120:121]
	v_add_f64_e32 v[118:119], v[118:119], v[122:123]
	s_delay_alu instid0(VALU_DEP_4) | instskip(NEXT) | instid1(VALU_DEP_4)
	v_fmac_f64_e32 v[126:127], v[102:103], v[96:97]
	v_fma_f64 v[122:123], v[100:101], v[96:97], -v[98:99]
	ds_load_b128 v[96:99], v2 offset:640
	ds_load_b128 v[100:103], v2 offset:656
	s_wait_loadcnt_dscnt 0xa02
	v_mul_f64_e32 v[120:121], v[88:89], v[6:7]
	v_mul_f64_e32 v[6:7], v[90:91], v[6:7]
	v_add_f64_e32 v[12:13], v[12:13], v[124:125]
	v_add_f64_e32 v[116:117], v[118:119], v[116:117]
	s_wait_loadcnt_dscnt 0x901
	v_mul_f64_e32 v[118:119], v[96:97], v[10:11]
	v_fmac_f64_e32 v[120:121], v[90:91], v[4:5]
	v_fma_f64 v[4:5], v[88:89], v[4:5], -v[6:7]
	v_mul_f64_e32 v[6:7], v[98:99], v[10:11]
	v_add_f64_e32 v[10:11], v[12:13], v[122:123]
	v_add_f64_e32 v[12:13], v[116:117], v[126:127]
	v_fmac_f64_e32 v[118:119], v[98:99], v[8:9]
	s_wait_loadcnt_dscnt 0x800
	v_mul_f64_e32 v[88:89], v[100:101], v[66:67]
	v_mul_f64_e32 v[66:67], v[102:103], v[66:67]
	v_fma_f64 v[90:91], v[96:97], v[8:9], -v[6:7]
	v_add_f64_e32 v[96:97], v[10:11], v[4:5]
	v_add_f64_e32 v[12:13], v[12:13], v[120:121]
	ds_load_b128 v[4:7], v2 offset:672
	ds_load_b128 v[8:11], v2 offset:688
	s_wait_loadcnt_dscnt 0x701
	v_mul_f64_e32 v[98:99], v[4:5], v[78:79]
	v_mul_f64_e32 v[78:79], v[6:7], v[78:79]
	v_fmac_f64_e32 v[88:89], v[102:103], v[64:65]
	v_fma_f64 v[64:65], v[100:101], v[64:65], -v[66:67]
	v_add_f64_e32 v[66:67], v[96:97], v[90:91]
	v_add_f64_e32 v[12:13], v[12:13], v[118:119]
	v_fmac_f64_e32 v[98:99], v[6:7], v[76:77]
	v_fma_f64 v[76:77], v[4:5], v[76:77], -v[78:79]
	s_wait_loadcnt_dscnt 0x600
	v_mul_f64_e32 v[90:91], v[8:9], v[70:71]
	v_mul_f64_e32 v[70:71], v[10:11], v[70:71]
	v_add_f64_e32 v[78:79], v[66:67], v[64:65]
	v_add_f64_e32 v[12:13], v[12:13], v[88:89]
	ds_load_b128 v[4:7], v2 offset:704
	ds_load_b128 v[64:67], v2 offset:720
	s_wait_loadcnt_dscnt 0x501
	v_mul_f64_e32 v[88:89], v[4:5], v[74:75]
	v_mul_f64_e32 v[74:75], v[6:7], v[74:75]
	v_fmac_f64_e32 v[90:91], v[10:11], v[68:69]
	v_fma_f64 v[8:9], v[8:9], v[68:69], -v[70:71]
	v_add_f64_e32 v[10:11], v[78:79], v[76:77]
	v_add_f64_e32 v[12:13], v[12:13], v[98:99]
	v_fmac_f64_e32 v[88:89], v[6:7], v[72:73]
	v_fma_f64 v[72:73], v[4:5], v[72:73], -v[74:75]
	s_wait_loadcnt_dscnt 0x400
	v_mul_f64_e32 v[68:69], v[64:65], v[82:83]
	v_mul_f64_e32 v[70:71], v[66:67], v[82:83]
	;; [unrolled: 16-line block ×3, first 2 shown]
	v_add_f64_e32 v[78:79], v[66:67], v[64:65]
	v_add_f64_e32 v[12:13], v[12:13], v[68:69]
	ds_load_b128 v[4:7], v2 offset:768
	ds_load_b128 v[64:67], v2 offset:784
	s_wait_loadcnt_dscnt 0x101
	v_mul_f64_e32 v[2:3], v[4:5], v[106:107]
	v_mul_f64_e32 v[68:69], v[6:7], v[106:107]
	v_fmac_f64_e32 v[70:71], v[10:11], v[84:85]
	v_fma_f64 v[8:9], v[8:9], v[84:85], -v[72:73]
	s_wait_loadcnt_dscnt 0x0
	v_mul_f64_e32 v[72:73], v[64:65], v[114:115]
	v_add_f64_e32 v[10:11], v[78:79], v[74:75]
	v_add_f64_e32 v[12:13], v[12:13], v[76:77]
	v_mul_f64_e32 v[74:75], v[66:67], v[114:115]
	v_lshl_add_u64 v[78:79], v[18:19], 4, s[4:5]
	v_lshl_add_u64 v[76:77], v[20:21], 4, s[4:5]
	v_lshl_add_u64 v[20:21], v[48:49], 4, s[4:5]
	v_lshl_add_u64 v[18:19], v[50:51], 4, s[4:5]
	v_fmac_f64_e32 v[2:3], v[6:7], v[104:105]
	v_fma_f64 v[4:5], v[4:5], v[104:105], -v[68:69]
	v_lshl_add_u64 v[68:69], v[28:29], 4, s[4:5]
	v_lshl_add_u64 v[28:29], v[40:41], 4, s[4:5]
	v_fmac_f64_e32 v[72:73], v[66:67], v[112:113]
	v_lshl_add_u64 v[66:67], v[30:31], 4, s[4:5]
	v_lshl_add_u64 v[30:31], v[38:39], 4, s[4:5]
	v_add_f64_e32 v[6:7], v[10:11], v[8:9]
	v_add_f64_e32 v[8:9], v[12:13], v[70:71]
	v_fma_f64 v[10:11], v[64:65], v[112:113], -v[74:75]
	v_lshl_add_u64 v[74:75], v[22:23], 4, s[4:5]
	v_lshl_add_u64 v[70:71], v[26:27], 4, s[4:5]
	;; [unrolled: 1-line block ×7, first 2 shown]
	v_add_f64_e32 v[4:5], v[6:7], v[4:5]
	v_add_f64_e32 v[2:3], v[8:9], v[2:3]
	v_lshl_add_u64 v[8:9], v[56:57], 4, s[4:5]
	v_lshl_add_u64 v[6:7], v[58:59], 4, s[4:5]
	s_delay_alu instid0(VALU_DEP_4) | instskip(NEXT) | instid1(VALU_DEP_4)
	v_add_f64_e32 v[4:5], v[4:5], v[10:11]
	v_add_f64_e32 v[2:3], v[2:3], v[72:73]
	v_lshl_add_u64 v[72:73], v[24:25], 4, s[4:5]
	v_lshl_add_u64 v[24:25], v[44:45], 4, s[4:5]
	;; [unrolled: 1-line block ×3, first 2 shown]
	v_add_f64_e64 v[80:81], v[108:109], -v[4:5]
	v_add_f64_e64 v[82:83], v[110:111], -v[2:3]
	v_lshl_add_u64 v[4:5], v[60:61], 4, s[4:5]
	v_lshl_add_u64 v[2:3], v[62:63], 4, s[4:5]
	scratch_store_b128 off, v[80:83], off
	s_cbranch_vccz .LBB88_212
; %bb.164:
	v_mov_b32_e32 v36, 0
	s_load_b64 s[2:3], s[0:1], 0x4
	v_bfe_u32 v38, v0, 10, 10
	v_bfe_u32 v0, v0, 20, 10
	global_load_b32 v37, v36, s[8:9] offset:92
	s_wait_kmcnt 0x0
	s_lshr_b32 s0, s2, 16
	v_mul_u32_u24_e32 v38, s3, v38
	s_mul_i32 s0, s0, s3
	s_delay_alu instid0(SALU_CYCLE_1) | instskip(NEXT) | instid1(VALU_DEP_1)
	v_mul_u32_u24_e32 v1, s0, v1
	v_add3_u32 v0, v1, v38, v0
	s_delay_alu instid0(VALU_DEP_1)
	v_lshl_add_u32 v0, v0, 4, 0x328
	s_wait_loadcnt 0x0
	v_cmp_ne_u32_e32 vcc_lo, 24, v37
	s_cbranch_vccz .LBB88_166
; %bb.165:
	v_lshlrev_b32_e32 v1, 4, v37
	s_clause 0x1
	scratch_load_b128 v[38:41], off, s34
	scratch_load_b128 v[42:45], v1, off offset:-16
	s_wait_loadcnt 0x1
	ds_store_2addr_b64 v0, v[38:39], v[40:41] offset1:1
	s_wait_loadcnt 0x0
	s_clause 0x1
	scratch_store_b128 off, v[42:45], s34
	scratch_store_b128 v1, v[38:41], off offset:-16
.LBB88_166:
	global_load_b32 v1, v36, s[8:9] offset:88
	s_wait_loadcnt 0x0
	v_cmp_eq_u32_e32 vcc_lo, 23, v1
	s_cbranch_vccnz .LBB88_168
; %bb.167:
	v_lshlrev_b32_e32 v1, 4, v1
	s_clause 0x1
	scratch_load_b128 v[36:39], off, s21
	scratch_load_b128 v[40:43], v1, off offset:-16
	s_wait_loadcnt 0x1
	ds_store_2addr_b64 v0, v[36:37], v[38:39] offset1:1
	s_wait_loadcnt 0x0
	s_clause 0x1
	scratch_store_b128 off, v[40:43], s21
	scratch_store_b128 v1, v[36:39], off offset:-16
.LBB88_168:
	s_wait_xcnt 0x0
	v_mov_b32_e32 v1, 0
	global_load_b32 v36, v1, s[8:9] offset:84
	s_wait_loadcnt 0x0
	v_cmp_eq_u32_e32 vcc_lo, 22, v36
	s_cbranch_vccnz .LBB88_170
; %bb.169:
	v_lshlrev_b32_e32 v36, 4, v36
	s_delay_alu instid0(VALU_DEP_1)
	v_mov_b32_e32 v44, v36
	s_clause 0x1
	scratch_load_b128 v[36:39], off, s33
	scratch_load_b128 v[40:43], v44, off offset:-16
	s_wait_loadcnt 0x1
	ds_store_2addr_b64 v0, v[36:37], v[38:39] offset1:1
	s_wait_loadcnt 0x0
	s_clause 0x1
	scratch_store_b128 off, v[40:43], s33
	scratch_store_b128 v44, v[36:39], off offset:-16
.LBB88_170:
	global_load_b32 v1, v1, s[8:9] offset:80
	s_wait_loadcnt 0x0
	v_cmp_eq_u32_e32 vcc_lo, 21, v1
	s_cbranch_vccnz .LBB88_172
; %bb.171:
	s_wait_xcnt 0x0
	v_lshlrev_b32_e32 v1, 4, v1
	s_clause 0x1
	scratch_load_b128 v[36:39], off, s20
	scratch_load_b128 v[40:43], v1, off offset:-16
	s_wait_loadcnt 0x1
	ds_store_2addr_b64 v0, v[36:37], v[38:39] offset1:1
	s_wait_loadcnt 0x0
	s_clause 0x1
	scratch_store_b128 off, v[40:43], s20
	scratch_store_b128 v1, v[36:39], off offset:-16
.LBB88_172:
	s_wait_xcnt 0x0
	v_mov_b32_e32 v1, 0
	global_load_b32 v36, v1, s[8:9] offset:76
	s_wait_loadcnt 0x0
	v_cmp_eq_u32_e32 vcc_lo, 20, v36
	s_cbranch_vccnz .LBB88_174
; %bb.173:
	v_lshlrev_b32_e32 v36, 4, v36
	s_delay_alu instid0(VALU_DEP_1)
	v_mov_b32_e32 v44, v36
	s_clause 0x1
	scratch_load_b128 v[36:39], off, s31
	scratch_load_b128 v[40:43], v44, off offset:-16
	s_wait_loadcnt 0x1
	ds_store_2addr_b64 v0, v[36:37], v[38:39] offset1:1
	s_wait_loadcnt 0x0
	s_clause 0x1
	scratch_store_b128 off, v[40:43], s31
	scratch_store_b128 v44, v[36:39], off offset:-16
.LBB88_174:
	global_load_b32 v1, v1, s[8:9] offset:72
	s_wait_loadcnt 0x0
	v_cmp_eq_u32_e32 vcc_lo, 19, v1
	s_cbranch_vccnz .LBB88_176
; %bb.175:
	s_wait_xcnt 0x0
	v_lshlrev_b32_e32 v1, 4, v1
	s_clause 0x1
	scratch_load_b128 v[36:39], off, s19
	scratch_load_b128 v[40:43], v1, off offset:-16
	s_wait_loadcnt 0x1
	ds_store_2addr_b64 v0, v[36:37], v[38:39] offset1:1
	s_wait_loadcnt 0x0
	s_clause 0x1
	scratch_store_b128 off, v[40:43], s19
	scratch_store_b128 v1, v[36:39], off offset:-16
.LBB88_176:
	;; [unrolled: 37-line block ×10, first 2 shown]
	s_wait_xcnt 0x0
	v_mov_b32_e32 v1, 0
	global_load_b32 v36, v1, s[8:9] offset:4
	s_wait_loadcnt 0x0
	v_cmp_eq_u32_e32 vcc_lo, 2, v36
	s_cbranch_vccnz .LBB88_210
; %bb.209:
	v_lshlrev_b32_e32 v36, 4, v36
	s_delay_alu instid0(VALU_DEP_1)
	v_mov_b32_e32 v44, v36
	s_clause 0x1
	scratch_load_b128 v[36:39], off, s36
	scratch_load_b128 v[40:43], v44, off offset:-16
	s_wait_loadcnt 0x1
	ds_store_2addr_b64 v0, v[36:37], v[38:39] offset1:1
	s_wait_loadcnt 0x0
	s_clause 0x1
	scratch_store_b128 off, v[40:43], s36
	scratch_store_b128 v44, v[36:39], off offset:-16
.LBB88_210:
	global_load_b32 v1, v1, s[8:9]
	s_wait_loadcnt 0x0
	v_cmp_eq_u32_e32 vcc_lo, 1, v1
	s_cbranch_vccnz .LBB88_212
; %bb.211:
	s_wait_xcnt 0x0
	v_lshlrev_b32_e32 v1, 4, v1
	scratch_load_b128 v[36:39], off, off
	scratch_load_b128 v[40:43], v1, off offset:-16
	s_wait_loadcnt 0x1
	ds_store_2addr_b64 v0, v[36:37], v[38:39] offset1:1
	s_wait_loadcnt 0x0
	scratch_store_b128 off, v[40:43], off
	scratch_store_b128 v1, v[36:39], off offset:-16
.LBB88_212:
	scratch_load_b128 v[36:39], off, off
	s_wait_loadcnt 0x0
	flat_store_b128 v[14:15], v[36:39]
	scratch_load_b128 v[36:39], off, s36
	s_wait_loadcnt 0x0
	flat_store_b128 v[16:17], v[36:39]
	scratch_load_b128 v[14:17], off, s35
	;; [unrolled: 3-line block ×24, first 2 shown]
	s_wait_loadcnt 0x0
	flat_store_b128 v[2:3], v[4:7]
	s_sendmsg sendmsg(MSG_DEALLOC_VGPRS)
	s_endpgm
	.section	.rodata,"a",@progbits
	.p2align	6, 0x0
	.amdhsa_kernel _ZN9rocsolver6v33100L18getri_kernel_smallILi25E19rocblas_complex_numIdEPKPS3_EEvT1_iilPiilS8_bb
		.amdhsa_group_segment_fixed_size 1832
		.amdhsa_private_segment_fixed_size 416
		.amdhsa_kernarg_size 60
		.amdhsa_user_sgpr_count 4
		.amdhsa_user_sgpr_dispatch_ptr 1
		.amdhsa_user_sgpr_queue_ptr 0
		.amdhsa_user_sgpr_kernarg_segment_ptr 1
		.amdhsa_user_sgpr_dispatch_id 0
		.amdhsa_user_sgpr_kernarg_preload_length 0
		.amdhsa_user_sgpr_kernarg_preload_offset 0
		.amdhsa_user_sgpr_private_segment_size 0
		.amdhsa_wavefront_size32 1
		.amdhsa_uses_dynamic_stack 0
		.amdhsa_enable_private_segment 1
		.amdhsa_system_sgpr_workgroup_id_x 1
		.amdhsa_system_sgpr_workgroup_id_y 0
		.amdhsa_system_sgpr_workgroup_id_z 0
		.amdhsa_system_sgpr_workgroup_info 0
		.amdhsa_system_vgpr_workitem_id 2
		.amdhsa_next_free_vgpr 132
		.amdhsa_next_free_sgpr 41
		.amdhsa_named_barrier_count 0
		.amdhsa_reserve_vcc 1
		.amdhsa_float_round_mode_32 0
		.amdhsa_float_round_mode_16_64 0
		.amdhsa_float_denorm_mode_32 3
		.amdhsa_float_denorm_mode_16_64 3
		.amdhsa_fp16_overflow 0
		.amdhsa_memory_ordered 1
		.amdhsa_forward_progress 1
		.amdhsa_inst_pref_size 246
		.amdhsa_round_robin_scheduling 0
		.amdhsa_exception_fp_ieee_invalid_op 0
		.amdhsa_exception_fp_denorm_src 0
		.amdhsa_exception_fp_ieee_div_zero 0
		.amdhsa_exception_fp_ieee_overflow 0
		.amdhsa_exception_fp_ieee_underflow 0
		.amdhsa_exception_fp_ieee_inexact 0
		.amdhsa_exception_int_div_zero 0
	.end_amdhsa_kernel
	.section	.text._ZN9rocsolver6v33100L18getri_kernel_smallILi25E19rocblas_complex_numIdEPKPS3_EEvT1_iilPiilS8_bb,"axG",@progbits,_ZN9rocsolver6v33100L18getri_kernel_smallILi25E19rocblas_complex_numIdEPKPS3_EEvT1_iilPiilS8_bb,comdat
.Lfunc_end88:
	.size	_ZN9rocsolver6v33100L18getri_kernel_smallILi25E19rocblas_complex_numIdEPKPS3_EEvT1_iilPiilS8_bb, .Lfunc_end88-_ZN9rocsolver6v33100L18getri_kernel_smallILi25E19rocblas_complex_numIdEPKPS3_EEvT1_iilPiilS8_bb
                                        ; -- End function
	.set _ZN9rocsolver6v33100L18getri_kernel_smallILi25E19rocblas_complex_numIdEPKPS3_EEvT1_iilPiilS8_bb.num_vgpr, 132
	.set _ZN9rocsolver6v33100L18getri_kernel_smallILi25E19rocblas_complex_numIdEPKPS3_EEvT1_iilPiilS8_bb.num_agpr, 0
	.set _ZN9rocsolver6v33100L18getri_kernel_smallILi25E19rocblas_complex_numIdEPKPS3_EEvT1_iilPiilS8_bb.numbered_sgpr, 41
	.set _ZN9rocsolver6v33100L18getri_kernel_smallILi25E19rocblas_complex_numIdEPKPS3_EEvT1_iilPiilS8_bb.num_named_barrier, 0
	.set _ZN9rocsolver6v33100L18getri_kernel_smallILi25E19rocblas_complex_numIdEPKPS3_EEvT1_iilPiilS8_bb.private_seg_size, 416
	.set _ZN9rocsolver6v33100L18getri_kernel_smallILi25E19rocblas_complex_numIdEPKPS3_EEvT1_iilPiilS8_bb.uses_vcc, 1
	.set _ZN9rocsolver6v33100L18getri_kernel_smallILi25E19rocblas_complex_numIdEPKPS3_EEvT1_iilPiilS8_bb.uses_flat_scratch, 1
	.set _ZN9rocsolver6v33100L18getri_kernel_smallILi25E19rocblas_complex_numIdEPKPS3_EEvT1_iilPiilS8_bb.has_dyn_sized_stack, 0
	.set _ZN9rocsolver6v33100L18getri_kernel_smallILi25E19rocblas_complex_numIdEPKPS3_EEvT1_iilPiilS8_bb.has_recursion, 0
	.set _ZN9rocsolver6v33100L18getri_kernel_smallILi25E19rocblas_complex_numIdEPKPS3_EEvT1_iilPiilS8_bb.has_indirect_call, 0
	.section	.AMDGPU.csdata,"",@progbits
; Kernel info:
; codeLenInByte = 31380
; TotalNumSgprs: 43
; NumVgprs: 132
; ScratchSize: 416
; MemoryBound: 0
; FloatMode: 240
; IeeeMode: 1
; LDSByteSize: 1832 bytes/workgroup (compile time only)
; SGPRBlocks: 0
; VGPRBlocks: 8
; NumSGPRsForWavesPerEU: 43
; NumVGPRsForWavesPerEU: 132
; NamedBarCnt: 0
; Occupancy: 7
; WaveLimiterHint : 1
; COMPUTE_PGM_RSRC2:SCRATCH_EN: 1
; COMPUTE_PGM_RSRC2:USER_SGPR: 4
; COMPUTE_PGM_RSRC2:TRAP_HANDLER: 0
; COMPUTE_PGM_RSRC2:TGID_X_EN: 1
; COMPUTE_PGM_RSRC2:TGID_Y_EN: 0
; COMPUTE_PGM_RSRC2:TGID_Z_EN: 0
; COMPUTE_PGM_RSRC2:TIDIG_COMP_CNT: 2
	.section	.text._ZN9rocsolver6v33100L18getri_kernel_smallILi26E19rocblas_complex_numIdEPKPS3_EEvT1_iilPiilS8_bb,"axG",@progbits,_ZN9rocsolver6v33100L18getri_kernel_smallILi26E19rocblas_complex_numIdEPKPS3_EEvT1_iilPiilS8_bb,comdat
	.globl	_ZN9rocsolver6v33100L18getri_kernel_smallILi26E19rocblas_complex_numIdEPKPS3_EEvT1_iilPiilS8_bb ; -- Begin function _ZN9rocsolver6v33100L18getri_kernel_smallILi26E19rocblas_complex_numIdEPKPS3_EEvT1_iilPiilS8_bb
	.p2align	8
	.type	_ZN9rocsolver6v33100L18getri_kernel_smallILi26E19rocblas_complex_numIdEPKPS3_EEvT1_iilPiilS8_bb,@function
_ZN9rocsolver6v33100L18getri_kernel_smallILi26E19rocblas_complex_numIdEPKPS3_EEvT1_iilPiilS8_bb: ; @_ZN9rocsolver6v33100L18getri_kernel_smallILi26E19rocblas_complex_numIdEPKPS3_EEvT1_iilPiilS8_bb
; %bb.0:
	v_and_b32_e32 v1, 0x3ff, v0
	s_mov_b32 s4, exec_lo
	s_delay_alu instid0(VALU_DEP_1)
	v_cmpx_gt_u32_e32 26, v1
	s_cbranch_execz .LBB89_118
; %bb.1:
	s_clause 0x1
	s_load_b32 s16, s[2:3], 0x38
	s_load_b64 s[8:9], s[2:3], 0x0
	s_getreg_b32 s6, hwreg(HW_REG_IB_STS2, 6, 4)
	s_wait_kmcnt 0x0
	s_bitcmp1_b32 s16, 8
	s_cselect_b32 s38, -1, 0
	s_bfe_u32 s4, ttmp6, 0x4000c
	s_and_b32 s5, ttmp6, 15
	s_add_co_i32 s4, s4, 1
	s_delay_alu instid0(SALU_CYCLE_1) | instskip(NEXT) | instid1(SALU_CYCLE_1)
	s_mul_i32 s4, ttmp9, s4
	s_add_co_i32 s5, s5, s4
	s_cmp_eq_u32 s6, 0
	s_cselect_b32 s10, ttmp9, s5
	s_load_b128 s[4:7], s[2:3], 0x28
	s_ashr_i32 s11, s10, 31
	s_delay_alu instid0(SALU_CYCLE_1) | instskip(NEXT) | instid1(SALU_CYCLE_1)
	s_lshl_b64 s[12:13], s[10:11], 3
	s_add_nc_u64 s[8:9], s[8:9], s[12:13]
	s_load_b64 s[14:15], s[8:9], 0x0
	s_wait_xcnt 0x0
	s_bfe_u32 s8, s16, 0x10008
	s_delay_alu instid0(SALU_CYCLE_1)
	s_cmp_eq_u32 s8, 0
                                        ; implicit-def: $sgpr8_sgpr9
	s_cbranch_scc1 .LBB89_3
; %bb.2:
	s_load_b96 s[16:18], s[2:3], 0x18
	s_wait_kmcnt 0x0
	s_mul_u64 s[4:5], s[4:5], s[10:11]
	s_delay_alu instid0(SALU_CYCLE_1) | instskip(SKIP_4) | instid1(SALU_CYCLE_1)
	s_lshl_b64 s[4:5], s[4:5], 2
	s_ashr_i32 s9, s18, 31
	s_mov_b32 s8, s18
	s_add_nc_u64 s[4:5], s[16:17], s[4:5]
	s_lshl_b64 s[8:9], s[8:9], 2
	s_add_nc_u64 s[8:9], s[4:5], s[8:9]
.LBB89_3:
	s_clause 0x1
	s_load_b64 s[12:13], s[2:3], 0x8
	s_load_b32 s39, s[2:3], 0x38
	v_dual_mov_b32 v67, 0 :: v_dual_lshlrev_b32 v66, 4, v1
	s_mov_b32 s37, 16
	s_mov_b32 s36, 32
	;; [unrolled: 1-line block ×4, first 2 shown]
	s_movk_i32 s25, 0x60
	s_movk_i32 s26, 0x80
	;; [unrolled: 1-line block ×12, first 2 shown]
	s_wait_kmcnt 0x0
	s_ashr_i32 s3, s12, 31
	s_mov_b32 s2, s12
	v_add3_u32 v18, s13, s13, v1
	s_lshl_b64 s[2:3], s[2:3], 4
	s_movk_i32 s12, 0x50
	s_add_nc_u64 s[4:5], s[14:15], s[2:3]
	s_ashr_i32 s3, s13, 31
	flat_load_b128 v[2:5], v1, s[4:5] scale_offset
	v_add_nc_u64_e32 v[14:15], s[4:5], v[66:67]
	s_mov_b32 s2, s13
	v_add_nc_u32_e32 v20, s13, v18
	s_movk_i32 s14, 0x90
	s_movk_i32 s15, 0xb0
	s_movk_i32 s20, 0x150
	s_movk_i32 s34, 0x160
	v_lshl_add_u64 v[16:17], s[2:3], 4, v[14:15]
	v_add_nc_u32_e32 v22, s13, v20
	s_movk_i32 s21, 0x170
	s_movk_i32 s35, 0x180
	;; [unrolled: 1-line block ×3, first 2 shown]
	s_bitcmp0_b32 s39, 0
	v_add_nc_u32_e32 v24, s13, v22
	s_mov_b32 s3, -1
	s_delay_alu instid0(VALU_DEP_1) | instskip(NEXT) | instid1(VALU_DEP_1)
	v_add_nc_u32_e32 v26, s13, v24
	v_add_nc_u32_e32 v28, s13, v26
	s_delay_alu instid0(VALU_DEP_1) | instskip(NEXT) | instid1(VALU_DEP_1)
	v_add_nc_u32_e32 v30, s13, v28
	v_add_nc_u32_e32 v32, s13, v30
	;; [unrolled: 3-line block ×10, first 2 shown]
	s_movk_i32 s13, 0x70
	s_wait_loadcnt_dscnt 0x0
	scratch_store_b128 off, v[2:5], off
	flat_load_b128 v[2:5], v[16:17]
	s_wait_loadcnt_dscnt 0x0
	scratch_store_b128 off, v[2:5], off offset:16
	flat_load_b128 v[2:5], v18, s[4:5] scale_offset
	s_wait_loadcnt_dscnt 0x0
	scratch_store_b128 off, v[2:5], off offset:32
	flat_load_b128 v[2:5], v20, s[4:5] scale_offset
	;; [unrolled: 3-line block ×24, first 2 shown]
	s_wait_loadcnt_dscnt 0x0
	scratch_store_b128 off, v[2:5], off offset:400
	s_cbranch_scc1 .LBB89_116
; %bb.4:
	v_cmp_eq_u32_e64 s2, 0, v1
	s_wait_xcnt 0x0
	s_and_saveexec_b32 s3, s2
; %bb.5:
	v_mov_b32_e32 v2, 0
	ds_store_b32 v2, v2 offset:832
; %bb.6:
	s_or_b32 exec_lo, exec_lo, s3
	s_wait_storecnt_dscnt 0x0
	s_barrier_signal -1
	s_barrier_wait -1
	scratch_load_b128 v[2:5], v1, off scale_offset
	s_wait_loadcnt 0x0
	v_cmp_eq_f64_e32 vcc_lo, 0, v[2:3]
	v_cmp_eq_f64_e64 s3, 0, v[4:5]
	s_and_b32 s3, vcc_lo, s3
	s_delay_alu instid0(SALU_CYCLE_1)
	s_and_saveexec_b32 s39, s3
	s_cbranch_execz .LBB89_10
; %bb.7:
	v_mov_b32_e32 v2, 0
	s_mov_b32 s40, 0
	ds_load_b32 v3, v2 offset:832
	s_wait_dscnt 0x0
	v_readfirstlane_b32 s3, v3
	v_add_nc_u32_e32 v3, 1, v1
	s_cmp_eq_u32 s3, 0
	s_delay_alu instid0(VALU_DEP_1) | instskip(SKIP_1) | instid1(SALU_CYCLE_1)
	v_cmp_gt_i32_e32 vcc_lo, s3, v3
	s_cselect_b32 s41, -1, 0
	s_or_b32 s41, s41, vcc_lo
	s_delay_alu instid0(SALU_CYCLE_1)
	s_and_b32 exec_lo, exec_lo, s41
	s_cbranch_execz .LBB89_10
; %bb.8:
	v_mov_b32_e32 v4, s3
.LBB89_9:                               ; =>This Inner Loop Header: Depth=1
	ds_cmpstore_rtn_b32 v4, v2, v3, v4 offset:832
	s_wait_dscnt 0x0
	v_cmp_ne_u32_e32 vcc_lo, 0, v4
	v_cmp_le_i32_e64 s3, v4, v3
	s_and_b32 s3, vcc_lo, s3
	s_delay_alu instid0(SALU_CYCLE_1) | instskip(NEXT) | instid1(SALU_CYCLE_1)
	s_and_b32 s3, exec_lo, s3
	s_or_b32 s40, s3, s40
	s_delay_alu instid0(SALU_CYCLE_1)
	s_and_not1_b32 exec_lo, exec_lo, s40
	s_cbranch_execnz .LBB89_9
.LBB89_10:
	s_or_b32 exec_lo, exec_lo, s39
	v_mov_b32_e32 v2, 0
	s_barrier_signal -1
	s_barrier_wait -1
	ds_load_b32 v3, v2 offset:832
	s_and_saveexec_b32 s3, s2
	s_cbranch_execz .LBB89_12
; %bb.11:
	s_lshl_b64 s[40:41], s[10:11], 2
	s_delay_alu instid0(SALU_CYCLE_1)
	s_add_nc_u64 s[40:41], s[6:7], s[40:41]
	s_wait_dscnt 0x0
	global_store_b32 v2, v3, s[40:41]
.LBB89_12:
	s_wait_xcnt 0x0
	s_or_b32 exec_lo, exec_lo, s3
	s_wait_dscnt 0x0
	v_cmp_ne_u32_e32 vcc_lo, 0, v3
	s_mov_b32 s3, 0
	s_cbranch_vccnz .LBB89_116
; %bb.13:
	v_lshl_add_u32 v19, v1, 4, 0
                                        ; implicit-def: $vgpr6_vgpr7
                                        ; implicit-def: $vgpr10_vgpr11
	scratch_load_b128 v[2:5], v19, off
	s_wait_loadcnt 0x0
	v_cmp_ngt_f64_e64 s3, |v[2:3]|, |v[4:5]|
	s_wait_xcnt 0x0
	s_and_saveexec_b32 s39, s3
	s_delay_alu instid0(SALU_CYCLE_1)
	s_xor_b32 s3, exec_lo, s39
	s_cbranch_execz .LBB89_15
; %bb.14:
	v_div_scale_f64 v[6:7], null, v[4:5], v[4:5], v[2:3]
	v_div_scale_f64 v[12:13], vcc_lo, v[2:3], v[4:5], v[2:3]
	s_delay_alu instid0(VALU_DEP_2) | instskip(SKIP_1) | instid1(TRANS32_DEP_1)
	v_rcp_f64_e32 v[8:9], v[6:7]
	v_nop
	v_fma_f64 v[10:11], -v[6:7], v[8:9], 1.0
	s_delay_alu instid0(VALU_DEP_1) | instskip(NEXT) | instid1(VALU_DEP_1)
	v_fmac_f64_e32 v[8:9], v[8:9], v[10:11]
	v_fma_f64 v[10:11], -v[6:7], v[8:9], 1.0
	s_delay_alu instid0(VALU_DEP_1) | instskip(NEXT) | instid1(VALU_DEP_1)
	v_fmac_f64_e32 v[8:9], v[8:9], v[10:11]
	v_mul_f64_e32 v[10:11], v[12:13], v[8:9]
	s_delay_alu instid0(VALU_DEP_1) | instskip(NEXT) | instid1(VALU_DEP_1)
	v_fma_f64 v[6:7], -v[6:7], v[10:11], v[12:13]
	v_div_fmas_f64 v[6:7], v[6:7], v[8:9], v[10:11]
	s_delay_alu instid0(VALU_DEP_1) | instskip(NEXT) | instid1(VALU_DEP_1)
	v_div_fixup_f64 v[6:7], v[6:7], v[4:5], v[2:3]
	v_fmac_f64_e32 v[4:5], v[2:3], v[6:7]
	s_delay_alu instid0(VALU_DEP_1) | instskip(SKIP_1) | instid1(VALU_DEP_2)
	v_div_scale_f64 v[2:3], null, v[4:5], v[4:5], 1.0
	v_div_scale_f64 v[12:13], vcc_lo, 1.0, v[4:5], 1.0
	v_rcp_f64_e32 v[8:9], v[2:3]
	v_nop
	s_delay_alu instid0(TRANS32_DEP_1) | instskip(NEXT) | instid1(VALU_DEP_1)
	v_fma_f64 v[10:11], -v[2:3], v[8:9], 1.0
	v_fmac_f64_e32 v[8:9], v[8:9], v[10:11]
	s_delay_alu instid0(VALU_DEP_1) | instskip(NEXT) | instid1(VALU_DEP_1)
	v_fma_f64 v[10:11], -v[2:3], v[8:9], 1.0
	v_fmac_f64_e32 v[8:9], v[8:9], v[10:11]
	s_delay_alu instid0(VALU_DEP_1) | instskip(NEXT) | instid1(VALU_DEP_1)
	v_mul_f64_e32 v[10:11], v[12:13], v[8:9]
	v_fma_f64 v[2:3], -v[2:3], v[10:11], v[12:13]
	s_delay_alu instid0(VALU_DEP_1) | instskip(NEXT) | instid1(VALU_DEP_1)
	v_div_fmas_f64 v[2:3], v[2:3], v[8:9], v[10:11]
	v_div_fixup_f64 v[8:9], v[2:3], v[4:5], 1.0
                                        ; implicit-def: $vgpr2_vgpr3
	s_delay_alu instid0(VALU_DEP_1) | instskip(SKIP_1) | instid1(VALU_DEP_2)
	v_mul_f64_e32 v[6:7], v[6:7], v[8:9]
	v_xor_b32_e32 v9, 0x80000000, v9
	v_xor_b32_e32 v11, 0x80000000, v7
	s_delay_alu instid0(VALU_DEP_3)
	v_mov_b32_e32 v10, v6
.LBB89_15:
	s_and_not1_saveexec_b32 s3, s3
	s_cbranch_execz .LBB89_17
; %bb.16:
	v_div_scale_f64 v[6:7], null, v[2:3], v[2:3], v[4:5]
	v_div_scale_f64 v[12:13], vcc_lo, v[4:5], v[2:3], v[4:5]
	s_delay_alu instid0(VALU_DEP_2) | instskip(SKIP_1) | instid1(TRANS32_DEP_1)
	v_rcp_f64_e32 v[8:9], v[6:7]
	v_nop
	v_fma_f64 v[10:11], -v[6:7], v[8:9], 1.0
	s_delay_alu instid0(VALU_DEP_1) | instskip(NEXT) | instid1(VALU_DEP_1)
	v_fmac_f64_e32 v[8:9], v[8:9], v[10:11]
	v_fma_f64 v[10:11], -v[6:7], v[8:9], 1.0
	s_delay_alu instid0(VALU_DEP_1) | instskip(NEXT) | instid1(VALU_DEP_1)
	v_fmac_f64_e32 v[8:9], v[8:9], v[10:11]
	v_mul_f64_e32 v[10:11], v[12:13], v[8:9]
	s_delay_alu instid0(VALU_DEP_1) | instskip(NEXT) | instid1(VALU_DEP_1)
	v_fma_f64 v[6:7], -v[6:7], v[10:11], v[12:13]
	v_div_fmas_f64 v[6:7], v[6:7], v[8:9], v[10:11]
	s_delay_alu instid0(VALU_DEP_1) | instskip(NEXT) | instid1(VALU_DEP_1)
	v_div_fixup_f64 v[8:9], v[6:7], v[2:3], v[4:5]
	v_fmac_f64_e32 v[2:3], v[4:5], v[8:9]
	s_delay_alu instid0(VALU_DEP_1) | instskip(NEXT) | instid1(VALU_DEP_1)
	v_div_scale_f64 v[4:5], null, v[2:3], v[2:3], 1.0
	v_rcp_f64_e32 v[6:7], v[4:5]
	v_nop
	s_delay_alu instid0(TRANS32_DEP_1) | instskip(NEXT) | instid1(VALU_DEP_1)
	v_fma_f64 v[10:11], -v[4:5], v[6:7], 1.0
	v_fmac_f64_e32 v[6:7], v[6:7], v[10:11]
	s_delay_alu instid0(VALU_DEP_1) | instskip(NEXT) | instid1(VALU_DEP_1)
	v_fma_f64 v[10:11], -v[4:5], v[6:7], 1.0
	v_fmac_f64_e32 v[6:7], v[6:7], v[10:11]
	v_div_scale_f64 v[10:11], vcc_lo, 1.0, v[2:3], 1.0
	s_delay_alu instid0(VALU_DEP_1) | instskip(NEXT) | instid1(VALU_DEP_1)
	v_mul_f64_e32 v[12:13], v[10:11], v[6:7]
	v_fma_f64 v[4:5], -v[4:5], v[12:13], v[10:11]
	s_delay_alu instid0(VALU_DEP_1) | instskip(NEXT) | instid1(VALU_DEP_1)
	v_div_fmas_f64 v[4:5], v[4:5], v[6:7], v[12:13]
	v_div_fixup_f64 v[6:7], v[4:5], v[2:3], 1.0
	s_delay_alu instid0(VALU_DEP_1)
	v_mul_f64_e64 v[8:9], v[8:9], -v[6:7]
	v_xor_b32_e32 v11, 0x80000000, v7
	v_mov_b32_e32 v10, v6
.LBB89_17:
	s_or_b32 exec_lo, exec_lo, s3
	s_clause 0x1
	scratch_store_b128 v19, v[6:9], off
	scratch_load_b128 v[2:5], off, s37
	v_xor_b32_e32 v13, 0x80000000, v9
	v_mov_b32_e32 v12, v8
	s_wait_xcnt 0x1
	v_add_nc_u32_e32 v6, 0x1a0, v66
	ds_store_b128 v66, v[10:13]
	s_wait_loadcnt 0x0
	ds_store_b128 v66, v[2:5] offset:416
	s_wait_storecnt_dscnt 0x0
	s_barrier_signal -1
	s_barrier_wait -1
	s_wait_xcnt 0x0
	s_and_saveexec_b32 s3, s2
	s_cbranch_execz .LBB89_19
; %bb.18:
	scratch_load_b128 v[2:5], v19, off
	ds_load_b128 v[8:11], v6
	v_mov_b32_e32 v7, 0
	ds_load_b128 v[68:71], v7 offset:16
	s_wait_loadcnt_dscnt 0x1
	v_mul_f64_e32 v[12:13], v[8:9], v[4:5]
	v_mul_f64_e32 v[4:5], v[10:11], v[4:5]
	s_delay_alu instid0(VALU_DEP_2) | instskip(NEXT) | instid1(VALU_DEP_2)
	v_fmac_f64_e32 v[12:13], v[10:11], v[2:3]
	v_fma_f64 v[2:3], v[8:9], v[2:3], -v[4:5]
	s_delay_alu instid0(VALU_DEP_2) | instskip(NEXT) | instid1(VALU_DEP_2)
	v_add_f64_e32 v[8:9], 0, v[12:13]
	v_add_f64_e32 v[2:3], 0, v[2:3]
	s_wait_dscnt 0x0
	s_delay_alu instid0(VALU_DEP_2) | instskip(NEXT) | instid1(VALU_DEP_2)
	v_mul_f64_e32 v[10:11], v[8:9], v[70:71]
	v_mul_f64_e32 v[4:5], v[2:3], v[70:71]
	s_delay_alu instid0(VALU_DEP_2) | instskip(NEXT) | instid1(VALU_DEP_2)
	v_fma_f64 v[2:3], v[2:3], v[68:69], -v[10:11]
	v_fmac_f64_e32 v[4:5], v[8:9], v[68:69]
	scratch_store_b128 off, v[2:5], off offset:16
.LBB89_19:
	s_wait_xcnt 0x0
	s_or_b32 exec_lo, exec_lo, s3
	s_wait_storecnt 0x0
	s_barrier_signal -1
	s_barrier_wait -1
	scratch_load_b128 v[2:5], off, s36
	s_mov_b32 s3, exec_lo
	s_wait_loadcnt 0x0
	ds_store_b128 v6, v[2:5]
	s_wait_dscnt 0x0
	s_barrier_signal -1
	s_barrier_wait -1
	v_cmpx_gt_u32_e32 2, v1
	s_cbranch_execz .LBB89_23
; %bb.20:
	scratch_load_b128 v[2:5], v19, off
	ds_load_b128 v[8:11], v6
	s_wait_loadcnt_dscnt 0x0
	v_mul_f64_e32 v[12:13], v[10:11], v[4:5]
	v_mul_f64_e32 v[68:69], v[8:9], v[4:5]
	s_delay_alu instid0(VALU_DEP_2) | instskip(NEXT) | instid1(VALU_DEP_2)
	v_fma_f64 v[4:5], v[8:9], v[2:3], -v[12:13]
	v_fmac_f64_e32 v[68:69], v[10:11], v[2:3]
	s_delay_alu instid0(VALU_DEP_2) | instskip(NEXT) | instid1(VALU_DEP_2)
	v_add_f64_e32 v[4:5], 0, v[4:5]
	v_add_f64_e32 v[2:3], 0, v[68:69]
	s_and_saveexec_b32 s39, s2
	s_cbranch_execz .LBB89_22
; %bb.21:
	scratch_load_b128 v[8:11], off, off offset:16
	v_mov_b32_e32 v7, 0
	ds_load_b128 v[68:71], v7 offset:432
	s_wait_loadcnt_dscnt 0x0
	v_mul_f64_e32 v[12:13], v[68:69], v[10:11]
	v_mul_f64_e32 v[10:11], v[70:71], v[10:11]
	s_delay_alu instid0(VALU_DEP_2) | instskip(NEXT) | instid1(VALU_DEP_2)
	v_fmac_f64_e32 v[12:13], v[70:71], v[8:9]
	v_fma_f64 v[8:9], v[68:69], v[8:9], -v[10:11]
	s_delay_alu instid0(VALU_DEP_2) | instskip(NEXT) | instid1(VALU_DEP_2)
	v_add_f64_e32 v[2:3], v[2:3], v[12:13]
	v_add_f64_e32 v[4:5], v[4:5], v[8:9]
.LBB89_22:
	s_or_b32 exec_lo, exec_lo, s39
	v_mov_b32_e32 v7, 0
	ds_load_b128 v[8:11], v7 offset:32
	s_wait_dscnt 0x0
	v_mul_f64_e32 v[68:69], v[2:3], v[10:11]
	v_mul_f64_e32 v[12:13], v[4:5], v[10:11]
	s_delay_alu instid0(VALU_DEP_2) | instskip(NEXT) | instid1(VALU_DEP_2)
	v_fma_f64 v[10:11], v[4:5], v[8:9], -v[68:69]
	v_fmac_f64_e32 v[12:13], v[2:3], v[8:9]
	scratch_store_b128 off, v[10:13], off offset:32
.LBB89_23:
	s_wait_xcnt 0x0
	s_or_b32 exec_lo, exec_lo, s3
	s_wait_storecnt 0x0
	s_barrier_signal -1
	s_barrier_wait -1
	scratch_load_b128 v[2:5], off, s23
	v_add_nc_u32_e32 v7, -1, v1
	s_mov_b32 s2, exec_lo
	s_wait_loadcnt 0x0
	ds_store_b128 v6, v[2:5]
	s_wait_dscnt 0x0
	s_barrier_signal -1
	s_barrier_wait -1
	v_cmpx_gt_u32_e32 3, v1
	s_cbranch_execz .LBB89_27
; %bb.24:
	v_dual_mov_b32 v10, v66 :: v_dual_add_nc_u32 v8, -1, v1
	v_mov_b64_e32 v[2:3], 0
	v_mov_b64_e32 v[4:5], 0
	v_add_nc_u32_e32 v9, 0x1a0, v66
	s_delay_alu instid0(VALU_DEP_4)
	v_or_b32_e32 v10, 8, v10
	s_mov_b32 s3, 0
.LBB89_25:                              ; =>This Inner Loop Header: Depth=1
	scratch_load_b128 v[68:71], v10, off offset:-8
	ds_load_b128 v[72:75], v9
	v_dual_add_nc_u32 v8, 1, v8 :: v_dual_add_nc_u32 v9, 16, v9
	s_wait_xcnt 0x0
	v_add_nc_u32_e32 v10, 16, v10
	s_delay_alu instid0(VALU_DEP_2) | instskip(SKIP_4) | instid1(VALU_DEP_2)
	v_cmp_lt_u32_e32 vcc_lo, 1, v8
	s_or_b32 s3, vcc_lo, s3
	s_wait_loadcnt_dscnt 0x0
	v_mul_f64_e32 v[12:13], v[74:75], v[70:71]
	v_mul_f64_e32 v[70:71], v[72:73], v[70:71]
	v_fma_f64 v[12:13], v[72:73], v[68:69], -v[12:13]
	s_delay_alu instid0(VALU_DEP_2) | instskip(NEXT) | instid1(VALU_DEP_2)
	v_fmac_f64_e32 v[70:71], v[74:75], v[68:69]
	v_add_f64_e32 v[4:5], v[4:5], v[12:13]
	s_delay_alu instid0(VALU_DEP_2)
	v_add_f64_e32 v[2:3], v[2:3], v[70:71]
	s_and_not1_b32 exec_lo, exec_lo, s3
	s_cbranch_execnz .LBB89_25
; %bb.26:
	s_or_b32 exec_lo, exec_lo, s3
	v_mov_b32_e32 v8, 0
	ds_load_b128 v[8:11], v8 offset:48
	s_wait_dscnt 0x0
	v_mul_f64_e32 v[68:69], v[2:3], v[10:11]
	v_mul_f64_e32 v[12:13], v[4:5], v[10:11]
	s_delay_alu instid0(VALU_DEP_2) | instskip(NEXT) | instid1(VALU_DEP_2)
	v_fma_f64 v[10:11], v[4:5], v[8:9], -v[68:69]
	v_fmac_f64_e32 v[12:13], v[2:3], v[8:9]
	scratch_store_b128 off, v[10:13], off offset:48
.LBB89_27:
	s_wait_xcnt 0x0
	s_or_b32 exec_lo, exec_lo, s2
	s_wait_storecnt 0x0
	s_barrier_signal -1
	s_barrier_wait -1
	scratch_load_b128 v[2:5], off, s24
	s_mov_b32 s2, exec_lo
	s_wait_loadcnt 0x0
	ds_store_b128 v6, v[2:5]
	s_wait_dscnt 0x0
	s_barrier_signal -1
	s_barrier_wait -1
	v_cmpx_gt_u32_e32 4, v1
	s_cbranch_execz .LBB89_31
; %bb.28:
	v_dual_mov_b32 v10, v66 :: v_dual_add_nc_u32 v8, -1, v1
	v_mov_b64_e32 v[2:3], 0
	v_mov_b64_e32 v[4:5], 0
	v_add_nc_u32_e32 v9, 0x1a0, v66
	s_delay_alu instid0(VALU_DEP_4)
	v_or_b32_e32 v10, 8, v10
	s_mov_b32 s3, 0
.LBB89_29:                              ; =>This Inner Loop Header: Depth=1
	scratch_load_b128 v[68:71], v10, off offset:-8
	ds_load_b128 v[72:75], v9
	v_dual_add_nc_u32 v8, 1, v8 :: v_dual_add_nc_u32 v9, 16, v9
	s_wait_xcnt 0x0
	v_add_nc_u32_e32 v10, 16, v10
	s_delay_alu instid0(VALU_DEP_2) | instskip(SKIP_4) | instid1(VALU_DEP_2)
	v_cmp_lt_u32_e32 vcc_lo, 2, v8
	s_or_b32 s3, vcc_lo, s3
	s_wait_loadcnt_dscnt 0x0
	v_mul_f64_e32 v[12:13], v[74:75], v[70:71]
	v_mul_f64_e32 v[70:71], v[72:73], v[70:71]
	v_fma_f64 v[12:13], v[72:73], v[68:69], -v[12:13]
	s_delay_alu instid0(VALU_DEP_2) | instskip(NEXT) | instid1(VALU_DEP_2)
	v_fmac_f64_e32 v[70:71], v[74:75], v[68:69]
	v_add_f64_e32 v[4:5], v[4:5], v[12:13]
	s_delay_alu instid0(VALU_DEP_2)
	v_add_f64_e32 v[2:3], v[2:3], v[70:71]
	s_and_not1_b32 exec_lo, exec_lo, s3
	s_cbranch_execnz .LBB89_29
; %bb.30:
	s_or_b32 exec_lo, exec_lo, s3
	v_mov_b32_e32 v8, 0
	ds_load_b128 v[8:11], v8 offset:64
	s_wait_dscnt 0x0
	v_mul_f64_e32 v[68:69], v[2:3], v[10:11]
	v_mul_f64_e32 v[12:13], v[4:5], v[10:11]
	s_delay_alu instid0(VALU_DEP_2) | instskip(NEXT) | instid1(VALU_DEP_2)
	v_fma_f64 v[10:11], v[4:5], v[8:9], -v[68:69]
	v_fmac_f64_e32 v[12:13], v[2:3], v[8:9]
	scratch_store_b128 off, v[10:13], off offset:64
.LBB89_31:
	s_wait_xcnt 0x0
	s_or_b32 exec_lo, exec_lo, s2
	s_wait_storecnt 0x0
	s_barrier_signal -1
	s_barrier_wait -1
	scratch_load_b128 v[2:5], off, s12
	s_mov_b32 s2, exec_lo
	s_wait_loadcnt 0x0
	ds_store_b128 v6, v[2:5]
	s_wait_dscnt 0x0
	s_barrier_signal -1
	s_barrier_wait -1
	v_cmpx_gt_u32_e32 5, v1
	s_cbranch_execz .LBB89_35
; %bb.32:
	v_dual_mov_b32 v10, v66 :: v_dual_add_nc_u32 v8, -1, v1
	v_mov_b64_e32 v[2:3], 0
	v_mov_b64_e32 v[4:5], 0
	v_add_nc_u32_e32 v9, 0x1a0, v66
	s_delay_alu instid0(VALU_DEP_4)
	v_or_b32_e32 v10, 8, v10
	s_mov_b32 s3, 0
.LBB89_33:                              ; =>This Inner Loop Header: Depth=1
	scratch_load_b128 v[68:71], v10, off offset:-8
	ds_load_b128 v[72:75], v9
	v_dual_add_nc_u32 v8, 1, v8 :: v_dual_add_nc_u32 v9, 16, v9
	s_wait_xcnt 0x0
	v_add_nc_u32_e32 v10, 16, v10
	s_delay_alu instid0(VALU_DEP_2) | instskip(SKIP_4) | instid1(VALU_DEP_2)
	v_cmp_lt_u32_e32 vcc_lo, 3, v8
	s_or_b32 s3, vcc_lo, s3
	s_wait_loadcnt_dscnt 0x0
	v_mul_f64_e32 v[12:13], v[74:75], v[70:71]
	v_mul_f64_e32 v[70:71], v[72:73], v[70:71]
	v_fma_f64 v[12:13], v[72:73], v[68:69], -v[12:13]
	s_delay_alu instid0(VALU_DEP_2) | instskip(NEXT) | instid1(VALU_DEP_2)
	v_fmac_f64_e32 v[70:71], v[74:75], v[68:69]
	v_add_f64_e32 v[4:5], v[4:5], v[12:13]
	s_delay_alu instid0(VALU_DEP_2)
	v_add_f64_e32 v[2:3], v[2:3], v[70:71]
	s_and_not1_b32 exec_lo, exec_lo, s3
	s_cbranch_execnz .LBB89_33
; %bb.34:
	s_or_b32 exec_lo, exec_lo, s3
	v_mov_b32_e32 v8, 0
	ds_load_b128 v[8:11], v8 offset:80
	s_wait_dscnt 0x0
	v_mul_f64_e32 v[68:69], v[2:3], v[10:11]
	v_mul_f64_e32 v[12:13], v[4:5], v[10:11]
	s_delay_alu instid0(VALU_DEP_2) | instskip(NEXT) | instid1(VALU_DEP_2)
	v_fma_f64 v[10:11], v[4:5], v[8:9], -v[68:69]
	v_fmac_f64_e32 v[12:13], v[2:3], v[8:9]
	scratch_store_b128 off, v[10:13], off offset:80
.LBB89_35:
	s_wait_xcnt 0x0
	s_or_b32 exec_lo, exec_lo, s2
	s_wait_storecnt 0x0
	s_barrier_signal -1
	s_barrier_wait -1
	scratch_load_b128 v[2:5], off, s25
	s_mov_b32 s2, exec_lo
	s_wait_loadcnt 0x0
	ds_store_b128 v6, v[2:5]
	s_wait_dscnt 0x0
	s_barrier_signal -1
	s_barrier_wait -1
	v_cmpx_gt_u32_e32 6, v1
	s_cbranch_execz .LBB89_39
; %bb.36:
	v_dual_mov_b32 v10, v66 :: v_dual_add_nc_u32 v8, -1, v1
	v_mov_b64_e32 v[2:3], 0
	v_mov_b64_e32 v[4:5], 0
	v_add_nc_u32_e32 v9, 0x1a0, v66
	s_delay_alu instid0(VALU_DEP_4)
	v_or_b32_e32 v10, 8, v10
	s_mov_b32 s3, 0
.LBB89_37:                              ; =>This Inner Loop Header: Depth=1
	scratch_load_b128 v[68:71], v10, off offset:-8
	ds_load_b128 v[72:75], v9
	v_dual_add_nc_u32 v8, 1, v8 :: v_dual_add_nc_u32 v9, 16, v9
	s_wait_xcnt 0x0
	v_add_nc_u32_e32 v10, 16, v10
	s_delay_alu instid0(VALU_DEP_2) | instskip(SKIP_4) | instid1(VALU_DEP_2)
	v_cmp_lt_u32_e32 vcc_lo, 4, v8
	s_or_b32 s3, vcc_lo, s3
	s_wait_loadcnt_dscnt 0x0
	v_mul_f64_e32 v[12:13], v[74:75], v[70:71]
	v_mul_f64_e32 v[70:71], v[72:73], v[70:71]
	v_fma_f64 v[12:13], v[72:73], v[68:69], -v[12:13]
	s_delay_alu instid0(VALU_DEP_2) | instskip(NEXT) | instid1(VALU_DEP_2)
	v_fmac_f64_e32 v[70:71], v[74:75], v[68:69]
	v_add_f64_e32 v[4:5], v[4:5], v[12:13]
	s_delay_alu instid0(VALU_DEP_2)
	v_add_f64_e32 v[2:3], v[2:3], v[70:71]
	s_and_not1_b32 exec_lo, exec_lo, s3
	s_cbranch_execnz .LBB89_37
; %bb.38:
	s_or_b32 exec_lo, exec_lo, s3
	v_mov_b32_e32 v8, 0
	ds_load_b128 v[8:11], v8 offset:96
	s_wait_dscnt 0x0
	v_mul_f64_e32 v[68:69], v[2:3], v[10:11]
	v_mul_f64_e32 v[12:13], v[4:5], v[10:11]
	s_delay_alu instid0(VALU_DEP_2) | instskip(NEXT) | instid1(VALU_DEP_2)
	v_fma_f64 v[10:11], v[4:5], v[8:9], -v[68:69]
	v_fmac_f64_e32 v[12:13], v[2:3], v[8:9]
	scratch_store_b128 off, v[10:13], off offset:96
.LBB89_39:
	s_wait_xcnt 0x0
	s_or_b32 exec_lo, exec_lo, s2
	s_wait_storecnt 0x0
	s_barrier_signal -1
	s_barrier_wait -1
	scratch_load_b128 v[2:5], off, s13
	s_mov_b32 s2, exec_lo
	s_wait_loadcnt 0x0
	ds_store_b128 v6, v[2:5]
	s_wait_dscnt 0x0
	s_barrier_signal -1
	s_barrier_wait -1
	v_cmpx_gt_u32_e32 7, v1
	s_cbranch_execz .LBB89_43
; %bb.40:
	v_dual_mov_b32 v10, v66 :: v_dual_add_nc_u32 v8, -1, v1
	v_mov_b64_e32 v[2:3], 0
	v_mov_b64_e32 v[4:5], 0
	v_add_nc_u32_e32 v9, 0x1a0, v66
	s_delay_alu instid0(VALU_DEP_4)
	v_or_b32_e32 v10, 8, v10
	s_mov_b32 s3, 0
.LBB89_41:                              ; =>This Inner Loop Header: Depth=1
	scratch_load_b128 v[68:71], v10, off offset:-8
	ds_load_b128 v[72:75], v9
	v_dual_add_nc_u32 v8, 1, v8 :: v_dual_add_nc_u32 v9, 16, v9
	s_wait_xcnt 0x0
	v_add_nc_u32_e32 v10, 16, v10
	s_delay_alu instid0(VALU_DEP_2) | instskip(SKIP_4) | instid1(VALU_DEP_2)
	v_cmp_lt_u32_e32 vcc_lo, 5, v8
	s_or_b32 s3, vcc_lo, s3
	s_wait_loadcnt_dscnt 0x0
	v_mul_f64_e32 v[12:13], v[74:75], v[70:71]
	v_mul_f64_e32 v[70:71], v[72:73], v[70:71]
	v_fma_f64 v[12:13], v[72:73], v[68:69], -v[12:13]
	s_delay_alu instid0(VALU_DEP_2) | instskip(NEXT) | instid1(VALU_DEP_2)
	v_fmac_f64_e32 v[70:71], v[74:75], v[68:69]
	v_add_f64_e32 v[4:5], v[4:5], v[12:13]
	s_delay_alu instid0(VALU_DEP_2)
	v_add_f64_e32 v[2:3], v[2:3], v[70:71]
	s_and_not1_b32 exec_lo, exec_lo, s3
	s_cbranch_execnz .LBB89_41
; %bb.42:
	s_or_b32 exec_lo, exec_lo, s3
	v_mov_b32_e32 v8, 0
	ds_load_b128 v[8:11], v8 offset:112
	s_wait_dscnt 0x0
	v_mul_f64_e32 v[68:69], v[2:3], v[10:11]
	v_mul_f64_e32 v[12:13], v[4:5], v[10:11]
	s_delay_alu instid0(VALU_DEP_2) | instskip(NEXT) | instid1(VALU_DEP_2)
	v_fma_f64 v[10:11], v[4:5], v[8:9], -v[68:69]
	v_fmac_f64_e32 v[12:13], v[2:3], v[8:9]
	scratch_store_b128 off, v[10:13], off offset:112
.LBB89_43:
	s_wait_xcnt 0x0
	s_or_b32 exec_lo, exec_lo, s2
	s_wait_storecnt 0x0
	s_barrier_signal -1
	s_barrier_wait -1
	scratch_load_b128 v[2:5], off, s26
	s_mov_b32 s2, exec_lo
	s_wait_loadcnt 0x0
	ds_store_b128 v6, v[2:5]
	s_wait_dscnt 0x0
	s_barrier_signal -1
	s_barrier_wait -1
	v_cmpx_gt_u32_e32 8, v1
	s_cbranch_execz .LBB89_47
; %bb.44:
	v_dual_mov_b32 v10, v66 :: v_dual_add_nc_u32 v8, -1, v1
	v_mov_b64_e32 v[2:3], 0
	v_mov_b64_e32 v[4:5], 0
	v_add_nc_u32_e32 v9, 0x1a0, v66
	s_delay_alu instid0(VALU_DEP_4)
	v_or_b32_e32 v10, 8, v10
	s_mov_b32 s3, 0
.LBB89_45:                              ; =>This Inner Loop Header: Depth=1
	scratch_load_b128 v[68:71], v10, off offset:-8
	ds_load_b128 v[72:75], v9
	v_dual_add_nc_u32 v8, 1, v8 :: v_dual_add_nc_u32 v9, 16, v9
	s_wait_xcnt 0x0
	v_add_nc_u32_e32 v10, 16, v10
	s_delay_alu instid0(VALU_DEP_2) | instskip(SKIP_4) | instid1(VALU_DEP_2)
	v_cmp_lt_u32_e32 vcc_lo, 6, v8
	s_or_b32 s3, vcc_lo, s3
	s_wait_loadcnt_dscnt 0x0
	v_mul_f64_e32 v[12:13], v[74:75], v[70:71]
	v_mul_f64_e32 v[70:71], v[72:73], v[70:71]
	v_fma_f64 v[12:13], v[72:73], v[68:69], -v[12:13]
	s_delay_alu instid0(VALU_DEP_2) | instskip(NEXT) | instid1(VALU_DEP_2)
	v_fmac_f64_e32 v[70:71], v[74:75], v[68:69]
	v_add_f64_e32 v[4:5], v[4:5], v[12:13]
	s_delay_alu instid0(VALU_DEP_2)
	v_add_f64_e32 v[2:3], v[2:3], v[70:71]
	s_and_not1_b32 exec_lo, exec_lo, s3
	s_cbranch_execnz .LBB89_45
; %bb.46:
	s_or_b32 exec_lo, exec_lo, s3
	v_mov_b32_e32 v8, 0
	ds_load_b128 v[8:11], v8 offset:128
	s_wait_dscnt 0x0
	v_mul_f64_e32 v[68:69], v[2:3], v[10:11]
	v_mul_f64_e32 v[12:13], v[4:5], v[10:11]
	s_delay_alu instid0(VALU_DEP_2) | instskip(NEXT) | instid1(VALU_DEP_2)
	v_fma_f64 v[10:11], v[4:5], v[8:9], -v[68:69]
	v_fmac_f64_e32 v[12:13], v[2:3], v[8:9]
	scratch_store_b128 off, v[10:13], off offset:128
.LBB89_47:
	s_wait_xcnt 0x0
	s_or_b32 exec_lo, exec_lo, s2
	s_wait_storecnt 0x0
	s_barrier_signal -1
	s_barrier_wait -1
	scratch_load_b128 v[2:5], off, s14
	s_mov_b32 s2, exec_lo
	s_wait_loadcnt 0x0
	ds_store_b128 v6, v[2:5]
	s_wait_dscnt 0x0
	s_barrier_signal -1
	s_barrier_wait -1
	v_cmpx_gt_u32_e32 9, v1
	s_cbranch_execz .LBB89_51
; %bb.48:
	v_dual_mov_b32 v10, v66 :: v_dual_add_nc_u32 v8, -1, v1
	v_mov_b64_e32 v[2:3], 0
	v_mov_b64_e32 v[4:5], 0
	v_add_nc_u32_e32 v9, 0x1a0, v66
	s_delay_alu instid0(VALU_DEP_4)
	v_or_b32_e32 v10, 8, v10
	s_mov_b32 s3, 0
.LBB89_49:                              ; =>This Inner Loop Header: Depth=1
	scratch_load_b128 v[68:71], v10, off offset:-8
	ds_load_b128 v[72:75], v9
	v_dual_add_nc_u32 v8, 1, v8 :: v_dual_add_nc_u32 v9, 16, v9
	s_wait_xcnt 0x0
	v_add_nc_u32_e32 v10, 16, v10
	s_delay_alu instid0(VALU_DEP_2) | instskip(SKIP_4) | instid1(VALU_DEP_2)
	v_cmp_lt_u32_e32 vcc_lo, 7, v8
	s_or_b32 s3, vcc_lo, s3
	s_wait_loadcnt_dscnt 0x0
	v_mul_f64_e32 v[12:13], v[74:75], v[70:71]
	v_mul_f64_e32 v[70:71], v[72:73], v[70:71]
	v_fma_f64 v[12:13], v[72:73], v[68:69], -v[12:13]
	s_delay_alu instid0(VALU_DEP_2) | instskip(NEXT) | instid1(VALU_DEP_2)
	v_fmac_f64_e32 v[70:71], v[74:75], v[68:69]
	v_add_f64_e32 v[4:5], v[4:5], v[12:13]
	s_delay_alu instid0(VALU_DEP_2)
	v_add_f64_e32 v[2:3], v[2:3], v[70:71]
	s_and_not1_b32 exec_lo, exec_lo, s3
	s_cbranch_execnz .LBB89_49
; %bb.50:
	s_or_b32 exec_lo, exec_lo, s3
	v_mov_b32_e32 v8, 0
	ds_load_b128 v[8:11], v8 offset:144
	s_wait_dscnt 0x0
	v_mul_f64_e32 v[68:69], v[2:3], v[10:11]
	v_mul_f64_e32 v[12:13], v[4:5], v[10:11]
	s_delay_alu instid0(VALU_DEP_2) | instskip(NEXT) | instid1(VALU_DEP_2)
	v_fma_f64 v[10:11], v[4:5], v[8:9], -v[68:69]
	v_fmac_f64_e32 v[12:13], v[2:3], v[8:9]
	scratch_store_b128 off, v[10:13], off offset:144
.LBB89_51:
	s_wait_xcnt 0x0
	s_or_b32 exec_lo, exec_lo, s2
	s_wait_storecnt 0x0
	s_barrier_signal -1
	s_barrier_wait -1
	scratch_load_b128 v[2:5], off, s27
	s_mov_b32 s2, exec_lo
	s_wait_loadcnt 0x0
	ds_store_b128 v6, v[2:5]
	s_wait_dscnt 0x0
	s_barrier_signal -1
	s_barrier_wait -1
	v_cmpx_gt_u32_e32 10, v1
	s_cbranch_execz .LBB89_55
; %bb.52:
	v_dual_mov_b32 v10, v66 :: v_dual_add_nc_u32 v8, -1, v1
	v_mov_b64_e32 v[2:3], 0
	v_mov_b64_e32 v[4:5], 0
	v_add_nc_u32_e32 v9, 0x1a0, v66
	s_delay_alu instid0(VALU_DEP_4)
	v_or_b32_e32 v10, 8, v10
	s_mov_b32 s3, 0
.LBB89_53:                              ; =>This Inner Loop Header: Depth=1
	scratch_load_b128 v[68:71], v10, off offset:-8
	ds_load_b128 v[72:75], v9
	v_dual_add_nc_u32 v8, 1, v8 :: v_dual_add_nc_u32 v9, 16, v9
	s_wait_xcnt 0x0
	v_add_nc_u32_e32 v10, 16, v10
	s_delay_alu instid0(VALU_DEP_2) | instskip(SKIP_4) | instid1(VALU_DEP_2)
	v_cmp_lt_u32_e32 vcc_lo, 8, v8
	s_or_b32 s3, vcc_lo, s3
	s_wait_loadcnt_dscnt 0x0
	v_mul_f64_e32 v[12:13], v[74:75], v[70:71]
	v_mul_f64_e32 v[70:71], v[72:73], v[70:71]
	v_fma_f64 v[12:13], v[72:73], v[68:69], -v[12:13]
	s_delay_alu instid0(VALU_DEP_2) | instskip(NEXT) | instid1(VALU_DEP_2)
	v_fmac_f64_e32 v[70:71], v[74:75], v[68:69]
	v_add_f64_e32 v[4:5], v[4:5], v[12:13]
	s_delay_alu instid0(VALU_DEP_2)
	v_add_f64_e32 v[2:3], v[2:3], v[70:71]
	s_and_not1_b32 exec_lo, exec_lo, s3
	s_cbranch_execnz .LBB89_53
; %bb.54:
	s_or_b32 exec_lo, exec_lo, s3
	v_mov_b32_e32 v8, 0
	ds_load_b128 v[8:11], v8 offset:160
	s_wait_dscnt 0x0
	v_mul_f64_e32 v[68:69], v[2:3], v[10:11]
	v_mul_f64_e32 v[12:13], v[4:5], v[10:11]
	s_delay_alu instid0(VALU_DEP_2) | instskip(NEXT) | instid1(VALU_DEP_2)
	v_fma_f64 v[10:11], v[4:5], v[8:9], -v[68:69]
	v_fmac_f64_e32 v[12:13], v[2:3], v[8:9]
	scratch_store_b128 off, v[10:13], off offset:160
.LBB89_55:
	s_wait_xcnt 0x0
	s_or_b32 exec_lo, exec_lo, s2
	s_wait_storecnt 0x0
	s_barrier_signal -1
	s_barrier_wait -1
	scratch_load_b128 v[2:5], off, s15
	s_mov_b32 s2, exec_lo
	s_wait_loadcnt 0x0
	ds_store_b128 v6, v[2:5]
	s_wait_dscnt 0x0
	s_barrier_signal -1
	s_barrier_wait -1
	v_cmpx_gt_u32_e32 11, v1
	s_cbranch_execz .LBB89_59
; %bb.56:
	v_dual_mov_b32 v10, v66 :: v_dual_add_nc_u32 v8, -1, v1
	v_mov_b64_e32 v[2:3], 0
	v_mov_b64_e32 v[4:5], 0
	v_add_nc_u32_e32 v9, 0x1a0, v66
	s_delay_alu instid0(VALU_DEP_4)
	v_or_b32_e32 v10, 8, v10
	s_mov_b32 s3, 0
.LBB89_57:                              ; =>This Inner Loop Header: Depth=1
	scratch_load_b128 v[68:71], v10, off offset:-8
	ds_load_b128 v[72:75], v9
	v_dual_add_nc_u32 v8, 1, v8 :: v_dual_add_nc_u32 v9, 16, v9
	s_wait_xcnt 0x0
	v_add_nc_u32_e32 v10, 16, v10
	s_delay_alu instid0(VALU_DEP_2) | instskip(SKIP_4) | instid1(VALU_DEP_2)
	v_cmp_lt_u32_e32 vcc_lo, 9, v8
	s_or_b32 s3, vcc_lo, s3
	s_wait_loadcnt_dscnt 0x0
	v_mul_f64_e32 v[12:13], v[74:75], v[70:71]
	v_mul_f64_e32 v[70:71], v[72:73], v[70:71]
	v_fma_f64 v[12:13], v[72:73], v[68:69], -v[12:13]
	s_delay_alu instid0(VALU_DEP_2) | instskip(NEXT) | instid1(VALU_DEP_2)
	v_fmac_f64_e32 v[70:71], v[74:75], v[68:69]
	v_add_f64_e32 v[4:5], v[4:5], v[12:13]
	s_delay_alu instid0(VALU_DEP_2)
	v_add_f64_e32 v[2:3], v[2:3], v[70:71]
	s_and_not1_b32 exec_lo, exec_lo, s3
	s_cbranch_execnz .LBB89_57
; %bb.58:
	s_or_b32 exec_lo, exec_lo, s3
	v_mov_b32_e32 v8, 0
	ds_load_b128 v[8:11], v8 offset:176
	s_wait_dscnt 0x0
	v_mul_f64_e32 v[68:69], v[2:3], v[10:11]
	v_mul_f64_e32 v[12:13], v[4:5], v[10:11]
	s_delay_alu instid0(VALU_DEP_2) | instskip(NEXT) | instid1(VALU_DEP_2)
	v_fma_f64 v[10:11], v[4:5], v[8:9], -v[68:69]
	v_fmac_f64_e32 v[12:13], v[2:3], v[8:9]
	scratch_store_b128 off, v[10:13], off offset:176
.LBB89_59:
	s_wait_xcnt 0x0
	s_or_b32 exec_lo, exec_lo, s2
	s_wait_storecnt 0x0
	s_barrier_signal -1
	s_barrier_wait -1
	scratch_load_b128 v[2:5], off, s28
	s_mov_b32 s2, exec_lo
	s_wait_loadcnt 0x0
	ds_store_b128 v6, v[2:5]
	s_wait_dscnt 0x0
	s_barrier_signal -1
	s_barrier_wait -1
	v_cmpx_gt_u32_e32 12, v1
	s_cbranch_execz .LBB89_63
; %bb.60:
	v_dual_mov_b32 v10, v66 :: v_dual_add_nc_u32 v8, -1, v1
	v_mov_b64_e32 v[2:3], 0
	v_mov_b64_e32 v[4:5], 0
	v_add_nc_u32_e32 v9, 0x1a0, v66
	s_delay_alu instid0(VALU_DEP_4)
	v_or_b32_e32 v10, 8, v10
	s_mov_b32 s3, 0
.LBB89_61:                              ; =>This Inner Loop Header: Depth=1
	scratch_load_b128 v[68:71], v10, off offset:-8
	ds_load_b128 v[72:75], v9
	v_dual_add_nc_u32 v8, 1, v8 :: v_dual_add_nc_u32 v9, 16, v9
	s_wait_xcnt 0x0
	v_add_nc_u32_e32 v10, 16, v10
	s_delay_alu instid0(VALU_DEP_2) | instskip(SKIP_4) | instid1(VALU_DEP_2)
	v_cmp_lt_u32_e32 vcc_lo, 10, v8
	s_or_b32 s3, vcc_lo, s3
	s_wait_loadcnt_dscnt 0x0
	v_mul_f64_e32 v[12:13], v[74:75], v[70:71]
	v_mul_f64_e32 v[70:71], v[72:73], v[70:71]
	v_fma_f64 v[12:13], v[72:73], v[68:69], -v[12:13]
	s_delay_alu instid0(VALU_DEP_2) | instskip(NEXT) | instid1(VALU_DEP_2)
	v_fmac_f64_e32 v[70:71], v[74:75], v[68:69]
	v_add_f64_e32 v[4:5], v[4:5], v[12:13]
	s_delay_alu instid0(VALU_DEP_2)
	v_add_f64_e32 v[2:3], v[2:3], v[70:71]
	s_and_not1_b32 exec_lo, exec_lo, s3
	s_cbranch_execnz .LBB89_61
; %bb.62:
	s_or_b32 exec_lo, exec_lo, s3
	v_mov_b32_e32 v8, 0
	ds_load_b128 v[8:11], v8 offset:192
	s_wait_dscnt 0x0
	v_mul_f64_e32 v[68:69], v[2:3], v[10:11]
	v_mul_f64_e32 v[12:13], v[4:5], v[10:11]
	s_delay_alu instid0(VALU_DEP_2) | instskip(NEXT) | instid1(VALU_DEP_2)
	v_fma_f64 v[10:11], v[4:5], v[8:9], -v[68:69]
	v_fmac_f64_e32 v[12:13], v[2:3], v[8:9]
	scratch_store_b128 off, v[10:13], off offset:192
.LBB89_63:
	s_wait_xcnt 0x0
	s_or_b32 exec_lo, exec_lo, s2
	s_wait_storecnt 0x0
	s_barrier_signal -1
	s_barrier_wait -1
	scratch_load_b128 v[2:5], off, s16
	s_mov_b32 s2, exec_lo
	s_wait_loadcnt 0x0
	ds_store_b128 v6, v[2:5]
	s_wait_dscnt 0x0
	s_barrier_signal -1
	s_barrier_wait -1
	v_cmpx_gt_u32_e32 13, v1
	s_cbranch_execz .LBB89_67
; %bb.64:
	v_dual_mov_b32 v10, v66 :: v_dual_add_nc_u32 v8, -1, v1
	v_mov_b64_e32 v[2:3], 0
	v_mov_b64_e32 v[4:5], 0
	v_add_nc_u32_e32 v9, 0x1a0, v66
	s_delay_alu instid0(VALU_DEP_4)
	v_or_b32_e32 v10, 8, v10
	s_mov_b32 s3, 0
.LBB89_65:                              ; =>This Inner Loop Header: Depth=1
	scratch_load_b128 v[68:71], v10, off offset:-8
	ds_load_b128 v[72:75], v9
	v_dual_add_nc_u32 v8, 1, v8 :: v_dual_add_nc_u32 v9, 16, v9
	s_wait_xcnt 0x0
	v_add_nc_u32_e32 v10, 16, v10
	s_delay_alu instid0(VALU_DEP_2) | instskip(SKIP_4) | instid1(VALU_DEP_2)
	v_cmp_lt_u32_e32 vcc_lo, 11, v8
	s_or_b32 s3, vcc_lo, s3
	s_wait_loadcnt_dscnt 0x0
	v_mul_f64_e32 v[12:13], v[74:75], v[70:71]
	v_mul_f64_e32 v[70:71], v[72:73], v[70:71]
	v_fma_f64 v[12:13], v[72:73], v[68:69], -v[12:13]
	s_delay_alu instid0(VALU_DEP_2) | instskip(NEXT) | instid1(VALU_DEP_2)
	v_fmac_f64_e32 v[70:71], v[74:75], v[68:69]
	v_add_f64_e32 v[4:5], v[4:5], v[12:13]
	s_delay_alu instid0(VALU_DEP_2)
	v_add_f64_e32 v[2:3], v[2:3], v[70:71]
	s_and_not1_b32 exec_lo, exec_lo, s3
	s_cbranch_execnz .LBB89_65
; %bb.66:
	s_or_b32 exec_lo, exec_lo, s3
	v_mov_b32_e32 v8, 0
	ds_load_b128 v[8:11], v8 offset:208
	s_wait_dscnt 0x0
	v_mul_f64_e32 v[68:69], v[2:3], v[10:11]
	v_mul_f64_e32 v[12:13], v[4:5], v[10:11]
	s_delay_alu instid0(VALU_DEP_2) | instskip(NEXT) | instid1(VALU_DEP_2)
	v_fma_f64 v[10:11], v[4:5], v[8:9], -v[68:69]
	v_fmac_f64_e32 v[12:13], v[2:3], v[8:9]
	scratch_store_b128 off, v[10:13], off offset:208
.LBB89_67:
	s_wait_xcnt 0x0
	s_or_b32 exec_lo, exec_lo, s2
	s_wait_storecnt 0x0
	s_barrier_signal -1
	s_barrier_wait -1
	scratch_load_b128 v[2:5], off, s29
	s_mov_b32 s2, exec_lo
	s_wait_loadcnt 0x0
	ds_store_b128 v6, v[2:5]
	s_wait_dscnt 0x0
	s_barrier_signal -1
	s_barrier_wait -1
	v_cmpx_gt_u32_e32 14, v1
	s_cbranch_execz .LBB89_71
; %bb.68:
	v_dual_mov_b32 v10, v66 :: v_dual_add_nc_u32 v8, -1, v1
	v_mov_b64_e32 v[2:3], 0
	v_mov_b64_e32 v[4:5], 0
	v_add_nc_u32_e32 v9, 0x1a0, v66
	s_delay_alu instid0(VALU_DEP_4)
	v_or_b32_e32 v10, 8, v10
	s_mov_b32 s3, 0
.LBB89_69:                              ; =>This Inner Loop Header: Depth=1
	scratch_load_b128 v[68:71], v10, off offset:-8
	ds_load_b128 v[72:75], v9
	v_dual_add_nc_u32 v8, 1, v8 :: v_dual_add_nc_u32 v9, 16, v9
	s_wait_xcnt 0x0
	v_add_nc_u32_e32 v10, 16, v10
	s_delay_alu instid0(VALU_DEP_2) | instskip(SKIP_4) | instid1(VALU_DEP_2)
	v_cmp_lt_u32_e32 vcc_lo, 12, v8
	s_or_b32 s3, vcc_lo, s3
	s_wait_loadcnt_dscnt 0x0
	v_mul_f64_e32 v[12:13], v[74:75], v[70:71]
	v_mul_f64_e32 v[70:71], v[72:73], v[70:71]
	v_fma_f64 v[12:13], v[72:73], v[68:69], -v[12:13]
	s_delay_alu instid0(VALU_DEP_2) | instskip(NEXT) | instid1(VALU_DEP_2)
	v_fmac_f64_e32 v[70:71], v[74:75], v[68:69]
	v_add_f64_e32 v[4:5], v[4:5], v[12:13]
	s_delay_alu instid0(VALU_DEP_2)
	v_add_f64_e32 v[2:3], v[2:3], v[70:71]
	s_and_not1_b32 exec_lo, exec_lo, s3
	s_cbranch_execnz .LBB89_69
; %bb.70:
	s_or_b32 exec_lo, exec_lo, s3
	v_mov_b32_e32 v8, 0
	ds_load_b128 v[8:11], v8 offset:224
	s_wait_dscnt 0x0
	v_mul_f64_e32 v[68:69], v[2:3], v[10:11]
	v_mul_f64_e32 v[12:13], v[4:5], v[10:11]
	s_delay_alu instid0(VALU_DEP_2) | instskip(NEXT) | instid1(VALU_DEP_2)
	v_fma_f64 v[10:11], v[4:5], v[8:9], -v[68:69]
	v_fmac_f64_e32 v[12:13], v[2:3], v[8:9]
	scratch_store_b128 off, v[10:13], off offset:224
.LBB89_71:
	s_wait_xcnt 0x0
	s_or_b32 exec_lo, exec_lo, s2
	s_wait_storecnt 0x0
	s_barrier_signal -1
	s_barrier_wait -1
	scratch_load_b128 v[2:5], off, s17
	s_mov_b32 s2, exec_lo
	s_wait_loadcnt 0x0
	ds_store_b128 v6, v[2:5]
	s_wait_dscnt 0x0
	s_barrier_signal -1
	s_barrier_wait -1
	v_cmpx_gt_u32_e32 15, v1
	s_cbranch_execz .LBB89_75
; %bb.72:
	v_dual_mov_b32 v10, v66 :: v_dual_add_nc_u32 v8, -1, v1
	v_mov_b64_e32 v[2:3], 0
	v_mov_b64_e32 v[4:5], 0
	v_add_nc_u32_e32 v9, 0x1a0, v66
	s_delay_alu instid0(VALU_DEP_4)
	v_or_b32_e32 v10, 8, v10
	s_mov_b32 s3, 0
.LBB89_73:                              ; =>This Inner Loop Header: Depth=1
	scratch_load_b128 v[68:71], v10, off offset:-8
	ds_load_b128 v[72:75], v9
	v_dual_add_nc_u32 v8, 1, v8 :: v_dual_add_nc_u32 v9, 16, v9
	s_wait_xcnt 0x0
	v_add_nc_u32_e32 v10, 16, v10
	s_delay_alu instid0(VALU_DEP_2) | instskip(SKIP_4) | instid1(VALU_DEP_2)
	v_cmp_lt_u32_e32 vcc_lo, 13, v8
	s_or_b32 s3, vcc_lo, s3
	s_wait_loadcnt_dscnt 0x0
	v_mul_f64_e32 v[12:13], v[74:75], v[70:71]
	v_mul_f64_e32 v[70:71], v[72:73], v[70:71]
	v_fma_f64 v[12:13], v[72:73], v[68:69], -v[12:13]
	s_delay_alu instid0(VALU_DEP_2) | instskip(NEXT) | instid1(VALU_DEP_2)
	v_fmac_f64_e32 v[70:71], v[74:75], v[68:69]
	v_add_f64_e32 v[4:5], v[4:5], v[12:13]
	s_delay_alu instid0(VALU_DEP_2)
	v_add_f64_e32 v[2:3], v[2:3], v[70:71]
	s_and_not1_b32 exec_lo, exec_lo, s3
	s_cbranch_execnz .LBB89_73
; %bb.74:
	s_or_b32 exec_lo, exec_lo, s3
	v_mov_b32_e32 v8, 0
	ds_load_b128 v[8:11], v8 offset:240
	s_wait_dscnt 0x0
	v_mul_f64_e32 v[68:69], v[2:3], v[10:11]
	v_mul_f64_e32 v[12:13], v[4:5], v[10:11]
	s_delay_alu instid0(VALU_DEP_2) | instskip(NEXT) | instid1(VALU_DEP_2)
	v_fma_f64 v[10:11], v[4:5], v[8:9], -v[68:69]
	v_fmac_f64_e32 v[12:13], v[2:3], v[8:9]
	scratch_store_b128 off, v[10:13], off offset:240
.LBB89_75:
	s_wait_xcnt 0x0
	s_or_b32 exec_lo, exec_lo, s2
	s_wait_storecnt 0x0
	s_barrier_signal -1
	s_barrier_wait -1
	scratch_load_b128 v[2:5], off, s30
	s_mov_b32 s2, exec_lo
	s_wait_loadcnt 0x0
	ds_store_b128 v6, v[2:5]
	s_wait_dscnt 0x0
	s_barrier_signal -1
	s_barrier_wait -1
	v_cmpx_gt_u32_e32 16, v1
	s_cbranch_execz .LBB89_79
; %bb.76:
	v_dual_mov_b32 v10, v66 :: v_dual_add_nc_u32 v8, -1, v1
	v_mov_b64_e32 v[2:3], 0
	v_mov_b64_e32 v[4:5], 0
	v_add_nc_u32_e32 v9, 0x1a0, v66
	s_delay_alu instid0(VALU_DEP_4)
	v_or_b32_e32 v10, 8, v10
	s_mov_b32 s3, 0
.LBB89_77:                              ; =>This Inner Loop Header: Depth=1
	scratch_load_b128 v[68:71], v10, off offset:-8
	ds_load_b128 v[72:75], v9
	v_dual_add_nc_u32 v8, 1, v8 :: v_dual_add_nc_u32 v9, 16, v9
	s_wait_xcnt 0x0
	v_add_nc_u32_e32 v10, 16, v10
	s_delay_alu instid0(VALU_DEP_2) | instskip(SKIP_4) | instid1(VALU_DEP_2)
	v_cmp_lt_u32_e32 vcc_lo, 14, v8
	s_or_b32 s3, vcc_lo, s3
	s_wait_loadcnt_dscnt 0x0
	v_mul_f64_e32 v[12:13], v[74:75], v[70:71]
	v_mul_f64_e32 v[70:71], v[72:73], v[70:71]
	v_fma_f64 v[12:13], v[72:73], v[68:69], -v[12:13]
	s_delay_alu instid0(VALU_DEP_2) | instskip(NEXT) | instid1(VALU_DEP_2)
	v_fmac_f64_e32 v[70:71], v[74:75], v[68:69]
	v_add_f64_e32 v[4:5], v[4:5], v[12:13]
	s_delay_alu instid0(VALU_DEP_2)
	v_add_f64_e32 v[2:3], v[2:3], v[70:71]
	s_and_not1_b32 exec_lo, exec_lo, s3
	s_cbranch_execnz .LBB89_77
; %bb.78:
	s_or_b32 exec_lo, exec_lo, s3
	v_mov_b32_e32 v8, 0
	ds_load_b128 v[8:11], v8 offset:256
	s_wait_dscnt 0x0
	v_mul_f64_e32 v[68:69], v[2:3], v[10:11]
	v_mul_f64_e32 v[12:13], v[4:5], v[10:11]
	s_delay_alu instid0(VALU_DEP_2) | instskip(NEXT) | instid1(VALU_DEP_2)
	v_fma_f64 v[10:11], v[4:5], v[8:9], -v[68:69]
	v_fmac_f64_e32 v[12:13], v[2:3], v[8:9]
	scratch_store_b128 off, v[10:13], off offset:256
.LBB89_79:
	s_wait_xcnt 0x0
	s_or_b32 exec_lo, exec_lo, s2
	s_wait_storecnt 0x0
	s_barrier_signal -1
	s_barrier_wait -1
	scratch_load_b128 v[2:5], off, s18
	s_mov_b32 s2, exec_lo
	s_wait_loadcnt 0x0
	ds_store_b128 v6, v[2:5]
	s_wait_dscnt 0x0
	s_barrier_signal -1
	s_barrier_wait -1
	v_cmpx_gt_u32_e32 17, v1
	s_cbranch_execz .LBB89_83
; %bb.80:
	v_dual_mov_b32 v10, v66 :: v_dual_add_nc_u32 v8, -1, v1
	v_mov_b64_e32 v[2:3], 0
	v_mov_b64_e32 v[4:5], 0
	v_add_nc_u32_e32 v9, 0x1a0, v66
	s_delay_alu instid0(VALU_DEP_4)
	v_or_b32_e32 v10, 8, v10
	s_mov_b32 s3, 0
.LBB89_81:                              ; =>This Inner Loop Header: Depth=1
	scratch_load_b128 v[68:71], v10, off offset:-8
	ds_load_b128 v[72:75], v9
	v_dual_add_nc_u32 v8, 1, v8 :: v_dual_add_nc_u32 v9, 16, v9
	s_wait_xcnt 0x0
	v_add_nc_u32_e32 v10, 16, v10
	s_delay_alu instid0(VALU_DEP_2) | instskip(SKIP_4) | instid1(VALU_DEP_2)
	v_cmp_lt_u32_e32 vcc_lo, 15, v8
	s_or_b32 s3, vcc_lo, s3
	s_wait_loadcnt_dscnt 0x0
	v_mul_f64_e32 v[12:13], v[74:75], v[70:71]
	v_mul_f64_e32 v[70:71], v[72:73], v[70:71]
	v_fma_f64 v[12:13], v[72:73], v[68:69], -v[12:13]
	s_delay_alu instid0(VALU_DEP_2) | instskip(NEXT) | instid1(VALU_DEP_2)
	v_fmac_f64_e32 v[70:71], v[74:75], v[68:69]
	v_add_f64_e32 v[4:5], v[4:5], v[12:13]
	s_delay_alu instid0(VALU_DEP_2)
	v_add_f64_e32 v[2:3], v[2:3], v[70:71]
	s_and_not1_b32 exec_lo, exec_lo, s3
	s_cbranch_execnz .LBB89_81
; %bb.82:
	s_or_b32 exec_lo, exec_lo, s3
	v_mov_b32_e32 v8, 0
	ds_load_b128 v[8:11], v8 offset:272
	s_wait_dscnt 0x0
	v_mul_f64_e32 v[68:69], v[2:3], v[10:11]
	v_mul_f64_e32 v[12:13], v[4:5], v[10:11]
	s_delay_alu instid0(VALU_DEP_2) | instskip(NEXT) | instid1(VALU_DEP_2)
	v_fma_f64 v[10:11], v[4:5], v[8:9], -v[68:69]
	v_fmac_f64_e32 v[12:13], v[2:3], v[8:9]
	scratch_store_b128 off, v[10:13], off offset:272
.LBB89_83:
	s_wait_xcnt 0x0
	s_or_b32 exec_lo, exec_lo, s2
	s_wait_storecnt 0x0
	s_barrier_signal -1
	s_barrier_wait -1
	scratch_load_b128 v[2:5], off, s31
	s_mov_b32 s2, exec_lo
	s_wait_loadcnt 0x0
	ds_store_b128 v6, v[2:5]
	s_wait_dscnt 0x0
	s_barrier_signal -1
	s_barrier_wait -1
	v_cmpx_gt_u32_e32 18, v1
	s_cbranch_execz .LBB89_87
; %bb.84:
	v_dual_mov_b32 v10, v66 :: v_dual_add_nc_u32 v8, -1, v1
	v_mov_b64_e32 v[2:3], 0
	v_mov_b64_e32 v[4:5], 0
	v_add_nc_u32_e32 v9, 0x1a0, v66
	s_delay_alu instid0(VALU_DEP_4)
	v_or_b32_e32 v10, 8, v10
	s_mov_b32 s3, 0
.LBB89_85:                              ; =>This Inner Loop Header: Depth=1
	scratch_load_b128 v[68:71], v10, off offset:-8
	ds_load_b128 v[72:75], v9
	v_dual_add_nc_u32 v8, 1, v8 :: v_dual_add_nc_u32 v9, 16, v9
	s_wait_xcnt 0x0
	v_add_nc_u32_e32 v10, 16, v10
	s_delay_alu instid0(VALU_DEP_2) | instskip(SKIP_4) | instid1(VALU_DEP_2)
	v_cmp_lt_u32_e32 vcc_lo, 16, v8
	s_or_b32 s3, vcc_lo, s3
	s_wait_loadcnt_dscnt 0x0
	v_mul_f64_e32 v[12:13], v[74:75], v[70:71]
	v_mul_f64_e32 v[70:71], v[72:73], v[70:71]
	v_fma_f64 v[12:13], v[72:73], v[68:69], -v[12:13]
	s_delay_alu instid0(VALU_DEP_2) | instskip(NEXT) | instid1(VALU_DEP_2)
	v_fmac_f64_e32 v[70:71], v[74:75], v[68:69]
	v_add_f64_e32 v[4:5], v[4:5], v[12:13]
	s_delay_alu instid0(VALU_DEP_2)
	v_add_f64_e32 v[2:3], v[2:3], v[70:71]
	s_and_not1_b32 exec_lo, exec_lo, s3
	s_cbranch_execnz .LBB89_85
; %bb.86:
	s_or_b32 exec_lo, exec_lo, s3
	v_mov_b32_e32 v8, 0
	ds_load_b128 v[8:11], v8 offset:288
	s_wait_dscnt 0x0
	v_mul_f64_e32 v[68:69], v[2:3], v[10:11]
	v_mul_f64_e32 v[12:13], v[4:5], v[10:11]
	s_delay_alu instid0(VALU_DEP_2) | instskip(NEXT) | instid1(VALU_DEP_2)
	v_fma_f64 v[10:11], v[4:5], v[8:9], -v[68:69]
	v_fmac_f64_e32 v[12:13], v[2:3], v[8:9]
	scratch_store_b128 off, v[10:13], off offset:288
.LBB89_87:
	s_wait_xcnt 0x0
	s_or_b32 exec_lo, exec_lo, s2
	s_wait_storecnt 0x0
	s_barrier_signal -1
	s_barrier_wait -1
	scratch_load_b128 v[2:5], off, s19
	s_mov_b32 s2, exec_lo
	s_wait_loadcnt 0x0
	ds_store_b128 v6, v[2:5]
	s_wait_dscnt 0x0
	s_barrier_signal -1
	s_barrier_wait -1
	v_cmpx_gt_u32_e32 19, v1
	s_cbranch_execz .LBB89_91
; %bb.88:
	v_dual_mov_b32 v10, v66 :: v_dual_add_nc_u32 v8, -1, v1
	v_mov_b64_e32 v[2:3], 0
	v_mov_b64_e32 v[4:5], 0
	v_add_nc_u32_e32 v9, 0x1a0, v66
	s_delay_alu instid0(VALU_DEP_4)
	v_or_b32_e32 v10, 8, v10
	s_mov_b32 s3, 0
.LBB89_89:                              ; =>This Inner Loop Header: Depth=1
	scratch_load_b128 v[68:71], v10, off offset:-8
	ds_load_b128 v[72:75], v9
	v_dual_add_nc_u32 v8, 1, v8 :: v_dual_add_nc_u32 v9, 16, v9
	s_wait_xcnt 0x0
	v_add_nc_u32_e32 v10, 16, v10
	s_delay_alu instid0(VALU_DEP_2) | instskip(SKIP_4) | instid1(VALU_DEP_2)
	v_cmp_lt_u32_e32 vcc_lo, 17, v8
	s_or_b32 s3, vcc_lo, s3
	s_wait_loadcnt_dscnt 0x0
	v_mul_f64_e32 v[12:13], v[74:75], v[70:71]
	v_mul_f64_e32 v[70:71], v[72:73], v[70:71]
	v_fma_f64 v[12:13], v[72:73], v[68:69], -v[12:13]
	s_delay_alu instid0(VALU_DEP_2) | instskip(NEXT) | instid1(VALU_DEP_2)
	v_fmac_f64_e32 v[70:71], v[74:75], v[68:69]
	v_add_f64_e32 v[4:5], v[4:5], v[12:13]
	s_delay_alu instid0(VALU_DEP_2)
	v_add_f64_e32 v[2:3], v[2:3], v[70:71]
	s_and_not1_b32 exec_lo, exec_lo, s3
	s_cbranch_execnz .LBB89_89
; %bb.90:
	s_or_b32 exec_lo, exec_lo, s3
	v_mov_b32_e32 v8, 0
	ds_load_b128 v[8:11], v8 offset:304
	s_wait_dscnt 0x0
	v_mul_f64_e32 v[68:69], v[2:3], v[10:11]
	v_mul_f64_e32 v[12:13], v[4:5], v[10:11]
	s_delay_alu instid0(VALU_DEP_2) | instskip(NEXT) | instid1(VALU_DEP_2)
	v_fma_f64 v[10:11], v[4:5], v[8:9], -v[68:69]
	v_fmac_f64_e32 v[12:13], v[2:3], v[8:9]
	scratch_store_b128 off, v[10:13], off offset:304
.LBB89_91:
	s_wait_xcnt 0x0
	s_or_b32 exec_lo, exec_lo, s2
	s_wait_storecnt 0x0
	s_barrier_signal -1
	s_barrier_wait -1
	scratch_load_b128 v[2:5], off, s33
	s_mov_b32 s2, exec_lo
	s_wait_loadcnt 0x0
	ds_store_b128 v6, v[2:5]
	s_wait_dscnt 0x0
	s_barrier_signal -1
	s_barrier_wait -1
	v_cmpx_gt_u32_e32 20, v1
	s_cbranch_execz .LBB89_95
; %bb.92:
	v_dual_mov_b32 v10, v66 :: v_dual_add_nc_u32 v8, -1, v1
	v_mov_b64_e32 v[2:3], 0
	v_mov_b64_e32 v[4:5], 0
	v_add_nc_u32_e32 v9, 0x1a0, v66
	s_delay_alu instid0(VALU_DEP_4)
	v_or_b32_e32 v10, 8, v10
	s_mov_b32 s3, 0
.LBB89_93:                              ; =>This Inner Loop Header: Depth=1
	scratch_load_b128 v[68:71], v10, off offset:-8
	ds_load_b128 v[72:75], v9
	v_dual_add_nc_u32 v8, 1, v8 :: v_dual_add_nc_u32 v9, 16, v9
	s_wait_xcnt 0x0
	v_add_nc_u32_e32 v10, 16, v10
	s_delay_alu instid0(VALU_DEP_2) | instskip(SKIP_4) | instid1(VALU_DEP_2)
	v_cmp_lt_u32_e32 vcc_lo, 18, v8
	s_or_b32 s3, vcc_lo, s3
	s_wait_loadcnt_dscnt 0x0
	v_mul_f64_e32 v[12:13], v[74:75], v[70:71]
	v_mul_f64_e32 v[70:71], v[72:73], v[70:71]
	v_fma_f64 v[12:13], v[72:73], v[68:69], -v[12:13]
	s_delay_alu instid0(VALU_DEP_2) | instskip(NEXT) | instid1(VALU_DEP_2)
	v_fmac_f64_e32 v[70:71], v[74:75], v[68:69]
	v_add_f64_e32 v[4:5], v[4:5], v[12:13]
	s_delay_alu instid0(VALU_DEP_2)
	v_add_f64_e32 v[2:3], v[2:3], v[70:71]
	s_and_not1_b32 exec_lo, exec_lo, s3
	s_cbranch_execnz .LBB89_93
; %bb.94:
	s_or_b32 exec_lo, exec_lo, s3
	v_mov_b32_e32 v8, 0
	ds_load_b128 v[8:11], v8 offset:320
	s_wait_dscnt 0x0
	v_mul_f64_e32 v[68:69], v[2:3], v[10:11]
	v_mul_f64_e32 v[12:13], v[4:5], v[10:11]
	s_delay_alu instid0(VALU_DEP_2) | instskip(NEXT) | instid1(VALU_DEP_2)
	v_fma_f64 v[10:11], v[4:5], v[8:9], -v[68:69]
	v_fmac_f64_e32 v[12:13], v[2:3], v[8:9]
	scratch_store_b128 off, v[10:13], off offset:320
.LBB89_95:
	s_wait_xcnt 0x0
	s_or_b32 exec_lo, exec_lo, s2
	s_wait_storecnt 0x0
	s_barrier_signal -1
	s_barrier_wait -1
	scratch_load_b128 v[2:5], off, s20
	s_mov_b32 s2, exec_lo
	s_wait_loadcnt 0x0
	ds_store_b128 v6, v[2:5]
	s_wait_dscnt 0x0
	s_barrier_signal -1
	s_barrier_wait -1
	v_cmpx_gt_u32_e32 21, v1
	s_cbranch_execz .LBB89_99
; %bb.96:
	v_dual_mov_b32 v10, v66 :: v_dual_add_nc_u32 v8, -1, v1
	v_mov_b64_e32 v[2:3], 0
	v_mov_b64_e32 v[4:5], 0
	v_add_nc_u32_e32 v9, 0x1a0, v66
	s_delay_alu instid0(VALU_DEP_4)
	v_or_b32_e32 v10, 8, v10
	s_mov_b32 s3, 0
.LBB89_97:                              ; =>This Inner Loop Header: Depth=1
	scratch_load_b128 v[68:71], v10, off offset:-8
	ds_load_b128 v[72:75], v9
	v_dual_add_nc_u32 v8, 1, v8 :: v_dual_add_nc_u32 v9, 16, v9
	s_wait_xcnt 0x0
	v_add_nc_u32_e32 v10, 16, v10
	s_delay_alu instid0(VALU_DEP_2) | instskip(SKIP_4) | instid1(VALU_DEP_2)
	v_cmp_lt_u32_e32 vcc_lo, 19, v8
	s_or_b32 s3, vcc_lo, s3
	s_wait_loadcnt_dscnt 0x0
	v_mul_f64_e32 v[12:13], v[74:75], v[70:71]
	v_mul_f64_e32 v[70:71], v[72:73], v[70:71]
	v_fma_f64 v[12:13], v[72:73], v[68:69], -v[12:13]
	s_delay_alu instid0(VALU_DEP_2) | instskip(NEXT) | instid1(VALU_DEP_2)
	v_fmac_f64_e32 v[70:71], v[74:75], v[68:69]
	v_add_f64_e32 v[4:5], v[4:5], v[12:13]
	s_delay_alu instid0(VALU_DEP_2)
	v_add_f64_e32 v[2:3], v[2:3], v[70:71]
	s_and_not1_b32 exec_lo, exec_lo, s3
	s_cbranch_execnz .LBB89_97
; %bb.98:
	s_or_b32 exec_lo, exec_lo, s3
	v_mov_b32_e32 v8, 0
	ds_load_b128 v[8:11], v8 offset:336
	s_wait_dscnt 0x0
	v_mul_f64_e32 v[68:69], v[2:3], v[10:11]
	v_mul_f64_e32 v[12:13], v[4:5], v[10:11]
	s_delay_alu instid0(VALU_DEP_2) | instskip(NEXT) | instid1(VALU_DEP_2)
	v_fma_f64 v[10:11], v[4:5], v[8:9], -v[68:69]
	v_fmac_f64_e32 v[12:13], v[2:3], v[8:9]
	scratch_store_b128 off, v[10:13], off offset:336
.LBB89_99:
	s_wait_xcnt 0x0
	s_or_b32 exec_lo, exec_lo, s2
	s_wait_storecnt 0x0
	s_barrier_signal -1
	s_barrier_wait -1
	scratch_load_b128 v[2:5], off, s34
	s_mov_b32 s2, exec_lo
	s_wait_loadcnt 0x0
	ds_store_b128 v6, v[2:5]
	s_wait_dscnt 0x0
	s_barrier_signal -1
	s_barrier_wait -1
	v_cmpx_gt_u32_e32 22, v1
	s_cbranch_execz .LBB89_103
; %bb.100:
	v_dual_mov_b32 v10, v66 :: v_dual_add_nc_u32 v8, -1, v1
	v_mov_b64_e32 v[2:3], 0
	v_mov_b64_e32 v[4:5], 0
	v_add_nc_u32_e32 v9, 0x1a0, v66
	s_delay_alu instid0(VALU_DEP_4)
	v_or_b32_e32 v10, 8, v10
	s_mov_b32 s3, 0
.LBB89_101:                             ; =>This Inner Loop Header: Depth=1
	scratch_load_b128 v[68:71], v10, off offset:-8
	ds_load_b128 v[72:75], v9
	v_dual_add_nc_u32 v8, 1, v8 :: v_dual_add_nc_u32 v9, 16, v9
	s_wait_xcnt 0x0
	v_add_nc_u32_e32 v10, 16, v10
	s_delay_alu instid0(VALU_DEP_2) | instskip(SKIP_4) | instid1(VALU_DEP_2)
	v_cmp_lt_u32_e32 vcc_lo, 20, v8
	s_or_b32 s3, vcc_lo, s3
	s_wait_loadcnt_dscnt 0x0
	v_mul_f64_e32 v[12:13], v[74:75], v[70:71]
	v_mul_f64_e32 v[70:71], v[72:73], v[70:71]
	v_fma_f64 v[12:13], v[72:73], v[68:69], -v[12:13]
	s_delay_alu instid0(VALU_DEP_2) | instskip(NEXT) | instid1(VALU_DEP_2)
	v_fmac_f64_e32 v[70:71], v[74:75], v[68:69]
	v_add_f64_e32 v[4:5], v[4:5], v[12:13]
	s_delay_alu instid0(VALU_DEP_2)
	v_add_f64_e32 v[2:3], v[2:3], v[70:71]
	s_and_not1_b32 exec_lo, exec_lo, s3
	s_cbranch_execnz .LBB89_101
; %bb.102:
	s_or_b32 exec_lo, exec_lo, s3
	v_mov_b32_e32 v8, 0
	ds_load_b128 v[8:11], v8 offset:352
	s_wait_dscnt 0x0
	v_mul_f64_e32 v[68:69], v[2:3], v[10:11]
	v_mul_f64_e32 v[12:13], v[4:5], v[10:11]
	s_delay_alu instid0(VALU_DEP_2) | instskip(NEXT) | instid1(VALU_DEP_2)
	v_fma_f64 v[10:11], v[4:5], v[8:9], -v[68:69]
	v_fmac_f64_e32 v[12:13], v[2:3], v[8:9]
	scratch_store_b128 off, v[10:13], off offset:352
.LBB89_103:
	s_wait_xcnt 0x0
	s_or_b32 exec_lo, exec_lo, s2
	s_wait_storecnt 0x0
	s_barrier_signal -1
	s_barrier_wait -1
	scratch_load_b128 v[2:5], off, s21
	s_mov_b32 s2, exec_lo
	s_wait_loadcnt 0x0
	ds_store_b128 v6, v[2:5]
	s_wait_dscnt 0x0
	s_barrier_signal -1
	s_barrier_wait -1
	v_cmpx_gt_u32_e32 23, v1
	s_cbranch_execz .LBB89_107
; %bb.104:
	v_dual_mov_b32 v10, v66 :: v_dual_add_nc_u32 v8, -1, v1
	v_mov_b64_e32 v[2:3], 0
	v_mov_b64_e32 v[4:5], 0
	v_add_nc_u32_e32 v9, 0x1a0, v66
	s_delay_alu instid0(VALU_DEP_4)
	v_or_b32_e32 v10, 8, v10
	s_mov_b32 s3, 0
.LBB89_105:                             ; =>This Inner Loop Header: Depth=1
	scratch_load_b128 v[68:71], v10, off offset:-8
	ds_load_b128 v[72:75], v9
	v_dual_add_nc_u32 v8, 1, v8 :: v_dual_add_nc_u32 v9, 16, v9
	s_wait_xcnt 0x0
	v_add_nc_u32_e32 v10, 16, v10
	s_delay_alu instid0(VALU_DEP_2) | instskip(SKIP_4) | instid1(VALU_DEP_2)
	v_cmp_lt_u32_e32 vcc_lo, 21, v8
	s_or_b32 s3, vcc_lo, s3
	s_wait_loadcnt_dscnt 0x0
	v_mul_f64_e32 v[12:13], v[74:75], v[70:71]
	v_mul_f64_e32 v[70:71], v[72:73], v[70:71]
	v_fma_f64 v[12:13], v[72:73], v[68:69], -v[12:13]
	s_delay_alu instid0(VALU_DEP_2) | instskip(NEXT) | instid1(VALU_DEP_2)
	v_fmac_f64_e32 v[70:71], v[74:75], v[68:69]
	v_add_f64_e32 v[4:5], v[4:5], v[12:13]
	s_delay_alu instid0(VALU_DEP_2)
	v_add_f64_e32 v[2:3], v[2:3], v[70:71]
	s_and_not1_b32 exec_lo, exec_lo, s3
	s_cbranch_execnz .LBB89_105
; %bb.106:
	s_or_b32 exec_lo, exec_lo, s3
	v_mov_b32_e32 v8, 0
	ds_load_b128 v[8:11], v8 offset:368
	s_wait_dscnt 0x0
	v_mul_f64_e32 v[68:69], v[2:3], v[10:11]
	v_mul_f64_e32 v[12:13], v[4:5], v[10:11]
	s_delay_alu instid0(VALU_DEP_2) | instskip(NEXT) | instid1(VALU_DEP_2)
	v_fma_f64 v[10:11], v[4:5], v[8:9], -v[68:69]
	v_fmac_f64_e32 v[12:13], v[2:3], v[8:9]
	scratch_store_b128 off, v[10:13], off offset:368
.LBB89_107:
	s_wait_xcnt 0x0
	s_or_b32 exec_lo, exec_lo, s2
	s_wait_storecnt 0x0
	s_barrier_signal -1
	s_barrier_wait -1
	scratch_load_b128 v[2:5], off, s35
	;; [unrolled: 54-line block ×3, first 2 shown]
	s_mov_b32 s2, exec_lo
	s_wait_loadcnt 0x0
	ds_store_b128 v6, v[2:5]
	s_wait_dscnt 0x0
	s_barrier_signal -1
	s_barrier_wait -1
	v_cmpx_ne_u32_e32 25, v1
	s_cbranch_execz .LBB89_115
; %bb.112:
	v_mov_b32_e32 v8, v66
	v_mov_b64_e32 v[2:3], 0
	v_mov_b64_e32 v[4:5], 0
	s_mov_b32 s3, 0
	s_delay_alu instid0(VALU_DEP_3)
	v_or_b32_e32 v8, 8, v8
.LBB89_113:                             ; =>This Inner Loop Header: Depth=1
	scratch_load_b128 v[10:13], v8, off offset:-8
	ds_load_b128 v[66:69], v6
	v_dual_add_nc_u32 v7, 1, v7 :: v_dual_add_nc_u32 v6, 16, v6
	s_wait_xcnt 0x0
	v_add_nc_u32_e32 v8, 16, v8
	s_delay_alu instid0(VALU_DEP_2) | instskip(SKIP_4) | instid1(VALU_DEP_2)
	v_cmp_lt_u32_e32 vcc_lo, 23, v7
	s_or_b32 s3, vcc_lo, s3
	s_wait_loadcnt_dscnt 0x0
	v_mul_f64_e32 v[70:71], v[68:69], v[12:13]
	v_mul_f64_e32 v[12:13], v[66:67], v[12:13]
	v_fma_f64 v[66:67], v[66:67], v[10:11], -v[70:71]
	s_delay_alu instid0(VALU_DEP_2) | instskip(NEXT) | instid1(VALU_DEP_2)
	v_fmac_f64_e32 v[12:13], v[68:69], v[10:11]
	v_add_f64_e32 v[4:5], v[4:5], v[66:67]
	s_delay_alu instid0(VALU_DEP_2)
	v_add_f64_e32 v[2:3], v[2:3], v[12:13]
	s_and_not1_b32 exec_lo, exec_lo, s3
	s_cbranch_execnz .LBB89_113
; %bb.114:
	s_or_b32 exec_lo, exec_lo, s3
	v_mov_b32_e32 v6, 0
	ds_load_b128 v[6:9], v6 offset:400
	s_wait_dscnt 0x0
	v_mul_f64_e32 v[12:13], v[2:3], v[8:9]
	v_mul_f64_e32 v[10:11], v[4:5], v[8:9]
	s_delay_alu instid0(VALU_DEP_2) | instskip(NEXT) | instid1(VALU_DEP_2)
	v_fma_f64 v[8:9], v[4:5], v[6:7], -v[12:13]
	v_fmac_f64_e32 v[10:11], v[2:3], v[6:7]
	scratch_store_b128 off, v[8:11], off offset:400
.LBB89_115:
	s_wait_xcnt 0x0
	s_or_b32 exec_lo, exec_lo, s2
	s_mov_b32 s3, -1
	s_wait_storecnt 0x0
	s_barrier_signal -1
	s_barrier_wait -1
.LBB89_116:
	s_and_b32 vcc_lo, exec_lo, s3
	s_cbranch_vccz .LBB89_118
; %bb.117:
	s_wait_xcnt 0x0
	v_mov_b32_e32 v2, 0
	s_lshl_b64 s[2:3], s[10:11], 2
	s_delay_alu instid0(SALU_CYCLE_1)
	s_add_nc_u64 s[2:3], s[6:7], s[2:3]
	global_load_b32 v2, v2, s[2:3]
	s_wait_loadcnt 0x0
	v_cmp_ne_u32_e32 vcc_lo, 0, v2
	s_cbranch_vccz .LBB89_119
.LBB89_118:
	s_sendmsg sendmsg(MSG_DEALLOC_VGPRS)
	s_endpgm
.LBB89_119:
	v_lshl_add_u32 v6, v1, 4, 0x1a0
	s_wait_xcnt 0x0
	s_mov_b32 s2, exec_lo
	v_cmpx_eq_u32_e32 25, v1
	s_cbranch_execz .LBB89_121
; %bb.120:
	scratch_load_b128 v[2:5], off, s35
	v_mov_b32_e32 v8, 0
	s_delay_alu instid0(VALU_DEP_1)
	v_dual_mov_b32 v9, v8 :: v_dual_mov_b32 v10, v8
	v_mov_b32_e32 v11, v8
	scratch_store_b128 off, v[8:11], off offset:384
	s_wait_loadcnt 0x0
	ds_store_b128 v6, v[2:5]
.LBB89_121:
	s_wait_xcnt 0x0
	s_or_b32 exec_lo, exec_lo, s2
	s_wait_storecnt_dscnt 0x0
	s_barrier_signal -1
	s_barrier_wait -1
	s_clause 0x1
	scratch_load_b128 v[8:11], off, off offset:400
	scratch_load_b128 v[66:69], off, off offset:384
	v_mov_b32_e32 v2, 0
	s_mov_b32 s2, exec_lo
	ds_load_b128 v[70:73], v2 offset:816
	s_wait_loadcnt_dscnt 0x100
	v_mul_f64_e32 v[4:5], v[72:73], v[10:11]
	v_mul_f64_e32 v[10:11], v[70:71], v[10:11]
	s_delay_alu instid0(VALU_DEP_2) | instskip(NEXT) | instid1(VALU_DEP_2)
	v_fma_f64 v[4:5], v[70:71], v[8:9], -v[4:5]
	v_fmac_f64_e32 v[10:11], v[72:73], v[8:9]
	s_delay_alu instid0(VALU_DEP_2) | instskip(NEXT) | instid1(VALU_DEP_2)
	v_add_f64_e32 v[4:5], 0, v[4:5]
	v_add_f64_e32 v[10:11], 0, v[10:11]
	s_wait_loadcnt 0x0
	s_delay_alu instid0(VALU_DEP_2) | instskip(NEXT) | instid1(VALU_DEP_2)
	v_add_f64_e64 v[8:9], v[66:67], -v[4:5]
	v_add_f64_e64 v[10:11], v[68:69], -v[10:11]
	scratch_store_b128 off, v[8:11], off offset:384
	s_wait_xcnt 0x0
	v_cmpx_lt_u32_e32 23, v1
	s_cbranch_execz .LBB89_123
; %bb.122:
	scratch_load_b128 v[8:11], off, s21
	v_dual_mov_b32 v3, v2 :: v_dual_mov_b32 v4, v2
	v_mov_b32_e32 v5, v2
	scratch_store_b128 off, v[2:5], off offset:368
	s_wait_loadcnt 0x0
	ds_store_b128 v6, v[8:11]
.LBB89_123:
	s_wait_xcnt 0x0
	s_or_b32 exec_lo, exec_lo, s2
	s_wait_storecnt_dscnt 0x0
	s_barrier_signal -1
	s_barrier_wait -1
	s_clause 0x2
	scratch_load_b128 v[8:11], off, off offset:384
	scratch_load_b128 v[66:69], off, off offset:400
	;; [unrolled: 1-line block ×3, first 2 shown]
	ds_load_b128 v[74:77], v2 offset:800
	ds_load_b128 v[2:5], v2 offset:816
	s_mov_b32 s2, exec_lo
	s_wait_loadcnt_dscnt 0x201
	v_mul_f64_e32 v[12:13], v[76:77], v[10:11]
	v_mul_f64_e32 v[10:11], v[74:75], v[10:11]
	s_wait_loadcnt_dscnt 0x100
	v_mul_f64_e32 v[78:79], v[2:3], v[68:69]
	v_mul_f64_e32 v[68:69], v[4:5], v[68:69]
	s_delay_alu instid0(VALU_DEP_4) | instskip(NEXT) | instid1(VALU_DEP_4)
	v_fma_f64 v[12:13], v[74:75], v[8:9], -v[12:13]
	v_fmac_f64_e32 v[10:11], v[76:77], v[8:9]
	s_delay_alu instid0(VALU_DEP_4) | instskip(NEXT) | instid1(VALU_DEP_4)
	v_fmac_f64_e32 v[78:79], v[4:5], v[66:67]
	v_fma_f64 v[2:3], v[2:3], v[66:67], -v[68:69]
	s_delay_alu instid0(VALU_DEP_4) | instskip(NEXT) | instid1(VALU_DEP_4)
	v_add_f64_e32 v[4:5], 0, v[12:13]
	v_add_f64_e32 v[8:9], 0, v[10:11]
	s_delay_alu instid0(VALU_DEP_2) | instskip(NEXT) | instid1(VALU_DEP_2)
	v_add_f64_e32 v[2:3], v[4:5], v[2:3]
	v_add_f64_e32 v[4:5], v[8:9], v[78:79]
	s_wait_loadcnt 0x0
	s_delay_alu instid0(VALU_DEP_2) | instskip(NEXT) | instid1(VALU_DEP_2)
	v_add_f64_e64 v[2:3], v[70:71], -v[2:3]
	v_add_f64_e64 v[4:5], v[72:73], -v[4:5]
	scratch_store_b128 off, v[2:5], off offset:368
	s_wait_xcnt 0x0
	v_cmpx_lt_u32_e32 22, v1
	s_cbranch_execz .LBB89_125
; %bb.124:
	scratch_load_b128 v[2:5], off, s34
	v_mov_b32_e32 v8, 0
	s_delay_alu instid0(VALU_DEP_1)
	v_dual_mov_b32 v9, v8 :: v_dual_mov_b32 v10, v8
	v_mov_b32_e32 v11, v8
	scratch_store_b128 off, v[8:11], off offset:352
	s_wait_loadcnt 0x0
	ds_store_b128 v6, v[2:5]
.LBB89_125:
	s_wait_xcnt 0x0
	s_or_b32 exec_lo, exec_lo, s2
	s_wait_storecnt_dscnt 0x0
	s_barrier_signal -1
	s_barrier_wait -1
	s_clause 0x3
	scratch_load_b128 v[8:11], off, off offset:368
	scratch_load_b128 v[66:69], off, off offset:384
	;; [unrolled: 1-line block ×4, first 2 shown]
	v_mov_b32_e32 v2, 0
	ds_load_b128 v[78:81], v2 offset:784
	ds_load_b128 v[82:85], v2 offset:800
	s_mov_b32 s2, exec_lo
	s_wait_loadcnt_dscnt 0x301
	v_mul_f64_e32 v[4:5], v[80:81], v[10:11]
	v_mul_f64_e32 v[12:13], v[78:79], v[10:11]
	s_wait_loadcnt_dscnt 0x200
	v_mul_f64_e32 v[86:87], v[82:83], v[68:69]
	v_mul_f64_e32 v[68:69], v[84:85], v[68:69]
	s_delay_alu instid0(VALU_DEP_4) | instskip(NEXT) | instid1(VALU_DEP_4)
	v_fma_f64 v[4:5], v[78:79], v[8:9], -v[4:5]
	v_fmac_f64_e32 v[12:13], v[80:81], v[8:9]
	ds_load_b128 v[8:11], v2 offset:816
	v_fmac_f64_e32 v[86:87], v[84:85], v[66:67]
	v_fma_f64 v[66:67], v[82:83], v[66:67], -v[68:69]
	s_wait_loadcnt_dscnt 0x100
	v_mul_f64_e32 v[78:79], v[8:9], v[72:73]
	v_mul_f64_e32 v[72:73], v[10:11], v[72:73]
	v_add_f64_e32 v[4:5], 0, v[4:5]
	v_add_f64_e32 v[12:13], 0, v[12:13]
	s_delay_alu instid0(VALU_DEP_4) | instskip(NEXT) | instid1(VALU_DEP_4)
	v_fmac_f64_e32 v[78:79], v[10:11], v[70:71]
	v_fma_f64 v[8:9], v[8:9], v[70:71], -v[72:73]
	s_delay_alu instid0(VALU_DEP_4) | instskip(NEXT) | instid1(VALU_DEP_4)
	v_add_f64_e32 v[4:5], v[4:5], v[66:67]
	v_add_f64_e32 v[10:11], v[12:13], v[86:87]
	s_delay_alu instid0(VALU_DEP_2) | instskip(NEXT) | instid1(VALU_DEP_2)
	v_add_f64_e32 v[4:5], v[4:5], v[8:9]
	v_add_f64_e32 v[10:11], v[10:11], v[78:79]
	s_wait_loadcnt 0x0
	s_delay_alu instid0(VALU_DEP_2) | instskip(NEXT) | instid1(VALU_DEP_2)
	v_add_f64_e64 v[8:9], v[74:75], -v[4:5]
	v_add_f64_e64 v[10:11], v[76:77], -v[10:11]
	scratch_store_b128 off, v[8:11], off offset:352
	s_wait_xcnt 0x0
	v_cmpx_lt_u32_e32 21, v1
	s_cbranch_execz .LBB89_127
; %bb.126:
	scratch_load_b128 v[8:11], off, s20
	v_dual_mov_b32 v3, v2 :: v_dual_mov_b32 v4, v2
	v_mov_b32_e32 v5, v2
	scratch_store_b128 off, v[2:5], off offset:336
	s_wait_loadcnt 0x0
	ds_store_b128 v6, v[8:11]
.LBB89_127:
	s_wait_xcnt 0x0
	s_or_b32 exec_lo, exec_lo, s2
	s_wait_storecnt_dscnt 0x0
	s_barrier_signal -1
	s_barrier_wait -1
	s_clause 0x4
	scratch_load_b128 v[8:11], off, off offset:352
	scratch_load_b128 v[66:69], off, off offset:368
	;; [unrolled: 1-line block ×5, first 2 shown]
	ds_load_b128 v[82:85], v2 offset:768
	ds_load_b128 v[86:89], v2 offset:784
	s_mov_b32 s2, exec_lo
	s_wait_loadcnt_dscnt 0x401
	v_mul_f64_e32 v[4:5], v[84:85], v[10:11]
	v_mul_f64_e32 v[12:13], v[82:83], v[10:11]
	s_wait_loadcnt_dscnt 0x300
	v_mul_f64_e32 v[90:91], v[86:87], v[68:69]
	v_mul_f64_e32 v[68:69], v[88:89], v[68:69]
	s_delay_alu instid0(VALU_DEP_4) | instskip(NEXT) | instid1(VALU_DEP_4)
	v_fma_f64 v[82:83], v[82:83], v[8:9], -v[4:5]
	v_fmac_f64_e32 v[12:13], v[84:85], v[8:9]
	ds_load_b128 v[8:11], v2 offset:800
	ds_load_b128 v[2:5], v2 offset:816
	v_fmac_f64_e32 v[90:91], v[88:89], v[66:67]
	v_fma_f64 v[66:67], v[86:87], v[66:67], -v[68:69]
	s_wait_loadcnt_dscnt 0x201
	v_mul_f64_e32 v[84:85], v[8:9], v[72:73]
	v_mul_f64_e32 v[72:73], v[10:11], v[72:73]
	v_add_f64_e32 v[68:69], 0, v[82:83]
	v_add_f64_e32 v[12:13], 0, v[12:13]
	s_wait_loadcnt_dscnt 0x100
	v_mul_f64_e32 v[82:83], v[2:3], v[76:77]
	v_mul_f64_e32 v[76:77], v[4:5], v[76:77]
	v_fmac_f64_e32 v[84:85], v[10:11], v[70:71]
	v_fma_f64 v[8:9], v[8:9], v[70:71], -v[72:73]
	v_add_f64_e32 v[10:11], v[68:69], v[66:67]
	v_add_f64_e32 v[12:13], v[12:13], v[90:91]
	v_fmac_f64_e32 v[82:83], v[4:5], v[74:75]
	v_fma_f64 v[2:3], v[2:3], v[74:75], -v[76:77]
	s_delay_alu instid0(VALU_DEP_4) | instskip(NEXT) | instid1(VALU_DEP_4)
	v_add_f64_e32 v[4:5], v[10:11], v[8:9]
	v_add_f64_e32 v[8:9], v[12:13], v[84:85]
	s_delay_alu instid0(VALU_DEP_2) | instskip(NEXT) | instid1(VALU_DEP_2)
	v_add_f64_e32 v[2:3], v[4:5], v[2:3]
	v_add_f64_e32 v[4:5], v[8:9], v[82:83]
	s_wait_loadcnt 0x0
	s_delay_alu instid0(VALU_DEP_2) | instskip(NEXT) | instid1(VALU_DEP_2)
	v_add_f64_e64 v[2:3], v[78:79], -v[2:3]
	v_add_f64_e64 v[4:5], v[80:81], -v[4:5]
	scratch_store_b128 off, v[2:5], off offset:336
	s_wait_xcnt 0x0
	v_cmpx_lt_u32_e32 20, v1
	s_cbranch_execz .LBB89_129
; %bb.128:
	scratch_load_b128 v[2:5], off, s33
	v_mov_b32_e32 v8, 0
	s_delay_alu instid0(VALU_DEP_1)
	v_dual_mov_b32 v9, v8 :: v_dual_mov_b32 v10, v8
	v_mov_b32_e32 v11, v8
	scratch_store_b128 off, v[8:11], off offset:320
	s_wait_loadcnt 0x0
	ds_store_b128 v6, v[2:5]
.LBB89_129:
	s_wait_xcnt 0x0
	s_or_b32 exec_lo, exec_lo, s2
	s_wait_storecnt_dscnt 0x0
	s_barrier_signal -1
	s_barrier_wait -1
	s_clause 0x5
	scratch_load_b128 v[8:11], off, off offset:336
	scratch_load_b128 v[66:69], off, off offset:352
	scratch_load_b128 v[70:73], off, off offset:368
	scratch_load_b128 v[74:77], off, off offset:384
	scratch_load_b128 v[78:81], off, off offset:400
	scratch_load_b128 v[82:85], off, off offset:320
	v_mov_b32_e32 v2, 0
	ds_load_b128 v[86:89], v2 offset:752
	ds_load_b128 v[90:93], v2 offset:768
	s_mov_b32 s2, exec_lo
	s_wait_loadcnt_dscnt 0x501
	v_mul_f64_e32 v[4:5], v[88:89], v[10:11]
	v_mul_f64_e32 v[12:13], v[86:87], v[10:11]
	s_wait_loadcnt_dscnt 0x400
	v_mul_f64_e32 v[94:95], v[90:91], v[68:69]
	v_mul_f64_e32 v[68:69], v[92:93], v[68:69]
	s_delay_alu instid0(VALU_DEP_4) | instskip(NEXT) | instid1(VALU_DEP_4)
	v_fma_f64 v[4:5], v[86:87], v[8:9], -v[4:5]
	v_fmac_f64_e32 v[12:13], v[88:89], v[8:9]
	ds_load_b128 v[8:11], v2 offset:784
	ds_load_b128 v[86:89], v2 offset:800
	v_fmac_f64_e32 v[94:95], v[92:93], v[66:67]
	v_fma_f64 v[66:67], v[90:91], v[66:67], -v[68:69]
	s_wait_loadcnt_dscnt 0x301
	v_mul_f64_e32 v[96:97], v[8:9], v[72:73]
	v_mul_f64_e32 v[72:73], v[10:11], v[72:73]
	s_wait_loadcnt_dscnt 0x200
	v_mul_f64_e32 v[68:69], v[86:87], v[76:77]
	v_mul_f64_e32 v[76:77], v[88:89], v[76:77]
	v_add_f64_e32 v[4:5], 0, v[4:5]
	v_add_f64_e32 v[12:13], 0, v[12:13]
	v_fmac_f64_e32 v[96:97], v[10:11], v[70:71]
	v_fma_f64 v[70:71], v[8:9], v[70:71], -v[72:73]
	ds_load_b128 v[8:11], v2 offset:816
	v_fmac_f64_e32 v[68:69], v[88:89], v[74:75]
	v_fma_f64 v[74:75], v[86:87], v[74:75], -v[76:77]
	v_add_f64_e32 v[4:5], v[4:5], v[66:67]
	v_add_f64_e32 v[12:13], v[12:13], v[94:95]
	s_wait_loadcnt_dscnt 0x100
	v_mul_f64_e32 v[66:67], v[8:9], v[80:81]
	v_mul_f64_e32 v[72:73], v[10:11], v[80:81]
	s_delay_alu instid0(VALU_DEP_4) | instskip(NEXT) | instid1(VALU_DEP_4)
	v_add_f64_e32 v[4:5], v[4:5], v[70:71]
	v_add_f64_e32 v[12:13], v[12:13], v[96:97]
	s_delay_alu instid0(VALU_DEP_4) | instskip(NEXT) | instid1(VALU_DEP_4)
	v_fmac_f64_e32 v[66:67], v[10:11], v[78:79]
	v_fma_f64 v[8:9], v[8:9], v[78:79], -v[72:73]
	s_delay_alu instid0(VALU_DEP_4) | instskip(NEXT) | instid1(VALU_DEP_4)
	v_add_f64_e32 v[4:5], v[4:5], v[74:75]
	v_add_f64_e32 v[10:11], v[12:13], v[68:69]
	s_delay_alu instid0(VALU_DEP_2) | instskip(NEXT) | instid1(VALU_DEP_2)
	v_add_f64_e32 v[4:5], v[4:5], v[8:9]
	v_add_f64_e32 v[10:11], v[10:11], v[66:67]
	s_wait_loadcnt 0x0
	s_delay_alu instid0(VALU_DEP_2) | instskip(NEXT) | instid1(VALU_DEP_2)
	v_add_f64_e64 v[8:9], v[82:83], -v[4:5]
	v_add_f64_e64 v[10:11], v[84:85], -v[10:11]
	scratch_store_b128 off, v[8:11], off offset:320
	s_wait_xcnt 0x0
	v_cmpx_lt_u32_e32 19, v1
	s_cbranch_execz .LBB89_131
; %bb.130:
	scratch_load_b128 v[8:11], off, s19
	v_dual_mov_b32 v3, v2 :: v_dual_mov_b32 v4, v2
	v_mov_b32_e32 v5, v2
	scratch_store_b128 off, v[2:5], off offset:304
	s_wait_loadcnt 0x0
	ds_store_b128 v6, v[8:11]
.LBB89_131:
	s_wait_xcnt 0x0
	s_or_b32 exec_lo, exec_lo, s2
	s_wait_storecnt_dscnt 0x0
	s_barrier_signal -1
	s_barrier_wait -1
	s_clause 0x6
	scratch_load_b128 v[8:11], off, off offset:320
	scratch_load_b128 v[66:69], off, off offset:336
	;; [unrolled: 1-line block ×7, first 2 shown]
	ds_load_b128 v[90:93], v2 offset:736
	ds_load_b128 v[94:97], v2 offset:752
	s_mov_b32 s2, exec_lo
	s_wait_loadcnt_dscnt 0x601
	v_mul_f64_e32 v[4:5], v[92:93], v[10:11]
	v_mul_f64_e32 v[12:13], v[90:91], v[10:11]
	s_wait_loadcnt_dscnt 0x500
	v_mul_f64_e32 v[98:99], v[94:95], v[68:69]
	v_mul_f64_e32 v[68:69], v[96:97], v[68:69]
	s_delay_alu instid0(VALU_DEP_4) | instskip(NEXT) | instid1(VALU_DEP_4)
	v_fma_f64 v[4:5], v[90:91], v[8:9], -v[4:5]
	v_fmac_f64_e32 v[12:13], v[92:93], v[8:9]
	ds_load_b128 v[8:11], v2 offset:768
	ds_load_b128 v[90:93], v2 offset:784
	v_fmac_f64_e32 v[98:99], v[96:97], v[66:67]
	v_fma_f64 v[66:67], v[94:95], v[66:67], -v[68:69]
	s_wait_loadcnt_dscnt 0x401
	v_mul_f64_e32 v[100:101], v[8:9], v[72:73]
	v_mul_f64_e32 v[72:73], v[10:11], v[72:73]
	s_wait_loadcnt_dscnt 0x300
	v_mul_f64_e32 v[68:69], v[90:91], v[76:77]
	v_mul_f64_e32 v[76:77], v[92:93], v[76:77]
	v_add_f64_e32 v[4:5], 0, v[4:5]
	v_add_f64_e32 v[12:13], 0, v[12:13]
	v_fmac_f64_e32 v[100:101], v[10:11], v[70:71]
	v_fma_f64 v[70:71], v[8:9], v[70:71], -v[72:73]
	v_fmac_f64_e32 v[68:69], v[92:93], v[74:75]
	v_fma_f64 v[74:75], v[90:91], v[74:75], -v[76:77]
	v_add_f64_e32 v[66:67], v[4:5], v[66:67]
	v_add_f64_e32 v[12:13], v[12:13], v[98:99]
	ds_load_b128 v[8:11], v2 offset:800
	ds_load_b128 v[2:5], v2 offset:816
	s_wait_loadcnt_dscnt 0x201
	v_mul_f64_e32 v[72:73], v[8:9], v[80:81]
	v_mul_f64_e32 v[80:81], v[10:11], v[80:81]
	s_wait_loadcnt_dscnt 0x100
	v_mul_f64_e32 v[76:77], v[4:5], v[84:85]
	v_add_f64_e32 v[66:67], v[66:67], v[70:71]
	v_add_f64_e32 v[12:13], v[12:13], v[100:101]
	v_mul_f64_e32 v[70:71], v[2:3], v[84:85]
	v_fmac_f64_e32 v[72:73], v[10:11], v[78:79]
	v_fma_f64 v[8:9], v[8:9], v[78:79], -v[80:81]
	v_fma_f64 v[2:3], v[2:3], v[82:83], -v[76:77]
	v_add_f64_e32 v[10:11], v[66:67], v[74:75]
	v_add_f64_e32 v[12:13], v[12:13], v[68:69]
	v_fmac_f64_e32 v[70:71], v[4:5], v[82:83]
	s_delay_alu instid0(VALU_DEP_3) | instskip(NEXT) | instid1(VALU_DEP_3)
	v_add_f64_e32 v[4:5], v[10:11], v[8:9]
	v_add_f64_e32 v[8:9], v[12:13], v[72:73]
	s_delay_alu instid0(VALU_DEP_2) | instskip(NEXT) | instid1(VALU_DEP_2)
	v_add_f64_e32 v[2:3], v[4:5], v[2:3]
	v_add_f64_e32 v[4:5], v[8:9], v[70:71]
	s_wait_loadcnt 0x0
	s_delay_alu instid0(VALU_DEP_2) | instskip(NEXT) | instid1(VALU_DEP_2)
	v_add_f64_e64 v[2:3], v[86:87], -v[2:3]
	v_add_f64_e64 v[4:5], v[88:89], -v[4:5]
	scratch_store_b128 off, v[2:5], off offset:304
	s_wait_xcnt 0x0
	v_cmpx_lt_u32_e32 18, v1
	s_cbranch_execz .LBB89_133
; %bb.132:
	scratch_load_b128 v[2:5], off, s31
	v_mov_b32_e32 v8, 0
	s_delay_alu instid0(VALU_DEP_1)
	v_dual_mov_b32 v9, v8 :: v_dual_mov_b32 v10, v8
	v_mov_b32_e32 v11, v8
	scratch_store_b128 off, v[8:11], off offset:288
	s_wait_loadcnt 0x0
	ds_store_b128 v6, v[2:5]
.LBB89_133:
	s_wait_xcnt 0x0
	s_or_b32 exec_lo, exec_lo, s2
	s_wait_storecnt_dscnt 0x0
	s_barrier_signal -1
	s_barrier_wait -1
	s_clause 0x7
	scratch_load_b128 v[8:11], off, off offset:304
	scratch_load_b128 v[66:69], off, off offset:320
	;; [unrolled: 1-line block ×8, first 2 shown]
	v_mov_b32_e32 v2, 0
	ds_load_b128 v[94:97], v2 offset:720
	ds_load_b128 v[98:101], v2 offset:736
	s_mov_b32 s2, exec_lo
	s_wait_loadcnt_dscnt 0x701
	v_mul_f64_e32 v[4:5], v[96:97], v[10:11]
	v_mul_f64_e32 v[12:13], v[94:95], v[10:11]
	s_wait_loadcnt_dscnt 0x600
	v_mul_f64_e32 v[102:103], v[98:99], v[68:69]
	v_mul_f64_e32 v[68:69], v[100:101], v[68:69]
	s_delay_alu instid0(VALU_DEP_4) | instskip(NEXT) | instid1(VALU_DEP_4)
	v_fma_f64 v[4:5], v[94:95], v[8:9], -v[4:5]
	v_fmac_f64_e32 v[12:13], v[96:97], v[8:9]
	ds_load_b128 v[8:11], v2 offset:752
	ds_load_b128 v[94:97], v2 offset:768
	v_fmac_f64_e32 v[102:103], v[100:101], v[66:67]
	v_fma_f64 v[66:67], v[98:99], v[66:67], -v[68:69]
	s_wait_loadcnt_dscnt 0x501
	v_mul_f64_e32 v[104:105], v[8:9], v[72:73]
	v_mul_f64_e32 v[72:73], v[10:11], v[72:73]
	s_wait_loadcnt_dscnt 0x400
	v_mul_f64_e32 v[98:99], v[94:95], v[76:77]
	v_mul_f64_e32 v[76:77], v[96:97], v[76:77]
	v_add_f64_e32 v[4:5], 0, v[4:5]
	v_add_f64_e32 v[12:13], 0, v[12:13]
	v_fmac_f64_e32 v[104:105], v[10:11], v[70:71]
	v_fma_f64 v[70:71], v[8:9], v[70:71], -v[72:73]
	v_fmac_f64_e32 v[98:99], v[96:97], v[74:75]
	v_fma_f64 v[74:75], v[94:95], v[74:75], -v[76:77]
	v_add_f64_e32 v[4:5], v[4:5], v[66:67]
	v_add_f64_e32 v[12:13], v[12:13], v[102:103]
	ds_load_b128 v[8:11], v2 offset:784
	ds_load_b128 v[66:69], v2 offset:800
	s_wait_loadcnt_dscnt 0x301
	v_mul_f64_e32 v[72:73], v[8:9], v[80:81]
	v_mul_f64_e32 v[80:81], v[10:11], v[80:81]
	s_wait_loadcnt_dscnt 0x200
	v_mul_f64_e32 v[76:77], v[68:69], v[84:85]
	v_add_f64_e32 v[4:5], v[4:5], v[70:71]
	v_add_f64_e32 v[12:13], v[12:13], v[104:105]
	v_mul_f64_e32 v[70:71], v[66:67], v[84:85]
	v_fmac_f64_e32 v[72:73], v[10:11], v[78:79]
	v_fma_f64 v[78:79], v[8:9], v[78:79], -v[80:81]
	ds_load_b128 v[8:11], v2 offset:816
	v_fma_f64 v[66:67], v[66:67], v[82:83], -v[76:77]
	v_add_f64_e32 v[4:5], v[4:5], v[74:75]
	v_add_f64_e32 v[12:13], v[12:13], v[98:99]
	v_fmac_f64_e32 v[70:71], v[68:69], v[82:83]
	s_wait_loadcnt_dscnt 0x100
	v_mul_f64_e32 v[74:75], v[8:9], v[88:89]
	v_mul_f64_e32 v[80:81], v[10:11], v[88:89]
	v_add_f64_e32 v[4:5], v[4:5], v[78:79]
	v_add_f64_e32 v[12:13], v[12:13], v[72:73]
	s_delay_alu instid0(VALU_DEP_4) | instskip(NEXT) | instid1(VALU_DEP_4)
	v_fmac_f64_e32 v[74:75], v[10:11], v[86:87]
	v_fma_f64 v[8:9], v[8:9], v[86:87], -v[80:81]
	s_delay_alu instid0(VALU_DEP_4) | instskip(NEXT) | instid1(VALU_DEP_4)
	v_add_f64_e32 v[4:5], v[4:5], v[66:67]
	v_add_f64_e32 v[10:11], v[12:13], v[70:71]
	s_delay_alu instid0(VALU_DEP_2) | instskip(NEXT) | instid1(VALU_DEP_2)
	v_add_f64_e32 v[4:5], v[4:5], v[8:9]
	v_add_f64_e32 v[10:11], v[10:11], v[74:75]
	s_wait_loadcnt 0x0
	s_delay_alu instid0(VALU_DEP_2) | instskip(NEXT) | instid1(VALU_DEP_2)
	v_add_f64_e64 v[8:9], v[90:91], -v[4:5]
	v_add_f64_e64 v[10:11], v[92:93], -v[10:11]
	scratch_store_b128 off, v[8:11], off offset:288
	s_wait_xcnt 0x0
	v_cmpx_lt_u32_e32 17, v1
	s_cbranch_execz .LBB89_135
; %bb.134:
	scratch_load_b128 v[8:11], off, s18
	v_dual_mov_b32 v3, v2 :: v_dual_mov_b32 v4, v2
	v_mov_b32_e32 v5, v2
	scratch_store_b128 off, v[2:5], off offset:272
	s_wait_loadcnt 0x0
	ds_store_b128 v6, v[8:11]
.LBB89_135:
	s_wait_xcnt 0x0
	s_or_b32 exec_lo, exec_lo, s2
	s_wait_storecnt_dscnt 0x0
	s_barrier_signal -1
	s_barrier_wait -1
	s_clause 0x7
	scratch_load_b128 v[8:11], off, off offset:288
	scratch_load_b128 v[66:69], off, off offset:304
	;; [unrolled: 1-line block ×8, first 2 shown]
	ds_load_b128 v[94:97], v2 offset:704
	ds_load_b128 v[98:101], v2 offset:720
	scratch_load_b128 v[102:105], off, off offset:272
	s_mov_b32 s2, exec_lo
	s_wait_loadcnt_dscnt 0x801
	v_mul_f64_e32 v[4:5], v[96:97], v[10:11]
	v_mul_f64_e32 v[12:13], v[94:95], v[10:11]
	s_wait_loadcnt_dscnt 0x700
	v_mul_f64_e32 v[106:107], v[98:99], v[68:69]
	v_mul_f64_e32 v[68:69], v[100:101], v[68:69]
	s_delay_alu instid0(VALU_DEP_4) | instskip(NEXT) | instid1(VALU_DEP_4)
	v_fma_f64 v[4:5], v[94:95], v[8:9], -v[4:5]
	v_fmac_f64_e32 v[12:13], v[96:97], v[8:9]
	ds_load_b128 v[8:11], v2 offset:736
	ds_load_b128 v[94:97], v2 offset:752
	v_fmac_f64_e32 v[106:107], v[100:101], v[66:67]
	v_fma_f64 v[66:67], v[98:99], v[66:67], -v[68:69]
	s_wait_loadcnt_dscnt 0x601
	v_mul_f64_e32 v[108:109], v[8:9], v[72:73]
	v_mul_f64_e32 v[72:73], v[10:11], v[72:73]
	s_wait_loadcnt_dscnt 0x500
	v_mul_f64_e32 v[98:99], v[94:95], v[76:77]
	v_mul_f64_e32 v[76:77], v[96:97], v[76:77]
	v_add_f64_e32 v[4:5], 0, v[4:5]
	v_add_f64_e32 v[12:13], 0, v[12:13]
	v_fmac_f64_e32 v[108:109], v[10:11], v[70:71]
	v_fma_f64 v[70:71], v[8:9], v[70:71], -v[72:73]
	v_fmac_f64_e32 v[98:99], v[96:97], v[74:75]
	v_fma_f64 v[74:75], v[94:95], v[74:75], -v[76:77]
	v_add_f64_e32 v[4:5], v[4:5], v[66:67]
	v_add_f64_e32 v[12:13], v[12:13], v[106:107]
	ds_load_b128 v[8:11], v2 offset:768
	ds_load_b128 v[66:69], v2 offset:784
	s_wait_loadcnt_dscnt 0x401
	v_mul_f64_e32 v[72:73], v[8:9], v[80:81]
	v_mul_f64_e32 v[80:81], v[10:11], v[80:81]
	s_wait_loadcnt_dscnt 0x300
	v_mul_f64_e32 v[76:77], v[68:69], v[84:85]
	v_add_f64_e32 v[4:5], v[4:5], v[70:71]
	v_add_f64_e32 v[12:13], v[12:13], v[108:109]
	v_mul_f64_e32 v[70:71], v[66:67], v[84:85]
	v_fmac_f64_e32 v[72:73], v[10:11], v[78:79]
	v_fma_f64 v[78:79], v[8:9], v[78:79], -v[80:81]
	v_fma_f64 v[66:67], v[66:67], v[82:83], -v[76:77]
	v_add_f64_e32 v[74:75], v[4:5], v[74:75]
	v_add_f64_e32 v[12:13], v[12:13], v[98:99]
	ds_load_b128 v[8:11], v2 offset:800
	ds_load_b128 v[2:5], v2 offset:816
	v_fmac_f64_e32 v[70:71], v[68:69], v[82:83]
	s_wait_loadcnt_dscnt 0x201
	v_mul_f64_e32 v[80:81], v[8:9], v[88:89]
	v_mul_f64_e32 v[84:85], v[10:11], v[88:89]
	v_add_f64_e32 v[68:69], v[74:75], v[78:79]
	v_add_f64_e32 v[12:13], v[12:13], v[72:73]
	s_wait_loadcnt_dscnt 0x100
	v_mul_f64_e32 v[72:73], v[2:3], v[92:93]
	v_mul_f64_e32 v[74:75], v[4:5], v[92:93]
	v_fmac_f64_e32 v[80:81], v[10:11], v[86:87]
	v_fma_f64 v[8:9], v[8:9], v[86:87], -v[84:85]
	v_add_f64_e32 v[10:11], v[68:69], v[66:67]
	v_add_f64_e32 v[12:13], v[12:13], v[70:71]
	v_fmac_f64_e32 v[72:73], v[4:5], v[90:91]
	v_fma_f64 v[2:3], v[2:3], v[90:91], -v[74:75]
	s_delay_alu instid0(VALU_DEP_4) | instskip(NEXT) | instid1(VALU_DEP_4)
	v_add_f64_e32 v[4:5], v[10:11], v[8:9]
	v_add_f64_e32 v[8:9], v[12:13], v[80:81]
	s_delay_alu instid0(VALU_DEP_2) | instskip(NEXT) | instid1(VALU_DEP_2)
	v_add_f64_e32 v[2:3], v[4:5], v[2:3]
	v_add_f64_e32 v[4:5], v[8:9], v[72:73]
	s_wait_loadcnt 0x0
	s_delay_alu instid0(VALU_DEP_2) | instskip(NEXT) | instid1(VALU_DEP_2)
	v_add_f64_e64 v[2:3], v[102:103], -v[2:3]
	v_add_f64_e64 v[4:5], v[104:105], -v[4:5]
	scratch_store_b128 off, v[2:5], off offset:272
	s_wait_xcnt 0x0
	v_cmpx_lt_u32_e32 16, v1
	s_cbranch_execz .LBB89_137
; %bb.136:
	scratch_load_b128 v[2:5], off, s30
	v_mov_b32_e32 v8, 0
	s_delay_alu instid0(VALU_DEP_1)
	v_dual_mov_b32 v9, v8 :: v_dual_mov_b32 v10, v8
	v_mov_b32_e32 v11, v8
	scratch_store_b128 off, v[8:11], off offset:256
	s_wait_loadcnt 0x0
	ds_store_b128 v6, v[2:5]
.LBB89_137:
	s_wait_xcnt 0x0
	s_or_b32 exec_lo, exec_lo, s2
	s_wait_storecnt_dscnt 0x0
	s_barrier_signal -1
	s_barrier_wait -1
	s_clause 0x8
	scratch_load_b128 v[8:11], off, off offset:272
	scratch_load_b128 v[66:69], off, off offset:288
	;; [unrolled: 1-line block ×9, first 2 shown]
	v_mov_b32_e32 v2, 0
	scratch_load_b128 v[102:105], off, off offset:256
	s_mov_b32 s2, exec_lo
	ds_load_b128 v[98:101], v2 offset:688
	ds_load_b128 v[106:109], v2 offset:704
	s_wait_loadcnt_dscnt 0x901
	v_mul_f64_e32 v[4:5], v[100:101], v[10:11]
	v_mul_f64_e32 v[12:13], v[98:99], v[10:11]
	s_wait_loadcnt_dscnt 0x800
	v_mul_f64_e32 v[110:111], v[106:107], v[68:69]
	v_mul_f64_e32 v[68:69], v[108:109], v[68:69]
	s_delay_alu instid0(VALU_DEP_4) | instskip(NEXT) | instid1(VALU_DEP_4)
	v_fma_f64 v[4:5], v[98:99], v[8:9], -v[4:5]
	v_fmac_f64_e32 v[12:13], v[100:101], v[8:9]
	ds_load_b128 v[8:11], v2 offset:720
	ds_load_b128 v[98:101], v2 offset:736
	v_fmac_f64_e32 v[110:111], v[108:109], v[66:67]
	v_fma_f64 v[66:67], v[106:107], v[66:67], -v[68:69]
	s_wait_loadcnt_dscnt 0x701
	v_mul_f64_e32 v[112:113], v[8:9], v[72:73]
	v_mul_f64_e32 v[72:73], v[10:11], v[72:73]
	s_wait_loadcnt_dscnt 0x600
	v_mul_f64_e32 v[106:107], v[98:99], v[76:77]
	v_mul_f64_e32 v[76:77], v[100:101], v[76:77]
	v_add_f64_e32 v[4:5], 0, v[4:5]
	v_add_f64_e32 v[12:13], 0, v[12:13]
	v_fmac_f64_e32 v[112:113], v[10:11], v[70:71]
	v_fma_f64 v[70:71], v[8:9], v[70:71], -v[72:73]
	v_fmac_f64_e32 v[106:107], v[100:101], v[74:75]
	v_fma_f64 v[74:75], v[98:99], v[74:75], -v[76:77]
	v_add_f64_e32 v[4:5], v[4:5], v[66:67]
	v_add_f64_e32 v[12:13], v[12:13], v[110:111]
	ds_load_b128 v[8:11], v2 offset:752
	ds_load_b128 v[66:69], v2 offset:768
	s_wait_loadcnt_dscnt 0x501
	v_mul_f64_e32 v[108:109], v[8:9], v[80:81]
	v_mul_f64_e32 v[72:73], v[10:11], v[80:81]
	s_wait_loadcnt_dscnt 0x400
	v_mul_f64_e32 v[76:77], v[66:67], v[84:85]
	v_mul_f64_e32 v[80:81], v[68:69], v[84:85]
	v_add_f64_e32 v[4:5], v[4:5], v[70:71]
	v_add_f64_e32 v[12:13], v[12:13], v[112:113]
	v_fmac_f64_e32 v[108:109], v[10:11], v[78:79]
	v_fma_f64 v[78:79], v[8:9], v[78:79], -v[72:73]
	ds_load_b128 v[8:11], v2 offset:784
	ds_load_b128 v[70:73], v2 offset:800
	v_fmac_f64_e32 v[76:77], v[68:69], v[82:83]
	v_fma_f64 v[66:67], v[66:67], v[82:83], -v[80:81]
	v_add_f64_e32 v[4:5], v[4:5], v[74:75]
	v_add_f64_e32 v[12:13], v[12:13], v[106:107]
	s_wait_loadcnt_dscnt 0x301
	v_mul_f64_e32 v[74:75], v[8:9], v[88:89]
	v_mul_f64_e32 v[84:85], v[10:11], v[88:89]
	s_wait_loadcnt_dscnt 0x200
	v_mul_f64_e32 v[68:69], v[70:71], v[92:93]
	v_add_f64_e32 v[4:5], v[4:5], v[78:79]
	v_add_f64_e32 v[12:13], v[12:13], v[108:109]
	v_mul_f64_e32 v[78:79], v[72:73], v[92:93]
	v_fmac_f64_e32 v[74:75], v[10:11], v[86:87]
	v_fma_f64 v[80:81], v[8:9], v[86:87], -v[84:85]
	ds_load_b128 v[8:11], v2 offset:816
	v_fmac_f64_e32 v[68:69], v[72:73], v[90:91]
	v_add_f64_e32 v[4:5], v[4:5], v[66:67]
	v_add_f64_e32 v[12:13], v[12:13], v[76:77]
	s_wait_loadcnt_dscnt 0x100
	v_mul_f64_e32 v[66:67], v[8:9], v[96:97]
	v_mul_f64_e32 v[76:77], v[10:11], v[96:97]
	v_fma_f64 v[70:71], v[70:71], v[90:91], -v[78:79]
	v_add_f64_e32 v[4:5], v[4:5], v[80:81]
	v_add_f64_e32 v[12:13], v[12:13], v[74:75]
	v_fmac_f64_e32 v[66:67], v[10:11], v[94:95]
	v_fma_f64 v[8:9], v[8:9], v[94:95], -v[76:77]
	s_delay_alu instid0(VALU_DEP_4) | instskip(NEXT) | instid1(VALU_DEP_4)
	v_add_f64_e32 v[4:5], v[4:5], v[70:71]
	v_add_f64_e32 v[10:11], v[12:13], v[68:69]
	s_delay_alu instid0(VALU_DEP_2) | instskip(NEXT) | instid1(VALU_DEP_2)
	v_add_f64_e32 v[4:5], v[4:5], v[8:9]
	v_add_f64_e32 v[10:11], v[10:11], v[66:67]
	s_wait_loadcnt 0x0
	s_delay_alu instid0(VALU_DEP_2) | instskip(NEXT) | instid1(VALU_DEP_2)
	v_add_f64_e64 v[8:9], v[102:103], -v[4:5]
	v_add_f64_e64 v[10:11], v[104:105], -v[10:11]
	scratch_store_b128 off, v[8:11], off offset:256
	s_wait_xcnt 0x0
	v_cmpx_lt_u32_e32 15, v1
	s_cbranch_execz .LBB89_139
; %bb.138:
	scratch_load_b128 v[8:11], off, s17
	v_dual_mov_b32 v3, v2 :: v_dual_mov_b32 v4, v2
	v_mov_b32_e32 v5, v2
	scratch_store_b128 off, v[2:5], off offset:240
	s_wait_loadcnt 0x0
	ds_store_b128 v6, v[8:11]
.LBB89_139:
	s_wait_xcnt 0x0
	s_or_b32 exec_lo, exec_lo, s2
	s_wait_storecnt_dscnt 0x0
	s_barrier_signal -1
	s_barrier_wait -1
	s_clause 0x9
	scratch_load_b128 v[8:11], off, off offset:256
	scratch_load_b128 v[66:69], off, off offset:272
	;; [unrolled: 1-line block ×10, first 2 shown]
	ds_load_b128 v[102:105], v2 offset:672
	ds_load_b128 v[106:109], v2 offset:688
	scratch_load_b128 v[110:113], off, off offset:240
	s_mov_b32 s2, exec_lo
	s_wait_loadcnt_dscnt 0xa01
	v_mul_f64_e32 v[4:5], v[104:105], v[10:11]
	v_mul_f64_e32 v[12:13], v[102:103], v[10:11]
	s_wait_loadcnt_dscnt 0x900
	v_mul_f64_e32 v[114:115], v[106:107], v[68:69]
	v_mul_f64_e32 v[68:69], v[108:109], v[68:69]
	s_delay_alu instid0(VALU_DEP_4) | instskip(NEXT) | instid1(VALU_DEP_4)
	v_fma_f64 v[4:5], v[102:103], v[8:9], -v[4:5]
	v_fmac_f64_e32 v[12:13], v[104:105], v[8:9]
	ds_load_b128 v[8:11], v2 offset:704
	ds_load_b128 v[102:105], v2 offset:720
	v_fmac_f64_e32 v[114:115], v[108:109], v[66:67]
	v_fma_f64 v[66:67], v[106:107], v[66:67], -v[68:69]
	s_wait_loadcnt_dscnt 0x801
	v_mul_f64_e32 v[116:117], v[8:9], v[72:73]
	v_mul_f64_e32 v[72:73], v[10:11], v[72:73]
	s_wait_loadcnt_dscnt 0x700
	v_mul_f64_e32 v[106:107], v[102:103], v[76:77]
	v_mul_f64_e32 v[76:77], v[104:105], v[76:77]
	v_add_f64_e32 v[4:5], 0, v[4:5]
	v_add_f64_e32 v[12:13], 0, v[12:13]
	v_fmac_f64_e32 v[116:117], v[10:11], v[70:71]
	v_fma_f64 v[70:71], v[8:9], v[70:71], -v[72:73]
	v_fmac_f64_e32 v[106:107], v[104:105], v[74:75]
	v_fma_f64 v[74:75], v[102:103], v[74:75], -v[76:77]
	v_add_f64_e32 v[4:5], v[4:5], v[66:67]
	v_add_f64_e32 v[12:13], v[12:13], v[114:115]
	ds_load_b128 v[8:11], v2 offset:736
	ds_load_b128 v[66:69], v2 offset:752
	s_wait_loadcnt_dscnt 0x601
	v_mul_f64_e32 v[108:109], v[8:9], v[80:81]
	v_mul_f64_e32 v[72:73], v[10:11], v[80:81]
	s_wait_loadcnt_dscnt 0x500
	v_mul_f64_e32 v[76:77], v[66:67], v[84:85]
	v_mul_f64_e32 v[80:81], v[68:69], v[84:85]
	v_add_f64_e32 v[4:5], v[4:5], v[70:71]
	v_add_f64_e32 v[12:13], v[12:13], v[116:117]
	v_fmac_f64_e32 v[108:109], v[10:11], v[78:79]
	v_fma_f64 v[78:79], v[8:9], v[78:79], -v[72:73]
	ds_load_b128 v[8:11], v2 offset:768
	ds_load_b128 v[70:73], v2 offset:784
	v_fmac_f64_e32 v[76:77], v[68:69], v[82:83]
	v_fma_f64 v[66:67], v[66:67], v[82:83], -v[80:81]
	v_add_f64_e32 v[4:5], v[4:5], v[74:75]
	v_add_f64_e32 v[12:13], v[12:13], v[106:107]
	s_wait_loadcnt_dscnt 0x401
	v_mul_f64_e32 v[74:75], v[8:9], v[88:89]
	v_mul_f64_e32 v[84:85], v[10:11], v[88:89]
	s_wait_loadcnt_dscnt 0x300
	v_mul_f64_e32 v[68:69], v[70:71], v[92:93]
	v_add_f64_e32 v[4:5], v[4:5], v[78:79]
	v_add_f64_e32 v[12:13], v[12:13], v[108:109]
	v_mul_f64_e32 v[78:79], v[72:73], v[92:93]
	v_fmac_f64_e32 v[74:75], v[10:11], v[86:87]
	v_fma_f64 v[80:81], v[8:9], v[86:87], -v[84:85]
	v_fmac_f64_e32 v[68:69], v[72:73], v[90:91]
	v_add_f64_e32 v[66:67], v[4:5], v[66:67]
	v_add_f64_e32 v[12:13], v[12:13], v[76:77]
	ds_load_b128 v[8:11], v2 offset:800
	ds_load_b128 v[2:5], v2 offset:816
	v_fma_f64 v[70:71], v[70:71], v[90:91], -v[78:79]
	s_wait_loadcnt_dscnt 0x201
	v_mul_f64_e32 v[76:77], v[8:9], v[96:97]
	v_mul_f64_e32 v[82:83], v[10:11], v[96:97]
	s_wait_loadcnt_dscnt 0x100
	v_mul_f64_e32 v[72:73], v[2:3], v[100:101]
	v_add_f64_e32 v[66:67], v[66:67], v[80:81]
	v_add_f64_e32 v[12:13], v[12:13], v[74:75]
	v_mul_f64_e32 v[74:75], v[4:5], v[100:101]
	v_fmac_f64_e32 v[76:77], v[10:11], v[94:95]
	v_fma_f64 v[8:9], v[8:9], v[94:95], -v[82:83]
	v_fmac_f64_e32 v[72:73], v[4:5], v[98:99]
	v_add_f64_e32 v[10:11], v[66:67], v[70:71]
	v_add_f64_e32 v[12:13], v[12:13], v[68:69]
	v_fma_f64 v[2:3], v[2:3], v[98:99], -v[74:75]
	s_delay_alu instid0(VALU_DEP_3) | instskip(NEXT) | instid1(VALU_DEP_3)
	v_add_f64_e32 v[4:5], v[10:11], v[8:9]
	v_add_f64_e32 v[8:9], v[12:13], v[76:77]
	s_delay_alu instid0(VALU_DEP_2) | instskip(NEXT) | instid1(VALU_DEP_2)
	v_add_f64_e32 v[2:3], v[4:5], v[2:3]
	v_add_f64_e32 v[4:5], v[8:9], v[72:73]
	s_wait_loadcnt 0x0
	s_delay_alu instid0(VALU_DEP_2) | instskip(NEXT) | instid1(VALU_DEP_2)
	v_add_f64_e64 v[2:3], v[110:111], -v[2:3]
	v_add_f64_e64 v[4:5], v[112:113], -v[4:5]
	scratch_store_b128 off, v[2:5], off offset:240
	s_wait_xcnt 0x0
	v_cmpx_lt_u32_e32 14, v1
	s_cbranch_execz .LBB89_141
; %bb.140:
	scratch_load_b128 v[2:5], off, s29
	v_mov_b32_e32 v8, 0
	s_delay_alu instid0(VALU_DEP_1)
	v_dual_mov_b32 v9, v8 :: v_dual_mov_b32 v10, v8
	v_mov_b32_e32 v11, v8
	scratch_store_b128 off, v[8:11], off offset:224
	s_wait_loadcnt 0x0
	ds_store_b128 v6, v[2:5]
.LBB89_141:
	s_wait_xcnt 0x0
	s_or_b32 exec_lo, exec_lo, s2
	s_wait_storecnt_dscnt 0x0
	s_barrier_signal -1
	s_barrier_wait -1
	s_clause 0x9
	scratch_load_b128 v[8:11], off, off offset:240
	scratch_load_b128 v[66:69], off, off offset:256
	scratch_load_b128 v[70:73], off, off offset:272
	scratch_load_b128 v[74:77], off, off offset:288
	scratch_load_b128 v[78:81], off, off offset:304
	scratch_load_b128 v[82:85], off, off offset:320
	scratch_load_b128 v[86:89], off, off offset:336
	scratch_load_b128 v[90:93], off, off offset:352
	scratch_load_b128 v[94:97], off, off offset:368
	scratch_load_b128 v[98:101], off, off offset:384
	v_mov_b32_e32 v2, 0
	s_mov_b32 s2, exec_lo
	ds_load_b128 v[102:105], v2 offset:656
	s_clause 0x1
	scratch_load_b128 v[106:109], off, off offset:400
	scratch_load_b128 v[110:113], off, off offset:224
	s_wait_loadcnt_dscnt 0xb00
	v_mul_f64_e32 v[4:5], v[104:105], v[10:11]
	v_mul_f64_e32 v[12:13], v[102:103], v[10:11]
	ds_load_b128 v[114:117], v2 offset:672
	s_wait_loadcnt_dscnt 0xa00
	v_mul_f64_e32 v[118:119], v[114:115], v[68:69]
	v_mul_f64_e32 v[68:69], v[116:117], v[68:69]
	v_fma_f64 v[4:5], v[102:103], v[8:9], -v[4:5]
	v_fmac_f64_e32 v[12:13], v[104:105], v[8:9]
	ds_load_b128 v[8:11], v2 offset:688
	ds_load_b128 v[102:105], v2 offset:704
	s_wait_loadcnt_dscnt 0x901
	v_mul_f64_e32 v[120:121], v[8:9], v[72:73]
	v_mul_f64_e32 v[72:73], v[10:11], v[72:73]
	v_fmac_f64_e32 v[118:119], v[116:117], v[66:67]
	v_fma_f64 v[66:67], v[114:115], v[66:67], -v[68:69]
	s_wait_loadcnt_dscnt 0x800
	v_mul_f64_e32 v[114:115], v[102:103], v[76:77]
	v_mul_f64_e32 v[76:77], v[104:105], v[76:77]
	v_add_f64_e32 v[4:5], 0, v[4:5]
	v_add_f64_e32 v[12:13], 0, v[12:13]
	v_fmac_f64_e32 v[120:121], v[10:11], v[70:71]
	v_fma_f64 v[70:71], v[8:9], v[70:71], -v[72:73]
	v_fmac_f64_e32 v[114:115], v[104:105], v[74:75]
	v_fma_f64 v[74:75], v[102:103], v[74:75], -v[76:77]
	v_add_f64_e32 v[4:5], v[4:5], v[66:67]
	v_add_f64_e32 v[12:13], v[12:13], v[118:119]
	ds_load_b128 v[8:11], v2 offset:720
	ds_load_b128 v[66:69], v2 offset:736
	s_wait_loadcnt_dscnt 0x701
	v_mul_f64_e32 v[116:117], v[8:9], v[80:81]
	v_mul_f64_e32 v[72:73], v[10:11], v[80:81]
	s_wait_loadcnt_dscnt 0x600
	v_mul_f64_e32 v[76:77], v[66:67], v[84:85]
	v_mul_f64_e32 v[80:81], v[68:69], v[84:85]
	v_add_f64_e32 v[4:5], v[4:5], v[70:71]
	v_add_f64_e32 v[12:13], v[12:13], v[120:121]
	v_fmac_f64_e32 v[116:117], v[10:11], v[78:79]
	v_fma_f64 v[78:79], v[8:9], v[78:79], -v[72:73]
	ds_load_b128 v[8:11], v2 offset:752
	ds_load_b128 v[70:73], v2 offset:768
	v_fmac_f64_e32 v[76:77], v[68:69], v[82:83]
	v_fma_f64 v[66:67], v[66:67], v[82:83], -v[80:81]
	v_add_f64_e32 v[4:5], v[4:5], v[74:75]
	v_add_f64_e32 v[12:13], v[12:13], v[114:115]
	s_wait_loadcnt_dscnt 0x501
	v_mul_f64_e32 v[74:75], v[8:9], v[88:89]
	v_mul_f64_e32 v[84:85], v[10:11], v[88:89]
	s_wait_loadcnt_dscnt 0x400
	v_mul_f64_e32 v[80:81], v[72:73], v[92:93]
	v_add_f64_e32 v[4:5], v[4:5], v[78:79]
	v_add_f64_e32 v[12:13], v[12:13], v[116:117]
	v_mul_f64_e32 v[78:79], v[70:71], v[92:93]
	v_fmac_f64_e32 v[74:75], v[10:11], v[86:87]
	v_fma_f64 v[82:83], v[8:9], v[86:87], -v[84:85]
	v_fma_f64 v[70:71], v[70:71], v[90:91], -v[80:81]
	v_add_f64_e32 v[4:5], v[4:5], v[66:67]
	v_add_f64_e32 v[12:13], v[12:13], v[76:77]
	ds_load_b128 v[8:11], v2 offset:784
	ds_load_b128 v[66:69], v2 offset:800
	v_fmac_f64_e32 v[78:79], v[72:73], v[90:91]
	s_wait_loadcnt_dscnt 0x301
	v_mul_f64_e32 v[76:77], v[8:9], v[96:97]
	v_mul_f64_e32 v[84:85], v[10:11], v[96:97]
	s_wait_loadcnt_dscnt 0x200
	v_mul_f64_e32 v[72:73], v[66:67], v[100:101]
	v_add_f64_e32 v[4:5], v[4:5], v[82:83]
	v_add_f64_e32 v[12:13], v[12:13], v[74:75]
	v_mul_f64_e32 v[74:75], v[68:69], v[100:101]
	v_fmac_f64_e32 v[76:77], v[10:11], v[94:95]
	v_fma_f64 v[80:81], v[8:9], v[94:95], -v[84:85]
	ds_load_b128 v[8:11], v2 offset:816
	v_fmac_f64_e32 v[72:73], v[68:69], v[98:99]
	v_add_f64_e32 v[4:5], v[4:5], v[70:71]
	v_add_f64_e32 v[12:13], v[12:13], v[78:79]
	v_fma_f64 v[66:67], v[66:67], v[98:99], -v[74:75]
	s_wait_loadcnt_dscnt 0x100
	v_mul_f64_e32 v[70:71], v[8:9], v[108:109]
	v_mul_f64_e32 v[78:79], v[10:11], v[108:109]
	v_add_f64_e32 v[4:5], v[4:5], v[80:81]
	v_add_f64_e32 v[12:13], v[12:13], v[76:77]
	s_delay_alu instid0(VALU_DEP_4) | instskip(NEXT) | instid1(VALU_DEP_4)
	v_fmac_f64_e32 v[70:71], v[10:11], v[106:107]
	v_fma_f64 v[8:9], v[8:9], v[106:107], -v[78:79]
	s_delay_alu instid0(VALU_DEP_4) | instskip(NEXT) | instid1(VALU_DEP_4)
	v_add_f64_e32 v[4:5], v[4:5], v[66:67]
	v_add_f64_e32 v[10:11], v[12:13], v[72:73]
	s_delay_alu instid0(VALU_DEP_2) | instskip(NEXT) | instid1(VALU_DEP_2)
	v_add_f64_e32 v[4:5], v[4:5], v[8:9]
	v_add_f64_e32 v[10:11], v[10:11], v[70:71]
	s_wait_loadcnt 0x0
	s_delay_alu instid0(VALU_DEP_2) | instskip(NEXT) | instid1(VALU_DEP_2)
	v_add_f64_e64 v[8:9], v[110:111], -v[4:5]
	v_add_f64_e64 v[10:11], v[112:113], -v[10:11]
	scratch_store_b128 off, v[8:11], off offset:224
	s_wait_xcnt 0x0
	v_cmpx_lt_u32_e32 13, v1
	s_cbranch_execz .LBB89_143
; %bb.142:
	scratch_load_b128 v[8:11], off, s16
	v_dual_mov_b32 v3, v2 :: v_dual_mov_b32 v4, v2
	v_mov_b32_e32 v5, v2
	scratch_store_b128 off, v[2:5], off offset:208
	s_wait_loadcnt 0x0
	ds_store_b128 v6, v[8:11]
.LBB89_143:
	s_wait_xcnt 0x0
	s_or_b32 exec_lo, exec_lo, s2
	s_wait_storecnt_dscnt 0x0
	s_barrier_signal -1
	s_barrier_wait -1
	s_clause 0x9
	scratch_load_b128 v[8:11], off, off offset:224
	scratch_load_b128 v[66:69], off, off offset:240
	;; [unrolled: 1-line block ×10, first 2 shown]
	ds_load_b128 v[102:105], v2 offset:640
	ds_load_b128 v[110:113], v2 offset:656
	s_clause 0x1
	scratch_load_b128 v[106:109], off, off offset:384
	scratch_load_b128 v[114:117], off, off offset:208
	s_mov_b32 s2, exec_lo
	s_wait_loadcnt_dscnt 0xb01
	v_mul_f64_e32 v[4:5], v[104:105], v[10:11]
	v_mul_f64_e32 v[122:123], v[102:103], v[10:11]
	scratch_load_b128 v[10:13], off, off offset:400
	s_wait_loadcnt_dscnt 0xb00
	v_mul_f64_e32 v[124:125], v[110:111], v[68:69]
	v_mul_f64_e32 v[68:69], v[112:113], v[68:69]
	v_fma_f64 v[4:5], v[102:103], v[8:9], -v[4:5]
	v_fmac_f64_e32 v[122:123], v[104:105], v[8:9]
	ds_load_b128 v[102:105], v2 offset:672
	ds_load_b128 v[118:121], v2 offset:688
	v_fmac_f64_e32 v[124:125], v[112:113], v[66:67]
	v_fma_f64 v[66:67], v[110:111], v[66:67], -v[68:69]
	s_wait_loadcnt_dscnt 0xa01
	v_mul_f64_e32 v[8:9], v[102:103], v[72:73]
	v_mul_f64_e32 v[72:73], v[104:105], v[72:73]
	s_wait_loadcnt_dscnt 0x900
	v_mul_f64_e32 v[110:111], v[118:119], v[76:77]
	v_mul_f64_e32 v[76:77], v[120:121], v[76:77]
	v_add_f64_e32 v[4:5], 0, v[4:5]
	v_add_f64_e32 v[68:69], 0, v[122:123]
	v_fmac_f64_e32 v[8:9], v[104:105], v[70:71]
	v_fma_f64 v[102:103], v[102:103], v[70:71], -v[72:73]
	v_fmac_f64_e32 v[110:111], v[120:121], v[74:75]
	v_fma_f64 v[74:75], v[118:119], v[74:75], -v[76:77]
	v_add_f64_e32 v[4:5], v[4:5], v[66:67]
	v_add_f64_e32 v[104:105], v[68:69], v[124:125]
	ds_load_b128 v[66:69], v2 offset:704
	ds_load_b128 v[70:73], v2 offset:720
	s_wait_loadcnt_dscnt 0x801
	v_mul_f64_e32 v[112:113], v[66:67], v[80:81]
	v_mul_f64_e32 v[80:81], v[68:69], v[80:81]
	v_add_f64_e32 v[4:5], v[4:5], v[102:103]
	v_add_f64_e32 v[8:9], v[104:105], v[8:9]
	s_wait_loadcnt_dscnt 0x700
	v_mul_f64_e32 v[102:103], v[70:71], v[84:85]
	v_mul_f64_e32 v[84:85], v[72:73], v[84:85]
	v_fmac_f64_e32 v[112:113], v[68:69], v[78:79]
	v_fma_f64 v[78:79], v[66:67], v[78:79], -v[80:81]
	v_add_f64_e32 v[4:5], v[4:5], v[74:75]
	v_add_f64_e32 v[8:9], v[8:9], v[110:111]
	ds_load_b128 v[66:69], v2 offset:736
	ds_load_b128 v[74:77], v2 offset:752
	v_fmac_f64_e32 v[102:103], v[72:73], v[82:83]
	v_fma_f64 v[70:71], v[70:71], v[82:83], -v[84:85]
	s_wait_loadcnt_dscnt 0x601
	v_mul_f64_e32 v[80:81], v[66:67], v[88:89]
	v_mul_f64_e32 v[88:89], v[68:69], v[88:89]
	s_wait_loadcnt_dscnt 0x500
	v_mul_f64_e32 v[82:83], v[76:77], v[92:93]
	v_add_f64_e32 v[4:5], v[4:5], v[78:79]
	v_add_f64_e32 v[8:9], v[8:9], v[112:113]
	v_mul_f64_e32 v[78:79], v[74:75], v[92:93]
	v_fmac_f64_e32 v[80:81], v[68:69], v[86:87]
	v_fma_f64 v[84:85], v[66:67], v[86:87], -v[88:89]
	v_fma_f64 v[74:75], v[74:75], v[90:91], -v[82:83]
	v_add_f64_e32 v[4:5], v[4:5], v[70:71]
	v_add_f64_e32 v[8:9], v[8:9], v[102:103]
	ds_load_b128 v[66:69], v2 offset:768
	ds_load_b128 v[70:73], v2 offset:784
	v_fmac_f64_e32 v[78:79], v[76:77], v[90:91]
	s_wait_loadcnt_dscnt 0x401
	v_mul_f64_e32 v[86:87], v[66:67], v[96:97]
	v_mul_f64_e32 v[88:89], v[68:69], v[96:97]
	s_wait_loadcnt_dscnt 0x300
	v_mul_f64_e32 v[76:77], v[70:71], v[100:101]
	v_add_f64_e32 v[4:5], v[4:5], v[84:85]
	v_add_f64_e32 v[8:9], v[8:9], v[80:81]
	v_mul_f64_e32 v[80:81], v[72:73], v[100:101]
	v_fmac_f64_e32 v[86:87], v[68:69], v[94:95]
	v_fma_f64 v[82:83], v[66:67], v[94:95], -v[88:89]
	v_fmac_f64_e32 v[76:77], v[72:73], v[98:99]
	v_add_f64_e32 v[74:75], v[4:5], v[74:75]
	v_add_f64_e32 v[8:9], v[8:9], v[78:79]
	ds_load_b128 v[66:69], v2 offset:800
	ds_load_b128 v[2:5], v2 offset:816
	v_fma_f64 v[70:71], v[70:71], v[98:99], -v[80:81]
	s_wait_loadcnt_dscnt 0x201
	v_mul_f64_e32 v[78:79], v[66:67], v[108:109]
	v_mul_f64_e32 v[84:85], v[68:69], v[108:109]
	v_add_f64_e32 v[72:73], v[74:75], v[82:83]
	v_add_f64_e32 v[8:9], v[8:9], v[86:87]
	s_wait_loadcnt_dscnt 0x0
	v_mul_f64_e32 v[74:75], v[2:3], v[12:13]
	v_mul_f64_e32 v[12:13], v[4:5], v[12:13]
	v_fmac_f64_e32 v[78:79], v[68:69], v[106:107]
	v_fma_f64 v[66:67], v[66:67], v[106:107], -v[84:85]
	v_add_f64_e32 v[68:69], v[72:73], v[70:71]
	v_add_f64_e32 v[8:9], v[8:9], v[76:77]
	v_fmac_f64_e32 v[74:75], v[4:5], v[10:11]
	v_fma_f64 v[2:3], v[2:3], v[10:11], -v[12:13]
	s_delay_alu instid0(VALU_DEP_4) | instskip(NEXT) | instid1(VALU_DEP_4)
	v_add_f64_e32 v[4:5], v[68:69], v[66:67]
	v_add_f64_e32 v[8:9], v[8:9], v[78:79]
	s_delay_alu instid0(VALU_DEP_2) | instskip(NEXT) | instid1(VALU_DEP_2)
	v_add_f64_e32 v[2:3], v[4:5], v[2:3]
	v_add_f64_e32 v[4:5], v[8:9], v[74:75]
	s_delay_alu instid0(VALU_DEP_2) | instskip(NEXT) | instid1(VALU_DEP_2)
	v_add_f64_e64 v[2:3], v[114:115], -v[2:3]
	v_add_f64_e64 v[4:5], v[116:117], -v[4:5]
	scratch_store_b128 off, v[2:5], off offset:208
	s_wait_xcnt 0x0
	v_cmpx_lt_u32_e32 12, v1
	s_cbranch_execz .LBB89_145
; %bb.144:
	scratch_load_b128 v[2:5], off, s28
	v_mov_b32_e32 v8, 0
	s_delay_alu instid0(VALU_DEP_1)
	v_dual_mov_b32 v9, v8 :: v_dual_mov_b32 v10, v8
	v_mov_b32_e32 v11, v8
	scratch_store_b128 off, v[8:11], off offset:192
	s_wait_loadcnt 0x0
	ds_store_b128 v6, v[2:5]
.LBB89_145:
	s_wait_xcnt 0x0
	s_or_b32 exec_lo, exec_lo, s2
	s_wait_storecnt_dscnt 0x0
	s_barrier_signal -1
	s_barrier_wait -1
	s_clause 0x9
	scratch_load_b128 v[8:11], off, off offset:208
	scratch_load_b128 v[66:69], off, off offset:224
	;; [unrolled: 1-line block ×10, first 2 shown]
	v_mov_b32_e32 v2, 0
	s_mov_b32 s2, exec_lo
	ds_load_b128 v[102:105], v2 offset:624
	s_clause 0x2
	scratch_load_b128 v[106:109], off, off offset:368
	scratch_load_b128 v[110:113], off, off offset:192
	;; [unrolled: 1-line block ×3, first 2 shown]
	s_wait_loadcnt_dscnt 0xc00
	v_mul_f64_e32 v[4:5], v[104:105], v[10:11]
	v_mul_f64_e32 v[126:127], v[102:103], v[10:11]
	ds_load_b128 v[114:117], v2 offset:640
	scratch_load_b128 v[10:13], off, off offset:384
	ds_load_b128 v[122:125], v2 offset:672
	v_fma_f64 v[4:5], v[102:103], v[8:9], -v[4:5]
	v_fmac_f64_e32 v[126:127], v[104:105], v[8:9]
	ds_load_b128 v[102:105], v2 offset:656
	s_wait_loadcnt_dscnt 0xc02
	v_mul_f64_e32 v[128:129], v[114:115], v[68:69]
	v_mul_f64_e32 v[68:69], v[116:117], v[68:69]
	s_wait_loadcnt_dscnt 0xb00
	v_mul_f64_e32 v[8:9], v[102:103], v[72:73]
	v_mul_f64_e32 v[72:73], v[104:105], v[72:73]
	v_add_f64_e32 v[4:5], 0, v[4:5]
	v_fmac_f64_e32 v[128:129], v[116:117], v[66:67]
	v_fma_f64 v[66:67], v[114:115], v[66:67], -v[68:69]
	v_add_f64_e32 v[68:69], 0, v[126:127]
	s_wait_loadcnt 0xa
	v_mul_f64_e32 v[114:115], v[122:123], v[76:77]
	v_mul_f64_e32 v[76:77], v[124:125], v[76:77]
	v_fmac_f64_e32 v[8:9], v[104:105], v[70:71]
	v_fma_f64 v[102:103], v[102:103], v[70:71], -v[72:73]
	v_add_f64_e32 v[4:5], v[4:5], v[66:67]
	v_add_f64_e32 v[104:105], v[68:69], v[128:129]
	ds_load_b128 v[66:69], v2 offset:688
	ds_load_b128 v[70:73], v2 offset:704
	v_fmac_f64_e32 v[114:115], v[124:125], v[74:75]
	v_fma_f64 v[74:75], v[122:123], v[74:75], -v[76:77]
	s_wait_loadcnt_dscnt 0x901
	v_mul_f64_e32 v[116:117], v[66:67], v[80:81]
	v_mul_f64_e32 v[80:81], v[68:69], v[80:81]
	v_add_f64_e32 v[4:5], v[4:5], v[102:103]
	v_add_f64_e32 v[8:9], v[104:105], v[8:9]
	s_wait_loadcnt_dscnt 0x800
	v_mul_f64_e32 v[102:103], v[70:71], v[84:85]
	v_mul_f64_e32 v[84:85], v[72:73], v[84:85]
	v_fmac_f64_e32 v[116:117], v[68:69], v[78:79]
	v_fma_f64 v[78:79], v[66:67], v[78:79], -v[80:81]
	v_add_f64_e32 v[4:5], v[4:5], v[74:75]
	v_add_f64_e32 v[8:9], v[8:9], v[114:115]
	ds_load_b128 v[66:69], v2 offset:720
	ds_load_b128 v[74:77], v2 offset:736
	v_fmac_f64_e32 v[102:103], v[72:73], v[82:83]
	v_fma_f64 v[70:71], v[70:71], v[82:83], -v[84:85]
	s_wait_loadcnt_dscnt 0x701
	v_mul_f64_e32 v[80:81], v[66:67], v[88:89]
	v_mul_f64_e32 v[88:89], v[68:69], v[88:89]
	s_wait_loadcnt_dscnt 0x600
	v_mul_f64_e32 v[82:83], v[76:77], v[92:93]
	v_add_f64_e32 v[4:5], v[4:5], v[78:79]
	v_add_f64_e32 v[8:9], v[8:9], v[116:117]
	v_mul_f64_e32 v[78:79], v[74:75], v[92:93]
	v_fmac_f64_e32 v[80:81], v[68:69], v[86:87]
	v_fma_f64 v[84:85], v[66:67], v[86:87], -v[88:89]
	v_fma_f64 v[74:75], v[74:75], v[90:91], -v[82:83]
	v_add_f64_e32 v[4:5], v[4:5], v[70:71]
	v_add_f64_e32 v[8:9], v[8:9], v[102:103]
	ds_load_b128 v[66:69], v2 offset:752
	ds_load_b128 v[70:73], v2 offset:768
	v_fmac_f64_e32 v[78:79], v[76:77], v[90:91]
	s_wait_loadcnt_dscnt 0x501
	v_mul_f64_e32 v[86:87], v[66:67], v[96:97]
	v_mul_f64_e32 v[88:89], v[68:69], v[96:97]
	s_wait_loadcnt_dscnt 0x400
	v_mul_f64_e32 v[82:83], v[72:73], v[100:101]
	v_add_f64_e32 v[4:5], v[4:5], v[84:85]
	v_add_f64_e32 v[8:9], v[8:9], v[80:81]
	v_mul_f64_e32 v[80:81], v[70:71], v[100:101]
	v_fmac_f64_e32 v[86:87], v[68:69], v[94:95]
	v_fma_f64 v[84:85], v[66:67], v[94:95], -v[88:89]
	v_fma_f64 v[70:71], v[70:71], v[98:99], -v[82:83]
	v_add_f64_e32 v[4:5], v[4:5], v[74:75]
	v_add_f64_e32 v[8:9], v[8:9], v[78:79]
	ds_load_b128 v[66:69], v2 offset:784
	ds_load_b128 v[74:77], v2 offset:800
	v_fmac_f64_e32 v[80:81], v[72:73], v[98:99]
	s_wait_loadcnt_dscnt 0x301
	v_mul_f64_e32 v[78:79], v[66:67], v[108:109]
	v_mul_f64_e32 v[88:89], v[68:69], v[108:109]
	s_wait_loadcnt_dscnt 0x0
	v_mul_f64_e32 v[72:73], v[74:75], v[12:13]
	v_add_f64_e32 v[4:5], v[4:5], v[84:85]
	v_add_f64_e32 v[8:9], v[8:9], v[86:87]
	v_mul_f64_e32 v[12:13], v[76:77], v[12:13]
	v_fmac_f64_e32 v[78:79], v[68:69], v[106:107]
	v_fma_f64 v[82:83], v[66:67], v[106:107], -v[88:89]
	ds_load_b128 v[66:69], v2 offset:816
	v_fmac_f64_e32 v[72:73], v[76:77], v[10:11]
	v_add_f64_e32 v[4:5], v[4:5], v[70:71]
	v_add_f64_e32 v[8:9], v[8:9], v[80:81]
	v_fma_f64 v[10:11], v[74:75], v[10:11], -v[12:13]
	s_wait_dscnt 0x0
	v_mul_f64_e32 v[70:71], v[66:67], v[120:121]
	v_mul_f64_e32 v[80:81], v[68:69], v[120:121]
	v_add_f64_e32 v[4:5], v[4:5], v[82:83]
	v_add_f64_e32 v[8:9], v[8:9], v[78:79]
	s_delay_alu instid0(VALU_DEP_4) | instskip(NEXT) | instid1(VALU_DEP_4)
	v_fmac_f64_e32 v[70:71], v[68:69], v[118:119]
	v_fma_f64 v[12:13], v[66:67], v[118:119], -v[80:81]
	s_delay_alu instid0(VALU_DEP_4) | instskip(NEXT) | instid1(VALU_DEP_4)
	v_add_f64_e32 v[4:5], v[4:5], v[10:11]
	v_add_f64_e32 v[8:9], v[8:9], v[72:73]
	s_delay_alu instid0(VALU_DEP_2) | instskip(NEXT) | instid1(VALU_DEP_2)
	v_add_f64_e32 v[4:5], v[4:5], v[12:13]
	v_add_f64_e32 v[10:11], v[8:9], v[70:71]
	s_delay_alu instid0(VALU_DEP_2) | instskip(NEXT) | instid1(VALU_DEP_2)
	v_add_f64_e64 v[8:9], v[110:111], -v[4:5]
	v_add_f64_e64 v[10:11], v[112:113], -v[10:11]
	scratch_store_b128 off, v[8:11], off offset:192
	s_wait_xcnt 0x0
	v_cmpx_lt_u32_e32 11, v1
	s_cbranch_execz .LBB89_147
; %bb.146:
	scratch_load_b128 v[8:11], off, s15
	v_dual_mov_b32 v3, v2 :: v_dual_mov_b32 v4, v2
	v_mov_b32_e32 v5, v2
	scratch_store_b128 off, v[2:5], off offset:176
	s_wait_loadcnt 0x0
	ds_store_b128 v6, v[8:11]
.LBB89_147:
	s_wait_xcnt 0x0
	s_or_b32 exec_lo, exec_lo, s2
	s_wait_storecnt_dscnt 0x0
	s_barrier_signal -1
	s_barrier_wait -1
	s_clause 0x9
	scratch_load_b128 v[8:11], off, off offset:192
	scratch_load_b128 v[66:69], off, off offset:208
	;; [unrolled: 1-line block ×10, first 2 shown]
	ds_load_b128 v[102:105], v2 offset:608
	ds_load_b128 v[110:113], v2 offset:624
	s_clause 0x1
	scratch_load_b128 v[106:109], off, off offset:352
	scratch_load_b128 v[114:117], off, off offset:176
	s_mov_b32 s2, exec_lo
	s_wait_loadcnt_dscnt 0xb01
	v_mul_f64_e32 v[4:5], v[104:105], v[10:11]
	v_mul_f64_e32 v[126:127], v[102:103], v[10:11]
	scratch_load_b128 v[10:13], off, off offset:368
	s_wait_loadcnt_dscnt 0xb00
	v_mul_f64_e32 v[128:129], v[110:111], v[68:69]
	v_mul_f64_e32 v[68:69], v[112:113], v[68:69]
	v_fma_f64 v[4:5], v[102:103], v[8:9], -v[4:5]
	v_fmac_f64_e32 v[126:127], v[104:105], v[8:9]
	ds_load_b128 v[102:105], v2 offset:640
	ds_load_b128 v[118:121], v2 offset:656
	scratch_load_b128 v[122:125], off, off offset:384
	v_fmac_f64_e32 v[128:129], v[112:113], v[66:67]
	v_fma_f64 v[110:111], v[110:111], v[66:67], -v[68:69]
	scratch_load_b128 v[66:69], off, off offset:400
	s_wait_loadcnt_dscnt 0xc01
	v_mul_f64_e32 v[8:9], v[102:103], v[72:73]
	v_mul_f64_e32 v[72:73], v[104:105], v[72:73]
	v_add_f64_e32 v[4:5], 0, v[4:5]
	v_add_f64_e32 v[112:113], 0, v[126:127]
	s_wait_loadcnt_dscnt 0xb00
	v_mul_f64_e32 v[126:127], v[118:119], v[76:77]
	v_mul_f64_e32 v[76:77], v[120:121], v[76:77]
	v_fmac_f64_e32 v[8:9], v[104:105], v[70:71]
	v_fma_f64 v[130:131], v[102:103], v[70:71], -v[72:73]
	ds_load_b128 v[70:73], v2 offset:672
	ds_load_b128 v[102:105], v2 offset:688
	v_add_f64_e32 v[4:5], v[4:5], v[110:111]
	v_add_f64_e32 v[110:111], v[112:113], v[128:129]
	v_fmac_f64_e32 v[126:127], v[120:121], v[74:75]
	v_fma_f64 v[74:75], v[118:119], v[74:75], -v[76:77]
	s_wait_loadcnt_dscnt 0xa01
	v_mul_f64_e32 v[112:113], v[70:71], v[80:81]
	v_mul_f64_e32 v[80:81], v[72:73], v[80:81]
	v_add_f64_e32 v[4:5], v[4:5], v[130:131]
	v_add_f64_e32 v[8:9], v[110:111], v[8:9]
	s_wait_loadcnt_dscnt 0x900
	v_mul_f64_e32 v[110:111], v[102:103], v[84:85]
	v_mul_f64_e32 v[84:85], v[104:105], v[84:85]
	v_fmac_f64_e32 v[112:113], v[72:73], v[78:79]
	v_fma_f64 v[78:79], v[70:71], v[78:79], -v[80:81]
	v_add_f64_e32 v[4:5], v[4:5], v[74:75]
	v_add_f64_e32 v[8:9], v[8:9], v[126:127]
	ds_load_b128 v[70:73], v2 offset:704
	ds_load_b128 v[74:77], v2 offset:720
	v_fmac_f64_e32 v[110:111], v[104:105], v[82:83]
	v_fma_f64 v[82:83], v[102:103], v[82:83], -v[84:85]
	s_wait_loadcnt_dscnt 0x801
	v_mul_f64_e32 v[118:119], v[70:71], v[88:89]
	v_mul_f64_e32 v[80:81], v[72:73], v[88:89]
	s_wait_loadcnt_dscnt 0x700
	v_mul_f64_e32 v[84:85], v[74:75], v[92:93]
	v_mul_f64_e32 v[88:89], v[76:77], v[92:93]
	v_add_f64_e32 v[4:5], v[4:5], v[78:79]
	v_add_f64_e32 v[8:9], v[8:9], v[112:113]
	v_fmac_f64_e32 v[118:119], v[72:73], v[86:87]
	v_fma_f64 v[86:87], v[70:71], v[86:87], -v[80:81]
	ds_load_b128 v[70:73], v2 offset:736
	ds_load_b128 v[78:81], v2 offset:752
	v_fmac_f64_e32 v[84:85], v[76:77], v[90:91]
	v_fma_f64 v[74:75], v[74:75], v[90:91], -v[88:89]
	v_add_f64_e32 v[4:5], v[4:5], v[82:83]
	v_add_f64_e32 v[8:9], v[8:9], v[110:111]
	s_wait_loadcnt_dscnt 0x601
	v_mul_f64_e32 v[82:83], v[70:71], v[96:97]
	v_mul_f64_e32 v[92:93], v[72:73], v[96:97]
	s_wait_loadcnt_dscnt 0x500
	v_mul_f64_e32 v[88:89], v[80:81], v[100:101]
	v_add_f64_e32 v[4:5], v[4:5], v[86:87]
	v_add_f64_e32 v[8:9], v[8:9], v[118:119]
	v_mul_f64_e32 v[86:87], v[78:79], v[100:101]
	v_fmac_f64_e32 v[82:83], v[72:73], v[94:95]
	v_fma_f64 v[90:91], v[70:71], v[94:95], -v[92:93]
	v_fma_f64 v[78:79], v[78:79], v[98:99], -v[88:89]
	v_add_f64_e32 v[4:5], v[4:5], v[74:75]
	v_add_f64_e32 v[8:9], v[8:9], v[84:85]
	ds_load_b128 v[70:73], v2 offset:768
	ds_load_b128 v[74:77], v2 offset:784
	v_fmac_f64_e32 v[86:87], v[80:81], v[98:99]
	s_wait_loadcnt_dscnt 0x401
	v_mul_f64_e32 v[84:85], v[70:71], v[108:109]
	v_mul_f64_e32 v[92:93], v[72:73], v[108:109]
	v_add_f64_e32 v[4:5], v[4:5], v[90:91]
	v_add_f64_e32 v[8:9], v[8:9], v[82:83]
	s_wait_loadcnt_dscnt 0x200
	v_mul_f64_e32 v[80:81], v[74:75], v[12:13]
	v_mul_f64_e32 v[12:13], v[76:77], v[12:13]
	v_fmac_f64_e32 v[84:85], v[72:73], v[106:107]
	v_fma_f64 v[82:83], v[70:71], v[106:107], -v[92:93]
	v_add_f64_e32 v[78:79], v[4:5], v[78:79]
	v_add_f64_e32 v[8:9], v[8:9], v[86:87]
	ds_load_b128 v[70:73], v2 offset:800
	ds_load_b128 v[2:5], v2 offset:816
	v_fmac_f64_e32 v[80:81], v[76:77], v[10:11]
	v_fma_f64 v[10:11], v[74:75], v[10:11], -v[12:13]
	s_wait_loadcnt_dscnt 0x101
	v_mul_f64_e32 v[86:87], v[70:71], v[124:125]
	v_mul_f64_e32 v[88:89], v[72:73], v[124:125]
	s_wait_loadcnt_dscnt 0x0
	v_mul_f64_e32 v[74:75], v[2:3], v[68:69]
	v_mul_f64_e32 v[68:69], v[4:5], v[68:69]
	v_add_f64_e32 v[12:13], v[78:79], v[82:83]
	v_add_f64_e32 v[8:9], v[8:9], v[84:85]
	v_fmac_f64_e32 v[86:87], v[72:73], v[122:123]
	v_fma_f64 v[70:71], v[70:71], v[122:123], -v[88:89]
	v_fmac_f64_e32 v[74:75], v[4:5], v[66:67]
	v_fma_f64 v[2:3], v[2:3], v[66:67], -v[68:69]
	v_add_f64_e32 v[10:11], v[12:13], v[10:11]
	v_add_f64_e32 v[8:9], v[8:9], v[80:81]
	s_delay_alu instid0(VALU_DEP_2) | instskip(NEXT) | instid1(VALU_DEP_2)
	v_add_f64_e32 v[4:5], v[10:11], v[70:71]
	v_add_f64_e32 v[8:9], v[8:9], v[86:87]
	s_delay_alu instid0(VALU_DEP_2) | instskip(NEXT) | instid1(VALU_DEP_2)
	;; [unrolled: 3-line block ×3, first 2 shown]
	v_add_f64_e64 v[2:3], v[114:115], -v[2:3]
	v_add_f64_e64 v[4:5], v[116:117], -v[4:5]
	scratch_store_b128 off, v[2:5], off offset:176
	s_wait_xcnt 0x0
	v_cmpx_lt_u32_e32 10, v1
	s_cbranch_execz .LBB89_149
; %bb.148:
	scratch_load_b128 v[2:5], off, s27
	v_mov_b32_e32 v8, 0
	s_delay_alu instid0(VALU_DEP_1)
	v_dual_mov_b32 v9, v8 :: v_dual_mov_b32 v10, v8
	v_mov_b32_e32 v11, v8
	scratch_store_b128 off, v[8:11], off offset:160
	s_wait_loadcnt 0x0
	ds_store_b128 v6, v[2:5]
.LBB89_149:
	s_wait_xcnt 0x0
	s_or_b32 exec_lo, exec_lo, s2
	s_wait_storecnt_dscnt 0x0
	s_barrier_signal -1
	s_barrier_wait -1
	s_clause 0x9
	scratch_load_b128 v[8:11], off, off offset:176
	scratch_load_b128 v[66:69], off, off offset:192
	;; [unrolled: 1-line block ×10, first 2 shown]
	v_mov_b32_e32 v2, 0
	s_mov_b32 s2, exec_lo
	ds_load_b128 v[102:105], v2 offset:592
	s_clause 0x2
	scratch_load_b128 v[106:109], off, off offset:336
	scratch_load_b128 v[110:113], off, off offset:160
	scratch_load_b128 v[118:121], off, off offset:368
	s_wait_loadcnt_dscnt 0xc00
	v_mul_f64_e32 v[4:5], v[104:105], v[10:11]
	v_mul_f64_e32 v[126:127], v[102:103], v[10:11]
	ds_load_b128 v[114:117], v2 offset:608
	scratch_load_b128 v[10:13], off, off offset:352
	ds_load_b128 v[122:125], v2 offset:640
	v_fma_f64 v[4:5], v[102:103], v[8:9], -v[4:5]
	v_fmac_f64_e32 v[126:127], v[104:105], v[8:9]
	ds_load_b128 v[102:105], v2 offset:624
	s_wait_loadcnt_dscnt 0xc02
	v_mul_f64_e32 v[128:129], v[114:115], v[68:69]
	v_mul_f64_e32 v[68:69], v[116:117], v[68:69]
	s_wait_loadcnt_dscnt 0xb00
	v_mul_f64_e32 v[8:9], v[102:103], v[72:73]
	v_mul_f64_e32 v[72:73], v[104:105], v[72:73]
	v_add_f64_e32 v[4:5], 0, v[4:5]
	v_fmac_f64_e32 v[128:129], v[116:117], v[66:67]
	v_fma_f64 v[114:115], v[114:115], v[66:67], -v[68:69]
	v_add_f64_e32 v[116:117], 0, v[126:127]
	scratch_load_b128 v[66:69], off, off offset:384
	v_fmac_f64_e32 v[8:9], v[104:105], v[70:71]
	v_fma_f64 v[130:131], v[102:103], v[70:71], -v[72:73]
	ds_load_b128 v[70:73], v2 offset:656
	s_wait_loadcnt 0xb
	v_mul_f64_e32 v[126:127], v[122:123], v[76:77]
	v_mul_f64_e32 v[76:77], v[124:125], v[76:77]
	scratch_load_b128 v[102:105], off, off offset:400
	v_add_f64_e32 v[4:5], v[4:5], v[114:115]
	v_add_f64_e32 v[128:129], v[116:117], v[128:129]
	ds_load_b128 v[114:117], v2 offset:672
	s_wait_loadcnt_dscnt 0xb01
	v_mul_f64_e32 v[132:133], v[70:71], v[80:81]
	v_mul_f64_e32 v[80:81], v[72:73], v[80:81]
	v_fmac_f64_e32 v[126:127], v[124:125], v[74:75]
	v_fma_f64 v[74:75], v[122:123], v[74:75], -v[76:77]
	s_wait_loadcnt_dscnt 0xa00
	v_mul_f64_e32 v[122:123], v[114:115], v[84:85]
	v_mul_f64_e32 v[84:85], v[116:117], v[84:85]
	v_add_f64_e32 v[4:5], v[4:5], v[130:131]
	v_add_f64_e32 v[8:9], v[128:129], v[8:9]
	v_fmac_f64_e32 v[132:133], v[72:73], v[78:79]
	v_fma_f64 v[78:79], v[70:71], v[78:79], -v[80:81]
	v_fmac_f64_e32 v[122:123], v[116:117], v[82:83]
	v_fma_f64 v[82:83], v[114:115], v[82:83], -v[84:85]
	v_add_f64_e32 v[4:5], v[4:5], v[74:75]
	v_add_f64_e32 v[8:9], v[8:9], v[126:127]
	ds_load_b128 v[70:73], v2 offset:688
	ds_load_b128 v[74:77], v2 offset:704
	s_wait_loadcnt_dscnt 0x901
	v_mul_f64_e32 v[124:125], v[70:71], v[88:89]
	v_mul_f64_e32 v[80:81], v[72:73], v[88:89]
	s_wait_loadcnt_dscnt 0x800
	v_mul_f64_e32 v[84:85], v[74:75], v[92:93]
	v_mul_f64_e32 v[88:89], v[76:77], v[92:93]
	v_add_f64_e32 v[4:5], v[4:5], v[78:79]
	v_add_f64_e32 v[8:9], v[8:9], v[132:133]
	v_fmac_f64_e32 v[124:125], v[72:73], v[86:87]
	v_fma_f64 v[86:87], v[70:71], v[86:87], -v[80:81]
	ds_load_b128 v[70:73], v2 offset:720
	ds_load_b128 v[78:81], v2 offset:736
	v_fmac_f64_e32 v[84:85], v[76:77], v[90:91]
	v_fma_f64 v[74:75], v[74:75], v[90:91], -v[88:89]
	v_add_f64_e32 v[4:5], v[4:5], v[82:83]
	v_add_f64_e32 v[8:9], v[8:9], v[122:123]
	s_wait_loadcnt_dscnt 0x701
	v_mul_f64_e32 v[82:83], v[70:71], v[96:97]
	v_mul_f64_e32 v[92:93], v[72:73], v[96:97]
	s_wait_loadcnt_dscnt 0x600
	v_mul_f64_e32 v[88:89], v[80:81], v[100:101]
	v_add_f64_e32 v[4:5], v[4:5], v[86:87]
	v_add_f64_e32 v[8:9], v[8:9], v[124:125]
	v_mul_f64_e32 v[86:87], v[78:79], v[100:101]
	v_fmac_f64_e32 v[82:83], v[72:73], v[94:95]
	v_fma_f64 v[90:91], v[70:71], v[94:95], -v[92:93]
	v_fma_f64 v[78:79], v[78:79], v[98:99], -v[88:89]
	v_add_f64_e32 v[4:5], v[4:5], v[74:75]
	v_add_f64_e32 v[8:9], v[8:9], v[84:85]
	ds_load_b128 v[70:73], v2 offset:752
	ds_load_b128 v[74:77], v2 offset:768
	v_fmac_f64_e32 v[86:87], v[80:81], v[98:99]
	s_wait_loadcnt_dscnt 0x501
	v_mul_f64_e32 v[84:85], v[70:71], v[108:109]
	v_mul_f64_e32 v[92:93], v[72:73], v[108:109]
	v_add_f64_e32 v[4:5], v[4:5], v[90:91]
	v_add_f64_e32 v[8:9], v[8:9], v[82:83]
	s_wait_loadcnt_dscnt 0x200
	v_mul_f64_e32 v[82:83], v[74:75], v[12:13]
	v_mul_f64_e32 v[12:13], v[76:77], v[12:13]
	v_fmac_f64_e32 v[84:85], v[72:73], v[106:107]
	v_fma_f64 v[88:89], v[70:71], v[106:107], -v[92:93]
	v_add_f64_e32 v[4:5], v[4:5], v[78:79]
	v_add_f64_e32 v[8:9], v[8:9], v[86:87]
	ds_load_b128 v[70:73], v2 offset:784
	ds_load_b128 v[78:81], v2 offset:800
	v_fmac_f64_e32 v[82:83], v[76:77], v[10:11]
	v_fma_f64 v[10:11], v[74:75], v[10:11], -v[12:13]
	s_wait_dscnt 0x1
	v_mul_f64_e32 v[86:87], v[70:71], v[120:121]
	v_mul_f64_e32 v[90:91], v[72:73], v[120:121]
	v_add_f64_e32 v[4:5], v[4:5], v[88:89]
	v_add_f64_e32 v[8:9], v[8:9], v[84:85]
	s_wait_loadcnt_dscnt 0x100
	v_mul_f64_e32 v[12:13], v[78:79], v[68:69]
	v_mul_f64_e32 v[68:69], v[80:81], v[68:69]
	v_fmac_f64_e32 v[86:87], v[72:73], v[118:119]
	v_fma_f64 v[70:71], v[70:71], v[118:119], -v[90:91]
	v_add_f64_e32 v[4:5], v[4:5], v[10:11]
	v_add_f64_e32 v[72:73], v[8:9], v[82:83]
	ds_load_b128 v[8:11], v2 offset:816
	v_fmac_f64_e32 v[12:13], v[80:81], v[66:67]
	v_fma_f64 v[66:67], v[78:79], v[66:67], -v[68:69]
	s_wait_loadcnt_dscnt 0x0
	v_mul_f64_e32 v[74:75], v[8:9], v[104:105]
	v_mul_f64_e32 v[76:77], v[10:11], v[104:105]
	v_add_f64_e32 v[4:5], v[4:5], v[70:71]
	v_add_f64_e32 v[68:69], v[72:73], v[86:87]
	s_delay_alu instid0(VALU_DEP_4) | instskip(NEXT) | instid1(VALU_DEP_4)
	v_fmac_f64_e32 v[74:75], v[10:11], v[102:103]
	v_fma_f64 v[8:9], v[8:9], v[102:103], -v[76:77]
	s_delay_alu instid0(VALU_DEP_4) | instskip(NEXT) | instid1(VALU_DEP_4)
	v_add_f64_e32 v[4:5], v[4:5], v[66:67]
	v_add_f64_e32 v[10:11], v[68:69], v[12:13]
	s_delay_alu instid0(VALU_DEP_2) | instskip(NEXT) | instid1(VALU_DEP_2)
	v_add_f64_e32 v[4:5], v[4:5], v[8:9]
	v_add_f64_e32 v[10:11], v[10:11], v[74:75]
	s_delay_alu instid0(VALU_DEP_2) | instskip(NEXT) | instid1(VALU_DEP_2)
	v_add_f64_e64 v[8:9], v[110:111], -v[4:5]
	v_add_f64_e64 v[10:11], v[112:113], -v[10:11]
	scratch_store_b128 off, v[8:11], off offset:160
	s_wait_xcnt 0x0
	v_cmpx_lt_u32_e32 9, v1
	s_cbranch_execz .LBB89_151
; %bb.150:
	scratch_load_b128 v[8:11], off, s14
	v_dual_mov_b32 v3, v2 :: v_dual_mov_b32 v4, v2
	v_mov_b32_e32 v5, v2
	scratch_store_b128 off, v[2:5], off offset:144
	s_wait_loadcnt 0x0
	ds_store_b128 v6, v[8:11]
.LBB89_151:
	s_wait_xcnt 0x0
	s_or_b32 exec_lo, exec_lo, s2
	s_wait_storecnt_dscnt 0x0
	s_barrier_signal -1
	s_barrier_wait -1
	s_clause 0x9
	scratch_load_b128 v[8:11], off, off offset:160
	scratch_load_b128 v[66:69], off, off offset:176
	;; [unrolled: 1-line block ×10, first 2 shown]
	ds_load_b128 v[102:105], v2 offset:576
	ds_load_b128 v[110:113], v2 offset:592
	s_clause 0x1
	scratch_load_b128 v[106:109], off, off offset:320
	scratch_load_b128 v[114:117], off, off offset:144
	s_mov_b32 s2, exec_lo
	s_wait_loadcnt_dscnt 0xb01
	v_mul_f64_e32 v[4:5], v[104:105], v[10:11]
	v_mul_f64_e32 v[126:127], v[102:103], v[10:11]
	scratch_load_b128 v[10:13], off, off offset:336
	s_wait_loadcnt_dscnt 0xb00
	v_mul_f64_e32 v[128:129], v[110:111], v[68:69]
	v_mul_f64_e32 v[68:69], v[112:113], v[68:69]
	v_fma_f64 v[4:5], v[102:103], v[8:9], -v[4:5]
	v_fmac_f64_e32 v[126:127], v[104:105], v[8:9]
	ds_load_b128 v[102:105], v2 offset:608
	ds_load_b128 v[118:121], v2 offset:624
	scratch_load_b128 v[122:125], off, off offset:352
	v_fmac_f64_e32 v[128:129], v[112:113], v[66:67]
	v_fma_f64 v[110:111], v[110:111], v[66:67], -v[68:69]
	scratch_load_b128 v[66:69], off, off offset:368
	s_wait_loadcnt_dscnt 0xc01
	v_mul_f64_e32 v[8:9], v[102:103], v[72:73]
	v_mul_f64_e32 v[72:73], v[104:105], v[72:73]
	v_add_f64_e32 v[4:5], 0, v[4:5]
	v_add_f64_e32 v[112:113], 0, v[126:127]
	s_wait_loadcnt_dscnt 0xb00
	v_mul_f64_e32 v[126:127], v[118:119], v[76:77]
	v_mul_f64_e32 v[76:77], v[120:121], v[76:77]
	v_fmac_f64_e32 v[8:9], v[104:105], v[70:71]
	v_fma_f64 v[130:131], v[102:103], v[70:71], -v[72:73]
	ds_load_b128 v[70:73], v2 offset:640
	ds_load_b128 v[102:105], v2 offset:656
	v_add_f64_e32 v[4:5], v[4:5], v[110:111]
	v_add_f64_e32 v[128:129], v[112:113], v[128:129]
	scratch_load_b128 v[110:113], off, off offset:384
	v_fmac_f64_e32 v[126:127], v[120:121], v[74:75]
	v_fma_f64 v[118:119], v[118:119], v[74:75], -v[76:77]
	scratch_load_b128 v[74:77], off, off offset:400
	s_wait_loadcnt_dscnt 0xc01
	v_mul_f64_e32 v[132:133], v[70:71], v[80:81]
	v_mul_f64_e32 v[80:81], v[72:73], v[80:81]
	s_wait_loadcnt_dscnt 0xb00
	v_mul_f64_e32 v[120:121], v[102:103], v[84:85]
	v_mul_f64_e32 v[84:85], v[104:105], v[84:85]
	v_add_f64_e32 v[4:5], v[4:5], v[130:131]
	v_add_f64_e32 v[8:9], v[128:129], v[8:9]
	v_fmac_f64_e32 v[132:133], v[72:73], v[78:79]
	v_fma_f64 v[128:129], v[70:71], v[78:79], -v[80:81]
	ds_load_b128 v[70:73], v2 offset:672
	ds_load_b128 v[78:81], v2 offset:688
	v_fmac_f64_e32 v[120:121], v[104:105], v[82:83]
	v_fma_f64 v[82:83], v[102:103], v[82:83], -v[84:85]
	s_wait_loadcnt_dscnt 0x900
	v_mul_f64_e32 v[102:103], v[78:79], v[92:93]
	v_add_f64_e32 v[4:5], v[4:5], v[118:119]
	v_add_f64_e32 v[8:9], v[8:9], v[126:127]
	v_mul_f64_e32 v[118:119], v[70:71], v[88:89]
	v_mul_f64_e32 v[88:89], v[72:73], v[88:89]
	;; [unrolled: 1-line block ×3, first 2 shown]
	v_fmac_f64_e32 v[102:103], v[80:81], v[90:91]
	v_add_f64_e32 v[4:5], v[4:5], v[128:129]
	v_add_f64_e32 v[8:9], v[8:9], v[132:133]
	v_fmac_f64_e32 v[118:119], v[72:73], v[86:87]
	v_fma_f64 v[86:87], v[70:71], v[86:87], -v[88:89]
	v_fma_f64 v[78:79], v[78:79], v[90:91], -v[92:93]
	v_add_f64_e32 v[4:5], v[4:5], v[82:83]
	v_add_f64_e32 v[8:9], v[8:9], v[120:121]
	ds_load_b128 v[70:73], v2 offset:704
	ds_load_b128 v[82:85], v2 offset:720
	s_wait_loadcnt_dscnt 0x801
	v_mul_f64_e32 v[88:89], v[70:71], v[96:97]
	v_mul_f64_e32 v[96:97], v[72:73], v[96:97]
	s_wait_loadcnt_dscnt 0x700
	v_mul_f64_e32 v[90:91], v[84:85], v[100:101]
	v_add_f64_e32 v[4:5], v[4:5], v[86:87]
	v_add_f64_e32 v[8:9], v[8:9], v[118:119]
	v_mul_f64_e32 v[86:87], v[82:83], v[100:101]
	v_fmac_f64_e32 v[88:89], v[72:73], v[94:95]
	v_fma_f64 v[92:93], v[70:71], v[94:95], -v[96:97]
	v_fma_f64 v[82:83], v[82:83], v[98:99], -v[90:91]
	v_add_f64_e32 v[4:5], v[4:5], v[78:79]
	v_add_f64_e32 v[8:9], v[8:9], v[102:103]
	ds_load_b128 v[70:73], v2 offset:736
	ds_load_b128 v[78:81], v2 offset:752
	v_fmac_f64_e32 v[86:87], v[84:85], v[98:99]
	s_wait_loadcnt_dscnt 0x601
	v_mul_f64_e32 v[94:95], v[70:71], v[108:109]
	v_mul_f64_e32 v[96:97], v[72:73], v[108:109]
	v_add_f64_e32 v[4:5], v[4:5], v[92:93]
	v_add_f64_e32 v[8:9], v[8:9], v[88:89]
	s_wait_loadcnt_dscnt 0x400
	v_mul_f64_e32 v[88:89], v[78:79], v[12:13]
	v_mul_f64_e32 v[12:13], v[80:81], v[12:13]
	v_fmac_f64_e32 v[94:95], v[72:73], v[106:107]
	v_fma_f64 v[90:91], v[70:71], v[106:107], -v[96:97]
	v_add_f64_e32 v[4:5], v[4:5], v[82:83]
	v_add_f64_e32 v[8:9], v[8:9], v[86:87]
	ds_load_b128 v[70:73], v2 offset:768
	ds_load_b128 v[82:85], v2 offset:784
	v_fmac_f64_e32 v[88:89], v[80:81], v[10:11]
	v_fma_f64 v[10:11], v[78:79], v[10:11], -v[12:13]
	s_wait_loadcnt_dscnt 0x301
	v_mul_f64_e32 v[86:87], v[70:71], v[124:125]
	v_mul_f64_e32 v[92:93], v[72:73], v[124:125]
	s_wait_loadcnt_dscnt 0x200
	v_mul_f64_e32 v[12:13], v[82:83], v[68:69]
	v_mul_f64_e32 v[68:69], v[84:85], v[68:69]
	v_add_f64_e32 v[4:5], v[4:5], v[90:91]
	v_add_f64_e32 v[8:9], v[8:9], v[94:95]
	v_fmac_f64_e32 v[86:87], v[72:73], v[122:123]
	v_fma_f64 v[70:71], v[70:71], v[122:123], -v[92:93]
	v_fmac_f64_e32 v[12:13], v[84:85], v[66:67]
	v_fma_f64 v[66:67], v[82:83], v[66:67], -v[68:69]
	v_add_f64_e32 v[72:73], v[4:5], v[10:11]
	v_add_f64_e32 v[78:79], v[8:9], v[88:89]
	ds_load_b128 v[8:11], v2 offset:800
	ds_load_b128 v[2:5], v2 offset:816
	s_wait_loadcnt_dscnt 0x101
	v_mul_f64_e32 v[80:81], v[8:9], v[112:113]
	v_mul_f64_e32 v[88:89], v[10:11], v[112:113]
	v_add_f64_e32 v[68:69], v[72:73], v[70:71]
	v_add_f64_e32 v[70:71], v[78:79], v[86:87]
	s_wait_loadcnt_dscnt 0x0
	v_mul_f64_e32 v[72:73], v[2:3], v[76:77]
	v_mul_f64_e32 v[76:77], v[4:5], v[76:77]
	v_fmac_f64_e32 v[80:81], v[10:11], v[110:111]
	v_fma_f64 v[8:9], v[8:9], v[110:111], -v[88:89]
	v_add_f64_e32 v[10:11], v[68:69], v[66:67]
	v_add_f64_e32 v[12:13], v[70:71], v[12:13]
	v_fmac_f64_e32 v[72:73], v[4:5], v[74:75]
	v_fma_f64 v[2:3], v[2:3], v[74:75], -v[76:77]
	s_delay_alu instid0(VALU_DEP_4) | instskip(NEXT) | instid1(VALU_DEP_4)
	v_add_f64_e32 v[4:5], v[10:11], v[8:9]
	v_add_f64_e32 v[8:9], v[12:13], v[80:81]
	s_delay_alu instid0(VALU_DEP_2) | instskip(NEXT) | instid1(VALU_DEP_2)
	v_add_f64_e32 v[2:3], v[4:5], v[2:3]
	v_add_f64_e32 v[4:5], v[8:9], v[72:73]
	s_delay_alu instid0(VALU_DEP_2) | instskip(NEXT) | instid1(VALU_DEP_2)
	v_add_f64_e64 v[2:3], v[114:115], -v[2:3]
	v_add_f64_e64 v[4:5], v[116:117], -v[4:5]
	scratch_store_b128 off, v[2:5], off offset:144
	s_wait_xcnt 0x0
	v_cmpx_lt_u32_e32 8, v1
	s_cbranch_execz .LBB89_153
; %bb.152:
	scratch_load_b128 v[2:5], off, s26
	v_mov_b32_e32 v8, 0
	s_delay_alu instid0(VALU_DEP_1)
	v_dual_mov_b32 v9, v8 :: v_dual_mov_b32 v10, v8
	v_mov_b32_e32 v11, v8
	scratch_store_b128 off, v[8:11], off offset:128
	s_wait_loadcnt 0x0
	ds_store_b128 v6, v[2:5]
.LBB89_153:
	s_wait_xcnt 0x0
	s_or_b32 exec_lo, exec_lo, s2
	s_wait_storecnt_dscnt 0x0
	s_barrier_signal -1
	s_barrier_wait -1
	s_clause 0x9
	scratch_load_b128 v[8:11], off, off offset:144
	scratch_load_b128 v[66:69], off, off offset:160
	;; [unrolled: 1-line block ×10, first 2 shown]
	v_mov_b32_e32 v2, 0
	s_mov_b32 s2, exec_lo
	ds_load_b128 v[102:105], v2 offset:560
	s_clause 0x2
	scratch_load_b128 v[106:109], off, off offset:304
	scratch_load_b128 v[110:113], off, off offset:128
	;; [unrolled: 1-line block ×3, first 2 shown]
	s_wait_loadcnt_dscnt 0xc00
	v_mul_f64_e32 v[4:5], v[104:105], v[10:11]
	v_mul_f64_e32 v[126:127], v[102:103], v[10:11]
	ds_load_b128 v[114:117], v2 offset:576
	scratch_load_b128 v[10:13], off, off offset:320
	ds_load_b128 v[122:125], v2 offset:608
	v_fma_f64 v[4:5], v[102:103], v[8:9], -v[4:5]
	v_fmac_f64_e32 v[126:127], v[104:105], v[8:9]
	ds_load_b128 v[102:105], v2 offset:592
	s_wait_loadcnt_dscnt 0xc02
	v_mul_f64_e32 v[128:129], v[114:115], v[68:69]
	v_mul_f64_e32 v[68:69], v[116:117], v[68:69]
	s_wait_loadcnt_dscnt 0xb00
	v_mul_f64_e32 v[8:9], v[102:103], v[72:73]
	v_mul_f64_e32 v[72:73], v[104:105], v[72:73]
	v_add_f64_e32 v[4:5], 0, v[4:5]
	v_fmac_f64_e32 v[128:129], v[116:117], v[66:67]
	v_fma_f64 v[114:115], v[114:115], v[66:67], -v[68:69]
	v_add_f64_e32 v[116:117], 0, v[126:127]
	scratch_load_b128 v[66:69], off, off offset:352
	v_fmac_f64_e32 v[8:9], v[104:105], v[70:71]
	v_fma_f64 v[130:131], v[102:103], v[70:71], -v[72:73]
	ds_load_b128 v[70:73], v2 offset:624
	s_wait_loadcnt 0xb
	v_mul_f64_e32 v[126:127], v[122:123], v[76:77]
	v_mul_f64_e32 v[76:77], v[124:125], v[76:77]
	scratch_load_b128 v[102:105], off, off offset:368
	v_add_f64_e32 v[4:5], v[4:5], v[114:115]
	v_add_f64_e32 v[128:129], v[116:117], v[128:129]
	ds_load_b128 v[114:117], v2 offset:640
	s_wait_loadcnt_dscnt 0xb01
	v_mul_f64_e32 v[132:133], v[70:71], v[80:81]
	v_mul_f64_e32 v[80:81], v[72:73], v[80:81]
	v_fmac_f64_e32 v[126:127], v[124:125], v[74:75]
	v_fma_f64 v[122:123], v[122:123], v[74:75], -v[76:77]
	scratch_load_b128 v[74:77], off, off offset:384
	v_add_f64_e32 v[4:5], v[4:5], v[130:131]
	v_add_f64_e32 v[8:9], v[128:129], v[8:9]
	v_fmac_f64_e32 v[132:133], v[72:73], v[78:79]
	v_fma_f64 v[130:131], v[70:71], v[78:79], -v[80:81]
	ds_load_b128 v[70:73], v2 offset:656
	s_wait_loadcnt_dscnt 0xb01
	v_mul_f64_e32 v[128:129], v[114:115], v[84:85]
	v_mul_f64_e32 v[84:85], v[116:117], v[84:85]
	scratch_load_b128 v[78:81], off, off offset:400
	v_add_f64_e32 v[4:5], v[4:5], v[122:123]
	v_add_f64_e32 v[8:9], v[8:9], v[126:127]
	s_wait_loadcnt_dscnt 0xb00
	v_mul_f64_e32 v[126:127], v[70:71], v[88:89]
	v_mul_f64_e32 v[88:89], v[72:73], v[88:89]
	ds_load_b128 v[122:125], v2 offset:672
	v_fmac_f64_e32 v[128:129], v[116:117], v[82:83]
	v_fma_f64 v[82:83], v[114:115], v[82:83], -v[84:85]
	s_wait_loadcnt_dscnt 0xa00
	v_mul_f64_e32 v[114:115], v[122:123], v[92:93]
	v_mul_f64_e32 v[92:93], v[124:125], v[92:93]
	v_add_f64_e32 v[4:5], v[4:5], v[130:131]
	v_add_f64_e32 v[8:9], v[8:9], v[132:133]
	v_fmac_f64_e32 v[126:127], v[72:73], v[86:87]
	v_fma_f64 v[86:87], v[70:71], v[86:87], -v[88:89]
	v_fmac_f64_e32 v[114:115], v[124:125], v[90:91]
	v_fma_f64 v[90:91], v[122:123], v[90:91], -v[92:93]
	v_add_f64_e32 v[4:5], v[4:5], v[82:83]
	v_add_f64_e32 v[8:9], v[8:9], v[128:129]
	ds_load_b128 v[70:73], v2 offset:688
	ds_load_b128 v[82:85], v2 offset:704
	s_wait_loadcnt_dscnt 0x901
	v_mul_f64_e32 v[116:117], v[70:71], v[96:97]
	v_mul_f64_e32 v[88:89], v[72:73], v[96:97]
	s_wait_loadcnt_dscnt 0x800
	v_mul_f64_e32 v[92:93], v[82:83], v[100:101]
	v_mul_f64_e32 v[96:97], v[84:85], v[100:101]
	v_add_f64_e32 v[4:5], v[4:5], v[86:87]
	v_add_f64_e32 v[8:9], v[8:9], v[126:127]
	v_fmac_f64_e32 v[116:117], v[72:73], v[94:95]
	v_fma_f64 v[94:95], v[70:71], v[94:95], -v[88:89]
	ds_load_b128 v[70:73], v2 offset:720
	ds_load_b128 v[86:89], v2 offset:736
	v_fmac_f64_e32 v[92:93], v[84:85], v[98:99]
	v_fma_f64 v[82:83], v[82:83], v[98:99], -v[96:97]
	v_add_f64_e32 v[4:5], v[4:5], v[90:91]
	v_add_f64_e32 v[8:9], v[8:9], v[114:115]
	s_wait_loadcnt_dscnt 0x701
	v_mul_f64_e32 v[90:91], v[70:71], v[108:109]
	v_mul_f64_e32 v[100:101], v[72:73], v[108:109]
	s_delay_alu instid0(VALU_DEP_4) | instskip(NEXT) | instid1(VALU_DEP_4)
	v_add_f64_e32 v[4:5], v[4:5], v[94:95]
	v_add_f64_e32 v[8:9], v[8:9], v[116:117]
	s_wait_loadcnt_dscnt 0x400
	v_mul_f64_e32 v[94:95], v[86:87], v[12:13]
	v_mul_f64_e32 v[12:13], v[88:89], v[12:13]
	v_fmac_f64_e32 v[90:91], v[72:73], v[106:107]
	v_fma_f64 v[96:97], v[70:71], v[106:107], -v[100:101]
	v_add_f64_e32 v[4:5], v[4:5], v[82:83]
	v_add_f64_e32 v[8:9], v[8:9], v[92:93]
	ds_load_b128 v[70:73], v2 offset:752
	ds_load_b128 v[82:85], v2 offset:768
	v_fmac_f64_e32 v[94:95], v[88:89], v[10:11]
	v_fma_f64 v[10:11], v[86:87], v[10:11], -v[12:13]
	s_wait_dscnt 0x1
	v_mul_f64_e32 v[92:93], v[70:71], v[120:121]
	v_mul_f64_e32 v[98:99], v[72:73], v[120:121]
	v_add_f64_e32 v[4:5], v[4:5], v[96:97]
	v_add_f64_e32 v[8:9], v[8:9], v[90:91]
	s_wait_loadcnt_dscnt 0x300
	v_mul_f64_e32 v[12:13], v[82:83], v[68:69]
	v_mul_f64_e32 v[86:87], v[84:85], v[68:69]
	v_fmac_f64_e32 v[92:93], v[72:73], v[118:119]
	v_fma_f64 v[72:73], v[70:71], v[118:119], -v[98:99]
	v_add_f64_e32 v[4:5], v[4:5], v[10:11]
	v_add_f64_e32 v[88:89], v[8:9], v[94:95]
	ds_load_b128 v[8:11], v2 offset:784
	ds_load_b128 v[68:71], v2 offset:800
	v_fmac_f64_e32 v[12:13], v[84:85], v[66:67]
	v_fma_f64 v[66:67], v[82:83], v[66:67], -v[86:87]
	s_wait_loadcnt_dscnt 0x201
	v_mul_f64_e32 v[90:91], v[8:9], v[104:105]
	v_mul_f64_e32 v[94:95], v[10:11], v[104:105]
	s_wait_loadcnt_dscnt 0x100
	v_mul_f64_e32 v[82:83], v[68:69], v[76:77]
	v_mul_f64_e32 v[76:77], v[70:71], v[76:77]
	v_add_f64_e32 v[4:5], v[4:5], v[72:73]
	v_add_f64_e32 v[72:73], v[88:89], v[92:93]
	v_fmac_f64_e32 v[90:91], v[10:11], v[102:103]
	v_fma_f64 v[84:85], v[8:9], v[102:103], -v[94:95]
	ds_load_b128 v[8:11], v2 offset:816
	v_fmac_f64_e32 v[82:83], v[70:71], v[74:75]
	v_fma_f64 v[68:69], v[68:69], v[74:75], -v[76:77]
	v_add_f64_e32 v[4:5], v[4:5], v[66:67]
	v_add_f64_e32 v[12:13], v[72:73], v[12:13]
	s_wait_loadcnt_dscnt 0x0
	v_mul_f64_e32 v[66:67], v[8:9], v[80:81]
	v_mul_f64_e32 v[72:73], v[10:11], v[80:81]
	s_delay_alu instid0(VALU_DEP_4) | instskip(NEXT) | instid1(VALU_DEP_4)
	v_add_f64_e32 v[4:5], v[4:5], v[84:85]
	v_add_f64_e32 v[12:13], v[12:13], v[90:91]
	s_delay_alu instid0(VALU_DEP_4) | instskip(NEXT) | instid1(VALU_DEP_4)
	v_fmac_f64_e32 v[66:67], v[10:11], v[78:79]
	v_fma_f64 v[8:9], v[8:9], v[78:79], -v[72:73]
	s_delay_alu instid0(VALU_DEP_4) | instskip(NEXT) | instid1(VALU_DEP_4)
	v_add_f64_e32 v[4:5], v[4:5], v[68:69]
	v_add_f64_e32 v[10:11], v[12:13], v[82:83]
	s_delay_alu instid0(VALU_DEP_2) | instskip(NEXT) | instid1(VALU_DEP_2)
	v_add_f64_e32 v[4:5], v[4:5], v[8:9]
	v_add_f64_e32 v[10:11], v[10:11], v[66:67]
	s_delay_alu instid0(VALU_DEP_2) | instskip(NEXT) | instid1(VALU_DEP_2)
	v_add_f64_e64 v[8:9], v[110:111], -v[4:5]
	v_add_f64_e64 v[10:11], v[112:113], -v[10:11]
	scratch_store_b128 off, v[8:11], off offset:128
	s_wait_xcnt 0x0
	v_cmpx_lt_u32_e32 7, v1
	s_cbranch_execz .LBB89_155
; %bb.154:
	scratch_load_b128 v[8:11], off, s13
	v_dual_mov_b32 v3, v2 :: v_dual_mov_b32 v4, v2
	v_mov_b32_e32 v5, v2
	scratch_store_b128 off, v[2:5], off offset:112
	s_wait_loadcnt 0x0
	ds_store_b128 v6, v[8:11]
.LBB89_155:
	s_wait_xcnt 0x0
	s_or_b32 exec_lo, exec_lo, s2
	s_wait_storecnt_dscnt 0x0
	s_barrier_signal -1
	s_barrier_wait -1
	s_clause 0x9
	scratch_load_b128 v[8:11], off, off offset:128
	scratch_load_b128 v[66:69], off, off offset:144
	scratch_load_b128 v[70:73], off, off offset:160
	scratch_load_b128 v[74:77], off, off offset:176
	scratch_load_b128 v[78:81], off, off offset:192
	scratch_load_b128 v[82:85], off, off offset:208
	scratch_load_b128 v[86:89], off, off offset:224
	scratch_load_b128 v[90:93], off, off offset:240
	scratch_load_b128 v[94:97], off, off offset:256
	scratch_load_b128 v[98:101], off, off offset:272
	ds_load_b128 v[102:105], v2 offset:544
	ds_load_b128 v[110:113], v2 offset:560
	s_clause 0x1
	scratch_load_b128 v[106:109], off, off offset:288
	scratch_load_b128 v[114:117], off, off offset:112
	s_mov_b32 s2, exec_lo
	s_wait_loadcnt_dscnt 0xb01
	v_mul_f64_e32 v[4:5], v[104:105], v[10:11]
	v_mul_f64_e32 v[126:127], v[102:103], v[10:11]
	scratch_load_b128 v[10:13], off, off offset:304
	s_wait_loadcnt_dscnt 0xb00
	v_mul_f64_e32 v[128:129], v[110:111], v[68:69]
	v_mul_f64_e32 v[68:69], v[112:113], v[68:69]
	v_fma_f64 v[4:5], v[102:103], v[8:9], -v[4:5]
	v_fmac_f64_e32 v[126:127], v[104:105], v[8:9]
	ds_load_b128 v[102:105], v2 offset:576
	ds_load_b128 v[118:121], v2 offset:592
	scratch_load_b128 v[122:125], off, off offset:320
	v_fmac_f64_e32 v[128:129], v[112:113], v[66:67]
	v_fma_f64 v[110:111], v[110:111], v[66:67], -v[68:69]
	scratch_load_b128 v[66:69], off, off offset:336
	s_wait_loadcnt_dscnt 0xc01
	v_mul_f64_e32 v[8:9], v[102:103], v[72:73]
	v_mul_f64_e32 v[72:73], v[104:105], v[72:73]
	v_add_f64_e32 v[4:5], 0, v[4:5]
	v_add_f64_e32 v[112:113], 0, v[126:127]
	s_wait_loadcnt_dscnt 0xb00
	v_mul_f64_e32 v[126:127], v[118:119], v[76:77]
	v_mul_f64_e32 v[76:77], v[120:121], v[76:77]
	v_fmac_f64_e32 v[8:9], v[104:105], v[70:71]
	v_fma_f64 v[130:131], v[102:103], v[70:71], -v[72:73]
	ds_load_b128 v[70:73], v2 offset:608
	ds_load_b128 v[102:105], v2 offset:624
	v_add_f64_e32 v[4:5], v[4:5], v[110:111]
	v_add_f64_e32 v[128:129], v[112:113], v[128:129]
	scratch_load_b128 v[110:113], off, off offset:352
	v_fmac_f64_e32 v[126:127], v[120:121], v[74:75]
	v_fma_f64 v[118:119], v[118:119], v[74:75], -v[76:77]
	scratch_load_b128 v[74:77], off, off offset:368
	s_wait_loadcnt_dscnt 0xc01
	v_mul_f64_e32 v[132:133], v[70:71], v[80:81]
	v_mul_f64_e32 v[80:81], v[72:73], v[80:81]
	v_add_f64_e32 v[4:5], v[4:5], v[130:131]
	v_add_f64_e32 v[8:9], v[128:129], v[8:9]
	s_wait_loadcnt_dscnt 0xb00
	v_mul_f64_e32 v[128:129], v[102:103], v[84:85]
	v_mul_f64_e32 v[84:85], v[104:105], v[84:85]
	v_fmac_f64_e32 v[132:133], v[72:73], v[78:79]
	v_fma_f64 v[130:131], v[70:71], v[78:79], -v[80:81]
	ds_load_b128 v[70:73], v2 offset:640
	ds_load_b128 v[78:81], v2 offset:656
	v_add_f64_e32 v[4:5], v[4:5], v[118:119]
	v_add_f64_e32 v[8:9], v[8:9], v[126:127]
	scratch_load_b128 v[118:121], off, off offset:384
	s_wait_loadcnt_dscnt 0xb01
	v_mul_f64_e32 v[126:127], v[70:71], v[88:89]
	v_mul_f64_e32 v[88:89], v[72:73], v[88:89]
	v_fmac_f64_e32 v[128:129], v[104:105], v[82:83]
	v_fma_f64 v[102:103], v[102:103], v[82:83], -v[84:85]
	scratch_load_b128 v[82:85], off, off offset:400
	s_wait_loadcnt_dscnt 0xb00
	v_mul_f64_e32 v[104:105], v[78:79], v[92:93]
	v_mul_f64_e32 v[92:93], v[80:81], v[92:93]
	v_add_f64_e32 v[4:5], v[4:5], v[130:131]
	v_add_f64_e32 v[8:9], v[8:9], v[132:133]
	v_fmac_f64_e32 v[126:127], v[72:73], v[86:87]
	v_fma_f64 v[130:131], v[70:71], v[86:87], -v[88:89]
	ds_load_b128 v[70:73], v2 offset:672
	ds_load_b128 v[86:89], v2 offset:688
	v_fmac_f64_e32 v[104:105], v[80:81], v[90:91]
	v_fma_f64 v[78:79], v[78:79], v[90:91], -v[92:93]
	s_wait_loadcnt_dscnt 0x900
	v_mul_f64_e32 v[90:91], v[86:87], v[100:101]
	v_mul_f64_e32 v[92:93], v[88:89], v[100:101]
	v_add_f64_e32 v[4:5], v[4:5], v[102:103]
	v_add_f64_e32 v[8:9], v[8:9], v[128:129]
	v_mul_f64_e32 v[102:103], v[70:71], v[96:97]
	v_mul_f64_e32 v[96:97], v[72:73], v[96:97]
	v_fmac_f64_e32 v[90:91], v[88:89], v[98:99]
	v_fma_f64 v[86:87], v[86:87], v[98:99], -v[92:93]
	v_add_f64_e32 v[4:5], v[4:5], v[130:131]
	v_add_f64_e32 v[8:9], v[8:9], v[126:127]
	v_fmac_f64_e32 v[102:103], v[72:73], v[94:95]
	v_fma_f64 v[94:95], v[70:71], v[94:95], -v[96:97]
	s_delay_alu instid0(VALU_DEP_4) | instskip(NEXT) | instid1(VALU_DEP_4)
	v_add_f64_e32 v[4:5], v[4:5], v[78:79]
	v_add_f64_e32 v[8:9], v[8:9], v[104:105]
	ds_load_b128 v[70:73], v2 offset:704
	ds_load_b128 v[78:81], v2 offset:720
	s_wait_loadcnt_dscnt 0x801
	v_mul_f64_e32 v[96:97], v[70:71], v[108:109]
	v_mul_f64_e32 v[100:101], v[72:73], v[108:109]
	v_add_f64_e32 v[4:5], v[4:5], v[94:95]
	v_add_f64_e32 v[8:9], v[8:9], v[102:103]
	s_wait_loadcnt_dscnt 0x600
	v_mul_f64_e32 v[92:93], v[78:79], v[12:13]
	v_mul_f64_e32 v[12:13], v[80:81], v[12:13]
	v_fmac_f64_e32 v[96:97], v[72:73], v[106:107]
	v_fma_f64 v[94:95], v[70:71], v[106:107], -v[100:101]
	v_add_f64_e32 v[4:5], v[4:5], v[86:87]
	v_add_f64_e32 v[8:9], v[8:9], v[90:91]
	ds_load_b128 v[70:73], v2 offset:736
	ds_load_b128 v[86:89], v2 offset:752
	v_fmac_f64_e32 v[92:93], v[80:81], v[10:11]
	v_fma_f64 v[10:11], v[78:79], v[10:11], -v[12:13]
	s_wait_loadcnt_dscnt 0x501
	v_mul_f64_e32 v[90:91], v[70:71], v[124:125]
	v_mul_f64_e32 v[98:99], v[72:73], v[124:125]
	s_wait_loadcnt_dscnt 0x400
	v_mul_f64_e32 v[12:13], v[86:87], v[68:69]
	v_mul_f64_e32 v[78:79], v[88:89], v[68:69]
	v_add_f64_e32 v[4:5], v[4:5], v[94:95]
	v_add_f64_e32 v[8:9], v[8:9], v[96:97]
	v_fmac_f64_e32 v[90:91], v[72:73], v[122:123]
	v_fma_f64 v[72:73], v[70:71], v[122:123], -v[98:99]
	v_fmac_f64_e32 v[12:13], v[88:89], v[66:67]
	v_fma_f64 v[66:67], v[86:87], v[66:67], -v[78:79]
	v_add_f64_e32 v[4:5], v[4:5], v[10:11]
	v_add_f64_e32 v[80:81], v[8:9], v[92:93]
	ds_load_b128 v[8:11], v2 offset:768
	ds_load_b128 v[68:71], v2 offset:784
	s_wait_loadcnt_dscnt 0x301
	v_mul_f64_e32 v[92:93], v[8:9], v[112:113]
	v_mul_f64_e32 v[94:95], v[10:11], v[112:113]
	s_wait_loadcnt_dscnt 0x200
	v_mul_f64_e32 v[78:79], v[68:69], v[76:77]
	v_mul_f64_e32 v[76:77], v[70:71], v[76:77]
	v_add_f64_e32 v[4:5], v[4:5], v[72:73]
	v_add_f64_e32 v[72:73], v[80:81], v[90:91]
	v_fmac_f64_e32 v[92:93], v[10:11], v[110:111]
	v_fma_f64 v[80:81], v[8:9], v[110:111], -v[94:95]
	v_fmac_f64_e32 v[78:79], v[70:71], v[74:75]
	v_fma_f64 v[68:69], v[68:69], v[74:75], -v[76:77]
	v_add_f64_e32 v[66:67], v[4:5], v[66:67]
	v_add_f64_e32 v[12:13], v[72:73], v[12:13]
	ds_load_b128 v[8:11], v2 offset:800
	ds_load_b128 v[2:5], v2 offset:816
	s_wait_loadcnt_dscnt 0x101
	v_mul_f64_e32 v[72:73], v[8:9], v[120:121]
	v_mul_f64_e32 v[86:87], v[10:11], v[120:121]
	s_wait_loadcnt_dscnt 0x0
	v_mul_f64_e32 v[70:71], v[2:3], v[84:85]
	v_mul_f64_e32 v[74:75], v[4:5], v[84:85]
	v_add_f64_e32 v[66:67], v[66:67], v[80:81]
	v_add_f64_e32 v[12:13], v[12:13], v[92:93]
	v_fmac_f64_e32 v[72:73], v[10:11], v[118:119]
	v_fma_f64 v[8:9], v[8:9], v[118:119], -v[86:87]
	v_fmac_f64_e32 v[70:71], v[4:5], v[82:83]
	v_fma_f64 v[2:3], v[2:3], v[82:83], -v[74:75]
	v_add_f64_e32 v[10:11], v[66:67], v[68:69]
	v_add_f64_e32 v[12:13], v[12:13], v[78:79]
	s_delay_alu instid0(VALU_DEP_2) | instskip(NEXT) | instid1(VALU_DEP_2)
	v_add_f64_e32 v[4:5], v[10:11], v[8:9]
	v_add_f64_e32 v[8:9], v[12:13], v[72:73]
	s_delay_alu instid0(VALU_DEP_2) | instskip(NEXT) | instid1(VALU_DEP_2)
	;; [unrolled: 3-line block ×3, first 2 shown]
	v_add_f64_e64 v[2:3], v[114:115], -v[2:3]
	v_add_f64_e64 v[4:5], v[116:117], -v[4:5]
	scratch_store_b128 off, v[2:5], off offset:112
	s_wait_xcnt 0x0
	v_cmpx_lt_u32_e32 6, v1
	s_cbranch_execz .LBB89_157
; %bb.156:
	scratch_load_b128 v[2:5], off, s25
	v_mov_b32_e32 v8, 0
	s_delay_alu instid0(VALU_DEP_1)
	v_dual_mov_b32 v9, v8 :: v_dual_mov_b32 v10, v8
	v_mov_b32_e32 v11, v8
	scratch_store_b128 off, v[8:11], off offset:96
	s_wait_loadcnt 0x0
	ds_store_b128 v6, v[2:5]
.LBB89_157:
	s_wait_xcnt 0x0
	s_or_b32 exec_lo, exec_lo, s2
	s_wait_storecnt_dscnt 0x0
	s_barrier_signal -1
	s_barrier_wait -1
	s_clause 0x9
	scratch_load_b128 v[8:11], off, off offset:112
	scratch_load_b128 v[66:69], off, off offset:128
	;; [unrolled: 1-line block ×10, first 2 shown]
	v_mov_b32_e32 v2, 0
	s_mov_b32 s2, exec_lo
	ds_load_b128 v[102:105], v2 offset:528
	s_clause 0x2
	scratch_load_b128 v[106:109], off, off offset:272
	scratch_load_b128 v[110:113], off, off offset:96
	;; [unrolled: 1-line block ×3, first 2 shown]
	s_wait_loadcnt_dscnt 0xc00
	v_mul_f64_e32 v[4:5], v[104:105], v[10:11]
	v_mul_f64_e32 v[126:127], v[102:103], v[10:11]
	ds_load_b128 v[114:117], v2 offset:544
	scratch_load_b128 v[10:13], off, off offset:288
	ds_load_b128 v[122:125], v2 offset:576
	v_fma_f64 v[4:5], v[102:103], v[8:9], -v[4:5]
	v_fmac_f64_e32 v[126:127], v[104:105], v[8:9]
	ds_load_b128 v[102:105], v2 offset:560
	s_wait_loadcnt_dscnt 0xc02
	v_mul_f64_e32 v[128:129], v[114:115], v[68:69]
	v_mul_f64_e32 v[68:69], v[116:117], v[68:69]
	s_wait_loadcnt_dscnt 0xb00
	v_mul_f64_e32 v[8:9], v[102:103], v[72:73]
	v_mul_f64_e32 v[72:73], v[104:105], v[72:73]
	v_add_f64_e32 v[4:5], 0, v[4:5]
	v_fmac_f64_e32 v[128:129], v[116:117], v[66:67]
	v_fma_f64 v[114:115], v[114:115], v[66:67], -v[68:69]
	v_add_f64_e32 v[116:117], 0, v[126:127]
	scratch_load_b128 v[66:69], off, off offset:320
	v_fmac_f64_e32 v[8:9], v[104:105], v[70:71]
	v_fma_f64 v[130:131], v[102:103], v[70:71], -v[72:73]
	ds_load_b128 v[70:73], v2 offset:592
	s_wait_loadcnt 0xb
	v_mul_f64_e32 v[126:127], v[122:123], v[76:77]
	v_mul_f64_e32 v[76:77], v[124:125], v[76:77]
	scratch_load_b128 v[102:105], off, off offset:336
	v_add_f64_e32 v[4:5], v[4:5], v[114:115]
	v_add_f64_e32 v[128:129], v[116:117], v[128:129]
	ds_load_b128 v[114:117], v2 offset:608
	s_wait_loadcnt_dscnt 0xb01
	v_mul_f64_e32 v[132:133], v[70:71], v[80:81]
	v_mul_f64_e32 v[80:81], v[72:73], v[80:81]
	v_fmac_f64_e32 v[126:127], v[124:125], v[74:75]
	v_fma_f64 v[122:123], v[122:123], v[74:75], -v[76:77]
	scratch_load_b128 v[74:77], off, off offset:352
	v_add_f64_e32 v[4:5], v[4:5], v[130:131]
	v_add_f64_e32 v[8:9], v[128:129], v[8:9]
	v_fmac_f64_e32 v[132:133], v[72:73], v[78:79]
	v_fma_f64 v[130:131], v[70:71], v[78:79], -v[80:81]
	ds_load_b128 v[70:73], v2 offset:624
	s_wait_loadcnt_dscnt 0xb01
	v_mul_f64_e32 v[128:129], v[114:115], v[84:85]
	v_mul_f64_e32 v[84:85], v[116:117], v[84:85]
	scratch_load_b128 v[78:81], off, off offset:368
	v_add_f64_e32 v[4:5], v[4:5], v[122:123]
	v_add_f64_e32 v[8:9], v[8:9], v[126:127]
	s_wait_loadcnt_dscnt 0xb00
	v_mul_f64_e32 v[126:127], v[70:71], v[88:89]
	v_mul_f64_e32 v[88:89], v[72:73], v[88:89]
	ds_load_b128 v[122:125], v2 offset:640
	v_fmac_f64_e32 v[128:129], v[116:117], v[82:83]
	v_fma_f64 v[114:115], v[114:115], v[82:83], -v[84:85]
	scratch_load_b128 v[82:85], off, off offset:384
	v_add_f64_e32 v[4:5], v[4:5], v[130:131]
	v_add_f64_e32 v[8:9], v[8:9], v[132:133]
	v_fmac_f64_e32 v[126:127], v[72:73], v[86:87]
	v_fma_f64 v[132:133], v[70:71], v[86:87], -v[88:89]
	ds_load_b128 v[70:73], v2 offset:656
	s_wait_loadcnt_dscnt 0xb01
	v_mul_f64_e32 v[130:131], v[122:123], v[92:93]
	v_mul_f64_e32 v[92:93], v[124:125], v[92:93]
	scratch_load_b128 v[86:89], off, off offset:400
	v_add_f64_e32 v[4:5], v[4:5], v[114:115]
	v_add_f64_e32 v[8:9], v[8:9], v[128:129]
	s_wait_loadcnt_dscnt 0xb00
	v_mul_f64_e32 v[128:129], v[70:71], v[96:97]
	v_mul_f64_e32 v[96:97], v[72:73], v[96:97]
	ds_load_b128 v[114:117], v2 offset:672
	v_fmac_f64_e32 v[130:131], v[124:125], v[90:91]
	v_fma_f64 v[90:91], v[122:123], v[90:91], -v[92:93]
	s_wait_loadcnt_dscnt 0xa00
	v_mul_f64_e32 v[122:123], v[114:115], v[100:101]
	v_mul_f64_e32 v[100:101], v[116:117], v[100:101]
	v_add_f64_e32 v[4:5], v[4:5], v[132:133]
	v_add_f64_e32 v[8:9], v[8:9], v[126:127]
	v_fmac_f64_e32 v[128:129], v[72:73], v[94:95]
	v_fma_f64 v[94:95], v[70:71], v[94:95], -v[96:97]
	v_fmac_f64_e32 v[122:123], v[116:117], v[98:99]
	v_fma_f64 v[98:99], v[114:115], v[98:99], -v[100:101]
	v_add_f64_e32 v[4:5], v[4:5], v[90:91]
	v_add_f64_e32 v[8:9], v[8:9], v[130:131]
	ds_load_b128 v[70:73], v2 offset:688
	ds_load_b128 v[90:93], v2 offset:704
	s_wait_loadcnt_dscnt 0x901
	v_mul_f64_e32 v[124:125], v[70:71], v[108:109]
	v_mul_f64_e32 v[96:97], v[72:73], v[108:109]
	s_wait_loadcnt_dscnt 0x600
	v_mul_f64_e32 v[100:101], v[90:91], v[12:13]
	v_add_f64_e32 v[4:5], v[4:5], v[94:95]
	v_add_f64_e32 v[8:9], v[8:9], v[128:129]
	v_mul_f64_e32 v[12:13], v[92:93], v[12:13]
	v_fmac_f64_e32 v[124:125], v[72:73], v[106:107]
	v_fma_f64 v[106:107], v[70:71], v[106:107], -v[96:97]
	ds_load_b128 v[70:73], v2 offset:720
	ds_load_b128 v[94:97], v2 offset:736
	v_fmac_f64_e32 v[100:101], v[92:93], v[10:11]
	v_add_f64_e32 v[4:5], v[4:5], v[98:99]
	v_add_f64_e32 v[8:9], v[8:9], v[122:123]
	v_fma_f64 v[10:11], v[90:91], v[10:11], -v[12:13]
	s_wait_dscnt 0x1
	v_mul_f64_e32 v[98:99], v[70:71], v[120:121]
	v_mul_f64_e32 v[108:109], v[72:73], v[120:121]
	v_add_f64_e32 v[4:5], v[4:5], v[106:107]
	v_add_f64_e32 v[8:9], v[8:9], v[124:125]
	s_wait_loadcnt_dscnt 0x500
	v_mul_f64_e32 v[12:13], v[94:95], v[68:69]
	v_mul_f64_e32 v[90:91], v[96:97], v[68:69]
	v_fmac_f64_e32 v[98:99], v[72:73], v[118:119]
	v_fma_f64 v[72:73], v[70:71], v[118:119], -v[108:109]
	v_add_f64_e32 v[4:5], v[4:5], v[10:11]
	v_add_f64_e32 v[92:93], v[8:9], v[100:101]
	ds_load_b128 v[8:11], v2 offset:752
	ds_load_b128 v[68:71], v2 offset:768
	v_fmac_f64_e32 v[12:13], v[96:97], v[66:67]
	v_fma_f64 v[66:67], v[94:95], v[66:67], -v[90:91]
	s_wait_loadcnt_dscnt 0x401
	v_mul_f64_e32 v[100:101], v[8:9], v[104:105]
	v_mul_f64_e32 v[104:105], v[10:11], v[104:105]
	s_wait_loadcnt_dscnt 0x300
	v_mul_f64_e32 v[94:95], v[68:69], v[76:77]
	v_mul_f64_e32 v[76:77], v[70:71], v[76:77]
	v_add_f64_e32 v[4:5], v[4:5], v[72:73]
	v_add_f64_e32 v[72:73], v[92:93], v[98:99]
	v_fmac_f64_e32 v[100:101], v[10:11], v[102:103]
	v_fma_f64 v[96:97], v[8:9], v[102:103], -v[104:105]
	ds_load_b128 v[8:11], v2 offset:784
	ds_load_b128 v[90:93], v2 offset:800
	v_fmac_f64_e32 v[94:95], v[70:71], v[74:75]
	v_fma_f64 v[68:69], v[68:69], v[74:75], -v[76:77]
	v_add_f64_e32 v[4:5], v[4:5], v[66:67]
	v_add_f64_e32 v[12:13], v[72:73], v[12:13]
	s_wait_loadcnt_dscnt 0x201
	v_mul_f64_e32 v[66:67], v[8:9], v[80:81]
	v_mul_f64_e32 v[72:73], v[10:11], v[80:81]
	s_wait_loadcnt_dscnt 0x100
	v_mul_f64_e32 v[70:71], v[90:91], v[84:85]
	v_mul_f64_e32 v[74:75], v[92:93], v[84:85]
	v_add_f64_e32 v[4:5], v[4:5], v[96:97]
	v_add_f64_e32 v[12:13], v[12:13], v[100:101]
	v_fmac_f64_e32 v[66:67], v[10:11], v[78:79]
	v_fma_f64 v[72:73], v[8:9], v[78:79], -v[72:73]
	ds_load_b128 v[8:11], v2 offset:816
	v_fmac_f64_e32 v[70:71], v[92:93], v[82:83]
	v_fma_f64 v[74:75], v[90:91], v[82:83], -v[74:75]
	s_wait_loadcnt_dscnt 0x0
	v_mul_f64_e32 v[76:77], v[10:11], v[88:89]
	v_add_f64_e32 v[4:5], v[4:5], v[68:69]
	v_add_f64_e32 v[12:13], v[12:13], v[94:95]
	v_mul_f64_e32 v[68:69], v[8:9], v[88:89]
	s_delay_alu instid0(VALU_DEP_4) | instskip(NEXT) | instid1(VALU_DEP_4)
	v_fma_f64 v[8:9], v[8:9], v[86:87], -v[76:77]
	v_add_f64_e32 v[4:5], v[4:5], v[72:73]
	s_delay_alu instid0(VALU_DEP_4) | instskip(NEXT) | instid1(VALU_DEP_4)
	v_add_f64_e32 v[12:13], v[12:13], v[66:67]
	v_fmac_f64_e32 v[68:69], v[10:11], v[86:87]
	s_delay_alu instid0(VALU_DEP_3) | instskip(NEXT) | instid1(VALU_DEP_3)
	v_add_f64_e32 v[4:5], v[4:5], v[74:75]
	v_add_f64_e32 v[10:11], v[12:13], v[70:71]
	s_delay_alu instid0(VALU_DEP_2) | instskip(NEXT) | instid1(VALU_DEP_2)
	v_add_f64_e32 v[4:5], v[4:5], v[8:9]
	v_add_f64_e32 v[10:11], v[10:11], v[68:69]
	s_delay_alu instid0(VALU_DEP_2) | instskip(NEXT) | instid1(VALU_DEP_2)
	v_add_f64_e64 v[8:9], v[110:111], -v[4:5]
	v_add_f64_e64 v[10:11], v[112:113], -v[10:11]
	scratch_store_b128 off, v[8:11], off offset:96
	s_wait_xcnt 0x0
	v_cmpx_lt_u32_e32 5, v1
	s_cbranch_execz .LBB89_159
; %bb.158:
	scratch_load_b128 v[8:11], off, s12
	v_dual_mov_b32 v3, v2 :: v_dual_mov_b32 v4, v2
	v_mov_b32_e32 v5, v2
	scratch_store_b128 off, v[2:5], off offset:80
	s_wait_loadcnt 0x0
	ds_store_b128 v6, v[8:11]
.LBB89_159:
	s_wait_xcnt 0x0
	s_or_b32 exec_lo, exec_lo, s2
	s_wait_storecnt_dscnt 0x0
	s_barrier_signal -1
	s_barrier_wait -1
	s_clause 0x9
	scratch_load_b128 v[8:11], off, off offset:96
	scratch_load_b128 v[66:69], off, off offset:112
	;; [unrolled: 1-line block ×10, first 2 shown]
	ds_load_b128 v[102:105], v2 offset:512
	ds_load_b128 v[110:113], v2 offset:528
	s_clause 0x1
	scratch_load_b128 v[106:109], off, off offset:256
	scratch_load_b128 v[114:117], off, off offset:80
	s_mov_b32 s2, exec_lo
	s_wait_loadcnt_dscnt 0xb01
	v_mul_f64_e32 v[4:5], v[104:105], v[10:11]
	v_mul_f64_e32 v[126:127], v[102:103], v[10:11]
	scratch_load_b128 v[10:13], off, off offset:272
	s_wait_loadcnt_dscnt 0xb00
	v_mul_f64_e32 v[128:129], v[110:111], v[68:69]
	v_mul_f64_e32 v[68:69], v[112:113], v[68:69]
	v_fma_f64 v[4:5], v[102:103], v[8:9], -v[4:5]
	v_fmac_f64_e32 v[126:127], v[104:105], v[8:9]
	ds_load_b128 v[102:105], v2 offset:544
	ds_load_b128 v[118:121], v2 offset:560
	scratch_load_b128 v[122:125], off, off offset:288
	v_fmac_f64_e32 v[128:129], v[112:113], v[66:67]
	v_fma_f64 v[110:111], v[110:111], v[66:67], -v[68:69]
	scratch_load_b128 v[66:69], off, off offset:304
	s_wait_loadcnt_dscnt 0xc01
	v_mul_f64_e32 v[8:9], v[102:103], v[72:73]
	v_mul_f64_e32 v[72:73], v[104:105], v[72:73]
	v_add_f64_e32 v[4:5], 0, v[4:5]
	v_add_f64_e32 v[112:113], 0, v[126:127]
	s_wait_loadcnt_dscnt 0xb00
	v_mul_f64_e32 v[126:127], v[118:119], v[76:77]
	v_mul_f64_e32 v[76:77], v[120:121], v[76:77]
	v_fmac_f64_e32 v[8:9], v[104:105], v[70:71]
	v_fma_f64 v[130:131], v[102:103], v[70:71], -v[72:73]
	ds_load_b128 v[70:73], v2 offset:576
	ds_load_b128 v[102:105], v2 offset:592
	v_add_f64_e32 v[4:5], v[4:5], v[110:111]
	v_add_f64_e32 v[128:129], v[112:113], v[128:129]
	scratch_load_b128 v[110:113], off, off offset:320
	v_fmac_f64_e32 v[126:127], v[120:121], v[74:75]
	v_fma_f64 v[118:119], v[118:119], v[74:75], -v[76:77]
	scratch_load_b128 v[74:77], off, off offset:336
	s_wait_loadcnt_dscnt 0xc01
	v_mul_f64_e32 v[132:133], v[70:71], v[80:81]
	v_mul_f64_e32 v[80:81], v[72:73], v[80:81]
	v_add_f64_e32 v[4:5], v[4:5], v[130:131]
	v_add_f64_e32 v[8:9], v[128:129], v[8:9]
	s_wait_loadcnt_dscnt 0xb00
	v_mul_f64_e32 v[128:129], v[102:103], v[84:85]
	v_mul_f64_e32 v[84:85], v[104:105], v[84:85]
	v_fmac_f64_e32 v[132:133], v[72:73], v[78:79]
	v_fma_f64 v[130:131], v[70:71], v[78:79], -v[80:81]
	ds_load_b128 v[70:73], v2 offset:608
	ds_load_b128 v[78:81], v2 offset:624
	v_add_f64_e32 v[4:5], v[4:5], v[118:119]
	v_add_f64_e32 v[8:9], v[8:9], v[126:127]
	scratch_load_b128 v[118:121], off, off offset:352
	s_wait_loadcnt_dscnt 0xb01
	v_mul_f64_e32 v[126:127], v[70:71], v[88:89]
	v_mul_f64_e32 v[88:89], v[72:73], v[88:89]
	v_fmac_f64_e32 v[128:129], v[104:105], v[82:83]
	v_fma_f64 v[102:103], v[102:103], v[82:83], -v[84:85]
	scratch_load_b128 v[82:85], off, off offset:368
	v_add_f64_e32 v[4:5], v[4:5], v[130:131]
	v_add_f64_e32 v[8:9], v[8:9], v[132:133]
	s_wait_loadcnt_dscnt 0xb00
	v_mul_f64_e32 v[130:131], v[78:79], v[92:93]
	v_mul_f64_e32 v[92:93], v[80:81], v[92:93]
	v_fmac_f64_e32 v[126:127], v[72:73], v[86:87]
	v_fma_f64 v[132:133], v[70:71], v[86:87], -v[88:89]
	ds_load_b128 v[70:73], v2 offset:640
	ds_load_b128 v[86:89], v2 offset:656
	v_add_f64_e32 v[4:5], v[4:5], v[102:103]
	v_add_f64_e32 v[8:9], v[8:9], v[128:129]
	scratch_load_b128 v[102:105], off, off offset:384
	s_wait_loadcnt_dscnt 0xb01
	v_mul_f64_e32 v[128:129], v[70:71], v[96:97]
	v_mul_f64_e32 v[96:97], v[72:73], v[96:97]
	v_fmac_f64_e32 v[130:131], v[80:81], v[90:91]
	v_fma_f64 v[90:91], v[78:79], v[90:91], -v[92:93]
	scratch_load_b128 v[78:81], off, off offset:400
	v_add_f64_e32 v[4:5], v[4:5], v[132:133]
	v_add_f64_e32 v[8:9], v[8:9], v[126:127]
	s_wait_loadcnt_dscnt 0xb00
	v_mul_f64_e32 v[126:127], v[86:87], v[100:101]
	v_mul_f64_e32 v[100:101], v[88:89], v[100:101]
	v_fmac_f64_e32 v[128:129], v[72:73], v[94:95]
	v_fma_f64 v[94:95], v[70:71], v[94:95], -v[96:97]
	v_add_f64_e32 v[4:5], v[4:5], v[90:91]
	v_add_f64_e32 v[8:9], v[8:9], v[130:131]
	ds_load_b128 v[70:73], v2 offset:672
	ds_load_b128 v[90:93], v2 offset:688
	v_fmac_f64_e32 v[126:127], v[88:89], v[98:99]
	v_fma_f64 v[86:87], v[86:87], v[98:99], -v[100:101]
	s_wait_loadcnt_dscnt 0xa01
	v_mul_f64_e32 v[96:97], v[70:71], v[108:109]
	v_mul_f64_e32 v[108:109], v[72:73], v[108:109]
	v_add_f64_e32 v[4:5], v[4:5], v[94:95]
	v_add_f64_e32 v[8:9], v[8:9], v[128:129]
	s_wait_loadcnt_dscnt 0x800
	v_mul_f64_e32 v[94:95], v[90:91], v[12:13]
	v_mul_f64_e32 v[12:13], v[92:93], v[12:13]
	v_fmac_f64_e32 v[96:97], v[72:73], v[106:107]
	v_fma_f64 v[98:99], v[70:71], v[106:107], -v[108:109]
	v_add_f64_e32 v[4:5], v[4:5], v[86:87]
	v_add_f64_e32 v[8:9], v[8:9], v[126:127]
	ds_load_b128 v[70:73], v2 offset:704
	ds_load_b128 v[86:89], v2 offset:720
	v_fmac_f64_e32 v[94:95], v[92:93], v[10:11]
	v_fma_f64 v[10:11], v[90:91], v[10:11], -v[12:13]
	s_wait_loadcnt_dscnt 0x701
	v_mul_f64_e32 v[100:101], v[70:71], v[124:125]
	v_mul_f64_e32 v[106:107], v[72:73], v[124:125]
	s_wait_loadcnt_dscnt 0x600
	v_mul_f64_e32 v[12:13], v[86:87], v[68:69]
	v_mul_f64_e32 v[90:91], v[88:89], v[68:69]
	v_add_f64_e32 v[4:5], v[4:5], v[98:99]
	v_add_f64_e32 v[8:9], v[8:9], v[96:97]
	v_fmac_f64_e32 v[100:101], v[72:73], v[122:123]
	v_fma_f64 v[72:73], v[70:71], v[122:123], -v[106:107]
	v_fmac_f64_e32 v[12:13], v[88:89], v[66:67]
	v_fma_f64 v[66:67], v[86:87], v[66:67], -v[90:91]
	v_add_f64_e32 v[4:5], v[4:5], v[10:11]
	v_add_f64_e32 v[92:93], v[8:9], v[94:95]
	ds_load_b128 v[8:11], v2 offset:736
	ds_load_b128 v[68:71], v2 offset:752
	s_wait_loadcnt_dscnt 0x501
	v_mul_f64_e32 v[94:95], v[8:9], v[112:113]
	v_mul_f64_e32 v[96:97], v[10:11], v[112:113]
	s_wait_loadcnt_dscnt 0x400
	v_mul_f64_e32 v[90:91], v[68:69], v[76:77]
	v_mul_f64_e32 v[76:77], v[70:71], v[76:77]
	v_add_f64_e32 v[4:5], v[4:5], v[72:73]
	v_add_f64_e32 v[72:73], v[92:93], v[100:101]
	v_fmac_f64_e32 v[94:95], v[10:11], v[110:111]
	v_fma_f64 v[92:93], v[8:9], v[110:111], -v[96:97]
	ds_load_b128 v[8:11], v2 offset:768
	ds_load_b128 v[86:89], v2 offset:784
	v_fmac_f64_e32 v[90:91], v[70:71], v[74:75]
	v_fma_f64 v[68:69], v[68:69], v[74:75], -v[76:77]
	v_add_f64_e32 v[4:5], v[4:5], v[66:67]
	v_add_f64_e32 v[12:13], v[72:73], v[12:13]
	s_wait_loadcnt_dscnt 0x301
	v_mul_f64_e32 v[66:67], v[8:9], v[120:121]
	v_mul_f64_e32 v[72:73], v[10:11], v[120:121]
	s_wait_loadcnt_dscnt 0x200
	v_mul_f64_e32 v[70:71], v[86:87], v[84:85]
	v_mul_f64_e32 v[74:75], v[88:89], v[84:85]
	v_add_f64_e32 v[4:5], v[4:5], v[92:93]
	v_add_f64_e32 v[12:13], v[12:13], v[94:95]
	v_fmac_f64_e32 v[66:67], v[10:11], v[118:119]
	v_fma_f64 v[72:73], v[8:9], v[118:119], -v[72:73]
	v_fmac_f64_e32 v[70:71], v[88:89], v[82:83]
	v_fma_f64 v[74:75], v[86:87], v[82:83], -v[74:75]
	v_add_f64_e32 v[68:69], v[4:5], v[68:69]
	v_add_f64_e32 v[12:13], v[12:13], v[90:91]
	ds_load_b128 v[8:11], v2 offset:800
	ds_load_b128 v[2:5], v2 offset:816
	s_wait_loadcnt_dscnt 0x101
	v_mul_f64_e32 v[76:77], v[8:9], v[104:105]
	v_mul_f64_e32 v[84:85], v[10:11], v[104:105]
	v_add_f64_e32 v[68:69], v[68:69], v[72:73]
	v_add_f64_e32 v[12:13], v[12:13], v[66:67]
	s_wait_loadcnt_dscnt 0x0
	v_mul_f64_e32 v[66:67], v[2:3], v[80:81]
	v_mul_f64_e32 v[72:73], v[4:5], v[80:81]
	v_fmac_f64_e32 v[76:77], v[10:11], v[102:103]
	v_fma_f64 v[8:9], v[8:9], v[102:103], -v[84:85]
	v_add_f64_e32 v[10:11], v[68:69], v[74:75]
	v_add_f64_e32 v[12:13], v[12:13], v[70:71]
	v_fmac_f64_e32 v[66:67], v[4:5], v[78:79]
	v_fma_f64 v[2:3], v[2:3], v[78:79], -v[72:73]
	s_delay_alu instid0(VALU_DEP_4) | instskip(NEXT) | instid1(VALU_DEP_4)
	v_add_f64_e32 v[4:5], v[10:11], v[8:9]
	v_add_f64_e32 v[8:9], v[12:13], v[76:77]
	s_delay_alu instid0(VALU_DEP_2) | instskip(NEXT) | instid1(VALU_DEP_2)
	v_add_f64_e32 v[2:3], v[4:5], v[2:3]
	v_add_f64_e32 v[4:5], v[8:9], v[66:67]
	s_delay_alu instid0(VALU_DEP_2) | instskip(NEXT) | instid1(VALU_DEP_2)
	v_add_f64_e64 v[2:3], v[114:115], -v[2:3]
	v_add_f64_e64 v[4:5], v[116:117], -v[4:5]
	scratch_store_b128 off, v[2:5], off offset:80
	s_wait_xcnt 0x0
	v_cmpx_lt_u32_e32 4, v1
	s_cbranch_execz .LBB89_161
; %bb.160:
	scratch_load_b128 v[2:5], off, s24
	v_mov_b32_e32 v8, 0
	s_delay_alu instid0(VALU_DEP_1)
	v_dual_mov_b32 v9, v8 :: v_dual_mov_b32 v10, v8
	v_mov_b32_e32 v11, v8
	scratch_store_b128 off, v[8:11], off offset:64
	s_wait_loadcnt 0x0
	ds_store_b128 v6, v[2:5]
.LBB89_161:
	s_wait_xcnt 0x0
	s_or_b32 exec_lo, exec_lo, s2
	s_wait_storecnt_dscnt 0x0
	s_barrier_signal -1
	s_barrier_wait -1
	s_clause 0x9
	scratch_load_b128 v[8:11], off, off offset:80
	scratch_load_b128 v[66:69], off, off offset:96
	;; [unrolled: 1-line block ×10, first 2 shown]
	v_mov_b32_e32 v2, 0
	s_mov_b32 s2, exec_lo
	ds_load_b128 v[102:105], v2 offset:496
	s_clause 0x2
	scratch_load_b128 v[106:109], off, off offset:240
	scratch_load_b128 v[110:113], off, off offset:64
	;; [unrolled: 1-line block ×3, first 2 shown]
	s_wait_loadcnt_dscnt 0xc00
	v_mul_f64_e32 v[4:5], v[104:105], v[10:11]
	v_mul_f64_e32 v[126:127], v[102:103], v[10:11]
	ds_load_b128 v[114:117], v2 offset:512
	scratch_load_b128 v[10:13], off, off offset:256
	ds_load_b128 v[122:125], v2 offset:544
	v_fma_f64 v[4:5], v[102:103], v[8:9], -v[4:5]
	v_fmac_f64_e32 v[126:127], v[104:105], v[8:9]
	ds_load_b128 v[102:105], v2 offset:528
	s_wait_loadcnt_dscnt 0xc02
	v_mul_f64_e32 v[128:129], v[114:115], v[68:69]
	v_mul_f64_e32 v[68:69], v[116:117], v[68:69]
	s_wait_loadcnt_dscnt 0xb00
	v_mul_f64_e32 v[8:9], v[102:103], v[72:73]
	v_mul_f64_e32 v[72:73], v[104:105], v[72:73]
	v_add_f64_e32 v[4:5], 0, v[4:5]
	v_fmac_f64_e32 v[128:129], v[116:117], v[66:67]
	v_fma_f64 v[114:115], v[114:115], v[66:67], -v[68:69]
	v_add_f64_e32 v[116:117], 0, v[126:127]
	scratch_load_b128 v[66:69], off, off offset:288
	v_fmac_f64_e32 v[8:9], v[104:105], v[70:71]
	v_fma_f64 v[130:131], v[102:103], v[70:71], -v[72:73]
	ds_load_b128 v[70:73], v2 offset:560
	s_wait_loadcnt 0xb
	v_mul_f64_e32 v[126:127], v[122:123], v[76:77]
	v_mul_f64_e32 v[76:77], v[124:125], v[76:77]
	scratch_load_b128 v[102:105], off, off offset:304
	v_add_f64_e32 v[4:5], v[4:5], v[114:115]
	v_add_f64_e32 v[128:129], v[116:117], v[128:129]
	ds_load_b128 v[114:117], v2 offset:576
	s_wait_loadcnt_dscnt 0xb01
	v_mul_f64_e32 v[132:133], v[70:71], v[80:81]
	v_mul_f64_e32 v[80:81], v[72:73], v[80:81]
	v_fmac_f64_e32 v[126:127], v[124:125], v[74:75]
	v_fma_f64 v[122:123], v[122:123], v[74:75], -v[76:77]
	scratch_load_b128 v[74:77], off, off offset:320
	v_add_f64_e32 v[4:5], v[4:5], v[130:131]
	v_add_f64_e32 v[8:9], v[128:129], v[8:9]
	v_fmac_f64_e32 v[132:133], v[72:73], v[78:79]
	v_fma_f64 v[130:131], v[70:71], v[78:79], -v[80:81]
	ds_load_b128 v[70:73], v2 offset:592
	s_wait_loadcnt_dscnt 0xb01
	v_mul_f64_e32 v[128:129], v[114:115], v[84:85]
	v_mul_f64_e32 v[84:85], v[116:117], v[84:85]
	scratch_load_b128 v[78:81], off, off offset:336
	v_add_f64_e32 v[4:5], v[4:5], v[122:123]
	v_add_f64_e32 v[8:9], v[8:9], v[126:127]
	s_wait_loadcnt_dscnt 0xb00
	v_mul_f64_e32 v[126:127], v[70:71], v[88:89]
	v_mul_f64_e32 v[88:89], v[72:73], v[88:89]
	ds_load_b128 v[122:125], v2 offset:608
	v_fmac_f64_e32 v[128:129], v[116:117], v[82:83]
	v_fma_f64 v[114:115], v[114:115], v[82:83], -v[84:85]
	scratch_load_b128 v[82:85], off, off offset:352
	v_add_f64_e32 v[4:5], v[4:5], v[130:131]
	v_add_f64_e32 v[8:9], v[8:9], v[132:133]
	v_fmac_f64_e32 v[126:127], v[72:73], v[86:87]
	v_fma_f64 v[132:133], v[70:71], v[86:87], -v[88:89]
	ds_load_b128 v[70:73], v2 offset:624
	s_wait_loadcnt_dscnt 0xb01
	v_mul_f64_e32 v[130:131], v[122:123], v[92:93]
	v_mul_f64_e32 v[92:93], v[124:125], v[92:93]
	scratch_load_b128 v[86:89], off, off offset:368
	v_add_f64_e32 v[4:5], v[4:5], v[114:115]
	v_add_f64_e32 v[8:9], v[8:9], v[128:129]
	s_wait_loadcnt_dscnt 0xb00
	v_mul_f64_e32 v[128:129], v[70:71], v[96:97]
	v_mul_f64_e32 v[96:97], v[72:73], v[96:97]
	ds_load_b128 v[114:117], v2 offset:640
	;; [unrolled: 18-line block ×3, first 2 shown]
	v_fmac_f64_e32 v[126:127], v[116:117], v[98:99]
	v_fma_f64 v[98:99], v[114:115], v[98:99], -v[100:101]
	s_wait_loadcnt_dscnt 0x800
	v_mul_f64_e32 v[114:115], v[122:123], v[12:13]
	v_add_f64_e32 v[4:5], v[4:5], v[132:133]
	v_add_f64_e32 v[8:9], v[8:9], v[128:129]
	v_mul_f64_e32 v[12:13], v[124:125], v[12:13]
	v_fmac_f64_e32 v[130:131], v[72:73], v[106:107]
	v_fma_f64 v[106:107], v[70:71], v[106:107], -v[108:109]
	v_fmac_f64_e32 v[114:115], v[124:125], v[10:11]
	v_add_f64_e32 v[4:5], v[4:5], v[98:99]
	v_add_f64_e32 v[8:9], v[8:9], v[126:127]
	ds_load_b128 v[70:73], v2 offset:688
	ds_load_b128 v[98:101], v2 offset:704
	v_fma_f64 v[10:11], v[122:123], v[10:11], -v[12:13]
	s_wait_dscnt 0x1
	v_mul_f64_e32 v[108:109], v[70:71], v[120:121]
	v_mul_f64_e32 v[116:117], v[72:73], v[120:121]
	v_add_f64_e32 v[4:5], v[4:5], v[106:107]
	v_add_f64_e32 v[8:9], v[8:9], v[130:131]
	s_wait_loadcnt_dscnt 0x700
	v_mul_f64_e32 v[12:13], v[98:99], v[68:69]
	v_mul_f64_e32 v[106:107], v[100:101], v[68:69]
	v_fmac_f64_e32 v[108:109], v[72:73], v[118:119]
	v_fma_f64 v[72:73], v[70:71], v[118:119], -v[116:117]
	v_add_f64_e32 v[4:5], v[4:5], v[10:11]
	v_add_f64_e32 v[114:115], v[8:9], v[114:115]
	ds_load_b128 v[8:11], v2 offset:720
	ds_load_b128 v[68:71], v2 offset:736
	v_fmac_f64_e32 v[12:13], v[100:101], v[66:67]
	v_fma_f64 v[66:67], v[98:99], v[66:67], -v[106:107]
	s_wait_loadcnt_dscnt 0x601
	v_mul_f64_e32 v[116:117], v[8:9], v[104:105]
	v_mul_f64_e32 v[104:105], v[10:11], v[104:105]
	s_wait_loadcnt_dscnt 0x500
	v_mul_f64_e32 v[106:107], v[68:69], v[76:77]
	v_mul_f64_e32 v[76:77], v[70:71], v[76:77]
	v_add_f64_e32 v[4:5], v[4:5], v[72:73]
	v_add_f64_e32 v[72:73], v[114:115], v[108:109]
	v_fmac_f64_e32 v[116:117], v[10:11], v[102:103]
	v_fma_f64 v[102:103], v[8:9], v[102:103], -v[104:105]
	ds_load_b128 v[8:11], v2 offset:752
	ds_load_b128 v[98:101], v2 offset:768
	v_fmac_f64_e32 v[106:107], v[70:71], v[74:75]
	v_fma_f64 v[68:69], v[68:69], v[74:75], -v[76:77]
	v_add_f64_e32 v[4:5], v[4:5], v[66:67]
	v_add_f64_e32 v[12:13], v[72:73], v[12:13]
	s_wait_loadcnt_dscnt 0x401
	v_mul_f64_e32 v[72:73], v[8:9], v[80:81]
	v_mul_f64_e32 v[66:67], v[10:11], v[80:81]
	s_wait_loadcnt_dscnt 0x300
	v_mul_f64_e32 v[70:71], v[98:99], v[84:85]
	v_mul_f64_e32 v[74:75], v[100:101], v[84:85]
	v_add_f64_e32 v[4:5], v[4:5], v[102:103]
	v_add_f64_e32 v[12:13], v[12:13], v[116:117]
	v_fmac_f64_e32 v[72:73], v[10:11], v[78:79]
	v_fma_f64 v[76:77], v[8:9], v[78:79], -v[66:67]
	v_fmac_f64_e32 v[70:71], v[100:101], v[82:83]
	v_fma_f64 v[74:75], v[98:99], v[82:83], -v[74:75]
	v_add_f64_e32 v[4:5], v[4:5], v[68:69]
	v_add_f64_e32 v[12:13], v[12:13], v[106:107]
	ds_load_b128 v[8:11], v2 offset:784
	ds_load_b128 v[66:69], v2 offset:800
	s_wait_loadcnt_dscnt 0x201
	v_mul_f64_e32 v[78:79], v[8:9], v[88:89]
	v_mul_f64_e32 v[80:81], v[10:11], v[88:89]
	v_add_f64_e32 v[4:5], v[4:5], v[76:77]
	v_add_f64_e32 v[12:13], v[12:13], v[72:73]
	s_wait_loadcnt_dscnt 0x100
	v_mul_f64_e32 v[72:73], v[66:67], v[92:93]
	v_mul_f64_e32 v[76:77], v[68:69], v[92:93]
	v_fmac_f64_e32 v[78:79], v[10:11], v[86:87]
	v_fma_f64 v[80:81], v[8:9], v[86:87], -v[80:81]
	ds_load_b128 v[8:11], v2 offset:816
	v_add_f64_e32 v[4:5], v[4:5], v[74:75]
	v_add_f64_e32 v[12:13], v[12:13], v[70:71]
	v_fmac_f64_e32 v[72:73], v[68:69], v[90:91]
	v_fma_f64 v[66:67], v[66:67], v[90:91], -v[76:77]
	s_wait_loadcnt_dscnt 0x0
	v_mul_f64_e32 v[70:71], v[8:9], v[96:97]
	v_mul_f64_e32 v[74:75], v[10:11], v[96:97]
	v_add_f64_e32 v[4:5], v[4:5], v[80:81]
	v_add_f64_e32 v[12:13], v[12:13], v[78:79]
	s_delay_alu instid0(VALU_DEP_4) | instskip(NEXT) | instid1(VALU_DEP_4)
	v_fmac_f64_e32 v[70:71], v[10:11], v[94:95]
	v_fma_f64 v[8:9], v[8:9], v[94:95], -v[74:75]
	s_delay_alu instid0(VALU_DEP_4) | instskip(NEXT) | instid1(VALU_DEP_4)
	v_add_f64_e32 v[4:5], v[4:5], v[66:67]
	v_add_f64_e32 v[10:11], v[12:13], v[72:73]
	s_delay_alu instid0(VALU_DEP_2) | instskip(NEXT) | instid1(VALU_DEP_2)
	v_add_f64_e32 v[4:5], v[4:5], v[8:9]
	v_add_f64_e32 v[10:11], v[10:11], v[70:71]
	s_delay_alu instid0(VALU_DEP_2) | instskip(NEXT) | instid1(VALU_DEP_2)
	v_add_f64_e64 v[8:9], v[110:111], -v[4:5]
	v_add_f64_e64 v[10:11], v[112:113], -v[10:11]
	scratch_store_b128 off, v[8:11], off offset:64
	s_wait_xcnt 0x0
	v_cmpx_lt_u32_e32 3, v1
	s_cbranch_execz .LBB89_163
; %bb.162:
	scratch_load_b128 v[8:11], off, s23
	v_dual_mov_b32 v3, v2 :: v_dual_mov_b32 v4, v2
	v_mov_b32_e32 v5, v2
	scratch_store_b128 off, v[2:5], off offset:48
	s_wait_loadcnt 0x0
	ds_store_b128 v6, v[8:11]
.LBB89_163:
	s_wait_xcnt 0x0
	s_or_b32 exec_lo, exec_lo, s2
	s_wait_storecnt_dscnt 0x0
	s_barrier_signal -1
	s_barrier_wait -1
	s_clause 0x9
	scratch_load_b128 v[8:11], off, off offset:64
	scratch_load_b128 v[66:69], off, off offset:80
	;; [unrolled: 1-line block ×10, first 2 shown]
	ds_load_b128 v[102:105], v2 offset:480
	ds_load_b128 v[110:113], v2 offset:496
	s_clause 0x1
	scratch_load_b128 v[106:109], off, off offset:224
	scratch_load_b128 v[114:117], off, off offset:48
	s_mov_b32 s2, exec_lo
	s_wait_loadcnt_dscnt 0xb01
	v_mul_f64_e32 v[4:5], v[104:105], v[10:11]
	v_mul_f64_e32 v[126:127], v[102:103], v[10:11]
	scratch_load_b128 v[10:13], off, off offset:240
	s_wait_loadcnt_dscnt 0xb00
	v_mul_f64_e32 v[128:129], v[110:111], v[68:69]
	v_mul_f64_e32 v[68:69], v[112:113], v[68:69]
	v_fma_f64 v[4:5], v[102:103], v[8:9], -v[4:5]
	v_fmac_f64_e32 v[126:127], v[104:105], v[8:9]
	ds_load_b128 v[102:105], v2 offset:512
	ds_load_b128 v[118:121], v2 offset:528
	scratch_load_b128 v[122:125], off, off offset:256
	v_fmac_f64_e32 v[128:129], v[112:113], v[66:67]
	v_fma_f64 v[110:111], v[110:111], v[66:67], -v[68:69]
	scratch_load_b128 v[66:69], off, off offset:272
	s_wait_loadcnt_dscnt 0xc01
	v_mul_f64_e32 v[8:9], v[102:103], v[72:73]
	v_mul_f64_e32 v[72:73], v[104:105], v[72:73]
	v_add_f64_e32 v[4:5], 0, v[4:5]
	v_add_f64_e32 v[112:113], 0, v[126:127]
	s_wait_loadcnt_dscnt 0xb00
	v_mul_f64_e32 v[126:127], v[118:119], v[76:77]
	v_mul_f64_e32 v[76:77], v[120:121], v[76:77]
	v_fmac_f64_e32 v[8:9], v[104:105], v[70:71]
	v_fma_f64 v[130:131], v[102:103], v[70:71], -v[72:73]
	ds_load_b128 v[70:73], v2 offset:544
	ds_load_b128 v[102:105], v2 offset:560
	v_add_f64_e32 v[4:5], v[4:5], v[110:111]
	v_add_f64_e32 v[128:129], v[112:113], v[128:129]
	scratch_load_b128 v[110:113], off, off offset:288
	v_fmac_f64_e32 v[126:127], v[120:121], v[74:75]
	v_fma_f64 v[118:119], v[118:119], v[74:75], -v[76:77]
	scratch_load_b128 v[74:77], off, off offset:304
	s_wait_loadcnt_dscnt 0xc01
	v_mul_f64_e32 v[132:133], v[70:71], v[80:81]
	v_mul_f64_e32 v[80:81], v[72:73], v[80:81]
	v_add_f64_e32 v[4:5], v[4:5], v[130:131]
	v_add_f64_e32 v[8:9], v[128:129], v[8:9]
	s_wait_loadcnt_dscnt 0xb00
	v_mul_f64_e32 v[128:129], v[102:103], v[84:85]
	v_mul_f64_e32 v[84:85], v[104:105], v[84:85]
	v_fmac_f64_e32 v[132:133], v[72:73], v[78:79]
	v_fma_f64 v[130:131], v[70:71], v[78:79], -v[80:81]
	ds_load_b128 v[70:73], v2 offset:576
	ds_load_b128 v[78:81], v2 offset:592
	v_add_f64_e32 v[4:5], v[4:5], v[118:119]
	v_add_f64_e32 v[8:9], v[8:9], v[126:127]
	scratch_load_b128 v[118:121], off, off offset:320
	s_wait_loadcnt_dscnt 0xb01
	v_mul_f64_e32 v[126:127], v[70:71], v[88:89]
	v_mul_f64_e32 v[88:89], v[72:73], v[88:89]
	v_fmac_f64_e32 v[128:129], v[104:105], v[82:83]
	v_fma_f64 v[102:103], v[102:103], v[82:83], -v[84:85]
	scratch_load_b128 v[82:85], off, off offset:336
	v_add_f64_e32 v[4:5], v[4:5], v[130:131]
	v_add_f64_e32 v[8:9], v[8:9], v[132:133]
	s_wait_loadcnt_dscnt 0xb00
	v_mul_f64_e32 v[130:131], v[78:79], v[92:93]
	v_mul_f64_e32 v[92:93], v[80:81], v[92:93]
	v_fmac_f64_e32 v[126:127], v[72:73], v[86:87]
	v_fma_f64 v[132:133], v[70:71], v[86:87], -v[88:89]
	ds_load_b128 v[70:73], v2 offset:608
	ds_load_b128 v[86:89], v2 offset:624
	v_add_f64_e32 v[4:5], v[4:5], v[102:103]
	v_add_f64_e32 v[8:9], v[8:9], v[128:129]
	scratch_load_b128 v[102:105], off, off offset:352
	s_wait_loadcnt_dscnt 0xb01
	v_mul_f64_e32 v[128:129], v[70:71], v[96:97]
	v_mul_f64_e32 v[96:97], v[72:73], v[96:97]
	v_fmac_f64_e32 v[130:131], v[80:81], v[90:91]
	v_fma_f64 v[90:91], v[78:79], v[90:91], -v[92:93]
	scratch_load_b128 v[78:81], off, off offset:368
	v_add_f64_e32 v[4:5], v[4:5], v[132:133]
	v_add_f64_e32 v[8:9], v[8:9], v[126:127]
	s_wait_loadcnt_dscnt 0xb00
	v_mul_f64_e32 v[126:127], v[86:87], v[100:101]
	v_mul_f64_e32 v[100:101], v[88:89], v[100:101]
	v_fmac_f64_e32 v[128:129], v[72:73], v[94:95]
	v_fma_f64 v[132:133], v[70:71], v[94:95], -v[96:97]
	v_add_f64_e32 v[4:5], v[4:5], v[90:91]
	v_add_f64_e32 v[8:9], v[8:9], v[130:131]
	ds_load_b128 v[70:73], v2 offset:640
	ds_load_b128 v[90:93], v2 offset:656
	scratch_load_b128 v[94:97], off, off offset:384
	v_fmac_f64_e32 v[126:127], v[88:89], v[98:99]
	v_fma_f64 v[98:99], v[86:87], v[98:99], -v[100:101]
	scratch_load_b128 v[86:89], off, off offset:400
	s_wait_loadcnt_dscnt 0xc01
	v_mul_f64_e32 v[130:131], v[70:71], v[108:109]
	v_mul_f64_e32 v[108:109], v[72:73], v[108:109]
	v_add_f64_e32 v[4:5], v[4:5], v[132:133]
	v_add_f64_e32 v[8:9], v[8:9], v[128:129]
	s_wait_loadcnt_dscnt 0xa00
	v_mul_f64_e32 v[128:129], v[90:91], v[12:13]
	v_mul_f64_e32 v[12:13], v[92:93], v[12:13]
	v_fmac_f64_e32 v[130:131], v[72:73], v[106:107]
	v_fma_f64 v[106:107], v[70:71], v[106:107], -v[108:109]
	v_add_f64_e32 v[4:5], v[4:5], v[98:99]
	v_add_f64_e32 v[8:9], v[8:9], v[126:127]
	ds_load_b128 v[70:73], v2 offset:672
	ds_load_b128 v[98:101], v2 offset:688
	v_fmac_f64_e32 v[128:129], v[92:93], v[10:11]
	v_fma_f64 v[10:11], v[90:91], v[10:11], -v[12:13]
	s_wait_loadcnt_dscnt 0x901
	v_mul_f64_e32 v[108:109], v[70:71], v[124:125]
	v_mul_f64_e32 v[124:125], v[72:73], v[124:125]
	s_wait_loadcnt_dscnt 0x800
	v_mul_f64_e32 v[12:13], v[98:99], v[68:69]
	v_mul_f64_e32 v[90:91], v[100:101], v[68:69]
	v_add_f64_e32 v[4:5], v[4:5], v[106:107]
	v_add_f64_e32 v[8:9], v[8:9], v[130:131]
	v_fmac_f64_e32 v[108:109], v[72:73], v[122:123]
	v_fma_f64 v[72:73], v[70:71], v[122:123], -v[124:125]
	v_fmac_f64_e32 v[12:13], v[100:101], v[66:67]
	v_fma_f64 v[66:67], v[98:99], v[66:67], -v[90:91]
	v_add_f64_e32 v[4:5], v[4:5], v[10:11]
	v_add_f64_e32 v[92:93], v[8:9], v[128:129]
	ds_load_b128 v[8:11], v2 offset:704
	ds_load_b128 v[68:71], v2 offset:720
	s_wait_loadcnt_dscnt 0x701
	v_mul_f64_e32 v[106:107], v[8:9], v[112:113]
	v_mul_f64_e32 v[112:113], v[10:11], v[112:113]
	s_wait_loadcnt_dscnt 0x600
	v_mul_f64_e32 v[98:99], v[68:69], v[76:77]
	v_mul_f64_e32 v[76:77], v[70:71], v[76:77]
	v_add_f64_e32 v[4:5], v[4:5], v[72:73]
	v_add_f64_e32 v[72:73], v[92:93], v[108:109]
	v_fmac_f64_e32 v[106:107], v[10:11], v[110:111]
	v_fma_f64 v[100:101], v[8:9], v[110:111], -v[112:113]
	ds_load_b128 v[8:11], v2 offset:736
	ds_load_b128 v[90:93], v2 offset:752
	v_fmac_f64_e32 v[98:99], v[70:71], v[74:75]
	v_fma_f64 v[68:69], v[68:69], v[74:75], -v[76:77]
	v_add_f64_e32 v[4:5], v[4:5], v[66:67]
	v_add_f64_e32 v[12:13], v[72:73], v[12:13]
	s_wait_loadcnt_dscnt 0x501
	v_mul_f64_e32 v[72:73], v[8:9], v[120:121]
	v_mul_f64_e32 v[66:67], v[10:11], v[120:121]
	s_wait_loadcnt_dscnt 0x400
	v_mul_f64_e32 v[70:71], v[90:91], v[84:85]
	v_mul_f64_e32 v[74:75], v[92:93], v[84:85]
	v_add_f64_e32 v[4:5], v[4:5], v[100:101]
	v_add_f64_e32 v[12:13], v[12:13], v[106:107]
	v_fmac_f64_e32 v[72:73], v[10:11], v[118:119]
	v_fma_f64 v[76:77], v[8:9], v[118:119], -v[66:67]
	v_fmac_f64_e32 v[70:71], v[92:93], v[82:83]
	v_fma_f64 v[74:75], v[90:91], v[82:83], -v[74:75]
	v_add_f64_e32 v[4:5], v[4:5], v[68:69]
	v_add_f64_e32 v[12:13], v[12:13], v[98:99]
	ds_load_b128 v[8:11], v2 offset:768
	ds_load_b128 v[66:69], v2 offset:784
	s_wait_loadcnt_dscnt 0x301
	v_mul_f64_e32 v[84:85], v[8:9], v[104:105]
	v_mul_f64_e32 v[98:99], v[10:11], v[104:105]
	v_add_f64_e32 v[4:5], v[4:5], v[76:77]
	v_add_f64_e32 v[12:13], v[12:13], v[72:73]
	s_wait_loadcnt_dscnt 0x200
	v_mul_f64_e32 v[72:73], v[66:67], v[80:81]
	v_mul_f64_e32 v[76:77], v[68:69], v[80:81]
	v_fmac_f64_e32 v[84:85], v[10:11], v[102:103]
	v_fma_f64 v[80:81], v[8:9], v[102:103], -v[98:99]
	v_add_f64_e32 v[74:75], v[4:5], v[74:75]
	v_add_f64_e32 v[12:13], v[12:13], v[70:71]
	ds_load_b128 v[8:11], v2 offset:800
	ds_load_b128 v[2:5], v2 offset:816
	v_fmac_f64_e32 v[72:73], v[68:69], v[78:79]
	v_fma_f64 v[66:67], v[66:67], v[78:79], -v[76:77]
	s_wait_loadcnt_dscnt 0x101
	v_mul_f64_e32 v[70:71], v[8:9], v[96:97]
	v_mul_f64_e32 v[82:83], v[10:11], v[96:97]
	s_wait_loadcnt_dscnt 0x0
	v_mul_f64_e32 v[76:77], v[4:5], v[88:89]
	v_add_f64_e32 v[68:69], v[74:75], v[80:81]
	v_add_f64_e32 v[12:13], v[12:13], v[84:85]
	v_mul_f64_e32 v[74:75], v[2:3], v[88:89]
	v_fmac_f64_e32 v[70:71], v[10:11], v[94:95]
	v_fma_f64 v[8:9], v[8:9], v[94:95], -v[82:83]
	v_fma_f64 v[2:3], v[2:3], v[86:87], -v[76:77]
	v_add_f64_e32 v[10:11], v[68:69], v[66:67]
	v_add_f64_e32 v[12:13], v[12:13], v[72:73]
	v_fmac_f64_e32 v[74:75], v[4:5], v[86:87]
	s_delay_alu instid0(VALU_DEP_3) | instskip(NEXT) | instid1(VALU_DEP_3)
	v_add_f64_e32 v[4:5], v[10:11], v[8:9]
	v_add_f64_e32 v[8:9], v[12:13], v[70:71]
	s_delay_alu instid0(VALU_DEP_2) | instskip(NEXT) | instid1(VALU_DEP_2)
	v_add_f64_e32 v[2:3], v[4:5], v[2:3]
	v_add_f64_e32 v[4:5], v[8:9], v[74:75]
	s_delay_alu instid0(VALU_DEP_2) | instskip(NEXT) | instid1(VALU_DEP_2)
	v_add_f64_e64 v[2:3], v[114:115], -v[2:3]
	v_add_f64_e64 v[4:5], v[116:117], -v[4:5]
	scratch_store_b128 off, v[2:5], off offset:48
	s_wait_xcnt 0x0
	v_cmpx_lt_u32_e32 2, v1
	s_cbranch_execz .LBB89_165
; %bb.164:
	scratch_load_b128 v[2:5], off, s36
	v_mov_b32_e32 v8, 0
	s_delay_alu instid0(VALU_DEP_1)
	v_dual_mov_b32 v9, v8 :: v_dual_mov_b32 v10, v8
	v_mov_b32_e32 v11, v8
	scratch_store_b128 off, v[8:11], off offset:32
	s_wait_loadcnt 0x0
	ds_store_b128 v6, v[2:5]
.LBB89_165:
	s_wait_xcnt 0x0
	s_or_b32 exec_lo, exec_lo, s2
	s_wait_storecnt_dscnt 0x0
	s_barrier_signal -1
	s_barrier_wait -1
	s_clause 0x9
	scratch_load_b128 v[8:11], off, off offset:48
	scratch_load_b128 v[66:69], off, off offset:64
	scratch_load_b128 v[70:73], off, off offset:80
	scratch_load_b128 v[74:77], off, off offset:96
	scratch_load_b128 v[78:81], off, off offset:112
	scratch_load_b128 v[82:85], off, off offset:128
	scratch_load_b128 v[86:89], off, off offset:144
	scratch_load_b128 v[90:93], off, off offset:160
	scratch_load_b128 v[94:97], off, off offset:176
	scratch_load_b128 v[98:101], off, off offset:192
	v_mov_b32_e32 v2, 0
	ds_load_b128 v[102:105], v2 offset:464
	ds_load_b128 v[106:109], v2 offset:480
	scratch_load_b128 v[110:113], off, off offset:32
	s_mov_b32 s2, exec_lo
	v_dual_ashrrev_i32 v21, 31, v20 :: v_dual_ashrrev_i32 v19, 31, v18
	v_ashrrev_i32_e32 v23, 31, v22
	v_ashrrev_i32_e32 v27, 31, v26
	;; [unrolled: 1-line block ×3, first 2 shown]
	v_dual_ashrrev_i32 v35, 31, v34 :: v_dual_ashrrev_i32 v25, 31, v24
	v_ashrrev_i32_e32 v47, 31, v46
	v_ashrrev_i32_e32 v51, 31, v50
	;; [unrolled: 1-line block ×3, first 2 shown]
	v_dual_ashrrev_i32 v43, 31, v42 :: v_dual_ashrrev_i32 v29, 31, v28
	v_dual_ashrrev_i32 v41, 31, v40 :: v_dual_ashrrev_i32 v55, 31, v54
	;; [unrolled: 1-line block ×3, first 2 shown]
	v_ashrrev_i32_e32 v37, 31, v36
	v_dual_ashrrev_i32 v45, 31, v44 :: v_dual_ashrrev_i32 v63, 31, v62
	v_ashrrev_i32_e32 v49, 31, v48
	v_ashrrev_i32_e32 v53, 31, v52
	v_ashrrev_i32_e32 v57, 31, v56
	v_ashrrev_i32_e32 v61, 31, v60
	s_wait_loadcnt_dscnt 0xa01
	v_dual_mul_f64 v[4:5], v[102:103], v[10:11] :: v_dual_ashrrev_i32 v65, 31, v64
	v_mul_f64_e32 v[118:119], v[104:105], v[10:11]
	scratch_load_b128 v[10:13], off, off offset:208
	s_wait_loadcnt_dscnt 0xa00
	v_mul_f64_e32 v[122:123], v[106:107], v[68:69]
	v_mul_f64_e32 v[68:69], v[108:109], v[68:69]
	ds_load_b128 v[114:117], v2 offset:496
	v_fmac_f64_e32 v[4:5], v[104:105], v[8:9]
	v_fma_f64 v[8:9], v[102:103], v[8:9], -v[118:119]
	scratch_load_b128 v[102:105], off, off offset:224
	ds_load_b128 v[118:121], v2 offset:512
	s_wait_loadcnt_dscnt 0xa01
	v_mul_f64_e32 v[124:125], v[114:115], v[72:73]
	v_fmac_f64_e32 v[122:123], v[108:109], v[66:67]
	v_fma_f64 v[106:107], v[106:107], v[66:67], -v[68:69]
	v_mul_f64_e32 v[72:73], v[116:117], v[72:73]
	scratch_load_b128 v[66:69], off, off offset:240
	s_wait_loadcnt_dscnt 0xa00
	v_mul_f64_e32 v[126:127], v[118:119], v[76:77]
	v_mul_f64_e32 v[76:77], v[120:121], v[76:77]
	v_add_f64_e32 v[4:5], 0, v[4:5]
	v_add_f64_e32 v[8:9], 0, v[8:9]
	v_fmac_f64_e32 v[124:125], v[116:117], v[70:71]
	v_fma_f64 v[114:115], v[114:115], v[70:71], -v[72:73]
	ds_load_b128 v[70:73], v2 offset:528
	v_fmac_f64_e32 v[126:127], v[120:121], v[74:75]
	v_fma_f64 v[118:119], v[118:119], v[74:75], -v[76:77]
	ds_load_b128 v[74:77], v2 offset:544
	s_wait_loadcnt_dscnt 0x901
	v_mul_f64_e32 v[120:121], v[70:71], v[80:81]
	v_mul_f64_e32 v[80:81], v[72:73], v[80:81]
	v_add_f64_e32 v[4:5], v[4:5], v[122:123]
	v_add_f64_e32 v[8:9], v[8:9], v[106:107]
	scratch_load_b128 v[106:109], off, off offset:256
	s_wait_loadcnt_dscnt 0x900
	v_mul_f64_e32 v[122:123], v[74:75], v[84:85]
	v_mul_f64_e32 v[84:85], v[76:77], v[84:85]
	v_fmac_f64_e32 v[120:121], v[72:73], v[78:79]
	v_add_f64_e32 v[4:5], v[4:5], v[124:125]
	v_add_f64_e32 v[8:9], v[8:9], v[114:115]
	scratch_load_b128 v[114:117], off, off offset:272
	v_fma_f64 v[124:125], v[70:71], v[78:79], -v[80:81]
	scratch_load_b128 v[78:81], off, off offset:288
	ds_load_b128 v[70:73], v2 offset:560
	v_fmac_f64_e32 v[122:123], v[76:77], v[82:83]
	v_add_f64_e32 v[4:5], v[4:5], v[126:127]
	v_add_f64_e32 v[8:9], v[8:9], v[118:119]
	v_fma_f64 v[118:119], v[74:75], v[82:83], -v[84:85]
	ds_load_b128 v[74:77], v2 offset:576
	s_wait_loadcnt_dscnt 0xa01
	v_mul_f64_e32 v[126:127], v[70:71], v[88:89]
	v_mul_f64_e32 v[88:89], v[72:73], v[88:89]
	scratch_load_b128 v[82:85], off, off offset:304
	v_add_f64_e32 v[4:5], v[4:5], v[120:121]
	v_add_f64_e32 v[8:9], v[8:9], v[124:125]
	s_wait_loadcnt_dscnt 0xa00
	v_mul_f64_e32 v[120:121], v[74:75], v[92:93]
	v_mul_f64_e32 v[92:93], v[76:77], v[92:93]
	v_fmac_f64_e32 v[126:127], v[72:73], v[86:87]
	v_fma_f64 v[124:125], v[70:71], v[86:87], -v[88:89]
	scratch_load_b128 v[70:73], off, off offset:320
	ds_load_b128 v[86:89], v2 offset:592
	v_add_f64_e32 v[4:5], v[4:5], v[122:123]
	v_add_f64_e32 v[8:9], v[8:9], v[118:119]
	v_fmac_f64_e32 v[120:121], v[76:77], v[90:91]
	v_fma_f64 v[118:119], v[74:75], v[90:91], -v[92:93]
	ds_load_b128 v[74:77], v2 offset:608
	s_wait_loadcnt_dscnt 0xa01
	v_mul_f64_e32 v[122:123], v[86:87], v[96:97]
	v_mul_f64_e32 v[96:97], v[88:89], v[96:97]
	scratch_load_b128 v[90:93], off, off offset:336
	v_add_f64_e32 v[4:5], v[4:5], v[126:127]
	v_add_f64_e32 v[8:9], v[8:9], v[124:125]
	s_wait_loadcnt_dscnt 0xa00
	v_mul_f64_e32 v[124:125], v[74:75], v[100:101]
	v_mul_f64_e32 v[100:101], v[76:77], v[100:101]
	v_fmac_f64_e32 v[122:123], v[88:89], v[94:95]
	v_fma_f64 v[126:127], v[86:87], v[94:95], -v[96:97]
	scratch_load_b128 v[86:89], off, off offset:352
	ds_load_b128 v[94:97], v2 offset:624
	v_add_f64_e32 v[4:5], v[4:5], v[120:121]
	v_add_f64_e32 v[8:9], v[8:9], v[118:119]
	v_fmac_f64_e32 v[124:125], v[76:77], v[98:99]
	v_fma_f64 v[118:119], v[74:75], v[98:99], -v[100:101]
	ds_load_b128 v[74:77], v2 offset:640
	scratch_load_b128 v[98:101], off, off offset:368
	v_add_f64_e32 v[4:5], v[4:5], v[122:123]
	v_add_f64_e32 v[126:127], v[8:9], v[126:127]
	s_wait_loadcnt_dscnt 0xa01
	v_mul_f64_e32 v[120:121], v[94:95], v[12:13]
	v_mul_f64_e32 v[12:13], v[96:97], v[12:13]
	s_delay_alu instid0(VALU_DEP_4) | instskip(NEXT) | instid1(VALU_DEP_4)
	v_add_f64_e32 v[4:5], v[4:5], v[124:125]
	v_add_f64_e32 v[118:119], v[126:127], v[118:119]
	s_wait_loadcnt_dscnt 0x900
	v_mul_f64_e32 v[122:123], v[74:75], v[104:105]
	v_fmac_f64_e32 v[120:121], v[96:97], v[10:11]
	v_fma_f64 v[12:13], v[94:95], v[10:11], -v[12:13]
	v_mul_f64_e32 v[104:105], v[76:77], v[104:105]
	scratch_load_b128 v[8:11], off, off offset:384
	ds_load_b128 v[94:97], v2 offset:656
	v_fmac_f64_e32 v[122:123], v[76:77], v[102:103]
	v_add_f64_e32 v[4:5], v[4:5], v[120:121]
	v_add_f64_e32 v[12:13], v[118:119], v[12:13]
	v_fma_f64 v[124:125], v[74:75], v[102:103], -v[104:105]
	scratch_load_b128 v[74:77], off, off offset:400
	ds_load_b128 v[102:105], v2 offset:672
	s_wait_loadcnt_dscnt 0xa01
	v_mul_f64_e32 v[126:127], v[94:95], v[68:69]
	v_mul_f64_e32 v[68:69], v[96:97], v[68:69]
	s_wait_loadcnt_dscnt 0x900
	v_mul_f64_e32 v[118:119], v[102:103], v[108:109]
	v_mul_f64_e32 v[108:109], v[104:105], v[108:109]
	v_add_f64_e32 v[4:5], v[4:5], v[122:123]
	v_add_f64_e32 v[12:13], v[12:13], v[124:125]
	v_fmac_f64_e32 v[126:127], v[96:97], v[66:67]
	v_fma_f64 v[120:121], v[94:95], v[66:67], -v[68:69]
	ds_load_b128 v[66:69], v2 offset:688
	ds_load_b128 v[94:97], v2 offset:704
	s_wait_loadcnt_dscnt 0x801
	v_mul_f64_e32 v[122:123], v[66:67], v[116:117]
	v_fmac_f64_e32 v[118:119], v[104:105], v[106:107]
	v_fma_f64 v[102:103], v[102:103], v[106:107], -v[108:109]
	v_mul_f64_e32 v[104:105], v[68:69], v[116:117]
	s_wait_loadcnt_dscnt 0x700
	v_mul_f64_e32 v[106:107], v[94:95], v[80:81]
	v_mul_f64_e32 v[80:81], v[96:97], v[80:81]
	v_add_f64_e32 v[4:5], v[4:5], v[126:127]
	v_add_f64_e32 v[12:13], v[12:13], v[120:121]
	v_fmac_f64_e32 v[122:123], v[68:69], v[114:115]
	v_fma_f64 v[108:109], v[66:67], v[114:115], -v[104:105]
	v_fmac_f64_e32 v[106:107], v[96:97], v[78:79]
	v_fma_f64 v[78:79], v[94:95], v[78:79], -v[80:81]
	v_add_f64_e32 v[4:5], v[4:5], v[118:119]
	v_add_f64_e32 v[12:13], v[12:13], v[102:103]
	ds_load_b128 v[66:69], v2 offset:720
	ds_load_b128 v[102:105], v2 offset:736
	s_wait_loadcnt_dscnt 0x601
	v_mul_f64_e32 v[114:115], v[66:67], v[84:85]
	v_mul_f64_e32 v[84:85], v[68:69], v[84:85]
	s_wait_loadcnt_dscnt 0x500
	v_mul_f64_e32 v[94:95], v[102:103], v[72:73]
	v_mul_f64_e32 v[72:73], v[104:105], v[72:73]
	v_add_f64_e32 v[4:5], v[4:5], v[122:123]
	v_add_f64_e32 v[12:13], v[12:13], v[108:109]
	v_fmac_f64_e32 v[114:115], v[68:69], v[82:83]
	v_fma_f64 v[82:83], v[66:67], v[82:83], -v[84:85]
	v_fmac_f64_e32 v[94:95], v[104:105], v[70:71]
	v_fma_f64 v[70:71], v[102:103], v[70:71], -v[72:73]
	v_add_f64_e32 v[4:5], v[4:5], v[106:107]
	v_add_f64_e32 v[12:13], v[12:13], v[78:79]
	ds_load_b128 v[66:69], v2 offset:752
	ds_load_b128 v[78:81], v2 offset:768
	s_wait_loadcnt_dscnt 0x401
	v_mul_f64_e32 v[84:85], v[66:67], v[92:93]
	v_mul_f64_e32 v[92:93], v[68:69], v[92:93]
	v_add_f64_e32 v[4:5], v[4:5], v[114:115]
	v_add_f64_e32 v[12:13], v[12:13], v[82:83]
	s_wait_loadcnt_dscnt 0x300
	v_mul_f64_e32 v[82:83], v[78:79], v[88:89]
	v_mul_f64_e32 v[88:89], v[80:81], v[88:89]
	v_fmac_f64_e32 v[84:85], v[68:69], v[90:91]
	v_fma_f64 v[90:91], v[66:67], v[90:91], -v[92:93]
	v_add_f64_e32 v[4:5], v[4:5], v[94:95]
	v_add_f64_e32 v[12:13], v[12:13], v[70:71]
	ds_load_b128 v[66:69], v2 offset:784
	ds_load_b128 v[70:73], v2 offset:800
	v_fmac_f64_e32 v[82:83], v[80:81], v[86:87]
	v_fma_f64 v[78:79], v[78:79], v[86:87], -v[88:89]
	s_wait_loadcnt_dscnt 0x201
	v_mul_f64_e32 v[92:93], v[66:67], v[100:101]
	v_mul_f64_e32 v[94:95], v[68:69], v[100:101]
	v_add_f64_e32 v[4:5], v[4:5], v[84:85]
	v_add_f64_e32 v[12:13], v[12:13], v[90:91]
	s_delay_alu instid0(VALU_DEP_4) | instskip(NEXT) | instid1(VALU_DEP_4)
	v_fmac_f64_e32 v[92:93], v[68:69], v[98:99]
	v_fma_f64 v[66:67], v[66:67], v[98:99], -v[94:95]
	s_wait_loadcnt_dscnt 0x100
	v_mul_f64_e32 v[80:81], v[70:71], v[10:11]
	v_mul_f64_e32 v[84:85], v[72:73], v[10:11]
	v_add_f64_e32 v[4:5], v[4:5], v[82:83]
	v_add_f64_e32 v[68:69], v[12:13], v[78:79]
	ds_load_b128 v[10:13], v2 offset:816
	s_wait_loadcnt_dscnt 0x0
	v_mul_f64_e32 v[78:79], v[10:11], v[76:77]
	v_mul_f64_e32 v[76:77], v[12:13], v[76:77]
	v_fmac_f64_e32 v[80:81], v[72:73], v[8:9]
	v_fma_f64 v[8:9], v[70:71], v[8:9], -v[84:85]
	v_add_f64_e32 v[66:67], v[68:69], v[66:67]
	v_add_f64_e32 v[4:5], v[4:5], v[92:93]
	v_fmac_f64_e32 v[78:79], v[12:13], v[74:75]
	v_fma_f64 v[10:11], v[10:11], v[74:75], -v[76:77]
	s_delay_alu instid0(VALU_DEP_4) | instskip(NEXT) | instid1(VALU_DEP_4)
	v_add_f64_e32 v[8:9], v[66:67], v[8:9]
	v_add_f64_e32 v[4:5], v[4:5], v[80:81]
	s_delay_alu instid0(VALU_DEP_2) | instskip(NEXT) | instid1(VALU_DEP_2)
	v_add_f64_e32 v[8:9], v[8:9], v[10:11]
	v_add_f64_e32 v[4:5], v[4:5], v[78:79]
	s_delay_alu instid0(VALU_DEP_2) | instskip(NEXT) | instid1(VALU_DEP_2)
	v_add_f64_e64 v[8:9], v[110:111], -v[8:9]
	v_add_f64_e64 v[10:11], v[112:113], -v[4:5]
	scratch_store_b128 off, v[8:11], off offset:32
	s_wait_xcnt 0x0
	v_cmpx_lt_u32_e32 1, v1
	s_cbranch_execz .LBB89_167
; %bb.166:
	scratch_load_b128 v[8:11], off, s37
	v_dual_mov_b32 v3, v2 :: v_dual_mov_b32 v4, v2
	v_mov_b32_e32 v5, v2
	scratch_store_b128 off, v[2:5], off offset:16
	s_wait_loadcnt 0x0
	ds_store_b128 v6, v[8:11]
.LBB89_167:
	s_wait_xcnt 0x0
	s_or_b32 exec_lo, exec_lo, s2
	s_wait_storecnt_dscnt 0x0
	s_barrier_signal -1
	s_barrier_wait -1
	s_clause 0x9
	scratch_load_b128 v[8:11], off, off offset:32
	scratch_load_b128 v[66:69], off, off offset:48
	scratch_load_b128 v[70:73], off, off offset:64
	scratch_load_b128 v[74:77], off, off offset:80
	scratch_load_b128 v[78:81], off, off offset:96
	scratch_load_b128 v[82:85], off, off offset:112
	scratch_load_b128 v[86:89], off, off offset:128
	scratch_load_b128 v[90:93], off, off offset:144
	scratch_load_b128 v[94:97], off, off offset:160
	scratch_load_b128 v[98:101], off, off offset:176
	ds_load_b128 v[102:105], v2 offset:448
	s_clause 0x2
	scratch_load_b128 v[106:109], off, off offset:192
	scratch_load_b128 v[110:113], off, off offset:208
	;; [unrolled: 1-line block ×3, first 2 shown]
	s_mov_b32 s2, exec_lo
	s_wait_loadcnt_dscnt 0xc00
	v_mul_f64_e32 v[4:5], v[104:105], v[10:11]
	v_mul_f64_e32 v[118:119], v[102:103], v[10:11]
	ds_load_b128 v[10:13], v2 offset:464
	v_fma_f64 v[4:5], v[102:103], v[8:9], -v[4:5]
	v_fmac_f64_e32 v[118:119], v[104:105], v[8:9]
	ds_load_b128 v[102:105], v2 offset:480
	s_wait_loadcnt_dscnt 0xb01
	v_mul_f64_e32 v[120:121], v[10:11], v[68:69]
	v_mul_f64_e32 v[68:69], v[12:13], v[68:69]
	s_wait_loadcnt_dscnt 0xa00
	v_mul_f64_e32 v[122:123], v[102:103], v[72:73]
	v_mul_f64_e32 v[72:73], v[104:105], v[72:73]
	v_add_f64_e32 v[4:5], 0, v[4:5]
	v_add_f64_e32 v[118:119], 0, v[118:119]
	v_fmac_f64_e32 v[120:121], v[12:13], v[66:67]
	v_fma_f64 v[12:13], v[10:11], v[66:67], -v[68:69]
	ds_load_b128 v[8:11], v2 offset:496
	scratch_load_b128 v[66:69], off, off offset:240
	v_fmac_f64_e32 v[122:123], v[104:105], v[70:71]
	v_fma_f64 v[126:127], v[102:103], v[70:71], -v[72:73]
	ds_load_b128 v[70:73], v2 offset:512
	s_wait_loadcnt_dscnt 0xa01
	v_mul_f64_e32 v[124:125], v[8:9], v[76:77]
	v_mul_f64_e32 v[76:77], v[10:11], v[76:77]
	scratch_load_b128 v[102:105], off, off offset:256
	v_add_f64_e32 v[4:5], v[4:5], v[12:13]
	v_add_f64_e32 v[12:13], v[118:119], v[120:121]
	s_wait_loadcnt_dscnt 0xa00
	v_mul_f64_e32 v[118:119], v[70:71], v[80:81]
	v_mul_f64_e32 v[80:81], v[72:73], v[80:81]
	v_fmac_f64_e32 v[124:125], v[10:11], v[74:75]
	v_fma_f64 v[120:121], v[8:9], v[74:75], -v[76:77]
	ds_load_b128 v[8:11], v2 offset:528
	scratch_load_b128 v[74:77], off, off offset:272
	v_add_f64_e32 v[4:5], v[4:5], v[126:127]
	v_add_f64_e32 v[12:13], v[12:13], v[122:123]
	v_fmac_f64_e32 v[118:119], v[72:73], v[78:79]
	v_fma_f64 v[126:127], v[70:71], v[78:79], -v[80:81]
	ds_load_b128 v[70:73], v2 offset:544
	s_wait_loadcnt_dscnt 0xa01
	v_mul_f64_e32 v[122:123], v[8:9], v[84:85]
	v_mul_f64_e32 v[84:85], v[10:11], v[84:85]
	scratch_load_b128 v[78:81], off, off offset:288
	v_add_f64_e32 v[4:5], v[4:5], v[120:121]
	v_add_f64_e32 v[12:13], v[12:13], v[124:125]
	s_wait_loadcnt_dscnt 0xa00
	v_mul_f64_e32 v[120:121], v[70:71], v[88:89]
	v_mul_f64_e32 v[88:89], v[72:73], v[88:89]
	v_fmac_f64_e32 v[122:123], v[10:11], v[82:83]
	v_fma_f64 v[124:125], v[8:9], v[82:83], -v[84:85]
	ds_load_b128 v[8:11], v2 offset:560
	scratch_load_b128 v[82:85], off, off offset:304
	v_add_f64_e32 v[4:5], v[4:5], v[126:127]
	v_add_f64_e32 v[12:13], v[12:13], v[118:119]
	;; [unrolled: 18-line block ×5, first 2 shown]
	s_wait_loadcnt_dscnt 0xa00
	v_mul_f64_e32 v[118:119], v[8:9], v[68:69]
	v_mul_f64_e32 v[126:127], v[10:11], v[68:69]
	v_fmac_f64_e32 v[120:121], v[72:73], v[114:115]
	v_fma_f64 v[72:73], v[70:71], v[114:115], -v[116:117]
	ds_load_b128 v[68:71], v2 offset:672
	v_add_f64_e32 v[4:5], v[4:5], v[124:125]
	v_add_f64_e32 v[12:13], v[12:13], v[122:123]
	v_fmac_f64_e32 v[118:119], v[10:11], v[66:67]
	v_fma_f64 v[66:67], v[8:9], v[66:67], -v[126:127]
	ds_load_b128 v[8:11], v2 offset:688
	s_wait_loadcnt_dscnt 0x901
	v_mul_f64_e32 v[114:115], v[68:69], v[104:105]
	v_mul_f64_e32 v[104:105], v[70:71], v[104:105]
	v_add_f64_e32 v[4:5], v[4:5], v[72:73]
	v_add_f64_e32 v[12:13], v[12:13], v[120:121]
	s_delay_alu instid0(VALU_DEP_4) | instskip(NEXT) | instid1(VALU_DEP_4)
	v_fmac_f64_e32 v[114:115], v[70:71], v[102:103]
	v_fma_f64 v[102:103], v[68:69], v[102:103], -v[104:105]
	scratch_load_b128 v[70:73], off, off offset:16
	s_wait_loadcnt_dscnt 0x900
	v_mul_f64_e32 v[116:117], v[8:9], v[76:77]
	v_mul_f64_e32 v[76:77], v[10:11], v[76:77]
	v_add_f64_e32 v[4:5], v[4:5], v[66:67]
	v_add_f64_e32 v[12:13], v[12:13], v[118:119]
	ds_load_b128 v[66:69], v2 offset:704
	v_fmac_f64_e32 v[116:117], v[10:11], v[74:75]
	v_fma_f64 v[74:75], v[8:9], v[74:75], -v[76:77]
	ds_load_b128 v[8:11], v2 offset:720
	s_wait_loadcnt_dscnt 0x801
	v_mul_f64_e32 v[104:105], v[66:67], v[80:81]
	v_mul_f64_e32 v[80:81], v[68:69], v[80:81]
	s_wait_loadcnt_dscnt 0x700
	v_mul_f64_e32 v[76:77], v[8:9], v[84:85]
	v_mul_f64_e32 v[84:85], v[10:11], v[84:85]
	v_add_f64_e32 v[4:5], v[4:5], v[102:103]
	v_add_f64_e32 v[12:13], v[12:13], v[114:115]
	v_fmac_f64_e32 v[104:105], v[68:69], v[78:79]
	v_fma_f64 v[78:79], v[66:67], v[78:79], -v[80:81]
	ds_load_b128 v[66:69], v2 offset:736
	v_fmac_f64_e32 v[76:77], v[10:11], v[82:83]
	v_fma_f64 v[82:83], v[8:9], v[82:83], -v[84:85]
	v_add_f64_e32 v[4:5], v[4:5], v[74:75]
	v_add_f64_e32 v[12:13], v[12:13], v[116:117]
	ds_load_b128 v[8:11], v2 offset:752
	s_wait_loadcnt_dscnt 0x601
	v_mul_f64_e32 v[74:75], v[66:67], v[88:89]
	v_mul_f64_e32 v[80:81], v[68:69], v[88:89]
	s_wait_loadcnt_dscnt 0x500
	v_mul_f64_e32 v[84:85], v[10:11], v[92:93]
	v_add_f64_e32 v[4:5], v[4:5], v[78:79]
	v_add_f64_e32 v[12:13], v[12:13], v[104:105]
	v_mul_f64_e32 v[78:79], v[8:9], v[92:93]
	v_fmac_f64_e32 v[74:75], v[68:69], v[86:87]
	v_fma_f64 v[80:81], v[66:67], v[86:87], -v[80:81]
	ds_load_b128 v[66:69], v2 offset:768
	v_fma_f64 v[84:85], v[8:9], v[90:91], -v[84:85]
	v_add_f64_e32 v[4:5], v[4:5], v[82:83]
	v_add_f64_e32 v[12:13], v[12:13], v[76:77]
	v_fmac_f64_e32 v[78:79], v[10:11], v[90:91]
	ds_load_b128 v[8:11], v2 offset:784
	s_wait_loadcnt_dscnt 0x401
	v_mul_f64_e32 v[76:77], v[66:67], v[96:97]
	v_mul_f64_e32 v[82:83], v[68:69], v[96:97]
	v_add_f64_e32 v[4:5], v[4:5], v[80:81]
	v_add_f64_e32 v[12:13], v[12:13], v[74:75]
	s_wait_loadcnt_dscnt 0x300
	v_mul_f64_e32 v[74:75], v[8:9], v[100:101]
	v_mul_f64_e32 v[80:81], v[10:11], v[100:101]
	v_fmac_f64_e32 v[76:77], v[68:69], v[94:95]
	v_fma_f64 v[82:83], v[66:67], v[94:95], -v[82:83]
	ds_load_b128 v[66:69], v2 offset:800
	v_add_f64_e32 v[4:5], v[4:5], v[84:85]
	v_add_f64_e32 v[12:13], v[12:13], v[78:79]
	s_wait_loadcnt_dscnt 0x200
	v_mul_f64_e32 v[78:79], v[66:67], v[108:109]
	v_mul_f64_e32 v[84:85], v[68:69], v[108:109]
	v_fmac_f64_e32 v[74:75], v[10:11], v[98:99]
	v_fma_f64 v[8:9], v[8:9], v[98:99], -v[80:81]
	v_add_f64_e32 v[10:11], v[4:5], v[82:83]
	v_add_f64_e32 v[12:13], v[12:13], v[76:77]
	ds_load_b128 v[2:5], v2 offset:816
	v_fmac_f64_e32 v[78:79], v[68:69], v[106:107]
	v_fma_f64 v[66:67], v[66:67], v[106:107], -v[84:85]
	s_wait_loadcnt_dscnt 0x100
	v_mul_f64_e32 v[76:77], v[2:3], v[112:113]
	v_mul_f64_e32 v[80:81], v[4:5], v[112:113]
	v_add_f64_e32 v[8:9], v[10:11], v[8:9]
	v_add_f64_e32 v[10:11], v[12:13], v[74:75]
	s_delay_alu instid0(VALU_DEP_4) | instskip(NEXT) | instid1(VALU_DEP_4)
	v_fmac_f64_e32 v[76:77], v[4:5], v[110:111]
	v_fma_f64 v[2:3], v[2:3], v[110:111], -v[80:81]
	s_delay_alu instid0(VALU_DEP_4) | instskip(NEXT) | instid1(VALU_DEP_4)
	v_add_f64_e32 v[4:5], v[8:9], v[66:67]
	v_add_f64_e32 v[8:9], v[10:11], v[78:79]
	s_delay_alu instid0(VALU_DEP_2) | instskip(NEXT) | instid1(VALU_DEP_2)
	v_add_f64_e32 v[2:3], v[4:5], v[2:3]
	v_add_f64_e32 v[4:5], v[8:9], v[76:77]
	s_wait_loadcnt 0x0
	s_delay_alu instid0(VALU_DEP_2) | instskip(NEXT) | instid1(VALU_DEP_2)
	v_add_f64_e64 v[2:3], v[70:71], -v[2:3]
	v_add_f64_e64 v[4:5], v[72:73], -v[4:5]
	scratch_store_b128 off, v[2:5], off offset:16
	s_wait_xcnt 0x0
	v_cmpx_ne_u32_e32 0, v1
	s_cbranch_execz .LBB89_169
; %bb.168:
	scratch_load_b128 v[2:5], off, off
	v_mov_b32_e32 v8, 0
	s_delay_alu instid0(VALU_DEP_1)
	v_dual_mov_b32 v9, v8 :: v_dual_mov_b32 v10, v8
	v_mov_b32_e32 v11, v8
	scratch_store_b128 off, v[8:11], off
	s_wait_loadcnt 0x0
	ds_store_b128 v6, v[2:5]
.LBB89_169:
	s_wait_xcnt 0x0
	s_or_b32 exec_lo, exec_lo, s2
	s_wait_storecnt_dscnt 0x0
	s_barrier_signal -1
	s_barrier_wait -1
	s_clause 0x9
	scratch_load_b128 v[2:5], off, off offset:16
	scratch_load_b128 v[6:9], off, off offset:32
	;; [unrolled: 1-line block ×10, first 2 shown]
	v_mov_b32_e32 v84, 0
	s_and_b32 vcc_lo, exec_lo, s38
	ds_load_b128 v[98:101], v84 offset:432
	s_clause 0x2
	scratch_load_b128 v[102:105], off, off offset:176
	scratch_load_b128 v[106:109], off, off
	scratch_load_b128 v[114:117], off, off offset:192
	s_wait_loadcnt_dscnt 0xc00
	v_mul_f64_e32 v[82:83], v[100:101], v[4:5]
	v_mul_f64_e32 v[122:123], v[98:99], v[4:5]
	ds_load_b128 v[110:113], v84 offset:448
	ds_load_b128 v[118:121], v84 offset:480
	v_fma_f64 v[82:83], v[98:99], v[2:3], -v[82:83]
	v_fmac_f64_e32 v[122:123], v[100:101], v[2:3]
	ds_load_b128 v[2:5], v84 offset:464
	s_wait_loadcnt_dscnt 0xb02
	v_mul_f64_e32 v[124:125], v[110:111], v[8:9]
	v_mul_f64_e32 v[8:9], v[112:113], v[8:9]
	scratch_load_b128 v[98:101], off, off offset:208
	s_wait_loadcnt_dscnt 0xb00
	v_mul_f64_e32 v[126:127], v[2:3], v[12:13]
	v_mul_f64_e32 v[12:13], v[4:5], v[12:13]
	v_add_f64_e32 v[82:83], 0, v[82:83]
	v_fmac_f64_e32 v[124:125], v[112:113], v[6:7]
	v_fma_f64 v[110:111], v[110:111], v[6:7], -v[8:9]
	v_add_f64_e32 v[112:113], 0, v[122:123]
	scratch_load_b128 v[6:9], off, off offset:224
	s_wait_loadcnt 0xb
	v_mul_f64_e32 v[122:123], v[118:119], v[68:69]
	v_mul_f64_e32 v[68:69], v[120:121], v[68:69]
	v_fmac_f64_e32 v[126:127], v[4:5], v[10:11]
	v_fma_f64 v[128:129], v[2:3], v[10:11], -v[12:13]
	ds_load_b128 v[2:5], v84 offset:496
	ds_load_b128 v[10:13], v84 offset:512
	v_add_f64_e32 v[82:83], v[82:83], v[110:111]
	v_add_f64_e32 v[110:111], v[112:113], v[124:125]
	v_fmac_f64_e32 v[122:123], v[120:121], v[66:67]
	v_fma_f64 v[112:113], v[118:119], v[66:67], -v[68:69]
	scratch_load_b128 v[66:69], off, off offset:240
	s_wait_loadcnt_dscnt 0xb01
	v_mul_f64_e32 v[124:125], v[2:3], v[72:73]
	v_mul_f64_e32 v[72:73], v[4:5], v[72:73]
	s_wait_loadcnt_dscnt 0xa00
	v_mul_f64_e32 v[118:119], v[10:11], v[76:77]
	v_mul_f64_e32 v[76:77], v[12:13], v[76:77]
	v_add_f64_e32 v[82:83], v[82:83], v[128:129]
	v_add_f64_e32 v[110:111], v[110:111], v[126:127]
	v_fmac_f64_e32 v[124:125], v[4:5], v[70:71]
	v_fma_f64 v[120:121], v[2:3], v[70:71], -v[72:73]
	scratch_load_b128 v[2:5], off, off offset:256
	v_fmac_f64_e32 v[118:119], v[12:13], v[74:75]
	v_fma_f64 v[74:75], v[10:11], v[74:75], -v[76:77]
	v_add_f64_e32 v[82:83], v[82:83], v[112:113]
	v_add_f64_e32 v[122:123], v[110:111], v[122:123]
	ds_load_b128 v[70:73], v84 offset:528
	ds_load_b128 v[110:113], v84 offset:544
	scratch_load_b128 v[10:13], off, off offset:272
	s_wait_loadcnt_dscnt 0xb01
	v_mul_f64_e32 v[126:127], v[70:71], v[80:81]
	v_mul_f64_e32 v[76:77], v[72:73], v[80:81]
	v_add_f64_e32 v[80:81], v[82:83], v[120:121]
	v_add_f64_e32 v[82:83], v[122:123], v[124:125]
	s_wait_loadcnt_dscnt 0xa00
	v_mul_f64_e32 v[120:121], v[110:111], v[88:89]
	v_mul_f64_e32 v[88:89], v[112:113], v[88:89]
	v_fmac_f64_e32 v[126:127], v[72:73], v[78:79]
	v_fma_f64 v[122:123], v[70:71], v[78:79], -v[76:77]
	scratch_load_b128 v[70:73], off, off offset:288
	v_add_f64_e32 v[124:125], v[80:81], v[74:75]
	v_add_f64_e32 v[82:83], v[82:83], v[118:119]
	ds_load_b128 v[74:77], v84 offset:560
	ds_load_b128 v[78:81], v84 offset:576
	v_fmac_f64_e32 v[120:121], v[112:113], v[86:87]
	v_fma_f64 v[110:111], v[110:111], v[86:87], -v[88:89]
	scratch_load_b128 v[86:89], off, off offset:304
	s_wait_loadcnt_dscnt 0xb01
	v_mul_f64_e32 v[118:119], v[74:75], v[92:93]
	v_mul_f64_e32 v[92:93], v[76:77], v[92:93]
	v_add_f64_e32 v[112:113], v[124:125], v[122:123]
	v_add_f64_e32 v[82:83], v[82:83], v[126:127]
	s_wait_loadcnt_dscnt 0xa00
	v_mul_f64_e32 v[122:123], v[78:79], v[96:97]
	v_mul_f64_e32 v[96:97], v[80:81], v[96:97]
	v_fmac_f64_e32 v[118:119], v[76:77], v[90:91]
	v_fma_f64 v[124:125], v[74:75], v[90:91], -v[92:93]
	scratch_load_b128 v[74:77], off, off offset:320
	v_add_f64_e32 v[126:127], v[112:113], v[110:111]
	v_add_f64_e32 v[82:83], v[82:83], v[120:121]
	ds_load_b128 v[90:93], v84 offset:592
	ds_load_b128 v[110:113], v84 offset:608
	v_fmac_f64_e32 v[122:123], v[80:81], v[94:95]
	v_fma_f64 v[94:95], v[78:79], v[94:95], -v[96:97]
	;; [unrolled: 18-line block ×3, first 2 shown]
	s_clause 0x1
	scratch_load_b128 v[110:113], off, off offset:368
	scratch_load_b128 v[114:117], off, off offset:384
	s_wait_loadcnt_dscnt 0xb01
	v_mul_f64_e32 v[122:123], v[94:95], v[100:101]
	v_mul_f64_e32 v[100:101], v[96:97], v[100:101]
	v_add_f64_e32 v[124:125], v[126:127], v[124:125]
	v_add_f64_e32 v[82:83], v[82:83], v[120:121]
	s_wait_loadcnt_dscnt 0xa00
	v_mul_f64_e32 v[120:121], v[102:103], v[8:9]
	v_mul_f64_e32 v[8:9], v[104:105], v[8:9]
	v_fmac_f64_e32 v[122:123], v[96:97], v[98:99]
	v_fma_f64 v[126:127], v[94:95], v[98:99], -v[100:101]
	ds_load_b128 v[94:97], v84 offset:656
	scratch_load_b128 v[98:101], off, off offset:400
	v_add_f64_e32 v[124:125], v[124:125], v[128:129]
	v_add_f64_e32 v[82:83], v[82:83], v[118:119]
	v_fmac_f64_e32 v[120:121], v[104:105], v[6:7]
	v_fma_f64 v[102:103], v[102:103], v[6:7], -v[8:9]
	ds_load_b128 v[6:9], v84 offset:672
	s_wait_loadcnt_dscnt 0xa01
	v_mul_f64_e32 v[104:105], v[94:95], v[68:69]
	v_mul_f64_e32 v[68:69], v[96:97], v[68:69]
	v_add_f64_e32 v[118:119], v[124:125], v[126:127]
	v_add_f64_e32 v[82:83], v[82:83], v[122:123]
	s_wait_loadcnt_dscnt 0x900
	v_mul_f64_e32 v[122:123], v[6:7], v[4:5]
	v_mul_f64_e32 v[4:5], v[8:9], v[4:5]
	v_fmac_f64_e32 v[104:105], v[96:97], v[66:67]
	v_fma_f64 v[124:125], v[94:95], v[66:67], -v[68:69]
	ds_load_b128 v[66:69], v84 offset:688
	ds_load_b128 v[94:97], v84 offset:704
	v_add_f64_e32 v[102:103], v[118:119], v[102:103]
	v_add_f64_e32 v[82:83], v[82:83], v[120:121]
	s_wait_loadcnt_dscnt 0x801
	v_mul_f64_e32 v[118:119], v[66:67], v[12:13]
	v_mul_f64_e32 v[12:13], v[68:69], v[12:13]
	v_fmac_f64_e32 v[122:123], v[8:9], v[2:3]
	v_fma_f64 v[2:3], v[6:7], v[2:3], -v[4:5]
	v_add_f64_e32 v[4:5], v[102:103], v[124:125]
	v_add_f64_e32 v[6:7], v[82:83], v[104:105]
	v_fmac_f64_e32 v[118:119], v[68:69], v[10:11]
	v_fma_f64 v[10:11], v[66:67], v[10:11], -v[12:13]
	s_wait_loadcnt_dscnt 0x700
	v_mul_f64_e32 v[82:83], v[94:95], v[72:73]
	v_mul_f64_e32 v[72:73], v[96:97], v[72:73]
	v_add_f64_e32 v[12:13], v[4:5], v[2:3]
	v_add_f64_e32 v[66:67], v[6:7], v[122:123]
	ds_load_b128 v[2:5], v84 offset:720
	ds_load_b128 v[6:9], v84 offset:736
	s_wait_loadcnt_dscnt 0x601
	v_mul_f64_e32 v[68:69], v[2:3], v[88:89]
	v_mul_f64_e32 v[88:89], v[4:5], v[88:89]
	v_fmac_f64_e32 v[82:83], v[96:97], v[70:71]
	v_fma_f64 v[70:71], v[94:95], v[70:71], -v[72:73]
	v_add_f64_e32 v[10:11], v[12:13], v[10:11]
	v_add_f64_e32 v[12:13], v[66:67], v[118:119]
	v_fmac_f64_e32 v[68:69], v[4:5], v[86:87]
	s_wait_loadcnt_dscnt 0x500
	v_mul_f64_e32 v[66:67], v[6:7], v[76:77]
	v_mul_f64_e32 v[72:73], v[8:9], v[76:77]
	v_fma_f64 v[76:77], v[2:3], v[86:87], -v[88:89]
	v_add_f64_e32 v[70:71], v[10:11], v[70:71]
	v_add_f64_e32 v[82:83], v[12:13], v[82:83]
	ds_load_b128 v[2:5], v84 offset:752
	ds_load_b128 v[10:13], v84 offset:768
	s_wait_loadcnt_dscnt 0x401
	v_mul_f64_e32 v[86:87], v[2:3], v[80:81]
	v_mul_f64_e32 v[80:81], v[4:5], v[80:81]
	v_fmac_f64_e32 v[66:67], v[8:9], v[74:75]
	v_fma_f64 v[6:7], v[6:7], v[74:75], -v[72:73]
	v_add_f64_e32 v[8:9], v[70:71], v[76:77]
	v_add_f64_e32 v[68:69], v[82:83], v[68:69]
	v_lshl_add_u64 v[82:83], v[18:19], 4, s[4:5]
	v_lshl_add_u64 v[18:19], v[52:53], 4, s[4:5]
	v_fmac_f64_e32 v[86:87], v[4:5], v[78:79]
	v_fma_f64 v[74:75], v[2:3], v[78:79], -v[80:81]
	s_wait_loadcnt_dscnt 0x300
	v_mul_f64_e32 v[70:71], v[10:11], v[92:93]
	v_mul_f64_e32 v[72:73], v[12:13], v[92:93]
	v_lshl_add_u64 v[80:81], v[20:21], 4, s[4:5]
	v_lshl_add_u64 v[20:21], v[50:51], 4, s[4:5]
	v_add_f64_e32 v[76:77], v[8:9], v[6:7]
	v_add_f64_e32 v[66:67], v[68:69], v[66:67]
	ds_load_b128 v[2:5], v84 offset:784
	ds_load_b128 v[6:9], v84 offset:800
	s_wait_loadcnt_dscnt 0x201
	v_mul_f64_e32 v[68:69], v[2:3], v[112:113]
	v_mul_f64_e32 v[78:79], v[4:5], v[112:113]
	v_fmac_f64_e32 v[70:71], v[12:13], v[90:91]
	v_fma_f64 v[10:11], v[10:11], v[90:91], -v[72:73]
	s_wait_loadcnt_dscnt 0x100
	v_mul_f64_e32 v[72:73], v[6:7], v[116:117]
	v_add_f64_e32 v[12:13], v[76:77], v[74:75]
	v_add_f64_e32 v[66:67], v[66:67], v[86:87]
	v_mul_f64_e32 v[74:75], v[8:9], v[116:117]
	v_fmac_f64_e32 v[68:69], v[4:5], v[110:111]
	v_fma_f64 v[76:77], v[2:3], v[110:111], -v[78:79]
	ds_load_b128 v[2:5], v84 offset:816
	v_lshl_add_u64 v[78:79], v[22:23], 4, s[4:5]
	v_fmac_f64_e32 v[72:73], v[8:9], v[114:115]
	v_lshl_add_u64 v[22:23], v[48:49], 4, s[4:5]
	v_add_f64_e32 v[10:11], v[12:13], v[10:11]
	v_add_f64_e32 v[12:13], v[66:67], v[70:71]
	v_fma_f64 v[6:7], v[6:7], v[114:115], -v[74:75]
	v_lshl_add_u64 v[74:75], v[26:27], 4, s[4:5]
	v_lshl_add_u64 v[26:27], v[44:45], 4, s[4:5]
	s_wait_loadcnt_dscnt 0x0
	v_mul_f64_e32 v[66:67], v[2:3], v[100:101]
	v_mul_f64_e32 v[70:71], v[4:5], v[100:101]
	v_add_f64_e32 v[8:9], v[10:11], v[76:77]
	v_add_f64_e32 v[10:11], v[12:13], v[68:69]
	v_lshl_add_u64 v[76:77], v[24:25], 4, s[4:5]
	v_lshl_add_u64 v[68:69], v[32:33], 4, s[4:5]
	;; [unrolled: 1-line block ×5, first 2 shown]
	v_fmac_f64_e32 v[66:67], v[4:5], v[98:99]
	v_fma_f64 v[2:3], v[2:3], v[98:99], -v[70:71]
	v_lshl_add_u64 v[70:71], v[30:31], 4, s[4:5]
	v_lshl_add_u64 v[30:31], v[40:41], 4, s[4:5]
	v_add_f64_e32 v[4:5], v[8:9], v[6:7]
	v_add_f64_e32 v[6:7], v[10:11], v[72:73]
	v_lshl_add_u64 v[72:73], v[28:29], 4, s[4:5]
	v_lshl_add_u64 v[28:29], v[42:43], 4, s[4:5]
	;; [unrolled: 1-line block ×4, first 2 shown]
	v_add_f64_e32 v[2:3], v[4:5], v[2:3]
	v_add_f64_e32 v[4:5], v[6:7], v[66:67]
	v_lshl_add_u64 v[66:67], v[34:35], 4, s[4:5]
	v_lshl_add_u64 v[34:35], v[36:37], 4, s[4:5]
	;; [unrolled: 1-line block ×3, first 2 shown]
	v_add_f64_e64 v[86:87], v[106:107], -v[2:3]
	v_add_f64_e64 v[88:89], v[108:109], -v[4:5]
	v_lshl_add_u64 v[4:5], v[62:63], 4, s[4:5]
	v_lshl_add_u64 v[2:3], v[64:65], 4, s[4:5]
	scratch_store_b128 off, v[86:89], off
	s_cbranch_vccz .LBB89_220
; %bb.170:
	global_load_b32 v36, v84, s[8:9] offset:96
	s_load_b64 s[2:3], s[0:1], 0x4
	v_bfe_u32 v37, v0, 10, 10
	v_bfe_u32 v0, v0, 20, 10
	s_wait_kmcnt 0x0
	s_lshr_b32 s0, s2, 16
	s_delay_alu instid0(VALU_DEP_2) | instskip(SKIP_1) | instid1(SALU_CYCLE_1)
	v_mul_u32_u24_e32 v37, s3, v37
	s_mul_i32 s0, s0, s3
	v_mul_u32_u24_e32 v1, s0, v1
	s_delay_alu instid0(VALU_DEP_1) | instskip(NEXT) | instid1(VALU_DEP_1)
	v_add3_u32 v0, v1, v37, v0
	v_lshl_add_u32 v0, v0, 4, 0x348
	s_wait_loadcnt 0x0
	v_cmp_ne_u32_e32 vcc_lo, 25, v36
	s_cbranch_vccz .LBB89_172
; %bb.171:
	v_lshlrev_b32_e32 v1, 4, v36
	s_clause 0x1
	scratch_load_b128 v[36:39], off, s35
	scratch_load_b128 v[40:43], v1, off offset:-16
	s_wait_loadcnt 0x1
	ds_store_2addr_b64 v0, v[36:37], v[38:39] offset1:1
	s_wait_loadcnt 0x0
	s_clause 0x1
	scratch_store_b128 off, v[40:43], s35
	scratch_store_b128 v1, v[36:39], off offset:-16
.LBB89_172:
	s_wait_xcnt 0x0
	v_mov_b32_e32 v1, 0
	global_load_b32 v36, v1, s[8:9] offset:92
	s_wait_loadcnt 0x0
	v_cmp_eq_u32_e32 vcc_lo, 24, v36
	s_cbranch_vccnz .LBB89_174
; %bb.173:
	v_lshlrev_b32_e32 v36, 4, v36
	s_delay_alu instid0(VALU_DEP_1)
	v_mov_b32_e32 v44, v36
	s_clause 0x1
	scratch_load_b128 v[36:39], off, s21
	scratch_load_b128 v[40:43], v44, off offset:-16
	s_wait_loadcnt 0x1
	ds_store_2addr_b64 v0, v[36:37], v[38:39] offset1:1
	s_wait_loadcnt 0x0
	s_clause 0x1
	scratch_store_b128 off, v[40:43], s21
	scratch_store_b128 v44, v[36:39], off offset:-16
.LBB89_174:
	global_load_b32 v1, v1, s[8:9] offset:88
	s_wait_loadcnt 0x0
	v_cmp_eq_u32_e32 vcc_lo, 23, v1
	s_cbranch_vccnz .LBB89_176
; %bb.175:
	s_wait_xcnt 0x0
	v_lshlrev_b32_e32 v1, 4, v1
	s_clause 0x1
	scratch_load_b128 v[36:39], off, s34
	scratch_load_b128 v[40:43], v1, off offset:-16
	s_wait_loadcnt 0x1
	ds_store_2addr_b64 v0, v[36:37], v[38:39] offset1:1
	s_wait_loadcnt 0x0
	s_clause 0x1
	scratch_store_b128 off, v[40:43], s34
	scratch_store_b128 v1, v[36:39], off offset:-16
.LBB89_176:
	s_wait_xcnt 0x0
	v_mov_b32_e32 v1, 0
	global_load_b32 v36, v1, s[8:9] offset:84
	s_wait_loadcnt 0x0
	v_cmp_eq_u32_e32 vcc_lo, 22, v36
	s_cbranch_vccnz .LBB89_178
; %bb.177:
	v_lshlrev_b32_e32 v36, 4, v36
	s_delay_alu instid0(VALU_DEP_1)
	v_mov_b32_e32 v44, v36
	s_clause 0x1
	scratch_load_b128 v[36:39], off, s20
	scratch_load_b128 v[40:43], v44, off offset:-16
	s_wait_loadcnt 0x1
	ds_store_2addr_b64 v0, v[36:37], v[38:39] offset1:1
	s_wait_loadcnt 0x0
	s_clause 0x1
	scratch_store_b128 off, v[40:43], s20
	scratch_store_b128 v44, v[36:39], off offset:-16
.LBB89_178:
	global_load_b32 v1, v1, s[8:9] offset:80
	s_wait_loadcnt 0x0
	v_cmp_eq_u32_e32 vcc_lo, 21, v1
	s_cbranch_vccnz .LBB89_180
; %bb.179:
	s_wait_xcnt 0x0
	v_lshlrev_b32_e32 v1, 4, v1
	s_clause 0x1
	scratch_load_b128 v[36:39], off, s33
	scratch_load_b128 v[40:43], v1, off offset:-16
	s_wait_loadcnt 0x1
	ds_store_2addr_b64 v0, v[36:37], v[38:39] offset1:1
	s_wait_loadcnt 0x0
	s_clause 0x1
	scratch_store_b128 off, v[40:43], s33
	scratch_store_b128 v1, v[36:39], off offset:-16
.LBB89_180:
	;; [unrolled: 37-line block ×11, first 2 shown]
	s_wait_xcnt 0x0
	v_mov_b32_e32 v1, 0
	global_load_b32 v36, v1, s[8:9] offset:4
	s_wait_loadcnt 0x0
	v_cmp_eq_u32_e32 vcc_lo, 2, v36
	s_cbranch_vccnz .LBB89_218
; %bb.217:
	v_lshlrev_b32_e32 v36, 4, v36
	s_delay_alu instid0(VALU_DEP_1)
	v_mov_b32_e32 v44, v36
	s_clause 0x1
	scratch_load_b128 v[36:39], off, s37
	scratch_load_b128 v[40:43], v44, off offset:-16
	s_wait_loadcnt 0x1
	ds_store_2addr_b64 v0, v[36:37], v[38:39] offset1:1
	s_wait_loadcnt 0x0
	s_clause 0x1
	scratch_store_b128 off, v[40:43], s37
	scratch_store_b128 v44, v[36:39], off offset:-16
.LBB89_218:
	global_load_b32 v1, v1, s[8:9]
	s_wait_loadcnt 0x0
	v_cmp_eq_u32_e32 vcc_lo, 1, v1
	s_cbranch_vccnz .LBB89_220
; %bb.219:
	s_wait_xcnt 0x0
	v_lshlrev_b32_e32 v1, 4, v1
	scratch_load_b128 v[36:39], off, off
	scratch_load_b128 v[40:43], v1, off offset:-16
	s_wait_loadcnt 0x1
	ds_store_2addr_b64 v0, v[36:37], v[38:39] offset1:1
	s_wait_loadcnt 0x0
	scratch_store_b128 off, v[40:43], off
	scratch_store_b128 v1, v[36:39], off offset:-16
.LBB89_220:
	scratch_load_b128 v[36:39], off, off
	s_wait_loadcnt 0x0
	flat_store_b128 v[14:15], v[36:39]
	scratch_load_b128 v[36:39], off, s37
	s_wait_loadcnt 0x0
	flat_store_b128 v[16:17], v[36:39]
	scratch_load_b128 v[14:17], off, s36
	s_wait_loadcnt 0x0
	flat_store_b128 v[82:83], v[14:17]
	scratch_load_b128 v[14:17], off, s23
	s_wait_loadcnt 0x0
	flat_store_b128 v[80:81], v[14:17]
	scratch_load_b128 v[14:17], off, s24
	s_wait_loadcnt 0x0
	flat_store_b128 v[78:79], v[14:17]
	scratch_load_b128 v[14:17], off, s12
	s_wait_loadcnt 0x0
	flat_store_b128 v[76:77], v[14:17]
	scratch_load_b128 v[14:17], off, s25
	s_wait_loadcnt 0x0
	flat_store_b128 v[74:75], v[14:17]
	scratch_load_b128 v[14:17], off, s13
	s_wait_loadcnt 0x0
	flat_store_b128 v[72:73], v[14:17]
	scratch_load_b128 v[14:17], off, s26
	s_wait_loadcnt 0x0
	flat_store_b128 v[70:71], v[14:17]
	scratch_load_b128 v[14:17], off, s14
	s_wait_loadcnt 0x0
	flat_store_b128 v[68:69], v[14:17]
	scratch_load_b128 v[14:17], off, s27
	s_wait_loadcnt 0x0
	flat_store_b128 v[66:67], v[14:17]
	scratch_load_b128 v[14:17], off, s15
	s_wait_loadcnt 0x0
	flat_store_b128 v[34:35], v[14:17]
	scratch_load_b128 v[14:17], off, s28
	s_wait_loadcnt 0x0
	flat_store_b128 v[32:33], v[14:17]
	scratch_load_b128 v[14:17], off, s16
	s_wait_loadcnt 0x0
	flat_store_b128 v[30:31], v[14:17]
	scratch_load_b128 v[14:17], off, s29
	s_wait_loadcnt 0x0
	flat_store_b128 v[28:29], v[14:17]
	scratch_load_b128 v[14:17], off, s17
	s_wait_loadcnt 0x0
	flat_store_b128 v[26:27], v[14:17]
	scratch_load_b128 v[14:17], off, s30
	s_wait_loadcnt 0x0
	flat_store_b128 v[24:25], v[14:17]
	scratch_load_b128 v[14:17], off, s18
	s_wait_loadcnt 0x0
	flat_store_b128 v[22:23], v[14:17]
	scratch_load_b128 v[14:17], off, s31
	s_wait_loadcnt 0x0
	flat_store_b128 v[20:21], v[14:17]
	scratch_load_b128 v[14:17], off, s19
	s_wait_loadcnt 0x0
	flat_store_b128 v[18:19], v[14:17]
	scratch_load_b128 v[14:17], off, s33
	s_wait_loadcnt 0x0
	flat_store_b128 v[12:13], v[14:17]
	scratch_load_b128 v[12:15], off, s20
	s_wait_loadcnt 0x0
	flat_store_b128 v[10:11], v[12:15]
	scratch_load_b128 v[10:13], off, s34
	s_wait_loadcnt 0x0
	flat_store_b128 v[8:9], v[10:13]
	scratch_load_b128 v[8:11], off, s21
	s_wait_loadcnt 0x0
	flat_store_b128 v[6:7], v[8:11]
	scratch_load_b128 v[6:9], off, s35
	s_wait_loadcnt 0x0
	flat_store_b128 v[4:5], v[6:9]
	scratch_load_b128 v[4:7], off, s22
	s_wait_loadcnt 0x0
	flat_store_b128 v[2:3], v[4:7]
	s_sendmsg sendmsg(MSG_DEALLOC_VGPRS)
	s_endpgm
	.section	.rodata,"a",@progbits
	.p2align	6, 0x0
	.amdhsa_kernel _ZN9rocsolver6v33100L18getri_kernel_smallILi26E19rocblas_complex_numIdEPKPS3_EEvT1_iilPiilS8_bb
		.amdhsa_group_segment_fixed_size 1864
		.amdhsa_private_segment_fixed_size 432
		.amdhsa_kernarg_size 60
		.amdhsa_user_sgpr_count 4
		.amdhsa_user_sgpr_dispatch_ptr 1
		.amdhsa_user_sgpr_queue_ptr 0
		.amdhsa_user_sgpr_kernarg_segment_ptr 1
		.amdhsa_user_sgpr_dispatch_id 0
		.amdhsa_user_sgpr_kernarg_preload_length 0
		.amdhsa_user_sgpr_kernarg_preload_offset 0
		.amdhsa_user_sgpr_private_segment_size 0
		.amdhsa_wavefront_size32 1
		.amdhsa_uses_dynamic_stack 0
		.amdhsa_enable_private_segment 1
		.amdhsa_system_sgpr_workgroup_id_x 1
		.amdhsa_system_sgpr_workgroup_id_y 0
		.amdhsa_system_sgpr_workgroup_id_z 0
		.amdhsa_system_sgpr_workgroup_info 0
		.amdhsa_system_vgpr_workitem_id 2
		.amdhsa_next_free_vgpr 134
		.amdhsa_next_free_sgpr 42
		.amdhsa_named_barrier_count 0
		.amdhsa_reserve_vcc 1
		.amdhsa_float_round_mode_32 0
		.amdhsa_float_round_mode_16_64 0
		.amdhsa_float_denorm_mode_32 3
		.amdhsa_float_denorm_mode_16_64 3
		.amdhsa_fp16_overflow 0
		.amdhsa_memory_ordered 1
		.amdhsa_forward_progress 1
		.amdhsa_inst_pref_size 255
		.amdhsa_round_robin_scheduling 0
		.amdhsa_exception_fp_ieee_invalid_op 0
		.amdhsa_exception_fp_denorm_src 0
		.amdhsa_exception_fp_ieee_div_zero 0
		.amdhsa_exception_fp_ieee_overflow 0
		.amdhsa_exception_fp_ieee_underflow 0
		.amdhsa_exception_fp_ieee_inexact 0
		.amdhsa_exception_int_div_zero 0
	.end_amdhsa_kernel
	.section	.text._ZN9rocsolver6v33100L18getri_kernel_smallILi26E19rocblas_complex_numIdEPKPS3_EEvT1_iilPiilS8_bb,"axG",@progbits,_ZN9rocsolver6v33100L18getri_kernel_smallILi26E19rocblas_complex_numIdEPKPS3_EEvT1_iilPiilS8_bb,comdat
.Lfunc_end89:
	.size	_ZN9rocsolver6v33100L18getri_kernel_smallILi26E19rocblas_complex_numIdEPKPS3_EEvT1_iilPiilS8_bb, .Lfunc_end89-_ZN9rocsolver6v33100L18getri_kernel_smallILi26E19rocblas_complex_numIdEPKPS3_EEvT1_iilPiilS8_bb
                                        ; -- End function
	.set _ZN9rocsolver6v33100L18getri_kernel_smallILi26E19rocblas_complex_numIdEPKPS3_EEvT1_iilPiilS8_bb.num_vgpr, 134
	.set _ZN9rocsolver6v33100L18getri_kernel_smallILi26E19rocblas_complex_numIdEPKPS3_EEvT1_iilPiilS8_bb.num_agpr, 0
	.set _ZN9rocsolver6v33100L18getri_kernel_smallILi26E19rocblas_complex_numIdEPKPS3_EEvT1_iilPiilS8_bb.numbered_sgpr, 42
	.set _ZN9rocsolver6v33100L18getri_kernel_smallILi26E19rocblas_complex_numIdEPKPS3_EEvT1_iilPiilS8_bb.num_named_barrier, 0
	.set _ZN9rocsolver6v33100L18getri_kernel_smallILi26E19rocblas_complex_numIdEPKPS3_EEvT1_iilPiilS8_bb.private_seg_size, 432
	.set _ZN9rocsolver6v33100L18getri_kernel_smallILi26E19rocblas_complex_numIdEPKPS3_EEvT1_iilPiilS8_bb.uses_vcc, 1
	.set _ZN9rocsolver6v33100L18getri_kernel_smallILi26E19rocblas_complex_numIdEPKPS3_EEvT1_iilPiilS8_bb.uses_flat_scratch, 1
	.set _ZN9rocsolver6v33100L18getri_kernel_smallILi26E19rocblas_complex_numIdEPKPS3_EEvT1_iilPiilS8_bb.has_dyn_sized_stack, 0
	.set _ZN9rocsolver6v33100L18getri_kernel_smallILi26E19rocblas_complex_numIdEPKPS3_EEvT1_iilPiilS8_bb.has_recursion, 0
	.set _ZN9rocsolver6v33100L18getri_kernel_smallILi26E19rocblas_complex_numIdEPKPS3_EEvT1_iilPiilS8_bb.has_indirect_call, 0
	.section	.AMDGPU.csdata,"",@progbits
; Kernel info:
; codeLenInByte = 33288
; TotalNumSgprs: 44
; NumVgprs: 134
; ScratchSize: 432
; MemoryBound: 0
; FloatMode: 240
; IeeeMode: 1
; LDSByteSize: 1864 bytes/workgroup (compile time only)
; SGPRBlocks: 0
; VGPRBlocks: 8
; NumSGPRsForWavesPerEU: 44
; NumVGPRsForWavesPerEU: 134
; NamedBarCnt: 0
; Occupancy: 7
; WaveLimiterHint : 1
; COMPUTE_PGM_RSRC2:SCRATCH_EN: 1
; COMPUTE_PGM_RSRC2:USER_SGPR: 4
; COMPUTE_PGM_RSRC2:TRAP_HANDLER: 0
; COMPUTE_PGM_RSRC2:TGID_X_EN: 1
; COMPUTE_PGM_RSRC2:TGID_Y_EN: 0
; COMPUTE_PGM_RSRC2:TGID_Z_EN: 0
; COMPUTE_PGM_RSRC2:TIDIG_COMP_CNT: 2
	.section	.text._ZN9rocsolver6v33100L18getri_kernel_smallILi27E19rocblas_complex_numIdEPKPS3_EEvT1_iilPiilS8_bb,"axG",@progbits,_ZN9rocsolver6v33100L18getri_kernel_smallILi27E19rocblas_complex_numIdEPKPS3_EEvT1_iilPiilS8_bb,comdat
	.globl	_ZN9rocsolver6v33100L18getri_kernel_smallILi27E19rocblas_complex_numIdEPKPS3_EEvT1_iilPiilS8_bb ; -- Begin function _ZN9rocsolver6v33100L18getri_kernel_smallILi27E19rocblas_complex_numIdEPKPS3_EEvT1_iilPiilS8_bb
	.p2align	8
	.type	_ZN9rocsolver6v33100L18getri_kernel_smallILi27E19rocblas_complex_numIdEPKPS3_EEvT1_iilPiilS8_bb,@function
_ZN9rocsolver6v33100L18getri_kernel_smallILi27E19rocblas_complex_numIdEPKPS3_EEvT1_iilPiilS8_bb: ; @_ZN9rocsolver6v33100L18getri_kernel_smallILi27E19rocblas_complex_numIdEPKPS3_EEvT1_iilPiilS8_bb
; %bb.0:
	v_and_b32_e32 v1, 0x3ff, v0
	s_mov_b32 s4, exec_lo
	s_delay_alu instid0(VALU_DEP_1)
	v_cmpx_gt_u32_e32 27, v1
	s_cbranch_execz .LBB90_122
; %bb.1:
	s_clause 0x1
	s_load_b32 s16, s[2:3], 0x38
	s_load_b64 s[8:9], s[2:3], 0x0
	s_getreg_b32 s6, hwreg(HW_REG_IB_STS2, 6, 4)
	s_wait_kmcnt 0x0
	s_bitcmp1_b32 s16, 8
	s_cselect_b32 s39, -1, 0
	s_bfe_u32 s4, ttmp6, 0x4000c
	s_and_b32 s5, ttmp6, 15
	s_add_co_i32 s4, s4, 1
	s_delay_alu instid0(SALU_CYCLE_1) | instskip(NEXT) | instid1(SALU_CYCLE_1)
	s_mul_i32 s4, ttmp9, s4
	s_add_co_i32 s5, s5, s4
	s_cmp_eq_u32 s6, 0
	s_cselect_b32 s10, ttmp9, s5
	s_load_b128 s[4:7], s[2:3], 0x28
	s_ashr_i32 s11, s10, 31
	s_delay_alu instid0(SALU_CYCLE_1) | instskip(NEXT) | instid1(SALU_CYCLE_1)
	s_lshl_b64 s[12:13], s[10:11], 3
	s_add_nc_u64 s[8:9], s[8:9], s[12:13]
	s_load_b64 s[14:15], s[8:9], 0x0
	s_wait_xcnt 0x0
	s_bfe_u32 s8, s16, 0x10008
	s_delay_alu instid0(SALU_CYCLE_1)
	s_cmp_eq_u32 s8, 0
                                        ; implicit-def: $sgpr8_sgpr9
	s_cbranch_scc1 .LBB90_3
; %bb.2:
	s_load_b96 s[16:18], s[2:3], 0x18
	s_wait_kmcnt 0x0
	s_mul_u64 s[4:5], s[4:5], s[10:11]
	s_delay_alu instid0(SALU_CYCLE_1) | instskip(SKIP_4) | instid1(SALU_CYCLE_1)
	s_lshl_b64 s[4:5], s[4:5], 2
	s_ashr_i32 s9, s18, 31
	s_mov_b32 s8, s18
	s_add_nc_u64 s[4:5], s[16:17], s[4:5]
	s_lshl_b64 s[8:9], s[8:9], 2
	s_add_nc_u64 s[8:9], s[4:5], s[8:9]
.LBB90_3:
	s_clause 0x1
	s_load_b64 s[12:13], s[2:3], 0x8
	s_load_b32 s40, s[2:3], 0x38
	v_dual_mov_b32 v69, 0 :: v_dual_lshlrev_b32 v68, 4, v1
	s_movk_i32 s41, 0x110
	s_movk_i32 s42, 0x120
	;; [unrolled: 1-line block ×10, first 2 shown]
	s_mov_b32 s18, 16
	s_mov_b32 s16, 32
	s_movk_i32 s38, 0x50
	s_movk_i32 s37, 0x60
	;; [unrolled: 1-line block ×4, first 2 shown]
	s_wait_kmcnt 0x0
	s_ashr_i32 s3, s12, 31
	s_mov_b32 s2, s12
	v_add3_u32 v18, s13, s13, v1
	s_lshl_b64 s[2:3], s[2:3], 4
	s_mov_b32 s12, 64
	s_add_nc_u64 s[4:5], s[14:15], s[2:3]
	s_ashr_i32 s3, s13, 31
	flat_load_b128 v[2:5], v1, s[4:5] scale_offset
	v_add_nc_u64_e32 v[14:15], s[4:5], v[68:69]
	s_mov_b32 s2, s13
	v_add_nc_u32_e32 v20, s13, v18
	s_mov_b32 s14, 48
	s_movk_i32 s34, 0x90
	s_movk_i32 s33, 0xa0
	;; [unrolled: 1-line block ×3, first 2 shown]
	v_lshl_add_u64 v[16:17], s[2:3], 4, v[14:15]
	v_add_nc_u32_e32 v22, s13, v20
	s_movk_i32 s30, 0xc0
	s_movk_i32 s29, 0xd0
	;; [unrolled: 1-line block ×4, first 2 shown]
	v_add_nc_u32_e32 v24, s13, v22
	s_movk_i32 s26, 0x100
	s_mov_b32 s25, s41
	s_mov_b32 s24, s42
	;; [unrolled: 1-line block ×3, first 2 shown]
	v_add_nc_u32_e32 v26, s13, v24
	s_mov_b32 s22, s44
	s_mov_b32 s21, s45
	;; [unrolled: 1-line block ×4, first 2 shown]
	v_add_nc_u32_e32 v28, s13, v26
	s_mov_b32 s17, s48
	s_mov_b32 s15, s49
	s_bitcmp0_b32 s40, 0
	s_mov_b32 s3, -1
	v_add_nc_u32_e32 v30, s13, v28
	s_delay_alu instid0(VALU_DEP_1) | instskip(NEXT) | instid1(VALU_DEP_1)
	v_add_nc_u32_e32 v32, s13, v30
	v_add_nc_u32_e32 v34, s13, v32
	s_delay_alu instid0(VALU_DEP_1) | instskip(NEXT) | instid1(VALU_DEP_1)
	v_add_nc_u32_e32 v36, s13, v34
	;; [unrolled: 3-line block ×9, first 2 shown]
	v_add_nc_u32_e32 v66, s13, v64
	s_mov_b32 s13, s50
	s_wait_loadcnt_dscnt 0x0
	scratch_store_b128 off, v[2:5], off
	flat_load_b128 v[2:5], v[16:17]
	s_wait_loadcnt_dscnt 0x0
	scratch_store_b128 off, v[2:5], off offset:16
	flat_load_b128 v[2:5], v18, s[4:5] scale_offset
	s_wait_loadcnt_dscnt 0x0
	scratch_store_b128 off, v[2:5], off offset:32
	flat_load_b128 v[2:5], v20, s[4:5] scale_offset
	;; [unrolled: 3-line block ×25, first 2 shown]
	s_wait_loadcnt_dscnt 0x0
	scratch_store_b128 off, v[2:5], off offset:416
	s_cbranch_scc1 .LBB90_120
; %bb.4:
	v_cmp_eq_u32_e64 s2, 0, v1
	s_wait_xcnt 0x0
	s_and_saveexec_b32 s3, s2
; %bb.5:
	v_mov_b32_e32 v2, 0
	ds_store_b32 v2, v2 offset:864
; %bb.6:
	s_or_b32 exec_lo, exec_lo, s3
	s_wait_storecnt_dscnt 0x0
	s_barrier_signal -1
	s_barrier_wait -1
	scratch_load_b128 v[2:5], v1, off scale_offset
	s_wait_loadcnt 0x0
	v_cmp_eq_f64_e32 vcc_lo, 0, v[2:3]
	v_cmp_eq_f64_e64 s3, 0, v[4:5]
	s_and_b32 s3, vcc_lo, s3
	s_delay_alu instid0(SALU_CYCLE_1)
	s_and_saveexec_b32 s40, s3
	s_cbranch_execz .LBB90_10
; %bb.7:
	v_mov_b32_e32 v2, 0
	s_mov_b32 s41, 0
	ds_load_b32 v3, v2 offset:864
	s_wait_dscnt 0x0
	v_readfirstlane_b32 s3, v3
	v_add_nc_u32_e32 v3, 1, v1
	s_cmp_eq_u32 s3, 0
	s_delay_alu instid0(VALU_DEP_1) | instskip(SKIP_1) | instid1(SALU_CYCLE_1)
	v_cmp_gt_i32_e32 vcc_lo, s3, v3
	s_cselect_b32 s42, -1, 0
	s_or_b32 s42, s42, vcc_lo
	s_delay_alu instid0(SALU_CYCLE_1)
	s_and_b32 exec_lo, exec_lo, s42
	s_cbranch_execz .LBB90_10
; %bb.8:
	v_mov_b32_e32 v4, s3
.LBB90_9:                               ; =>This Inner Loop Header: Depth=1
	ds_cmpstore_rtn_b32 v4, v2, v3, v4 offset:864
	s_wait_dscnt 0x0
	v_cmp_ne_u32_e32 vcc_lo, 0, v4
	v_cmp_le_i32_e64 s3, v4, v3
	s_and_b32 s3, vcc_lo, s3
	s_delay_alu instid0(SALU_CYCLE_1) | instskip(NEXT) | instid1(SALU_CYCLE_1)
	s_and_b32 s3, exec_lo, s3
	s_or_b32 s41, s3, s41
	s_delay_alu instid0(SALU_CYCLE_1)
	s_and_not1_b32 exec_lo, exec_lo, s41
	s_cbranch_execnz .LBB90_9
.LBB90_10:
	s_or_b32 exec_lo, exec_lo, s40
	v_mov_b32_e32 v2, 0
	s_barrier_signal -1
	s_barrier_wait -1
	ds_load_b32 v3, v2 offset:864
	s_and_saveexec_b32 s3, s2
	s_cbranch_execz .LBB90_12
; %bb.11:
	s_lshl_b64 s[40:41], s[10:11], 2
	s_delay_alu instid0(SALU_CYCLE_1)
	s_add_nc_u64 s[40:41], s[6:7], s[40:41]
	s_wait_dscnt 0x0
	global_store_b32 v2, v3, s[40:41]
.LBB90_12:
	s_wait_xcnt 0x0
	s_or_b32 exec_lo, exec_lo, s3
	s_wait_dscnt 0x0
	v_cmp_ne_u32_e32 vcc_lo, 0, v3
	s_mov_b32 s3, 0
	s_cbranch_vccnz .LBB90_120
; %bb.13:
	v_lshl_add_u32 v19, v1, 4, 0
                                        ; implicit-def: $vgpr6_vgpr7
                                        ; implicit-def: $vgpr10_vgpr11
	scratch_load_b128 v[2:5], v19, off
	s_wait_loadcnt 0x0
	v_cmp_ngt_f64_e64 s3, |v[2:3]|, |v[4:5]|
	s_wait_xcnt 0x0
	s_and_saveexec_b32 s40, s3
	s_delay_alu instid0(SALU_CYCLE_1)
	s_xor_b32 s3, exec_lo, s40
	s_cbranch_execz .LBB90_15
; %bb.14:
	v_div_scale_f64 v[6:7], null, v[4:5], v[4:5], v[2:3]
	v_div_scale_f64 v[12:13], vcc_lo, v[2:3], v[4:5], v[2:3]
	s_delay_alu instid0(VALU_DEP_2) | instskip(SKIP_1) | instid1(TRANS32_DEP_1)
	v_rcp_f64_e32 v[8:9], v[6:7]
	v_nop
	v_fma_f64 v[10:11], -v[6:7], v[8:9], 1.0
	s_delay_alu instid0(VALU_DEP_1) | instskip(NEXT) | instid1(VALU_DEP_1)
	v_fmac_f64_e32 v[8:9], v[8:9], v[10:11]
	v_fma_f64 v[10:11], -v[6:7], v[8:9], 1.0
	s_delay_alu instid0(VALU_DEP_1) | instskip(NEXT) | instid1(VALU_DEP_1)
	v_fmac_f64_e32 v[8:9], v[8:9], v[10:11]
	v_mul_f64_e32 v[10:11], v[12:13], v[8:9]
	s_delay_alu instid0(VALU_DEP_1) | instskip(NEXT) | instid1(VALU_DEP_1)
	v_fma_f64 v[6:7], -v[6:7], v[10:11], v[12:13]
	v_div_fmas_f64 v[6:7], v[6:7], v[8:9], v[10:11]
	s_delay_alu instid0(VALU_DEP_1) | instskip(NEXT) | instid1(VALU_DEP_1)
	v_div_fixup_f64 v[6:7], v[6:7], v[4:5], v[2:3]
	v_fmac_f64_e32 v[4:5], v[2:3], v[6:7]
	s_delay_alu instid0(VALU_DEP_1) | instskip(SKIP_1) | instid1(VALU_DEP_2)
	v_div_scale_f64 v[2:3], null, v[4:5], v[4:5], 1.0
	v_div_scale_f64 v[12:13], vcc_lo, 1.0, v[4:5], 1.0
	v_rcp_f64_e32 v[8:9], v[2:3]
	v_nop
	s_delay_alu instid0(TRANS32_DEP_1) | instskip(NEXT) | instid1(VALU_DEP_1)
	v_fma_f64 v[10:11], -v[2:3], v[8:9], 1.0
	v_fmac_f64_e32 v[8:9], v[8:9], v[10:11]
	s_delay_alu instid0(VALU_DEP_1) | instskip(NEXT) | instid1(VALU_DEP_1)
	v_fma_f64 v[10:11], -v[2:3], v[8:9], 1.0
	v_fmac_f64_e32 v[8:9], v[8:9], v[10:11]
	s_delay_alu instid0(VALU_DEP_1) | instskip(NEXT) | instid1(VALU_DEP_1)
	v_mul_f64_e32 v[10:11], v[12:13], v[8:9]
	v_fma_f64 v[2:3], -v[2:3], v[10:11], v[12:13]
	s_delay_alu instid0(VALU_DEP_1) | instskip(NEXT) | instid1(VALU_DEP_1)
	v_div_fmas_f64 v[2:3], v[2:3], v[8:9], v[10:11]
	v_div_fixup_f64 v[8:9], v[2:3], v[4:5], 1.0
                                        ; implicit-def: $vgpr2_vgpr3
	s_delay_alu instid0(VALU_DEP_1) | instskip(SKIP_1) | instid1(VALU_DEP_2)
	v_mul_f64_e32 v[6:7], v[6:7], v[8:9]
	v_xor_b32_e32 v9, 0x80000000, v9
	v_xor_b32_e32 v11, 0x80000000, v7
	s_delay_alu instid0(VALU_DEP_3)
	v_mov_b32_e32 v10, v6
.LBB90_15:
	s_and_not1_saveexec_b32 s3, s3
	s_cbranch_execz .LBB90_17
; %bb.16:
	v_div_scale_f64 v[6:7], null, v[2:3], v[2:3], v[4:5]
	v_div_scale_f64 v[12:13], vcc_lo, v[4:5], v[2:3], v[4:5]
	s_delay_alu instid0(VALU_DEP_2) | instskip(SKIP_1) | instid1(TRANS32_DEP_1)
	v_rcp_f64_e32 v[8:9], v[6:7]
	v_nop
	v_fma_f64 v[10:11], -v[6:7], v[8:9], 1.0
	s_delay_alu instid0(VALU_DEP_1) | instskip(NEXT) | instid1(VALU_DEP_1)
	v_fmac_f64_e32 v[8:9], v[8:9], v[10:11]
	v_fma_f64 v[10:11], -v[6:7], v[8:9], 1.0
	s_delay_alu instid0(VALU_DEP_1) | instskip(NEXT) | instid1(VALU_DEP_1)
	v_fmac_f64_e32 v[8:9], v[8:9], v[10:11]
	v_mul_f64_e32 v[10:11], v[12:13], v[8:9]
	s_delay_alu instid0(VALU_DEP_1) | instskip(NEXT) | instid1(VALU_DEP_1)
	v_fma_f64 v[6:7], -v[6:7], v[10:11], v[12:13]
	v_div_fmas_f64 v[6:7], v[6:7], v[8:9], v[10:11]
	s_delay_alu instid0(VALU_DEP_1) | instskip(NEXT) | instid1(VALU_DEP_1)
	v_div_fixup_f64 v[8:9], v[6:7], v[2:3], v[4:5]
	v_fmac_f64_e32 v[2:3], v[4:5], v[8:9]
	s_delay_alu instid0(VALU_DEP_1) | instskip(NEXT) | instid1(VALU_DEP_1)
	v_div_scale_f64 v[4:5], null, v[2:3], v[2:3], 1.0
	v_rcp_f64_e32 v[6:7], v[4:5]
	v_nop
	s_delay_alu instid0(TRANS32_DEP_1) | instskip(NEXT) | instid1(VALU_DEP_1)
	v_fma_f64 v[10:11], -v[4:5], v[6:7], 1.0
	v_fmac_f64_e32 v[6:7], v[6:7], v[10:11]
	s_delay_alu instid0(VALU_DEP_1) | instskip(NEXT) | instid1(VALU_DEP_1)
	v_fma_f64 v[10:11], -v[4:5], v[6:7], 1.0
	v_fmac_f64_e32 v[6:7], v[6:7], v[10:11]
	v_div_scale_f64 v[10:11], vcc_lo, 1.0, v[2:3], 1.0
	s_delay_alu instid0(VALU_DEP_1) | instskip(NEXT) | instid1(VALU_DEP_1)
	v_mul_f64_e32 v[12:13], v[10:11], v[6:7]
	v_fma_f64 v[4:5], -v[4:5], v[12:13], v[10:11]
	s_delay_alu instid0(VALU_DEP_1) | instskip(NEXT) | instid1(VALU_DEP_1)
	v_div_fmas_f64 v[4:5], v[4:5], v[6:7], v[12:13]
	v_div_fixup_f64 v[6:7], v[4:5], v[2:3], 1.0
	s_delay_alu instid0(VALU_DEP_1)
	v_mul_f64_e64 v[8:9], v[8:9], -v[6:7]
	v_xor_b32_e32 v11, 0x80000000, v7
	v_mov_b32_e32 v10, v6
.LBB90_17:
	s_or_b32 exec_lo, exec_lo, s3
	s_clause 0x1
	scratch_store_b128 v19, v[6:9], off
	scratch_load_b128 v[2:5], off, s18
	v_xor_b32_e32 v13, 0x80000000, v9
	v_mov_b32_e32 v12, v8
	s_wait_xcnt 0x1
	v_add_nc_u32_e32 v6, 0x1b0, v68
	ds_store_b128 v68, v[10:13]
	s_wait_loadcnt 0x0
	ds_store_b128 v68, v[2:5] offset:432
	s_wait_storecnt_dscnt 0x0
	s_barrier_signal -1
	s_barrier_wait -1
	s_wait_xcnt 0x0
	s_and_saveexec_b32 s3, s2
	s_cbranch_execz .LBB90_19
; %bb.18:
	scratch_load_b128 v[2:5], v19, off
	ds_load_b128 v[8:11], v6
	v_mov_b32_e32 v7, 0
	ds_load_b128 v[70:73], v7 offset:16
	s_wait_loadcnt_dscnt 0x1
	v_mul_f64_e32 v[12:13], v[8:9], v[4:5]
	v_mul_f64_e32 v[4:5], v[10:11], v[4:5]
	s_delay_alu instid0(VALU_DEP_2) | instskip(NEXT) | instid1(VALU_DEP_2)
	v_fmac_f64_e32 v[12:13], v[10:11], v[2:3]
	v_fma_f64 v[2:3], v[8:9], v[2:3], -v[4:5]
	s_delay_alu instid0(VALU_DEP_2) | instskip(NEXT) | instid1(VALU_DEP_2)
	v_add_f64_e32 v[8:9], 0, v[12:13]
	v_add_f64_e32 v[2:3], 0, v[2:3]
	s_wait_dscnt 0x0
	s_delay_alu instid0(VALU_DEP_2) | instskip(NEXT) | instid1(VALU_DEP_2)
	v_mul_f64_e32 v[10:11], v[8:9], v[72:73]
	v_mul_f64_e32 v[4:5], v[2:3], v[72:73]
	s_delay_alu instid0(VALU_DEP_2) | instskip(NEXT) | instid1(VALU_DEP_2)
	v_fma_f64 v[2:3], v[2:3], v[70:71], -v[10:11]
	v_fmac_f64_e32 v[4:5], v[8:9], v[70:71]
	scratch_store_b128 off, v[2:5], off offset:16
.LBB90_19:
	s_wait_xcnt 0x0
	s_or_b32 exec_lo, exec_lo, s3
	s_wait_storecnt 0x0
	s_barrier_signal -1
	s_barrier_wait -1
	scratch_load_b128 v[2:5], off, s16
	s_mov_b32 s3, exec_lo
	s_wait_loadcnt 0x0
	ds_store_b128 v6, v[2:5]
	s_wait_dscnt 0x0
	s_barrier_signal -1
	s_barrier_wait -1
	v_cmpx_gt_u32_e32 2, v1
	s_cbranch_execz .LBB90_23
; %bb.20:
	scratch_load_b128 v[2:5], v19, off
	ds_load_b128 v[8:11], v6
	s_wait_loadcnt_dscnt 0x0
	v_mul_f64_e32 v[12:13], v[10:11], v[4:5]
	v_mul_f64_e32 v[70:71], v[8:9], v[4:5]
	s_delay_alu instid0(VALU_DEP_2) | instskip(NEXT) | instid1(VALU_DEP_2)
	v_fma_f64 v[4:5], v[8:9], v[2:3], -v[12:13]
	v_fmac_f64_e32 v[70:71], v[10:11], v[2:3]
	s_delay_alu instid0(VALU_DEP_2) | instskip(NEXT) | instid1(VALU_DEP_2)
	v_add_f64_e32 v[4:5], 0, v[4:5]
	v_add_f64_e32 v[2:3], 0, v[70:71]
	s_and_saveexec_b32 s40, s2
	s_cbranch_execz .LBB90_22
; %bb.21:
	scratch_load_b128 v[8:11], off, off offset:16
	v_mov_b32_e32 v7, 0
	ds_load_b128 v[70:73], v7 offset:448
	s_wait_loadcnt_dscnt 0x0
	v_mul_f64_e32 v[12:13], v[70:71], v[10:11]
	v_mul_f64_e32 v[10:11], v[72:73], v[10:11]
	s_delay_alu instid0(VALU_DEP_2) | instskip(NEXT) | instid1(VALU_DEP_2)
	v_fmac_f64_e32 v[12:13], v[72:73], v[8:9]
	v_fma_f64 v[8:9], v[70:71], v[8:9], -v[10:11]
	s_delay_alu instid0(VALU_DEP_2) | instskip(NEXT) | instid1(VALU_DEP_2)
	v_add_f64_e32 v[2:3], v[2:3], v[12:13]
	v_add_f64_e32 v[4:5], v[4:5], v[8:9]
.LBB90_22:
	s_or_b32 exec_lo, exec_lo, s40
	v_mov_b32_e32 v7, 0
	ds_load_b128 v[8:11], v7 offset:32
	s_wait_dscnt 0x0
	v_mul_f64_e32 v[70:71], v[2:3], v[10:11]
	v_mul_f64_e32 v[12:13], v[4:5], v[10:11]
	s_delay_alu instid0(VALU_DEP_2) | instskip(NEXT) | instid1(VALU_DEP_2)
	v_fma_f64 v[10:11], v[4:5], v[8:9], -v[70:71]
	v_fmac_f64_e32 v[12:13], v[2:3], v[8:9]
	scratch_store_b128 off, v[10:13], off offset:32
.LBB90_23:
	s_wait_xcnt 0x0
	s_or_b32 exec_lo, exec_lo, s3
	s_wait_storecnt 0x0
	s_barrier_signal -1
	s_barrier_wait -1
	scratch_load_b128 v[2:5], off, s14
	v_add_nc_u32_e32 v7, -1, v1
	s_mov_b32 s2, exec_lo
	s_wait_loadcnt 0x0
	ds_store_b128 v6, v[2:5]
	s_wait_dscnt 0x0
	s_barrier_signal -1
	s_barrier_wait -1
	v_cmpx_gt_u32_e32 3, v1
	s_cbranch_execz .LBB90_27
; %bb.24:
	v_dual_mov_b32 v10, v68 :: v_dual_add_nc_u32 v8, -1, v1
	v_mov_b64_e32 v[2:3], 0
	v_mov_b64_e32 v[4:5], 0
	v_add_nc_u32_e32 v9, 0x1b0, v68
	s_delay_alu instid0(VALU_DEP_4)
	v_or_b32_e32 v10, 8, v10
	s_mov_b32 s3, 0
.LBB90_25:                              ; =>This Inner Loop Header: Depth=1
	scratch_load_b128 v[70:73], v10, off offset:-8
	ds_load_b128 v[74:77], v9
	s_wait_xcnt 0x0
	v_dual_add_nc_u32 v9, 16, v9 :: v_dual_add_nc_u32 v10, 16, v10
	v_add_nc_u32_e32 v8, 1, v8
	s_delay_alu instid0(VALU_DEP_1) | instskip(SKIP_4) | instid1(VALU_DEP_2)
	v_cmp_lt_u32_e32 vcc_lo, 1, v8
	s_or_b32 s3, vcc_lo, s3
	s_wait_loadcnt_dscnt 0x0
	v_mul_f64_e32 v[12:13], v[76:77], v[72:73]
	v_mul_f64_e32 v[72:73], v[74:75], v[72:73]
	v_fma_f64 v[12:13], v[74:75], v[70:71], -v[12:13]
	s_delay_alu instid0(VALU_DEP_2) | instskip(NEXT) | instid1(VALU_DEP_2)
	v_fmac_f64_e32 v[72:73], v[76:77], v[70:71]
	v_add_f64_e32 v[4:5], v[4:5], v[12:13]
	s_delay_alu instid0(VALU_DEP_2)
	v_add_f64_e32 v[2:3], v[2:3], v[72:73]
	s_and_not1_b32 exec_lo, exec_lo, s3
	s_cbranch_execnz .LBB90_25
; %bb.26:
	s_or_b32 exec_lo, exec_lo, s3
	v_mov_b32_e32 v8, 0
	ds_load_b128 v[8:11], v8 offset:48
	s_wait_dscnt 0x0
	v_mul_f64_e32 v[70:71], v[2:3], v[10:11]
	v_mul_f64_e32 v[12:13], v[4:5], v[10:11]
	s_delay_alu instid0(VALU_DEP_2) | instskip(NEXT) | instid1(VALU_DEP_2)
	v_fma_f64 v[10:11], v[4:5], v[8:9], -v[70:71]
	v_fmac_f64_e32 v[12:13], v[2:3], v[8:9]
	scratch_store_b128 off, v[10:13], off offset:48
.LBB90_27:
	s_wait_xcnt 0x0
	s_or_b32 exec_lo, exec_lo, s2
	s_wait_storecnt 0x0
	s_barrier_signal -1
	s_barrier_wait -1
	scratch_load_b128 v[2:5], off, s12
	s_mov_b32 s2, exec_lo
	s_wait_loadcnt 0x0
	ds_store_b128 v6, v[2:5]
	s_wait_dscnt 0x0
	s_barrier_signal -1
	s_barrier_wait -1
	v_cmpx_gt_u32_e32 4, v1
	s_cbranch_execz .LBB90_31
; %bb.28:
	v_dual_mov_b32 v10, v68 :: v_dual_add_nc_u32 v8, -1, v1
	v_mov_b64_e32 v[2:3], 0
	v_mov_b64_e32 v[4:5], 0
	v_add_nc_u32_e32 v9, 0x1b0, v68
	s_delay_alu instid0(VALU_DEP_4)
	v_or_b32_e32 v10, 8, v10
	s_mov_b32 s3, 0
.LBB90_29:                              ; =>This Inner Loop Header: Depth=1
	scratch_load_b128 v[70:73], v10, off offset:-8
	ds_load_b128 v[74:77], v9
	s_wait_xcnt 0x0
	v_dual_add_nc_u32 v9, 16, v9 :: v_dual_add_nc_u32 v10, 16, v10
	v_add_nc_u32_e32 v8, 1, v8
	s_delay_alu instid0(VALU_DEP_1) | instskip(SKIP_4) | instid1(VALU_DEP_2)
	v_cmp_lt_u32_e32 vcc_lo, 2, v8
	s_or_b32 s3, vcc_lo, s3
	s_wait_loadcnt_dscnt 0x0
	v_mul_f64_e32 v[12:13], v[76:77], v[72:73]
	v_mul_f64_e32 v[72:73], v[74:75], v[72:73]
	v_fma_f64 v[12:13], v[74:75], v[70:71], -v[12:13]
	s_delay_alu instid0(VALU_DEP_2) | instskip(NEXT) | instid1(VALU_DEP_2)
	v_fmac_f64_e32 v[72:73], v[76:77], v[70:71]
	v_add_f64_e32 v[4:5], v[4:5], v[12:13]
	s_delay_alu instid0(VALU_DEP_2)
	v_add_f64_e32 v[2:3], v[2:3], v[72:73]
	s_and_not1_b32 exec_lo, exec_lo, s3
	s_cbranch_execnz .LBB90_29
; %bb.30:
	s_or_b32 exec_lo, exec_lo, s3
	v_mov_b32_e32 v8, 0
	ds_load_b128 v[8:11], v8 offset:64
	s_wait_dscnt 0x0
	v_mul_f64_e32 v[70:71], v[2:3], v[10:11]
	v_mul_f64_e32 v[12:13], v[4:5], v[10:11]
	s_delay_alu instid0(VALU_DEP_2) | instskip(NEXT) | instid1(VALU_DEP_2)
	v_fma_f64 v[10:11], v[4:5], v[8:9], -v[70:71]
	v_fmac_f64_e32 v[12:13], v[2:3], v[8:9]
	scratch_store_b128 off, v[10:13], off offset:64
.LBB90_31:
	s_wait_xcnt 0x0
	s_or_b32 exec_lo, exec_lo, s2
	s_wait_storecnt 0x0
	s_barrier_signal -1
	s_barrier_wait -1
	scratch_load_b128 v[2:5], off, s38
	;; [unrolled: 54-line block ×19, first 2 shown]
	s_mov_b32 s2, exec_lo
	s_wait_loadcnt 0x0
	ds_store_b128 v6, v[2:5]
	s_wait_dscnt 0x0
	s_barrier_signal -1
	s_barrier_wait -1
	v_cmpx_gt_u32_e32 22, v1
	s_cbranch_execz .LBB90_103
; %bb.100:
	v_dual_mov_b32 v10, v68 :: v_dual_add_nc_u32 v8, -1, v1
	v_mov_b64_e32 v[2:3], 0
	v_mov_b64_e32 v[4:5], 0
	v_add_nc_u32_e32 v9, 0x1b0, v68
	s_delay_alu instid0(VALU_DEP_4)
	v_or_b32_e32 v10, 8, v10
	s_mov_b32 s3, 0
.LBB90_101:                             ; =>This Inner Loop Header: Depth=1
	scratch_load_b128 v[70:73], v10, off offset:-8
	ds_load_b128 v[74:77], v9
	s_wait_xcnt 0x0
	v_dual_add_nc_u32 v9, 16, v9 :: v_dual_add_nc_u32 v10, 16, v10
	v_add_nc_u32_e32 v8, 1, v8
	s_delay_alu instid0(VALU_DEP_1) | instskip(SKIP_4) | instid1(VALU_DEP_2)
	v_cmp_lt_u32_e32 vcc_lo, 20, v8
	s_or_b32 s3, vcc_lo, s3
	s_wait_loadcnt_dscnt 0x0
	v_mul_f64_e32 v[12:13], v[76:77], v[72:73]
	v_mul_f64_e32 v[72:73], v[74:75], v[72:73]
	v_fma_f64 v[12:13], v[74:75], v[70:71], -v[12:13]
	s_delay_alu instid0(VALU_DEP_2) | instskip(NEXT) | instid1(VALU_DEP_2)
	v_fmac_f64_e32 v[72:73], v[76:77], v[70:71]
	v_add_f64_e32 v[4:5], v[4:5], v[12:13]
	s_delay_alu instid0(VALU_DEP_2)
	v_add_f64_e32 v[2:3], v[2:3], v[72:73]
	s_and_not1_b32 exec_lo, exec_lo, s3
	s_cbranch_execnz .LBB90_101
; %bb.102:
	s_or_b32 exec_lo, exec_lo, s3
	v_mov_b32_e32 v8, 0
	ds_load_b128 v[8:11], v8 offset:352
	s_wait_dscnt 0x0
	v_mul_f64_e32 v[70:71], v[2:3], v[10:11]
	v_mul_f64_e32 v[12:13], v[4:5], v[10:11]
	s_delay_alu instid0(VALU_DEP_2) | instskip(NEXT) | instid1(VALU_DEP_2)
	v_fma_f64 v[10:11], v[4:5], v[8:9], -v[70:71]
	v_fmac_f64_e32 v[12:13], v[2:3], v[8:9]
	scratch_store_b128 off, v[10:13], off offset:352
.LBB90_103:
	s_wait_xcnt 0x0
	s_or_b32 exec_lo, exec_lo, s2
	s_wait_storecnt 0x0
	s_barrier_signal -1
	s_barrier_wait -1
	scratch_load_b128 v[2:5], off, s19
	s_mov_b32 s2, exec_lo
	s_wait_loadcnt 0x0
	ds_store_b128 v6, v[2:5]
	s_wait_dscnt 0x0
	s_barrier_signal -1
	s_barrier_wait -1
	v_cmpx_gt_u32_e32 23, v1
	s_cbranch_execz .LBB90_107
; %bb.104:
	v_dual_mov_b32 v10, v68 :: v_dual_add_nc_u32 v8, -1, v1
	v_mov_b64_e32 v[2:3], 0
	v_mov_b64_e32 v[4:5], 0
	v_add_nc_u32_e32 v9, 0x1b0, v68
	s_delay_alu instid0(VALU_DEP_4)
	v_or_b32_e32 v10, 8, v10
	s_mov_b32 s3, 0
.LBB90_105:                             ; =>This Inner Loop Header: Depth=1
	scratch_load_b128 v[70:73], v10, off offset:-8
	ds_load_b128 v[74:77], v9
	s_wait_xcnt 0x0
	v_dual_add_nc_u32 v9, 16, v9 :: v_dual_add_nc_u32 v10, 16, v10
	v_add_nc_u32_e32 v8, 1, v8
	s_delay_alu instid0(VALU_DEP_1) | instskip(SKIP_4) | instid1(VALU_DEP_2)
	v_cmp_lt_u32_e32 vcc_lo, 21, v8
	s_or_b32 s3, vcc_lo, s3
	s_wait_loadcnt_dscnt 0x0
	v_mul_f64_e32 v[12:13], v[76:77], v[72:73]
	v_mul_f64_e32 v[72:73], v[74:75], v[72:73]
	v_fma_f64 v[12:13], v[74:75], v[70:71], -v[12:13]
	s_delay_alu instid0(VALU_DEP_2) | instskip(NEXT) | instid1(VALU_DEP_2)
	v_fmac_f64_e32 v[72:73], v[76:77], v[70:71]
	v_add_f64_e32 v[4:5], v[4:5], v[12:13]
	s_delay_alu instid0(VALU_DEP_2)
	v_add_f64_e32 v[2:3], v[2:3], v[72:73]
	s_and_not1_b32 exec_lo, exec_lo, s3
	s_cbranch_execnz .LBB90_105
; %bb.106:
	s_or_b32 exec_lo, exec_lo, s3
	v_mov_b32_e32 v8, 0
	ds_load_b128 v[8:11], v8 offset:368
	s_wait_dscnt 0x0
	v_mul_f64_e32 v[70:71], v[2:3], v[10:11]
	v_mul_f64_e32 v[12:13], v[4:5], v[10:11]
	s_delay_alu instid0(VALU_DEP_2) | instskip(NEXT) | instid1(VALU_DEP_2)
	v_fma_f64 v[10:11], v[4:5], v[8:9], -v[70:71]
	v_fmac_f64_e32 v[12:13], v[2:3], v[8:9]
	scratch_store_b128 off, v[10:13], off offset:368
.LBB90_107:
	s_wait_xcnt 0x0
	s_or_b32 exec_lo, exec_lo, s2
	s_wait_storecnt 0x0
	s_barrier_signal -1
	s_barrier_wait -1
	scratch_load_b128 v[2:5], off, s17
	;; [unrolled: 54-line block ×4, first 2 shown]
	s_mov_b32 s2, exec_lo
	s_wait_loadcnt 0x0
	ds_store_b128 v6, v[2:5]
	s_wait_dscnt 0x0
	s_barrier_signal -1
	s_barrier_wait -1
	v_cmpx_ne_u32_e32 26, v1
	s_cbranch_execz .LBB90_119
; %bb.116:
	v_mov_b32_e32 v8, v68
	v_mov_b64_e32 v[2:3], 0
	v_mov_b64_e32 v[4:5], 0
	s_mov_b32 s3, 0
	s_delay_alu instid0(VALU_DEP_3)
	v_or_b32_e32 v8, 8, v8
.LBB90_117:                             ; =>This Inner Loop Header: Depth=1
	scratch_load_b128 v[10:13], v8, off offset:-8
	ds_load_b128 v[68:71], v6
	v_dual_add_nc_u32 v7, 1, v7 :: v_dual_add_nc_u32 v6, 16, v6
	s_wait_xcnt 0x0
	v_add_nc_u32_e32 v8, 16, v8
	s_delay_alu instid0(VALU_DEP_2) | instskip(SKIP_4) | instid1(VALU_DEP_2)
	v_cmp_lt_u32_e32 vcc_lo, 24, v7
	s_or_b32 s3, vcc_lo, s3
	s_wait_loadcnt_dscnt 0x0
	v_mul_f64_e32 v[72:73], v[70:71], v[12:13]
	v_mul_f64_e32 v[12:13], v[68:69], v[12:13]
	v_fma_f64 v[68:69], v[68:69], v[10:11], -v[72:73]
	s_delay_alu instid0(VALU_DEP_2) | instskip(NEXT) | instid1(VALU_DEP_2)
	v_fmac_f64_e32 v[12:13], v[70:71], v[10:11]
	v_add_f64_e32 v[4:5], v[4:5], v[68:69]
	s_delay_alu instid0(VALU_DEP_2)
	v_add_f64_e32 v[2:3], v[2:3], v[12:13]
	s_and_not1_b32 exec_lo, exec_lo, s3
	s_cbranch_execnz .LBB90_117
; %bb.118:
	s_or_b32 exec_lo, exec_lo, s3
	v_mov_b32_e32 v6, 0
	ds_load_b128 v[6:9], v6 offset:416
	s_wait_dscnt 0x0
	v_mul_f64_e32 v[12:13], v[2:3], v[8:9]
	v_mul_f64_e32 v[10:11], v[4:5], v[8:9]
	s_delay_alu instid0(VALU_DEP_2) | instskip(NEXT) | instid1(VALU_DEP_2)
	v_fma_f64 v[8:9], v[4:5], v[6:7], -v[12:13]
	v_fmac_f64_e32 v[10:11], v[2:3], v[6:7]
	scratch_store_b128 off, v[8:11], off offset:416
.LBB90_119:
	s_wait_xcnt 0x0
	s_or_b32 exec_lo, exec_lo, s2
	s_mov_b32 s3, -1
	s_wait_storecnt 0x0
	s_barrier_signal -1
	s_barrier_wait -1
.LBB90_120:
	s_and_b32 vcc_lo, exec_lo, s3
	s_cbranch_vccz .LBB90_122
; %bb.121:
	s_wait_xcnt 0x0
	v_mov_b32_e32 v2, 0
	s_lshl_b64 s[2:3], s[10:11], 2
	s_delay_alu instid0(SALU_CYCLE_1)
	s_add_nc_u64 s[2:3], s[6:7], s[2:3]
	global_load_b32 v2, v2, s[2:3]
	s_wait_loadcnt 0x0
	v_cmp_ne_u32_e32 vcc_lo, 0, v2
	s_cbranch_vccz .LBB90_123
.LBB90_122:
	s_sendmsg sendmsg(MSG_DEALLOC_VGPRS)
	s_endpgm
.LBB90_123:
	v_lshl_add_u32 v6, v1, 4, 0x1b0
	s_wait_xcnt 0x0
	s_mov_b32 s2, exec_lo
	v_cmpx_eq_u32_e32 26, v1
	s_cbranch_execz .LBB90_125
; %bb.124:
	scratch_load_b128 v[2:5], off, s15
	v_mov_b32_e32 v8, 0
	s_delay_alu instid0(VALU_DEP_1)
	v_dual_mov_b32 v9, v8 :: v_dual_mov_b32 v10, v8
	v_mov_b32_e32 v11, v8
	scratch_store_b128 off, v[8:11], off offset:400
	s_wait_loadcnt 0x0
	ds_store_b128 v6, v[2:5]
.LBB90_125:
	s_wait_xcnt 0x0
	s_or_b32 exec_lo, exec_lo, s2
	s_wait_storecnt_dscnt 0x0
	s_barrier_signal -1
	s_barrier_wait -1
	s_clause 0x1
	scratch_load_b128 v[8:11], off, off offset:416
	scratch_load_b128 v[68:71], off, off offset:400
	v_mov_b32_e32 v2, 0
	s_mov_b32 s2, exec_lo
	ds_load_b128 v[72:75], v2 offset:848
	s_wait_loadcnt_dscnt 0x100
	v_mul_f64_e32 v[4:5], v[74:75], v[10:11]
	v_mul_f64_e32 v[10:11], v[72:73], v[10:11]
	s_delay_alu instid0(VALU_DEP_2) | instskip(NEXT) | instid1(VALU_DEP_2)
	v_fma_f64 v[4:5], v[72:73], v[8:9], -v[4:5]
	v_fmac_f64_e32 v[10:11], v[74:75], v[8:9]
	s_delay_alu instid0(VALU_DEP_2) | instskip(NEXT) | instid1(VALU_DEP_2)
	v_add_f64_e32 v[4:5], 0, v[4:5]
	v_add_f64_e32 v[10:11], 0, v[10:11]
	s_wait_loadcnt 0x0
	s_delay_alu instid0(VALU_DEP_2) | instskip(NEXT) | instid1(VALU_DEP_2)
	v_add_f64_e64 v[8:9], v[68:69], -v[4:5]
	v_add_f64_e64 v[10:11], v[70:71], -v[10:11]
	scratch_store_b128 off, v[8:11], off offset:400
	s_wait_xcnt 0x0
	v_cmpx_lt_u32_e32 24, v1
	s_cbranch_execz .LBB90_127
; %bb.126:
	scratch_load_b128 v[8:11], off, s17
	v_dual_mov_b32 v3, v2 :: v_dual_mov_b32 v4, v2
	v_mov_b32_e32 v5, v2
	scratch_store_b128 off, v[2:5], off offset:384
	s_wait_loadcnt 0x0
	ds_store_b128 v6, v[8:11]
.LBB90_127:
	s_wait_xcnt 0x0
	s_or_b32 exec_lo, exec_lo, s2
	s_wait_storecnt_dscnt 0x0
	s_barrier_signal -1
	s_barrier_wait -1
	s_clause 0x2
	scratch_load_b128 v[8:11], off, off offset:400
	scratch_load_b128 v[68:71], off, off offset:416
	;; [unrolled: 1-line block ×3, first 2 shown]
	ds_load_b128 v[76:79], v2 offset:832
	ds_load_b128 v[2:5], v2 offset:848
	s_mov_b32 s2, exec_lo
	s_wait_loadcnt_dscnt 0x201
	v_mul_f64_e32 v[12:13], v[78:79], v[10:11]
	v_mul_f64_e32 v[10:11], v[76:77], v[10:11]
	s_wait_loadcnt_dscnt 0x100
	v_mul_f64_e32 v[80:81], v[2:3], v[70:71]
	v_mul_f64_e32 v[70:71], v[4:5], v[70:71]
	s_delay_alu instid0(VALU_DEP_4) | instskip(NEXT) | instid1(VALU_DEP_4)
	v_fma_f64 v[12:13], v[76:77], v[8:9], -v[12:13]
	v_fmac_f64_e32 v[10:11], v[78:79], v[8:9]
	s_delay_alu instid0(VALU_DEP_4) | instskip(NEXT) | instid1(VALU_DEP_4)
	v_fmac_f64_e32 v[80:81], v[4:5], v[68:69]
	v_fma_f64 v[2:3], v[2:3], v[68:69], -v[70:71]
	s_delay_alu instid0(VALU_DEP_4) | instskip(NEXT) | instid1(VALU_DEP_4)
	v_add_f64_e32 v[4:5], 0, v[12:13]
	v_add_f64_e32 v[8:9], 0, v[10:11]
	s_delay_alu instid0(VALU_DEP_2) | instskip(NEXT) | instid1(VALU_DEP_2)
	v_add_f64_e32 v[2:3], v[4:5], v[2:3]
	v_add_f64_e32 v[4:5], v[8:9], v[80:81]
	s_wait_loadcnt 0x0
	s_delay_alu instid0(VALU_DEP_2) | instskip(NEXT) | instid1(VALU_DEP_2)
	v_add_f64_e64 v[2:3], v[72:73], -v[2:3]
	v_add_f64_e64 v[4:5], v[74:75], -v[4:5]
	scratch_store_b128 off, v[2:5], off offset:384
	s_wait_xcnt 0x0
	v_cmpx_lt_u32_e32 23, v1
	s_cbranch_execz .LBB90_129
; %bb.128:
	scratch_load_b128 v[2:5], off, s19
	v_mov_b32_e32 v8, 0
	s_delay_alu instid0(VALU_DEP_1)
	v_dual_mov_b32 v9, v8 :: v_dual_mov_b32 v10, v8
	v_mov_b32_e32 v11, v8
	scratch_store_b128 off, v[8:11], off offset:368
	s_wait_loadcnt 0x0
	ds_store_b128 v6, v[2:5]
.LBB90_129:
	s_wait_xcnt 0x0
	s_or_b32 exec_lo, exec_lo, s2
	s_wait_storecnt_dscnt 0x0
	s_barrier_signal -1
	s_barrier_wait -1
	s_clause 0x3
	scratch_load_b128 v[8:11], off, off offset:384
	scratch_load_b128 v[68:71], off, off offset:400
	;; [unrolled: 1-line block ×4, first 2 shown]
	v_mov_b32_e32 v2, 0
	ds_load_b128 v[80:83], v2 offset:816
	ds_load_b128 v[84:87], v2 offset:832
	s_mov_b32 s2, exec_lo
	s_wait_loadcnt_dscnt 0x301
	v_mul_f64_e32 v[4:5], v[82:83], v[10:11]
	v_mul_f64_e32 v[12:13], v[80:81], v[10:11]
	s_wait_loadcnt_dscnt 0x200
	v_mul_f64_e32 v[88:89], v[84:85], v[70:71]
	v_mul_f64_e32 v[70:71], v[86:87], v[70:71]
	s_delay_alu instid0(VALU_DEP_4) | instskip(NEXT) | instid1(VALU_DEP_4)
	v_fma_f64 v[4:5], v[80:81], v[8:9], -v[4:5]
	v_fmac_f64_e32 v[12:13], v[82:83], v[8:9]
	ds_load_b128 v[8:11], v2 offset:848
	v_fmac_f64_e32 v[88:89], v[86:87], v[68:69]
	v_fma_f64 v[68:69], v[84:85], v[68:69], -v[70:71]
	s_wait_loadcnt_dscnt 0x100
	v_mul_f64_e32 v[80:81], v[8:9], v[74:75]
	v_mul_f64_e32 v[74:75], v[10:11], v[74:75]
	v_add_f64_e32 v[4:5], 0, v[4:5]
	v_add_f64_e32 v[12:13], 0, v[12:13]
	s_delay_alu instid0(VALU_DEP_4) | instskip(NEXT) | instid1(VALU_DEP_4)
	v_fmac_f64_e32 v[80:81], v[10:11], v[72:73]
	v_fma_f64 v[8:9], v[8:9], v[72:73], -v[74:75]
	s_delay_alu instid0(VALU_DEP_4) | instskip(NEXT) | instid1(VALU_DEP_4)
	v_add_f64_e32 v[4:5], v[4:5], v[68:69]
	v_add_f64_e32 v[10:11], v[12:13], v[88:89]
	s_delay_alu instid0(VALU_DEP_2) | instskip(NEXT) | instid1(VALU_DEP_2)
	v_add_f64_e32 v[4:5], v[4:5], v[8:9]
	v_add_f64_e32 v[10:11], v[10:11], v[80:81]
	s_wait_loadcnt 0x0
	s_delay_alu instid0(VALU_DEP_2) | instskip(NEXT) | instid1(VALU_DEP_2)
	v_add_f64_e64 v[8:9], v[76:77], -v[4:5]
	v_add_f64_e64 v[10:11], v[78:79], -v[10:11]
	scratch_store_b128 off, v[8:11], off offset:368
	s_wait_xcnt 0x0
	v_cmpx_lt_u32_e32 22, v1
	s_cbranch_execz .LBB90_131
; %bb.130:
	scratch_load_b128 v[8:11], off, s20
	v_dual_mov_b32 v3, v2 :: v_dual_mov_b32 v4, v2
	v_mov_b32_e32 v5, v2
	scratch_store_b128 off, v[2:5], off offset:352
	s_wait_loadcnt 0x0
	ds_store_b128 v6, v[8:11]
.LBB90_131:
	s_wait_xcnt 0x0
	s_or_b32 exec_lo, exec_lo, s2
	s_wait_storecnt_dscnt 0x0
	s_barrier_signal -1
	s_barrier_wait -1
	s_clause 0x4
	scratch_load_b128 v[8:11], off, off offset:368
	scratch_load_b128 v[68:71], off, off offset:384
	;; [unrolled: 1-line block ×5, first 2 shown]
	ds_load_b128 v[84:87], v2 offset:800
	ds_load_b128 v[88:91], v2 offset:816
	s_mov_b32 s2, exec_lo
	s_wait_loadcnt_dscnt 0x401
	v_mul_f64_e32 v[4:5], v[86:87], v[10:11]
	v_mul_f64_e32 v[12:13], v[84:85], v[10:11]
	s_wait_loadcnt_dscnt 0x300
	v_mul_f64_e32 v[92:93], v[88:89], v[70:71]
	v_mul_f64_e32 v[70:71], v[90:91], v[70:71]
	s_delay_alu instid0(VALU_DEP_4) | instskip(NEXT) | instid1(VALU_DEP_4)
	v_fma_f64 v[84:85], v[84:85], v[8:9], -v[4:5]
	v_fmac_f64_e32 v[12:13], v[86:87], v[8:9]
	ds_load_b128 v[8:11], v2 offset:832
	ds_load_b128 v[2:5], v2 offset:848
	v_fmac_f64_e32 v[92:93], v[90:91], v[68:69]
	v_fma_f64 v[68:69], v[88:89], v[68:69], -v[70:71]
	s_wait_loadcnt_dscnt 0x201
	v_mul_f64_e32 v[86:87], v[8:9], v[74:75]
	v_mul_f64_e32 v[74:75], v[10:11], v[74:75]
	v_add_f64_e32 v[70:71], 0, v[84:85]
	v_add_f64_e32 v[12:13], 0, v[12:13]
	s_wait_loadcnt_dscnt 0x100
	v_mul_f64_e32 v[84:85], v[2:3], v[78:79]
	v_mul_f64_e32 v[78:79], v[4:5], v[78:79]
	v_fmac_f64_e32 v[86:87], v[10:11], v[72:73]
	v_fma_f64 v[8:9], v[8:9], v[72:73], -v[74:75]
	v_add_f64_e32 v[10:11], v[70:71], v[68:69]
	v_add_f64_e32 v[12:13], v[12:13], v[92:93]
	v_fmac_f64_e32 v[84:85], v[4:5], v[76:77]
	v_fma_f64 v[2:3], v[2:3], v[76:77], -v[78:79]
	s_delay_alu instid0(VALU_DEP_4) | instskip(NEXT) | instid1(VALU_DEP_4)
	v_add_f64_e32 v[4:5], v[10:11], v[8:9]
	v_add_f64_e32 v[8:9], v[12:13], v[86:87]
	s_delay_alu instid0(VALU_DEP_2) | instskip(NEXT) | instid1(VALU_DEP_2)
	v_add_f64_e32 v[2:3], v[4:5], v[2:3]
	v_add_f64_e32 v[4:5], v[8:9], v[84:85]
	s_wait_loadcnt 0x0
	s_delay_alu instid0(VALU_DEP_2) | instskip(NEXT) | instid1(VALU_DEP_2)
	v_add_f64_e64 v[2:3], v[80:81], -v[2:3]
	v_add_f64_e64 v[4:5], v[82:83], -v[4:5]
	scratch_store_b128 off, v[2:5], off offset:352
	s_wait_xcnt 0x0
	v_cmpx_lt_u32_e32 21, v1
	s_cbranch_execz .LBB90_133
; %bb.132:
	scratch_load_b128 v[2:5], off, s21
	v_mov_b32_e32 v8, 0
	s_delay_alu instid0(VALU_DEP_1)
	v_dual_mov_b32 v9, v8 :: v_dual_mov_b32 v10, v8
	v_mov_b32_e32 v11, v8
	scratch_store_b128 off, v[8:11], off offset:336
	s_wait_loadcnt 0x0
	ds_store_b128 v6, v[2:5]
.LBB90_133:
	s_wait_xcnt 0x0
	s_or_b32 exec_lo, exec_lo, s2
	s_wait_storecnt_dscnt 0x0
	s_barrier_signal -1
	s_barrier_wait -1
	s_clause 0x5
	scratch_load_b128 v[8:11], off, off offset:352
	scratch_load_b128 v[68:71], off, off offset:368
	;; [unrolled: 1-line block ×6, first 2 shown]
	v_mov_b32_e32 v2, 0
	ds_load_b128 v[88:91], v2 offset:784
	ds_load_b128 v[92:95], v2 offset:800
	s_mov_b32 s2, exec_lo
	s_wait_loadcnt_dscnt 0x501
	v_mul_f64_e32 v[4:5], v[90:91], v[10:11]
	v_mul_f64_e32 v[12:13], v[88:89], v[10:11]
	s_wait_loadcnt_dscnt 0x400
	v_mul_f64_e32 v[96:97], v[92:93], v[70:71]
	v_mul_f64_e32 v[70:71], v[94:95], v[70:71]
	s_delay_alu instid0(VALU_DEP_4) | instskip(NEXT) | instid1(VALU_DEP_4)
	v_fma_f64 v[4:5], v[88:89], v[8:9], -v[4:5]
	v_fmac_f64_e32 v[12:13], v[90:91], v[8:9]
	ds_load_b128 v[8:11], v2 offset:816
	ds_load_b128 v[88:91], v2 offset:832
	v_fmac_f64_e32 v[96:97], v[94:95], v[68:69]
	v_fma_f64 v[68:69], v[92:93], v[68:69], -v[70:71]
	s_wait_loadcnt_dscnt 0x301
	v_mul_f64_e32 v[98:99], v[8:9], v[74:75]
	v_mul_f64_e32 v[74:75], v[10:11], v[74:75]
	s_wait_loadcnt_dscnt 0x200
	v_mul_f64_e32 v[70:71], v[88:89], v[78:79]
	v_mul_f64_e32 v[78:79], v[90:91], v[78:79]
	v_add_f64_e32 v[4:5], 0, v[4:5]
	v_add_f64_e32 v[12:13], 0, v[12:13]
	v_fmac_f64_e32 v[98:99], v[10:11], v[72:73]
	v_fma_f64 v[72:73], v[8:9], v[72:73], -v[74:75]
	ds_load_b128 v[8:11], v2 offset:848
	v_fmac_f64_e32 v[70:71], v[90:91], v[76:77]
	v_fma_f64 v[76:77], v[88:89], v[76:77], -v[78:79]
	v_add_f64_e32 v[4:5], v[4:5], v[68:69]
	v_add_f64_e32 v[12:13], v[12:13], v[96:97]
	s_wait_loadcnt_dscnt 0x100
	v_mul_f64_e32 v[68:69], v[8:9], v[82:83]
	v_mul_f64_e32 v[74:75], v[10:11], v[82:83]
	s_delay_alu instid0(VALU_DEP_4) | instskip(NEXT) | instid1(VALU_DEP_4)
	v_add_f64_e32 v[4:5], v[4:5], v[72:73]
	v_add_f64_e32 v[12:13], v[12:13], v[98:99]
	s_delay_alu instid0(VALU_DEP_4) | instskip(NEXT) | instid1(VALU_DEP_4)
	v_fmac_f64_e32 v[68:69], v[10:11], v[80:81]
	v_fma_f64 v[8:9], v[8:9], v[80:81], -v[74:75]
	s_delay_alu instid0(VALU_DEP_4) | instskip(NEXT) | instid1(VALU_DEP_4)
	v_add_f64_e32 v[4:5], v[4:5], v[76:77]
	v_add_f64_e32 v[10:11], v[12:13], v[70:71]
	s_delay_alu instid0(VALU_DEP_2) | instskip(NEXT) | instid1(VALU_DEP_2)
	v_add_f64_e32 v[4:5], v[4:5], v[8:9]
	v_add_f64_e32 v[10:11], v[10:11], v[68:69]
	s_wait_loadcnt 0x0
	s_delay_alu instid0(VALU_DEP_2) | instskip(NEXT) | instid1(VALU_DEP_2)
	v_add_f64_e64 v[8:9], v[84:85], -v[4:5]
	v_add_f64_e64 v[10:11], v[86:87], -v[10:11]
	scratch_store_b128 off, v[8:11], off offset:336
	s_wait_xcnt 0x0
	v_cmpx_lt_u32_e32 20, v1
	s_cbranch_execz .LBB90_135
; %bb.134:
	scratch_load_b128 v[8:11], off, s22
	v_dual_mov_b32 v3, v2 :: v_dual_mov_b32 v4, v2
	v_mov_b32_e32 v5, v2
	scratch_store_b128 off, v[2:5], off offset:320
	s_wait_loadcnt 0x0
	ds_store_b128 v6, v[8:11]
.LBB90_135:
	s_wait_xcnt 0x0
	s_or_b32 exec_lo, exec_lo, s2
	s_wait_storecnt_dscnt 0x0
	s_barrier_signal -1
	s_barrier_wait -1
	s_clause 0x6
	scratch_load_b128 v[8:11], off, off offset:336
	scratch_load_b128 v[68:71], off, off offset:352
	;; [unrolled: 1-line block ×7, first 2 shown]
	ds_load_b128 v[92:95], v2 offset:768
	ds_load_b128 v[96:99], v2 offset:784
	s_mov_b32 s2, exec_lo
	s_wait_loadcnt_dscnt 0x601
	v_mul_f64_e32 v[4:5], v[94:95], v[10:11]
	v_mul_f64_e32 v[12:13], v[92:93], v[10:11]
	s_wait_loadcnt_dscnt 0x500
	v_mul_f64_e32 v[100:101], v[96:97], v[70:71]
	v_mul_f64_e32 v[70:71], v[98:99], v[70:71]
	s_delay_alu instid0(VALU_DEP_4) | instskip(NEXT) | instid1(VALU_DEP_4)
	v_fma_f64 v[4:5], v[92:93], v[8:9], -v[4:5]
	v_fmac_f64_e32 v[12:13], v[94:95], v[8:9]
	ds_load_b128 v[8:11], v2 offset:800
	ds_load_b128 v[92:95], v2 offset:816
	v_fmac_f64_e32 v[100:101], v[98:99], v[68:69]
	v_fma_f64 v[68:69], v[96:97], v[68:69], -v[70:71]
	s_wait_loadcnt_dscnt 0x401
	v_mul_f64_e32 v[102:103], v[8:9], v[74:75]
	v_mul_f64_e32 v[74:75], v[10:11], v[74:75]
	s_wait_loadcnt_dscnt 0x300
	v_mul_f64_e32 v[70:71], v[92:93], v[78:79]
	v_mul_f64_e32 v[78:79], v[94:95], v[78:79]
	v_add_f64_e32 v[4:5], 0, v[4:5]
	v_add_f64_e32 v[12:13], 0, v[12:13]
	v_fmac_f64_e32 v[102:103], v[10:11], v[72:73]
	v_fma_f64 v[72:73], v[8:9], v[72:73], -v[74:75]
	v_fmac_f64_e32 v[70:71], v[94:95], v[76:77]
	v_fma_f64 v[76:77], v[92:93], v[76:77], -v[78:79]
	v_add_f64_e32 v[68:69], v[4:5], v[68:69]
	v_add_f64_e32 v[12:13], v[12:13], v[100:101]
	ds_load_b128 v[8:11], v2 offset:832
	ds_load_b128 v[2:5], v2 offset:848
	s_wait_loadcnt_dscnt 0x201
	v_mul_f64_e32 v[74:75], v[8:9], v[82:83]
	v_mul_f64_e32 v[82:83], v[10:11], v[82:83]
	s_wait_loadcnt_dscnt 0x100
	v_mul_f64_e32 v[78:79], v[4:5], v[86:87]
	v_add_f64_e32 v[68:69], v[68:69], v[72:73]
	v_add_f64_e32 v[12:13], v[12:13], v[102:103]
	v_mul_f64_e32 v[72:73], v[2:3], v[86:87]
	v_fmac_f64_e32 v[74:75], v[10:11], v[80:81]
	v_fma_f64 v[8:9], v[8:9], v[80:81], -v[82:83]
	v_fma_f64 v[2:3], v[2:3], v[84:85], -v[78:79]
	v_add_f64_e32 v[10:11], v[68:69], v[76:77]
	v_add_f64_e32 v[12:13], v[12:13], v[70:71]
	v_fmac_f64_e32 v[72:73], v[4:5], v[84:85]
	s_delay_alu instid0(VALU_DEP_3) | instskip(NEXT) | instid1(VALU_DEP_3)
	v_add_f64_e32 v[4:5], v[10:11], v[8:9]
	v_add_f64_e32 v[8:9], v[12:13], v[74:75]
	s_delay_alu instid0(VALU_DEP_2) | instskip(NEXT) | instid1(VALU_DEP_2)
	v_add_f64_e32 v[2:3], v[4:5], v[2:3]
	v_add_f64_e32 v[4:5], v[8:9], v[72:73]
	s_wait_loadcnt 0x0
	s_delay_alu instid0(VALU_DEP_2) | instskip(NEXT) | instid1(VALU_DEP_2)
	v_add_f64_e64 v[2:3], v[88:89], -v[2:3]
	v_add_f64_e64 v[4:5], v[90:91], -v[4:5]
	scratch_store_b128 off, v[2:5], off offset:320
	s_wait_xcnt 0x0
	v_cmpx_lt_u32_e32 19, v1
	s_cbranch_execz .LBB90_137
; %bb.136:
	scratch_load_b128 v[2:5], off, s23
	v_mov_b32_e32 v8, 0
	s_delay_alu instid0(VALU_DEP_1)
	v_dual_mov_b32 v9, v8 :: v_dual_mov_b32 v10, v8
	v_mov_b32_e32 v11, v8
	scratch_store_b128 off, v[8:11], off offset:304
	s_wait_loadcnt 0x0
	ds_store_b128 v6, v[2:5]
.LBB90_137:
	s_wait_xcnt 0x0
	s_or_b32 exec_lo, exec_lo, s2
	s_wait_storecnt_dscnt 0x0
	s_barrier_signal -1
	s_barrier_wait -1
	s_clause 0x7
	scratch_load_b128 v[8:11], off, off offset:320
	scratch_load_b128 v[68:71], off, off offset:336
	scratch_load_b128 v[72:75], off, off offset:352
	scratch_load_b128 v[76:79], off, off offset:368
	scratch_load_b128 v[80:83], off, off offset:384
	scratch_load_b128 v[84:87], off, off offset:400
	scratch_load_b128 v[88:91], off, off offset:416
	scratch_load_b128 v[92:95], off, off offset:304
	v_mov_b32_e32 v2, 0
	ds_load_b128 v[96:99], v2 offset:752
	ds_load_b128 v[100:103], v2 offset:768
	s_mov_b32 s2, exec_lo
	s_wait_loadcnt_dscnt 0x701
	v_mul_f64_e32 v[4:5], v[98:99], v[10:11]
	v_mul_f64_e32 v[12:13], v[96:97], v[10:11]
	s_wait_loadcnt_dscnt 0x600
	v_mul_f64_e32 v[104:105], v[100:101], v[70:71]
	v_mul_f64_e32 v[70:71], v[102:103], v[70:71]
	s_delay_alu instid0(VALU_DEP_4) | instskip(NEXT) | instid1(VALU_DEP_4)
	v_fma_f64 v[4:5], v[96:97], v[8:9], -v[4:5]
	v_fmac_f64_e32 v[12:13], v[98:99], v[8:9]
	ds_load_b128 v[8:11], v2 offset:784
	ds_load_b128 v[96:99], v2 offset:800
	v_fmac_f64_e32 v[104:105], v[102:103], v[68:69]
	v_fma_f64 v[68:69], v[100:101], v[68:69], -v[70:71]
	s_wait_loadcnt_dscnt 0x501
	v_mul_f64_e32 v[106:107], v[8:9], v[74:75]
	v_mul_f64_e32 v[74:75], v[10:11], v[74:75]
	s_wait_loadcnt_dscnt 0x400
	v_mul_f64_e32 v[100:101], v[96:97], v[78:79]
	v_mul_f64_e32 v[78:79], v[98:99], v[78:79]
	v_add_f64_e32 v[4:5], 0, v[4:5]
	v_add_f64_e32 v[12:13], 0, v[12:13]
	v_fmac_f64_e32 v[106:107], v[10:11], v[72:73]
	v_fma_f64 v[72:73], v[8:9], v[72:73], -v[74:75]
	v_fmac_f64_e32 v[100:101], v[98:99], v[76:77]
	v_fma_f64 v[76:77], v[96:97], v[76:77], -v[78:79]
	v_add_f64_e32 v[4:5], v[4:5], v[68:69]
	v_add_f64_e32 v[12:13], v[12:13], v[104:105]
	ds_load_b128 v[8:11], v2 offset:816
	ds_load_b128 v[68:71], v2 offset:832
	s_wait_loadcnt_dscnt 0x301
	v_mul_f64_e32 v[74:75], v[8:9], v[82:83]
	v_mul_f64_e32 v[82:83], v[10:11], v[82:83]
	s_wait_loadcnt_dscnt 0x200
	v_mul_f64_e32 v[78:79], v[70:71], v[86:87]
	v_add_f64_e32 v[4:5], v[4:5], v[72:73]
	v_add_f64_e32 v[12:13], v[12:13], v[106:107]
	v_mul_f64_e32 v[72:73], v[68:69], v[86:87]
	v_fmac_f64_e32 v[74:75], v[10:11], v[80:81]
	v_fma_f64 v[80:81], v[8:9], v[80:81], -v[82:83]
	ds_load_b128 v[8:11], v2 offset:848
	v_fma_f64 v[68:69], v[68:69], v[84:85], -v[78:79]
	v_add_f64_e32 v[4:5], v[4:5], v[76:77]
	v_add_f64_e32 v[12:13], v[12:13], v[100:101]
	v_fmac_f64_e32 v[72:73], v[70:71], v[84:85]
	s_wait_loadcnt_dscnt 0x100
	v_mul_f64_e32 v[76:77], v[8:9], v[90:91]
	v_mul_f64_e32 v[82:83], v[10:11], v[90:91]
	v_add_f64_e32 v[4:5], v[4:5], v[80:81]
	v_add_f64_e32 v[12:13], v[12:13], v[74:75]
	s_delay_alu instid0(VALU_DEP_4) | instskip(NEXT) | instid1(VALU_DEP_4)
	v_fmac_f64_e32 v[76:77], v[10:11], v[88:89]
	v_fma_f64 v[8:9], v[8:9], v[88:89], -v[82:83]
	s_delay_alu instid0(VALU_DEP_4) | instskip(NEXT) | instid1(VALU_DEP_4)
	v_add_f64_e32 v[4:5], v[4:5], v[68:69]
	v_add_f64_e32 v[10:11], v[12:13], v[72:73]
	s_delay_alu instid0(VALU_DEP_2) | instskip(NEXT) | instid1(VALU_DEP_2)
	v_add_f64_e32 v[4:5], v[4:5], v[8:9]
	v_add_f64_e32 v[10:11], v[10:11], v[76:77]
	s_wait_loadcnt 0x0
	s_delay_alu instid0(VALU_DEP_2) | instskip(NEXT) | instid1(VALU_DEP_2)
	v_add_f64_e64 v[8:9], v[92:93], -v[4:5]
	v_add_f64_e64 v[10:11], v[94:95], -v[10:11]
	scratch_store_b128 off, v[8:11], off offset:304
	s_wait_xcnt 0x0
	v_cmpx_lt_u32_e32 18, v1
	s_cbranch_execz .LBB90_139
; %bb.138:
	scratch_load_b128 v[8:11], off, s24
	v_dual_mov_b32 v3, v2 :: v_dual_mov_b32 v4, v2
	v_mov_b32_e32 v5, v2
	scratch_store_b128 off, v[2:5], off offset:288
	s_wait_loadcnt 0x0
	ds_store_b128 v6, v[8:11]
.LBB90_139:
	s_wait_xcnt 0x0
	s_or_b32 exec_lo, exec_lo, s2
	s_wait_storecnt_dscnt 0x0
	s_barrier_signal -1
	s_barrier_wait -1
	s_clause 0x7
	scratch_load_b128 v[8:11], off, off offset:304
	scratch_load_b128 v[68:71], off, off offset:320
	;; [unrolled: 1-line block ×8, first 2 shown]
	ds_load_b128 v[96:99], v2 offset:736
	ds_load_b128 v[100:103], v2 offset:752
	scratch_load_b128 v[104:107], off, off offset:288
	s_mov_b32 s2, exec_lo
	s_wait_loadcnt_dscnt 0x801
	v_mul_f64_e32 v[4:5], v[98:99], v[10:11]
	v_mul_f64_e32 v[12:13], v[96:97], v[10:11]
	s_wait_loadcnt_dscnt 0x700
	v_mul_f64_e32 v[108:109], v[100:101], v[70:71]
	v_mul_f64_e32 v[70:71], v[102:103], v[70:71]
	s_delay_alu instid0(VALU_DEP_4) | instskip(NEXT) | instid1(VALU_DEP_4)
	v_fma_f64 v[4:5], v[96:97], v[8:9], -v[4:5]
	v_fmac_f64_e32 v[12:13], v[98:99], v[8:9]
	ds_load_b128 v[8:11], v2 offset:768
	ds_load_b128 v[96:99], v2 offset:784
	v_fmac_f64_e32 v[108:109], v[102:103], v[68:69]
	v_fma_f64 v[68:69], v[100:101], v[68:69], -v[70:71]
	s_wait_loadcnt_dscnt 0x601
	v_mul_f64_e32 v[110:111], v[8:9], v[74:75]
	v_mul_f64_e32 v[74:75], v[10:11], v[74:75]
	s_wait_loadcnt_dscnt 0x500
	v_mul_f64_e32 v[100:101], v[96:97], v[78:79]
	v_mul_f64_e32 v[78:79], v[98:99], v[78:79]
	v_add_f64_e32 v[4:5], 0, v[4:5]
	v_add_f64_e32 v[12:13], 0, v[12:13]
	v_fmac_f64_e32 v[110:111], v[10:11], v[72:73]
	v_fma_f64 v[72:73], v[8:9], v[72:73], -v[74:75]
	v_fmac_f64_e32 v[100:101], v[98:99], v[76:77]
	v_fma_f64 v[76:77], v[96:97], v[76:77], -v[78:79]
	v_add_f64_e32 v[4:5], v[4:5], v[68:69]
	v_add_f64_e32 v[12:13], v[12:13], v[108:109]
	ds_load_b128 v[8:11], v2 offset:800
	ds_load_b128 v[68:71], v2 offset:816
	s_wait_loadcnt_dscnt 0x401
	v_mul_f64_e32 v[74:75], v[8:9], v[82:83]
	v_mul_f64_e32 v[82:83], v[10:11], v[82:83]
	s_wait_loadcnt_dscnt 0x300
	v_mul_f64_e32 v[78:79], v[70:71], v[86:87]
	v_add_f64_e32 v[4:5], v[4:5], v[72:73]
	v_add_f64_e32 v[12:13], v[12:13], v[110:111]
	v_mul_f64_e32 v[72:73], v[68:69], v[86:87]
	v_fmac_f64_e32 v[74:75], v[10:11], v[80:81]
	v_fma_f64 v[80:81], v[8:9], v[80:81], -v[82:83]
	v_fma_f64 v[68:69], v[68:69], v[84:85], -v[78:79]
	v_add_f64_e32 v[76:77], v[4:5], v[76:77]
	v_add_f64_e32 v[12:13], v[12:13], v[100:101]
	ds_load_b128 v[8:11], v2 offset:832
	ds_load_b128 v[2:5], v2 offset:848
	v_fmac_f64_e32 v[72:73], v[70:71], v[84:85]
	s_wait_loadcnt_dscnt 0x201
	v_mul_f64_e32 v[82:83], v[8:9], v[90:91]
	v_mul_f64_e32 v[86:87], v[10:11], v[90:91]
	v_add_f64_e32 v[70:71], v[76:77], v[80:81]
	v_add_f64_e32 v[12:13], v[12:13], v[74:75]
	s_wait_loadcnt_dscnt 0x100
	v_mul_f64_e32 v[74:75], v[2:3], v[94:95]
	v_mul_f64_e32 v[76:77], v[4:5], v[94:95]
	v_fmac_f64_e32 v[82:83], v[10:11], v[88:89]
	v_fma_f64 v[8:9], v[8:9], v[88:89], -v[86:87]
	v_add_f64_e32 v[10:11], v[70:71], v[68:69]
	v_add_f64_e32 v[12:13], v[12:13], v[72:73]
	v_fmac_f64_e32 v[74:75], v[4:5], v[92:93]
	v_fma_f64 v[2:3], v[2:3], v[92:93], -v[76:77]
	s_delay_alu instid0(VALU_DEP_4) | instskip(NEXT) | instid1(VALU_DEP_4)
	v_add_f64_e32 v[4:5], v[10:11], v[8:9]
	v_add_f64_e32 v[8:9], v[12:13], v[82:83]
	s_delay_alu instid0(VALU_DEP_2) | instskip(NEXT) | instid1(VALU_DEP_2)
	v_add_f64_e32 v[2:3], v[4:5], v[2:3]
	v_add_f64_e32 v[4:5], v[8:9], v[74:75]
	s_wait_loadcnt 0x0
	s_delay_alu instid0(VALU_DEP_2) | instskip(NEXT) | instid1(VALU_DEP_2)
	v_add_f64_e64 v[2:3], v[104:105], -v[2:3]
	v_add_f64_e64 v[4:5], v[106:107], -v[4:5]
	scratch_store_b128 off, v[2:5], off offset:288
	s_wait_xcnt 0x0
	v_cmpx_lt_u32_e32 17, v1
	s_cbranch_execz .LBB90_141
; %bb.140:
	scratch_load_b128 v[2:5], off, s25
	v_mov_b32_e32 v8, 0
	s_delay_alu instid0(VALU_DEP_1)
	v_dual_mov_b32 v9, v8 :: v_dual_mov_b32 v10, v8
	v_mov_b32_e32 v11, v8
	scratch_store_b128 off, v[8:11], off offset:272
	s_wait_loadcnt 0x0
	ds_store_b128 v6, v[2:5]
.LBB90_141:
	s_wait_xcnt 0x0
	s_or_b32 exec_lo, exec_lo, s2
	s_wait_storecnt_dscnt 0x0
	s_barrier_signal -1
	s_barrier_wait -1
	s_clause 0x8
	scratch_load_b128 v[8:11], off, off offset:288
	scratch_load_b128 v[68:71], off, off offset:304
	scratch_load_b128 v[72:75], off, off offset:320
	scratch_load_b128 v[76:79], off, off offset:336
	scratch_load_b128 v[80:83], off, off offset:352
	scratch_load_b128 v[84:87], off, off offset:368
	scratch_load_b128 v[88:91], off, off offset:384
	scratch_load_b128 v[92:95], off, off offset:400
	scratch_load_b128 v[96:99], off, off offset:416
	v_mov_b32_e32 v2, 0
	scratch_load_b128 v[104:107], off, off offset:272
	s_mov_b32 s2, exec_lo
	ds_load_b128 v[100:103], v2 offset:720
	ds_load_b128 v[108:111], v2 offset:736
	s_wait_loadcnt_dscnt 0x901
	v_mul_f64_e32 v[4:5], v[102:103], v[10:11]
	v_mul_f64_e32 v[12:13], v[100:101], v[10:11]
	s_wait_loadcnt_dscnt 0x800
	v_mul_f64_e32 v[112:113], v[108:109], v[70:71]
	v_mul_f64_e32 v[70:71], v[110:111], v[70:71]
	s_delay_alu instid0(VALU_DEP_4) | instskip(NEXT) | instid1(VALU_DEP_4)
	v_fma_f64 v[4:5], v[100:101], v[8:9], -v[4:5]
	v_fmac_f64_e32 v[12:13], v[102:103], v[8:9]
	ds_load_b128 v[8:11], v2 offset:752
	ds_load_b128 v[100:103], v2 offset:768
	v_fmac_f64_e32 v[112:113], v[110:111], v[68:69]
	v_fma_f64 v[68:69], v[108:109], v[68:69], -v[70:71]
	s_wait_loadcnt_dscnt 0x701
	v_mul_f64_e32 v[114:115], v[8:9], v[74:75]
	v_mul_f64_e32 v[74:75], v[10:11], v[74:75]
	s_wait_loadcnt_dscnt 0x600
	v_mul_f64_e32 v[108:109], v[100:101], v[78:79]
	v_mul_f64_e32 v[78:79], v[102:103], v[78:79]
	v_add_f64_e32 v[4:5], 0, v[4:5]
	v_add_f64_e32 v[12:13], 0, v[12:13]
	v_fmac_f64_e32 v[114:115], v[10:11], v[72:73]
	v_fma_f64 v[72:73], v[8:9], v[72:73], -v[74:75]
	v_fmac_f64_e32 v[108:109], v[102:103], v[76:77]
	v_fma_f64 v[76:77], v[100:101], v[76:77], -v[78:79]
	v_add_f64_e32 v[4:5], v[4:5], v[68:69]
	v_add_f64_e32 v[12:13], v[12:13], v[112:113]
	ds_load_b128 v[8:11], v2 offset:784
	ds_load_b128 v[68:71], v2 offset:800
	s_wait_loadcnt_dscnt 0x501
	v_mul_f64_e32 v[110:111], v[8:9], v[82:83]
	v_mul_f64_e32 v[74:75], v[10:11], v[82:83]
	s_wait_loadcnt_dscnt 0x400
	v_mul_f64_e32 v[78:79], v[68:69], v[86:87]
	v_mul_f64_e32 v[82:83], v[70:71], v[86:87]
	v_add_f64_e32 v[4:5], v[4:5], v[72:73]
	v_add_f64_e32 v[12:13], v[12:13], v[114:115]
	v_fmac_f64_e32 v[110:111], v[10:11], v[80:81]
	v_fma_f64 v[80:81], v[8:9], v[80:81], -v[74:75]
	ds_load_b128 v[8:11], v2 offset:816
	ds_load_b128 v[72:75], v2 offset:832
	v_fmac_f64_e32 v[78:79], v[70:71], v[84:85]
	v_fma_f64 v[68:69], v[68:69], v[84:85], -v[82:83]
	v_add_f64_e32 v[4:5], v[4:5], v[76:77]
	v_add_f64_e32 v[12:13], v[12:13], v[108:109]
	s_wait_loadcnt_dscnt 0x301
	v_mul_f64_e32 v[76:77], v[8:9], v[90:91]
	v_mul_f64_e32 v[86:87], v[10:11], v[90:91]
	s_wait_loadcnt_dscnt 0x200
	v_mul_f64_e32 v[70:71], v[72:73], v[94:95]
	v_add_f64_e32 v[4:5], v[4:5], v[80:81]
	v_add_f64_e32 v[12:13], v[12:13], v[110:111]
	v_mul_f64_e32 v[80:81], v[74:75], v[94:95]
	v_fmac_f64_e32 v[76:77], v[10:11], v[88:89]
	v_fma_f64 v[82:83], v[8:9], v[88:89], -v[86:87]
	ds_load_b128 v[8:11], v2 offset:848
	v_fmac_f64_e32 v[70:71], v[74:75], v[92:93]
	v_add_f64_e32 v[4:5], v[4:5], v[68:69]
	v_add_f64_e32 v[12:13], v[12:13], v[78:79]
	s_wait_loadcnt_dscnt 0x100
	v_mul_f64_e32 v[68:69], v[8:9], v[98:99]
	v_mul_f64_e32 v[78:79], v[10:11], v[98:99]
	v_fma_f64 v[72:73], v[72:73], v[92:93], -v[80:81]
	v_add_f64_e32 v[4:5], v[4:5], v[82:83]
	v_add_f64_e32 v[12:13], v[12:13], v[76:77]
	v_fmac_f64_e32 v[68:69], v[10:11], v[96:97]
	v_fma_f64 v[8:9], v[8:9], v[96:97], -v[78:79]
	s_delay_alu instid0(VALU_DEP_4) | instskip(NEXT) | instid1(VALU_DEP_4)
	v_add_f64_e32 v[4:5], v[4:5], v[72:73]
	v_add_f64_e32 v[10:11], v[12:13], v[70:71]
	s_delay_alu instid0(VALU_DEP_2) | instskip(NEXT) | instid1(VALU_DEP_2)
	v_add_f64_e32 v[4:5], v[4:5], v[8:9]
	v_add_f64_e32 v[10:11], v[10:11], v[68:69]
	s_wait_loadcnt 0x0
	s_delay_alu instid0(VALU_DEP_2) | instskip(NEXT) | instid1(VALU_DEP_2)
	v_add_f64_e64 v[8:9], v[104:105], -v[4:5]
	v_add_f64_e64 v[10:11], v[106:107], -v[10:11]
	scratch_store_b128 off, v[8:11], off offset:272
	s_wait_xcnt 0x0
	v_cmpx_lt_u32_e32 16, v1
	s_cbranch_execz .LBB90_143
; %bb.142:
	scratch_load_b128 v[8:11], off, s26
	v_dual_mov_b32 v3, v2 :: v_dual_mov_b32 v4, v2
	v_mov_b32_e32 v5, v2
	scratch_store_b128 off, v[2:5], off offset:256
	s_wait_loadcnt 0x0
	ds_store_b128 v6, v[8:11]
.LBB90_143:
	s_wait_xcnt 0x0
	s_or_b32 exec_lo, exec_lo, s2
	s_wait_storecnt_dscnt 0x0
	s_barrier_signal -1
	s_barrier_wait -1
	s_clause 0x9
	scratch_load_b128 v[8:11], off, off offset:272
	scratch_load_b128 v[68:71], off, off offset:288
	;; [unrolled: 1-line block ×10, first 2 shown]
	ds_load_b128 v[104:107], v2 offset:704
	ds_load_b128 v[108:111], v2 offset:720
	scratch_load_b128 v[112:115], off, off offset:256
	s_mov_b32 s2, exec_lo
	s_wait_loadcnt_dscnt 0xa01
	v_mul_f64_e32 v[4:5], v[106:107], v[10:11]
	v_mul_f64_e32 v[12:13], v[104:105], v[10:11]
	s_wait_loadcnt_dscnt 0x900
	v_mul_f64_e32 v[116:117], v[108:109], v[70:71]
	v_mul_f64_e32 v[70:71], v[110:111], v[70:71]
	s_delay_alu instid0(VALU_DEP_4) | instskip(NEXT) | instid1(VALU_DEP_4)
	v_fma_f64 v[4:5], v[104:105], v[8:9], -v[4:5]
	v_fmac_f64_e32 v[12:13], v[106:107], v[8:9]
	ds_load_b128 v[8:11], v2 offset:736
	ds_load_b128 v[104:107], v2 offset:752
	v_fmac_f64_e32 v[116:117], v[110:111], v[68:69]
	v_fma_f64 v[68:69], v[108:109], v[68:69], -v[70:71]
	s_wait_loadcnt_dscnt 0x801
	v_mul_f64_e32 v[118:119], v[8:9], v[74:75]
	v_mul_f64_e32 v[74:75], v[10:11], v[74:75]
	s_wait_loadcnt_dscnt 0x700
	v_mul_f64_e32 v[108:109], v[104:105], v[78:79]
	v_mul_f64_e32 v[78:79], v[106:107], v[78:79]
	v_add_f64_e32 v[4:5], 0, v[4:5]
	v_add_f64_e32 v[12:13], 0, v[12:13]
	v_fmac_f64_e32 v[118:119], v[10:11], v[72:73]
	v_fma_f64 v[72:73], v[8:9], v[72:73], -v[74:75]
	v_fmac_f64_e32 v[108:109], v[106:107], v[76:77]
	v_fma_f64 v[76:77], v[104:105], v[76:77], -v[78:79]
	v_add_f64_e32 v[4:5], v[4:5], v[68:69]
	v_add_f64_e32 v[12:13], v[12:13], v[116:117]
	ds_load_b128 v[8:11], v2 offset:768
	ds_load_b128 v[68:71], v2 offset:784
	s_wait_loadcnt_dscnt 0x601
	v_mul_f64_e32 v[110:111], v[8:9], v[82:83]
	v_mul_f64_e32 v[74:75], v[10:11], v[82:83]
	s_wait_loadcnt_dscnt 0x500
	v_mul_f64_e32 v[78:79], v[68:69], v[86:87]
	v_mul_f64_e32 v[82:83], v[70:71], v[86:87]
	v_add_f64_e32 v[4:5], v[4:5], v[72:73]
	v_add_f64_e32 v[12:13], v[12:13], v[118:119]
	v_fmac_f64_e32 v[110:111], v[10:11], v[80:81]
	v_fma_f64 v[80:81], v[8:9], v[80:81], -v[74:75]
	ds_load_b128 v[8:11], v2 offset:800
	ds_load_b128 v[72:75], v2 offset:816
	v_fmac_f64_e32 v[78:79], v[70:71], v[84:85]
	v_fma_f64 v[68:69], v[68:69], v[84:85], -v[82:83]
	v_add_f64_e32 v[4:5], v[4:5], v[76:77]
	v_add_f64_e32 v[12:13], v[12:13], v[108:109]
	s_wait_loadcnt_dscnt 0x401
	v_mul_f64_e32 v[76:77], v[8:9], v[90:91]
	v_mul_f64_e32 v[86:87], v[10:11], v[90:91]
	s_wait_loadcnt_dscnt 0x300
	v_mul_f64_e32 v[70:71], v[72:73], v[94:95]
	v_add_f64_e32 v[4:5], v[4:5], v[80:81]
	v_add_f64_e32 v[12:13], v[12:13], v[110:111]
	v_mul_f64_e32 v[80:81], v[74:75], v[94:95]
	v_fmac_f64_e32 v[76:77], v[10:11], v[88:89]
	v_fma_f64 v[82:83], v[8:9], v[88:89], -v[86:87]
	v_fmac_f64_e32 v[70:71], v[74:75], v[92:93]
	v_add_f64_e32 v[68:69], v[4:5], v[68:69]
	v_add_f64_e32 v[12:13], v[12:13], v[78:79]
	ds_load_b128 v[8:11], v2 offset:832
	ds_load_b128 v[2:5], v2 offset:848
	v_fma_f64 v[72:73], v[72:73], v[92:93], -v[80:81]
	s_wait_loadcnt_dscnt 0x201
	v_mul_f64_e32 v[78:79], v[8:9], v[98:99]
	v_mul_f64_e32 v[84:85], v[10:11], v[98:99]
	s_wait_loadcnt_dscnt 0x100
	v_mul_f64_e32 v[74:75], v[2:3], v[102:103]
	v_add_f64_e32 v[68:69], v[68:69], v[82:83]
	v_add_f64_e32 v[12:13], v[12:13], v[76:77]
	v_mul_f64_e32 v[76:77], v[4:5], v[102:103]
	v_fmac_f64_e32 v[78:79], v[10:11], v[96:97]
	v_fma_f64 v[8:9], v[8:9], v[96:97], -v[84:85]
	v_fmac_f64_e32 v[74:75], v[4:5], v[100:101]
	v_add_f64_e32 v[10:11], v[68:69], v[72:73]
	v_add_f64_e32 v[12:13], v[12:13], v[70:71]
	v_fma_f64 v[2:3], v[2:3], v[100:101], -v[76:77]
	s_delay_alu instid0(VALU_DEP_3) | instskip(NEXT) | instid1(VALU_DEP_3)
	v_add_f64_e32 v[4:5], v[10:11], v[8:9]
	v_add_f64_e32 v[8:9], v[12:13], v[78:79]
	s_delay_alu instid0(VALU_DEP_2) | instskip(NEXT) | instid1(VALU_DEP_2)
	v_add_f64_e32 v[2:3], v[4:5], v[2:3]
	v_add_f64_e32 v[4:5], v[8:9], v[74:75]
	s_wait_loadcnt 0x0
	s_delay_alu instid0(VALU_DEP_2) | instskip(NEXT) | instid1(VALU_DEP_2)
	v_add_f64_e64 v[2:3], v[112:113], -v[2:3]
	v_add_f64_e64 v[4:5], v[114:115], -v[4:5]
	scratch_store_b128 off, v[2:5], off offset:256
	s_wait_xcnt 0x0
	v_cmpx_lt_u32_e32 15, v1
	s_cbranch_execz .LBB90_145
; %bb.144:
	scratch_load_b128 v[2:5], off, s27
	v_mov_b32_e32 v8, 0
	s_delay_alu instid0(VALU_DEP_1)
	v_dual_mov_b32 v9, v8 :: v_dual_mov_b32 v10, v8
	v_mov_b32_e32 v11, v8
	scratch_store_b128 off, v[8:11], off offset:240
	s_wait_loadcnt 0x0
	ds_store_b128 v6, v[2:5]
.LBB90_145:
	s_wait_xcnt 0x0
	s_or_b32 exec_lo, exec_lo, s2
	s_wait_storecnt_dscnt 0x0
	s_barrier_signal -1
	s_barrier_wait -1
	s_clause 0x9
	scratch_load_b128 v[8:11], off, off offset:256
	scratch_load_b128 v[68:71], off, off offset:272
	;; [unrolled: 1-line block ×10, first 2 shown]
	v_mov_b32_e32 v2, 0
	s_mov_b32 s2, exec_lo
	ds_load_b128 v[104:107], v2 offset:688
	s_clause 0x1
	scratch_load_b128 v[108:111], off, off offset:416
	scratch_load_b128 v[112:115], off, off offset:240
	s_wait_loadcnt_dscnt 0xb00
	v_mul_f64_e32 v[4:5], v[106:107], v[10:11]
	v_mul_f64_e32 v[12:13], v[104:105], v[10:11]
	ds_load_b128 v[116:119], v2 offset:704
	s_wait_loadcnt_dscnt 0xa00
	v_mul_f64_e32 v[120:121], v[116:117], v[70:71]
	v_mul_f64_e32 v[70:71], v[118:119], v[70:71]
	v_fma_f64 v[4:5], v[104:105], v[8:9], -v[4:5]
	v_fmac_f64_e32 v[12:13], v[106:107], v[8:9]
	ds_load_b128 v[8:11], v2 offset:720
	ds_load_b128 v[104:107], v2 offset:736
	s_wait_loadcnt_dscnt 0x901
	v_mul_f64_e32 v[122:123], v[8:9], v[74:75]
	v_mul_f64_e32 v[74:75], v[10:11], v[74:75]
	v_fmac_f64_e32 v[120:121], v[118:119], v[68:69]
	v_fma_f64 v[68:69], v[116:117], v[68:69], -v[70:71]
	s_wait_loadcnt_dscnt 0x800
	v_mul_f64_e32 v[116:117], v[104:105], v[78:79]
	v_mul_f64_e32 v[78:79], v[106:107], v[78:79]
	v_add_f64_e32 v[4:5], 0, v[4:5]
	v_add_f64_e32 v[12:13], 0, v[12:13]
	v_fmac_f64_e32 v[122:123], v[10:11], v[72:73]
	v_fma_f64 v[72:73], v[8:9], v[72:73], -v[74:75]
	v_fmac_f64_e32 v[116:117], v[106:107], v[76:77]
	v_fma_f64 v[76:77], v[104:105], v[76:77], -v[78:79]
	v_add_f64_e32 v[4:5], v[4:5], v[68:69]
	v_add_f64_e32 v[12:13], v[12:13], v[120:121]
	ds_load_b128 v[8:11], v2 offset:752
	ds_load_b128 v[68:71], v2 offset:768
	s_wait_loadcnt_dscnt 0x701
	v_mul_f64_e32 v[118:119], v[8:9], v[82:83]
	v_mul_f64_e32 v[74:75], v[10:11], v[82:83]
	s_wait_loadcnt_dscnt 0x600
	v_mul_f64_e32 v[78:79], v[68:69], v[86:87]
	v_mul_f64_e32 v[82:83], v[70:71], v[86:87]
	v_add_f64_e32 v[4:5], v[4:5], v[72:73]
	v_add_f64_e32 v[12:13], v[12:13], v[122:123]
	v_fmac_f64_e32 v[118:119], v[10:11], v[80:81]
	v_fma_f64 v[80:81], v[8:9], v[80:81], -v[74:75]
	ds_load_b128 v[8:11], v2 offset:784
	ds_load_b128 v[72:75], v2 offset:800
	v_fmac_f64_e32 v[78:79], v[70:71], v[84:85]
	v_fma_f64 v[68:69], v[68:69], v[84:85], -v[82:83]
	v_add_f64_e32 v[4:5], v[4:5], v[76:77]
	v_add_f64_e32 v[12:13], v[12:13], v[116:117]
	s_wait_loadcnt_dscnt 0x501
	v_mul_f64_e32 v[76:77], v[8:9], v[90:91]
	v_mul_f64_e32 v[86:87], v[10:11], v[90:91]
	s_wait_loadcnt_dscnt 0x400
	v_mul_f64_e32 v[82:83], v[74:75], v[94:95]
	v_add_f64_e32 v[4:5], v[4:5], v[80:81]
	v_add_f64_e32 v[12:13], v[12:13], v[118:119]
	v_mul_f64_e32 v[80:81], v[72:73], v[94:95]
	v_fmac_f64_e32 v[76:77], v[10:11], v[88:89]
	v_fma_f64 v[84:85], v[8:9], v[88:89], -v[86:87]
	v_fma_f64 v[72:73], v[72:73], v[92:93], -v[82:83]
	v_add_f64_e32 v[4:5], v[4:5], v[68:69]
	v_add_f64_e32 v[12:13], v[12:13], v[78:79]
	ds_load_b128 v[8:11], v2 offset:816
	ds_load_b128 v[68:71], v2 offset:832
	v_fmac_f64_e32 v[80:81], v[74:75], v[92:93]
	s_wait_loadcnt_dscnt 0x301
	v_mul_f64_e32 v[78:79], v[8:9], v[98:99]
	v_mul_f64_e32 v[86:87], v[10:11], v[98:99]
	s_wait_loadcnt_dscnt 0x200
	v_mul_f64_e32 v[74:75], v[68:69], v[102:103]
	v_add_f64_e32 v[4:5], v[4:5], v[84:85]
	v_add_f64_e32 v[12:13], v[12:13], v[76:77]
	v_mul_f64_e32 v[76:77], v[70:71], v[102:103]
	v_fmac_f64_e32 v[78:79], v[10:11], v[96:97]
	v_fma_f64 v[82:83], v[8:9], v[96:97], -v[86:87]
	ds_load_b128 v[8:11], v2 offset:848
	v_fmac_f64_e32 v[74:75], v[70:71], v[100:101]
	v_add_f64_e32 v[4:5], v[4:5], v[72:73]
	v_add_f64_e32 v[12:13], v[12:13], v[80:81]
	v_fma_f64 v[68:69], v[68:69], v[100:101], -v[76:77]
	s_wait_loadcnt_dscnt 0x100
	v_mul_f64_e32 v[72:73], v[8:9], v[110:111]
	v_mul_f64_e32 v[80:81], v[10:11], v[110:111]
	v_add_f64_e32 v[4:5], v[4:5], v[82:83]
	v_add_f64_e32 v[12:13], v[12:13], v[78:79]
	s_delay_alu instid0(VALU_DEP_4) | instskip(NEXT) | instid1(VALU_DEP_4)
	v_fmac_f64_e32 v[72:73], v[10:11], v[108:109]
	v_fma_f64 v[8:9], v[8:9], v[108:109], -v[80:81]
	s_delay_alu instid0(VALU_DEP_4) | instskip(NEXT) | instid1(VALU_DEP_4)
	v_add_f64_e32 v[4:5], v[4:5], v[68:69]
	v_add_f64_e32 v[10:11], v[12:13], v[74:75]
	s_delay_alu instid0(VALU_DEP_2) | instskip(NEXT) | instid1(VALU_DEP_2)
	v_add_f64_e32 v[4:5], v[4:5], v[8:9]
	v_add_f64_e32 v[10:11], v[10:11], v[72:73]
	s_wait_loadcnt 0x0
	s_delay_alu instid0(VALU_DEP_2) | instskip(NEXT) | instid1(VALU_DEP_2)
	v_add_f64_e64 v[8:9], v[112:113], -v[4:5]
	v_add_f64_e64 v[10:11], v[114:115], -v[10:11]
	scratch_store_b128 off, v[8:11], off offset:240
	s_wait_xcnt 0x0
	v_cmpx_lt_u32_e32 14, v1
	s_cbranch_execz .LBB90_147
; %bb.146:
	scratch_load_b128 v[8:11], off, s28
	v_dual_mov_b32 v3, v2 :: v_dual_mov_b32 v4, v2
	v_mov_b32_e32 v5, v2
	scratch_store_b128 off, v[2:5], off offset:224
	s_wait_loadcnt 0x0
	ds_store_b128 v6, v[8:11]
.LBB90_147:
	s_wait_xcnt 0x0
	s_or_b32 exec_lo, exec_lo, s2
	s_wait_storecnt_dscnt 0x0
	s_barrier_signal -1
	s_barrier_wait -1
	s_clause 0x9
	scratch_load_b128 v[8:11], off, off offset:240
	scratch_load_b128 v[68:71], off, off offset:256
	;; [unrolled: 1-line block ×10, first 2 shown]
	ds_load_b128 v[104:107], v2 offset:672
	ds_load_b128 v[112:115], v2 offset:688
	s_clause 0x1
	scratch_load_b128 v[108:111], off, off offset:400
	scratch_load_b128 v[116:119], off, off offset:224
	s_mov_b32 s2, exec_lo
	s_wait_loadcnt_dscnt 0xb01
	v_mul_f64_e32 v[4:5], v[106:107], v[10:11]
	v_mul_f64_e32 v[124:125], v[104:105], v[10:11]
	scratch_load_b128 v[10:13], off, off offset:416
	s_wait_loadcnt_dscnt 0xb00
	v_mul_f64_e32 v[126:127], v[112:113], v[70:71]
	v_mul_f64_e32 v[70:71], v[114:115], v[70:71]
	v_fma_f64 v[4:5], v[104:105], v[8:9], -v[4:5]
	v_fmac_f64_e32 v[124:125], v[106:107], v[8:9]
	ds_load_b128 v[104:107], v2 offset:704
	ds_load_b128 v[120:123], v2 offset:720
	v_fmac_f64_e32 v[126:127], v[114:115], v[68:69]
	v_fma_f64 v[68:69], v[112:113], v[68:69], -v[70:71]
	s_wait_loadcnt_dscnt 0xa01
	v_mul_f64_e32 v[8:9], v[104:105], v[74:75]
	v_mul_f64_e32 v[74:75], v[106:107], v[74:75]
	s_wait_loadcnt_dscnt 0x900
	v_mul_f64_e32 v[112:113], v[120:121], v[78:79]
	v_mul_f64_e32 v[78:79], v[122:123], v[78:79]
	v_add_f64_e32 v[4:5], 0, v[4:5]
	v_add_f64_e32 v[70:71], 0, v[124:125]
	v_fmac_f64_e32 v[8:9], v[106:107], v[72:73]
	v_fma_f64 v[104:105], v[104:105], v[72:73], -v[74:75]
	v_fmac_f64_e32 v[112:113], v[122:123], v[76:77]
	v_fma_f64 v[76:77], v[120:121], v[76:77], -v[78:79]
	v_add_f64_e32 v[4:5], v[4:5], v[68:69]
	v_add_f64_e32 v[106:107], v[70:71], v[126:127]
	ds_load_b128 v[68:71], v2 offset:736
	ds_load_b128 v[72:75], v2 offset:752
	s_wait_loadcnt_dscnt 0x801
	v_mul_f64_e32 v[114:115], v[68:69], v[82:83]
	v_mul_f64_e32 v[82:83], v[70:71], v[82:83]
	v_add_f64_e32 v[4:5], v[4:5], v[104:105]
	v_add_f64_e32 v[8:9], v[106:107], v[8:9]
	s_wait_loadcnt_dscnt 0x700
	v_mul_f64_e32 v[104:105], v[72:73], v[86:87]
	v_mul_f64_e32 v[86:87], v[74:75], v[86:87]
	v_fmac_f64_e32 v[114:115], v[70:71], v[80:81]
	v_fma_f64 v[80:81], v[68:69], v[80:81], -v[82:83]
	v_add_f64_e32 v[4:5], v[4:5], v[76:77]
	v_add_f64_e32 v[8:9], v[8:9], v[112:113]
	ds_load_b128 v[68:71], v2 offset:768
	ds_load_b128 v[76:79], v2 offset:784
	v_fmac_f64_e32 v[104:105], v[74:75], v[84:85]
	v_fma_f64 v[72:73], v[72:73], v[84:85], -v[86:87]
	s_wait_loadcnt_dscnt 0x601
	v_mul_f64_e32 v[82:83], v[68:69], v[90:91]
	v_mul_f64_e32 v[90:91], v[70:71], v[90:91]
	s_wait_loadcnt_dscnt 0x500
	v_mul_f64_e32 v[84:85], v[78:79], v[94:95]
	v_add_f64_e32 v[4:5], v[4:5], v[80:81]
	v_add_f64_e32 v[8:9], v[8:9], v[114:115]
	v_mul_f64_e32 v[80:81], v[76:77], v[94:95]
	v_fmac_f64_e32 v[82:83], v[70:71], v[88:89]
	v_fma_f64 v[86:87], v[68:69], v[88:89], -v[90:91]
	v_fma_f64 v[76:77], v[76:77], v[92:93], -v[84:85]
	v_add_f64_e32 v[4:5], v[4:5], v[72:73]
	v_add_f64_e32 v[8:9], v[8:9], v[104:105]
	ds_load_b128 v[68:71], v2 offset:800
	ds_load_b128 v[72:75], v2 offset:816
	v_fmac_f64_e32 v[80:81], v[78:79], v[92:93]
	s_wait_loadcnt_dscnt 0x401
	v_mul_f64_e32 v[88:89], v[68:69], v[98:99]
	v_mul_f64_e32 v[90:91], v[70:71], v[98:99]
	s_wait_loadcnt_dscnt 0x300
	v_mul_f64_e32 v[78:79], v[72:73], v[102:103]
	v_add_f64_e32 v[4:5], v[4:5], v[86:87]
	v_add_f64_e32 v[8:9], v[8:9], v[82:83]
	v_mul_f64_e32 v[82:83], v[74:75], v[102:103]
	v_fmac_f64_e32 v[88:89], v[70:71], v[96:97]
	v_fma_f64 v[84:85], v[68:69], v[96:97], -v[90:91]
	v_fmac_f64_e32 v[78:79], v[74:75], v[100:101]
	v_add_f64_e32 v[76:77], v[4:5], v[76:77]
	v_add_f64_e32 v[8:9], v[8:9], v[80:81]
	ds_load_b128 v[68:71], v2 offset:832
	ds_load_b128 v[2:5], v2 offset:848
	v_fma_f64 v[72:73], v[72:73], v[100:101], -v[82:83]
	s_wait_loadcnt_dscnt 0x201
	v_mul_f64_e32 v[80:81], v[68:69], v[110:111]
	v_mul_f64_e32 v[86:87], v[70:71], v[110:111]
	v_add_f64_e32 v[74:75], v[76:77], v[84:85]
	v_add_f64_e32 v[8:9], v[8:9], v[88:89]
	s_wait_loadcnt_dscnt 0x0
	v_mul_f64_e32 v[76:77], v[2:3], v[12:13]
	v_mul_f64_e32 v[12:13], v[4:5], v[12:13]
	v_fmac_f64_e32 v[80:81], v[70:71], v[108:109]
	v_fma_f64 v[68:69], v[68:69], v[108:109], -v[86:87]
	v_add_f64_e32 v[70:71], v[74:75], v[72:73]
	v_add_f64_e32 v[8:9], v[8:9], v[78:79]
	v_fmac_f64_e32 v[76:77], v[4:5], v[10:11]
	v_fma_f64 v[2:3], v[2:3], v[10:11], -v[12:13]
	s_delay_alu instid0(VALU_DEP_4) | instskip(NEXT) | instid1(VALU_DEP_4)
	v_add_f64_e32 v[4:5], v[70:71], v[68:69]
	v_add_f64_e32 v[8:9], v[8:9], v[80:81]
	s_delay_alu instid0(VALU_DEP_2) | instskip(NEXT) | instid1(VALU_DEP_2)
	v_add_f64_e32 v[2:3], v[4:5], v[2:3]
	v_add_f64_e32 v[4:5], v[8:9], v[76:77]
	s_delay_alu instid0(VALU_DEP_2) | instskip(NEXT) | instid1(VALU_DEP_2)
	v_add_f64_e64 v[2:3], v[116:117], -v[2:3]
	v_add_f64_e64 v[4:5], v[118:119], -v[4:5]
	scratch_store_b128 off, v[2:5], off offset:224
	s_wait_xcnt 0x0
	v_cmpx_lt_u32_e32 13, v1
	s_cbranch_execz .LBB90_149
; %bb.148:
	scratch_load_b128 v[2:5], off, s29
	v_mov_b32_e32 v8, 0
	s_delay_alu instid0(VALU_DEP_1)
	v_dual_mov_b32 v9, v8 :: v_dual_mov_b32 v10, v8
	v_mov_b32_e32 v11, v8
	scratch_store_b128 off, v[8:11], off offset:208
	s_wait_loadcnt 0x0
	ds_store_b128 v6, v[2:5]
.LBB90_149:
	s_wait_xcnt 0x0
	s_or_b32 exec_lo, exec_lo, s2
	s_wait_storecnt_dscnt 0x0
	s_barrier_signal -1
	s_barrier_wait -1
	s_clause 0x9
	scratch_load_b128 v[8:11], off, off offset:224
	scratch_load_b128 v[68:71], off, off offset:240
	;; [unrolled: 1-line block ×10, first 2 shown]
	v_mov_b32_e32 v2, 0
	s_mov_b32 s2, exec_lo
	ds_load_b128 v[104:107], v2 offset:656
	s_clause 0x2
	scratch_load_b128 v[108:111], off, off offset:384
	scratch_load_b128 v[112:115], off, off offset:208
	;; [unrolled: 1-line block ×3, first 2 shown]
	s_wait_loadcnt_dscnt 0xc00
	v_mul_f64_e32 v[4:5], v[106:107], v[10:11]
	v_mul_f64_e32 v[128:129], v[104:105], v[10:11]
	ds_load_b128 v[116:119], v2 offset:672
	scratch_load_b128 v[10:13], off, off offset:400
	ds_load_b128 v[124:127], v2 offset:704
	v_fma_f64 v[4:5], v[104:105], v[8:9], -v[4:5]
	v_fmac_f64_e32 v[128:129], v[106:107], v[8:9]
	ds_load_b128 v[104:107], v2 offset:688
	s_wait_loadcnt_dscnt 0xc02
	v_mul_f64_e32 v[130:131], v[116:117], v[70:71]
	v_mul_f64_e32 v[70:71], v[118:119], v[70:71]
	s_wait_loadcnt_dscnt 0xb00
	v_mul_f64_e32 v[8:9], v[104:105], v[74:75]
	v_mul_f64_e32 v[74:75], v[106:107], v[74:75]
	v_add_f64_e32 v[4:5], 0, v[4:5]
	v_fmac_f64_e32 v[130:131], v[118:119], v[68:69]
	v_fma_f64 v[68:69], v[116:117], v[68:69], -v[70:71]
	v_add_f64_e32 v[70:71], 0, v[128:129]
	s_wait_loadcnt 0xa
	v_mul_f64_e32 v[116:117], v[124:125], v[78:79]
	v_mul_f64_e32 v[78:79], v[126:127], v[78:79]
	v_fmac_f64_e32 v[8:9], v[106:107], v[72:73]
	v_fma_f64 v[104:105], v[104:105], v[72:73], -v[74:75]
	v_add_f64_e32 v[4:5], v[4:5], v[68:69]
	v_add_f64_e32 v[106:107], v[70:71], v[130:131]
	ds_load_b128 v[68:71], v2 offset:720
	ds_load_b128 v[72:75], v2 offset:736
	v_fmac_f64_e32 v[116:117], v[126:127], v[76:77]
	v_fma_f64 v[76:77], v[124:125], v[76:77], -v[78:79]
	s_wait_loadcnt_dscnt 0x901
	v_mul_f64_e32 v[118:119], v[68:69], v[82:83]
	v_mul_f64_e32 v[82:83], v[70:71], v[82:83]
	v_add_f64_e32 v[4:5], v[4:5], v[104:105]
	v_add_f64_e32 v[8:9], v[106:107], v[8:9]
	s_wait_loadcnt_dscnt 0x800
	v_mul_f64_e32 v[104:105], v[72:73], v[86:87]
	v_mul_f64_e32 v[86:87], v[74:75], v[86:87]
	v_fmac_f64_e32 v[118:119], v[70:71], v[80:81]
	v_fma_f64 v[80:81], v[68:69], v[80:81], -v[82:83]
	v_add_f64_e32 v[4:5], v[4:5], v[76:77]
	v_add_f64_e32 v[8:9], v[8:9], v[116:117]
	ds_load_b128 v[68:71], v2 offset:752
	ds_load_b128 v[76:79], v2 offset:768
	v_fmac_f64_e32 v[104:105], v[74:75], v[84:85]
	v_fma_f64 v[72:73], v[72:73], v[84:85], -v[86:87]
	s_wait_loadcnt_dscnt 0x701
	v_mul_f64_e32 v[82:83], v[68:69], v[90:91]
	v_mul_f64_e32 v[90:91], v[70:71], v[90:91]
	s_wait_loadcnt_dscnt 0x600
	v_mul_f64_e32 v[84:85], v[78:79], v[94:95]
	v_add_f64_e32 v[4:5], v[4:5], v[80:81]
	v_add_f64_e32 v[8:9], v[8:9], v[118:119]
	v_mul_f64_e32 v[80:81], v[76:77], v[94:95]
	v_fmac_f64_e32 v[82:83], v[70:71], v[88:89]
	v_fma_f64 v[86:87], v[68:69], v[88:89], -v[90:91]
	v_fma_f64 v[76:77], v[76:77], v[92:93], -v[84:85]
	v_add_f64_e32 v[4:5], v[4:5], v[72:73]
	v_add_f64_e32 v[8:9], v[8:9], v[104:105]
	ds_load_b128 v[68:71], v2 offset:784
	ds_load_b128 v[72:75], v2 offset:800
	v_fmac_f64_e32 v[80:81], v[78:79], v[92:93]
	s_wait_loadcnt_dscnt 0x501
	v_mul_f64_e32 v[88:89], v[68:69], v[98:99]
	v_mul_f64_e32 v[90:91], v[70:71], v[98:99]
	s_wait_loadcnt_dscnt 0x400
	v_mul_f64_e32 v[84:85], v[74:75], v[102:103]
	v_add_f64_e32 v[4:5], v[4:5], v[86:87]
	v_add_f64_e32 v[8:9], v[8:9], v[82:83]
	v_mul_f64_e32 v[82:83], v[72:73], v[102:103]
	v_fmac_f64_e32 v[88:89], v[70:71], v[96:97]
	v_fma_f64 v[86:87], v[68:69], v[96:97], -v[90:91]
	v_fma_f64 v[72:73], v[72:73], v[100:101], -v[84:85]
	v_add_f64_e32 v[4:5], v[4:5], v[76:77]
	v_add_f64_e32 v[8:9], v[8:9], v[80:81]
	ds_load_b128 v[68:71], v2 offset:816
	ds_load_b128 v[76:79], v2 offset:832
	v_fmac_f64_e32 v[82:83], v[74:75], v[100:101]
	s_wait_loadcnt_dscnt 0x301
	v_mul_f64_e32 v[80:81], v[68:69], v[110:111]
	v_mul_f64_e32 v[90:91], v[70:71], v[110:111]
	s_wait_loadcnt_dscnt 0x0
	v_mul_f64_e32 v[74:75], v[76:77], v[12:13]
	v_add_f64_e32 v[4:5], v[4:5], v[86:87]
	v_add_f64_e32 v[8:9], v[8:9], v[88:89]
	v_mul_f64_e32 v[12:13], v[78:79], v[12:13]
	v_fmac_f64_e32 v[80:81], v[70:71], v[108:109]
	v_fma_f64 v[84:85], v[68:69], v[108:109], -v[90:91]
	ds_load_b128 v[68:71], v2 offset:848
	v_fmac_f64_e32 v[74:75], v[78:79], v[10:11]
	v_add_f64_e32 v[4:5], v[4:5], v[72:73]
	v_add_f64_e32 v[8:9], v[8:9], v[82:83]
	v_fma_f64 v[10:11], v[76:77], v[10:11], -v[12:13]
	s_wait_dscnt 0x0
	v_mul_f64_e32 v[72:73], v[68:69], v[122:123]
	v_mul_f64_e32 v[82:83], v[70:71], v[122:123]
	v_add_f64_e32 v[4:5], v[4:5], v[84:85]
	v_add_f64_e32 v[8:9], v[8:9], v[80:81]
	s_delay_alu instid0(VALU_DEP_4) | instskip(NEXT) | instid1(VALU_DEP_4)
	v_fmac_f64_e32 v[72:73], v[70:71], v[120:121]
	v_fma_f64 v[12:13], v[68:69], v[120:121], -v[82:83]
	s_delay_alu instid0(VALU_DEP_4) | instskip(NEXT) | instid1(VALU_DEP_4)
	v_add_f64_e32 v[4:5], v[4:5], v[10:11]
	v_add_f64_e32 v[8:9], v[8:9], v[74:75]
	s_delay_alu instid0(VALU_DEP_2) | instskip(NEXT) | instid1(VALU_DEP_2)
	v_add_f64_e32 v[4:5], v[4:5], v[12:13]
	v_add_f64_e32 v[10:11], v[8:9], v[72:73]
	s_delay_alu instid0(VALU_DEP_2) | instskip(NEXT) | instid1(VALU_DEP_2)
	v_add_f64_e64 v[8:9], v[112:113], -v[4:5]
	v_add_f64_e64 v[10:11], v[114:115], -v[10:11]
	scratch_store_b128 off, v[8:11], off offset:208
	s_wait_xcnt 0x0
	v_cmpx_lt_u32_e32 12, v1
	s_cbranch_execz .LBB90_151
; %bb.150:
	scratch_load_b128 v[8:11], off, s30
	v_dual_mov_b32 v3, v2 :: v_dual_mov_b32 v4, v2
	v_mov_b32_e32 v5, v2
	scratch_store_b128 off, v[2:5], off offset:192
	s_wait_loadcnt 0x0
	ds_store_b128 v6, v[8:11]
.LBB90_151:
	s_wait_xcnt 0x0
	s_or_b32 exec_lo, exec_lo, s2
	s_wait_storecnt_dscnt 0x0
	s_barrier_signal -1
	s_barrier_wait -1
	s_clause 0x9
	scratch_load_b128 v[8:11], off, off offset:208
	scratch_load_b128 v[68:71], off, off offset:224
	;; [unrolled: 1-line block ×10, first 2 shown]
	ds_load_b128 v[104:107], v2 offset:640
	ds_load_b128 v[112:115], v2 offset:656
	s_clause 0x1
	scratch_load_b128 v[108:111], off, off offset:368
	scratch_load_b128 v[116:119], off, off offset:192
	s_mov_b32 s2, exec_lo
	s_wait_loadcnt_dscnt 0xb01
	v_mul_f64_e32 v[4:5], v[106:107], v[10:11]
	v_mul_f64_e32 v[128:129], v[104:105], v[10:11]
	scratch_load_b128 v[10:13], off, off offset:384
	s_wait_loadcnt_dscnt 0xb00
	v_mul_f64_e32 v[130:131], v[112:113], v[70:71]
	v_mul_f64_e32 v[70:71], v[114:115], v[70:71]
	v_fma_f64 v[4:5], v[104:105], v[8:9], -v[4:5]
	v_fmac_f64_e32 v[128:129], v[106:107], v[8:9]
	ds_load_b128 v[104:107], v2 offset:672
	ds_load_b128 v[120:123], v2 offset:688
	scratch_load_b128 v[124:127], off, off offset:400
	v_fmac_f64_e32 v[130:131], v[114:115], v[68:69]
	v_fma_f64 v[112:113], v[112:113], v[68:69], -v[70:71]
	scratch_load_b128 v[68:71], off, off offset:416
	s_wait_loadcnt_dscnt 0xc01
	v_mul_f64_e32 v[8:9], v[104:105], v[74:75]
	v_mul_f64_e32 v[74:75], v[106:107], v[74:75]
	v_add_f64_e32 v[4:5], 0, v[4:5]
	v_add_f64_e32 v[114:115], 0, v[128:129]
	s_wait_loadcnt_dscnt 0xb00
	v_mul_f64_e32 v[128:129], v[120:121], v[78:79]
	v_mul_f64_e32 v[78:79], v[122:123], v[78:79]
	v_fmac_f64_e32 v[8:9], v[106:107], v[72:73]
	v_fma_f64 v[132:133], v[104:105], v[72:73], -v[74:75]
	ds_load_b128 v[72:75], v2 offset:704
	ds_load_b128 v[104:107], v2 offset:720
	v_add_f64_e32 v[4:5], v[4:5], v[112:113]
	v_add_f64_e32 v[112:113], v[114:115], v[130:131]
	v_fmac_f64_e32 v[128:129], v[122:123], v[76:77]
	v_fma_f64 v[76:77], v[120:121], v[76:77], -v[78:79]
	s_wait_loadcnt_dscnt 0xa01
	v_mul_f64_e32 v[114:115], v[72:73], v[82:83]
	v_mul_f64_e32 v[82:83], v[74:75], v[82:83]
	v_add_f64_e32 v[4:5], v[4:5], v[132:133]
	v_add_f64_e32 v[8:9], v[112:113], v[8:9]
	s_wait_loadcnt_dscnt 0x900
	v_mul_f64_e32 v[112:113], v[104:105], v[86:87]
	v_mul_f64_e32 v[86:87], v[106:107], v[86:87]
	v_fmac_f64_e32 v[114:115], v[74:75], v[80:81]
	v_fma_f64 v[80:81], v[72:73], v[80:81], -v[82:83]
	v_add_f64_e32 v[4:5], v[4:5], v[76:77]
	v_add_f64_e32 v[8:9], v[8:9], v[128:129]
	ds_load_b128 v[72:75], v2 offset:736
	ds_load_b128 v[76:79], v2 offset:752
	v_fmac_f64_e32 v[112:113], v[106:107], v[84:85]
	v_fma_f64 v[84:85], v[104:105], v[84:85], -v[86:87]
	s_wait_loadcnt_dscnt 0x801
	v_mul_f64_e32 v[120:121], v[72:73], v[90:91]
	v_mul_f64_e32 v[82:83], v[74:75], v[90:91]
	s_wait_loadcnt_dscnt 0x700
	v_mul_f64_e32 v[86:87], v[76:77], v[94:95]
	v_mul_f64_e32 v[90:91], v[78:79], v[94:95]
	v_add_f64_e32 v[4:5], v[4:5], v[80:81]
	v_add_f64_e32 v[8:9], v[8:9], v[114:115]
	v_fmac_f64_e32 v[120:121], v[74:75], v[88:89]
	v_fma_f64 v[88:89], v[72:73], v[88:89], -v[82:83]
	ds_load_b128 v[72:75], v2 offset:768
	ds_load_b128 v[80:83], v2 offset:784
	v_fmac_f64_e32 v[86:87], v[78:79], v[92:93]
	v_fma_f64 v[76:77], v[76:77], v[92:93], -v[90:91]
	v_add_f64_e32 v[4:5], v[4:5], v[84:85]
	v_add_f64_e32 v[8:9], v[8:9], v[112:113]
	s_wait_loadcnt_dscnt 0x601
	v_mul_f64_e32 v[84:85], v[72:73], v[98:99]
	v_mul_f64_e32 v[94:95], v[74:75], v[98:99]
	s_wait_loadcnt_dscnt 0x500
	v_mul_f64_e32 v[90:91], v[82:83], v[102:103]
	v_add_f64_e32 v[4:5], v[4:5], v[88:89]
	v_add_f64_e32 v[8:9], v[8:9], v[120:121]
	v_mul_f64_e32 v[88:89], v[80:81], v[102:103]
	v_fmac_f64_e32 v[84:85], v[74:75], v[96:97]
	v_fma_f64 v[92:93], v[72:73], v[96:97], -v[94:95]
	v_fma_f64 v[80:81], v[80:81], v[100:101], -v[90:91]
	v_add_f64_e32 v[4:5], v[4:5], v[76:77]
	v_add_f64_e32 v[8:9], v[8:9], v[86:87]
	ds_load_b128 v[72:75], v2 offset:800
	ds_load_b128 v[76:79], v2 offset:816
	v_fmac_f64_e32 v[88:89], v[82:83], v[100:101]
	s_wait_loadcnt_dscnt 0x401
	v_mul_f64_e32 v[86:87], v[72:73], v[110:111]
	v_mul_f64_e32 v[94:95], v[74:75], v[110:111]
	v_add_f64_e32 v[4:5], v[4:5], v[92:93]
	v_add_f64_e32 v[8:9], v[8:9], v[84:85]
	s_wait_loadcnt_dscnt 0x200
	v_mul_f64_e32 v[82:83], v[76:77], v[12:13]
	v_mul_f64_e32 v[12:13], v[78:79], v[12:13]
	v_fmac_f64_e32 v[86:87], v[74:75], v[108:109]
	v_fma_f64 v[84:85], v[72:73], v[108:109], -v[94:95]
	v_add_f64_e32 v[80:81], v[4:5], v[80:81]
	v_add_f64_e32 v[8:9], v[8:9], v[88:89]
	ds_load_b128 v[72:75], v2 offset:832
	ds_load_b128 v[2:5], v2 offset:848
	v_fmac_f64_e32 v[82:83], v[78:79], v[10:11]
	v_fma_f64 v[10:11], v[76:77], v[10:11], -v[12:13]
	s_wait_loadcnt_dscnt 0x101
	v_mul_f64_e32 v[88:89], v[72:73], v[126:127]
	v_mul_f64_e32 v[90:91], v[74:75], v[126:127]
	s_wait_loadcnt_dscnt 0x0
	v_mul_f64_e32 v[76:77], v[2:3], v[70:71]
	v_mul_f64_e32 v[70:71], v[4:5], v[70:71]
	v_add_f64_e32 v[12:13], v[80:81], v[84:85]
	v_add_f64_e32 v[8:9], v[8:9], v[86:87]
	v_fmac_f64_e32 v[88:89], v[74:75], v[124:125]
	v_fma_f64 v[72:73], v[72:73], v[124:125], -v[90:91]
	v_fmac_f64_e32 v[76:77], v[4:5], v[68:69]
	v_fma_f64 v[2:3], v[2:3], v[68:69], -v[70:71]
	v_add_f64_e32 v[10:11], v[12:13], v[10:11]
	v_add_f64_e32 v[8:9], v[8:9], v[82:83]
	s_delay_alu instid0(VALU_DEP_2) | instskip(NEXT) | instid1(VALU_DEP_2)
	v_add_f64_e32 v[4:5], v[10:11], v[72:73]
	v_add_f64_e32 v[8:9], v[8:9], v[88:89]
	s_delay_alu instid0(VALU_DEP_2) | instskip(NEXT) | instid1(VALU_DEP_2)
	;; [unrolled: 3-line block ×3, first 2 shown]
	v_add_f64_e64 v[2:3], v[116:117], -v[2:3]
	v_add_f64_e64 v[4:5], v[118:119], -v[4:5]
	scratch_store_b128 off, v[2:5], off offset:192
	s_wait_xcnt 0x0
	v_cmpx_lt_u32_e32 11, v1
	s_cbranch_execz .LBB90_153
; %bb.152:
	scratch_load_b128 v[2:5], off, s31
	v_mov_b32_e32 v8, 0
	s_delay_alu instid0(VALU_DEP_1)
	v_dual_mov_b32 v9, v8 :: v_dual_mov_b32 v10, v8
	v_mov_b32_e32 v11, v8
	scratch_store_b128 off, v[8:11], off offset:176
	s_wait_loadcnt 0x0
	ds_store_b128 v6, v[2:5]
.LBB90_153:
	s_wait_xcnt 0x0
	s_or_b32 exec_lo, exec_lo, s2
	s_wait_storecnt_dscnt 0x0
	s_barrier_signal -1
	s_barrier_wait -1
	s_clause 0x9
	scratch_load_b128 v[8:11], off, off offset:192
	scratch_load_b128 v[68:71], off, off offset:208
	scratch_load_b128 v[72:75], off, off offset:224
	scratch_load_b128 v[76:79], off, off offset:240
	scratch_load_b128 v[80:83], off, off offset:256
	scratch_load_b128 v[84:87], off, off offset:272
	scratch_load_b128 v[88:91], off, off offset:288
	scratch_load_b128 v[92:95], off, off offset:304
	scratch_load_b128 v[96:99], off, off offset:320
	scratch_load_b128 v[100:103], off, off offset:336
	v_mov_b32_e32 v2, 0
	s_mov_b32 s2, exec_lo
	ds_load_b128 v[104:107], v2 offset:624
	s_clause 0x2
	scratch_load_b128 v[108:111], off, off offset:352
	scratch_load_b128 v[112:115], off, off offset:176
	;; [unrolled: 1-line block ×3, first 2 shown]
	s_wait_loadcnt_dscnt 0xc00
	v_mul_f64_e32 v[4:5], v[106:107], v[10:11]
	v_mul_f64_e32 v[128:129], v[104:105], v[10:11]
	ds_load_b128 v[116:119], v2 offset:640
	scratch_load_b128 v[10:13], off, off offset:368
	ds_load_b128 v[124:127], v2 offset:672
	v_fma_f64 v[4:5], v[104:105], v[8:9], -v[4:5]
	v_fmac_f64_e32 v[128:129], v[106:107], v[8:9]
	ds_load_b128 v[104:107], v2 offset:656
	s_wait_loadcnt_dscnt 0xc02
	v_mul_f64_e32 v[130:131], v[116:117], v[70:71]
	v_mul_f64_e32 v[70:71], v[118:119], v[70:71]
	s_wait_loadcnt_dscnt 0xb00
	v_mul_f64_e32 v[8:9], v[104:105], v[74:75]
	v_mul_f64_e32 v[74:75], v[106:107], v[74:75]
	v_add_f64_e32 v[4:5], 0, v[4:5]
	v_fmac_f64_e32 v[130:131], v[118:119], v[68:69]
	v_fma_f64 v[116:117], v[116:117], v[68:69], -v[70:71]
	v_add_f64_e32 v[118:119], 0, v[128:129]
	scratch_load_b128 v[68:71], off, off offset:400
	v_fmac_f64_e32 v[8:9], v[106:107], v[72:73]
	v_fma_f64 v[132:133], v[104:105], v[72:73], -v[74:75]
	ds_load_b128 v[72:75], v2 offset:688
	s_wait_loadcnt 0xb
	v_mul_f64_e32 v[128:129], v[124:125], v[78:79]
	v_mul_f64_e32 v[78:79], v[126:127], v[78:79]
	scratch_load_b128 v[104:107], off, off offset:416
	v_add_f64_e32 v[4:5], v[4:5], v[116:117]
	v_add_f64_e32 v[130:131], v[118:119], v[130:131]
	ds_load_b128 v[116:119], v2 offset:704
	s_wait_loadcnt_dscnt 0xb01
	v_mul_f64_e32 v[134:135], v[72:73], v[82:83]
	v_mul_f64_e32 v[82:83], v[74:75], v[82:83]
	v_fmac_f64_e32 v[128:129], v[126:127], v[76:77]
	v_fma_f64 v[76:77], v[124:125], v[76:77], -v[78:79]
	s_wait_loadcnt_dscnt 0xa00
	v_mul_f64_e32 v[124:125], v[116:117], v[86:87]
	v_mul_f64_e32 v[86:87], v[118:119], v[86:87]
	v_add_f64_e32 v[4:5], v[4:5], v[132:133]
	v_add_f64_e32 v[8:9], v[130:131], v[8:9]
	v_fmac_f64_e32 v[134:135], v[74:75], v[80:81]
	v_fma_f64 v[80:81], v[72:73], v[80:81], -v[82:83]
	v_fmac_f64_e32 v[124:125], v[118:119], v[84:85]
	v_fma_f64 v[84:85], v[116:117], v[84:85], -v[86:87]
	v_add_f64_e32 v[4:5], v[4:5], v[76:77]
	v_add_f64_e32 v[8:9], v[8:9], v[128:129]
	ds_load_b128 v[72:75], v2 offset:720
	ds_load_b128 v[76:79], v2 offset:736
	s_wait_loadcnt_dscnt 0x901
	v_mul_f64_e32 v[126:127], v[72:73], v[90:91]
	v_mul_f64_e32 v[82:83], v[74:75], v[90:91]
	s_wait_loadcnt_dscnt 0x800
	v_mul_f64_e32 v[86:87], v[76:77], v[94:95]
	v_mul_f64_e32 v[90:91], v[78:79], v[94:95]
	v_add_f64_e32 v[4:5], v[4:5], v[80:81]
	v_add_f64_e32 v[8:9], v[8:9], v[134:135]
	v_fmac_f64_e32 v[126:127], v[74:75], v[88:89]
	v_fma_f64 v[88:89], v[72:73], v[88:89], -v[82:83]
	ds_load_b128 v[72:75], v2 offset:752
	ds_load_b128 v[80:83], v2 offset:768
	v_fmac_f64_e32 v[86:87], v[78:79], v[92:93]
	v_fma_f64 v[76:77], v[76:77], v[92:93], -v[90:91]
	v_add_f64_e32 v[4:5], v[4:5], v[84:85]
	v_add_f64_e32 v[8:9], v[8:9], v[124:125]
	s_wait_loadcnt_dscnt 0x701
	v_mul_f64_e32 v[84:85], v[72:73], v[98:99]
	v_mul_f64_e32 v[94:95], v[74:75], v[98:99]
	s_wait_loadcnt_dscnt 0x600
	v_mul_f64_e32 v[90:91], v[82:83], v[102:103]
	v_add_f64_e32 v[4:5], v[4:5], v[88:89]
	v_add_f64_e32 v[8:9], v[8:9], v[126:127]
	v_mul_f64_e32 v[88:89], v[80:81], v[102:103]
	v_fmac_f64_e32 v[84:85], v[74:75], v[96:97]
	v_fma_f64 v[92:93], v[72:73], v[96:97], -v[94:95]
	v_fma_f64 v[80:81], v[80:81], v[100:101], -v[90:91]
	v_add_f64_e32 v[4:5], v[4:5], v[76:77]
	v_add_f64_e32 v[8:9], v[8:9], v[86:87]
	ds_load_b128 v[72:75], v2 offset:784
	ds_load_b128 v[76:79], v2 offset:800
	v_fmac_f64_e32 v[88:89], v[82:83], v[100:101]
	s_wait_loadcnt_dscnt 0x501
	v_mul_f64_e32 v[86:87], v[72:73], v[110:111]
	v_mul_f64_e32 v[94:95], v[74:75], v[110:111]
	v_add_f64_e32 v[4:5], v[4:5], v[92:93]
	v_add_f64_e32 v[8:9], v[8:9], v[84:85]
	s_wait_loadcnt_dscnt 0x200
	v_mul_f64_e32 v[84:85], v[76:77], v[12:13]
	v_mul_f64_e32 v[12:13], v[78:79], v[12:13]
	v_fmac_f64_e32 v[86:87], v[74:75], v[108:109]
	v_fma_f64 v[90:91], v[72:73], v[108:109], -v[94:95]
	v_add_f64_e32 v[4:5], v[4:5], v[80:81]
	v_add_f64_e32 v[8:9], v[8:9], v[88:89]
	ds_load_b128 v[72:75], v2 offset:816
	ds_load_b128 v[80:83], v2 offset:832
	v_fmac_f64_e32 v[84:85], v[78:79], v[10:11]
	v_fma_f64 v[10:11], v[76:77], v[10:11], -v[12:13]
	s_wait_dscnt 0x1
	v_mul_f64_e32 v[88:89], v[72:73], v[122:123]
	v_mul_f64_e32 v[92:93], v[74:75], v[122:123]
	v_add_f64_e32 v[4:5], v[4:5], v[90:91]
	v_add_f64_e32 v[8:9], v[8:9], v[86:87]
	s_wait_loadcnt_dscnt 0x100
	v_mul_f64_e32 v[12:13], v[80:81], v[70:71]
	v_mul_f64_e32 v[70:71], v[82:83], v[70:71]
	v_fmac_f64_e32 v[88:89], v[74:75], v[120:121]
	v_fma_f64 v[72:73], v[72:73], v[120:121], -v[92:93]
	v_add_f64_e32 v[4:5], v[4:5], v[10:11]
	v_add_f64_e32 v[74:75], v[8:9], v[84:85]
	ds_load_b128 v[8:11], v2 offset:848
	v_fmac_f64_e32 v[12:13], v[82:83], v[68:69]
	v_fma_f64 v[68:69], v[80:81], v[68:69], -v[70:71]
	s_wait_loadcnt_dscnt 0x0
	v_mul_f64_e32 v[76:77], v[8:9], v[106:107]
	v_mul_f64_e32 v[78:79], v[10:11], v[106:107]
	v_add_f64_e32 v[4:5], v[4:5], v[72:73]
	v_add_f64_e32 v[70:71], v[74:75], v[88:89]
	s_delay_alu instid0(VALU_DEP_4) | instskip(NEXT) | instid1(VALU_DEP_4)
	v_fmac_f64_e32 v[76:77], v[10:11], v[104:105]
	v_fma_f64 v[8:9], v[8:9], v[104:105], -v[78:79]
	s_delay_alu instid0(VALU_DEP_4) | instskip(NEXT) | instid1(VALU_DEP_4)
	v_add_f64_e32 v[4:5], v[4:5], v[68:69]
	v_add_f64_e32 v[10:11], v[70:71], v[12:13]
	s_delay_alu instid0(VALU_DEP_2) | instskip(NEXT) | instid1(VALU_DEP_2)
	v_add_f64_e32 v[4:5], v[4:5], v[8:9]
	v_add_f64_e32 v[10:11], v[10:11], v[76:77]
	s_delay_alu instid0(VALU_DEP_2) | instskip(NEXT) | instid1(VALU_DEP_2)
	v_add_f64_e64 v[8:9], v[112:113], -v[4:5]
	v_add_f64_e64 v[10:11], v[114:115], -v[10:11]
	scratch_store_b128 off, v[8:11], off offset:176
	s_wait_xcnt 0x0
	v_cmpx_lt_u32_e32 10, v1
	s_cbranch_execz .LBB90_155
; %bb.154:
	scratch_load_b128 v[8:11], off, s33
	v_dual_mov_b32 v3, v2 :: v_dual_mov_b32 v4, v2
	v_mov_b32_e32 v5, v2
	scratch_store_b128 off, v[2:5], off offset:160
	s_wait_loadcnt 0x0
	ds_store_b128 v6, v[8:11]
.LBB90_155:
	s_wait_xcnt 0x0
	s_or_b32 exec_lo, exec_lo, s2
	s_wait_storecnt_dscnt 0x0
	s_barrier_signal -1
	s_barrier_wait -1
	s_clause 0x9
	scratch_load_b128 v[8:11], off, off offset:176
	scratch_load_b128 v[68:71], off, off offset:192
	;; [unrolled: 1-line block ×10, first 2 shown]
	ds_load_b128 v[104:107], v2 offset:608
	ds_load_b128 v[112:115], v2 offset:624
	s_clause 0x1
	scratch_load_b128 v[108:111], off, off offset:336
	scratch_load_b128 v[116:119], off, off offset:160
	s_mov_b32 s2, exec_lo
	s_wait_loadcnt_dscnt 0xb01
	v_mul_f64_e32 v[4:5], v[106:107], v[10:11]
	v_mul_f64_e32 v[128:129], v[104:105], v[10:11]
	scratch_load_b128 v[10:13], off, off offset:352
	s_wait_loadcnt_dscnt 0xb00
	v_mul_f64_e32 v[130:131], v[112:113], v[70:71]
	v_mul_f64_e32 v[70:71], v[114:115], v[70:71]
	v_fma_f64 v[4:5], v[104:105], v[8:9], -v[4:5]
	v_fmac_f64_e32 v[128:129], v[106:107], v[8:9]
	ds_load_b128 v[104:107], v2 offset:640
	ds_load_b128 v[120:123], v2 offset:656
	scratch_load_b128 v[124:127], off, off offset:368
	v_fmac_f64_e32 v[130:131], v[114:115], v[68:69]
	v_fma_f64 v[112:113], v[112:113], v[68:69], -v[70:71]
	scratch_load_b128 v[68:71], off, off offset:384
	s_wait_loadcnt_dscnt 0xc01
	v_mul_f64_e32 v[8:9], v[104:105], v[74:75]
	v_mul_f64_e32 v[74:75], v[106:107], v[74:75]
	v_add_f64_e32 v[4:5], 0, v[4:5]
	v_add_f64_e32 v[114:115], 0, v[128:129]
	s_wait_loadcnt_dscnt 0xb00
	v_mul_f64_e32 v[128:129], v[120:121], v[78:79]
	v_mul_f64_e32 v[78:79], v[122:123], v[78:79]
	v_fmac_f64_e32 v[8:9], v[106:107], v[72:73]
	v_fma_f64 v[132:133], v[104:105], v[72:73], -v[74:75]
	ds_load_b128 v[72:75], v2 offset:672
	ds_load_b128 v[104:107], v2 offset:688
	v_add_f64_e32 v[4:5], v[4:5], v[112:113]
	v_add_f64_e32 v[130:131], v[114:115], v[130:131]
	scratch_load_b128 v[112:115], off, off offset:400
	v_fmac_f64_e32 v[128:129], v[122:123], v[76:77]
	v_fma_f64 v[120:121], v[120:121], v[76:77], -v[78:79]
	scratch_load_b128 v[76:79], off, off offset:416
	s_wait_loadcnt_dscnt 0xc01
	v_mul_f64_e32 v[134:135], v[72:73], v[82:83]
	v_mul_f64_e32 v[82:83], v[74:75], v[82:83]
	s_wait_loadcnt_dscnt 0xb00
	v_mul_f64_e32 v[122:123], v[104:105], v[86:87]
	v_mul_f64_e32 v[86:87], v[106:107], v[86:87]
	v_add_f64_e32 v[4:5], v[4:5], v[132:133]
	v_add_f64_e32 v[8:9], v[130:131], v[8:9]
	v_fmac_f64_e32 v[134:135], v[74:75], v[80:81]
	v_fma_f64 v[130:131], v[72:73], v[80:81], -v[82:83]
	ds_load_b128 v[72:75], v2 offset:704
	ds_load_b128 v[80:83], v2 offset:720
	v_fmac_f64_e32 v[122:123], v[106:107], v[84:85]
	v_fma_f64 v[84:85], v[104:105], v[84:85], -v[86:87]
	s_wait_loadcnt_dscnt 0x900
	v_mul_f64_e32 v[104:105], v[80:81], v[94:95]
	v_add_f64_e32 v[4:5], v[4:5], v[120:121]
	v_add_f64_e32 v[8:9], v[8:9], v[128:129]
	v_mul_f64_e32 v[120:121], v[72:73], v[90:91]
	v_mul_f64_e32 v[90:91], v[74:75], v[90:91]
	;; [unrolled: 1-line block ×3, first 2 shown]
	v_fmac_f64_e32 v[104:105], v[82:83], v[92:93]
	v_add_f64_e32 v[4:5], v[4:5], v[130:131]
	v_add_f64_e32 v[8:9], v[8:9], v[134:135]
	v_fmac_f64_e32 v[120:121], v[74:75], v[88:89]
	v_fma_f64 v[88:89], v[72:73], v[88:89], -v[90:91]
	v_fma_f64 v[80:81], v[80:81], v[92:93], -v[94:95]
	v_add_f64_e32 v[4:5], v[4:5], v[84:85]
	v_add_f64_e32 v[8:9], v[8:9], v[122:123]
	ds_load_b128 v[72:75], v2 offset:736
	ds_load_b128 v[84:87], v2 offset:752
	s_wait_loadcnt_dscnt 0x801
	v_mul_f64_e32 v[90:91], v[72:73], v[98:99]
	v_mul_f64_e32 v[98:99], v[74:75], v[98:99]
	s_wait_loadcnt_dscnt 0x700
	v_mul_f64_e32 v[92:93], v[86:87], v[102:103]
	v_add_f64_e32 v[4:5], v[4:5], v[88:89]
	v_add_f64_e32 v[8:9], v[8:9], v[120:121]
	v_mul_f64_e32 v[88:89], v[84:85], v[102:103]
	v_fmac_f64_e32 v[90:91], v[74:75], v[96:97]
	v_fma_f64 v[94:95], v[72:73], v[96:97], -v[98:99]
	v_fma_f64 v[84:85], v[84:85], v[100:101], -v[92:93]
	v_add_f64_e32 v[4:5], v[4:5], v[80:81]
	v_add_f64_e32 v[8:9], v[8:9], v[104:105]
	ds_load_b128 v[72:75], v2 offset:768
	ds_load_b128 v[80:83], v2 offset:784
	v_fmac_f64_e32 v[88:89], v[86:87], v[100:101]
	s_wait_loadcnt_dscnt 0x601
	v_mul_f64_e32 v[96:97], v[72:73], v[110:111]
	v_mul_f64_e32 v[98:99], v[74:75], v[110:111]
	v_add_f64_e32 v[4:5], v[4:5], v[94:95]
	v_add_f64_e32 v[8:9], v[8:9], v[90:91]
	s_wait_loadcnt_dscnt 0x400
	v_mul_f64_e32 v[90:91], v[80:81], v[12:13]
	v_mul_f64_e32 v[12:13], v[82:83], v[12:13]
	v_fmac_f64_e32 v[96:97], v[74:75], v[108:109]
	v_fma_f64 v[92:93], v[72:73], v[108:109], -v[98:99]
	v_add_f64_e32 v[4:5], v[4:5], v[84:85]
	v_add_f64_e32 v[8:9], v[8:9], v[88:89]
	ds_load_b128 v[72:75], v2 offset:800
	ds_load_b128 v[84:87], v2 offset:816
	v_fmac_f64_e32 v[90:91], v[82:83], v[10:11]
	v_fma_f64 v[10:11], v[80:81], v[10:11], -v[12:13]
	s_wait_loadcnt_dscnt 0x301
	v_mul_f64_e32 v[88:89], v[72:73], v[126:127]
	v_mul_f64_e32 v[94:95], v[74:75], v[126:127]
	s_wait_loadcnt_dscnt 0x200
	v_mul_f64_e32 v[12:13], v[84:85], v[70:71]
	v_mul_f64_e32 v[70:71], v[86:87], v[70:71]
	v_add_f64_e32 v[4:5], v[4:5], v[92:93]
	v_add_f64_e32 v[8:9], v[8:9], v[96:97]
	v_fmac_f64_e32 v[88:89], v[74:75], v[124:125]
	v_fma_f64 v[72:73], v[72:73], v[124:125], -v[94:95]
	v_fmac_f64_e32 v[12:13], v[86:87], v[68:69]
	v_fma_f64 v[68:69], v[84:85], v[68:69], -v[70:71]
	v_add_f64_e32 v[74:75], v[4:5], v[10:11]
	v_add_f64_e32 v[80:81], v[8:9], v[90:91]
	ds_load_b128 v[8:11], v2 offset:832
	ds_load_b128 v[2:5], v2 offset:848
	s_wait_loadcnt_dscnt 0x101
	v_mul_f64_e32 v[82:83], v[8:9], v[114:115]
	v_mul_f64_e32 v[90:91], v[10:11], v[114:115]
	v_add_f64_e32 v[70:71], v[74:75], v[72:73]
	v_add_f64_e32 v[72:73], v[80:81], v[88:89]
	s_wait_loadcnt_dscnt 0x0
	v_mul_f64_e32 v[74:75], v[2:3], v[78:79]
	v_mul_f64_e32 v[78:79], v[4:5], v[78:79]
	v_fmac_f64_e32 v[82:83], v[10:11], v[112:113]
	v_fma_f64 v[8:9], v[8:9], v[112:113], -v[90:91]
	v_add_f64_e32 v[10:11], v[70:71], v[68:69]
	v_add_f64_e32 v[12:13], v[72:73], v[12:13]
	v_fmac_f64_e32 v[74:75], v[4:5], v[76:77]
	v_fma_f64 v[2:3], v[2:3], v[76:77], -v[78:79]
	s_delay_alu instid0(VALU_DEP_4) | instskip(NEXT) | instid1(VALU_DEP_4)
	v_add_f64_e32 v[4:5], v[10:11], v[8:9]
	v_add_f64_e32 v[8:9], v[12:13], v[82:83]
	s_delay_alu instid0(VALU_DEP_2) | instskip(NEXT) | instid1(VALU_DEP_2)
	v_add_f64_e32 v[2:3], v[4:5], v[2:3]
	v_add_f64_e32 v[4:5], v[8:9], v[74:75]
	s_delay_alu instid0(VALU_DEP_2) | instskip(NEXT) | instid1(VALU_DEP_2)
	v_add_f64_e64 v[2:3], v[116:117], -v[2:3]
	v_add_f64_e64 v[4:5], v[118:119], -v[4:5]
	scratch_store_b128 off, v[2:5], off offset:160
	s_wait_xcnt 0x0
	v_cmpx_lt_u32_e32 9, v1
	s_cbranch_execz .LBB90_157
; %bb.156:
	scratch_load_b128 v[2:5], off, s34
	v_mov_b32_e32 v8, 0
	s_delay_alu instid0(VALU_DEP_1)
	v_dual_mov_b32 v9, v8 :: v_dual_mov_b32 v10, v8
	v_mov_b32_e32 v11, v8
	scratch_store_b128 off, v[8:11], off offset:144
	s_wait_loadcnt 0x0
	ds_store_b128 v6, v[2:5]
.LBB90_157:
	s_wait_xcnt 0x0
	s_or_b32 exec_lo, exec_lo, s2
	s_wait_storecnt_dscnt 0x0
	s_barrier_signal -1
	s_barrier_wait -1
	s_clause 0x9
	scratch_load_b128 v[8:11], off, off offset:160
	scratch_load_b128 v[68:71], off, off offset:176
	;; [unrolled: 1-line block ×10, first 2 shown]
	v_mov_b32_e32 v2, 0
	s_mov_b32 s2, exec_lo
	ds_load_b128 v[104:107], v2 offset:592
	s_clause 0x2
	scratch_load_b128 v[108:111], off, off offset:320
	scratch_load_b128 v[112:115], off, off offset:144
	;; [unrolled: 1-line block ×3, first 2 shown]
	s_wait_loadcnt_dscnt 0xc00
	v_mul_f64_e32 v[4:5], v[106:107], v[10:11]
	v_mul_f64_e32 v[128:129], v[104:105], v[10:11]
	ds_load_b128 v[116:119], v2 offset:608
	scratch_load_b128 v[10:13], off, off offset:336
	ds_load_b128 v[124:127], v2 offset:640
	v_fma_f64 v[4:5], v[104:105], v[8:9], -v[4:5]
	v_fmac_f64_e32 v[128:129], v[106:107], v[8:9]
	ds_load_b128 v[104:107], v2 offset:624
	s_wait_loadcnt_dscnt 0xc02
	v_mul_f64_e32 v[130:131], v[116:117], v[70:71]
	v_mul_f64_e32 v[70:71], v[118:119], v[70:71]
	s_wait_loadcnt_dscnt 0xb00
	v_mul_f64_e32 v[8:9], v[104:105], v[74:75]
	v_mul_f64_e32 v[74:75], v[106:107], v[74:75]
	v_add_f64_e32 v[4:5], 0, v[4:5]
	v_fmac_f64_e32 v[130:131], v[118:119], v[68:69]
	v_fma_f64 v[116:117], v[116:117], v[68:69], -v[70:71]
	v_add_f64_e32 v[118:119], 0, v[128:129]
	scratch_load_b128 v[68:71], off, off offset:368
	v_fmac_f64_e32 v[8:9], v[106:107], v[72:73]
	v_fma_f64 v[132:133], v[104:105], v[72:73], -v[74:75]
	ds_load_b128 v[72:75], v2 offset:656
	s_wait_loadcnt 0xb
	v_mul_f64_e32 v[128:129], v[124:125], v[78:79]
	v_mul_f64_e32 v[78:79], v[126:127], v[78:79]
	scratch_load_b128 v[104:107], off, off offset:384
	v_add_f64_e32 v[4:5], v[4:5], v[116:117]
	v_add_f64_e32 v[130:131], v[118:119], v[130:131]
	ds_load_b128 v[116:119], v2 offset:672
	s_wait_loadcnt_dscnt 0xb01
	v_mul_f64_e32 v[134:135], v[72:73], v[82:83]
	v_mul_f64_e32 v[82:83], v[74:75], v[82:83]
	v_fmac_f64_e32 v[128:129], v[126:127], v[76:77]
	v_fma_f64 v[124:125], v[124:125], v[76:77], -v[78:79]
	scratch_load_b128 v[76:79], off, off offset:400
	v_add_f64_e32 v[4:5], v[4:5], v[132:133]
	v_add_f64_e32 v[8:9], v[130:131], v[8:9]
	v_fmac_f64_e32 v[134:135], v[74:75], v[80:81]
	v_fma_f64 v[132:133], v[72:73], v[80:81], -v[82:83]
	ds_load_b128 v[72:75], v2 offset:688
	s_wait_loadcnt_dscnt 0xb01
	v_mul_f64_e32 v[130:131], v[116:117], v[86:87]
	v_mul_f64_e32 v[86:87], v[118:119], v[86:87]
	scratch_load_b128 v[80:83], off, off offset:416
	v_add_f64_e32 v[4:5], v[4:5], v[124:125]
	v_add_f64_e32 v[8:9], v[8:9], v[128:129]
	s_wait_loadcnt_dscnt 0xb00
	v_mul_f64_e32 v[128:129], v[72:73], v[90:91]
	v_mul_f64_e32 v[90:91], v[74:75], v[90:91]
	ds_load_b128 v[124:127], v2 offset:704
	v_fmac_f64_e32 v[130:131], v[118:119], v[84:85]
	v_fma_f64 v[84:85], v[116:117], v[84:85], -v[86:87]
	s_wait_loadcnt_dscnt 0xa00
	v_mul_f64_e32 v[116:117], v[124:125], v[94:95]
	v_mul_f64_e32 v[94:95], v[126:127], v[94:95]
	v_add_f64_e32 v[4:5], v[4:5], v[132:133]
	v_add_f64_e32 v[8:9], v[8:9], v[134:135]
	v_fmac_f64_e32 v[128:129], v[74:75], v[88:89]
	v_fma_f64 v[88:89], v[72:73], v[88:89], -v[90:91]
	v_fmac_f64_e32 v[116:117], v[126:127], v[92:93]
	v_fma_f64 v[92:93], v[124:125], v[92:93], -v[94:95]
	v_add_f64_e32 v[4:5], v[4:5], v[84:85]
	v_add_f64_e32 v[8:9], v[8:9], v[130:131]
	ds_load_b128 v[72:75], v2 offset:720
	ds_load_b128 v[84:87], v2 offset:736
	s_wait_loadcnt_dscnt 0x901
	v_mul_f64_e32 v[118:119], v[72:73], v[98:99]
	v_mul_f64_e32 v[90:91], v[74:75], v[98:99]
	s_wait_loadcnt_dscnt 0x800
	v_mul_f64_e32 v[94:95], v[84:85], v[102:103]
	v_mul_f64_e32 v[98:99], v[86:87], v[102:103]
	v_add_f64_e32 v[4:5], v[4:5], v[88:89]
	v_add_f64_e32 v[8:9], v[8:9], v[128:129]
	v_fmac_f64_e32 v[118:119], v[74:75], v[96:97]
	v_fma_f64 v[96:97], v[72:73], v[96:97], -v[90:91]
	ds_load_b128 v[72:75], v2 offset:752
	ds_load_b128 v[88:91], v2 offset:768
	v_fmac_f64_e32 v[94:95], v[86:87], v[100:101]
	v_fma_f64 v[84:85], v[84:85], v[100:101], -v[98:99]
	v_add_f64_e32 v[4:5], v[4:5], v[92:93]
	v_add_f64_e32 v[8:9], v[8:9], v[116:117]
	s_wait_loadcnt_dscnt 0x701
	v_mul_f64_e32 v[92:93], v[72:73], v[110:111]
	v_mul_f64_e32 v[102:103], v[74:75], v[110:111]
	s_delay_alu instid0(VALU_DEP_4) | instskip(NEXT) | instid1(VALU_DEP_4)
	v_add_f64_e32 v[4:5], v[4:5], v[96:97]
	v_add_f64_e32 v[8:9], v[8:9], v[118:119]
	s_wait_loadcnt_dscnt 0x400
	v_mul_f64_e32 v[96:97], v[88:89], v[12:13]
	v_mul_f64_e32 v[12:13], v[90:91], v[12:13]
	v_fmac_f64_e32 v[92:93], v[74:75], v[108:109]
	v_fma_f64 v[98:99], v[72:73], v[108:109], -v[102:103]
	v_add_f64_e32 v[4:5], v[4:5], v[84:85]
	v_add_f64_e32 v[8:9], v[8:9], v[94:95]
	ds_load_b128 v[72:75], v2 offset:784
	ds_load_b128 v[84:87], v2 offset:800
	v_fmac_f64_e32 v[96:97], v[90:91], v[10:11]
	v_fma_f64 v[10:11], v[88:89], v[10:11], -v[12:13]
	s_wait_dscnt 0x1
	v_mul_f64_e32 v[94:95], v[72:73], v[122:123]
	v_mul_f64_e32 v[100:101], v[74:75], v[122:123]
	v_add_f64_e32 v[4:5], v[4:5], v[98:99]
	v_add_f64_e32 v[8:9], v[8:9], v[92:93]
	s_wait_loadcnt_dscnt 0x300
	v_mul_f64_e32 v[12:13], v[84:85], v[70:71]
	v_mul_f64_e32 v[88:89], v[86:87], v[70:71]
	v_fmac_f64_e32 v[94:95], v[74:75], v[120:121]
	v_fma_f64 v[74:75], v[72:73], v[120:121], -v[100:101]
	v_add_f64_e32 v[4:5], v[4:5], v[10:11]
	v_add_f64_e32 v[90:91], v[8:9], v[96:97]
	ds_load_b128 v[8:11], v2 offset:816
	ds_load_b128 v[70:73], v2 offset:832
	v_fmac_f64_e32 v[12:13], v[86:87], v[68:69]
	v_fma_f64 v[68:69], v[84:85], v[68:69], -v[88:89]
	s_wait_loadcnt_dscnt 0x201
	v_mul_f64_e32 v[92:93], v[8:9], v[106:107]
	v_mul_f64_e32 v[96:97], v[10:11], v[106:107]
	s_wait_loadcnt_dscnt 0x100
	v_mul_f64_e32 v[84:85], v[70:71], v[78:79]
	v_mul_f64_e32 v[78:79], v[72:73], v[78:79]
	v_add_f64_e32 v[4:5], v[4:5], v[74:75]
	v_add_f64_e32 v[74:75], v[90:91], v[94:95]
	v_fmac_f64_e32 v[92:93], v[10:11], v[104:105]
	v_fma_f64 v[86:87], v[8:9], v[104:105], -v[96:97]
	ds_load_b128 v[8:11], v2 offset:848
	v_fmac_f64_e32 v[84:85], v[72:73], v[76:77]
	v_fma_f64 v[70:71], v[70:71], v[76:77], -v[78:79]
	v_add_f64_e32 v[4:5], v[4:5], v[68:69]
	v_add_f64_e32 v[12:13], v[74:75], v[12:13]
	s_wait_loadcnt_dscnt 0x0
	v_mul_f64_e32 v[68:69], v[8:9], v[82:83]
	v_mul_f64_e32 v[74:75], v[10:11], v[82:83]
	s_delay_alu instid0(VALU_DEP_4) | instskip(NEXT) | instid1(VALU_DEP_4)
	v_add_f64_e32 v[4:5], v[4:5], v[86:87]
	v_add_f64_e32 v[12:13], v[12:13], v[92:93]
	s_delay_alu instid0(VALU_DEP_4) | instskip(NEXT) | instid1(VALU_DEP_4)
	v_fmac_f64_e32 v[68:69], v[10:11], v[80:81]
	v_fma_f64 v[8:9], v[8:9], v[80:81], -v[74:75]
	s_delay_alu instid0(VALU_DEP_4) | instskip(NEXT) | instid1(VALU_DEP_4)
	v_add_f64_e32 v[4:5], v[4:5], v[70:71]
	v_add_f64_e32 v[10:11], v[12:13], v[84:85]
	s_delay_alu instid0(VALU_DEP_2) | instskip(NEXT) | instid1(VALU_DEP_2)
	v_add_f64_e32 v[4:5], v[4:5], v[8:9]
	v_add_f64_e32 v[10:11], v[10:11], v[68:69]
	s_delay_alu instid0(VALU_DEP_2) | instskip(NEXT) | instid1(VALU_DEP_2)
	v_add_f64_e64 v[8:9], v[112:113], -v[4:5]
	v_add_f64_e64 v[10:11], v[114:115], -v[10:11]
	scratch_store_b128 off, v[8:11], off offset:144
	s_wait_xcnt 0x0
	v_cmpx_lt_u32_e32 8, v1
	s_cbranch_execz .LBB90_159
; %bb.158:
	scratch_load_b128 v[8:11], off, s35
	v_dual_mov_b32 v3, v2 :: v_dual_mov_b32 v4, v2
	v_mov_b32_e32 v5, v2
	scratch_store_b128 off, v[2:5], off offset:128
	s_wait_loadcnt 0x0
	ds_store_b128 v6, v[8:11]
.LBB90_159:
	s_wait_xcnt 0x0
	s_or_b32 exec_lo, exec_lo, s2
	s_wait_storecnt_dscnt 0x0
	s_barrier_signal -1
	s_barrier_wait -1
	s_clause 0x9
	scratch_load_b128 v[8:11], off, off offset:144
	scratch_load_b128 v[68:71], off, off offset:160
	;; [unrolled: 1-line block ×10, first 2 shown]
	ds_load_b128 v[104:107], v2 offset:576
	ds_load_b128 v[112:115], v2 offset:592
	s_clause 0x1
	scratch_load_b128 v[108:111], off, off offset:304
	scratch_load_b128 v[116:119], off, off offset:128
	s_mov_b32 s2, exec_lo
	s_wait_loadcnt_dscnt 0xb01
	v_mul_f64_e32 v[4:5], v[106:107], v[10:11]
	v_mul_f64_e32 v[128:129], v[104:105], v[10:11]
	scratch_load_b128 v[10:13], off, off offset:320
	s_wait_loadcnt_dscnt 0xb00
	v_mul_f64_e32 v[130:131], v[112:113], v[70:71]
	v_mul_f64_e32 v[70:71], v[114:115], v[70:71]
	v_fma_f64 v[4:5], v[104:105], v[8:9], -v[4:5]
	v_fmac_f64_e32 v[128:129], v[106:107], v[8:9]
	ds_load_b128 v[104:107], v2 offset:608
	ds_load_b128 v[120:123], v2 offset:624
	scratch_load_b128 v[124:127], off, off offset:336
	v_fmac_f64_e32 v[130:131], v[114:115], v[68:69]
	v_fma_f64 v[112:113], v[112:113], v[68:69], -v[70:71]
	scratch_load_b128 v[68:71], off, off offset:352
	s_wait_loadcnt_dscnt 0xc01
	v_mul_f64_e32 v[8:9], v[104:105], v[74:75]
	v_mul_f64_e32 v[74:75], v[106:107], v[74:75]
	v_add_f64_e32 v[4:5], 0, v[4:5]
	v_add_f64_e32 v[114:115], 0, v[128:129]
	s_wait_loadcnt_dscnt 0xb00
	v_mul_f64_e32 v[128:129], v[120:121], v[78:79]
	v_mul_f64_e32 v[78:79], v[122:123], v[78:79]
	v_fmac_f64_e32 v[8:9], v[106:107], v[72:73]
	v_fma_f64 v[132:133], v[104:105], v[72:73], -v[74:75]
	ds_load_b128 v[72:75], v2 offset:640
	ds_load_b128 v[104:107], v2 offset:656
	v_add_f64_e32 v[4:5], v[4:5], v[112:113]
	v_add_f64_e32 v[130:131], v[114:115], v[130:131]
	scratch_load_b128 v[112:115], off, off offset:368
	v_fmac_f64_e32 v[128:129], v[122:123], v[76:77]
	v_fma_f64 v[120:121], v[120:121], v[76:77], -v[78:79]
	scratch_load_b128 v[76:79], off, off offset:384
	s_wait_loadcnt_dscnt 0xc01
	v_mul_f64_e32 v[134:135], v[72:73], v[82:83]
	v_mul_f64_e32 v[82:83], v[74:75], v[82:83]
	v_add_f64_e32 v[4:5], v[4:5], v[132:133]
	v_add_f64_e32 v[8:9], v[130:131], v[8:9]
	s_wait_loadcnt_dscnt 0xb00
	v_mul_f64_e32 v[130:131], v[104:105], v[86:87]
	v_mul_f64_e32 v[86:87], v[106:107], v[86:87]
	v_fmac_f64_e32 v[134:135], v[74:75], v[80:81]
	v_fma_f64 v[132:133], v[72:73], v[80:81], -v[82:83]
	ds_load_b128 v[72:75], v2 offset:672
	ds_load_b128 v[80:83], v2 offset:688
	v_add_f64_e32 v[4:5], v[4:5], v[120:121]
	v_add_f64_e32 v[8:9], v[8:9], v[128:129]
	scratch_load_b128 v[120:123], off, off offset:400
	s_wait_loadcnt_dscnt 0xb01
	v_mul_f64_e32 v[128:129], v[72:73], v[90:91]
	v_mul_f64_e32 v[90:91], v[74:75], v[90:91]
	v_fmac_f64_e32 v[130:131], v[106:107], v[84:85]
	v_fma_f64 v[104:105], v[104:105], v[84:85], -v[86:87]
	scratch_load_b128 v[84:87], off, off offset:416
	s_wait_loadcnt_dscnt 0xb00
	v_mul_f64_e32 v[106:107], v[80:81], v[94:95]
	v_mul_f64_e32 v[94:95], v[82:83], v[94:95]
	v_add_f64_e32 v[4:5], v[4:5], v[132:133]
	v_add_f64_e32 v[8:9], v[8:9], v[134:135]
	v_fmac_f64_e32 v[128:129], v[74:75], v[88:89]
	v_fma_f64 v[132:133], v[72:73], v[88:89], -v[90:91]
	ds_load_b128 v[72:75], v2 offset:704
	ds_load_b128 v[88:91], v2 offset:720
	v_fmac_f64_e32 v[106:107], v[82:83], v[92:93]
	v_fma_f64 v[80:81], v[80:81], v[92:93], -v[94:95]
	s_wait_loadcnt_dscnt 0x900
	v_mul_f64_e32 v[92:93], v[88:89], v[102:103]
	v_mul_f64_e32 v[94:95], v[90:91], v[102:103]
	v_add_f64_e32 v[4:5], v[4:5], v[104:105]
	v_add_f64_e32 v[8:9], v[8:9], v[130:131]
	v_mul_f64_e32 v[104:105], v[72:73], v[98:99]
	v_mul_f64_e32 v[98:99], v[74:75], v[98:99]
	v_fmac_f64_e32 v[92:93], v[90:91], v[100:101]
	v_fma_f64 v[88:89], v[88:89], v[100:101], -v[94:95]
	v_add_f64_e32 v[4:5], v[4:5], v[132:133]
	v_add_f64_e32 v[8:9], v[8:9], v[128:129]
	v_fmac_f64_e32 v[104:105], v[74:75], v[96:97]
	v_fma_f64 v[96:97], v[72:73], v[96:97], -v[98:99]
	s_delay_alu instid0(VALU_DEP_4) | instskip(NEXT) | instid1(VALU_DEP_4)
	v_add_f64_e32 v[4:5], v[4:5], v[80:81]
	v_add_f64_e32 v[8:9], v[8:9], v[106:107]
	ds_load_b128 v[72:75], v2 offset:736
	ds_load_b128 v[80:83], v2 offset:752
	s_wait_loadcnt_dscnt 0x801
	v_mul_f64_e32 v[98:99], v[72:73], v[110:111]
	v_mul_f64_e32 v[102:103], v[74:75], v[110:111]
	v_add_f64_e32 v[4:5], v[4:5], v[96:97]
	v_add_f64_e32 v[8:9], v[8:9], v[104:105]
	s_wait_loadcnt_dscnt 0x600
	v_mul_f64_e32 v[94:95], v[80:81], v[12:13]
	v_mul_f64_e32 v[12:13], v[82:83], v[12:13]
	v_fmac_f64_e32 v[98:99], v[74:75], v[108:109]
	v_fma_f64 v[96:97], v[72:73], v[108:109], -v[102:103]
	v_add_f64_e32 v[4:5], v[4:5], v[88:89]
	v_add_f64_e32 v[8:9], v[8:9], v[92:93]
	ds_load_b128 v[72:75], v2 offset:768
	ds_load_b128 v[88:91], v2 offset:784
	v_fmac_f64_e32 v[94:95], v[82:83], v[10:11]
	v_fma_f64 v[10:11], v[80:81], v[10:11], -v[12:13]
	s_wait_loadcnt_dscnt 0x501
	v_mul_f64_e32 v[92:93], v[72:73], v[126:127]
	v_mul_f64_e32 v[100:101], v[74:75], v[126:127]
	s_wait_loadcnt_dscnt 0x400
	v_mul_f64_e32 v[12:13], v[88:89], v[70:71]
	v_mul_f64_e32 v[80:81], v[90:91], v[70:71]
	v_add_f64_e32 v[4:5], v[4:5], v[96:97]
	v_add_f64_e32 v[8:9], v[8:9], v[98:99]
	v_fmac_f64_e32 v[92:93], v[74:75], v[124:125]
	v_fma_f64 v[74:75], v[72:73], v[124:125], -v[100:101]
	v_fmac_f64_e32 v[12:13], v[90:91], v[68:69]
	v_fma_f64 v[68:69], v[88:89], v[68:69], -v[80:81]
	v_add_f64_e32 v[4:5], v[4:5], v[10:11]
	v_add_f64_e32 v[82:83], v[8:9], v[94:95]
	ds_load_b128 v[8:11], v2 offset:800
	ds_load_b128 v[70:73], v2 offset:816
	s_wait_loadcnt_dscnt 0x301
	v_mul_f64_e32 v[94:95], v[8:9], v[114:115]
	v_mul_f64_e32 v[96:97], v[10:11], v[114:115]
	s_wait_loadcnt_dscnt 0x200
	v_mul_f64_e32 v[80:81], v[70:71], v[78:79]
	v_mul_f64_e32 v[78:79], v[72:73], v[78:79]
	v_add_f64_e32 v[4:5], v[4:5], v[74:75]
	v_add_f64_e32 v[74:75], v[82:83], v[92:93]
	v_fmac_f64_e32 v[94:95], v[10:11], v[112:113]
	v_fma_f64 v[82:83], v[8:9], v[112:113], -v[96:97]
	v_fmac_f64_e32 v[80:81], v[72:73], v[76:77]
	v_fma_f64 v[70:71], v[70:71], v[76:77], -v[78:79]
	v_add_f64_e32 v[68:69], v[4:5], v[68:69]
	v_add_f64_e32 v[12:13], v[74:75], v[12:13]
	ds_load_b128 v[8:11], v2 offset:832
	ds_load_b128 v[2:5], v2 offset:848
	s_wait_loadcnt_dscnt 0x101
	v_mul_f64_e32 v[74:75], v[8:9], v[122:123]
	v_mul_f64_e32 v[88:89], v[10:11], v[122:123]
	s_wait_loadcnt_dscnt 0x0
	v_mul_f64_e32 v[72:73], v[2:3], v[86:87]
	v_mul_f64_e32 v[76:77], v[4:5], v[86:87]
	v_add_f64_e32 v[68:69], v[68:69], v[82:83]
	v_add_f64_e32 v[12:13], v[12:13], v[94:95]
	v_fmac_f64_e32 v[74:75], v[10:11], v[120:121]
	v_fma_f64 v[8:9], v[8:9], v[120:121], -v[88:89]
	v_fmac_f64_e32 v[72:73], v[4:5], v[84:85]
	v_fma_f64 v[2:3], v[2:3], v[84:85], -v[76:77]
	v_add_f64_e32 v[10:11], v[68:69], v[70:71]
	v_add_f64_e32 v[12:13], v[12:13], v[80:81]
	s_delay_alu instid0(VALU_DEP_2) | instskip(NEXT) | instid1(VALU_DEP_2)
	v_add_f64_e32 v[4:5], v[10:11], v[8:9]
	v_add_f64_e32 v[8:9], v[12:13], v[74:75]
	s_delay_alu instid0(VALU_DEP_2) | instskip(NEXT) | instid1(VALU_DEP_2)
	;; [unrolled: 3-line block ×3, first 2 shown]
	v_add_f64_e64 v[2:3], v[116:117], -v[2:3]
	v_add_f64_e64 v[4:5], v[118:119], -v[4:5]
	scratch_store_b128 off, v[2:5], off offset:128
	s_wait_xcnt 0x0
	v_cmpx_lt_u32_e32 7, v1
	s_cbranch_execz .LBB90_161
; %bb.160:
	scratch_load_b128 v[2:5], off, s36
	v_mov_b32_e32 v8, 0
	s_delay_alu instid0(VALU_DEP_1)
	v_dual_mov_b32 v9, v8 :: v_dual_mov_b32 v10, v8
	v_mov_b32_e32 v11, v8
	scratch_store_b128 off, v[8:11], off offset:112
	s_wait_loadcnt 0x0
	ds_store_b128 v6, v[2:5]
.LBB90_161:
	s_wait_xcnt 0x0
	s_or_b32 exec_lo, exec_lo, s2
	s_wait_storecnt_dscnt 0x0
	s_barrier_signal -1
	s_barrier_wait -1
	s_clause 0x9
	scratch_load_b128 v[8:11], off, off offset:128
	scratch_load_b128 v[68:71], off, off offset:144
	;; [unrolled: 1-line block ×10, first 2 shown]
	v_mov_b32_e32 v2, 0
	s_mov_b32 s2, exec_lo
	ds_load_b128 v[104:107], v2 offset:560
	s_clause 0x2
	scratch_load_b128 v[108:111], off, off offset:288
	scratch_load_b128 v[112:115], off, off offset:112
	;; [unrolled: 1-line block ×3, first 2 shown]
	s_wait_loadcnt_dscnt 0xc00
	v_mul_f64_e32 v[4:5], v[106:107], v[10:11]
	v_mul_f64_e32 v[128:129], v[104:105], v[10:11]
	ds_load_b128 v[116:119], v2 offset:576
	scratch_load_b128 v[10:13], off, off offset:304
	ds_load_b128 v[124:127], v2 offset:608
	v_fma_f64 v[4:5], v[104:105], v[8:9], -v[4:5]
	v_fmac_f64_e32 v[128:129], v[106:107], v[8:9]
	ds_load_b128 v[104:107], v2 offset:592
	s_wait_loadcnt_dscnt 0xc02
	v_mul_f64_e32 v[130:131], v[116:117], v[70:71]
	v_mul_f64_e32 v[70:71], v[118:119], v[70:71]
	s_wait_loadcnt_dscnt 0xb00
	v_mul_f64_e32 v[8:9], v[104:105], v[74:75]
	v_mul_f64_e32 v[74:75], v[106:107], v[74:75]
	v_add_f64_e32 v[4:5], 0, v[4:5]
	v_fmac_f64_e32 v[130:131], v[118:119], v[68:69]
	v_fma_f64 v[116:117], v[116:117], v[68:69], -v[70:71]
	v_add_f64_e32 v[118:119], 0, v[128:129]
	scratch_load_b128 v[68:71], off, off offset:336
	v_fmac_f64_e32 v[8:9], v[106:107], v[72:73]
	v_fma_f64 v[132:133], v[104:105], v[72:73], -v[74:75]
	ds_load_b128 v[72:75], v2 offset:624
	s_wait_loadcnt 0xb
	v_mul_f64_e32 v[128:129], v[124:125], v[78:79]
	v_mul_f64_e32 v[78:79], v[126:127], v[78:79]
	scratch_load_b128 v[104:107], off, off offset:352
	v_add_f64_e32 v[4:5], v[4:5], v[116:117]
	v_add_f64_e32 v[130:131], v[118:119], v[130:131]
	ds_load_b128 v[116:119], v2 offset:640
	s_wait_loadcnt_dscnt 0xb01
	v_mul_f64_e32 v[134:135], v[72:73], v[82:83]
	v_mul_f64_e32 v[82:83], v[74:75], v[82:83]
	v_fmac_f64_e32 v[128:129], v[126:127], v[76:77]
	v_fma_f64 v[124:125], v[124:125], v[76:77], -v[78:79]
	scratch_load_b128 v[76:79], off, off offset:368
	v_add_f64_e32 v[4:5], v[4:5], v[132:133]
	v_add_f64_e32 v[8:9], v[130:131], v[8:9]
	v_fmac_f64_e32 v[134:135], v[74:75], v[80:81]
	v_fma_f64 v[132:133], v[72:73], v[80:81], -v[82:83]
	ds_load_b128 v[72:75], v2 offset:656
	s_wait_loadcnt_dscnt 0xb01
	v_mul_f64_e32 v[130:131], v[116:117], v[86:87]
	v_mul_f64_e32 v[86:87], v[118:119], v[86:87]
	scratch_load_b128 v[80:83], off, off offset:384
	v_add_f64_e32 v[4:5], v[4:5], v[124:125]
	v_add_f64_e32 v[8:9], v[8:9], v[128:129]
	s_wait_loadcnt_dscnt 0xb00
	v_mul_f64_e32 v[128:129], v[72:73], v[90:91]
	v_mul_f64_e32 v[90:91], v[74:75], v[90:91]
	ds_load_b128 v[124:127], v2 offset:672
	v_fmac_f64_e32 v[130:131], v[118:119], v[84:85]
	v_fma_f64 v[116:117], v[116:117], v[84:85], -v[86:87]
	scratch_load_b128 v[84:87], off, off offset:400
	v_add_f64_e32 v[4:5], v[4:5], v[132:133]
	v_add_f64_e32 v[8:9], v[8:9], v[134:135]
	v_fmac_f64_e32 v[128:129], v[74:75], v[88:89]
	v_fma_f64 v[134:135], v[72:73], v[88:89], -v[90:91]
	ds_load_b128 v[72:75], v2 offset:688
	s_wait_loadcnt_dscnt 0xb01
	v_mul_f64_e32 v[132:133], v[124:125], v[94:95]
	v_mul_f64_e32 v[94:95], v[126:127], v[94:95]
	scratch_load_b128 v[88:91], off, off offset:416
	v_add_f64_e32 v[4:5], v[4:5], v[116:117]
	v_add_f64_e32 v[8:9], v[8:9], v[130:131]
	s_wait_loadcnt_dscnt 0xb00
	v_mul_f64_e32 v[130:131], v[72:73], v[98:99]
	v_mul_f64_e32 v[98:99], v[74:75], v[98:99]
	ds_load_b128 v[116:119], v2 offset:704
	v_fmac_f64_e32 v[132:133], v[126:127], v[92:93]
	v_fma_f64 v[92:93], v[124:125], v[92:93], -v[94:95]
	s_wait_loadcnt_dscnt 0xa00
	v_mul_f64_e32 v[124:125], v[116:117], v[102:103]
	v_mul_f64_e32 v[102:103], v[118:119], v[102:103]
	v_add_f64_e32 v[4:5], v[4:5], v[134:135]
	v_add_f64_e32 v[8:9], v[8:9], v[128:129]
	v_fmac_f64_e32 v[130:131], v[74:75], v[96:97]
	v_fma_f64 v[96:97], v[72:73], v[96:97], -v[98:99]
	v_fmac_f64_e32 v[124:125], v[118:119], v[100:101]
	v_fma_f64 v[100:101], v[116:117], v[100:101], -v[102:103]
	v_add_f64_e32 v[4:5], v[4:5], v[92:93]
	v_add_f64_e32 v[8:9], v[8:9], v[132:133]
	ds_load_b128 v[72:75], v2 offset:720
	ds_load_b128 v[92:95], v2 offset:736
	s_wait_loadcnt_dscnt 0x901
	v_mul_f64_e32 v[126:127], v[72:73], v[110:111]
	v_mul_f64_e32 v[98:99], v[74:75], v[110:111]
	s_wait_loadcnt_dscnt 0x600
	v_mul_f64_e32 v[102:103], v[92:93], v[12:13]
	v_add_f64_e32 v[4:5], v[4:5], v[96:97]
	v_add_f64_e32 v[8:9], v[8:9], v[130:131]
	v_mul_f64_e32 v[12:13], v[94:95], v[12:13]
	v_fmac_f64_e32 v[126:127], v[74:75], v[108:109]
	v_fma_f64 v[108:109], v[72:73], v[108:109], -v[98:99]
	ds_load_b128 v[72:75], v2 offset:752
	ds_load_b128 v[96:99], v2 offset:768
	v_fmac_f64_e32 v[102:103], v[94:95], v[10:11]
	v_add_f64_e32 v[4:5], v[4:5], v[100:101]
	v_add_f64_e32 v[8:9], v[8:9], v[124:125]
	v_fma_f64 v[10:11], v[92:93], v[10:11], -v[12:13]
	s_wait_dscnt 0x1
	v_mul_f64_e32 v[100:101], v[72:73], v[122:123]
	v_mul_f64_e32 v[110:111], v[74:75], v[122:123]
	v_add_f64_e32 v[4:5], v[4:5], v[108:109]
	v_add_f64_e32 v[8:9], v[8:9], v[126:127]
	s_wait_loadcnt_dscnt 0x500
	v_mul_f64_e32 v[12:13], v[96:97], v[70:71]
	v_mul_f64_e32 v[92:93], v[98:99], v[70:71]
	v_fmac_f64_e32 v[100:101], v[74:75], v[120:121]
	v_fma_f64 v[74:75], v[72:73], v[120:121], -v[110:111]
	v_add_f64_e32 v[4:5], v[4:5], v[10:11]
	v_add_f64_e32 v[94:95], v[8:9], v[102:103]
	ds_load_b128 v[8:11], v2 offset:784
	ds_load_b128 v[70:73], v2 offset:800
	v_fmac_f64_e32 v[12:13], v[98:99], v[68:69]
	v_fma_f64 v[68:69], v[96:97], v[68:69], -v[92:93]
	s_wait_loadcnt_dscnt 0x401
	v_mul_f64_e32 v[102:103], v[8:9], v[106:107]
	v_mul_f64_e32 v[106:107], v[10:11], v[106:107]
	s_wait_loadcnt_dscnt 0x300
	v_mul_f64_e32 v[96:97], v[70:71], v[78:79]
	v_mul_f64_e32 v[78:79], v[72:73], v[78:79]
	v_add_f64_e32 v[4:5], v[4:5], v[74:75]
	v_add_f64_e32 v[74:75], v[94:95], v[100:101]
	v_fmac_f64_e32 v[102:103], v[10:11], v[104:105]
	v_fma_f64 v[98:99], v[8:9], v[104:105], -v[106:107]
	ds_load_b128 v[8:11], v2 offset:816
	ds_load_b128 v[92:95], v2 offset:832
	v_fmac_f64_e32 v[96:97], v[72:73], v[76:77]
	v_fma_f64 v[70:71], v[70:71], v[76:77], -v[78:79]
	v_add_f64_e32 v[4:5], v[4:5], v[68:69]
	v_add_f64_e32 v[12:13], v[74:75], v[12:13]
	s_wait_loadcnt_dscnt 0x201
	v_mul_f64_e32 v[68:69], v[8:9], v[82:83]
	v_mul_f64_e32 v[74:75], v[10:11], v[82:83]
	s_wait_loadcnt_dscnt 0x100
	v_mul_f64_e32 v[72:73], v[92:93], v[86:87]
	v_mul_f64_e32 v[76:77], v[94:95], v[86:87]
	v_add_f64_e32 v[4:5], v[4:5], v[98:99]
	v_add_f64_e32 v[12:13], v[12:13], v[102:103]
	v_fmac_f64_e32 v[68:69], v[10:11], v[80:81]
	v_fma_f64 v[74:75], v[8:9], v[80:81], -v[74:75]
	ds_load_b128 v[8:11], v2 offset:848
	v_fmac_f64_e32 v[72:73], v[94:95], v[84:85]
	v_fma_f64 v[76:77], v[92:93], v[84:85], -v[76:77]
	s_wait_loadcnt_dscnt 0x0
	v_mul_f64_e32 v[78:79], v[10:11], v[90:91]
	v_add_f64_e32 v[4:5], v[4:5], v[70:71]
	v_add_f64_e32 v[12:13], v[12:13], v[96:97]
	v_mul_f64_e32 v[70:71], v[8:9], v[90:91]
	s_delay_alu instid0(VALU_DEP_4) | instskip(NEXT) | instid1(VALU_DEP_4)
	v_fma_f64 v[8:9], v[8:9], v[88:89], -v[78:79]
	v_add_f64_e32 v[4:5], v[4:5], v[74:75]
	s_delay_alu instid0(VALU_DEP_4) | instskip(NEXT) | instid1(VALU_DEP_4)
	v_add_f64_e32 v[12:13], v[12:13], v[68:69]
	v_fmac_f64_e32 v[70:71], v[10:11], v[88:89]
	s_delay_alu instid0(VALU_DEP_3) | instskip(NEXT) | instid1(VALU_DEP_3)
	v_add_f64_e32 v[4:5], v[4:5], v[76:77]
	v_add_f64_e32 v[10:11], v[12:13], v[72:73]
	s_delay_alu instid0(VALU_DEP_2) | instskip(NEXT) | instid1(VALU_DEP_2)
	v_add_f64_e32 v[4:5], v[4:5], v[8:9]
	v_add_f64_e32 v[10:11], v[10:11], v[70:71]
	s_delay_alu instid0(VALU_DEP_2) | instskip(NEXT) | instid1(VALU_DEP_2)
	v_add_f64_e64 v[8:9], v[112:113], -v[4:5]
	v_add_f64_e64 v[10:11], v[114:115], -v[10:11]
	scratch_store_b128 off, v[8:11], off offset:112
	s_wait_xcnt 0x0
	v_cmpx_lt_u32_e32 6, v1
	s_cbranch_execz .LBB90_163
; %bb.162:
	scratch_load_b128 v[8:11], off, s37
	v_dual_mov_b32 v3, v2 :: v_dual_mov_b32 v4, v2
	v_mov_b32_e32 v5, v2
	scratch_store_b128 off, v[2:5], off offset:96
	s_wait_loadcnt 0x0
	ds_store_b128 v6, v[8:11]
.LBB90_163:
	s_wait_xcnt 0x0
	s_or_b32 exec_lo, exec_lo, s2
	s_wait_storecnt_dscnt 0x0
	s_barrier_signal -1
	s_barrier_wait -1
	s_clause 0x9
	scratch_load_b128 v[8:11], off, off offset:112
	scratch_load_b128 v[68:71], off, off offset:128
	scratch_load_b128 v[72:75], off, off offset:144
	scratch_load_b128 v[76:79], off, off offset:160
	scratch_load_b128 v[80:83], off, off offset:176
	scratch_load_b128 v[84:87], off, off offset:192
	scratch_load_b128 v[88:91], off, off offset:208
	scratch_load_b128 v[92:95], off, off offset:224
	scratch_load_b128 v[96:99], off, off offset:240
	scratch_load_b128 v[100:103], off, off offset:256
	ds_load_b128 v[104:107], v2 offset:544
	ds_load_b128 v[112:115], v2 offset:560
	s_clause 0x1
	scratch_load_b128 v[108:111], off, off offset:272
	scratch_load_b128 v[116:119], off, off offset:96
	s_mov_b32 s2, exec_lo
	s_wait_loadcnt_dscnt 0xb01
	v_mul_f64_e32 v[4:5], v[106:107], v[10:11]
	v_mul_f64_e32 v[128:129], v[104:105], v[10:11]
	scratch_load_b128 v[10:13], off, off offset:288
	s_wait_loadcnt_dscnt 0xb00
	v_mul_f64_e32 v[130:131], v[112:113], v[70:71]
	v_mul_f64_e32 v[70:71], v[114:115], v[70:71]
	v_fma_f64 v[4:5], v[104:105], v[8:9], -v[4:5]
	v_fmac_f64_e32 v[128:129], v[106:107], v[8:9]
	ds_load_b128 v[104:107], v2 offset:576
	ds_load_b128 v[120:123], v2 offset:592
	scratch_load_b128 v[124:127], off, off offset:304
	v_fmac_f64_e32 v[130:131], v[114:115], v[68:69]
	v_fma_f64 v[112:113], v[112:113], v[68:69], -v[70:71]
	scratch_load_b128 v[68:71], off, off offset:320
	s_wait_loadcnt_dscnt 0xc01
	v_mul_f64_e32 v[8:9], v[104:105], v[74:75]
	v_mul_f64_e32 v[74:75], v[106:107], v[74:75]
	v_add_f64_e32 v[4:5], 0, v[4:5]
	v_add_f64_e32 v[114:115], 0, v[128:129]
	s_wait_loadcnt_dscnt 0xb00
	v_mul_f64_e32 v[128:129], v[120:121], v[78:79]
	v_mul_f64_e32 v[78:79], v[122:123], v[78:79]
	v_fmac_f64_e32 v[8:9], v[106:107], v[72:73]
	v_fma_f64 v[132:133], v[104:105], v[72:73], -v[74:75]
	ds_load_b128 v[72:75], v2 offset:608
	ds_load_b128 v[104:107], v2 offset:624
	v_add_f64_e32 v[4:5], v[4:5], v[112:113]
	v_add_f64_e32 v[130:131], v[114:115], v[130:131]
	scratch_load_b128 v[112:115], off, off offset:336
	v_fmac_f64_e32 v[128:129], v[122:123], v[76:77]
	v_fma_f64 v[120:121], v[120:121], v[76:77], -v[78:79]
	scratch_load_b128 v[76:79], off, off offset:352
	s_wait_loadcnt_dscnt 0xc01
	v_mul_f64_e32 v[134:135], v[72:73], v[82:83]
	v_mul_f64_e32 v[82:83], v[74:75], v[82:83]
	v_add_f64_e32 v[4:5], v[4:5], v[132:133]
	v_add_f64_e32 v[8:9], v[130:131], v[8:9]
	s_wait_loadcnt_dscnt 0xb00
	v_mul_f64_e32 v[130:131], v[104:105], v[86:87]
	v_mul_f64_e32 v[86:87], v[106:107], v[86:87]
	v_fmac_f64_e32 v[134:135], v[74:75], v[80:81]
	v_fma_f64 v[132:133], v[72:73], v[80:81], -v[82:83]
	ds_load_b128 v[72:75], v2 offset:640
	ds_load_b128 v[80:83], v2 offset:656
	v_add_f64_e32 v[4:5], v[4:5], v[120:121]
	v_add_f64_e32 v[8:9], v[8:9], v[128:129]
	scratch_load_b128 v[120:123], off, off offset:368
	s_wait_loadcnt_dscnt 0xb01
	v_mul_f64_e32 v[128:129], v[72:73], v[90:91]
	v_mul_f64_e32 v[90:91], v[74:75], v[90:91]
	v_fmac_f64_e32 v[130:131], v[106:107], v[84:85]
	v_fma_f64 v[104:105], v[104:105], v[84:85], -v[86:87]
	scratch_load_b128 v[84:87], off, off offset:384
	v_add_f64_e32 v[4:5], v[4:5], v[132:133]
	v_add_f64_e32 v[8:9], v[8:9], v[134:135]
	s_wait_loadcnt_dscnt 0xb00
	v_mul_f64_e32 v[132:133], v[80:81], v[94:95]
	v_mul_f64_e32 v[94:95], v[82:83], v[94:95]
	v_fmac_f64_e32 v[128:129], v[74:75], v[88:89]
	v_fma_f64 v[134:135], v[72:73], v[88:89], -v[90:91]
	ds_load_b128 v[72:75], v2 offset:672
	ds_load_b128 v[88:91], v2 offset:688
	v_add_f64_e32 v[4:5], v[4:5], v[104:105]
	v_add_f64_e32 v[8:9], v[8:9], v[130:131]
	scratch_load_b128 v[104:107], off, off offset:400
	s_wait_loadcnt_dscnt 0xb01
	v_mul_f64_e32 v[130:131], v[72:73], v[98:99]
	v_mul_f64_e32 v[98:99], v[74:75], v[98:99]
	v_fmac_f64_e32 v[132:133], v[82:83], v[92:93]
	v_fma_f64 v[92:93], v[80:81], v[92:93], -v[94:95]
	scratch_load_b128 v[80:83], off, off offset:416
	v_add_f64_e32 v[4:5], v[4:5], v[134:135]
	v_add_f64_e32 v[8:9], v[8:9], v[128:129]
	s_wait_loadcnt_dscnt 0xb00
	v_mul_f64_e32 v[128:129], v[88:89], v[102:103]
	v_mul_f64_e32 v[102:103], v[90:91], v[102:103]
	v_fmac_f64_e32 v[130:131], v[74:75], v[96:97]
	v_fma_f64 v[96:97], v[72:73], v[96:97], -v[98:99]
	v_add_f64_e32 v[4:5], v[4:5], v[92:93]
	v_add_f64_e32 v[8:9], v[8:9], v[132:133]
	ds_load_b128 v[72:75], v2 offset:704
	ds_load_b128 v[92:95], v2 offset:720
	v_fmac_f64_e32 v[128:129], v[90:91], v[100:101]
	v_fma_f64 v[88:89], v[88:89], v[100:101], -v[102:103]
	s_wait_loadcnt_dscnt 0xa01
	v_mul_f64_e32 v[98:99], v[72:73], v[110:111]
	v_mul_f64_e32 v[110:111], v[74:75], v[110:111]
	v_add_f64_e32 v[4:5], v[4:5], v[96:97]
	v_add_f64_e32 v[8:9], v[8:9], v[130:131]
	s_wait_loadcnt_dscnt 0x800
	v_mul_f64_e32 v[96:97], v[92:93], v[12:13]
	v_mul_f64_e32 v[12:13], v[94:95], v[12:13]
	v_fmac_f64_e32 v[98:99], v[74:75], v[108:109]
	v_fma_f64 v[100:101], v[72:73], v[108:109], -v[110:111]
	v_add_f64_e32 v[4:5], v[4:5], v[88:89]
	v_add_f64_e32 v[8:9], v[8:9], v[128:129]
	ds_load_b128 v[72:75], v2 offset:736
	ds_load_b128 v[88:91], v2 offset:752
	v_fmac_f64_e32 v[96:97], v[94:95], v[10:11]
	v_fma_f64 v[10:11], v[92:93], v[10:11], -v[12:13]
	s_wait_loadcnt_dscnt 0x701
	v_mul_f64_e32 v[102:103], v[72:73], v[126:127]
	v_mul_f64_e32 v[108:109], v[74:75], v[126:127]
	s_wait_loadcnt_dscnt 0x600
	v_mul_f64_e32 v[12:13], v[88:89], v[70:71]
	v_mul_f64_e32 v[92:93], v[90:91], v[70:71]
	v_add_f64_e32 v[4:5], v[4:5], v[100:101]
	v_add_f64_e32 v[8:9], v[8:9], v[98:99]
	v_fmac_f64_e32 v[102:103], v[74:75], v[124:125]
	v_fma_f64 v[74:75], v[72:73], v[124:125], -v[108:109]
	v_fmac_f64_e32 v[12:13], v[90:91], v[68:69]
	v_fma_f64 v[68:69], v[88:89], v[68:69], -v[92:93]
	v_add_f64_e32 v[4:5], v[4:5], v[10:11]
	v_add_f64_e32 v[94:95], v[8:9], v[96:97]
	ds_load_b128 v[8:11], v2 offset:768
	ds_load_b128 v[70:73], v2 offset:784
	s_wait_loadcnt_dscnt 0x501
	v_mul_f64_e32 v[96:97], v[8:9], v[114:115]
	v_mul_f64_e32 v[98:99], v[10:11], v[114:115]
	s_wait_loadcnt_dscnt 0x400
	v_mul_f64_e32 v[92:93], v[70:71], v[78:79]
	v_mul_f64_e32 v[78:79], v[72:73], v[78:79]
	v_add_f64_e32 v[4:5], v[4:5], v[74:75]
	v_add_f64_e32 v[74:75], v[94:95], v[102:103]
	v_fmac_f64_e32 v[96:97], v[10:11], v[112:113]
	v_fma_f64 v[94:95], v[8:9], v[112:113], -v[98:99]
	ds_load_b128 v[8:11], v2 offset:800
	ds_load_b128 v[88:91], v2 offset:816
	v_fmac_f64_e32 v[92:93], v[72:73], v[76:77]
	v_fma_f64 v[70:71], v[70:71], v[76:77], -v[78:79]
	v_add_f64_e32 v[4:5], v[4:5], v[68:69]
	v_add_f64_e32 v[12:13], v[74:75], v[12:13]
	s_wait_loadcnt_dscnt 0x301
	v_mul_f64_e32 v[68:69], v[8:9], v[122:123]
	v_mul_f64_e32 v[74:75], v[10:11], v[122:123]
	s_wait_loadcnt_dscnt 0x200
	v_mul_f64_e32 v[72:73], v[88:89], v[86:87]
	v_mul_f64_e32 v[76:77], v[90:91], v[86:87]
	v_add_f64_e32 v[4:5], v[4:5], v[94:95]
	v_add_f64_e32 v[12:13], v[12:13], v[96:97]
	v_fmac_f64_e32 v[68:69], v[10:11], v[120:121]
	v_fma_f64 v[74:75], v[8:9], v[120:121], -v[74:75]
	v_fmac_f64_e32 v[72:73], v[90:91], v[84:85]
	v_fma_f64 v[76:77], v[88:89], v[84:85], -v[76:77]
	v_add_f64_e32 v[70:71], v[4:5], v[70:71]
	v_add_f64_e32 v[12:13], v[12:13], v[92:93]
	ds_load_b128 v[8:11], v2 offset:832
	ds_load_b128 v[2:5], v2 offset:848
	s_wait_loadcnt_dscnt 0x101
	v_mul_f64_e32 v[78:79], v[8:9], v[106:107]
	v_mul_f64_e32 v[86:87], v[10:11], v[106:107]
	v_add_f64_e32 v[70:71], v[70:71], v[74:75]
	v_add_f64_e32 v[12:13], v[12:13], v[68:69]
	s_wait_loadcnt_dscnt 0x0
	v_mul_f64_e32 v[68:69], v[2:3], v[82:83]
	v_mul_f64_e32 v[74:75], v[4:5], v[82:83]
	v_fmac_f64_e32 v[78:79], v[10:11], v[104:105]
	v_fma_f64 v[8:9], v[8:9], v[104:105], -v[86:87]
	v_add_f64_e32 v[10:11], v[70:71], v[76:77]
	v_add_f64_e32 v[12:13], v[12:13], v[72:73]
	v_fmac_f64_e32 v[68:69], v[4:5], v[80:81]
	v_fma_f64 v[2:3], v[2:3], v[80:81], -v[74:75]
	s_delay_alu instid0(VALU_DEP_4) | instskip(NEXT) | instid1(VALU_DEP_4)
	v_add_f64_e32 v[4:5], v[10:11], v[8:9]
	v_add_f64_e32 v[8:9], v[12:13], v[78:79]
	s_delay_alu instid0(VALU_DEP_2) | instskip(NEXT) | instid1(VALU_DEP_2)
	v_add_f64_e32 v[2:3], v[4:5], v[2:3]
	v_add_f64_e32 v[4:5], v[8:9], v[68:69]
	s_delay_alu instid0(VALU_DEP_2) | instskip(NEXT) | instid1(VALU_DEP_2)
	v_add_f64_e64 v[2:3], v[116:117], -v[2:3]
	v_add_f64_e64 v[4:5], v[118:119], -v[4:5]
	scratch_store_b128 off, v[2:5], off offset:96
	s_wait_xcnt 0x0
	v_cmpx_lt_u32_e32 5, v1
	s_cbranch_execz .LBB90_165
; %bb.164:
	scratch_load_b128 v[2:5], off, s38
	v_mov_b32_e32 v8, 0
	s_delay_alu instid0(VALU_DEP_1)
	v_dual_mov_b32 v9, v8 :: v_dual_mov_b32 v10, v8
	v_mov_b32_e32 v11, v8
	scratch_store_b128 off, v[8:11], off offset:80
	s_wait_loadcnt 0x0
	ds_store_b128 v6, v[2:5]
.LBB90_165:
	s_wait_xcnt 0x0
	s_or_b32 exec_lo, exec_lo, s2
	s_wait_storecnt_dscnt 0x0
	s_barrier_signal -1
	s_barrier_wait -1
	s_clause 0x9
	scratch_load_b128 v[8:11], off, off offset:96
	scratch_load_b128 v[68:71], off, off offset:112
	;; [unrolled: 1-line block ×10, first 2 shown]
	v_mov_b32_e32 v2, 0
	s_mov_b32 s2, exec_lo
	ds_load_b128 v[104:107], v2 offset:528
	s_clause 0x2
	scratch_load_b128 v[108:111], off, off offset:256
	scratch_load_b128 v[112:115], off, off offset:80
	;; [unrolled: 1-line block ×3, first 2 shown]
	s_wait_loadcnt_dscnt 0xc00
	v_mul_f64_e32 v[4:5], v[106:107], v[10:11]
	v_mul_f64_e32 v[128:129], v[104:105], v[10:11]
	ds_load_b128 v[116:119], v2 offset:544
	scratch_load_b128 v[10:13], off, off offset:272
	ds_load_b128 v[124:127], v2 offset:576
	v_fma_f64 v[4:5], v[104:105], v[8:9], -v[4:5]
	v_fmac_f64_e32 v[128:129], v[106:107], v[8:9]
	ds_load_b128 v[104:107], v2 offset:560
	s_wait_loadcnt_dscnt 0xc02
	v_mul_f64_e32 v[130:131], v[116:117], v[70:71]
	v_mul_f64_e32 v[70:71], v[118:119], v[70:71]
	s_wait_loadcnt_dscnt 0xb00
	v_mul_f64_e32 v[8:9], v[104:105], v[74:75]
	v_mul_f64_e32 v[74:75], v[106:107], v[74:75]
	v_add_f64_e32 v[4:5], 0, v[4:5]
	v_fmac_f64_e32 v[130:131], v[118:119], v[68:69]
	v_fma_f64 v[116:117], v[116:117], v[68:69], -v[70:71]
	v_add_f64_e32 v[118:119], 0, v[128:129]
	scratch_load_b128 v[68:71], off, off offset:304
	v_fmac_f64_e32 v[8:9], v[106:107], v[72:73]
	v_fma_f64 v[132:133], v[104:105], v[72:73], -v[74:75]
	ds_load_b128 v[72:75], v2 offset:592
	s_wait_loadcnt 0xb
	v_mul_f64_e32 v[128:129], v[124:125], v[78:79]
	v_mul_f64_e32 v[78:79], v[126:127], v[78:79]
	scratch_load_b128 v[104:107], off, off offset:320
	v_add_f64_e32 v[4:5], v[4:5], v[116:117]
	v_add_f64_e32 v[130:131], v[118:119], v[130:131]
	ds_load_b128 v[116:119], v2 offset:608
	s_wait_loadcnt_dscnt 0xb01
	v_mul_f64_e32 v[134:135], v[72:73], v[82:83]
	v_mul_f64_e32 v[82:83], v[74:75], v[82:83]
	v_fmac_f64_e32 v[128:129], v[126:127], v[76:77]
	v_fma_f64 v[124:125], v[124:125], v[76:77], -v[78:79]
	scratch_load_b128 v[76:79], off, off offset:336
	v_add_f64_e32 v[4:5], v[4:5], v[132:133]
	v_add_f64_e32 v[8:9], v[130:131], v[8:9]
	v_fmac_f64_e32 v[134:135], v[74:75], v[80:81]
	v_fma_f64 v[132:133], v[72:73], v[80:81], -v[82:83]
	ds_load_b128 v[72:75], v2 offset:624
	s_wait_loadcnt_dscnt 0xb01
	v_mul_f64_e32 v[130:131], v[116:117], v[86:87]
	v_mul_f64_e32 v[86:87], v[118:119], v[86:87]
	scratch_load_b128 v[80:83], off, off offset:352
	v_add_f64_e32 v[4:5], v[4:5], v[124:125]
	v_add_f64_e32 v[8:9], v[8:9], v[128:129]
	s_wait_loadcnt_dscnt 0xb00
	v_mul_f64_e32 v[128:129], v[72:73], v[90:91]
	v_mul_f64_e32 v[90:91], v[74:75], v[90:91]
	ds_load_b128 v[124:127], v2 offset:640
	v_fmac_f64_e32 v[130:131], v[118:119], v[84:85]
	v_fma_f64 v[116:117], v[116:117], v[84:85], -v[86:87]
	scratch_load_b128 v[84:87], off, off offset:368
	v_add_f64_e32 v[4:5], v[4:5], v[132:133]
	v_add_f64_e32 v[8:9], v[8:9], v[134:135]
	v_fmac_f64_e32 v[128:129], v[74:75], v[88:89]
	v_fma_f64 v[134:135], v[72:73], v[88:89], -v[90:91]
	ds_load_b128 v[72:75], v2 offset:656
	s_wait_loadcnt_dscnt 0xb01
	v_mul_f64_e32 v[132:133], v[124:125], v[94:95]
	v_mul_f64_e32 v[94:95], v[126:127], v[94:95]
	scratch_load_b128 v[88:91], off, off offset:384
	v_add_f64_e32 v[4:5], v[4:5], v[116:117]
	v_add_f64_e32 v[8:9], v[8:9], v[130:131]
	s_wait_loadcnt_dscnt 0xb00
	v_mul_f64_e32 v[130:131], v[72:73], v[98:99]
	v_mul_f64_e32 v[98:99], v[74:75], v[98:99]
	ds_load_b128 v[116:119], v2 offset:672
	;; [unrolled: 18-line block ×3, first 2 shown]
	v_fmac_f64_e32 v[128:129], v[118:119], v[100:101]
	v_fma_f64 v[100:101], v[116:117], v[100:101], -v[102:103]
	s_wait_loadcnt_dscnt 0x800
	v_mul_f64_e32 v[116:117], v[124:125], v[12:13]
	v_add_f64_e32 v[4:5], v[4:5], v[134:135]
	v_add_f64_e32 v[8:9], v[8:9], v[130:131]
	v_mul_f64_e32 v[12:13], v[126:127], v[12:13]
	v_fmac_f64_e32 v[132:133], v[74:75], v[108:109]
	v_fma_f64 v[108:109], v[72:73], v[108:109], -v[110:111]
	v_fmac_f64_e32 v[116:117], v[126:127], v[10:11]
	v_add_f64_e32 v[4:5], v[4:5], v[100:101]
	v_add_f64_e32 v[8:9], v[8:9], v[128:129]
	ds_load_b128 v[72:75], v2 offset:720
	ds_load_b128 v[100:103], v2 offset:736
	v_fma_f64 v[10:11], v[124:125], v[10:11], -v[12:13]
	s_wait_dscnt 0x1
	v_mul_f64_e32 v[110:111], v[72:73], v[122:123]
	v_mul_f64_e32 v[118:119], v[74:75], v[122:123]
	v_add_f64_e32 v[4:5], v[4:5], v[108:109]
	v_add_f64_e32 v[8:9], v[8:9], v[132:133]
	s_wait_loadcnt_dscnt 0x700
	v_mul_f64_e32 v[12:13], v[100:101], v[70:71]
	v_mul_f64_e32 v[108:109], v[102:103], v[70:71]
	v_fmac_f64_e32 v[110:111], v[74:75], v[120:121]
	v_fma_f64 v[74:75], v[72:73], v[120:121], -v[118:119]
	v_add_f64_e32 v[4:5], v[4:5], v[10:11]
	v_add_f64_e32 v[116:117], v[8:9], v[116:117]
	ds_load_b128 v[8:11], v2 offset:752
	ds_load_b128 v[70:73], v2 offset:768
	v_fmac_f64_e32 v[12:13], v[102:103], v[68:69]
	v_fma_f64 v[68:69], v[100:101], v[68:69], -v[108:109]
	s_wait_loadcnt_dscnt 0x601
	v_mul_f64_e32 v[118:119], v[8:9], v[106:107]
	v_mul_f64_e32 v[106:107], v[10:11], v[106:107]
	s_wait_loadcnt_dscnt 0x500
	v_mul_f64_e32 v[108:109], v[70:71], v[78:79]
	v_mul_f64_e32 v[78:79], v[72:73], v[78:79]
	v_add_f64_e32 v[4:5], v[4:5], v[74:75]
	v_add_f64_e32 v[74:75], v[116:117], v[110:111]
	v_fmac_f64_e32 v[118:119], v[10:11], v[104:105]
	v_fma_f64 v[104:105], v[8:9], v[104:105], -v[106:107]
	ds_load_b128 v[8:11], v2 offset:784
	ds_load_b128 v[100:103], v2 offset:800
	v_fmac_f64_e32 v[108:109], v[72:73], v[76:77]
	v_fma_f64 v[70:71], v[70:71], v[76:77], -v[78:79]
	v_add_f64_e32 v[4:5], v[4:5], v[68:69]
	v_add_f64_e32 v[12:13], v[74:75], v[12:13]
	s_wait_loadcnt_dscnt 0x401
	v_mul_f64_e32 v[74:75], v[8:9], v[82:83]
	v_mul_f64_e32 v[68:69], v[10:11], v[82:83]
	s_wait_loadcnt_dscnt 0x300
	v_mul_f64_e32 v[72:73], v[100:101], v[86:87]
	v_mul_f64_e32 v[76:77], v[102:103], v[86:87]
	v_add_f64_e32 v[4:5], v[4:5], v[104:105]
	v_add_f64_e32 v[12:13], v[12:13], v[118:119]
	v_fmac_f64_e32 v[74:75], v[10:11], v[80:81]
	v_fma_f64 v[78:79], v[8:9], v[80:81], -v[68:69]
	v_fmac_f64_e32 v[72:73], v[102:103], v[84:85]
	v_fma_f64 v[76:77], v[100:101], v[84:85], -v[76:77]
	v_add_f64_e32 v[4:5], v[4:5], v[70:71]
	v_add_f64_e32 v[12:13], v[12:13], v[108:109]
	ds_load_b128 v[8:11], v2 offset:816
	ds_load_b128 v[68:71], v2 offset:832
	s_wait_loadcnt_dscnt 0x201
	v_mul_f64_e32 v[80:81], v[8:9], v[90:91]
	v_mul_f64_e32 v[82:83], v[10:11], v[90:91]
	v_add_f64_e32 v[4:5], v[4:5], v[78:79]
	v_add_f64_e32 v[12:13], v[12:13], v[74:75]
	s_wait_loadcnt_dscnt 0x100
	v_mul_f64_e32 v[74:75], v[68:69], v[94:95]
	v_mul_f64_e32 v[78:79], v[70:71], v[94:95]
	v_fmac_f64_e32 v[80:81], v[10:11], v[88:89]
	v_fma_f64 v[82:83], v[8:9], v[88:89], -v[82:83]
	ds_load_b128 v[8:11], v2 offset:848
	v_add_f64_e32 v[4:5], v[4:5], v[76:77]
	v_add_f64_e32 v[12:13], v[12:13], v[72:73]
	v_fmac_f64_e32 v[74:75], v[70:71], v[92:93]
	v_fma_f64 v[68:69], v[68:69], v[92:93], -v[78:79]
	s_wait_loadcnt_dscnt 0x0
	v_mul_f64_e32 v[72:73], v[8:9], v[98:99]
	v_mul_f64_e32 v[76:77], v[10:11], v[98:99]
	v_add_f64_e32 v[4:5], v[4:5], v[82:83]
	v_add_f64_e32 v[12:13], v[12:13], v[80:81]
	s_delay_alu instid0(VALU_DEP_4) | instskip(NEXT) | instid1(VALU_DEP_4)
	v_fmac_f64_e32 v[72:73], v[10:11], v[96:97]
	v_fma_f64 v[8:9], v[8:9], v[96:97], -v[76:77]
	s_delay_alu instid0(VALU_DEP_4) | instskip(NEXT) | instid1(VALU_DEP_4)
	v_add_f64_e32 v[4:5], v[4:5], v[68:69]
	v_add_f64_e32 v[10:11], v[12:13], v[74:75]
	s_delay_alu instid0(VALU_DEP_2) | instskip(NEXT) | instid1(VALU_DEP_2)
	v_add_f64_e32 v[4:5], v[4:5], v[8:9]
	v_add_f64_e32 v[10:11], v[10:11], v[72:73]
	s_delay_alu instid0(VALU_DEP_2) | instskip(NEXT) | instid1(VALU_DEP_2)
	v_add_f64_e64 v[8:9], v[112:113], -v[4:5]
	v_add_f64_e64 v[10:11], v[114:115], -v[10:11]
	scratch_store_b128 off, v[8:11], off offset:80
	s_wait_xcnt 0x0
	v_cmpx_lt_u32_e32 4, v1
	s_cbranch_execz .LBB90_167
; %bb.166:
	scratch_load_b128 v[8:11], off, s12
	v_dual_mov_b32 v3, v2 :: v_dual_mov_b32 v4, v2
	v_mov_b32_e32 v5, v2
	scratch_store_b128 off, v[2:5], off offset:64
	s_wait_loadcnt 0x0
	ds_store_b128 v6, v[8:11]
.LBB90_167:
	s_wait_xcnt 0x0
	s_or_b32 exec_lo, exec_lo, s2
	s_wait_storecnt_dscnt 0x0
	s_barrier_signal -1
	s_barrier_wait -1
	s_clause 0x9
	scratch_load_b128 v[8:11], off, off offset:80
	scratch_load_b128 v[68:71], off, off offset:96
	;; [unrolled: 1-line block ×10, first 2 shown]
	ds_load_b128 v[104:107], v2 offset:512
	ds_load_b128 v[112:115], v2 offset:528
	s_clause 0x1
	scratch_load_b128 v[108:111], off, off offset:240
	scratch_load_b128 v[116:119], off, off offset:64
	s_mov_b32 s2, exec_lo
	s_wait_loadcnt_dscnt 0xb01
	v_mul_f64_e32 v[4:5], v[106:107], v[10:11]
	v_mul_f64_e32 v[128:129], v[104:105], v[10:11]
	scratch_load_b128 v[10:13], off, off offset:256
	s_wait_loadcnt_dscnt 0xb00
	v_mul_f64_e32 v[130:131], v[112:113], v[70:71]
	v_mul_f64_e32 v[70:71], v[114:115], v[70:71]
	v_fma_f64 v[4:5], v[104:105], v[8:9], -v[4:5]
	v_fmac_f64_e32 v[128:129], v[106:107], v[8:9]
	ds_load_b128 v[104:107], v2 offset:544
	ds_load_b128 v[120:123], v2 offset:560
	scratch_load_b128 v[124:127], off, off offset:272
	v_fmac_f64_e32 v[130:131], v[114:115], v[68:69]
	v_fma_f64 v[112:113], v[112:113], v[68:69], -v[70:71]
	scratch_load_b128 v[68:71], off, off offset:288
	s_wait_loadcnt_dscnt 0xc01
	v_mul_f64_e32 v[8:9], v[104:105], v[74:75]
	v_mul_f64_e32 v[74:75], v[106:107], v[74:75]
	v_add_f64_e32 v[4:5], 0, v[4:5]
	v_add_f64_e32 v[114:115], 0, v[128:129]
	s_wait_loadcnt_dscnt 0xb00
	v_mul_f64_e32 v[128:129], v[120:121], v[78:79]
	v_mul_f64_e32 v[78:79], v[122:123], v[78:79]
	v_fmac_f64_e32 v[8:9], v[106:107], v[72:73]
	v_fma_f64 v[132:133], v[104:105], v[72:73], -v[74:75]
	ds_load_b128 v[72:75], v2 offset:576
	ds_load_b128 v[104:107], v2 offset:592
	v_add_f64_e32 v[4:5], v[4:5], v[112:113]
	v_add_f64_e32 v[130:131], v[114:115], v[130:131]
	scratch_load_b128 v[112:115], off, off offset:304
	v_fmac_f64_e32 v[128:129], v[122:123], v[76:77]
	v_fma_f64 v[120:121], v[120:121], v[76:77], -v[78:79]
	scratch_load_b128 v[76:79], off, off offset:320
	s_wait_loadcnt_dscnt 0xc01
	v_mul_f64_e32 v[134:135], v[72:73], v[82:83]
	v_mul_f64_e32 v[82:83], v[74:75], v[82:83]
	v_add_f64_e32 v[4:5], v[4:5], v[132:133]
	v_add_f64_e32 v[8:9], v[130:131], v[8:9]
	s_wait_loadcnt_dscnt 0xb00
	v_mul_f64_e32 v[130:131], v[104:105], v[86:87]
	v_mul_f64_e32 v[86:87], v[106:107], v[86:87]
	v_fmac_f64_e32 v[134:135], v[74:75], v[80:81]
	v_fma_f64 v[132:133], v[72:73], v[80:81], -v[82:83]
	ds_load_b128 v[72:75], v2 offset:608
	ds_load_b128 v[80:83], v2 offset:624
	v_add_f64_e32 v[4:5], v[4:5], v[120:121]
	v_add_f64_e32 v[8:9], v[8:9], v[128:129]
	scratch_load_b128 v[120:123], off, off offset:336
	s_wait_loadcnt_dscnt 0xb01
	v_mul_f64_e32 v[128:129], v[72:73], v[90:91]
	v_mul_f64_e32 v[90:91], v[74:75], v[90:91]
	v_fmac_f64_e32 v[130:131], v[106:107], v[84:85]
	v_fma_f64 v[104:105], v[104:105], v[84:85], -v[86:87]
	scratch_load_b128 v[84:87], off, off offset:352
	v_add_f64_e32 v[4:5], v[4:5], v[132:133]
	v_add_f64_e32 v[8:9], v[8:9], v[134:135]
	s_wait_loadcnt_dscnt 0xb00
	v_mul_f64_e32 v[132:133], v[80:81], v[94:95]
	v_mul_f64_e32 v[94:95], v[82:83], v[94:95]
	v_fmac_f64_e32 v[128:129], v[74:75], v[88:89]
	v_fma_f64 v[134:135], v[72:73], v[88:89], -v[90:91]
	ds_load_b128 v[72:75], v2 offset:640
	ds_load_b128 v[88:91], v2 offset:656
	v_add_f64_e32 v[4:5], v[4:5], v[104:105]
	v_add_f64_e32 v[8:9], v[8:9], v[130:131]
	scratch_load_b128 v[104:107], off, off offset:368
	s_wait_loadcnt_dscnt 0xb01
	v_mul_f64_e32 v[130:131], v[72:73], v[98:99]
	v_mul_f64_e32 v[98:99], v[74:75], v[98:99]
	v_fmac_f64_e32 v[132:133], v[82:83], v[92:93]
	v_fma_f64 v[92:93], v[80:81], v[92:93], -v[94:95]
	scratch_load_b128 v[80:83], off, off offset:384
	v_add_f64_e32 v[4:5], v[4:5], v[134:135]
	v_add_f64_e32 v[8:9], v[8:9], v[128:129]
	s_wait_loadcnt_dscnt 0xb00
	v_mul_f64_e32 v[128:129], v[88:89], v[102:103]
	v_mul_f64_e32 v[102:103], v[90:91], v[102:103]
	v_fmac_f64_e32 v[130:131], v[74:75], v[96:97]
	v_fma_f64 v[134:135], v[72:73], v[96:97], -v[98:99]
	v_add_f64_e32 v[4:5], v[4:5], v[92:93]
	v_add_f64_e32 v[8:9], v[8:9], v[132:133]
	ds_load_b128 v[72:75], v2 offset:672
	ds_load_b128 v[92:95], v2 offset:688
	scratch_load_b128 v[96:99], off, off offset:400
	v_fmac_f64_e32 v[128:129], v[90:91], v[100:101]
	v_fma_f64 v[100:101], v[88:89], v[100:101], -v[102:103]
	scratch_load_b128 v[88:91], off, off offset:416
	s_wait_loadcnt_dscnt 0xc01
	v_mul_f64_e32 v[132:133], v[72:73], v[110:111]
	v_mul_f64_e32 v[110:111], v[74:75], v[110:111]
	v_add_f64_e32 v[4:5], v[4:5], v[134:135]
	v_add_f64_e32 v[8:9], v[8:9], v[130:131]
	s_wait_loadcnt_dscnt 0xa00
	v_mul_f64_e32 v[130:131], v[92:93], v[12:13]
	v_mul_f64_e32 v[12:13], v[94:95], v[12:13]
	v_fmac_f64_e32 v[132:133], v[74:75], v[108:109]
	v_fma_f64 v[108:109], v[72:73], v[108:109], -v[110:111]
	v_add_f64_e32 v[4:5], v[4:5], v[100:101]
	v_add_f64_e32 v[8:9], v[8:9], v[128:129]
	ds_load_b128 v[72:75], v2 offset:704
	ds_load_b128 v[100:103], v2 offset:720
	v_fmac_f64_e32 v[130:131], v[94:95], v[10:11]
	v_fma_f64 v[10:11], v[92:93], v[10:11], -v[12:13]
	s_wait_loadcnt_dscnt 0x901
	v_mul_f64_e32 v[110:111], v[72:73], v[126:127]
	v_mul_f64_e32 v[126:127], v[74:75], v[126:127]
	s_wait_loadcnt_dscnt 0x800
	v_mul_f64_e32 v[12:13], v[100:101], v[70:71]
	v_mul_f64_e32 v[92:93], v[102:103], v[70:71]
	v_add_f64_e32 v[4:5], v[4:5], v[108:109]
	v_add_f64_e32 v[8:9], v[8:9], v[132:133]
	v_fmac_f64_e32 v[110:111], v[74:75], v[124:125]
	v_fma_f64 v[74:75], v[72:73], v[124:125], -v[126:127]
	v_fmac_f64_e32 v[12:13], v[102:103], v[68:69]
	v_fma_f64 v[68:69], v[100:101], v[68:69], -v[92:93]
	v_add_f64_e32 v[4:5], v[4:5], v[10:11]
	v_add_f64_e32 v[94:95], v[8:9], v[130:131]
	ds_load_b128 v[8:11], v2 offset:736
	ds_load_b128 v[70:73], v2 offset:752
	s_wait_loadcnt_dscnt 0x701
	v_mul_f64_e32 v[108:109], v[8:9], v[114:115]
	v_mul_f64_e32 v[114:115], v[10:11], v[114:115]
	s_wait_loadcnt_dscnt 0x600
	v_mul_f64_e32 v[100:101], v[70:71], v[78:79]
	v_mul_f64_e32 v[78:79], v[72:73], v[78:79]
	v_add_f64_e32 v[4:5], v[4:5], v[74:75]
	v_add_f64_e32 v[74:75], v[94:95], v[110:111]
	v_fmac_f64_e32 v[108:109], v[10:11], v[112:113]
	v_fma_f64 v[102:103], v[8:9], v[112:113], -v[114:115]
	ds_load_b128 v[8:11], v2 offset:768
	ds_load_b128 v[92:95], v2 offset:784
	v_fmac_f64_e32 v[100:101], v[72:73], v[76:77]
	v_fma_f64 v[70:71], v[70:71], v[76:77], -v[78:79]
	v_add_f64_e32 v[4:5], v[4:5], v[68:69]
	v_add_f64_e32 v[12:13], v[74:75], v[12:13]
	s_wait_loadcnt_dscnt 0x501
	v_mul_f64_e32 v[74:75], v[8:9], v[122:123]
	v_mul_f64_e32 v[68:69], v[10:11], v[122:123]
	s_wait_loadcnt_dscnt 0x400
	v_mul_f64_e32 v[72:73], v[92:93], v[86:87]
	v_mul_f64_e32 v[76:77], v[94:95], v[86:87]
	v_add_f64_e32 v[4:5], v[4:5], v[102:103]
	v_add_f64_e32 v[12:13], v[12:13], v[108:109]
	v_fmac_f64_e32 v[74:75], v[10:11], v[120:121]
	v_fma_f64 v[78:79], v[8:9], v[120:121], -v[68:69]
	v_fmac_f64_e32 v[72:73], v[94:95], v[84:85]
	v_fma_f64 v[76:77], v[92:93], v[84:85], -v[76:77]
	v_add_f64_e32 v[4:5], v[4:5], v[70:71]
	v_add_f64_e32 v[12:13], v[12:13], v[100:101]
	ds_load_b128 v[8:11], v2 offset:800
	ds_load_b128 v[68:71], v2 offset:816
	s_wait_loadcnt_dscnt 0x301
	v_mul_f64_e32 v[86:87], v[8:9], v[106:107]
	v_mul_f64_e32 v[100:101], v[10:11], v[106:107]
	v_add_f64_e32 v[4:5], v[4:5], v[78:79]
	v_add_f64_e32 v[12:13], v[12:13], v[74:75]
	s_wait_loadcnt_dscnt 0x200
	v_mul_f64_e32 v[74:75], v[68:69], v[82:83]
	v_mul_f64_e32 v[78:79], v[70:71], v[82:83]
	v_fmac_f64_e32 v[86:87], v[10:11], v[104:105]
	v_fma_f64 v[82:83], v[8:9], v[104:105], -v[100:101]
	v_add_f64_e32 v[76:77], v[4:5], v[76:77]
	v_add_f64_e32 v[12:13], v[12:13], v[72:73]
	ds_load_b128 v[8:11], v2 offset:832
	ds_load_b128 v[2:5], v2 offset:848
	v_fmac_f64_e32 v[74:75], v[70:71], v[80:81]
	v_fma_f64 v[68:69], v[68:69], v[80:81], -v[78:79]
	s_wait_loadcnt_dscnt 0x101
	v_mul_f64_e32 v[72:73], v[8:9], v[98:99]
	v_mul_f64_e32 v[84:85], v[10:11], v[98:99]
	s_wait_loadcnt_dscnt 0x0
	v_mul_f64_e32 v[78:79], v[4:5], v[90:91]
	v_add_f64_e32 v[70:71], v[76:77], v[82:83]
	v_add_f64_e32 v[12:13], v[12:13], v[86:87]
	v_mul_f64_e32 v[76:77], v[2:3], v[90:91]
	v_fmac_f64_e32 v[72:73], v[10:11], v[96:97]
	v_fma_f64 v[8:9], v[8:9], v[96:97], -v[84:85]
	v_fma_f64 v[2:3], v[2:3], v[88:89], -v[78:79]
	v_add_f64_e32 v[10:11], v[70:71], v[68:69]
	v_add_f64_e32 v[12:13], v[12:13], v[74:75]
	v_fmac_f64_e32 v[76:77], v[4:5], v[88:89]
	s_delay_alu instid0(VALU_DEP_3) | instskip(NEXT) | instid1(VALU_DEP_3)
	v_add_f64_e32 v[4:5], v[10:11], v[8:9]
	v_add_f64_e32 v[8:9], v[12:13], v[72:73]
	s_delay_alu instid0(VALU_DEP_2) | instskip(NEXT) | instid1(VALU_DEP_2)
	v_add_f64_e32 v[2:3], v[4:5], v[2:3]
	v_add_f64_e32 v[4:5], v[8:9], v[76:77]
	s_delay_alu instid0(VALU_DEP_2) | instskip(NEXT) | instid1(VALU_DEP_2)
	v_add_f64_e64 v[2:3], v[116:117], -v[2:3]
	v_add_f64_e64 v[4:5], v[118:119], -v[4:5]
	scratch_store_b128 off, v[2:5], off offset:64
	s_wait_xcnt 0x0
	v_cmpx_lt_u32_e32 3, v1
	s_cbranch_execz .LBB90_169
; %bb.168:
	scratch_load_b128 v[2:5], off, s14
	v_mov_b32_e32 v8, 0
	s_delay_alu instid0(VALU_DEP_1)
	v_dual_mov_b32 v9, v8 :: v_dual_mov_b32 v10, v8
	v_mov_b32_e32 v11, v8
	scratch_store_b128 off, v[8:11], off offset:48
	s_wait_loadcnt 0x0
	ds_store_b128 v6, v[2:5]
.LBB90_169:
	s_wait_xcnt 0x0
	s_or_b32 exec_lo, exec_lo, s2
	s_wait_storecnt_dscnt 0x0
	s_barrier_signal -1
	s_barrier_wait -1
	s_clause 0x9
	scratch_load_b128 v[8:11], off, off offset:64
	scratch_load_b128 v[68:71], off, off offset:80
	scratch_load_b128 v[72:75], off, off offset:96
	scratch_load_b128 v[76:79], off, off offset:112
	scratch_load_b128 v[80:83], off, off offset:128
	scratch_load_b128 v[84:87], off, off offset:144
	scratch_load_b128 v[88:91], off, off offset:160
	scratch_load_b128 v[92:95], off, off offset:176
	scratch_load_b128 v[96:99], off, off offset:192
	scratch_load_b128 v[100:103], off, off offset:208
	v_mov_b32_e32 v2, 0
	s_mov_b32 s2, exec_lo
	ds_load_b128 v[104:107], v2 offset:496
	s_clause 0x2
	scratch_load_b128 v[108:111], off, off offset:224
	scratch_load_b128 v[112:115], off, off offset:48
	;; [unrolled: 1-line block ×3, first 2 shown]
	s_wait_loadcnt_dscnt 0xc00
	v_mul_f64_e32 v[4:5], v[106:107], v[10:11]
	v_mul_f64_e32 v[128:129], v[104:105], v[10:11]
	ds_load_b128 v[116:119], v2 offset:512
	scratch_load_b128 v[10:13], off, off offset:240
	ds_load_b128 v[124:127], v2 offset:544
	v_fma_f64 v[4:5], v[104:105], v[8:9], -v[4:5]
	v_fmac_f64_e32 v[128:129], v[106:107], v[8:9]
	ds_load_b128 v[104:107], v2 offset:528
	s_wait_loadcnt_dscnt 0xc02
	v_mul_f64_e32 v[130:131], v[116:117], v[70:71]
	v_mul_f64_e32 v[70:71], v[118:119], v[70:71]
	s_wait_loadcnt_dscnt 0xb00
	v_mul_f64_e32 v[8:9], v[104:105], v[74:75]
	v_mul_f64_e32 v[74:75], v[106:107], v[74:75]
	v_add_f64_e32 v[4:5], 0, v[4:5]
	v_fmac_f64_e32 v[130:131], v[118:119], v[68:69]
	v_fma_f64 v[116:117], v[116:117], v[68:69], -v[70:71]
	v_add_f64_e32 v[118:119], 0, v[128:129]
	scratch_load_b128 v[68:71], off, off offset:272
	v_fmac_f64_e32 v[8:9], v[106:107], v[72:73]
	v_fma_f64 v[132:133], v[104:105], v[72:73], -v[74:75]
	ds_load_b128 v[72:75], v2 offset:560
	s_wait_loadcnt 0xb
	v_mul_f64_e32 v[128:129], v[124:125], v[78:79]
	v_mul_f64_e32 v[78:79], v[126:127], v[78:79]
	scratch_load_b128 v[104:107], off, off offset:288
	v_add_f64_e32 v[4:5], v[4:5], v[116:117]
	v_add_f64_e32 v[130:131], v[118:119], v[130:131]
	ds_load_b128 v[116:119], v2 offset:576
	s_wait_loadcnt_dscnt 0xb01
	v_mul_f64_e32 v[134:135], v[72:73], v[82:83]
	v_mul_f64_e32 v[82:83], v[74:75], v[82:83]
	v_fmac_f64_e32 v[128:129], v[126:127], v[76:77]
	v_fma_f64 v[124:125], v[124:125], v[76:77], -v[78:79]
	scratch_load_b128 v[76:79], off, off offset:304
	v_add_f64_e32 v[4:5], v[4:5], v[132:133]
	v_add_f64_e32 v[8:9], v[130:131], v[8:9]
	v_fmac_f64_e32 v[134:135], v[74:75], v[80:81]
	v_fma_f64 v[132:133], v[72:73], v[80:81], -v[82:83]
	ds_load_b128 v[72:75], v2 offset:592
	s_wait_loadcnt_dscnt 0xb01
	v_mul_f64_e32 v[130:131], v[116:117], v[86:87]
	v_mul_f64_e32 v[86:87], v[118:119], v[86:87]
	scratch_load_b128 v[80:83], off, off offset:320
	v_add_f64_e32 v[4:5], v[4:5], v[124:125]
	v_add_f64_e32 v[8:9], v[8:9], v[128:129]
	s_wait_loadcnt_dscnt 0xb00
	v_mul_f64_e32 v[128:129], v[72:73], v[90:91]
	v_mul_f64_e32 v[90:91], v[74:75], v[90:91]
	ds_load_b128 v[124:127], v2 offset:608
	v_fmac_f64_e32 v[130:131], v[118:119], v[84:85]
	v_fma_f64 v[116:117], v[116:117], v[84:85], -v[86:87]
	scratch_load_b128 v[84:87], off, off offset:336
	v_add_f64_e32 v[4:5], v[4:5], v[132:133]
	v_add_f64_e32 v[8:9], v[8:9], v[134:135]
	v_fmac_f64_e32 v[128:129], v[74:75], v[88:89]
	v_fma_f64 v[134:135], v[72:73], v[88:89], -v[90:91]
	ds_load_b128 v[72:75], v2 offset:624
	s_wait_loadcnt_dscnt 0xb01
	v_mul_f64_e32 v[132:133], v[124:125], v[94:95]
	v_mul_f64_e32 v[94:95], v[126:127], v[94:95]
	scratch_load_b128 v[88:91], off, off offset:352
	v_add_f64_e32 v[4:5], v[4:5], v[116:117]
	v_add_f64_e32 v[8:9], v[8:9], v[130:131]
	s_wait_loadcnt_dscnt 0xb00
	v_mul_f64_e32 v[130:131], v[72:73], v[98:99]
	v_mul_f64_e32 v[98:99], v[74:75], v[98:99]
	ds_load_b128 v[116:119], v2 offset:640
	v_fmac_f64_e32 v[132:133], v[126:127], v[92:93]
	v_fma_f64 v[124:125], v[124:125], v[92:93], -v[94:95]
	scratch_load_b128 v[92:95], off, off offset:368
	v_add_f64_e32 v[4:5], v[4:5], v[134:135]
	v_add_f64_e32 v[8:9], v[8:9], v[128:129]
	v_fmac_f64_e32 v[130:131], v[74:75], v[96:97]
	v_fma_f64 v[134:135], v[72:73], v[96:97], -v[98:99]
	ds_load_b128 v[72:75], v2 offset:656
	s_wait_loadcnt_dscnt 0xb01
	v_mul_f64_e32 v[128:129], v[116:117], v[102:103]
	v_mul_f64_e32 v[102:103], v[118:119], v[102:103]
	scratch_load_b128 v[96:99], off, off offset:384
	v_add_f64_e32 v[4:5], v[4:5], v[124:125]
	v_add_f64_e32 v[8:9], v[8:9], v[132:133]
	s_wait_loadcnt_dscnt 0xb00
	v_mul_f64_e32 v[132:133], v[72:73], v[110:111]
	v_mul_f64_e32 v[110:111], v[74:75], v[110:111]
	ds_load_b128 v[124:127], v2 offset:672
	v_fmac_f64_e32 v[128:129], v[118:119], v[100:101]
	v_fma_f64 v[116:117], v[116:117], v[100:101], -v[102:103]
	scratch_load_b128 v[100:103], off, off offset:400
	v_add_f64_e32 v[4:5], v[4:5], v[134:135]
	v_add_f64_e32 v[8:9], v[8:9], v[130:131]
	v_fmac_f64_e32 v[132:133], v[74:75], v[108:109]
	v_fma_f64 v[134:135], v[72:73], v[108:109], -v[110:111]
	ds_load_b128 v[72:75], v2 offset:688
	s_wait_loadcnt_dscnt 0x901
	v_mul_f64_e32 v[130:131], v[124:125], v[12:13]
	v_mul_f64_e32 v[12:13], v[126:127], v[12:13]
	scratch_load_b128 v[108:111], off, off offset:416
	v_add_f64_e32 v[4:5], v[4:5], v[116:117]
	v_add_f64_e32 v[8:9], v[8:9], v[128:129]
	s_wait_dscnt 0x0
	v_mul_f64_e32 v[128:129], v[72:73], v[122:123]
	v_mul_f64_e32 v[122:123], v[74:75], v[122:123]
	ds_load_b128 v[116:119], v2 offset:704
	v_fmac_f64_e32 v[130:131], v[126:127], v[10:11]
	v_fma_f64 v[10:11], v[124:125], v[10:11], -v[12:13]
	v_add_f64_e32 v[4:5], v[4:5], v[134:135]
	v_add_f64_e32 v[8:9], v[8:9], v[132:133]
	s_wait_loadcnt_dscnt 0x900
	v_mul_f64_e32 v[12:13], v[116:117], v[70:71]
	v_mul_f64_e32 v[124:125], v[118:119], v[70:71]
	v_fmac_f64_e32 v[128:129], v[74:75], v[120:121]
	v_fma_f64 v[74:75], v[72:73], v[120:121], -v[122:123]
	v_add_f64_e32 v[4:5], v[4:5], v[10:11]
	v_add_f64_e32 v[120:121], v[8:9], v[130:131]
	ds_load_b128 v[8:11], v2 offset:720
	ds_load_b128 v[70:73], v2 offset:736
	v_fmac_f64_e32 v[12:13], v[118:119], v[68:69]
	v_fma_f64 v[68:69], v[116:117], v[68:69], -v[124:125]
	s_wait_loadcnt_dscnt 0x801
	v_mul_f64_e32 v[122:123], v[8:9], v[106:107]
	v_mul_f64_e32 v[106:107], v[10:11], v[106:107]
	s_wait_loadcnt_dscnt 0x700
	v_mul_f64_e32 v[116:117], v[70:71], v[78:79]
	v_mul_f64_e32 v[78:79], v[72:73], v[78:79]
	v_add_f64_e32 v[4:5], v[4:5], v[74:75]
	v_add_f64_e32 v[74:75], v[120:121], v[128:129]
	v_fmac_f64_e32 v[122:123], v[10:11], v[104:105]
	v_fma_f64 v[118:119], v[8:9], v[104:105], -v[106:107]
	ds_load_b128 v[8:11], v2 offset:752
	ds_load_b128 v[104:107], v2 offset:768
	v_fmac_f64_e32 v[116:117], v[72:73], v[76:77]
	v_fma_f64 v[70:71], v[70:71], v[76:77], -v[78:79]
	v_add_f64_e32 v[4:5], v[4:5], v[68:69]
	v_add_f64_e32 v[12:13], v[74:75], v[12:13]
	s_wait_loadcnt_dscnt 0x601
	v_mul_f64_e32 v[74:75], v[8:9], v[82:83]
	v_mul_f64_e32 v[68:69], v[10:11], v[82:83]
	s_wait_loadcnt_dscnt 0x500
	v_mul_f64_e32 v[72:73], v[104:105], v[86:87]
	v_mul_f64_e32 v[76:77], v[106:107], v[86:87]
	v_add_f64_e32 v[4:5], v[4:5], v[118:119]
	v_add_f64_e32 v[12:13], v[12:13], v[122:123]
	v_fmac_f64_e32 v[74:75], v[10:11], v[80:81]
	v_fma_f64 v[78:79], v[8:9], v[80:81], -v[68:69]
	v_fmac_f64_e32 v[72:73], v[106:107], v[84:85]
	v_fma_f64 v[76:77], v[104:105], v[84:85], -v[76:77]
	v_add_f64_e32 v[4:5], v[4:5], v[70:71]
	v_add_f64_e32 v[12:13], v[12:13], v[116:117]
	ds_load_b128 v[8:11], v2 offset:784
	ds_load_b128 v[68:71], v2 offset:800
	s_wait_loadcnt_dscnt 0x401
	v_mul_f64_e32 v[80:81], v[8:9], v[90:91]
	v_mul_f64_e32 v[82:83], v[10:11], v[90:91]
	s_wait_loadcnt_dscnt 0x300
	v_mul_f64_e32 v[84:85], v[70:71], v[94:95]
	v_add_f64_e32 v[4:5], v[4:5], v[78:79]
	v_add_f64_e32 v[12:13], v[12:13], v[74:75]
	v_mul_f64_e32 v[78:79], v[68:69], v[94:95]
	v_fmac_f64_e32 v[80:81], v[10:11], v[88:89]
	v_fma_f64 v[82:83], v[8:9], v[88:89], -v[82:83]
	v_fma_f64 v[68:69], v[68:69], v[92:93], -v[84:85]
	v_add_f64_e32 v[4:5], v[4:5], v[76:77]
	v_add_f64_e32 v[12:13], v[12:13], v[72:73]
	ds_load_b128 v[8:11], v2 offset:816
	ds_load_b128 v[72:75], v2 offset:832
	v_fmac_f64_e32 v[78:79], v[70:71], v[92:93]
	s_wait_loadcnt_dscnt 0x201
	v_mul_f64_e32 v[76:77], v[8:9], v[98:99]
	v_mul_f64_e32 v[86:87], v[10:11], v[98:99]
	s_wait_loadcnt_dscnt 0x100
	v_mul_f64_e32 v[70:71], v[72:73], v[102:103]
	v_add_f64_e32 v[4:5], v[4:5], v[82:83]
	v_add_f64_e32 v[12:13], v[12:13], v[80:81]
	v_mul_f64_e32 v[80:81], v[74:75], v[102:103]
	v_fmac_f64_e32 v[76:77], v[10:11], v[96:97]
	v_fma_f64 v[82:83], v[8:9], v[96:97], -v[86:87]
	ds_load_b128 v[8:11], v2 offset:848
	v_fmac_f64_e32 v[70:71], v[74:75], v[100:101]
	v_add_f64_e32 v[4:5], v[4:5], v[68:69]
	v_add_f64_e32 v[12:13], v[12:13], v[78:79]
	v_fma_f64 v[72:73], v[72:73], v[100:101], -v[80:81]
	s_wait_loadcnt_dscnt 0x0
	v_mul_f64_e32 v[68:69], v[8:9], v[110:111]
	v_mul_f64_e32 v[78:79], v[10:11], v[110:111]
	v_add_f64_e32 v[4:5], v[4:5], v[82:83]
	v_add_f64_e32 v[12:13], v[12:13], v[76:77]
	s_delay_alu instid0(VALU_DEP_4) | instskip(NEXT) | instid1(VALU_DEP_4)
	v_fmac_f64_e32 v[68:69], v[10:11], v[108:109]
	v_fma_f64 v[8:9], v[8:9], v[108:109], -v[78:79]
	s_delay_alu instid0(VALU_DEP_4) | instskip(NEXT) | instid1(VALU_DEP_4)
	v_add_f64_e32 v[4:5], v[4:5], v[72:73]
	v_add_f64_e32 v[10:11], v[12:13], v[70:71]
	s_delay_alu instid0(VALU_DEP_2) | instskip(NEXT) | instid1(VALU_DEP_2)
	v_add_f64_e32 v[4:5], v[4:5], v[8:9]
	v_add_f64_e32 v[10:11], v[10:11], v[68:69]
	s_delay_alu instid0(VALU_DEP_2) | instskip(NEXT) | instid1(VALU_DEP_2)
	v_add_f64_e64 v[8:9], v[112:113], -v[4:5]
	v_add_f64_e64 v[10:11], v[114:115], -v[10:11]
	scratch_store_b128 off, v[8:11], off offset:48
	s_wait_xcnt 0x0
	v_cmpx_lt_u32_e32 2, v1
	s_cbranch_execz .LBB90_171
; %bb.170:
	scratch_load_b128 v[8:11], off, s16
	v_dual_mov_b32 v3, v2 :: v_dual_mov_b32 v4, v2
	v_mov_b32_e32 v5, v2
	scratch_store_b128 off, v[2:5], off offset:32
	s_wait_loadcnt 0x0
	ds_store_b128 v6, v[8:11]
.LBB90_171:
	s_wait_xcnt 0x0
	s_or_b32 exec_lo, exec_lo, s2
	s_wait_storecnt_dscnt 0x0
	s_barrier_signal -1
	s_barrier_wait -1
	s_clause 0x9
	scratch_load_b128 v[8:11], off, off offset:48
	scratch_load_b128 v[68:71], off, off offset:64
	;; [unrolled: 1-line block ×10, first 2 shown]
	ds_load_b128 v[104:107], v2 offset:480
	ds_load_b128 v[108:111], v2 offset:496
	s_clause 0x1
	scratch_load_b128 v[112:115], off, off offset:32
	scratch_load_b128 v[116:119], off, off offset:208
	s_mov_b32 s2, exec_lo
	v_ashrrev_i32_e32 v21, 31, v20
	v_ashrrev_i32_e32 v25, 31, v24
	;; [unrolled: 1-line block ×3, first 2 shown]
	v_dual_ashrrev_i32 v33, 31, v32 :: v_dual_ashrrev_i32 v19, 31, v18
	v_dual_ashrrev_i32 v23, 31, v22 :: v_dual_ashrrev_i32 v37, 31, v36
	v_ashrrev_i32_e32 v41, 31, v40
	v_ashrrev_i32_e32 v45, 31, v44
	v_dual_ashrrev_i32 v49, 31, v48 :: v_dual_ashrrev_i32 v27, 31, v26
	v_ashrrev_i32_e32 v31, 31, v30
	v_ashrrev_i32_e32 v35, 31, v34
	v_dual_ashrrev_i32 v47, 31, v46 :: v_dual_ashrrev_i32 v53, 31, v52
	v_dual_ashrrev_i32 v57, 31, v56 :: v_dual_ashrrev_i32 v39, 31, v38
	;; [unrolled: 1-line block ×3, first 2 shown]
	v_ashrrev_i32_e32 v55, 31, v54
	v_dual_ashrrev_i32 v51, 31, v50 :: v_dual_ashrrev_i32 v61, 31, v60
	v_ashrrev_i32_e32 v59, 31, v58
	v_ashrrev_i32_e32 v63, 31, v62
	;; [unrolled: 1-line block ×3, first 2 shown]
	s_wait_loadcnt_dscnt 0xb01
	v_mul_f64_e32 v[4:5], v[104:105], v[10:11]
	v_mul_f64_e32 v[120:121], v[106:107], v[10:11]
	s_wait_loadcnt_dscnt 0xa00
	v_mul_f64_e32 v[124:125], v[108:109], v[70:71]
	v_mul_f64_e32 v[70:71], v[110:111], v[70:71]
	ds_load_b128 v[10:13], v2 offset:512
	v_fmac_f64_e32 v[4:5], v[106:107], v[8:9]
	v_fma_f64 v[8:9], v[104:105], v[8:9], -v[120:121]
	scratch_load_b128 v[104:107], off, off offset:224
	ds_load_b128 v[120:123], v2 offset:528
	v_fmac_f64_e32 v[124:125], v[110:111], v[68:69]
	v_fma_f64 v[108:109], v[108:109], v[68:69], -v[70:71]
	s_wait_loadcnt_dscnt 0xa01
	v_mul_f64_e32 v[110:111], v[10:11], v[74:75]
	v_mul_f64_e32 v[74:75], v[12:13], v[74:75]
	scratch_load_b128 v[68:71], off, off offset:240
	s_wait_loadcnt_dscnt 0xa00
	v_mul_f64_e32 v[128:129], v[120:121], v[78:79]
	v_mul_f64_e32 v[78:79], v[122:123], v[78:79]
	v_add_f64_e32 v[4:5], 0, v[4:5]
	v_add_f64_e32 v[126:127], 0, v[8:9]
	v_fmac_f64_e32 v[110:111], v[12:13], v[72:73]
	v_fma_f64 v[12:13], v[10:11], v[72:73], -v[74:75]
	scratch_load_b128 v[72:75], off, off offset:256
	ds_load_b128 v[8:11], v2 offset:544
	v_fmac_f64_e32 v[128:129], v[122:123], v[76:77]
	v_fma_f64 v[120:121], v[120:121], v[76:77], -v[78:79]
	ds_load_b128 v[76:79], v2 offset:560
	s_wait_loadcnt_dscnt 0xa01
	v_mul_f64_e32 v[122:123], v[8:9], v[82:83]
	v_mul_f64_e32 v[82:83], v[10:11], v[82:83]
	v_add_f64_e32 v[4:5], v[4:5], v[124:125]
	v_add_f64_e32 v[108:109], v[126:127], v[108:109]
	s_wait_loadcnt_dscnt 0x900
	v_mul_f64_e32 v[126:127], v[76:77], v[86:87]
	v_mul_f64_e32 v[86:87], v[78:79], v[86:87]
	v_fmac_f64_e32 v[122:123], v[10:11], v[80:81]
	v_fma_f64 v[124:125], v[8:9], v[80:81], -v[82:83]
	scratch_load_b128 v[80:83], off, off offset:288
	v_add_f64_e32 v[4:5], v[4:5], v[110:111]
	v_add_f64_e32 v[12:13], v[108:109], v[12:13]
	scratch_load_b128 v[108:111], off, off offset:272
	ds_load_b128 v[8:11], v2 offset:576
	v_fmac_f64_e32 v[126:127], v[78:79], v[84:85]
	v_add_f64_e32 v[4:5], v[4:5], v[128:129]
	v_add_f64_e32 v[12:13], v[12:13], v[120:121]
	v_fma_f64 v[120:121], v[76:77], v[84:85], -v[86:87]
	ds_load_b128 v[76:79], v2 offset:592
	s_wait_loadcnt_dscnt 0xa01
	v_mul_f64_e32 v[128:129], v[8:9], v[90:91]
	v_mul_f64_e32 v[90:91], v[10:11], v[90:91]
	scratch_load_b128 v[84:87], off, off offset:304
	v_add_f64_e32 v[4:5], v[4:5], v[122:123]
	v_add_f64_e32 v[12:13], v[12:13], v[124:125]
	s_wait_loadcnt_dscnt 0xa00
	v_mul_f64_e32 v[124:125], v[76:77], v[94:95]
	v_mul_f64_e32 v[94:95], v[78:79], v[94:95]
	v_fmac_f64_e32 v[128:129], v[10:11], v[88:89]
	v_fma_f64 v[122:123], v[8:9], v[88:89], -v[90:91]
	scratch_load_b128 v[88:91], off, off offset:320
	ds_load_b128 v[8:11], v2 offset:608
	v_add_f64_e32 v[4:5], v[4:5], v[126:127]
	v_add_f64_e32 v[12:13], v[12:13], v[120:121]
	v_fmac_f64_e32 v[124:125], v[78:79], v[92:93]
	v_fma_f64 v[120:121], v[76:77], v[92:93], -v[94:95]
	ds_load_b128 v[76:79], v2 offset:624
	s_wait_loadcnt_dscnt 0xa01
	v_mul_f64_e32 v[126:127], v[8:9], v[98:99]
	v_mul_f64_e32 v[98:99], v[10:11], v[98:99]
	scratch_load_b128 v[92:95], off, off offset:336
	v_add_f64_e32 v[4:5], v[4:5], v[128:129]
	v_add_f64_e32 v[12:13], v[12:13], v[122:123]
	s_wait_loadcnt_dscnt 0xa00
	v_mul_f64_e32 v[128:129], v[76:77], v[102:103]
	v_mul_f64_e32 v[102:103], v[78:79], v[102:103]
	v_fmac_f64_e32 v[126:127], v[10:11], v[96:97]
	v_fma_f64 v[122:123], v[8:9], v[96:97], -v[98:99]
	scratch_load_b128 v[8:11], off, off offset:352
	ds_load_b128 v[96:99], v2 offset:640
	v_add_f64_e32 v[4:5], v[4:5], v[124:125]
	v_add_f64_e32 v[12:13], v[12:13], v[120:121]
	v_fmac_f64_e32 v[128:129], v[78:79], v[100:101]
	v_fma_f64 v[120:121], v[76:77], v[100:101], -v[102:103]
	ds_load_b128 v[76:79], v2 offset:656
	s_wait_loadcnt_dscnt 0x901
	v_mul_f64_e32 v[124:125], v[96:97], v[118:119]
	v_mul_f64_e32 v[118:119], v[98:99], v[118:119]
	scratch_load_b128 v[100:103], off, off offset:368
	v_add_f64_e32 v[4:5], v[4:5], v[126:127]
	v_add_f64_e32 v[12:13], v[12:13], v[122:123]
	v_fmac_f64_e32 v[124:125], v[98:99], v[116:117]
	v_fma_f64 v[122:123], v[96:97], v[116:117], -v[118:119]
	scratch_load_b128 v[96:99], off, off offset:384
	ds_load_b128 v[116:119], v2 offset:672
	v_add_f64_e32 v[4:5], v[4:5], v[128:129]
	v_add_f64_e32 v[12:13], v[12:13], v[120:121]
	s_wait_loadcnt_dscnt 0xa01
	v_mul_f64_e32 v[126:127], v[76:77], v[106:107]
	v_mul_f64_e32 v[106:107], v[78:79], v[106:107]
	s_delay_alu instid0(VALU_DEP_4) | instskip(NEXT) | instid1(VALU_DEP_4)
	v_add_f64_e32 v[4:5], v[4:5], v[124:125]
	v_add_f64_e32 v[12:13], v[12:13], v[122:123]
	s_delay_alu instid0(VALU_DEP_4) | instskip(NEXT) | instid1(VALU_DEP_4)
	v_fmac_f64_e32 v[126:127], v[78:79], v[104:105]
	v_fma_f64 v[120:121], v[76:77], v[104:105], -v[106:107]
	ds_load_b128 v[76:79], v2 offset:688
	s_wait_loadcnt_dscnt 0x901
	v_mul_f64_e32 v[128:129], v[116:117], v[70:71]
	v_mul_f64_e32 v[70:71], v[118:119], v[70:71]
	scratch_load_b128 v[104:107], off, off offset:400
	s_wait_loadcnt_dscnt 0x900
	v_mul_f64_e32 v[124:125], v[76:77], v[74:75]
	v_mul_f64_e32 v[74:75], v[78:79], v[74:75]
	v_add_f64_e32 v[4:5], v[4:5], v[126:127]
	v_add_f64_e32 v[12:13], v[12:13], v[120:121]
	v_fmac_f64_e32 v[128:129], v[118:119], v[68:69]
	v_fma_f64 v[122:123], v[116:117], v[68:69], -v[70:71]
	scratch_load_b128 v[68:71], off, off offset:416
	ds_load_b128 v[116:119], v2 offset:704
	v_fmac_f64_e32 v[124:125], v[78:79], v[72:73]
	v_fma_f64 v[76:77], v[76:77], v[72:73], -v[74:75]
	ds_load_b128 v[72:75], v2 offset:720
	s_wait_loadcnt_dscnt 0x801
	v_mul_f64_e32 v[120:121], v[116:117], v[110:111]
	v_mul_f64_e32 v[78:79], v[118:119], v[110:111]
	v_add_f64_e32 v[4:5], v[4:5], v[128:129]
	v_add_f64_e32 v[12:13], v[12:13], v[122:123]
	s_wait_dscnt 0x0
	v_mul_f64_e32 v[122:123], v[72:73], v[82:83]
	v_mul_f64_e32 v[82:83], v[74:75], v[82:83]
	v_fmac_f64_e32 v[120:121], v[118:119], v[108:109]
	v_fma_f64 v[116:117], v[116:117], v[108:109], -v[78:79]
	v_add_f64_e32 v[4:5], v[4:5], v[124:125]
	v_add_f64_e32 v[12:13], v[12:13], v[76:77]
	ds_load_b128 v[76:79], v2 offset:736
	ds_load_b128 v[108:111], v2 offset:752
	v_fmac_f64_e32 v[122:123], v[74:75], v[80:81]
	v_fma_f64 v[72:73], v[72:73], v[80:81], -v[82:83]
	s_wait_loadcnt_dscnt 0x701
	v_mul_f64_e32 v[118:119], v[76:77], v[86:87]
	v_mul_f64_e32 v[86:87], v[78:79], v[86:87]
	v_add_f64_e32 v[4:5], v[4:5], v[120:121]
	v_add_f64_e32 v[12:13], v[12:13], v[116:117]
	s_wait_loadcnt_dscnt 0x600
	v_mul_f64_e32 v[80:81], v[108:109], v[90:91]
	v_mul_f64_e32 v[82:83], v[110:111], v[90:91]
	v_fmac_f64_e32 v[118:119], v[78:79], v[84:85]
	v_fma_f64 v[84:85], v[76:77], v[84:85], -v[86:87]
	v_add_f64_e32 v[4:5], v[4:5], v[122:123]
	v_add_f64_e32 v[12:13], v[12:13], v[72:73]
	ds_load_b128 v[72:75], v2 offset:768
	ds_load_b128 v[76:79], v2 offset:784
	v_fmac_f64_e32 v[80:81], v[110:111], v[88:89]
	v_fma_f64 v[82:83], v[108:109], v[88:89], -v[82:83]
	s_wait_loadcnt_dscnt 0x501
	v_mul_f64_e32 v[86:87], v[72:73], v[94:95]
	v_mul_f64_e32 v[90:91], v[74:75], v[94:95]
	v_add_f64_e32 v[4:5], v[4:5], v[118:119]
	v_add_f64_e32 v[12:13], v[12:13], v[84:85]
	s_wait_loadcnt_dscnt 0x400
	;; [unrolled: 16-line block ×3, first 2 shown]
	v_mul_f64_e32 v[78:79], v[72:73], v[98:99]
	v_mul_f64_e32 v[82:83], v[74:75], v[98:99]
	v_fmac_f64_e32 v[80:81], v[12:13], v[100:101]
	v_fma_f64 v[12:13], v[10:11], v[100:101], -v[92:93]
	v_add_f64_e32 v[84:85], v[4:5], v[84:85]
	v_add_f64_e32 v[76:77], v[76:77], v[8:9]
	ds_load_b128 v[8:11], v2 offset:832
	ds_load_b128 v[2:5], v2 offset:848
	v_fmac_f64_e32 v[78:79], v[74:75], v[96:97]
	v_fma_f64 v[72:73], v[72:73], v[96:97], -v[82:83]
	v_add_f64_e32 v[74:75], v[84:85], v[80:81]
	v_add_f64_e32 v[12:13], v[76:77], v[12:13]
	s_wait_loadcnt_dscnt 0x101
	v_mul_f64_e32 v[86:87], v[8:9], v[106:107]
	v_mul_f64_e32 v[88:89], v[10:11], v[106:107]
	s_wait_loadcnt_dscnt 0x0
	v_mul_f64_e32 v[76:77], v[2:3], v[70:71]
	v_mul_f64_e32 v[70:71], v[4:5], v[70:71]
	s_delay_alu instid0(VALU_DEP_4) | instskip(NEXT) | instid1(VALU_DEP_4)
	v_fmac_f64_e32 v[86:87], v[10:11], v[104:105]
	v_fma_f64 v[8:9], v[8:9], v[104:105], -v[88:89]
	v_add_f64_e32 v[10:11], v[12:13], v[72:73]
	v_add_f64_e32 v[12:13], v[74:75], v[78:79]
	v_fmac_f64_e32 v[76:77], v[4:5], v[68:69]
	v_fma_f64 v[2:3], v[2:3], v[68:69], -v[70:71]
	s_delay_alu instid0(VALU_DEP_4) | instskip(NEXT) | instid1(VALU_DEP_4)
	v_add_f64_e32 v[4:5], v[10:11], v[8:9]
	v_add_f64_e32 v[8:9], v[12:13], v[86:87]
	s_delay_alu instid0(VALU_DEP_2) | instskip(NEXT) | instid1(VALU_DEP_2)
	v_add_f64_e32 v[2:3], v[4:5], v[2:3]
	v_add_f64_e32 v[4:5], v[8:9], v[76:77]
	s_delay_alu instid0(VALU_DEP_2) | instskip(NEXT) | instid1(VALU_DEP_2)
	v_add_f64_e64 v[2:3], v[112:113], -v[2:3]
	v_add_f64_e64 v[4:5], v[114:115], -v[4:5]
	scratch_store_b128 off, v[2:5], off offset:32
	s_wait_xcnt 0x0
	v_cmpx_lt_u32_e32 1, v1
	s_cbranch_execz .LBB90_173
; %bb.172:
	scratch_load_b128 v[2:5], off, s18
	v_mov_b32_e32 v8, 0
	s_delay_alu instid0(VALU_DEP_1)
	v_dual_mov_b32 v9, v8 :: v_dual_mov_b32 v10, v8
	v_mov_b32_e32 v11, v8
	scratch_store_b128 off, v[8:11], off offset:16
	s_wait_loadcnt 0x0
	ds_store_b128 v6, v[2:5]
.LBB90_173:
	s_wait_xcnt 0x0
	s_or_b32 exec_lo, exec_lo, s2
	s_wait_storecnt_dscnt 0x0
	s_barrier_signal -1
	s_barrier_wait -1
	s_clause 0x9
	scratch_load_b128 v[8:11], off, off offset:32
	scratch_load_b128 v[68:71], off, off offset:48
	;; [unrolled: 1-line block ×10, first 2 shown]
	v_mov_b32_e32 v2, 0
	s_clause 0x2
	scratch_load_b128 v[108:111], off, off offset:192
	scratch_load_b128 v[112:115], off, off offset:208
	;; [unrolled: 1-line block ×3, first 2 shown]
	s_mov_b32 s2, exec_lo
	ds_load_b128 v[104:107], v2 offset:464
	s_wait_loadcnt_dscnt 0xc00
	v_mul_f64_e32 v[4:5], v[106:107], v[10:11]
	v_mul_f64_e32 v[120:121], v[104:105], v[10:11]
	ds_load_b128 v[10:13], v2 offset:480
	v_fma_f64 v[4:5], v[104:105], v[8:9], -v[4:5]
	v_fmac_f64_e32 v[120:121], v[106:107], v[8:9]
	ds_load_b128 v[104:107], v2 offset:496
	s_wait_loadcnt_dscnt 0xb01
	v_mul_f64_e32 v[122:123], v[10:11], v[70:71]
	v_mul_f64_e32 v[70:71], v[12:13], v[70:71]
	s_wait_loadcnt_dscnt 0xa00
	v_mul_f64_e32 v[124:125], v[104:105], v[74:75]
	v_mul_f64_e32 v[74:75], v[106:107], v[74:75]
	v_add_f64_e32 v[4:5], 0, v[4:5]
	v_add_f64_e32 v[120:121], 0, v[120:121]
	v_fmac_f64_e32 v[122:123], v[12:13], v[68:69]
	v_fma_f64 v[12:13], v[10:11], v[68:69], -v[70:71]
	ds_load_b128 v[8:11], v2 offset:512
	scratch_load_b128 v[68:71], off, off offset:240
	v_fmac_f64_e32 v[124:125], v[106:107], v[72:73]
	v_fma_f64 v[128:129], v[104:105], v[72:73], -v[74:75]
	ds_load_b128 v[72:75], v2 offset:528
	s_wait_loadcnt_dscnt 0xa01
	v_mul_f64_e32 v[126:127], v[8:9], v[78:79]
	v_mul_f64_e32 v[78:79], v[10:11], v[78:79]
	scratch_load_b128 v[104:107], off, off offset:256
	v_add_f64_e32 v[4:5], v[4:5], v[12:13]
	v_add_f64_e32 v[12:13], v[120:121], v[122:123]
	s_wait_loadcnt_dscnt 0xa00
	v_mul_f64_e32 v[120:121], v[72:73], v[82:83]
	v_mul_f64_e32 v[82:83], v[74:75], v[82:83]
	v_fmac_f64_e32 v[126:127], v[10:11], v[76:77]
	v_fma_f64 v[122:123], v[8:9], v[76:77], -v[78:79]
	ds_load_b128 v[8:11], v2 offset:544
	scratch_load_b128 v[76:79], off, off offset:272
	v_add_f64_e32 v[4:5], v[4:5], v[128:129]
	v_add_f64_e32 v[12:13], v[12:13], v[124:125]
	v_fmac_f64_e32 v[120:121], v[74:75], v[80:81]
	v_fma_f64 v[128:129], v[72:73], v[80:81], -v[82:83]
	ds_load_b128 v[72:75], v2 offset:560
	s_wait_loadcnt_dscnt 0xa01
	v_mul_f64_e32 v[124:125], v[8:9], v[86:87]
	v_mul_f64_e32 v[86:87], v[10:11], v[86:87]
	scratch_load_b128 v[80:83], off, off offset:288
	v_add_f64_e32 v[4:5], v[4:5], v[122:123]
	v_add_f64_e32 v[12:13], v[12:13], v[126:127]
	s_wait_loadcnt_dscnt 0xa00
	v_mul_f64_e32 v[122:123], v[72:73], v[90:91]
	v_mul_f64_e32 v[90:91], v[74:75], v[90:91]
	v_fmac_f64_e32 v[124:125], v[10:11], v[84:85]
	v_fma_f64 v[126:127], v[8:9], v[84:85], -v[86:87]
	ds_load_b128 v[8:11], v2 offset:576
	scratch_load_b128 v[84:87], off, off offset:304
	v_add_f64_e32 v[4:5], v[4:5], v[128:129]
	v_add_f64_e32 v[12:13], v[12:13], v[120:121]
	;; [unrolled: 18-line block ×5, first 2 shown]
	s_wait_loadcnt_dscnt 0xa00
	v_mul_f64_e32 v[120:121], v[8:9], v[70:71]
	v_mul_f64_e32 v[128:129], v[10:11], v[70:71]
	v_fmac_f64_e32 v[122:123], v[74:75], v[116:117]
	v_fma_f64 v[74:75], v[72:73], v[116:117], -v[118:119]
	ds_load_b128 v[70:73], v2 offset:688
	scratch_load_b128 v[116:119], off, off offset:416
	v_add_f64_e32 v[4:5], v[4:5], v[126:127]
	v_add_f64_e32 v[12:13], v[12:13], v[124:125]
	v_fmac_f64_e32 v[120:121], v[10:11], v[68:69]
	v_fma_f64 v[68:69], v[8:9], v[68:69], -v[128:129]
	ds_load_b128 v[8:11], v2 offset:704
	s_wait_loadcnt_dscnt 0xa01
	v_mul_f64_e32 v[124:125], v[70:71], v[106:107]
	v_mul_f64_e32 v[106:107], v[72:73], v[106:107]
	v_add_f64_e32 v[4:5], v[4:5], v[74:75]
	v_add_f64_e32 v[12:13], v[12:13], v[122:123]
	s_wait_loadcnt_dscnt 0x900
	v_mul_f64_e32 v[122:123], v[8:9], v[78:79]
	v_mul_f64_e32 v[74:75], v[10:11], v[78:79]
	v_fmac_f64_e32 v[124:125], v[72:73], v[104:105]
	v_fma_f64 v[72:73], v[70:71], v[104:105], -v[106:107]
	v_add_f64_e32 v[4:5], v[4:5], v[68:69]
	v_add_f64_e32 v[12:13], v[12:13], v[120:121]
	ds_load_b128 v[68:71], v2 offset:720
	v_fmac_f64_e32 v[122:123], v[10:11], v[76:77]
	v_fma_f64 v[76:77], v[8:9], v[76:77], -v[74:75]
	ds_load_b128 v[8:11], v2 offset:736
	s_wait_loadcnt_dscnt 0x700
	v_mul_f64_e32 v[104:105], v[8:9], v[86:87]
	v_mul_f64_e32 v[86:87], v[10:11], v[86:87]
	v_add_f64_e32 v[4:5], v[4:5], v[72:73]
	v_add_f64_e32 v[12:13], v[12:13], v[124:125]
	scratch_load_b128 v[72:75], off, off offset:16
	v_mul_f64_e32 v[78:79], v[68:69], v[82:83]
	v_mul_f64_e32 v[82:83], v[70:71], v[82:83]
	v_fmac_f64_e32 v[104:105], v[10:11], v[84:85]
	v_fma_f64 v[84:85], v[8:9], v[84:85], -v[86:87]
	ds_load_b128 v[8:11], v2 offset:768
	v_add_f64_e32 v[4:5], v[4:5], v[76:77]
	v_add_f64_e32 v[12:13], v[12:13], v[122:123]
	v_fmac_f64_e32 v[78:79], v[70:71], v[80:81]
	v_fma_f64 v[80:81], v[68:69], v[80:81], -v[82:83]
	ds_load_b128 v[68:71], v2 offset:752
	s_wait_loadcnt_dscnt 0x700
	v_mul_f64_e32 v[76:77], v[68:69], v[90:91]
	v_mul_f64_e32 v[82:83], v[70:71], v[90:91]
	v_add_f64_e32 v[12:13], v[12:13], v[78:79]
	v_add_f64_e32 v[4:5], v[4:5], v[80:81]
	s_wait_loadcnt 0x6
	v_mul_f64_e32 v[78:79], v[8:9], v[94:95]
	v_mul_f64_e32 v[80:81], v[10:11], v[94:95]
	v_fmac_f64_e32 v[76:77], v[70:71], v[88:89]
	v_fma_f64 v[82:83], v[68:69], v[88:89], -v[82:83]
	ds_load_b128 v[68:71], v2 offset:784
	v_add_f64_e32 v[12:13], v[12:13], v[104:105]
	v_add_f64_e32 v[4:5], v[4:5], v[84:85]
	v_fmac_f64_e32 v[78:79], v[10:11], v[92:93]
	v_fma_f64 v[80:81], v[8:9], v[92:93], -v[80:81]
	ds_load_b128 v[8:11], v2 offset:800
	s_wait_loadcnt_dscnt 0x501
	v_mul_f64_e32 v[84:85], v[68:69], v[98:99]
	v_mul_f64_e32 v[86:87], v[70:71], v[98:99]
	v_add_f64_e32 v[12:13], v[12:13], v[76:77]
	v_add_f64_e32 v[4:5], v[4:5], v[82:83]
	s_wait_loadcnt_dscnt 0x400
	v_mul_f64_e32 v[76:77], v[8:9], v[102:103]
	v_mul_f64_e32 v[82:83], v[10:11], v[102:103]
	v_fmac_f64_e32 v[84:85], v[70:71], v[96:97]
	v_fma_f64 v[86:87], v[68:69], v[96:97], -v[86:87]
	ds_load_b128 v[68:71], v2 offset:816
	v_add_f64_e32 v[12:13], v[12:13], v[78:79]
	v_add_f64_e32 v[4:5], v[4:5], v[80:81]
	v_fmac_f64_e32 v[76:77], v[10:11], v[100:101]
	v_fma_f64 v[82:83], v[8:9], v[100:101], -v[82:83]
	ds_load_b128 v[8:11], v2 offset:832
	s_wait_loadcnt_dscnt 0x301
	v_mul_f64_e32 v[78:79], v[68:69], v[110:111]
	v_mul_f64_e32 v[80:81], v[70:71], v[110:111]
	v_add_f64_e32 v[12:13], v[12:13], v[84:85]
	v_add_f64_e32 v[4:5], v[4:5], v[86:87]
	s_wait_loadcnt_dscnt 0x200
	v_mul_f64_e32 v[84:85], v[8:9], v[114:115]
	v_mul_f64_e32 v[86:87], v[10:11], v[114:115]
	v_fmac_f64_e32 v[78:79], v[70:71], v[108:109]
	v_fma_f64 v[80:81], v[68:69], v[108:109], -v[80:81]
	ds_load_b128 v[68:71], v2 offset:848
	v_add_f64_e32 v[12:13], v[12:13], v[76:77]
	v_add_f64_e32 v[4:5], v[4:5], v[82:83]
	s_wait_loadcnt_dscnt 0x100
	v_mul_f64_e32 v[76:77], v[68:69], v[118:119]
	v_mul_f64_e32 v[82:83], v[70:71], v[118:119]
	v_fmac_f64_e32 v[84:85], v[10:11], v[112:113]
	v_fma_f64 v[8:9], v[8:9], v[112:113], -v[86:87]
	v_add_f64_e32 v[10:11], v[12:13], v[78:79]
	v_add_f64_e32 v[4:5], v[4:5], v[80:81]
	v_fmac_f64_e32 v[76:77], v[70:71], v[116:117]
	v_fma_f64 v[12:13], v[68:69], v[116:117], -v[82:83]
	s_delay_alu instid0(VALU_DEP_3) | instskip(SKIP_1) | instid1(VALU_DEP_2)
	v_add_f64_e32 v[4:5], v[4:5], v[8:9]
	v_add_f64_e32 v[8:9], v[10:11], v[84:85]
	;; [unrolled: 1-line block ×3, first 2 shown]
	s_delay_alu instid0(VALU_DEP_2) | instskip(SKIP_1) | instid1(VALU_DEP_2)
	v_add_f64_e32 v[10:11], v[8:9], v[76:77]
	s_wait_loadcnt 0x0
	v_add_f64_e64 v[8:9], v[72:73], -v[4:5]
	s_delay_alu instid0(VALU_DEP_2)
	v_add_f64_e64 v[10:11], v[74:75], -v[10:11]
	scratch_store_b128 off, v[8:11], off offset:16
	s_wait_xcnt 0x0
	v_cmpx_ne_u32_e32 0, v1
	s_cbranch_execz .LBB90_175
; %bb.174:
	scratch_load_b128 v[8:11], off, off
	v_dual_mov_b32 v3, v2 :: v_dual_mov_b32 v4, v2
	v_mov_b32_e32 v5, v2
	scratch_store_b128 off, v[2:5], off
	s_wait_loadcnt 0x0
	ds_store_b128 v6, v[8:11]
.LBB90_175:
	s_wait_xcnt 0x0
	s_or_b32 exec_lo, exec_lo, s2
	s_wait_storecnt_dscnt 0x0
	s_barrier_signal -1
	s_barrier_wait -1
	s_clause 0x9
	scratch_load_b128 v[4:7], off, off offset:16
	scratch_load_b128 v[8:11], off, off offset:32
	scratch_load_b128 v[68:71], off, off offset:48
	scratch_load_b128 v[72:75], off, off offset:64
	scratch_load_b128 v[76:79], off, off offset:80
	scratch_load_b128 v[80:83], off, off offset:96
	scratch_load_b128 v[84:87], off, off offset:112
	scratch_load_b128 v[88:91], off, off offset:128
	scratch_load_b128 v[92:95], off, off offset:144
	scratch_load_b128 v[96:99], off, off offset:160
	ds_load_b128 v[100:103], v2 offset:448
	ds_load_b128 v[104:107], v2 offset:464
	s_clause 0x1
	scratch_load_b128 v[108:111], off, off
	scratch_load_b128 v[112:115], off, off offset:176
	v_lshl_add_u64 v[36:37], v[36:37], 4, s[4:5]
	s_and_b32 vcc_lo, exec_lo, s39
	s_wait_loadcnt_dscnt 0xb01
	v_mul_f64_e32 v[116:117], v[102:103], v[6:7]
	v_mul_f64_e32 v[118:119], v[100:101], v[6:7]
	s_wait_loadcnt_dscnt 0xa00
	v_mul_f64_e32 v[120:121], v[104:105], v[10:11]
	v_mul_f64_e32 v[122:123], v[106:107], v[10:11]
	ds_load_b128 v[10:13], v2 offset:480
	v_fma_f64 v[116:117], v[100:101], v[4:5], -v[116:117]
	v_fmac_f64_e32 v[118:119], v[102:103], v[4:5]
	scratch_load_b128 v[4:7], off, off offset:192
	ds_load_b128 v[100:103], v2 offset:496
	s_wait_loadcnt_dscnt 0xa01
	v_mul_f64_e32 v[124:125], v[10:11], v[70:71]
	v_fmac_f64_e32 v[120:121], v[106:107], v[8:9]
	v_fma_f64 v[122:123], v[104:105], v[8:9], -v[122:123]
	v_mul_f64_e32 v[8:9], v[12:13], v[70:71]
	scratch_load_b128 v[104:107], off, off offset:208
	v_add_f64_e32 v[70:71], 0, v[116:117]
	v_add_f64_e32 v[118:119], 0, v[118:119]
	s_wait_loadcnt_dscnt 0xa00
	v_mul_f64_e32 v[116:117], v[100:101], v[74:75]
	v_mul_f64_e32 v[74:75], v[102:103], v[74:75]
	v_fmac_f64_e32 v[124:125], v[12:13], v[68:69]
	v_fma_f64 v[12:13], v[10:11], v[68:69], -v[8:9]
	ds_load_b128 v[8:11], v2 offset:512
	v_add_f64_e32 v[122:123], v[70:71], v[122:123]
	scratch_load_b128 v[68:71], off, off offset:224
	v_add_f64_e32 v[118:119], v[118:119], v[120:121]
	v_fmac_f64_e32 v[116:117], v[102:103], v[72:73]
	v_fma_f64 v[120:121], v[100:101], v[72:73], -v[74:75]
	ds_load_b128 v[72:75], v2 offset:528
	s_wait_loadcnt_dscnt 0xa01
	v_mul_f64_e32 v[126:127], v[8:9], v[78:79]
	v_mul_f64_e32 v[78:79], v[10:11], v[78:79]
	scratch_load_b128 v[100:103], off, off offset:240
	v_add_f64_e32 v[12:13], v[122:123], v[12:13]
	s_wait_loadcnt_dscnt 0xa00
	v_mul_f64_e32 v[122:123], v[72:73], v[82:83]
	v_add_f64_e32 v[118:119], v[118:119], v[124:125]
	v_mul_f64_e32 v[82:83], v[74:75], v[82:83]
	v_fmac_f64_e32 v[126:127], v[10:11], v[76:77]
	v_fma_f64 v[124:125], v[8:9], v[76:77], -v[78:79]
	scratch_load_b128 v[76:79], off, off offset:256
	ds_load_b128 v[8:11], v2 offset:544
	v_add_f64_e32 v[12:13], v[12:13], v[120:121]
	v_fmac_f64_e32 v[122:123], v[74:75], v[80:81]
	v_add_f64_e32 v[116:117], v[118:119], v[116:117]
	v_fma_f64 v[118:119], v[72:73], v[80:81], -v[82:83]
	ds_load_b128 v[72:75], v2 offset:560
	s_wait_loadcnt_dscnt 0xa01
	v_mul_f64_e32 v[120:121], v[8:9], v[86:87]
	v_mul_f64_e32 v[86:87], v[10:11], v[86:87]
	scratch_load_b128 v[80:83], off, off offset:272
	v_add_f64_e32 v[12:13], v[12:13], v[124:125]
	s_wait_loadcnt_dscnt 0xa00
	v_mul_f64_e32 v[124:125], v[72:73], v[90:91]
	v_add_f64_e32 v[116:117], v[116:117], v[126:127]
	v_mul_f64_e32 v[90:91], v[74:75], v[90:91]
	v_fmac_f64_e32 v[120:121], v[10:11], v[84:85]
	v_fma_f64 v[126:127], v[8:9], v[84:85], -v[86:87]
	scratch_load_b128 v[84:87], off, off offset:288
	ds_load_b128 v[8:11], v2 offset:576
	v_add_f64_e32 v[12:13], v[12:13], v[118:119]
	v_fmac_f64_e32 v[124:125], v[74:75], v[88:89]
	v_add_f64_e32 v[116:117], v[116:117], v[122:123]
	v_fma_f64 v[118:119], v[72:73], v[88:89], -v[90:91]
	ds_load_b128 v[72:75], v2 offset:592
	s_wait_loadcnt_dscnt 0xa01
	v_mul_f64_e32 v[122:123], v[8:9], v[94:95]
	v_mul_f64_e32 v[94:95], v[10:11], v[94:95]
	scratch_load_b128 v[88:91], off, off offset:304
	v_add_f64_e32 v[12:13], v[12:13], v[126:127]
	v_add_f64_e32 v[116:117], v[116:117], v[120:121]
	s_wait_loadcnt_dscnt 0xa00
	v_mul_f64_e32 v[120:121], v[72:73], v[98:99]
	v_mul_f64_e32 v[98:99], v[74:75], v[98:99]
	v_fmac_f64_e32 v[122:123], v[10:11], v[92:93]
	v_fma_f64 v[126:127], v[8:9], v[92:93], -v[94:95]
	scratch_load_b128 v[92:95], off, off offset:320
	ds_load_b128 v[8:11], v2 offset:608
	v_add_f64_e32 v[12:13], v[12:13], v[118:119]
	v_add_f64_e32 v[116:117], v[116:117], v[124:125]
	v_fmac_f64_e32 v[120:121], v[74:75], v[96:97]
	v_fma_f64 v[118:119], v[72:73], v[96:97], -v[98:99]
	ds_load_b128 v[72:75], v2 offset:624
	s_wait_loadcnt_dscnt 0x901
	v_mul_f64_e32 v[124:125], v[8:9], v[114:115]
	v_mul_f64_e32 v[114:115], v[10:11], v[114:115]
	scratch_load_b128 v[96:99], off, off offset:336
	v_add_f64_e32 v[12:13], v[12:13], v[126:127]
	v_add_f64_e32 v[116:117], v[116:117], v[122:123]
	v_fmac_f64_e32 v[124:125], v[10:11], v[112:113]
	v_fma_f64 v[112:113], v[8:9], v[112:113], -v[114:115]
	s_delay_alu instid0(VALU_DEP_4)
	v_add_f64_e32 v[118:119], v[12:13], v[118:119]
	ds_load_b128 v[10:13], v2 offset:640
	s_wait_loadcnt_dscnt 0x901
	v_mul_f64_e32 v[122:123], v[72:73], v[6:7]
	v_mul_f64_e32 v[114:115], v[74:75], v[6:7]
	scratch_load_b128 v[6:9], off, off offset:352
	v_add_f64_e32 v[116:117], v[116:117], v[120:121]
	v_add_f64_e32 v[118:119], v[118:119], v[112:113]
	v_fmac_f64_e32 v[122:123], v[74:75], v[4:5]
	v_fma_f64 v[4:5], v[72:73], v[4:5], -v[114:115]
	ds_load_b128 v[72:75], v2 offset:656
	s_wait_loadcnt_dscnt 0x901
	v_mul_f64_e32 v[120:121], v[10:11], v[106:107]
	v_mul_f64_e32 v[106:107], v[12:13], v[106:107]
	scratch_load_b128 v[112:115], off, off offset:368
	v_add_f64_e32 v[116:117], v[116:117], v[124:125]
	s_wait_loadcnt_dscnt 0x900
	v_mul_f64_e32 v[124:125], v[72:73], v[70:71]
	v_mul_f64_e32 v[70:71], v[74:75], v[70:71]
	v_add_f64_e32 v[4:5], v[118:119], v[4:5]
	v_fmac_f64_e32 v[120:121], v[12:13], v[104:105]
	v_fma_f64 v[126:127], v[10:11], v[104:105], -v[106:107]
	scratch_load_b128 v[10:13], off, off offset:384
	v_add_f64_e32 v[116:117], v[116:117], v[122:123]
	ds_load_b128 v[104:107], v2 offset:672
	v_fmac_f64_e32 v[124:125], v[74:75], v[68:69]
	v_fma_f64 v[118:119], v[72:73], v[68:69], -v[70:71]
	ds_load_b128 v[68:71], v2 offset:688
	s_wait_loadcnt_dscnt 0x901
	v_mul_f64_e32 v[122:123], v[104:105], v[102:103]
	v_mul_f64_e32 v[102:103], v[106:107], v[102:103]
	v_add_f64_e32 v[4:5], v[4:5], v[126:127]
	scratch_load_b128 v[72:75], off, off offset:400
	v_add_f64_e32 v[116:117], v[116:117], v[120:121]
	s_wait_loadcnt_dscnt 0x900
	v_mul_f64_e32 v[126:127], v[68:69], v[78:79]
	v_mul_f64_e32 v[78:79], v[70:71], v[78:79]
	v_fmac_f64_e32 v[122:123], v[106:107], v[100:101]
	v_fma_f64 v[120:121], v[104:105], v[100:101], -v[102:103]
	scratch_load_b128 v[100:103], off, off offset:416
	v_add_f64_e32 v[4:5], v[4:5], v[118:119]
	v_add_f64_e32 v[116:117], v[116:117], v[124:125]
	ds_load_b128 v[104:107], v2 offset:704
	v_fmac_f64_e32 v[126:127], v[70:71], v[76:77]
	v_fma_f64 v[76:77], v[68:69], v[76:77], -v[78:79]
	ds_load_b128 v[68:71], v2 offset:720
	s_wait_loadcnt_dscnt 0x901
	v_mul_f64_e32 v[118:119], v[104:105], v[82:83]
	v_mul_f64_e32 v[78:79], v[106:107], v[82:83]
	v_add_f64_e32 v[4:5], v[4:5], v[120:121]
	v_add_f64_e32 v[82:83], v[116:117], v[122:123]
	s_wait_loadcnt_dscnt 0x800
	v_mul_f64_e32 v[116:117], v[68:69], v[86:87]
	v_mul_f64_e32 v[86:87], v[70:71], v[86:87]
	v_fmac_f64_e32 v[118:119], v[106:107], v[80:81]
	v_fma_f64 v[104:105], v[104:105], v[80:81], -v[78:79]
	v_add_f64_e32 v[4:5], v[4:5], v[76:77]
	v_add_f64_e32 v[106:107], v[82:83], v[126:127]
	ds_load_b128 v[76:79], v2 offset:736
	ds_load_b128 v[80:83], v2 offset:752
	v_fmac_f64_e32 v[116:117], v[70:71], v[84:85]
	v_fma_f64 v[68:69], v[68:69], v[84:85], -v[86:87]
	s_wait_loadcnt_dscnt 0x701
	v_mul_f64_e32 v[120:121], v[76:77], v[90:91]
	v_mul_f64_e32 v[90:91], v[78:79], v[90:91]
	v_add_f64_e32 v[4:5], v[4:5], v[104:105]
	v_add_f64_e32 v[70:71], v[106:107], v[118:119]
	s_wait_loadcnt_dscnt 0x600
	v_mul_f64_e32 v[84:85], v[80:81], v[94:95]
	v_mul_f64_e32 v[86:87], v[82:83], v[94:95]
	v_fmac_f64_e32 v[120:121], v[78:79], v[88:89]
	v_fma_f64 v[88:89], v[76:77], v[88:89], -v[90:91]
	v_add_f64_e32 v[4:5], v[4:5], v[68:69]
	v_add_f64_e32 v[90:91], v[70:71], v[116:117]
	ds_load_b128 v[68:71], v2 offset:768
	ds_load_b128 v[76:79], v2 offset:784
	v_fmac_f64_e32 v[84:85], v[82:83], v[92:93]
	v_fma_f64 v[80:81], v[80:81], v[92:93], -v[86:87]
	s_wait_loadcnt_dscnt 0x501
	v_mul_f64_e32 v[94:95], v[68:69], v[98:99]
	v_mul_f64_e32 v[98:99], v[70:71], v[98:99]
	v_add_f64_e32 v[4:5], v[4:5], v[88:89]
	v_add_f64_e32 v[82:83], v[90:91], v[120:121]
	s_delay_alu instid0(VALU_DEP_4) | instskip(NEXT) | instid1(VALU_DEP_4)
	v_fmac_f64_e32 v[94:95], v[70:71], v[96:97]
	v_fma_f64 v[88:89], v[68:69], v[96:97], -v[98:99]
	s_wait_loadcnt_dscnt 0x400
	v_mul_f64_e32 v[86:87], v[76:77], v[8:9]
	v_mul_f64_e32 v[8:9], v[78:79], v[8:9]
	v_add_f64_e32 v[4:5], v[4:5], v[80:81]
	v_add_f64_e32 v[84:85], v[82:83], v[84:85]
	ds_load_b128 v[68:71], v2 offset:800
	ds_load_b128 v[80:83], v2 offset:816
	v_fmac_f64_e32 v[86:87], v[78:79], v[6:7]
	v_fma_f64 v[6:7], v[76:77], v[6:7], -v[8:9]
	s_wait_loadcnt_dscnt 0x301
	v_mul_f64_e32 v[90:91], v[68:69], v[114:115]
	v_mul_f64_e32 v[92:93], v[70:71], v[114:115]
	v_add_f64_e32 v[4:5], v[4:5], v[88:89]
	v_add_f64_e32 v[8:9], v[84:85], v[94:95]
	s_wait_loadcnt_dscnt 0x200
	v_mul_f64_e32 v[76:77], v[80:81], v[12:13]
	v_mul_f64_e32 v[12:13], v[82:83], v[12:13]
	v_fmac_f64_e32 v[90:91], v[70:71], v[112:113]
	v_fma_f64 v[78:79], v[68:69], v[112:113], -v[92:93]
	v_add_f64_e32 v[84:85], v[4:5], v[6:7]
	v_add_f64_e32 v[8:9], v[8:9], v[86:87]
	ds_load_b128 v[4:7], v2 offset:832
	ds_load_b128 v[68:71], v2 offset:848
	s_wait_loadcnt_dscnt 0x101
	v_mul_f64_e32 v[2:3], v[4:5], v[74:75]
	v_mul_f64_e32 v[74:75], v[6:7], v[74:75]
	v_fmac_f64_e32 v[76:77], v[82:83], v[10:11]
	v_fma_f64 v[10:11], v[80:81], v[10:11], -v[12:13]
	v_add_f64_e32 v[12:13], v[84:85], v[78:79]
	v_add_f64_e32 v[8:9], v[8:9], v[90:91]
	v_lshl_add_u64 v[84:85], v[18:19], 4, s[4:5]
	v_lshl_add_u64 v[82:83], v[20:21], 4, s[4:5]
	;; [unrolled: 1-line block ×4, first 2 shown]
	s_wait_loadcnt_dscnt 0x0
	v_mul_f64_e32 v[78:79], v[68:69], v[102:103]
	v_mul_f64_e32 v[80:81], v[70:71], v[102:103]
	v_fmac_f64_e32 v[2:3], v[6:7], v[72:73]
	v_fma_f64 v[4:5], v[4:5], v[72:73], -v[74:75]
	v_lshl_add_u64 v[74:75], v[28:29], 4, s[4:5]
	v_add_f64_e32 v[6:7], v[12:13], v[10:11]
	v_add_f64_e32 v[8:9], v[8:9], v[76:77]
	v_lshl_add_u64 v[76:77], v[26:27], 4, s[4:5]
	v_lshl_add_u64 v[72:73], v[30:31], 4, s[4:5]
	;; [unrolled: 1-line block ×6, first 2 shown]
	v_fmac_f64_e32 v[78:79], v[70:71], v[100:101]
	v_fma_f64 v[10:11], v[68:69], v[100:101], -v[80:81]
	v_lshl_add_u64 v[80:81], v[22:23], 4, s[4:5]
	v_lshl_add_u64 v[70:71], v[32:33], 4, s[4:5]
	;; [unrolled: 1-line block ×3, first 2 shown]
	v_add_f64_e32 v[4:5], v[6:7], v[4:5]
	v_add_f64_e32 v[2:3], v[8:9], v[2:3]
	v_lshl_add_u64 v[34:35], v[38:39], 4, s[4:5]
	v_lshl_add_u64 v[32:33], v[40:41], 4, s[4:5]
	;; [unrolled: 1-line block ×5, first 2 shown]
	v_add_f64_e32 v[4:5], v[4:5], v[10:11]
	v_add_f64_e32 v[2:3], v[2:3], v[78:79]
	v_lshl_add_u64 v[78:79], v[24:25], 4, s[4:5]
	v_lshl_add_u64 v[24:25], v[48:49], 4, s[4:5]
	v_lshl_add_u64 v[10:11], v[58:59], 4, s[4:5]
	v_add_f64_e64 v[86:87], v[108:109], -v[4:5]
	v_add_f64_e64 v[88:89], v[110:111], -v[2:3]
	v_lshl_add_u64 v[4:5], v[64:65], 4, s[4:5]
	v_lshl_add_u64 v[2:3], v[66:67], 4, s[4:5]
	scratch_store_b128 off, v[86:89], off
	s_cbranch_vccz .LBB90_228
; %bb.176:
	v_mov_b32_e32 v38, 0
	s_load_b64 s[2:3], s[0:1], 0x4
	v_bfe_u32 v40, v0, 10, 10
	v_bfe_u32 v0, v0, 20, 10
	global_load_b32 v39, v38, s[8:9] offset:100
	s_wait_kmcnt 0x0
	s_lshr_b32 s0, s2, 16
	v_mul_u32_u24_e32 v40, s3, v40
	s_mul_i32 s0, s0, s3
	s_delay_alu instid0(SALU_CYCLE_1) | instskip(NEXT) | instid1(VALU_DEP_1)
	v_mul_u32_u24_e32 v1, s0, v1
	v_add3_u32 v0, v1, v40, v0
	s_delay_alu instid0(VALU_DEP_1)
	v_lshl_add_u32 v0, v0, 4, 0x368
	s_wait_loadcnt 0x0
	v_cmp_ne_u32_e32 vcc_lo, 26, v39
	s_cbranch_vccz .LBB90_178
; %bb.177:
	v_lshlrev_b32_e32 v1, 4, v39
	s_clause 0x1
	scratch_load_b128 v[40:43], off, s15
	scratch_load_b128 v[44:47], v1, off offset:-16
	s_wait_loadcnt 0x1
	ds_store_2addr_b64 v0, v[40:41], v[42:43] offset1:1
	s_wait_loadcnt 0x0
	s_clause 0x1
	scratch_store_b128 off, v[44:47], s15
	scratch_store_b128 v1, v[40:43], off offset:-16
.LBB90_178:
	global_load_b32 v1, v38, s[8:9] offset:96
	s_wait_loadcnt 0x0
	v_cmp_eq_u32_e32 vcc_lo, 25, v1
	s_cbranch_vccnz .LBB90_180
; %bb.179:
	v_lshlrev_b32_e32 v1, 4, v1
	s_clause 0x1
	scratch_load_b128 v[38:41], off, s17
	scratch_load_b128 v[42:45], v1, off offset:-16
	s_wait_loadcnt 0x1
	ds_store_2addr_b64 v0, v[38:39], v[40:41] offset1:1
	s_wait_loadcnt 0x0
	s_clause 0x1
	scratch_store_b128 off, v[42:45], s17
	scratch_store_b128 v1, v[38:41], off offset:-16
.LBB90_180:
	s_wait_xcnt 0x0
	v_mov_b32_e32 v1, 0
	global_load_b32 v38, v1, s[8:9] offset:92
	s_wait_loadcnt 0x0
	v_cmp_eq_u32_e32 vcc_lo, 24, v38
	s_cbranch_vccnz .LBB90_182
; %bb.181:
	v_lshlrev_b32_e32 v38, 4, v38
	s_delay_alu instid0(VALU_DEP_1)
	v_mov_b32_e32 v46, v38
	s_clause 0x1
	scratch_load_b128 v[38:41], off, s19
	scratch_load_b128 v[42:45], v46, off offset:-16
	s_wait_loadcnt 0x1
	ds_store_2addr_b64 v0, v[38:39], v[40:41] offset1:1
	s_wait_loadcnt 0x0
	s_clause 0x1
	scratch_store_b128 off, v[42:45], s19
	scratch_store_b128 v46, v[38:41], off offset:-16
.LBB90_182:
	global_load_b32 v1, v1, s[8:9] offset:88
	s_wait_loadcnt 0x0
	v_cmp_eq_u32_e32 vcc_lo, 23, v1
	s_cbranch_vccnz .LBB90_184
; %bb.183:
	s_wait_xcnt 0x0
	v_lshlrev_b32_e32 v1, 4, v1
	s_clause 0x1
	scratch_load_b128 v[38:41], off, s20
	scratch_load_b128 v[42:45], v1, off offset:-16
	s_wait_loadcnt 0x1
	ds_store_2addr_b64 v0, v[38:39], v[40:41] offset1:1
	s_wait_loadcnt 0x0
	s_clause 0x1
	scratch_store_b128 off, v[42:45], s20
	scratch_store_b128 v1, v[38:41], off offset:-16
.LBB90_184:
	s_wait_xcnt 0x0
	v_mov_b32_e32 v1, 0
	global_load_b32 v38, v1, s[8:9] offset:84
	s_wait_loadcnt 0x0
	v_cmp_eq_u32_e32 vcc_lo, 22, v38
	s_cbranch_vccnz .LBB90_186
; %bb.185:
	v_lshlrev_b32_e32 v38, 4, v38
	s_delay_alu instid0(VALU_DEP_1)
	v_mov_b32_e32 v46, v38
	s_clause 0x1
	scratch_load_b128 v[38:41], off, s21
	scratch_load_b128 v[42:45], v46, off offset:-16
	s_wait_loadcnt 0x1
	ds_store_2addr_b64 v0, v[38:39], v[40:41] offset1:1
	s_wait_loadcnt 0x0
	s_clause 0x1
	scratch_store_b128 off, v[42:45], s21
	scratch_store_b128 v46, v[38:41], off offset:-16
.LBB90_186:
	global_load_b32 v1, v1, s[8:9] offset:80
	s_wait_loadcnt 0x0
	v_cmp_eq_u32_e32 vcc_lo, 21, v1
	s_cbranch_vccnz .LBB90_188
; %bb.187:
	s_wait_xcnt 0x0
	v_lshlrev_b32_e32 v1, 4, v1
	s_clause 0x1
	scratch_load_b128 v[38:41], off, s22
	scratch_load_b128 v[42:45], v1, off offset:-16
	s_wait_loadcnt 0x1
	ds_store_2addr_b64 v0, v[38:39], v[40:41] offset1:1
	s_wait_loadcnt 0x0
	s_clause 0x1
	scratch_store_b128 off, v[42:45], s22
	scratch_store_b128 v1, v[38:41], off offset:-16
.LBB90_188:
	;; [unrolled: 37-line block ×11, first 2 shown]
	s_wait_xcnt 0x0
	v_mov_b32_e32 v1, 0
	global_load_b32 v38, v1, s[8:9] offset:4
	s_wait_loadcnt 0x0
	v_cmp_eq_u32_e32 vcc_lo, 2, v38
	s_cbranch_vccnz .LBB90_226
; %bb.225:
	v_lshlrev_b32_e32 v38, 4, v38
	s_delay_alu instid0(VALU_DEP_1)
	v_mov_b32_e32 v46, v38
	s_clause 0x1
	scratch_load_b128 v[38:41], off, s18
	scratch_load_b128 v[42:45], v46, off offset:-16
	s_wait_loadcnt 0x1
	ds_store_2addr_b64 v0, v[38:39], v[40:41] offset1:1
	s_wait_loadcnt 0x0
	s_clause 0x1
	scratch_store_b128 off, v[42:45], s18
	scratch_store_b128 v46, v[38:41], off offset:-16
.LBB90_226:
	global_load_b32 v1, v1, s[8:9]
	s_wait_loadcnt 0x0
	v_cmp_eq_u32_e32 vcc_lo, 1, v1
	s_cbranch_vccnz .LBB90_228
; %bb.227:
	s_wait_xcnt 0x0
	v_lshlrev_b32_e32 v1, 4, v1
	scratch_load_b128 v[38:41], off, off
	scratch_load_b128 v[42:45], v1, off offset:-16
	s_wait_loadcnt 0x1
	ds_store_2addr_b64 v0, v[38:39], v[40:41] offset1:1
	s_wait_loadcnt 0x0
	scratch_store_b128 off, v[42:45], off
	scratch_store_b128 v1, v[38:41], off offset:-16
.LBB90_228:
	scratch_load_b128 v[38:41], off, off
	s_wait_loadcnt 0x0
	flat_store_b128 v[14:15], v[38:41]
	scratch_load_b128 v[38:41], off, s18
	s_wait_loadcnt 0x0
	flat_store_b128 v[16:17], v[38:41]
	scratch_load_b128 v[14:17], off, s16
	;; [unrolled: 3-line block ×26, first 2 shown]
	s_wait_loadcnt 0x0
	flat_store_b128 v[2:3], v[4:7]
	s_sendmsg sendmsg(MSG_DEALLOC_VGPRS)
	s_endpgm
	.section	.rodata,"a",@progbits
	.p2align	6, 0x0
	.amdhsa_kernel _ZN9rocsolver6v33100L18getri_kernel_smallILi27E19rocblas_complex_numIdEPKPS3_EEvT1_iilPiilS8_bb
		.amdhsa_group_segment_fixed_size 1896
		.amdhsa_private_segment_fixed_size 448
		.amdhsa_kernarg_size 60
		.amdhsa_user_sgpr_count 4
		.amdhsa_user_sgpr_dispatch_ptr 1
		.amdhsa_user_sgpr_queue_ptr 0
		.amdhsa_user_sgpr_kernarg_segment_ptr 1
		.amdhsa_user_sgpr_dispatch_id 0
		.amdhsa_user_sgpr_kernarg_preload_length 0
		.amdhsa_user_sgpr_kernarg_preload_offset 0
		.amdhsa_user_sgpr_private_segment_size 0
		.amdhsa_wavefront_size32 1
		.amdhsa_uses_dynamic_stack 0
		.amdhsa_enable_private_segment 1
		.amdhsa_system_sgpr_workgroup_id_x 1
		.amdhsa_system_sgpr_workgroup_id_y 0
		.amdhsa_system_sgpr_workgroup_id_z 0
		.amdhsa_system_sgpr_workgroup_info 0
		.amdhsa_system_vgpr_workitem_id 2
		.amdhsa_next_free_vgpr 136
		.amdhsa_next_free_sgpr 51
		.amdhsa_named_barrier_count 0
		.amdhsa_reserve_vcc 1
		.amdhsa_float_round_mode_32 0
		.amdhsa_float_round_mode_16_64 0
		.amdhsa_float_denorm_mode_32 3
		.amdhsa_float_denorm_mode_16_64 3
		.amdhsa_fp16_overflow 0
		.amdhsa_memory_ordered 1
		.amdhsa_forward_progress 1
		.amdhsa_inst_pref_size 255
		.amdhsa_round_robin_scheduling 0
		.amdhsa_exception_fp_ieee_invalid_op 0
		.amdhsa_exception_fp_denorm_src 0
		.amdhsa_exception_fp_ieee_div_zero 0
		.amdhsa_exception_fp_ieee_overflow 0
		.amdhsa_exception_fp_ieee_underflow 0
		.amdhsa_exception_fp_ieee_inexact 0
		.amdhsa_exception_int_div_zero 0
	.end_amdhsa_kernel
	.section	.text._ZN9rocsolver6v33100L18getri_kernel_smallILi27E19rocblas_complex_numIdEPKPS3_EEvT1_iilPiilS8_bb,"axG",@progbits,_ZN9rocsolver6v33100L18getri_kernel_smallILi27E19rocblas_complex_numIdEPKPS3_EEvT1_iilPiilS8_bb,comdat
.Lfunc_end90:
	.size	_ZN9rocsolver6v33100L18getri_kernel_smallILi27E19rocblas_complex_numIdEPKPS3_EEvT1_iilPiilS8_bb, .Lfunc_end90-_ZN9rocsolver6v33100L18getri_kernel_smallILi27E19rocblas_complex_numIdEPKPS3_EEvT1_iilPiilS8_bb
                                        ; -- End function
	.set _ZN9rocsolver6v33100L18getri_kernel_smallILi27E19rocblas_complex_numIdEPKPS3_EEvT1_iilPiilS8_bb.num_vgpr, 136
	.set _ZN9rocsolver6v33100L18getri_kernel_smallILi27E19rocblas_complex_numIdEPKPS3_EEvT1_iilPiilS8_bb.num_agpr, 0
	.set _ZN9rocsolver6v33100L18getri_kernel_smallILi27E19rocblas_complex_numIdEPKPS3_EEvT1_iilPiilS8_bb.numbered_sgpr, 51
	.set _ZN9rocsolver6v33100L18getri_kernel_smallILi27E19rocblas_complex_numIdEPKPS3_EEvT1_iilPiilS8_bb.num_named_barrier, 0
	.set _ZN9rocsolver6v33100L18getri_kernel_smallILi27E19rocblas_complex_numIdEPKPS3_EEvT1_iilPiilS8_bb.private_seg_size, 448
	.set _ZN9rocsolver6v33100L18getri_kernel_smallILi27E19rocblas_complex_numIdEPKPS3_EEvT1_iilPiilS8_bb.uses_vcc, 1
	.set _ZN9rocsolver6v33100L18getri_kernel_smallILi27E19rocblas_complex_numIdEPKPS3_EEvT1_iilPiilS8_bb.uses_flat_scratch, 1
	.set _ZN9rocsolver6v33100L18getri_kernel_smallILi27E19rocblas_complex_numIdEPKPS3_EEvT1_iilPiilS8_bb.has_dyn_sized_stack, 0
	.set _ZN9rocsolver6v33100L18getri_kernel_smallILi27E19rocblas_complex_numIdEPKPS3_EEvT1_iilPiilS8_bb.has_recursion, 0
	.set _ZN9rocsolver6v33100L18getri_kernel_smallILi27E19rocblas_complex_numIdEPKPS3_EEvT1_iilPiilS8_bb.has_indirect_call, 0
	.section	.AMDGPU.csdata,"",@progbits
; Kernel info:
; codeLenInByte = 35268
; TotalNumSgprs: 53
; NumVgprs: 136
; ScratchSize: 448
; MemoryBound: 0
; FloatMode: 240
; IeeeMode: 1
; LDSByteSize: 1896 bytes/workgroup (compile time only)
; SGPRBlocks: 0
; VGPRBlocks: 8
; NumSGPRsForWavesPerEU: 53
; NumVGPRsForWavesPerEU: 136
; NamedBarCnt: 0
; Occupancy: 7
; WaveLimiterHint : 1
; COMPUTE_PGM_RSRC2:SCRATCH_EN: 1
; COMPUTE_PGM_RSRC2:USER_SGPR: 4
; COMPUTE_PGM_RSRC2:TRAP_HANDLER: 0
; COMPUTE_PGM_RSRC2:TGID_X_EN: 1
; COMPUTE_PGM_RSRC2:TGID_Y_EN: 0
; COMPUTE_PGM_RSRC2:TGID_Z_EN: 0
; COMPUTE_PGM_RSRC2:TIDIG_COMP_CNT: 2
	.section	.text._ZN9rocsolver6v33100L18getri_kernel_smallILi28E19rocblas_complex_numIdEPKPS3_EEvT1_iilPiilS8_bb,"axG",@progbits,_ZN9rocsolver6v33100L18getri_kernel_smallILi28E19rocblas_complex_numIdEPKPS3_EEvT1_iilPiilS8_bb,comdat
	.globl	_ZN9rocsolver6v33100L18getri_kernel_smallILi28E19rocblas_complex_numIdEPKPS3_EEvT1_iilPiilS8_bb ; -- Begin function _ZN9rocsolver6v33100L18getri_kernel_smallILi28E19rocblas_complex_numIdEPKPS3_EEvT1_iilPiilS8_bb
	.p2align	8
	.type	_ZN9rocsolver6v33100L18getri_kernel_smallILi28E19rocblas_complex_numIdEPKPS3_EEvT1_iilPiilS8_bb,@function
_ZN9rocsolver6v33100L18getri_kernel_smallILi28E19rocblas_complex_numIdEPKPS3_EEvT1_iilPiilS8_bb: ; @_ZN9rocsolver6v33100L18getri_kernel_smallILi28E19rocblas_complex_numIdEPKPS3_EEvT1_iilPiilS8_bb
; %bb.0:
	v_and_b32_e32 v1, 0x3ff, v0
	s_mov_b32 s4, exec_lo
	s_delay_alu instid0(VALU_DEP_1)
	v_cmpx_gt_u32_e32 28, v1
	s_cbranch_execz .LBB91_126
; %bb.1:
	s_clause 0x1
	s_load_b32 s16, s[2:3], 0x38
	s_load_b64 s[8:9], s[2:3], 0x0
	s_getreg_b32 s6, hwreg(HW_REG_IB_STS2, 6, 4)
	s_wait_kmcnt 0x0
	s_bitcmp1_b32 s16, 8
	s_cselect_b32 s40, -1, 0
	s_bfe_u32 s4, ttmp6, 0x4000c
	s_and_b32 s5, ttmp6, 15
	s_add_co_i32 s4, s4, 1
	s_delay_alu instid0(SALU_CYCLE_1) | instskip(NEXT) | instid1(SALU_CYCLE_1)
	s_mul_i32 s4, ttmp9, s4
	s_add_co_i32 s5, s5, s4
	s_cmp_eq_u32 s6, 0
	s_cselect_b32 s10, ttmp9, s5
	s_load_b128 s[4:7], s[2:3], 0x28
	s_ashr_i32 s11, s10, 31
	s_delay_alu instid0(SALU_CYCLE_1) | instskip(NEXT) | instid1(SALU_CYCLE_1)
	s_lshl_b64 s[12:13], s[10:11], 3
	s_add_nc_u64 s[8:9], s[8:9], s[12:13]
	s_load_b64 s[14:15], s[8:9], 0x0
	s_wait_xcnt 0x0
	s_bfe_u32 s8, s16, 0x10008
	s_delay_alu instid0(SALU_CYCLE_1)
	s_cmp_eq_u32 s8, 0
                                        ; implicit-def: $sgpr8_sgpr9
	s_cbranch_scc1 .LBB91_3
; %bb.2:
	s_load_b96 s[16:18], s[2:3], 0x18
	s_wait_kmcnt 0x0
	s_mul_u64 s[4:5], s[4:5], s[10:11]
	s_delay_alu instid0(SALU_CYCLE_1) | instskip(SKIP_4) | instid1(SALU_CYCLE_1)
	s_lshl_b64 s[4:5], s[4:5], 2
	s_ashr_i32 s9, s18, 31
	s_mov_b32 s8, s18
	s_add_nc_u64 s[4:5], s[16:17], s[4:5]
	s_lshl_b64 s[8:9], s[8:9], 2
	s_add_nc_u64 s[8:9], s[4:5], s[8:9]
.LBB91_3:
	s_clause 0x1
	s_load_b64 s[12:13], s[2:3], 0x8
	s_load_b32 s41, s[2:3], 0x38
	v_dual_mov_b32 v71, 0 :: v_dual_lshlrev_b32 v70, 4, v1
	s_movk_i32 s42, 0x120
	s_movk_i32 s43, 0x130
	;; [unrolled: 1-line block ×10, first 2 shown]
	s_mov_b32 s18, 16
	s_mov_b32 s16, 32
	s_movk_i32 s39, 0x50
	s_movk_i32 s38, 0x60
	;; [unrolled: 1-line block ×4, first 2 shown]
	s_wait_kmcnt 0x0
	s_ashr_i32 s3, s12, 31
	s_mov_b32 s2, s12
	v_add3_u32 v18, s13, s13, v1
	s_lshl_b64 s[2:3], s[2:3], 4
	s_mov_b32 s12, 64
	s_add_nc_u64 s[4:5], s[14:15], s[2:3]
	s_ashr_i32 s3, s13, 31
	flat_load_b128 v[2:5], v1, s[4:5] scale_offset
	v_add_nc_u64_e32 v[14:15], s[4:5], v[70:71]
	s_mov_b32 s2, s13
	v_add_nc_u32_e32 v20, s13, v18
	s_mov_b32 s14, 48
	s_movk_i32 s35, 0x90
	s_movk_i32 s34, 0xa0
	;; [unrolled: 1-line block ×3, first 2 shown]
	v_lshl_add_u64 v[16:17], s[2:3], 4, v[14:15]
	v_add_nc_u32_e32 v22, s13, v20
	s_movk_i32 s31, 0xc0
	s_movk_i32 s30, 0xd0
	;; [unrolled: 1-line block ×4, first 2 shown]
	v_add_nc_u32_e32 v24, s13, v22
	s_movk_i32 s27, 0x100
	s_movk_i32 s26, 0x110
	s_mov_b32 s25, s42
	s_mov_b32 s24, s43
	v_add_nc_u32_e32 v26, s13, v24
	s_mov_b32 s23, s44
	s_mov_b32 s22, s45
	;; [unrolled: 1-line block ×4, first 2 shown]
	v_add_nc_u32_e32 v28, s13, v26
	s_mov_b32 s19, s48
	s_mov_b32 s17, s49
	s_mov_b32 s15, s50
	s_bitcmp0_b32 s41, 0
	v_add_nc_u32_e32 v30, s13, v28
	s_mov_b32 s3, -1
	s_delay_alu instid0(VALU_DEP_1) | instskip(NEXT) | instid1(VALU_DEP_1)
	v_add_nc_u32_e32 v32, s13, v30
	v_add_nc_u32_e32 v34, s13, v32
	s_delay_alu instid0(VALU_DEP_1) | instskip(NEXT) | instid1(VALU_DEP_1)
	v_add_nc_u32_e32 v36, s13, v34
	v_add_nc_u32_e32 v38, s13, v36
	;; [unrolled: 3-line block ×9, first 2 shown]
	s_delay_alu instid0(VALU_DEP_1)
	v_add_nc_u32_e32 v68, s13, v66
	s_mov_b32 s13, s51
	s_wait_loadcnt_dscnt 0x0
	scratch_store_b128 off, v[2:5], off
	flat_load_b128 v[2:5], v[16:17]
	s_wait_loadcnt_dscnt 0x0
	scratch_store_b128 off, v[2:5], off offset:16
	flat_load_b128 v[2:5], v18, s[4:5] scale_offset
	s_wait_loadcnt_dscnt 0x0
	scratch_store_b128 off, v[2:5], off offset:32
	flat_load_b128 v[2:5], v20, s[4:5] scale_offset
	;; [unrolled: 3-line block ×26, first 2 shown]
	s_wait_loadcnt_dscnt 0x0
	scratch_store_b128 off, v[2:5], off offset:432
	s_cbranch_scc1 .LBB91_124
; %bb.4:
	v_cmp_eq_u32_e64 s2, 0, v1
	s_wait_xcnt 0x0
	s_and_saveexec_b32 s3, s2
; %bb.5:
	v_mov_b32_e32 v2, 0
	ds_store_b32 v2, v2 offset:896
; %bb.6:
	s_or_b32 exec_lo, exec_lo, s3
	s_wait_storecnt_dscnt 0x0
	s_barrier_signal -1
	s_barrier_wait -1
	scratch_load_b128 v[2:5], v1, off scale_offset
	s_wait_loadcnt 0x0
	v_cmp_eq_f64_e32 vcc_lo, 0, v[2:3]
	v_cmp_eq_f64_e64 s3, 0, v[4:5]
	s_and_b32 s3, vcc_lo, s3
	s_delay_alu instid0(SALU_CYCLE_1)
	s_and_saveexec_b32 s41, s3
	s_cbranch_execz .LBB91_10
; %bb.7:
	v_mov_b32_e32 v2, 0
	s_mov_b32 s42, 0
	ds_load_b32 v3, v2 offset:896
	s_wait_dscnt 0x0
	v_readfirstlane_b32 s3, v3
	v_add_nc_u32_e32 v3, 1, v1
	s_cmp_eq_u32 s3, 0
	s_delay_alu instid0(VALU_DEP_1) | instskip(SKIP_1) | instid1(SALU_CYCLE_1)
	v_cmp_gt_i32_e32 vcc_lo, s3, v3
	s_cselect_b32 s43, -1, 0
	s_or_b32 s43, s43, vcc_lo
	s_delay_alu instid0(SALU_CYCLE_1)
	s_and_b32 exec_lo, exec_lo, s43
	s_cbranch_execz .LBB91_10
; %bb.8:
	v_mov_b32_e32 v4, s3
.LBB91_9:                               ; =>This Inner Loop Header: Depth=1
	ds_cmpstore_rtn_b32 v4, v2, v3, v4 offset:896
	s_wait_dscnt 0x0
	v_cmp_ne_u32_e32 vcc_lo, 0, v4
	v_cmp_le_i32_e64 s3, v4, v3
	s_and_b32 s3, vcc_lo, s3
	s_delay_alu instid0(SALU_CYCLE_1) | instskip(NEXT) | instid1(SALU_CYCLE_1)
	s_and_b32 s3, exec_lo, s3
	s_or_b32 s42, s3, s42
	s_delay_alu instid0(SALU_CYCLE_1)
	s_and_not1_b32 exec_lo, exec_lo, s42
	s_cbranch_execnz .LBB91_9
.LBB91_10:
	s_or_b32 exec_lo, exec_lo, s41
	v_mov_b32_e32 v2, 0
	s_barrier_signal -1
	s_barrier_wait -1
	ds_load_b32 v3, v2 offset:896
	s_and_saveexec_b32 s3, s2
	s_cbranch_execz .LBB91_12
; %bb.11:
	s_lshl_b64 s[42:43], s[10:11], 2
	s_delay_alu instid0(SALU_CYCLE_1)
	s_add_nc_u64 s[42:43], s[6:7], s[42:43]
	s_wait_dscnt 0x0
	global_store_b32 v2, v3, s[42:43]
.LBB91_12:
	s_wait_xcnt 0x0
	s_or_b32 exec_lo, exec_lo, s3
	s_wait_dscnt 0x0
	v_cmp_ne_u32_e32 vcc_lo, 0, v3
	s_mov_b32 s3, 0
	s_cbranch_vccnz .LBB91_124
; %bb.13:
	v_lshl_add_u32 v19, v1, 4, 0
                                        ; implicit-def: $vgpr6_vgpr7
                                        ; implicit-def: $vgpr10_vgpr11
	scratch_load_b128 v[2:5], v19, off
	s_wait_loadcnt 0x0
	v_cmp_ngt_f64_e64 s3, |v[2:3]|, |v[4:5]|
	s_wait_xcnt 0x0
	s_and_saveexec_b32 s41, s3
	s_delay_alu instid0(SALU_CYCLE_1)
	s_xor_b32 s3, exec_lo, s41
	s_cbranch_execz .LBB91_15
; %bb.14:
	v_div_scale_f64 v[6:7], null, v[4:5], v[4:5], v[2:3]
	v_div_scale_f64 v[12:13], vcc_lo, v[2:3], v[4:5], v[2:3]
	s_delay_alu instid0(VALU_DEP_2) | instskip(SKIP_1) | instid1(TRANS32_DEP_1)
	v_rcp_f64_e32 v[8:9], v[6:7]
	v_nop
	v_fma_f64 v[10:11], -v[6:7], v[8:9], 1.0
	s_delay_alu instid0(VALU_DEP_1) | instskip(NEXT) | instid1(VALU_DEP_1)
	v_fmac_f64_e32 v[8:9], v[8:9], v[10:11]
	v_fma_f64 v[10:11], -v[6:7], v[8:9], 1.0
	s_delay_alu instid0(VALU_DEP_1) | instskip(NEXT) | instid1(VALU_DEP_1)
	v_fmac_f64_e32 v[8:9], v[8:9], v[10:11]
	v_mul_f64_e32 v[10:11], v[12:13], v[8:9]
	s_delay_alu instid0(VALU_DEP_1) | instskip(NEXT) | instid1(VALU_DEP_1)
	v_fma_f64 v[6:7], -v[6:7], v[10:11], v[12:13]
	v_div_fmas_f64 v[6:7], v[6:7], v[8:9], v[10:11]
	s_delay_alu instid0(VALU_DEP_1) | instskip(NEXT) | instid1(VALU_DEP_1)
	v_div_fixup_f64 v[6:7], v[6:7], v[4:5], v[2:3]
	v_fmac_f64_e32 v[4:5], v[2:3], v[6:7]
	s_delay_alu instid0(VALU_DEP_1) | instskip(SKIP_1) | instid1(VALU_DEP_2)
	v_div_scale_f64 v[2:3], null, v[4:5], v[4:5], 1.0
	v_div_scale_f64 v[12:13], vcc_lo, 1.0, v[4:5], 1.0
	v_rcp_f64_e32 v[8:9], v[2:3]
	v_nop
	s_delay_alu instid0(TRANS32_DEP_1) | instskip(NEXT) | instid1(VALU_DEP_1)
	v_fma_f64 v[10:11], -v[2:3], v[8:9], 1.0
	v_fmac_f64_e32 v[8:9], v[8:9], v[10:11]
	s_delay_alu instid0(VALU_DEP_1) | instskip(NEXT) | instid1(VALU_DEP_1)
	v_fma_f64 v[10:11], -v[2:3], v[8:9], 1.0
	v_fmac_f64_e32 v[8:9], v[8:9], v[10:11]
	s_delay_alu instid0(VALU_DEP_1) | instskip(NEXT) | instid1(VALU_DEP_1)
	v_mul_f64_e32 v[10:11], v[12:13], v[8:9]
	v_fma_f64 v[2:3], -v[2:3], v[10:11], v[12:13]
	s_delay_alu instid0(VALU_DEP_1) | instskip(NEXT) | instid1(VALU_DEP_1)
	v_div_fmas_f64 v[2:3], v[2:3], v[8:9], v[10:11]
	v_div_fixup_f64 v[8:9], v[2:3], v[4:5], 1.0
                                        ; implicit-def: $vgpr2_vgpr3
	s_delay_alu instid0(VALU_DEP_1) | instskip(SKIP_1) | instid1(VALU_DEP_2)
	v_mul_f64_e32 v[6:7], v[6:7], v[8:9]
	v_xor_b32_e32 v9, 0x80000000, v9
	v_xor_b32_e32 v11, 0x80000000, v7
	s_delay_alu instid0(VALU_DEP_3)
	v_mov_b32_e32 v10, v6
.LBB91_15:
	s_and_not1_saveexec_b32 s3, s3
	s_cbranch_execz .LBB91_17
; %bb.16:
	v_div_scale_f64 v[6:7], null, v[2:3], v[2:3], v[4:5]
	v_div_scale_f64 v[12:13], vcc_lo, v[4:5], v[2:3], v[4:5]
	s_delay_alu instid0(VALU_DEP_2) | instskip(SKIP_1) | instid1(TRANS32_DEP_1)
	v_rcp_f64_e32 v[8:9], v[6:7]
	v_nop
	v_fma_f64 v[10:11], -v[6:7], v[8:9], 1.0
	s_delay_alu instid0(VALU_DEP_1) | instskip(NEXT) | instid1(VALU_DEP_1)
	v_fmac_f64_e32 v[8:9], v[8:9], v[10:11]
	v_fma_f64 v[10:11], -v[6:7], v[8:9], 1.0
	s_delay_alu instid0(VALU_DEP_1) | instskip(NEXT) | instid1(VALU_DEP_1)
	v_fmac_f64_e32 v[8:9], v[8:9], v[10:11]
	v_mul_f64_e32 v[10:11], v[12:13], v[8:9]
	s_delay_alu instid0(VALU_DEP_1) | instskip(NEXT) | instid1(VALU_DEP_1)
	v_fma_f64 v[6:7], -v[6:7], v[10:11], v[12:13]
	v_div_fmas_f64 v[6:7], v[6:7], v[8:9], v[10:11]
	s_delay_alu instid0(VALU_DEP_1) | instskip(NEXT) | instid1(VALU_DEP_1)
	v_div_fixup_f64 v[8:9], v[6:7], v[2:3], v[4:5]
	v_fmac_f64_e32 v[2:3], v[4:5], v[8:9]
	s_delay_alu instid0(VALU_DEP_1) | instskip(NEXT) | instid1(VALU_DEP_1)
	v_div_scale_f64 v[4:5], null, v[2:3], v[2:3], 1.0
	v_rcp_f64_e32 v[6:7], v[4:5]
	v_nop
	s_delay_alu instid0(TRANS32_DEP_1) | instskip(NEXT) | instid1(VALU_DEP_1)
	v_fma_f64 v[10:11], -v[4:5], v[6:7], 1.0
	v_fmac_f64_e32 v[6:7], v[6:7], v[10:11]
	s_delay_alu instid0(VALU_DEP_1) | instskip(NEXT) | instid1(VALU_DEP_1)
	v_fma_f64 v[10:11], -v[4:5], v[6:7], 1.0
	v_fmac_f64_e32 v[6:7], v[6:7], v[10:11]
	v_div_scale_f64 v[10:11], vcc_lo, 1.0, v[2:3], 1.0
	s_delay_alu instid0(VALU_DEP_1) | instskip(NEXT) | instid1(VALU_DEP_1)
	v_mul_f64_e32 v[12:13], v[10:11], v[6:7]
	v_fma_f64 v[4:5], -v[4:5], v[12:13], v[10:11]
	s_delay_alu instid0(VALU_DEP_1) | instskip(NEXT) | instid1(VALU_DEP_1)
	v_div_fmas_f64 v[4:5], v[4:5], v[6:7], v[12:13]
	v_div_fixup_f64 v[6:7], v[4:5], v[2:3], 1.0
	s_delay_alu instid0(VALU_DEP_1)
	v_mul_f64_e64 v[8:9], v[8:9], -v[6:7]
	v_xor_b32_e32 v11, 0x80000000, v7
	v_mov_b32_e32 v10, v6
.LBB91_17:
	s_or_b32 exec_lo, exec_lo, s3
	s_clause 0x1
	scratch_store_b128 v19, v[6:9], off
	scratch_load_b128 v[2:5], off, s18
	v_xor_b32_e32 v13, 0x80000000, v9
	v_mov_b32_e32 v12, v8
	s_wait_xcnt 0x1
	v_add_nc_u32_e32 v6, 0x1c0, v70
	ds_store_b128 v70, v[10:13]
	s_wait_loadcnt 0x0
	ds_store_b128 v70, v[2:5] offset:448
	s_wait_storecnt_dscnt 0x0
	s_barrier_signal -1
	s_barrier_wait -1
	s_wait_xcnt 0x0
	s_and_saveexec_b32 s3, s2
	s_cbranch_execz .LBB91_19
; %bb.18:
	scratch_load_b128 v[2:5], v19, off
	ds_load_b128 v[8:11], v6
	v_mov_b32_e32 v7, 0
	ds_load_b128 v[72:75], v7 offset:16
	s_wait_loadcnt_dscnt 0x1
	v_mul_f64_e32 v[12:13], v[8:9], v[4:5]
	v_mul_f64_e32 v[4:5], v[10:11], v[4:5]
	s_delay_alu instid0(VALU_DEP_2) | instskip(NEXT) | instid1(VALU_DEP_2)
	v_fmac_f64_e32 v[12:13], v[10:11], v[2:3]
	v_fma_f64 v[2:3], v[8:9], v[2:3], -v[4:5]
	s_delay_alu instid0(VALU_DEP_2) | instskip(NEXT) | instid1(VALU_DEP_2)
	v_add_f64_e32 v[8:9], 0, v[12:13]
	v_add_f64_e32 v[2:3], 0, v[2:3]
	s_wait_dscnt 0x0
	s_delay_alu instid0(VALU_DEP_2) | instskip(NEXT) | instid1(VALU_DEP_2)
	v_mul_f64_e32 v[10:11], v[8:9], v[74:75]
	v_mul_f64_e32 v[4:5], v[2:3], v[74:75]
	s_delay_alu instid0(VALU_DEP_2) | instskip(NEXT) | instid1(VALU_DEP_2)
	v_fma_f64 v[2:3], v[2:3], v[72:73], -v[10:11]
	v_fmac_f64_e32 v[4:5], v[8:9], v[72:73]
	scratch_store_b128 off, v[2:5], off offset:16
.LBB91_19:
	s_wait_xcnt 0x0
	s_or_b32 exec_lo, exec_lo, s3
	s_wait_storecnt 0x0
	s_barrier_signal -1
	s_barrier_wait -1
	scratch_load_b128 v[2:5], off, s16
	s_mov_b32 s3, exec_lo
	s_wait_loadcnt 0x0
	ds_store_b128 v6, v[2:5]
	s_wait_dscnt 0x0
	s_barrier_signal -1
	s_barrier_wait -1
	v_cmpx_gt_u32_e32 2, v1
	s_cbranch_execz .LBB91_23
; %bb.20:
	scratch_load_b128 v[2:5], v19, off
	ds_load_b128 v[8:11], v6
	s_wait_loadcnt_dscnt 0x0
	v_mul_f64_e32 v[12:13], v[10:11], v[4:5]
	v_mul_f64_e32 v[72:73], v[8:9], v[4:5]
	s_delay_alu instid0(VALU_DEP_2) | instskip(NEXT) | instid1(VALU_DEP_2)
	v_fma_f64 v[4:5], v[8:9], v[2:3], -v[12:13]
	v_fmac_f64_e32 v[72:73], v[10:11], v[2:3]
	s_delay_alu instid0(VALU_DEP_2) | instskip(NEXT) | instid1(VALU_DEP_2)
	v_add_f64_e32 v[4:5], 0, v[4:5]
	v_add_f64_e32 v[2:3], 0, v[72:73]
	s_and_saveexec_b32 s41, s2
	s_cbranch_execz .LBB91_22
; %bb.21:
	scratch_load_b128 v[8:11], off, off offset:16
	v_mov_b32_e32 v7, 0
	ds_load_b128 v[72:75], v7 offset:464
	s_wait_loadcnt_dscnt 0x0
	v_mul_f64_e32 v[12:13], v[72:73], v[10:11]
	v_mul_f64_e32 v[10:11], v[74:75], v[10:11]
	s_delay_alu instid0(VALU_DEP_2) | instskip(NEXT) | instid1(VALU_DEP_2)
	v_fmac_f64_e32 v[12:13], v[74:75], v[8:9]
	v_fma_f64 v[8:9], v[72:73], v[8:9], -v[10:11]
	s_delay_alu instid0(VALU_DEP_2) | instskip(NEXT) | instid1(VALU_DEP_2)
	v_add_f64_e32 v[2:3], v[2:3], v[12:13]
	v_add_f64_e32 v[4:5], v[4:5], v[8:9]
.LBB91_22:
	s_or_b32 exec_lo, exec_lo, s41
	v_mov_b32_e32 v7, 0
	ds_load_b128 v[8:11], v7 offset:32
	s_wait_dscnt 0x0
	v_mul_f64_e32 v[72:73], v[2:3], v[10:11]
	v_mul_f64_e32 v[12:13], v[4:5], v[10:11]
	s_delay_alu instid0(VALU_DEP_2) | instskip(NEXT) | instid1(VALU_DEP_2)
	v_fma_f64 v[10:11], v[4:5], v[8:9], -v[72:73]
	v_fmac_f64_e32 v[12:13], v[2:3], v[8:9]
	scratch_store_b128 off, v[10:13], off offset:32
.LBB91_23:
	s_wait_xcnt 0x0
	s_or_b32 exec_lo, exec_lo, s3
	s_wait_storecnt 0x0
	s_barrier_signal -1
	s_barrier_wait -1
	scratch_load_b128 v[2:5], off, s14
	v_add_nc_u32_e32 v7, -1, v1
	s_mov_b32 s2, exec_lo
	s_wait_loadcnt 0x0
	ds_store_b128 v6, v[2:5]
	s_wait_dscnt 0x0
	s_barrier_signal -1
	s_barrier_wait -1
	v_cmpx_gt_u32_e32 3, v1
	s_cbranch_execz .LBB91_27
; %bb.24:
	v_dual_mov_b32 v10, v70 :: v_dual_add_nc_u32 v8, -1, v1
	v_mov_b64_e32 v[2:3], 0
	v_mov_b64_e32 v[4:5], 0
	v_add_nc_u32_e32 v9, 0x1c0, v70
	s_delay_alu instid0(VALU_DEP_4)
	v_or_b32_e32 v10, 8, v10
	s_mov_b32 s3, 0
.LBB91_25:                              ; =>This Inner Loop Header: Depth=1
	scratch_load_b128 v[72:75], v10, off offset:-8
	ds_load_b128 v[76:79], v9
	v_dual_add_nc_u32 v8, 1, v8 :: v_dual_add_nc_u32 v9, 16, v9
	s_wait_xcnt 0x0
	v_add_nc_u32_e32 v10, 16, v10
	s_delay_alu instid0(VALU_DEP_2) | instskip(SKIP_4) | instid1(VALU_DEP_2)
	v_cmp_lt_u32_e32 vcc_lo, 1, v8
	s_or_b32 s3, vcc_lo, s3
	s_wait_loadcnt_dscnt 0x0
	v_mul_f64_e32 v[12:13], v[78:79], v[74:75]
	v_mul_f64_e32 v[74:75], v[76:77], v[74:75]
	v_fma_f64 v[12:13], v[76:77], v[72:73], -v[12:13]
	s_delay_alu instid0(VALU_DEP_2) | instskip(NEXT) | instid1(VALU_DEP_2)
	v_fmac_f64_e32 v[74:75], v[78:79], v[72:73]
	v_add_f64_e32 v[4:5], v[4:5], v[12:13]
	s_delay_alu instid0(VALU_DEP_2)
	v_add_f64_e32 v[2:3], v[2:3], v[74:75]
	s_and_not1_b32 exec_lo, exec_lo, s3
	s_cbranch_execnz .LBB91_25
; %bb.26:
	s_or_b32 exec_lo, exec_lo, s3
	v_mov_b32_e32 v8, 0
	ds_load_b128 v[8:11], v8 offset:48
	s_wait_dscnt 0x0
	v_mul_f64_e32 v[72:73], v[2:3], v[10:11]
	v_mul_f64_e32 v[12:13], v[4:5], v[10:11]
	s_delay_alu instid0(VALU_DEP_2) | instskip(NEXT) | instid1(VALU_DEP_2)
	v_fma_f64 v[10:11], v[4:5], v[8:9], -v[72:73]
	v_fmac_f64_e32 v[12:13], v[2:3], v[8:9]
	scratch_store_b128 off, v[10:13], off offset:48
.LBB91_27:
	s_wait_xcnt 0x0
	s_or_b32 exec_lo, exec_lo, s2
	s_wait_storecnt 0x0
	s_barrier_signal -1
	s_barrier_wait -1
	scratch_load_b128 v[2:5], off, s12
	s_mov_b32 s2, exec_lo
	s_wait_loadcnt 0x0
	ds_store_b128 v6, v[2:5]
	s_wait_dscnt 0x0
	s_barrier_signal -1
	s_barrier_wait -1
	v_cmpx_gt_u32_e32 4, v1
	s_cbranch_execz .LBB91_31
; %bb.28:
	v_dual_mov_b32 v10, v70 :: v_dual_add_nc_u32 v8, -1, v1
	v_mov_b64_e32 v[2:3], 0
	v_mov_b64_e32 v[4:5], 0
	v_add_nc_u32_e32 v9, 0x1c0, v70
	s_delay_alu instid0(VALU_DEP_4)
	v_or_b32_e32 v10, 8, v10
	s_mov_b32 s3, 0
.LBB91_29:                              ; =>This Inner Loop Header: Depth=1
	scratch_load_b128 v[72:75], v10, off offset:-8
	ds_load_b128 v[76:79], v9
	v_dual_add_nc_u32 v8, 1, v8 :: v_dual_add_nc_u32 v9, 16, v9
	s_wait_xcnt 0x0
	v_add_nc_u32_e32 v10, 16, v10
	s_delay_alu instid0(VALU_DEP_2) | instskip(SKIP_4) | instid1(VALU_DEP_2)
	v_cmp_lt_u32_e32 vcc_lo, 2, v8
	s_or_b32 s3, vcc_lo, s3
	s_wait_loadcnt_dscnt 0x0
	v_mul_f64_e32 v[12:13], v[78:79], v[74:75]
	v_mul_f64_e32 v[74:75], v[76:77], v[74:75]
	v_fma_f64 v[12:13], v[76:77], v[72:73], -v[12:13]
	s_delay_alu instid0(VALU_DEP_2) | instskip(NEXT) | instid1(VALU_DEP_2)
	v_fmac_f64_e32 v[74:75], v[78:79], v[72:73]
	v_add_f64_e32 v[4:5], v[4:5], v[12:13]
	s_delay_alu instid0(VALU_DEP_2)
	v_add_f64_e32 v[2:3], v[2:3], v[74:75]
	s_and_not1_b32 exec_lo, exec_lo, s3
	s_cbranch_execnz .LBB91_29
; %bb.30:
	s_or_b32 exec_lo, exec_lo, s3
	v_mov_b32_e32 v8, 0
	ds_load_b128 v[8:11], v8 offset:64
	s_wait_dscnt 0x0
	v_mul_f64_e32 v[72:73], v[2:3], v[10:11]
	v_mul_f64_e32 v[12:13], v[4:5], v[10:11]
	s_delay_alu instid0(VALU_DEP_2) | instskip(NEXT) | instid1(VALU_DEP_2)
	v_fma_f64 v[10:11], v[4:5], v[8:9], -v[72:73]
	v_fmac_f64_e32 v[12:13], v[2:3], v[8:9]
	scratch_store_b128 off, v[10:13], off offset:64
.LBB91_31:
	s_wait_xcnt 0x0
	s_or_b32 exec_lo, exec_lo, s2
	s_wait_storecnt 0x0
	s_barrier_signal -1
	s_barrier_wait -1
	scratch_load_b128 v[2:5], off, s39
	;; [unrolled: 54-line block ×19, first 2 shown]
	s_mov_b32 s2, exec_lo
	s_wait_loadcnt 0x0
	ds_store_b128 v6, v[2:5]
	s_wait_dscnt 0x0
	s_barrier_signal -1
	s_barrier_wait -1
	v_cmpx_gt_u32_e32 22, v1
	s_cbranch_execz .LBB91_103
; %bb.100:
	v_dual_mov_b32 v10, v70 :: v_dual_add_nc_u32 v8, -1, v1
	v_mov_b64_e32 v[2:3], 0
	v_mov_b64_e32 v[4:5], 0
	v_add_nc_u32_e32 v9, 0x1c0, v70
	s_delay_alu instid0(VALU_DEP_4)
	v_or_b32_e32 v10, 8, v10
	s_mov_b32 s3, 0
.LBB91_101:                             ; =>This Inner Loop Header: Depth=1
	scratch_load_b128 v[72:75], v10, off offset:-8
	ds_load_b128 v[76:79], v9
	v_dual_add_nc_u32 v8, 1, v8 :: v_dual_add_nc_u32 v9, 16, v9
	s_wait_xcnt 0x0
	v_add_nc_u32_e32 v10, 16, v10
	s_delay_alu instid0(VALU_DEP_2) | instskip(SKIP_4) | instid1(VALU_DEP_2)
	v_cmp_lt_u32_e32 vcc_lo, 20, v8
	s_or_b32 s3, vcc_lo, s3
	s_wait_loadcnt_dscnt 0x0
	v_mul_f64_e32 v[12:13], v[78:79], v[74:75]
	v_mul_f64_e32 v[74:75], v[76:77], v[74:75]
	v_fma_f64 v[12:13], v[76:77], v[72:73], -v[12:13]
	s_delay_alu instid0(VALU_DEP_2) | instskip(NEXT) | instid1(VALU_DEP_2)
	v_fmac_f64_e32 v[74:75], v[78:79], v[72:73]
	v_add_f64_e32 v[4:5], v[4:5], v[12:13]
	s_delay_alu instid0(VALU_DEP_2)
	v_add_f64_e32 v[2:3], v[2:3], v[74:75]
	s_and_not1_b32 exec_lo, exec_lo, s3
	s_cbranch_execnz .LBB91_101
; %bb.102:
	s_or_b32 exec_lo, exec_lo, s3
	v_mov_b32_e32 v8, 0
	ds_load_b128 v[8:11], v8 offset:352
	s_wait_dscnt 0x0
	v_mul_f64_e32 v[72:73], v[2:3], v[10:11]
	v_mul_f64_e32 v[12:13], v[4:5], v[10:11]
	s_delay_alu instid0(VALU_DEP_2) | instskip(NEXT) | instid1(VALU_DEP_2)
	v_fma_f64 v[10:11], v[4:5], v[8:9], -v[72:73]
	v_fmac_f64_e32 v[12:13], v[2:3], v[8:9]
	scratch_store_b128 off, v[10:13], off offset:352
.LBB91_103:
	s_wait_xcnt 0x0
	s_or_b32 exec_lo, exec_lo, s2
	s_wait_storecnt 0x0
	s_barrier_signal -1
	s_barrier_wait -1
	scratch_load_b128 v[2:5], off, s20
	s_mov_b32 s2, exec_lo
	s_wait_loadcnt 0x0
	ds_store_b128 v6, v[2:5]
	s_wait_dscnt 0x0
	s_barrier_signal -1
	s_barrier_wait -1
	v_cmpx_gt_u32_e32 23, v1
	s_cbranch_execz .LBB91_107
; %bb.104:
	v_dual_mov_b32 v10, v70 :: v_dual_add_nc_u32 v8, -1, v1
	v_mov_b64_e32 v[2:3], 0
	v_mov_b64_e32 v[4:5], 0
	v_add_nc_u32_e32 v9, 0x1c0, v70
	s_delay_alu instid0(VALU_DEP_4)
	v_or_b32_e32 v10, 8, v10
	s_mov_b32 s3, 0
.LBB91_105:                             ; =>This Inner Loop Header: Depth=1
	scratch_load_b128 v[72:75], v10, off offset:-8
	ds_load_b128 v[76:79], v9
	v_dual_add_nc_u32 v8, 1, v8 :: v_dual_add_nc_u32 v9, 16, v9
	s_wait_xcnt 0x0
	v_add_nc_u32_e32 v10, 16, v10
	s_delay_alu instid0(VALU_DEP_2) | instskip(SKIP_4) | instid1(VALU_DEP_2)
	v_cmp_lt_u32_e32 vcc_lo, 21, v8
	s_or_b32 s3, vcc_lo, s3
	s_wait_loadcnt_dscnt 0x0
	v_mul_f64_e32 v[12:13], v[78:79], v[74:75]
	v_mul_f64_e32 v[74:75], v[76:77], v[74:75]
	v_fma_f64 v[12:13], v[76:77], v[72:73], -v[12:13]
	s_delay_alu instid0(VALU_DEP_2) | instskip(NEXT) | instid1(VALU_DEP_2)
	v_fmac_f64_e32 v[74:75], v[78:79], v[72:73]
	v_add_f64_e32 v[4:5], v[4:5], v[12:13]
	s_delay_alu instid0(VALU_DEP_2)
	v_add_f64_e32 v[2:3], v[2:3], v[74:75]
	s_and_not1_b32 exec_lo, exec_lo, s3
	s_cbranch_execnz .LBB91_105
; %bb.106:
	s_or_b32 exec_lo, exec_lo, s3
	v_mov_b32_e32 v8, 0
	ds_load_b128 v[8:11], v8 offset:368
	s_wait_dscnt 0x0
	v_mul_f64_e32 v[72:73], v[2:3], v[10:11]
	v_mul_f64_e32 v[12:13], v[4:5], v[10:11]
	s_delay_alu instid0(VALU_DEP_2) | instskip(NEXT) | instid1(VALU_DEP_2)
	v_fma_f64 v[10:11], v[4:5], v[8:9], -v[72:73]
	v_fmac_f64_e32 v[12:13], v[2:3], v[8:9]
	scratch_store_b128 off, v[10:13], off offset:368
.LBB91_107:
	s_wait_xcnt 0x0
	s_or_b32 exec_lo, exec_lo, s2
	s_wait_storecnt 0x0
	s_barrier_signal -1
	s_barrier_wait -1
	scratch_load_b128 v[2:5], off, s19
	;; [unrolled: 54-line block ×5, first 2 shown]
	s_mov_b32 s2, exec_lo
	s_wait_loadcnt 0x0
	ds_store_b128 v6, v[2:5]
	s_wait_dscnt 0x0
	s_barrier_signal -1
	s_barrier_wait -1
	v_cmpx_ne_u32_e32 27, v1
	s_cbranch_execz .LBB91_123
; %bb.120:
	v_mov_b32_e32 v8, v70
	v_mov_b64_e32 v[2:3], 0
	v_mov_b64_e32 v[4:5], 0
	s_mov_b32 s3, 0
	s_delay_alu instid0(VALU_DEP_3)
	v_or_b32_e32 v8, 8, v8
.LBB91_121:                             ; =>This Inner Loop Header: Depth=1
	scratch_load_b128 v[10:13], v8, off offset:-8
	ds_load_b128 v[70:73], v6
	v_dual_add_nc_u32 v7, 1, v7 :: v_dual_add_nc_u32 v6, 16, v6
	s_wait_xcnt 0x0
	v_add_nc_u32_e32 v8, 16, v8
	s_delay_alu instid0(VALU_DEP_2) | instskip(SKIP_4) | instid1(VALU_DEP_2)
	v_cmp_lt_u32_e32 vcc_lo, 25, v7
	s_or_b32 s3, vcc_lo, s3
	s_wait_loadcnt_dscnt 0x0
	v_mul_f64_e32 v[74:75], v[72:73], v[12:13]
	v_mul_f64_e32 v[12:13], v[70:71], v[12:13]
	v_fma_f64 v[70:71], v[70:71], v[10:11], -v[74:75]
	s_delay_alu instid0(VALU_DEP_2) | instskip(NEXT) | instid1(VALU_DEP_2)
	v_fmac_f64_e32 v[12:13], v[72:73], v[10:11]
	v_add_f64_e32 v[4:5], v[4:5], v[70:71]
	s_delay_alu instid0(VALU_DEP_2)
	v_add_f64_e32 v[2:3], v[2:3], v[12:13]
	s_and_not1_b32 exec_lo, exec_lo, s3
	s_cbranch_execnz .LBB91_121
; %bb.122:
	s_or_b32 exec_lo, exec_lo, s3
	v_mov_b32_e32 v6, 0
	ds_load_b128 v[6:9], v6 offset:432
	s_wait_dscnt 0x0
	v_mul_f64_e32 v[12:13], v[2:3], v[8:9]
	v_mul_f64_e32 v[10:11], v[4:5], v[8:9]
	s_delay_alu instid0(VALU_DEP_2) | instskip(NEXT) | instid1(VALU_DEP_2)
	v_fma_f64 v[8:9], v[4:5], v[6:7], -v[12:13]
	v_fmac_f64_e32 v[10:11], v[2:3], v[6:7]
	scratch_store_b128 off, v[8:11], off offset:432
.LBB91_123:
	s_wait_xcnt 0x0
	s_or_b32 exec_lo, exec_lo, s2
	s_mov_b32 s3, -1
	s_wait_storecnt 0x0
	s_barrier_signal -1
	s_barrier_wait -1
.LBB91_124:
	s_and_b32 vcc_lo, exec_lo, s3
	s_cbranch_vccz .LBB91_126
; %bb.125:
	s_wait_xcnt 0x0
	v_mov_b32_e32 v2, 0
	s_lshl_b64 s[2:3], s[10:11], 2
	s_delay_alu instid0(SALU_CYCLE_1)
	s_add_nc_u64 s[2:3], s[6:7], s[2:3]
	global_load_b32 v2, v2, s[2:3]
	s_wait_loadcnt 0x0
	v_cmp_ne_u32_e32 vcc_lo, 0, v2
	s_cbranch_vccz .LBB91_127
.LBB91_126:
	s_sendmsg sendmsg(MSG_DEALLOC_VGPRS)
	s_endpgm
.LBB91_127:
	v_lshl_add_u32 v6, v1, 4, 0x1c0
	s_wait_xcnt 0x0
	s_mov_b32 s2, exec_lo
	v_cmpx_eq_u32_e32 27, v1
	s_cbranch_execz .LBB91_129
; %bb.128:
	scratch_load_b128 v[2:5], off, s15
	v_mov_b32_e32 v8, 0
	s_delay_alu instid0(VALU_DEP_1)
	v_dual_mov_b32 v9, v8 :: v_dual_mov_b32 v10, v8
	v_mov_b32_e32 v11, v8
	scratch_store_b128 off, v[8:11], off offset:416
	s_wait_loadcnt 0x0
	ds_store_b128 v6, v[2:5]
.LBB91_129:
	s_wait_xcnt 0x0
	s_or_b32 exec_lo, exec_lo, s2
	s_wait_storecnt_dscnt 0x0
	s_barrier_signal -1
	s_barrier_wait -1
	s_clause 0x1
	scratch_load_b128 v[8:11], off, off offset:432
	scratch_load_b128 v[70:73], off, off offset:416
	v_mov_b32_e32 v2, 0
	s_mov_b32 s2, exec_lo
	ds_load_b128 v[74:77], v2 offset:880
	s_wait_loadcnt_dscnt 0x100
	v_mul_f64_e32 v[4:5], v[76:77], v[10:11]
	v_mul_f64_e32 v[10:11], v[74:75], v[10:11]
	s_delay_alu instid0(VALU_DEP_2) | instskip(NEXT) | instid1(VALU_DEP_2)
	v_fma_f64 v[4:5], v[74:75], v[8:9], -v[4:5]
	v_fmac_f64_e32 v[10:11], v[76:77], v[8:9]
	s_delay_alu instid0(VALU_DEP_2) | instskip(NEXT) | instid1(VALU_DEP_2)
	v_add_f64_e32 v[4:5], 0, v[4:5]
	v_add_f64_e32 v[10:11], 0, v[10:11]
	s_wait_loadcnt 0x0
	s_delay_alu instid0(VALU_DEP_2) | instskip(NEXT) | instid1(VALU_DEP_2)
	v_add_f64_e64 v[8:9], v[70:71], -v[4:5]
	v_add_f64_e64 v[10:11], v[72:73], -v[10:11]
	scratch_store_b128 off, v[8:11], off offset:416
	s_wait_xcnt 0x0
	v_cmpx_lt_u32_e32 25, v1
	s_cbranch_execz .LBB91_131
; %bb.130:
	scratch_load_b128 v[8:11], off, s17
	v_dual_mov_b32 v3, v2 :: v_dual_mov_b32 v4, v2
	v_mov_b32_e32 v5, v2
	scratch_store_b128 off, v[2:5], off offset:400
	s_wait_loadcnt 0x0
	ds_store_b128 v6, v[8:11]
.LBB91_131:
	s_wait_xcnt 0x0
	s_or_b32 exec_lo, exec_lo, s2
	s_wait_storecnt_dscnt 0x0
	s_barrier_signal -1
	s_barrier_wait -1
	s_clause 0x2
	scratch_load_b128 v[8:11], off, off offset:416
	scratch_load_b128 v[70:73], off, off offset:432
	;; [unrolled: 1-line block ×3, first 2 shown]
	ds_load_b128 v[78:81], v2 offset:864
	ds_load_b128 v[2:5], v2 offset:880
	s_mov_b32 s2, exec_lo
	s_wait_loadcnt_dscnt 0x201
	v_mul_f64_e32 v[12:13], v[80:81], v[10:11]
	v_mul_f64_e32 v[10:11], v[78:79], v[10:11]
	s_wait_loadcnt_dscnt 0x100
	v_mul_f64_e32 v[82:83], v[2:3], v[72:73]
	v_mul_f64_e32 v[72:73], v[4:5], v[72:73]
	s_delay_alu instid0(VALU_DEP_4) | instskip(NEXT) | instid1(VALU_DEP_4)
	v_fma_f64 v[12:13], v[78:79], v[8:9], -v[12:13]
	v_fmac_f64_e32 v[10:11], v[80:81], v[8:9]
	s_delay_alu instid0(VALU_DEP_4) | instskip(NEXT) | instid1(VALU_DEP_4)
	v_fmac_f64_e32 v[82:83], v[4:5], v[70:71]
	v_fma_f64 v[2:3], v[2:3], v[70:71], -v[72:73]
	s_delay_alu instid0(VALU_DEP_4) | instskip(NEXT) | instid1(VALU_DEP_4)
	v_add_f64_e32 v[4:5], 0, v[12:13]
	v_add_f64_e32 v[8:9], 0, v[10:11]
	s_delay_alu instid0(VALU_DEP_2) | instskip(NEXT) | instid1(VALU_DEP_2)
	v_add_f64_e32 v[2:3], v[4:5], v[2:3]
	v_add_f64_e32 v[4:5], v[8:9], v[82:83]
	s_wait_loadcnt 0x0
	s_delay_alu instid0(VALU_DEP_2) | instskip(NEXT) | instid1(VALU_DEP_2)
	v_add_f64_e64 v[2:3], v[74:75], -v[2:3]
	v_add_f64_e64 v[4:5], v[76:77], -v[4:5]
	scratch_store_b128 off, v[2:5], off offset:400
	s_wait_xcnt 0x0
	v_cmpx_lt_u32_e32 24, v1
	s_cbranch_execz .LBB91_133
; %bb.132:
	scratch_load_b128 v[2:5], off, s19
	v_mov_b32_e32 v8, 0
	s_delay_alu instid0(VALU_DEP_1)
	v_dual_mov_b32 v9, v8 :: v_dual_mov_b32 v10, v8
	v_mov_b32_e32 v11, v8
	scratch_store_b128 off, v[8:11], off offset:384
	s_wait_loadcnt 0x0
	ds_store_b128 v6, v[2:5]
.LBB91_133:
	s_wait_xcnt 0x0
	s_or_b32 exec_lo, exec_lo, s2
	s_wait_storecnt_dscnt 0x0
	s_barrier_signal -1
	s_barrier_wait -1
	s_clause 0x3
	scratch_load_b128 v[8:11], off, off offset:400
	scratch_load_b128 v[70:73], off, off offset:416
	scratch_load_b128 v[74:77], off, off offset:432
	scratch_load_b128 v[78:81], off, off offset:384
	v_mov_b32_e32 v2, 0
	ds_load_b128 v[82:85], v2 offset:848
	ds_load_b128 v[86:89], v2 offset:864
	s_mov_b32 s2, exec_lo
	s_wait_loadcnt_dscnt 0x301
	v_mul_f64_e32 v[4:5], v[84:85], v[10:11]
	v_mul_f64_e32 v[12:13], v[82:83], v[10:11]
	s_wait_loadcnt_dscnt 0x200
	v_mul_f64_e32 v[90:91], v[86:87], v[72:73]
	v_mul_f64_e32 v[72:73], v[88:89], v[72:73]
	s_delay_alu instid0(VALU_DEP_4) | instskip(NEXT) | instid1(VALU_DEP_4)
	v_fma_f64 v[4:5], v[82:83], v[8:9], -v[4:5]
	v_fmac_f64_e32 v[12:13], v[84:85], v[8:9]
	ds_load_b128 v[8:11], v2 offset:880
	v_fmac_f64_e32 v[90:91], v[88:89], v[70:71]
	v_fma_f64 v[70:71], v[86:87], v[70:71], -v[72:73]
	s_wait_loadcnt_dscnt 0x100
	v_mul_f64_e32 v[82:83], v[8:9], v[76:77]
	v_mul_f64_e32 v[76:77], v[10:11], v[76:77]
	v_add_f64_e32 v[4:5], 0, v[4:5]
	v_add_f64_e32 v[12:13], 0, v[12:13]
	s_delay_alu instid0(VALU_DEP_4) | instskip(NEXT) | instid1(VALU_DEP_4)
	v_fmac_f64_e32 v[82:83], v[10:11], v[74:75]
	v_fma_f64 v[8:9], v[8:9], v[74:75], -v[76:77]
	s_delay_alu instid0(VALU_DEP_4) | instskip(NEXT) | instid1(VALU_DEP_4)
	v_add_f64_e32 v[4:5], v[4:5], v[70:71]
	v_add_f64_e32 v[10:11], v[12:13], v[90:91]
	s_delay_alu instid0(VALU_DEP_2) | instskip(NEXT) | instid1(VALU_DEP_2)
	v_add_f64_e32 v[4:5], v[4:5], v[8:9]
	v_add_f64_e32 v[10:11], v[10:11], v[82:83]
	s_wait_loadcnt 0x0
	s_delay_alu instid0(VALU_DEP_2) | instskip(NEXT) | instid1(VALU_DEP_2)
	v_add_f64_e64 v[8:9], v[78:79], -v[4:5]
	v_add_f64_e64 v[10:11], v[80:81], -v[10:11]
	scratch_store_b128 off, v[8:11], off offset:384
	s_wait_xcnt 0x0
	v_cmpx_lt_u32_e32 23, v1
	s_cbranch_execz .LBB91_135
; %bb.134:
	scratch_load_b128 v[8:11], off, s20
	v_dual_mov_b32 v3, v2 :: v_dual_mov_b32 v4, v2
	v_mov_b32_e32 v5, v2
	scratch_store_b128 off, v[2:5], off offset:368
	s_wait_loadcnt 0x0
	ds_store_b128 v6, v[8:11]
.LBB91_135:
	s_wait_xcnt 0x0
	s_or_b32 exec_lo, exec_lo, s2
	s_wait_storecnt_dscnt 0x0
	s_barrier_signal -1
	s_barrier_wait -1
	s_clause 0x4
	scratch_load_b128 v[8:11], off, off offset:384
	scratch_load_b128 v[70:73], off, off offset:400
	;; [unrolled: 1-line block ×5, first 2 shown]
	ds_load_b128 v[86:89], v2 offset:832
	ds_load_b128 v[90:93], v2 offset:848
	s_mov_b32 s2, exec_lo
	s_wait_loadcnt_dscnt 0x401
	v_mul_f64_e32 v[4:5], v[88:89], v[10:11]
	v_mul_f64_e32 v[12:13], v[86:87], v[10:11]
	s_wait_loadcnt_dscnt 0x300
	v_mul_f64_e32 v[94:95], v[90:91], v[72:73]
	v_mul_f64_e32 v[72:73], v[92:93], v[72:73]
	s_delay_alu instid0(VALU_DEP_4) | instskip(NEXT) | instid1(VALU_DEP_4)
	v_fma_f64 v[86:87], v[86:87], v[8:9], -v[4:5]
	v_fmac_f64_e32 v[12:13], v[88:89], v[8:9]
	ds_load_b128 v[8:11], v2 offset:864
	ds_load_b128 v[2:5], v2 offset:880
	v_fmac_f64_e32 v[94:95], v[92:93], v[70:71]
	v_fma_f64 v[70:71], v[90:91], v[70:71], -v[72:73]
	s_wait_loadcnt_dscnt 0x201
	v_mul_f64_e32 v[88:89], v[8:9], v[76:77]
	v_mul_f64_e32 v[76:77], v[10:11], v[76:77]
	v_add_f64_e32 v[72:73], 0, v[86:87]
	v_add_f64_e32 v[12:13], 0, v[12:13]
	s_wait_loadcnt_dscnt 0x100
	v_mul_f64_e32 v[86:87], v[2:3], v[80:81]
	v_mul_f64_e32 v[80:81], v[4:5], v[80:81]
	v_fmac_f64_e32 v[88:89], v[10:11], v[74:75]
	v_fma_f64 v[8:9], v[8:9], v[74:75], -v[76:77]
	v_add_f64_e32 v[10:11], v[72:73], v[70:71]
	v_add_f64_e32 v[12:13], v[12:13], v[94:95]
	v_fmac_f64_e32 v[86:87], v[4:5], v[78:79]
	v_fma_f64 v[2:3], v[2:3], v[78:79], -v[80:81]
	s_delay_alu instid0(VALU_DEP_4) | instskip(NEXT) | instid1(VALU_DEP_4)
	v_add_f64_e32 v[4:5], v[10:11], v[8:9]
	v_add_f64_e32 v[8:9], v[12:13], v[88:89]
	s_delay_alu instid0(VALU_DEP_2) | instskip(NEXT) | instid1(VALU_DEP_2)
	v_add_f64_e32 v[2:3], v[4:5], v[2:3]
	v_add_f64_e32 v[4:5], v[8:9], v[86:87]
	s_wait_loadcnt 0x0
	s_delay_alu instid0(VALU_DEP_2) | instskip(NEXT) | instid1(VALU_DEP_2)
	v_add_f64_e64 v[2:3], v[82:83], -v[2:3]
	v_add_f64_e64 v[4:5], v[84:85], -v[4:5]
	scratch_store_b128 off, v[2:5], off offset:368
	s_wait_xcnt 0x0
	v_cmpx_lt_u32_e32 22, v1
	s_cbranch_execz .LBB91_137
; %bb.136:
	scratch_load_b128 v[2:5], off, s21
	v_mov_b32_e32 v8, 0
	s_delay_alu instid0(VALU_DEP_1)
	v_dual_mov_b32 v9, v8 :: v_dual_mov_b32 v10, v8
	v_mov_b32_e32 v11, v8
	scratch_store_b128 off, v[8:11], off offset:352
	s_wait_loadcnt 0x0
	ds_store_b128 v6, v[2:5]
.LBB91_137:
	s_wait_xcnt 0x0
	s_or_b32 exec_lo, exec_lo, s2
	s_wait_storecnt_dscnt 0x0
	s_barrier_signal -1
	s_barrier_wait -1
	s_clause 0x5
	scratch_load_b128 v[8:11], off, off offset:368
	scratch_load_b128 v[70:73], off, off offset:384
	;; [unrolled: 1-line block ×6, first 2 shown]
	v_mov_b32_e32 v2, 0
	ds_load_b128 v[90:93], v2 offset:816
	ds_load_b128 v[94:97], v2 offset:832
	s_mov_b32 s2, exec_lo
	s_wait_loadcnt_dscnt 0x501
	v_mul_f64_e32 v[4:5], v[92:93], v[10:11]
	v_mul_f64_e32 v[12:13], v[90:91], v[10:11]
	s_wait_loadcnt_dscnt 0x400
	v_mul_f64_e32 v[98:99], v[94:95], v[72:73]
	v_mul_f64_e32 v[72:73], v[96:97], v[72:73]
	s_delay_alu instid0(VALU_DEP_4) | instskip(NEXT) | instid1(VALU_DEP_4)
	v_fma_f64 v[4:5], v[90:91], v[8:9], -v[4:5]
	v_fmac_f64_e32 v[12:13], v[92:93], v[8:9]
	ds_load_b128 v[8:11], v2 offset:848
	ds_load_b128 v[90:93], v2 offset:864
	v_fmac_f64_e32 v[98:99], v[96:97], v[70:71]
	v_fma_f64 v[70:71], v[94:95], v[70:71], -v[72:73]
	s_wait_loadcnt_dscnt 0x301
	v_mul_f64_e32 v[100:101], v[8:9], v[76:77]
	v_mul_f64_e32 v[76:77], v[10:11], v[76:77]
	s_wait_loadcnt_dscnt 0x200
	v_mul_f64_e32 v[72:73], v[90:91], v[80:81]
	v_mul_f64_e32 v[80:81], v[92:93], v[80:81]
	v_add_f64_e32 v[4:5], 0, v[4:5]
	v_add_f64_e32 v[12:13], 0, v[12:13]
	v_fmac_f64_e32 v[100:101], v[10:11], v[74:75]
	v_fma_f64 v[74:75], v[8:9], v[74:75], -v[76:77]
	ds_load_b128 v[8:11], v2 offset:880
	v_fmac_f64_e32 v[72:73], v[92:93], v[78:79]
	v_fma_f64 v[78:79], v[90:91], v[78:79], -v[80:81]
	v_add_f64_e32 v[4:5], v[4:5], v[70:71]
	v_add_f64_e32 v[12:13], v[12:13], v[98:99]
	s_wait_loadcnt_dscnt 0x100
	v_mul_f64_e32 v[70:71], v[8:9], v[84:85]
	v_mul_f64_e32 v[76:77], v[10:11], v[84:85]
	s_delay_alu instid0(VALU_DEP_4) | instskip(NEXT) | instid1(VALU_DEP_4)
	v_add_f64_e32 v[4:5], v[4:5], v[74:75]
	v_add_f64_e32 v[12:13], v[12:13], v[100:101]
	s_delay_alu instid0(VALU_DEP_4) | instskip(NEXT) | instid1(VALU_DEP_4)
	v_fmac_f64_e32 v[70:71], v[10:11], v[82:83]
	v_fma_f64 v[8:9], v[8:9], v[82:83], -v[76:77]
	s_delay_alu instid0(VALU_DEP_4) | instskip(NEXT) | instid1(VALU_DEP_4)
	v_add_f64_e32 v[4:5], v[4:5], v[78:79]
	v_add_f64_e32 v[10:11], v[12:13], v[72:73]
	s_delay_alu instid0(VALU_DEP_2) | instskip(NEXT) | instid1(VALU_DEP_2)
	v_add_f64_e32 v[4:5], v[4:5], v[8:9]
	v_add_f64_e32 v[10:11], v[10:11], v[70:71]
	s_wait_loadcnt 0x0
	s_delay_alu instid0(VALU_DEP_2) | instskip(NEXT) | instid1(VALU_DEP_2)
	v_add_f64_e64 v[8:9], v[86:87], -v[4:5]
	v_add_f64_e64 v[10:11], v[88:89], -v[10:11]
	scratch_store_b128 off, v[8:11], off offset:352
	s_wait_xcnt 0x0
	v_cmpx_lt_u32_e32 21, v1
	s_cbranch_execz .LBB91_139
; %bb.138:
	scratch_load_b128 v[8:11], off, s22
	v_dual_mov_b32 v3, v2 :: v_dual_mov_b32 v4, v2
	v_mov_b32_e32 v5, v2
	scratch_store_b128 off, v[2:5], off offset:336
	s_wait_loadcnt 0x0
	ds_store_b128 v6, v[8:11]
.LBB91_139:
	s_wait_xcnt 0x0
	s_or_b32 exec_lo, exec_lo, s2
	s_wait_storecnt_dscnt 0x0
	s_barrier_signal -1
	s_barrier_wait -1
	s_clause 0x6
	scratch_load_b128 v[8:11], off, off offset:352
	scratch_load_b128 v[70:73], off, off offset:368
	;; [unrolled: 1-line block ×7, first 2 shown]
	ds_load_b128 v[94:97], v2 offset:800
	ds_load_b128 v[98:101], v2 offset:816
	s_mov_b32 s2, exec_lo
	s_wait_loadcnt_dscnt 0x601
	v_mul_f64_e32 v[4:5], v[96:97], v[10:11]
	v_mul_f64_e32 v[12:13], v[94:95], v[10:11]
	s_wait_loadcnt_dscnt 0x500
	v_mul_f64_e32 v[102:103], v[98:99], v[72:73]
	v_mul_f64_e32 v[72:73], v[100:101], v[72:73]
	s_delay_alu instid0(VALU_DEP_4) | instskip(NEXT) | instid1(VALU_DEP_4)
	v_fma_f64 v[4:5], v[94:95], v[8:9], -v[4:5]
	v_fmac_f64_e32 v[12:13], v[96:97], v[8:9]
	ds_load_b128 v[8:11], v2 offset:832
	ds_load_b128 v[94:97], v2 offset:848
	v_fmac_f64_e32 v[102:103], v[100:101], v[70:71]
	v_fma_f64 v[70:71], v[98:99], v[70:71], -v[72:73]
	s_wait_loadcnt_dscnt 0x401
	v_mul_f64_e32 v[104:105], v[8:9], v[76:77]
	v_mul_f64_e32 v[76:77], v[10:11], v[76:77]
	s_wait_loadcnt_dscnt 0x300
	v_mul_f64_e32 v[72:73], v[94:95], v[80:81]
	v_mul_f64_e32 v[80:81], v[96:97], v[80:81]
	v_add_f64_e32 v[4:5], 0, v[4:5]
	v_add_f64_e32 v[12:13], 0, v[12:13]
	v_fmac_f64_e32 v[104:105], v[10:11], v[74:75]
	v_fma_f64 v[74:75], v[8:9], v[74:75], -v[76:77]
	v_fmac_f64_e32 v[72:73], v[96:97], v[78:79]
	v_fma_f64 v[78:79], v[94:95], v[78:79], -v[80:81]
	v_add_f64_e32 v[70:71], v[4:5], v[70:71]
	v_add_f64_e32 v[12:13], v[12:13], v[102:103]
	ds_load_b128 v[8:11], v2 offset:864
	ds_load_b128 v[2:5], v2 offset:880
	s_wait_loadcnt_dscnt 0x201
	v_mul_f64_e32 v[76:77], v[8:9], v[84:85]
	v_mul_f64_e32 v[84:85], v[10:11], v[84:85]
	s_wait_loadcnt_dscnt 0x100
	v_mul_f64_e32 v[80:81], v[4:5], v[88:89]
	v_add_f64_e32 v[70:71], v[70:71], v[74:75]
	v_add_f64_e32 v[12:13], v[12:13], v[104:105]
	v_mul_f64_e32 v[74:75], v[2:3], v[88:89]
	v_fmac_f64_e32 v[76:77], v[10:11], v[82:83]
	v_fma_f64 v[8:9], v[8:9], v[82:83], -v[84:85]
	v_fma_f64 v[2:3], v[2:3], v[86:87], -v[80:81]
	v_add_f64_e32 v[10:11], v[70:71], v[78:79]
	v_add_f64_e32 v[12:13], v[12:13], v[72:73]
	v_fmac_f64_e32 v[74:75], v[4:5], v[86:87]
	s_delay_alu instid0(VALU_DEP_3) | instskip(NEXT) | instid1(VALU_DEP_3)
	v_add_f64_e32 v[4:5], v[10:11], v[8:9]
	v_add_f64_e32 v[8:9], v[12:13], v[76:77]
	s_delay_alu instid0(VALU_DEP_2) | instskip(NEXT) | instid1(VALU_DEP_2)
	v_add_f64_e32 v[2:3], v[4:5], v[2:3]
	v_add_f64_e32 v[4:5], v[8:9], v[74:75]
	s_wait_loadcnt 0x0
	s_delay_alu instid0(VALU_DEP_2) | instskip(NEXT) | instid1(VALU_DEP_2)
	v_add_f64_e64 v[2:3], v[90:91], -v[2:3]
	v_add_f64_e64 v[4:5], v[92:93], -v[4:5]
	scratch_store_b128 off, v[2:5], off offset:336
	s_wait_xcnt 0x0
	v_cmpx_lt_u32_e32 20, v1
	s_cbranch_execz .LBB91_141
; %bb.140:
	scratch_load_b128 v[2:5], off, s23
	v_mov_b32_e32 v8, 0
	s_delay_alu instid0(VALU_DEP_1)
	v_dual_mov_b32 v9, v8 :: v_dual_mov_b32 v10, v8
	v_mov_b32_e32 v11, v8
	scratch_store_b128 off, v[8:11], off offset:320
	s_wait_loadcnt 0x0
	ds_store_b128 v6, v[2:5]
.LBB91_141:
	s_wait_xcnt 0x0
	s_or_b32 exec_lo, exec_lo, s2
	s_wait_storecnt_dscnt 0x0
	s_barrier_signal -1
	s_barrier_wait -1
	s_clause 0x7
	scratch_load_b128 v[8:11], off, off offset:336
	scratch_load_b128 v[70:73], off, off offset:352
	;; [unrolled: 1-line block ×8, first 2 shown]
	v_mov_b32_e32 v2, 0
	ds_load_b128 v[98:101], v2 offset:784
	ds_load_b128 v[102:105], v2 offset:800
	s_mov_b32 s2, exec_lo
	s_wait_loadcnt_dscnt 0x701
	v_mul_f64_e32 v[4:5], v[100:101], v[10:11]
	v_mul_f64_e32 v[12:13], v[98:99], v[10:11]
	s_wait_loadcnt_dscnt 0x600
	v_mul_f64_e32 v[106:107], v[102:103], v[72:73]
	v_mul_f64_e32 v[72:73], v[104:105], v[72:73]
	s_delay_alu instid0(VALU_DEP_4) | instskip(NEXT) | instid1(VALU_DEP_4)
	v_fma_f64 v[4:5], v[98:99], v[8:9], -v[4:5]
	v_fmac_f64_e32 v[12:13], v[100:101], v[8:9]
	ds_load_b128 v[8:11], v2 offset:816
	ds_load_b128 v[98:101], v2 offset:832
	v_fmac_f64_e32 v[106:107], v[104:105], v[70:71]
	v_fma_f64 v[70:71], v[102:103], v[70:71], -v[72:73]
	s_wait_loadcnt_dscnt 0x501
	v_mul_f64_e32 v[108:109], v[8:9], v[76:77]
	v_mul_f64_e32 v[76:77], v[10:11], v[76:77]
	s_wait_loadcnt_dscnt 0x400
	v_mul_f64_e32 v[102:103], v[98:99], v[80:81]
	v_mul_f64_e32 v[80:81], v[100:101], v[80:81]
	v_add_f64_e32 v[4:5], 0, v[4:5]
	v_add_f64_e32 v[12:13], 0, v[12:13]
	v_fmac_f64_e32 v[108:109], v[10:11], v[74:75]
	v_fma_f64 v[74:75], v[8:9], v[74:75], -v[76:77]
	v_fmac_f64_e32 v[102:103], v[100:101], v[78:79]
	v_fma_f64 v[78:79], v[98:99], v[78:79], -v[80:81]
	v_add_f64_e32 v[4:5], v[4:5], v[70:71]
	v_add_f64_e32 v[12:13], v[12:13], v[106:107]
	ds_load_b128 v[8:11], v2 offset:848
	ds_load_b128 v[70:73], v2 offset:864
	s_wait_loadcnt_dscnt 0x301
	v_mul_f64_e32 v[76:77], v[8:9], v[84:85]
	v_mul_f64_e32 v[84:85], v[10:11], v[84:85]
	s_wait_loadcnt_dscnt 0x200
	v_mul_f64_e32 v[80:81], v[72:73], v[88:89]
	v_add_f64_e32 v[4:5], v[4:5], v[74:75]
	v_add_f64_e32 v[12:13], v[12:13], v[108:109]
	v_mul_f64_e32 v[74:75], v[70:71], v[88:89]
	v_fmac_f64_e32 v[76:77], v[10:11], v[82:83]
	v_fma_f64 v[82:83], v[8:9], v[82:83], -v[84:85]
	ds_load_b128 v[8:11], v2 offset:880
	v_fma_f64 v[70:71], v[70:71], v[86:87], -v[80:81]
	v_add_f64_e32 v[4:5], v[4:5], v[78:79]
	v_add_f64_e32 v[12:13], v[12:13], v[102:103]
	v_fmac_f64_e32 v[74:75], v[72:73], v[86:87]
	s_wait_loadcnt_dscnt 0x100
	v_mul_f64_e32 v[78:79], v[8:9], v[92:93]
	v_mul_f64_e32 v[84:85], v[10:11], v[92:93]
	v_add_f64_e32 v[4:5], v[4:5], v[82:83]
	v_add_f64_e32 v[12:13], v[12:13], v[76:77]
	s_delay_alu instid0(VALU_DEP_4) | instskip(NEXT) | instid1(VALU_DEP_4)
	v_fmac_f64_e32 v[78:79], v[10:11], v[90:91]
	v_fma_f64 v[8:9], v[8:9], v[90:91], -v[84:85]
	s_delay_alu instid0(VALU_DEP_4) | instskip(NEXT) | instid1(VALU_DEP_4)
	v_add_f64_e32 v[4:5], v[4:5], v[70:71]
	v_add_f64_e32 v[10:11], v[12:13], v[74:75]
	s_delay_alu instid0(VALU_DEP_2) | instskip(NEXT) | instid1(VALU_DEP_2)
	v_add_f64_e32 v[4:5], v[4:5], v[8:9]
	v_add_f64_e32 v[10:11], v[10:11], v[78:79]
	s_wait_loadcnt 0x0
	s_delay_alu instid0(VALU_DEP_2) | instskip(NEXT) | instid1(VALU_DEP_2)
	v_add_f64_e64 v[8:9], v[94:95], -v[4:5]
	v_add_f64_e64 v[10:11], v[96:97], -v[10:11]
	scratch_store_b128 off, v[8:11], off offset:320
	s_wait_xcnt 0x0
	v_cmpx_lt_u32_e32 19, v1
	s_cbranch_execz .LBB91_143
; %bb.142:
	scratch_load_b128 v[8:11], off, s24
	v_dual_mov_b32 v3, v2 :: v_dual_mov_b32 v4, v2
	v_mov_b32_e32 v5, v2
	scratch_store_b128 off, v[2:5], off offset:304
	s_wait_loadcnt 0x0
	ds_store_b128 v6, v[8:11]
.LBB91_143:
	s_wait_xcnt 0x0
	s_or_b32 exec_lo, exec_lo, s2
	s_wait_storecnt_dscnt 0x0
	s_barrier_signal -1
	s_barrier_wait -1
	s_clause 0x7
	scratch_load_b128 v[8:11], off, off offset:320
	scratch_load_b128 v[70:73], off, off offset:336
	;; [unrolled: 1-line block ×8, first 2 shown]
	ds_load_b128 v[98:101], v2 offset:768
	ds_load_b128 v[102:105], v2 offset:784
	scratch_load_b128 v[106:109], off, off offset:304
	s_mov_b32 s2, exec_lo
	s_wait_loadcnt_dscnt 0x801
	v_mul_f64_e32 v[4:5], v[100:101], v[10:11]
	v_mul_f64_e32 v[12:13], v[98:99], v[10:11]
	s_wait_loadcnt_dscnt 0x700
	v_mul_f64_e32 v[110:111], v[102:103], v[72:73]
	v_mul_f64_e32 v[72:73], v[104:105], v[72:73]
	s_delay_alu instid0(VALU_DEP_4) | instskip(NEXT) | instid1(VALU_DEP_4)
	v_fma_f64 v[4:5], v[98:99], v[8:9], -v[4:5]
	v_fmac_f64_e32 v[12:13], v[100:101], v[8:9]
	ds_load_b128 v[8:11], v2 offset:800
	ds_load_b128 v[98:101], v2 offset:816
	v_fmac_f64_e32 v[110:111], v[104:105], v[70:71]
	v_fma_f64 v[70:71], v[102:103], v[70:71], -v[72:73]
	s_wait_loadcnt_dscnt 0x601
	v_mul_f64_e32 v[112:113], v[8:9], v[76:77]
	v_mul_f64_e32 v[76:77], v[10:11], v[76:77]
	s_wait_loadcnt_dscnt 0x500
	v_mul_f64_e32 v[102:103], v[98:99], v[80:81]
	v_mul_f64_e32 v[80:81], v[100:101], v[80:81]
	v_add_f64_e32 v[4:5], 0, v[4:5]
	v_add_f64_e32 v[12:13], 0, v[12:13]
	v_fmac_f64_e32 v[112:113], v[10:11], v[74:75]
	v_fma_f64 v[74:75], v[8:9], v[74:75], -v[76:77]
	v_fmac_f64_e32 v[102:103], v[100:101], v[78:79]
	v_fma_f64 v[78:79], v[98:99], v[78:79], -v[80:81]
	v_add_f64_e32 v[4:5], v[4:5], v[70:71]
	v_add_f64_e32 v[12:13], v[12:13], v[110:111]
	ds_load_b128 v[8:11], v2 offset:832
	ds_load_b128 v[70:73], v2 offset:848
	s_wait_loadcnt_dscnt 0x401
	v_mul_f64_e32 v[76:77], v[8:9], v[84:85]
	v_mul_f64_e32 v[84:85], v[10:11], v[84:85]
	s_wait_loadcnt_dscnt 0x300
	v_mul_f64_e32 v[80:81], v[72:73], v[88:89]
	v_add_f64_e32 v[4:5], v[4:5], v[74:75]
	v_add_f64_e32 v[12:13], v[12:13], v[112:113]
	v_mul_f64_e32 v[74:75], v[70:71], v[88:89]
	v_fmac_f64_e32 v[76:77], v[10:11], v[82:83]
	v_fma_f64 v[82:83], v[8:9], v[82:83], -v[84:85]
	v_fma_f64 v[70:71], v[70:71], v[86:87], -v[80:81]
	v_add_f64_e32 v[78:79], v[4:5], v[78:79]
	v_add_f64_e32 v[12:13], v[12:13], v[102:103]
	ds_load_b128 v[8:11], v2 offset:864
	ds_load_b128 v[2:5], v2 offset:880
	v_fmac_f64_e32 v[74:75], v[72:73], v[86:87]
	s_wait_loadcnt_dscnt 0x201
	v_mul_f64_e32 v[84:85], v[8:9], v[92:93]
	v_mul_f64_e32 v[88:89], v[10:11], v[92:93]
	v_add_f64_e32 v[72:73], v[78:79], v[82:83]
	v_add_f64_e32 v[12:13], v[12:13], v[76:77]
	s_wait_loadcnt_dscnt 0x100
	v_mul_f64_e32 v[76:77], v[2:3], v[96:97]
	v_mul_f64_e32 v[78:79], v[4:5], v[96:97]
	v_fmac_f64_e32 v[84:85], v[10:11], v[90:91]
	v_fma_f64 v[8:9], v[8:9], v[90:91], -v[88:89]
	v_add_f64_e32 v[10:11], v[72:73], v[70:71]
	v_add_f64_e32 v[12:13], v[12:13], v[74:75]
	v_fmac_f64_e32 v[76:77], v[4:5], v[94:95]
	v_fma_f64 v[2:3], v[2:3], v[94:95], -v[78:79]
	s_delay_alu instid0(VALU_DEP_4) | instskip(NEXT) | instid1(VALU_DEP_4)
	v_add_f64_e32 v[4:5], v[10:11], v[8:9]
	v_add_f64_e32 v[8:9], v[12:13], v[84:85]
	s_delay_alu instid0(VALU_DEP_2) | instskip(NEXT) | instid1(VALU_DEP_2)
	v_add_f64_e32 v[2:3], v[4:5], v[2:3]
	v_add_f64_e32 v[4:5], v[8:9], v[76:77]
	s_wait_loadcnt 0x0
	s_delay_alu instid0(VALU_DEP_2) | instskip(NEXT) | instid1(VALU_DEP_2)
	v_add_f64_e64 v[2:3], v[106:107], -v[2:3]
	v_add_f64_e64 v[4:5], v[108:109], -v[4:5]
	scratch_store_b128 off, v[2:5], off offset:304
	s_wait_xcnt 0x0
	v_cmpx_lt_u32_e32 18, v1
	s_cbranch_execz .LBB91_145
; %bb.144:
	scratch_load_b128 v[2:5], off, s25
	v_mov_b32_e32 v8, 0
	s_delay_alu instid0(VALU_DEP_1)
	v_dual_mov_b32 v9, v8 :: v_dual_mov_b32 v10, v8
	v_mov_b32_e32 v11, v8
	scratch_store_b128 off, v[8:11], off offset:288
	s_wait_loadcnt 0x0
	ds_store_b128 v6, v[2:5]
.LBB91_145:
	s_wait_xcnt 0x0
	s_or_b32 exec_lo, exec_lo, s2
	s_wait_storecnt_dscnt 0x0
	s_barrier_signal -1
	s_barrier_wait -1
	s_clause 0x8
	scratch_load_b128 v[8:11], off, off offset:304
	scratch_load_b128 v[70:73], off, off offset:320
	;; [unrolled: 1-line block ×9, first 2 shown]
	v_mov_b32_e32 v2, 0
	scratch_load_b128 v[106:109], off, off offset:288
	s_mov_b32 s2, exec_lo
	ds_load_b128 v[102:105], v2 offset:752
	ds_load_b128 v[110:113], v2 offset:768
	s_wait_loadcnt_dscnt 0x901
	v_mul_f64_e32 v[4:5], v[104:105], v[10:11]
	v_mul_f64_e32 v[12:13], v[102:103], v[10:11]
	s_wait_loadcnt_dscnt 0x800
	v_mul_f64_e32 v[114:115], v[110:111], v[72:73]
	v_mul_f64_e32 v[72:73], v[112:113], v[72:73]
	s_delay_alu instid0(VALU_DEP_4) | instskip(NEXT) | instid1(VALU_DEP_4)
	v_fma_f64 v[4:5], v[102:103], v[8:9], -v[4:5]
	v_fmac_f64_e32 v[12:13], v[104:105], v[8:9]
	ds_load_b128 v[8:11], v2 offset:784
	ds_load_b128 v[102:105], v2 offset:800
	v_fmac_f64_e32 v[114:115], v[112:113], v[70:71]
	v_fma_f64 v[70:71], v[110:111], v[70:71], -v[72:73]
	s_wait_loadcnt_dscnt 0x701
	v_mul_f64_e32 v[116:117], v[8:9], v[76:77]
	v_mul_f64_e32 v[76:77], v[10:11], v[76:77]
	s_wait_loadcnt_dscnt 0x600
	v_mul_f64_e32 v[110:111], v[102:103], v[80:81]
	v_mul_f64_e32 v[80:81], v[104:105], v[80:81]
	v_add_f64_e32 v[4:5], 0, v[4:5]
	v_add_f64_e32 v[12:13], 0, v[12:13]
	v_fmac_f64_e32 v[116:117], v[10:11], v[74:75]
	v_fma_f64 v[74:75], v[8:9], v[74:75], -v[76:77]
	v_fmac_f64_e32 v[110:111], v[104:105], v[78:79]
	v_fma_f64 v[78:79], v[102:103], v[78:79], -v[80:81]
	v_add_f64_e32 v[4:5], v[4:5], v[70:71]
	v_add_f64_e32 v[12:13], v[12:13], v[114:115]
	ds_load_b128 v[8:11], v2 offset:816
	ds_load_b128 v[70:73], v2 offset:832
	s_wait_loadcnt_dscnt 0x501
	v_mul_f64_e32 v[112:113], v[8:9], v[84:85]
	v_mul_f64_e32 v[76:77], v[10:11], v[84:85]
	s_wait_loadcnt_dscnt 0x400
	v_mul_f64_e32 v[80:81], v[70:71], v[88:89]
	v_mul_f64_e32 v[84:85], v[72:73], v[88:89]
	v_add_f64_e32 v[4:5], v[4:5], v[74:75]
	v_add_f64_e32 v[12:13], v[12:13], v[116:117]
	v_fmac_f64_e32 v[112:113], v[10:11], v[82:83]
	v_fma_f64 v[82:83], v[8:9], v[82:83], -v[76:77]
	ds_load_b128 v[8:11], v2 offset:848
	ds_load_b128 v[74:77], v2 offset:864
	v_fmac_f64_e32 v[80:81], v[72:73], v[86:87]
	v_fma_f64 v[70:71], v[70:71], v[86:87], -v[84:85]
	v_add_f64_e32 v[4:5], v[4:5], v[78:79]
	v_add_f64_e32 v[12:13], v[12:13], v[110:111]
	s_wait_loadcnt_dscnt 0x301
	v_mul_f64_e32 v[78:79], v[8:9], v[92:93]
	v_mul_f64_e32 v[88:89], v[10:11], v[92:93]
	s_wait_loadcnt_dscnt 0x200
	v_mul_f64_e32 v[72:73], v[74:75], v[96:97]
	v_add_f64_e32 v[4:5], v[4:5], v[82:83]
	v_add_f64_e32 v[12:13], v[12:13], v[112:113]
	v_mul_f64_e32 v[82:83], v[76:77], v[96:97]
	v_fmac_f64_e32 v[78:79], v[10:11], v[90:91]
	v_fma_f64 v[84:85], v[8:9], v[90:91], -v[88:89]
	ds_load_b128 v[8:11], v2 offset:880
	v_fmac_f64_e32 v[72:73], v[76:77], v[94:95]
	v_add_f64_e32 v[4:5], v[4:5], v[70:71]
	v_add_f64_e32 v[12:13], v[12:13], v[80:81]
	s_wait_loadcnt_dscnt 0x100
	v_mul_f64_e32 v[70:71], v[8:9], v[100:101]
	v_mul_f64_e32 v[80:81], v[10:11], v[100:101]
	v_fma_f64 v[74:75], v[74:75], v[94:95], -v[82:83]
	v_add_f64_e32 v[4:5], v[4:5], v[84:85]
	v_add_f64_e32 v[12:13], v[12:13], v[78:79]
	v_fmac_f64_e32 v[70:71], v[10:11], v[98:99]
	v_fma_f64 v[8:9], v[8:9], v[98:99], -v[80:81]
	s_delay_alu instid0(VALU_DEP_4) | instskip(NEXT) | instid1(VALU_DEP_4)
	v_add_f64_e32 v[4:5], v[4:5], v[74:75]
	v_add_f64_e32 v[10:11], v[12:13], v[72:73]
	s_delay_alu instid0(VALU_DEP_2) | instskip(NEXT) | instid1(VALU_DEP_2)
	v_add_f64_e32 v[4:5], v[4:5], v[8:9]
	v_add_f64_e32 v[10:11], v[10:11], v[70:71]
	s_wait_loadcnt 0x0
	s_delay_alu instid0(VALU_DEP_2) | instskip(NEXT) | instid1(VALU_DEP_2)
	v_add_f64_e64 v[8:9], v[106:107], -v[4:5]
	v_add_f64_e64 v[10:11], v[108:109], -v[10:11]
	scratch_store_b128 off, v[8:11], off offset:288
	s_wait_xcnt 0x0
	v_cmpx_lt_u32_e32 17, v1
	s_cbranch_execz .LBB91_147
; %bb.146:
	scratch_load_b128 v[8:11], off, s26
	v_dual_mov_b32 v3, v2 :: v_dual_mov_b32 v4, v2
	v_mov_b32_e32 v5, v2
	scratch_store_b128 off, v[2:5], off offset:272
	s_wait_loadcnt 0x0
	ds_store_b128 v6, v[8:11]
.LBB91_147:
	s_wait_xcnt 0x0
	s_or_b32 exec_lo, exec_lo, s2
	s_wait_storecnt_dscnt 0x0
	s_barrier_signal -1
	s_barrier_wait -1
	s_clause 0x9
	scratch_load_b128 v[8:11], off, off offset:288
	scratch_load_b128 v[70:73], off, off offset:304
	;; [unrolled: 1-line block ×10, first 2 shown]
	ds_load_b128 v[106:109], v2 offset:736
	ds_load_b128 v[110:113], v2 offset:752
	scratch_load_b128 v[114:117], off, off offset:272
	s_mov_b32 s2, exec_lo
	s_wait_loadcnt_dscnt 0xa01
	v_mul_f64_e32 v[4:5], v[108:109], v[10:11]
	v_mul_f64_e32 v[12:13], v[106:107], v[10:11]
	s_wait_loadcnt_dscnt 0x900
	v_mul_f64_e32 v[118:119], v[110:111], v[72:73]
	v_mul_f64_e32 v[72:73], v[112:113], v[72:73]
	s_delay_alu instid0(VALU_DEP_4) | instskip(NEXT) | instid1(VALU_DEP_4)
	v_fma_f64 v[4:5], v[106:107], v[8:9], -v[4:5]
	v_fmac_f64_e32 v[12:13], v[108:109], v[8:9]
	ds_load_b128 v[8:11], v2 offset:768
	ds_load_b128 v[106:109], v2 offset:784
	v_fmac_f64_e32 v[118:119], v[112:113], v[70:71]
	v_fma_f64 v[70:71], v[110:111], v[70:71], -v[72:73]
	s_wait_loadcnt_dscnt 0x801
	v_mul_f64_e32 v[120:121], v[8:9], v[76:77]
	v_mul_f64_e32 v[76:77], v[10:11], v[76:77]
	s_wait_loadcnt_dscnt 0x700
	v_mul_f64_e32 v[110:111], v[106:107], v[80:81]
	v_mul_f64_e32 v[80:81], v[108:109], v[80:81]
	v_add_f64_e32 v[4:5], 0, v[4:5]
	v_add_f64_e32 v[12:13], 0, v[12:13]
	v_fmac_f64_e32 v[120:121], v[10:11], v[74:75]
	v_fma_f64 v[74:75], v[8:9], v[74:75], -v[76:77]
	v_fmac_f64_e32 v[110:111], v[108:109], v[78:79]
	v_fma_f64 v[78:79], v[106:107], v[78:79], -v[80:81]
	v_add_f64_e32 v[4:5], v[4:5], v[70:71]
	v_add_f64_e32 v[12:13], v[12:13], v[118:119]
	ds_load_b128 v[8:11], v2 offset:800
	ds_load_b128 v[70:73], v2 offset:816
	s_wait_loadcnt_dscnt 0x601
	v_mul_f64_e32 v[112:113], v[8:9], v[84:85]
	v_mul_f64_e32 v[76:77], v[10:11], v[84:85]
	s_wait_loadcnt_dscnt 0x500
	v_mul_f64_e32 v[80:81], v[70:71], v[88:89]
	v_mul_f64_e32 v[84:85], v[72:73], v[88:89]
	v_add_f64_e32 v[4:5], v[4:5], v[74:75]
	v_add_f64_e32 v[12:13], v[12:13], v[120:121]
	v_fmac_f64_e32 v[112:113], v[10:11], v[82:83]
	v_fma_f64 v[82:83], v[8:9], v[82:83], -v[76:77]
	ds_load_b128 v[8:11], v2 offset:832
	ds_load_b128 v[74:77], v2 offset:848
	v_fmac_f64_e32 v[80:81], v[72:73], v[86:87]
	v_fma_f64 v[70:71], v[70:71], v[86:87], -v[84:85]
	v_add_f64_e32 v[4:5], v[4:5], v[78:79]
	v_add_f64_e32 v[12:13], v[12:13], v[110:111]
	s_wait_loadcnt_dscnt 0x401
	v_mul_f64_e32 v[78:79], v[8:9], v[92:93]
	v_mul_f64_e32 v[88:89], v[10:11], v[92:93]
	s_wait_loadcnt_dscnt 0x300
	v_mul_f64_e32 v[72:73], v[74:75], v[96:97]
	v_add_f64_e32 v[4:5], v[4:5], v[82:83]
	v_add_f64_e32 v[12:13], v[12:13], v[112:113]
	v_mul_f64_e32 v[82:83], v[76:77], v[96:97]
	v_fmac_f64_e32 v[78:79], v[10:11], v[90:91]
	v_fma_f64 v[84:85], v[8:9], v[90:91], -v[88:89]
	v_fmac_f64_e32 v[72:73], v[76:77], v[94:95]
	v_add_f64_e32 v[70:71], v[4:5], v[70:71]
	v_add_f64_e32 v[12:13], v[12:13], v[80:81]
	ds_load_b128 v[8:11], v2 offset:864
	ds_load_b128 v[2:5], v2 offset:880
	v_fma_f64 v[74:75], v[74:75], v[94:95], -v[82:83]
	s_wait_loadcnt_dscnt 0x201
	v_mul_f64_e32 v[80:81], v[8:9], v[100:101]
	v_mul_f64_e32 v[86:87], v[10:11], v[100:101]
	s_wait_loadcnt_dscnt 0x100
	v_mul_f64_e32 v[76:77], v[2:3], v[104:105]
	v_add_f64_e32 v[70:71], v[70:71], v[84:85]
	v_add_f64_e32 v[12:13], v[12:13], v[78:79]
	v_mul_f64_e32 v[78:79], v[4:5], v[104:105]
	v_fmac_f64_e32 v[80:81], v[10:11], v[98:99]
	v_fma_f64 v[8:9], v[8:9], v[98:99], -v[86:87]
	v_fmac_f64_e32 v[76:77], v[4:5], v[102:103]
	v_add_f64_e32 v[10:11], v[70:71], v[74:75]
	v_add_f64_e32 v[12:13], v[12:13], v[72:73]
	v_fma_f64 v[2:3], v[2:3], v[102:103], -v[78:79]
	s_delay_alu instid0(VALU_DEP_3) | instskip(NEXT) | instid1(VALU_DEP_3)
	v_add_f64_e32 v[4:5], v[10:11], v[8:9]
	v_add_f64_e32 v[8:9], v[12:13], v[80:81]
	s_delay_alu instid0(VALU_DEP_2) | instskip(NEXT) | instid1(VALU_DEP_2)
	v_add_f64_e32 v[2:3], v[4:5], v[2:3]
	v_add_f64_e32 v[4:5], v[8:9], v[76:77]
	s_wait_loadcnt 0x0
	s_delay_alu instid0(VALU_DEP_2) | instskip(NEXT) | instid1(VALU_DEP_2)
	v_add_f64_e64 v[2:3], v[114:115], -v[2:3]
	v_add_f64_e64 v[4:5], v[116:117], -v[4:5]
	scratch_store_b128 off, v[2:5], off offset:272
	s_wait_xcnt 0x0
	v_cmpx_lt_u32_e32 16, v1
	s_cbranch_execz .LBB91_149
; %bb.148:
	scratch_load_b128 v[2:5], off, s27
	v_mov_b32_e32 v8, 0
	s_delay_alu instid0(VALU_DEP_1)
	v_dual_mov_b32 v9, v8 :: v_dual_mov_b32 v10, v8
	v_mov_b32_e32 v11, v8
	scratch_store_b128 off, v[8:11], off offset:256
	s_wait_loadcnt 0x0
	ds_store_b128 v6, v[2:5]
.LBB91_149:
	s_wait_xcnt 0x0
	s_or_b32 exec_lo, exec_lo, s2
	s_wait_storecnt_dscnt 0x0
	s_barrier_signal -1
	s_barrier_wait -1
	s_clause 0x9
	scratch_load_b128 v[8:11], off, off offset:272
	scratch_load_b128 v[70:73], off, off offset:288
	;; [unrolled: 1-line block ×10, first 2 shown]
	v_mov_b32_e32 v2, 0
	s_mov_b32 s2, exec_lo
	ds_load_b128 v[106:109], v2 offset:720
	s_clause 0x1
	scratch_load_b128 v[110:113], off, off offset:432
	scratch_load_b128 v[114:117], off, off offset:256
	s_wait_loadcnt_dscnt 0xb00
	v_mul_f64_e32 v[4:5], v[108:109], v[10:11]
	v_mul_f64_e32 v[12:13], v[106:107], v[10:11]
	ds_load_b128 v[118:121], v2 offset:736
	s_wait_loadcnt_dscnt 0xa00
	v_mul_f64_e32 v[122:123], v[118:119], v[72:73]
	v_mul_f64_e32 v[72:73], v[120:121], v[72:73]
	v_fma_f64 v[4:5], v[106:107], v[8:9], -v[4:5]
	v_fmac_f64_e32 v[12:13], v[108:109], v[8:9]
	ds_load_b128 v[8:11], v2 offset:752
	ds_load_b128 v[106:109], v2 offset:768
	s_wait_loadcnt_dscnt 0x901
	v_mul_f64_e32 v[124:125], v[8:9], v[76:77]
	v_mul_f64_e32 v[76:77], v[10:11], v[76:77]
	v_fmac_f64_e32 v[122:123], v[120:121], v[70:71]
	v_fma_f64 v[70:71], v[118:119], v[70:71], -v[72:73]
	s_wait_loadcnt_dscnt 0x800
	v_mul_f64_e32 v[118:119], v[106:107], v[80:81]
	v_mul_f64_e32 v[80:81], v[108:109], v[80:81]
	v_add_f64_e32 v[4:5], 0, v[4:5]
	v_add_f64_e32 v[12:13], 0, v[12:13]
	v_fmac_f64_e32 v[124:125], v[10:11], v[74:75]
	v_fma_f64 v[74:75], v[8:9], v[74:75], -v[76:77]
	v_fmac_f64_e32 v[118:119], v[108:109], v[78:79]
	v_fma_f64 v[78:79], v[106:107], v[78:79], -v[80:81]
	v_add_f64_e32 v[4:5], v[4:5], v[70:71]
	v_add_f64_e32 v[12:13], v[12:13], v[122:123]
	ds_load_b128 v[8:11], v2 offset:784
	ds_load_b128 v[70:73], v2 offset:800
	s_wait_loadcnt_dscnt 0x701
	v_mul_f64_e32 v[120:121], v[8:9], v[84:85]
	v_mul_f64_e32 v[76:77], v[10:11], v[84:85]
	s_wait_loadcnt_dscnt 0x600
	v_mul_f64_e32 v[80:81], v[70:71], v[88:89]
	v_mul_f64_e32 v[84:85], v[72:73], v[88:89]
	v_add_f64_e32 v[4:5], v[4:5], v[74:75]
	v_add_f64_e32 v[12:13], v[12:13], v[124:125]
	v_fmac_f64_e32 v[120:121], v[10:11], v[82:83]
	v_fma_f64 v[82:83], v[8:9], v[82:83], -v[76:77]
	ds_load_b128 v[8:11], v2 offset:816
	ds_load_b128 v[74:77], v2 offset:832
	v_fmac_f64_e32 v[80:81], v[72:73], v[86:87]
	v_fma_f64 v[70:71], v[70:71], v[86:87], -v[84:85]
	v_add_f64_e32 v[4:5], v[4:5], v[78:79]
	v_add_f64_e32 v[12:13], v[12:13], v[118:119]
	s_wait_loadcnt_dscnt 0x501
	v_mul_f64_e32 v[78:79], v[8:9], v[92:93]
	v_mul_f64_e32 v[88:89], v[10:11], v[92:93]
	s_wait_loadcnt_dscnt 0x400
	v_mul_f64_e32 v[84:85], v[76:77], v[96:97]
	v_add_f64_e32 v[4:5], v[4:5], v[82:83]
	v_add_f64_e32 v[12:13], v[12:13], v[120:121]
	v_mul_f64_e32 v[82:83], v[74:75], v[96:97]
	v_fmac_f64_e32 v[78:79], v[10:11], v[90:91]
	v_fma_f64 v[86:87], v[8:9], v[90:91], -v[88:89]
	v_fma_f64 v[74:75], v[74:75], v[94:95], -v[84:85]
	v_add_f64_e32 v[4:5], v[4:5], v[70:71]
	v_add_f64_e32 v[12:13], v[12:13], v[80:81]
	ds_load_b128 v[8:11], v2 offset:848
	ds_load_b128 v[70:73], v2 offset:864
	v_fmac_f64_e32 v[82:83], v[76:77], v[94:95]
	s_wait_loadcnt_dscnt 0x301
	v_mul_f64_e32 v[80:81], v[8:9], v[100:101]
	v_mul_f64_e32 v[88:89], v[10:11], v[100:101]
	s_wait_loadcnt_dscnt 0x200
	v_mul_f64_e32 v[76:77], v[70:71], v[104:105]
	v_add_f64_e32 v[4:5], v[4:5], v[86:87]
	v_add_f64_e32 v[12:13], v[12:13], v[78:79]
	v_mul_f64_e32 v[78:79], v[72:73], v[104:105]
	v_fmac_f64_e32 v[80:81], v[10:11], v[98:99]
	v_fma_f64 v[84:85], v[8:9], v[98:99], -v[88:89]
	ds_load_b128 v[8:11], v2 offset:880
	v_fmac_f64_e32 v[76:77], v[72:73], v[102:103]
	v_add_f64_e32 v[4:5], v[4:5], v[74:75]
	v_add_f64_e32 v[12:13], v[12:13], v[82:83]
	v_fma_f64 v[70:71], v[70:71], v[102:103], -v[78:79]
	s_wait_loadcnt_dscnt 0x100
	v_mul_f64_e32 v[74:75], v[8:9], v[112:113]
	v_mul_f64_e32 v[82:83], v[10:11], v[112:113]
	v_add_f64_e32 v[4:5], v[4:5], v[84:85]
	v_add_f64_e32 v[12:13], v[12:13], v[80:81]
	s_delay_alu instid0(VALU_DEP_4) | instskip(NEXT) | instid1(VALU_DEP_4)
	v_fmac_f64_e32 v[74:75], v[10:11], v[110:111]
	v_fma_f64 v[8:9], v[8:9], v[110:111], -v[82:83]
	s_delay_alu instid0(VALU_DEP_4) | instskip(NEXT) | instid1(VALU_DEP_4)
	v_add_f64_e32 v[4:5], v[4:5], v[70:71]
	v_add_f64_e32 v[10:11], v[12:13], v[76:77]
	s_delay_alu instid0(VALU_DEP_2) | instskip(NEXT) | instid1(VALU_DEP_2)
	v_add_f64_e32 v[4:5], v[4:5], v[8:9]
	v_add_f64_e32 v[10:11], v[10:11], v[74:75]
	s_wait_loadcnt 0x0
	s_delay_alu instid0(VALU_DEP_2) | instskip(NEXT) | instid1(VALU_DEP_2)
	v_add_f64_e64 v[8:9], v[114:115], -v[4:5]
	v_add_f64_e64 v[10:11], v[116:117], -v[10:11]
	scratch_store_b128 off, v[8:11], off offset:256
	s_wait_xcnt 0x0
	v_cmpx_lt_u32_e32 15, v1
	s_cbranch_execz .LBB91_151
; %bb.150:
	scratch_load_b128 v[8:11], off, s28
	v_dual_mov_b32 v3, v2 :: v_dual_mov_b32 v4, v2
	v_mov_b32_e32 v5, v2
	scratch_store_b128 off, v[2:5], off offset:240
	s_wait_loadcnt 0x0
	ds_store_b128 v6, v[8:11]
.LBB91_151:
	s_wait_xcnt 0x0
	s_or_b32 exec_lo, exec_lo, s2
	s_wait_storecnt_dscnt 0x0
	s_barrier_signal -1
	s_barrier_wait -1
	s_clause 0x9
	scratch_load_b128 v[8:11], off, off offset:256
	scratch_load_b128 v[70:73], off, off offset:272
	;; [unrolled: 1-line block ×10, first 2 shown]
	ds_load_b128 v[106:109], v2 offset:704
	ds_load_b128 v[114:117], v2 offset:720
	s_clause 0x1
	scratch_load_b128 v[110:113], off, off offset:416
	scratch_load_b128 v[118:121], off, off offset:240
	s_mov_b32 s2, exec_lo
	s_wait_loadcnt_dscnt 0xb01
	v_mul_f64_e32 v[4:5], v[108:109], v[10:11]
	v_mul_f64_e32 v[126:127], v[106:107], v[10:11]
	scratch_load_b128 v[10:13], off, off offset:432
	s_wait_loadcnt_dscnt 0xb00
	v_mul_f64_e32 v[128:129], v[114:115], v[72:73]
	v_mul_f64_e32 v[72:73], v[116:117], v[72:73]
	v_fma_f64 v[4:5], v[106:107], v[8:9], -v[4:5]
	v_fmac_f64_e32 v[126:127], v[108:109], v[8:9]
	ds_load_b128 v[106:109], v2 offset:736
	ds_load_b128 v[122:125], v2 offset:752
	v_fmac_f64_e32 v[128:129], v[116:117], v[70:71]
	v_fma_f64 v[70:71], v[114:115], v[70:71], -v[72:73]
	s_wait_loadcnt_dscnt 0xa01
	v_mul_f64_e32 v[8:9], v[106:107], v[76:77]
	v_mul_f64_e32 v[76:77], v[108:109], v[76:77]
	s_wait_loadcnt_dscnt 0x900
	v_mul_f64_e32 v[114:115], v[122:123], v[80:81]
	v_mul_f64_e32 v[80:81], v[124:125], v[80:81]
	v_add_f64_e32 v[4:5], 0, v[4:5]
	v_add_f64_e32 v[72:73], 0, v[126:127]
	v_fmac_f64_e32 v[8:9], v[108:109], v[74:75]
	v_fma_f64 v[106:107], v[106:107], v[74:75], -v[76:77]
	v_fmac_f64_e32 v[114:115], v[124:125], v[78:79]
	v_fma_f64 v[78:79], v[122:123], v[78:79], -v[80:81]
	v_add_f64_e32 v[4:5], v[4:5], v[70:71]
	v_add_f64_e32 v[108:109], v[72:73], v[128:129]
	ds_load_b128 v[70:73], v2 offset:768
	ds_load_b128 v[74:77], v2 offset:784
	s_wait_loadcnt_dscnt 0x801
	v_mul_f64_e32 v[116:117], v[70:71], v[84:85]
	v_mul_f64_e32 v[84:85], v[72:73], v[84:85]
	v_add_f64_e32 v[4:5], v[4:5], v[106:107]
	v_add_f64_e32 v[8:9], v[108:109], v[8:9]
	s_wait_loadcnt_dscnt 0x700
	v_mul_f64_e32 v[106:107], v[74:75], v[88:89]
	v_mul_f64_e32 v[88:89], v[76:77], v[88:89]
	v_fmac_f64_e32 v[116:117], v[72:73], v[82:83]
	v_fma_f64 v[82:83], v[70:71], v[82:83], -v[84:85]
	v_add_f64_e32 v[4:5], v[4:5], v[78:79]
	v_add_f64_e32 v[8:9], v[8:9], v[114:115]
	ds_load_b128 v[70:73], v2 offset:800
	ds_load_b128 v[78:81], v2 offset:816
	v_fmac_f64_e32 v[106:107], v[76:77], v[86:87]
	v_fma_f64 v[74:75], v[74:75], v[86:87], -v[88:89]
	s_wait_loadcnt_dscnt 0x601
	v_mul_f64_e32 v[84:85], v[70:71], v[92:93]
	v_mul_f64_e32 v[92:93], v[72:73], v[92:93]
	s_wait_loadcnt_dscnt 0x500
	v_mul_f64_e32 v[86:87], v[80:81], v[96:97]
	v_add_f64_e32 v[4:5], v[4:5], v[82:83]
	v_add_f64_e32 v[8:9], v[8:9], v[116:117]
	v_mul_f64_e32 v[82:83], v[78:79], v[96:97]
	v_fmac_f64_e32 v[84:85], v[72:73], v[90:91]
	v_fma_f64 v[88:89], v[70:71], v[90:91], -v[92:93]
	v_fma_f64 v[78:79], v[78:79], v[94:95], -v[86:87]
	v_add_f64_e32 v[4:5], v[4:5], v[74:75]
	v_add_f64_e32 v[8:9], v[8:9], v[106:107]
	ds_load_b128 v[70:73], v2 offset:832
	ds_load_b128 v[74:77], v2 offset:848
	v_fmac_f64_e32 v[82:83], v[80:81], v[94:95]
	s_wait_loadcnt_dscnt 0x401
	v_mul_f64_e32 v[90:91], v[70:71], v[100:101]
	v_mul_f64_e32 v[92:93], v[72:73], v[100:101]
	s_wait_loadcnt_dscnt 0x300
	v_mul_f64_e32 v[80:81], v[74:75], v[104:105]
	v_add_f64_e32 v[4:5], v[4:5], v[88:89]
	v_add_f64_e32 v[8:9], v[8:9], v[84:85]
	v_mul_f64_e32 v[84:85], v[76:77], v[104:105]
	v_fmac_f64_e32 v[90:91], v[72:73], v[98:99]
	v_fma_f64 v[86:87], v[70:71], v[98:99], -v[92:93]
	v_fmac_f64_e32 v[80:81], v[76:77], v[102:103]
	v_add_f64_e32 v[78:79], v[4:5], v[78:79]
	v_add_f64_e32 v[8:9], v[8:9], v[82:83]
	ds_load_b128 v[70:73], v2 offset:864
	ds_load_b128 v[2:5], v2 offset:880
	v_fma_f64 v[74:75], v[74:75], v[102:103], -v[84:85]
	s_wait_loadcnt_dscnt 0x201
	v_mul_f64_e32 v[82:83], v[70:71], v[112:113]
	v_mul_f64_e32 v[88:89], v[72:73], v[112:113]
	v_add_f64_e32 v[76:77], v[78:79], v[86:87]
	v_add_f64_e32 v[8:9], v[8:9], v[90:91]
	s_wait_loadcnt_dscnt 0x0
	v_mul_f64_e32 v[78:79], v[2:3], v[12:13]
	v_mul_f64_e32 v[12:13], v[4:5], v[12:13]
	v_fmac_f64_e32 v[82:83], v[72:73], v[110:111]
	v_fma_f64 v[70:71], v[70:71], v[110:111], -v[88:89]
	v_add_f64_e32 v[72:73], v[76:77], v[74:75]
	v_add_f64_e32 v[8:9], v[8:9], v[80:81]
	v_fmac_f64_e32 v[78:79], v[4:5], v[10:11]
	v_fma_f64 v[2:3], v[2:3], v[10:11], -v[12:13]
	s_delay_alu instid0(VALU_DEP_4) | instskip(NEXT) | instid1(VALU_DEP_4)
	v_add_f64_e32 v[4:5], v[72:73], v[70:71]
	v_add_f64_e32 v[8:9], v[8:9], v[82:83]
	s_delay_alu instid0(VALU_DEP_2) | instskip(NEXT) | instid1(VALU_DEP_2)
	v_add_f64_e32 v[2:3], v[4:5], v[2:3]
	v_add_f64_e32 v[4:5], v[8:9], v[78:79]
	s_delay_alu instid0(VALU_DEP_2) | instskip(NEXT) | instid1(VALU_DEP_2)
	v_add_f64_e64 v[2:3], v[118:119], -v[2:3]
	v_add_f64_e64 v[4:5], v[120:121], -v[4:5]
	scratch_store_b128 off, v[2:5], off offset:240
	s_wait_xcnt 0x0
	v_cmpx_lt_u32_e32 14, v1
	s_cbranch_execz .LBB91_153
; %bb.152:
	scratch_load_b128 v[2:5], off, s29
	v_mov_b32_e32 v8, 0
	s_delay_alu instid0(VALU_DEP_1)
	v_dual_mov_b32 v9, v8 :: v_dual_mov_b32 v10, v8
	v_mov_b32_e32 v11, v8
	scratch_store_b128 off, v[8:11], off offset:224
	s_wait_loadcnt 0x0
	ds_store_b128 v6, v[2:5]
.LBB91_153:
	s_wait_xcnt 0x0
	s_or_b32 exec_lo, exec_lo, s2
	s_wait_storecnt_dscnt 0x0
	s_barrier_signal -1
	s_barrier_wait -1
	s_clause 0x9
	scratch_load_b128 v[8:11], off, off offset:240
	scratch_load_b128 v[70:73], off, off offset:256
	;; [unrolled: 1-line block ×10, first 2 shown]
	v_mov_b32_e32 v2, 0
	s_mov_b32 s2, exec_lo
	ds_load_b128 v[106:109], v2 offset:688
	s_clause 0x2
	scratch_load_b128 v[110:113], off, off offset:400
	scratch_load_b128 v[114:117], off, off offset:224
	;; [unrolled: 1-line block ×3, first 2 shown]
	s_wait_loadcnt_dscnt 0xc00
	v_mul_f64_e32 v[4:5], v[108:109], v[10:11]
	v_mul_f64_e32 v[130:131], v[106:107], v[10:11]
	ds_load_b128 v[118:121], v2 offset:704
	scratch_load_b128 v[10:13], off, off offset:416
	ds_load_b128 v[126:129], v2 offset:736
	v_fma_f64 v[4:5], v[106:107], v[8:9], -v[4:5]
	v_fmac_f64_e32 v[130:131], v[108:109], v[8:9]
	ds_load_b128 v[106:109], v2 offset:720
	s_wait_loadcnt_dscnt 0xc02
	v_mul_f64_e32 v[132:133], v[118:119], v[72:73]
	v_mul_f64_e32 v[72:73], v[120:121], v[72:73]
	s_wait_loadcnt_dscnt 0xb00
	v_mul_f64_e32 v[8:9], v[106:107], v[76:77]
	v_mul_f64_e32 v[76:77], v[108:109], v[76:77]
	v_add_f64_e32 v[4:5], 0, v[4:5]
	v_fmac_f64_e32 v[132:133], v[120:121], v[70:71]
	v_fma_f64 v[70:71], v[118:119], v[70:71], -v[72:73]
	v_add_f64_e32 v[72:73], 0, v[130:131]
	s_wait_loadcnt 0xa
	v_mul_f64_e32 v[118:119], v[126:127], v[80:81]
	v_mul_f64_e32 v[80:81], v[128:129], v[80:81]
	v_fmac_f64_e32 v[8:9], v[108:109], v[74:75]
	v_fma_f64 v[106:107], v[106:107], v[74:75], -v[76:77]
	v_add_f64_e32 v[4:5], v[4:5], v[70:71]
	v_add_f64_e32 v[108:109], v[72:73], v[132:133]
	ds_load_b128 v[70:73], v2 offset:752
	ds_load_b128 v[74:77], v2 offset:768
	v_fmac_f64_e32 v[118:119], v[128:129], v[78:79]
	v_fma_f64 v[78:79], v[126:127], v[78:79], -v[80:81]
	s_wait_loadcnt_dscnt 0x901
	v_mul_f64_e32 v[120:121], v[70:71], v[84:85]
	v_mul_f64_e32 v[84:85], v[72:73], v[84:85]
	v_add_f64_e32 v[4:5], v[4:5], v[106:107]
	v_add_f64_e32 v[8:9], v[108:109], v[8:9]
	s_wait_loadcnt_dscnt 0x800
	v_mul_f64_e32 v[106:107], v[74:75], v[88:89]
	v_mul_f64_e32 v[88:89], v[76:77], v[88:89]
	v_fmac_f64_e32 v[120:121], v[72:73], v[82:83]
	v_fma_f64 v[82:83], v[70:71], v[82:83], -v[84:85]
	v_add_f64_e32 v[4:5], v[4:5], v[78:79]
	v_add_f64_e32 v[8:9], v[8:9], v[118:119]
	ds_load_b128 v[70:73], v2 offset:784
	ds_load_b128 v[78:81], v2 offset:800
	v_fmac_f64_e32 v[106:107], v[76:77], v[86:87]
	v_fma_f64 v[74:75], v[74:75], v[86:87], -v[88:89]
	s_wait_loadcnt_dscnt 0x701
	v_mul_f64_e32 v[84:85], v[70:71], v[92:93]
	v_mul_f64_e32 v[92:93], v[72:73], v[92:93]
	s_wait_loadcnt_dscnt 0x600
	v_mul_f64_e32 v[86:87], v[80:81], v[96:97]
	v_add_f64_e32 v[4:5], v[4:5], v[82:83]
	v_add_f64_e32 v[8:9], v[8:9], v[120:121]
	v_mul_f64_e32 v[82:83], v[78:79], v[96:97]
	v_fmac_f64_e32 v[84:85], v[72:73], v[90:91]
	v_fma_f64 v[88:89], v[70:71], v[90:91], -v[92:93]
	v_fma_f64 v[78:79], v[78:79], v[94:95], -v[86:87]
	v_add_f64_e32 v[4:5], v[4:5], v[74:75]
	v_add_f64_e32 v[8:9], v[8:9], v[106:107]
	ds_load_b128 v[70:73], v2 offset:816
	ds_load_b128 v[74:77], v2 offset:832
	v_fmac_f64_e32 v[82:83], v[80:81], v[94:95]
	s_wait_loadcnt_dscnt 0x501
	v_mul_f64_e32 v[90:91], v[70:71], v[100:101]
	v_mul_f64_e32 v[92:93], v[72:73], v[100:101]
	s_wait_loadcnt_dscnt 0x400
	v_mul_f64_e32 v[86:87], v[76:77], v[104:105]
	v_add_f64_e32 v[4:5], v[4:5], v[88:89]
	v_add_f64_e32 v[8:9], v[8:9], v[84:85]
	v_mul_f64_e32 v[84:85], v[74:75], v[104:105]
	v_fmac_f64_e32 v[90:91], v[72:73], v[98:99]
	v_fma_f64 v[88:89], v[70:71], v[98:99], -v[92:93]
	v_fma_f64 v[74:75], v[74:75], v[102:103], -v[86:87]
	v_add_f64_e32 v[4:5], v[4:5], v[78:79]
	v_add_f64_e32 v[8:9], v[8:9], v[82:83]
	ds_load_b128 v[70:73], v2 offset:848
	ds_load_b128 v[78:81], v2 offset:864
	v_fmac_f64_e32 v[84:85], v[76:77], v[102:103]
	s_wait_loadcnt_dscnt 0x301
	v_mul_f64_e32 v[82:83], v[70:71], v[112:113]
	v_mul_f64_e32 v[92:93], v[72:73], v[112:113]
	s_wait_loadcnt_dscnt 0x0
	v_mul_f64_e32 v[76:77], v[78:79], v[12:13]
	v_add_f64_e32 v[4:5], v[4:5], v[88:89]
	v_add_f64_e32 v[8:9], v[8:9], v[90:91]
	v_mul_f64_e32 v[12:13], v[80:81], v[12:13]
	v_fmac_f64_e32 v[82:83], v[72:73], v[110:111]
	v_fma_f64 v[86:87], v[70:71], v[110:111], -v[92:93]
	ds_load_b128 v[70:73], v2 offset:880
	v_fmac_f64_e32 v[76:77], v[80:81], v[10:11]
	v_add_f64_e32 v[4:5], v[4:5], v[74:75]
	v_add_f64_e32 v[8:9], v[8:9], v[84:85]
	v_fma_f64 v[10:11], v[78:79], v[10:11], -v[12:13]
	s_wait_dscnt 0x0
	v_mul_f64_e32 v[74:75], v[70:71], v[124:125]
	v_mul_f64_e32 v[84:85], v[72:73], v[124:125]
	v_add_f64_e32 v[4:5], v[4:5], v[86:87]
	v_add_f64_e32 v[8:9], v[8:9], v[82:83]
	s_delay_alu instid0(VALU_DEP_4) | instskip(NEXT) | instid1(VALU_DEP_4)
	v_fmac_f64_e32 v[74:75], v[72:73], v[122:123]
	v_fma_f64 v[12:13], v[70:71], v[122:123], -v[84:85]
	s_delay_alu instid0(VALU_DEP_4) | instskip(NEXT) | instid1(VALU_DEP_4)
	v_add_f64_e32 v[4:5], v[4:5], v[10:11]
	v_add_f64_e32 v[8:9], v[8:9], v[76:77]
	s_delay_alu instid0(VALU_DEP_2) | instskip(NEXT) | instid1(VALU_DEP_2)
	v_add_f64_e32 v[4:5], v[4:5], v[12:13]
	v_add_f64_e32 v[10:11], v[8:9], v[74:75]
	s_delay_alu instid0(VALU_DEP_2) | instskip(NEXT) | instid1(VALU_DEP_2)
	v_add_f64_e64 v[8:9], v[114:115], -v[4:5]
	v_add_f64_e64 v[10:11], v[116:117], -v[10:11]
	scratch_store_b128 off, v[8:11], off offset:224
	s_wait_xcnt 0x0
	v_cmpx_lt_u32_e32 13, v1
	s_cbranch_execz .LBB91_155
; %bb.154:
	scratch_load_b128 v[8:11], off, s30
	v_dual_mov_b32 v3, v2 :: v_dual_mov_b32 v4, v2
	v_mov_b32_e32 v5, v2
	scratch_store_b128 off, v[2:5], off offset:208
	s_wait_loadcnt 0x0
	ds_store_b128 v6, v[8:11]
.LBB91_155:
	s_wait_xcnt 0x0
	s_or_b32 exec_lo, exec_lo, s2
	s_wait_storecnt_dscnt 0x0
	s_barrier_signal -1
	s_barrier_wait -1
	s_clause 0x9
	scratch_load_b128 v[8:11], off, off offset:224
	scratch_load_b128 v[70:73], off, off offset:240
	;; [unrolled: 1-line block ×10, first 2 shown]
	ds_load_b128 v[106:109], v2 offset:672
	ds_load_b128 v[114:117], v2 offset:688
	s_clause 0x1
	scratch_load_b128 v[110:113], off, off offset:384
	scratch_load_b128 v[118:121], off, off offset:208
	s_mov_b32 s2, exec_lo
	s_wait_loadcnt_dscnt 0xb01
	v_mul_f64_e32 v[4:5], v[108:109], v[10:11]
	v_mul_f64_e32 v[130:131], v[106:107], v[10:11]
	scratch_load_b128 v[10:13], off, off offset:400
	s_wait_loadcnt_dscnt 0xb00
	v_mul_f64_e32 v[132:133], v[114:115], v[72:73]
	v_mul_f64_e32 v[72:73], v[116:117], v[72:73]
	v_fma_f64 v[4:5], v[106:107], v[8:9], -v[4:5]
	v_fmac_f64_e32 v[130:131], v[108:109], v[8:9]
	ds_load_b128 v[106:109], v2 offset:704
	ds_load_b128 v[122:125], v2 offset:720
	scratch_load_b128 v[126:129], off, off offset:416
	v_fmac_f64_e32 v[132:133], v[116:117], v[70:71]
	v_fma_f64 v[114:115], v[114:115], v[70:71], -v[72:73]
	scratch_load_b128 v[70:73], off, off offset:432
	s_wait_loadcnt_dscnt 0xc01
	v_mul_f64_e32 v[8:9], v[106:107], v[76:77]
	v_mul_f64_e32 v[76:77], v[108:109], v[76:77]
	v_add_f64_e32 v[4:5], 0, v[4:5]
	v_add_f64_e32 v[116:117], 0, v[130:131]
	s_wait_loadcnt_dscnt 0xb00
	v_mul_f64_e32 v[130:131], v[122:123], v[80:81]
	v_mul_f64_e32 v[80:81], v[124:125], v[80:81]
	v_fmac_f64_e32 v[8:9], v[108:109], v[74:75]
	v_fma_f64 v[134:135], v[106:107], v[74:75], -v[76:77]
	ds_load_b128 v[74:77], v2 offset:736
	ds_load_b128 v[106:109], v2 offset:752
	v_add_f64_e32 v[4:5], v[4:5], v[114:115]
	v_add_f64_e32 v[114:115], v[116:117], v[132:133]
	v_fmac_f64_e32 v[130:131], v[124:125], v[78:79]
	v_fma_f64 v[78:79], v[122:123], v[78:79], -v[80:81]
	s_wait_loadcnt_dscnt 0xa01
	v_mul_f64_e32 v[116:117], v[74:75], v[84:85]
	v_mul_f64_e32 v[84:85], v[76:77], v[84:85]
	v_add_f64_e32 v[4:5], v[4:5], v[134:135]
	v_add_f64_e32 v[8:9], v[114:115], v[8:9]
	s_wait_loadcnt_dscnt 0x900
	v_mul_f64_e32 v[114:115], v[106:107], v[88:89]
	v_mul_f64_e32 v[88:89], v[108:109], v[88:89]
	v_fmac_f64_e32 v[116:117], v[76:77], v[82:83]
	v_fma_f64 v[82:83], v[74:75], v[82:83], -v[84:85]
	v_add_f64_e32 v[4:5], v[4:5], v[78:79]
	v_add_f64_e32 v[8:9], v[8:9], v[130:131]
	ds_load_b128 v[74:77], v2 offset:768
	ds_load_b128 v[78:81], v2 offset:784
	v_fmac_f64_e32 v[114:115], v[108:109], v[86:87]
	v_fma_f64 v[86:87], v[106:107], v[86:87], -v[88:89]
	s_wait_loadcnt_dscnt 0x801
	v_mul_f64_e32 v[122:123], v[74:75], v[92:93]
	v_mul_f64_e32 v[84:85], v[76:77], v[92:93]
	s_wait_loadcnt_dscnt 0x700
	v_mul_f64_e32 v[88:89], v[78:79], v[96:97]
	v_mul_f64_e32 v[92:93], v[80:81], v[96:97]
	v_add_f64_e32 v[4:5], v[4:5], v[82:83]
	v_add_f64_e32 v[8:9], v[8:9], v[116:117]
	v_fmac_f64_e32 v[122:123], v[76:77], v[90:91]
	v_fma_f64 v[90:91], v[74:75], v[90:91], -v[84:85]
	ds_load_b128 v[74:77], v2 offset:800
	ds_load_b128 v[82:85], v2 offset:816
	v_fmac_f64_e32 v[88:89], v[80:81], v[94:95]
	v_fma_f64 v[78:79], v[78:79], v[94:95], -v[92:93]
	v_add_f64_e32 v[4:5], v[4:5], v[86:87]
	v_add_f64_e32 v[8:9], v[8:9], v[114:115]
	s_wait_loadcnt_dscnt 0x601
	v_mul_f64_e32 v[86:87], v[74:75], v[100:101]
	v_mul_f64_e32 v[96:97], v[76:77], v[100:101]
	s_wait_loadcnt_dscnt 0x500
	v_mul_f64_e32 v[92:93], v[84:85], v[104:105]
	v_add_f64_e32 v[4:5], v[4:5], v[90:91]
	v_add_f64_e32 v[8:9], v[8:9], v[122:123]
	v_mul_f64_e32 v[90:91], v[82:83], v[104:105]
	v_fmac_f64_e32 v[86:87], v[76:77], v[98:99]
	v_fma_f64 v[94:95], v[74:75], v[98:99], -v[96:97]
	v_fma_f64 v[82:83], v[82:83], v[102:103], -v[92:93]
	v_add_f64_e32 v[4:5], v[4:5], v[78:79]
	v_add_f64_e32 v[8:9], v[8:9], v[88:89]
	ds_load_b128 v[74:77], v2 offset:832
	ds_load_b128 v[78:81], v2 offset:848
	v_fmac_f64_e32 v[90:91], v[84:85], v[102:103]
	s_wait_loadcnt_dscnt 0x401
	v_mul_f64_e32 v[88:89], v[74:75], v[112:113]
	v_mul_f64_e32 v[96:97], v[76:77], v[112:113]
	v_add_f64_e32 v[4:5], v[4:5], v[94:95]
	v_add_f64_e32 v[8:9], v[8:9], v[86:87]
	s_wait_loadcnt_dscnt 0x200
	v_mul_f64_e32 v[84:85], v[78:79], v[12:13]
	v_mul_f64_e32 v[12:13], v[80:81], v[12:13]
	v_fmac_f64_e32 v[88:89], v[76:77], v[110:111]
	v_fma_f64 v[86:87], v[74:75], v[110:111], -v[96:97]
	v_add_f64_e32 v[82:83], v[4:5], v[82:83]
	v_add_f64_e32 v[8:9], v[8:9], v[90:91]
	ds_load_b128 v[74:77], v2 offset:864
	ds_load_b128 v[2:5], v2 offset:880
	v_fmac_f64_e32 v[84:85], v[80:81], v[10:11]
	v_fma_f64 v[10:11], v[78:79], v[10:11], -v[12:13]
	s_wait_loadcnt_dscnt 0x101
	v_mul_f64_e32 v[90:91], v[74:75], v[128:129]
	v_mul_f64_e32 v[92:93], v[76:77], v[128:129]
	s_wait_loadcnt_dscnt 0x0
	v_mul_f64_e32 v[78:79], v[2:3], v[72:73]
	v_mul_f64_e32 v[72:73], v[4:5], v[72:73]
	v_add_f64_e32 v[12:13], v[82:83], v[86:87]
	v_add_f64_e32 v[8:9], v[8:9], v[88:89]
	v_fmac_f64_e32 v[90:91], v[76:77], v[126:127]
	v_fma_f64 v[74:75], v[74:75], v[126:127], -v[92:93]
	v_fmac_f64_e32 v[78:79], v[4:5], v[70:71]
	v_fma_f64 v[2:3], v[2:3], v[70:71], -v[72:73]
	v_add_f64_e32 v[10:11], v[12:13], v[10:11]
	v_add_f64_e32 v[8:9], v[8:9], v[84:85]
	s_delay_alu instid0(VALU_DEP_2) | instskip(NEXT) | instid1(VALU_DEP_2)
	v_add_f64_e32 v[4:5], v[10:11], v[74:75]
	v_add_f64_e32 v[8:9], v[8:9], v[90:91]
	s_delay_alu instid0(VALU_DEP_2) | instskip(NEXT) | instid1(VALU_DEP_2)
	v_add_f64_e32 v[2:3], v[4:5], v[2:3]
	v_add_f64_e32 v[4:5], v[8:9], v[78:79]
	s_delay_alu instid0(VALU_DEP_2) | instskip(NEXT) | instid1(VALU_DEP_2)
	v_add_f64_e64 v[2:3], v[118:119], -v[2:3]
	v_add_f64_e64 v[4:5], v[120:121], -v[4:5]
	scratch_store_b128 off, v[2:5], off offset:208
	s_wait_xcnt 0x0
	v_cmpx_lt_u32_e32 12, v1
	s_cbranch_execz .LBB91_157
; %bb.156:
	scratch_load_b128 v[2:5], off, s31
	v_mov_b32_e32 v8, 0
	s_delay_alu instid0(VALU_DEP_1)
	v_dual_mov_b32 v9, v8 :: v_dual_mov_b32 v10, v8
	v_mov_b32_e32 v11, v8
	scratch_store_b128 off, v[8:11], off offset:192
	s_wait_loadcnt 0x0
	ds_store_b128 v6, v[2:5]
.LBB91_157:
	s_wait_xcnt 0x0
	s_or_b32 exec_lo, exec_lo, s2
	s_wait_storecnt_dscnt 0x0
	s_barrier_signal -1
	s_barrier_wait -1
	s_clause 0x9
	scratch_load_b128 v[8:11], off, off offset:208
	scratch_load_b128 v[70:73], off, off offset:224
	;; [unrolled: 1-line block ×10, first 2 shown]
	v_mov_b32_e32 v2, 0
	s_mov_b32 s2, exec_lo
	ds_load_b128 v[106:109], v2 offset:656
	s_clause 0x2
	scratch_load_b128 v[110:113], off, off offset:368
	scratch_load_b128 v[114:117], off, off offset:192
	;; [unrolled: 1-line block ×3, first 2 shown]
	s_wait_loadcnt_dscnt 0xc00
	v_mul_f64_e32 v[4:5], v[108:109], v[10:11]
	v_mul_f64_e32 v[130:131], v[106:107], v[10:11]
	ds_load_b128 v[118:121], v2 offset:672
	scratch_load_b128 v[10:13], off, off offset:384
	ds_load_b128 v[126:129], v2 offset:704
	v_fma_f64 v[4:5], v[106:107], v[8:9], -v[4:5]
	v_fmac_f64_e32 v[130:131], v[108:109], v[8:9]
	ds_load_b128 v[106:109], v2 offset:688
	s_wait_loadcnt_dscnt 0xc02
	v_mul_f64_e32 v[132:133], v[118:119], v[72:73]
	v_mul_f64_e32 v[72:73], v[120:121], v[72:73]
	s_wait_loadcnt_dscnt 0xb00
	v_mul_f64_e32 v[8:9], v[106:107], v[76:77]
	v_mul_f64_e32 v[76:77], v[108:109], v[76:77]
	v_add_f64_e32 v[4:5], 0, v[4:5]
	v_fmac_f64_e32 v[132:133], v[120:121], v[70:71]
	v_fma_f64 v[118:119], v[118:119], v[70:71], -v[72:73]
	v_add_f64_e32 v[120:121], 0, v[130:131]
	scratch_load_b128 v[70:73], off, off offset:416
	v_fmac_f64_e32 v[8:9], v[108:109], v[74:75]
	v_fma_f64 v[134:135], v[106:107], v[74:75], -v[76:77]
	ds_load_b128 v[74:77], v2 offset:720
	s_wait_loadcnt 0xb
	v_mul_f64_e32 v[130:131], v[126:127], v[80:81]
	v_mul_f64_e32 v[80:81], v[128:129], v[80:81]
	scratch_load_b128 v[106:109], off, off offset:432
	v_add_f64_e32 v[4:5], v[4:5], v[118:119]
	v_add_f64_e32 v[132:133], v[120:121], v[132:133]
	ds_load_b128 v[118:121], v2 offset:736
	s_wait_loadcnt_dscnt 0xb01
	v_mul_f64_e32 v[136:137], v[74:75], v[84:85]
	v_mul_f64_e32 v[84:85], v[76:77], v[84:85]
	v_fmac_f64_e32 v[130:131], v[128:129], v[78:79]
	v_fma_f64 v[78:79], v[126:127], v[78:79], -v[80:81]
	s_wait_loadcnt_dscnt 0xa00
	v_mul_f64_e32 v[126:127], v[118:119], v[88:89]
	v_mul_f64_e32 v[88:89], v[120:121], v[88:89]
	v_add_f64_e32 v[4:5], v[4:5], v[134:135]
	v_add_f64_e32 v[8:9], v[132:133], v[8:9]
	v_fmac_f64_e32 v[136:137], v[76:77], v[82:83]
	v_fma_f64 v[82:83], v[74:75], v[82:83], -v[84:85]
	v_fmac_f64_e32 v[126:127], v[120:121], v[86:87]
	v_fma_f64 v[86:87], v[118:119], v[86:87], -v[88:89]
	v_add_f64_e32 v[4:5], v[4:5], v[78:79]
	v_add_f64_e32 v[8:9], v[8:9], v[130:131]
	ds_load_b128 v[74:77], v2 offset:752
	ds_load_b128 v[78:81], v2 offset:768
	s_wait_loadcnt_dscnt 0x901
	v_mul_f64_e32 v[128:129], v[74:75], v[92:93]
	v_mul_f64_e32 v[84:85], v[76:77], v[92:93]
	s_wait_loadcnt_dscnt 0x800
	v_mul_f64_e32 v[88:89], v[78:79], v[96:97]
	v_mul_f64_e32 v[92:93], v[80:81], v[96:97]
	v_add_f64_e32 v[4:5], v[4:5], v[82:83]
	v_add_f64_e32 v[8:9], v[8:9], v[136:137]
	v_fmac_f64_e32 v[128:129], v[76:77], v[90:91]
	v_fma_f64 v[90:91], v[74:75], v[90:91], -v[84:85]
	ds_load_b128 v[74:77], v2 offset:784
	ds_load_b128 v[82:85], v2 offset:800
	v_fmac_f64_e32 v[88:89], v[80:81], v[94:95]
	v_fma_f64 v[78:79], v[78:79], v[94:95], -v[92:93]
	v_add_f64_e32 v[4:5], v[4:5], v[86:87]
	v_add_f64_e32 v[8:9], v[8:9], v[126:127]
	s_wait_loadcnt_dscnt 0x701
	v_mul_f64_e32 v[86:87], v[74:75], v[100:101]
	v_mul_f64_e32 v[96:97], v[76:77], v[100:101]
	s_wait_loadcnt_dscnt 0x600
	v_mul_f64_e32 v[92:93], v[84:85], v[104:105]
	v_add_f64_e32 v[4:5], v[4:5], v[90:91]
	v_add_f64_e32 v[8:9], v[8:9], v[128:129]
	v_mul_f64_e32 v[90:91], v[82:83], v[104:105]
	v_fmac_f64_e32 v[86:87], v[76:77], v[98:99]
	v_fma_f64 v[94:95], v[74:75], v[98:99], -v[96:97]
	v_fma_f64 v[82:83], v[82:83], v[102:103], -v[92:93]
	v_add_f64_e32 v[4:5], v[4:5], v[78:79]
	v_add_f64_e32 v[8:9], v[8:9], v[88:89]
	ds_load_b128 v[74:77], v2 offset:816
	ds_load_b128 v[78:81], v2 offset:832
	v_fmac_f64_e32 v[90:91], v[84:85], v[102:103]
	s_wait_loadcnt_dscnt 0x501
	v_mul_f64_e32 v[88:89], v[74:75], v[112:113]
	v_mul_f64_e32 v[96:97], v[76:77], v[112:113]
	v_add_f64_e32 v[4:5], v[4:5], v[94:95]
	v_add_f64_e32 v[8:9], v[8:9], v[86:87]
	s_wait_loadcnt_dscnt 0x200
	v_mul_f64_e32 v[86:87], v[78:79], v[12:13]
	v_mul_f64_e32 v[12:13], v[80:81], v[12:13]
	v_fmac_f64_e32 v[88:89], v[76:77], v[110:111]
	v_fma_f64 v[92:93], v[74:75], v[110:111], -v[96:97]
	v_add_f64_e32 v[4:5], v[4:5], v[82:83]
	v_add_f64_e32 v[8:9], v[8:9], v[90:91]
	ds_load_b128 v[74:77], v2 offset:848
	ds_load_b128 v[82:85], v2 offset:864
	v_fmac_f64_e32 v[86:87], v[80:81], v[10:11]
	v_fma_f64 v[10:11], v[78:79], v[10:11], -v[12:13]
	s_wait_dscnt 0x1
	v_mul_f64_e32 v[90:91], v[74:75], v[124:125]
	v_mul_f64_e32 v[94:95], v[76:77], v[124:125]
	v_add_f64_e32 v[4:5], v[4:5], v[92:93]
	v_add_f64_e32 v[8:9], v[8:9], v[88:89]
	s_wait_loadcnt_dscnt 0x100
	v_mul_f64_e32 v[12:13], v[82:83], v[72:73]
	v_mul_f64_e32 v[72:73], v[84:85], v[72:73]
	v_fmac_f64_e32 v[90:91], v[76:77], v[122:123]
	v_fma_f64 v[74:75], v[74:75], v[122:123], -v[94:95]
	v_add_f64_e32 v[4:5], v[4:5], v[10:11]
	v_add_f64_e32 v[76:77], v[8:9], v[86:87]
	ds_load_b128 v[8:11], v2 offset:880
	v_fmac_f64_e32 v[12:13], v[84:85], v[70:71]
	v_fma_f64 v[70:71], v[82:83], v[70:71], -v[72:73]
	s_wait_loadcnt_dscnt 0x0
	v_mul_f64_e32 v[78:79], v[8:9], v[108:109]
	v_mul_f64_e32 v[80:81], v[10:11], v[108:109]
	v_add_f64_e32 v[4:5], v[4:5], v[74:75]
	v_add_f64_e32 v[72:73], v[76:77], v[90:91]
	s_delay_alu instid0(VALU_DEP_4) | instskip(NEXT) | instid1(VALU_DEP_4)
	v_fmac_f64_e32 v[78:79], v[10:11], v[106:107]
	v_fma_f64 v[8:9], v[8:9], v[106:107], -v[80:81]
	s_delay_alu instid0(VALU_DEP_4) | instskip(NEXT) | instid1(VALU_DEP_4)
	v_add_f64_e32 v[4:5], v[4:5], v[70:71]
	v_add_f64_e32 v[10:11], v[72:73], v[12:13]
	s_delay_alu instid0(VALU_DEP_2) | instskip(NEXT) | instid1(VALU_DEP_2)
	v_add_f64_e32 v[4:5], v[4:5], v[8:9]
	v_add_f64_e32 v[10:11], v[10:11], v[78:79]
	s_delay_alu instid0(VALU_DEP_2) | instskip(NEXT) | instid1(VALU_DEP_2)
	v_add_f64_e64 v[8:9], v[114:115], -v[4:5]
	v_add_f64_e64 v[10:11], v[116:117], -v[10:11]
	scratch_store_b128 off, v[8:11], off offset:192
	s_wait_xcnt 0x0
	v_cmpx_lt_u32_e32 11, v1
	s_cbranch_execz .LBB91_159
; %bb.158:
	scratch_load_b128 v[8:11], off, s33
	v_dual_mov_b32 v3, v2 :: v_dual_mov_b32 v4, v2
	v_mov_b32_e32 v5, v2
	scratch_store_b128 off, v[2:5], off offset:176
	s_wait_loadcnt 0x0
	ds_store_b128 v6, v[8:11]
.LBB91_159:
	s_wait_xcnt 0x0
	s_or_b32 exec_lo, exec_lo, s2
	s_wait_storecnt_dscnt 0x0
	s_barrier_signal -1
	s_barrier_wait -1
	s_clause 0x9
	scratch_load_b128 v[8:11], off, off offset:192
	scratch_load_b128 v[70:73], off, off offset:208
	;; [unrolled: 1-line block ×10, first 2 shown]
	ds_load_b128 v[106:109], v2 offset:640
	ds_load_b128 v[114:117], v2 offset:656
	s_clause 0x1
	scratch_load_b128 v[110:113], off, off offset:352
	scratch_load_b128 v[118:121], off, off offset:176
	s_mov_b32 s2, exec_lo
	s_wait_loadcnt_dscnt 0xb01
	v_mul_f64_e32 v[4:5], v[108:109], v[10:11]
	v_mul_f64_e32 v[130:131], v[106:107], v[10:11]
	scratch_load_b128 v[10:13], off, off offset:368
	s_wait_loadcnt_dscnt 0xb00
	v_mul_f64_e32 v[132:133], v[114:115], v[72:73]
	v_mul_f64_e32 v[72:73], v[116:117], v[72:73]
	v_fma_f64 v[4:5], v[106:107], v[8:9], -v[4:5]
	v_fmac_f64_e32 v[130:131], v[108:109], v[8:9]
	ds_load_b128 v[106:109], v2 offset:672
	ds_load_b128 v[122:125], v2 offset:688
	scratch_load_b128 v[126:129], off, off offset:384
	v_fmac_f64_e32 v[132:133], v[116:117], v[70:71]
	v_fma_f64 v[114:115], v[114:115], v[70:71], -v[72:73]
	scratch_load_b128 v[70:73], off, off offset:400
	s_wait_loadcnt_dscnt 0xc01
	v_mul_f64_e32 v[8:9], v[106:107], v[76:77]
	v_mul_f64_e32 v[76:77], v[108:109], v[76:77]
	v_add_f64_e32 v[4:5], 0, v[4:5]
	v_add_f64_e32 v[116:117], 0, v[130:131]
	s_wait_loadcnt_dscnt 0xb00
	v_mul_f64_e32 v[130:131], v[122:123], v[80:81]
	v_mul_f64_e32 v[80:81], v[124:125], v[80:81]
	v_fmac_f64_e32 v[8:9], v[108:109], v[74:75]
	v_fma_f64 v[134:135], v[106:107], v[74:75], -v[76:77]
	ds_load_b128 v[74:77], v2 offset:704
	ds_load_b128 v[106:109], v2 offset:720
	v_add_f64_e32 v[4:5], v[4:5], v[114:115]
	v_add_f64_e32 v[132:133], v[116:117], v[132:133]
	scratch_load_b128 v[114:117], off, off offset:416
	v_fmac_f64_e32 v[130:131], v[124:125], v[78:79]
	v_fma_f64 v[122:123], v[122:123], v[78:79], -v[80:81]
	scratch_load_b128 v[78:81], off, off offset:432
	s_wait_loadcnt_dscnt 0xc01
	v_mul_f64_e32 v[136:137], v[74:75], v[84:85]
	v_mul_f64_e32 v[84:85], v[76:77], v[84:85]
	s_wait_loadcnt_dscnt 0xb00
	v_mul_f64_e32 v[124:125], v[106:107], v[88:89]
	v_mul_f64_e32 v[88:89], v[108:109], v[88:89]
	v_add_f64_e32 v[4:5], v[4:5], v[134:135]
	v_add_f64_e32 v[8:9], v[132:133], v[8:9]
	v_fmac_f64_e32 v[136:137], v[76:77], v[82:83]
	v_fma_f64 v[132:133], v[74:75], v[82:83], -v[84:85]
	ds_load_b128 v[74:77], v2 offset:736
	ds_load_b128 v[82:85], v2 offset:752
	v_fmac_f64_e32 v[124:125], v[108:109], v[86:87]
	v_fma_f64 v[86:87], v[106:107], v[86:87], -v[88:89]
	s_wait_loadcnt_dscnt 0x900
	v_mul_f64_e32 v[106:107], v[82:83], v[96:97]
	v_add_f64_e32 v[4:5], v[4:5], v[122:123]
	v_add_f64_e32 v[8:9], v[8:9], v[130:131]
	v_mul_f64_e32 v[122:123], v[74:75], v[92:93]
	v_mul_f64_e32 v[92:93], v[76:77], v[92:93]
	;; [unrolled: 1-line block ×3, first 2 shown]
	v_fmac_f64_e32 v[106:107], v[84:85], v[94:95]
	v_add_f64_e32 v[4:5], v[4:5], v[132:133]
	v_add_f64_e32 v[8:9], v[8:9], v[136:137]
	v_fmac_f64_e32 v[122:123], v[76:77], v[90:91]
	v_fma_f64 v[90:91], v[74:75], v[90:91], -v[92:93]
	v_fma_f64 v[82:83], v[82:83], v[94:95], -v[96:97]
	v_add_f64_e32 v[4:5], v[4:5], v[86:87]
	v_add_f64_e32 v[8:9], v[8:9], v[124:125]
	ds_load_b128 v[74:77], v2 offset:768
	ds_load_b128 v[86:89], v2 offset:784
	s_wait_loadcnt_dscnt 0x801
	v_mul_f64_e32 v[92:93], v[74:75], v[100:101]
	v_mul_f64_e32 v[100:101], v[76:77], v[100:101]
	s_wait_loadcnt_dscnt 0x700
	v_mul_f64_e32 v[94:95], v[88:89], v[104:105]
	v_add_f64_e32 v[4:5], v[4:5], v[90:91]
	v_add_f64_e32 v[8:9], v[8:9], v[122:123]
	v_mul_f64_e32 v[90:91], v[86:87], v[104:105]
	v_fmac_f64_e32 v[92:93], v[76:77], v[98:99]
	v_fma_f64 v[96:97], v[74:75], v[98:99], -v[100:101]
	v_fma_f64 v[86:87], v[86:87], v[102:103], -v[94:95]
	v_add_f64_e32 v[4:5], v[4:5], v[82:83]
	v_add_f64_e32 v[8:9], v[8:9], v[106:107]
	ds_load_b128 v[74:77], v2 offset:800
	ds_load_b128 v[82:85], v2 offset:816
	v_fmac_f64_e32 v[90:91], v[88:89], v[102:103]
	s_wait_loadcnt_dscnt 0x601
	v_mul_f64_e32 v[98:99], v[74:75], v[112:113]
	v_mul_f64_e32 v[100:101], v[76:77], v[112:113]
	v_add_f64_e32 v[4:5], v[4:5], v[96:97]
	v_add_f64_e32 v[8:9], v[8:9], v[92:93]
	s_wait_loadcnt_dscnt 0x400
	v_mul_f64_e32 v[92:93], v[82:83], v[12:13]
	v_mul_f64_e32 v[12:13], v[84:85], v[12:13]
	v_fmac_f64_e32 v[98:99], v[76:77], v[110:111]
	v_fma_f64 v[94:95], v[74:75], v[110:111], -v[100:101]
	v_add_f64_e32 v[4:5], v[4:5], v[86:87]
	v_add_f64_e32 v[8:9], v[8:9], v[90:91]
	ds_load_b128 v[74:77], v2 offset:832
	ds_load_b128 v[86:89], v2 offset:848
	v_fmac_f64_e32 v[92:93], v[84:85], v[10:11]
	v_fma_f64 v[10:11], v[82:83], v[10:11], -v[12:13]
	s_wait_loadcnt_dscnt 0x301
	v_mul_f64_e32 v[90:91], v[74:75], v[128:129]
	v_mul_f64_e32 v[96:97], v[76:77], v[128:129]
	s_wait_loadcnt_dscnt 0x200
	v_mul_f64_e32 v[12:13], v[86:87], v[72:73]
	v_mul_f64_e32 v[72:73], v[88:89], v[72:73]
	v_add_f64_e32 v[4:5], v[4:5], v[94:95]
	v_add_f64_e32 v[8:9], v[8:9], v[98:99]
	v_fmac_f64_e32 v[90:91], v[76:77], v[126:127]
	v_fma_f64 v[74:75], v[74:75], v[126:127], -v[96:97]
	v_fmac_f64_e32 v[12:13], v[88:89], v[70:71]
	v_fma_f64 v[70:71], v[86:87], v[70:71], -v[72:73]
	v_add_f64_e32 v[76:77], v[4:5], v[10:11]
	v_add_f64_e32 v[82:83], v[8:9], v[92:93]
	ds_load_b128 v[8:11], v2 offset:864
	ds_load_b128 v[2:5], v2 offset:880
	s_wait_loadcnt_dscnt 0x101
	v_mul_f64_e32 v[84:85], v[8:9], v[116:117]
	v_mul_f64_e32 v[92:93], v[10:11], v[116:117]
	v_add_f64_e32 v[72:73], v[76:77], v[74:75]
	v_add_f64_e32 v[74:75], v[82:83], v[90:91]
	s_wait_loadcnt_dscnt 0x0
	v_mul_f64_e32 v[76:77], v[2:3], v[80:81]
	v_mul_f64_e32 v[80:81], v[4:5], v[80:81]
	v_fmac_f64_e32 v[84:85], v[10:11], v[114:115]
	v_fma_f64 v[8:9], v[8:9], v[114:115], -v[92:93]
	v_add_f64_e32 v[10:11], v[72:73], v[70:71]
	v_add_f64_e32 v[12:13], v[74:75], v[12:13]
	v_fmac_f64_e32 v[76:77], v[4:5], v[78:79]
	v_fma_f64 v[2:3], v[2:3], v[78:79], -v[80:81]
	s_delay_alu instid0(VALU_DEP_4) | instskip(NEXT) | instid1(VALU_DEP_4)
	v_add_f64_e32 v[4:5], v[10:11], v[8:9]
	v_add_f64_e32 v[8:9], v[12:13], v[84:85]
	s_delay_alu instid0(VALU_DEP_2) | instskip(NEXT) | instid1(VALU_DEP_2)
	v_add_f64_e32 v[2:3], v[4:5], v[2:3]
	v_add_f64_e32 v[4:5], v[8:9], v[76:77]
	s_delay_alu instid0(VALU_DEP_2) | instskip(NEXT) | instid1(VALU_DEP_2)
	v_add_f64_e64 v[2:3], v[118:119], -v[2:3]
	v_add_f64_e64 v[4:5], v[120:121], -v[4:5]
	scratch_store_b128 off, v[2:5], off offset:176
	s_wait_xcnt 0x0
	v_cmpx_lt_u32_e32 10, v1
	s_cbranch_execz .LBB91_161
; %bb.160:
	scratch_load_b128 v[2:5], off, s34
	v_mov_b32_e32 v8, 0
	s_delay_alu instid0(VALU_DEP_1)
	v_dual_mov_b32 v9, v8 :: v_dual_mov_b32 v10, v8
	v_mov_b32_e32 v11, v8
	scratch_store_b128 off, v[8:11], off offset:160
	s_wait_loadcnt 0x0
	ds_store_b128 v6, v[2:5]
.LBB91_161:
	s_wait_xcnt 0x0
	s_or_b32 exec_lo, exec_lo, s2
	s_wait_storecnt_dscnt 0x0
	s_barrier_signal -1
	s_barrier_wait -1
	s_clause 0x9
	scratch_load_b128 v[8:11], off, off offset:176
	scratch_load_b128 v[70:73], off, off offset:192
	;; [unrolled: 1-line block ×10, first 2 shown]
	v_mov_b32_e32 v2, 0
	s_mov_b32 s2, exec_lo
	ds_load_b128 v[106:109], v2 offset:624
	s_clause 0x2
	scratch_load_b128 v[110:113], off, off offset:336
	scratch_load_b128 v[114:117], off, off offset:160
	;; [unrolled: 1-line block ×3, first 2 shown]
	s_wait_loadcnt_dscnt 0xc00
	v_mul_f64_e32 v[4:5], v[108:109], v[10:11]
	v_mul_f64_e32 v[130:131], v[106:107], v[10:11]
	ds_load_b128 v[118:121], v2 offset:640
	scratch_load_b128 v[10:13], off, off offset:352
	ds_load_b128 v[126:129], v2 offset:672
	v_fma_f64 v[4:5], v[106:107], v[8:9], -v[4:5]
	v_fmac_f64_e32 v[130:131], v[108:109], v[8:9]
	ds_load_b128 v[106:109], v2 offset:656
	s_wait_loadcnt_dscnt 0xc02
	v_mul_f64_e32 v[132:133], v[118:119], v[72:73]
	v_mul_f64_e32 v[72:73], v[120:121], v[72:73]
	s_wait_loadcnt_dscnt 0xb00
	v_mul_f64_e32 v[8:9], v[106:107], v[76:77]
	v_mul_f64_e32 v[76:77], v[108:109], v[76:77]
	v_add_f64_e32 v[4:5], 0, v[4:5]
	v_fmac_f64_e32 v[132:133], v[120:121], v[70:71]
	v_fma_f64 v[118:119], v[118:119], v[70:71], -v[72:73]
	v_add_f64_e32 v[120:121], 0, v[130:131]
	scratch_load_b128 v[70:73], off, off offset:384
	v_fmac_f64_e32 v[8:9], v[108:109], v[74:75]
	v_fma_f64 v[134:135], v[106:107], v[74:75], -v[76:77]
	ds_load_b128 v[74:77], v2 offset:688
	s_wait_loadcnt 0xb
	v_mul_f64_e32 v[130:131], v[126:127], v[80:81]
	v_mul_f64_e32 v[80:81], v[128:129], v[80:81]
	scratch_load_b128 v[106:109], off, off offset:400
	v_add_f64_e32 v[4:5], v[4:5], v[118:119]
	v_add_f64_e32 v[132:133], v[120:121], v[132:133]
	ds_load_b128 v[118:121], v2 offset:704
	s_wait_loadcnt_dscnt 0xb01
	v_mul_f64_e32 v[136:137], v[74:75], v[84:85]
	v_mul_f64_e32 v[84:85], v[76:77], v[84:85]
	v_fmac_f64_e32 v[130:131], v[128:129], v[78:79]
	v_fma_f64 v[126:127], v[126:127], v[78:79], -v[80:81]
	scratch_load_b128 v[78:81], off, off offset:416
	v_add_f64_e32 v[4:5], v[4:5], v[134:135]
	v_add_f64_e32 v[8:9], v[132:133], v[8:9]
	v_fmac_f64_e32 v[136:137], v[76:77], v[82:83]
	v_fma_f64 v[134:135], v[74:75], v[82:83], -v[84:85]
	ds_load_b128 v[74:77], v2 offset:720
	s_wait_loadcnt_dscnt 0xb01
	v_mul_f64_e32 v[132:133], v[118:119], v[88:89]
	v_mul_f64_e32 v[88:89], v[120:121], v[88:89]
	scratch_load_b128 v[82:85], off, off offset:432
	v_add_f64_e32 v[4:5], v[4:5], v[126:127]
	v_add_f64_e32 v[8:9], v[8:9], v[130:131]
	s_wait_loadcnt_dscnt 0xb00
	v_mul_f64_e32 v[130:131], v[74:75], v[92:93]
	v_mul_f64_e32 v[92:93], v[76:77], v[92:93]
	ds_load_b128 v[126:129], v2 offset:736
	v_fmac_f64_e32 v[132:133], v[120:121], v[86:87]
	v_fma_f64 v[86:87], v[118:119], v[86:87], -v[88:89]
	s_wait_loadcnt_dscnt 0xa00
	v_mul_f64_e32 v[118:119], v[126:127], v[96:97]
	v_mul_f64_e32 v[96:97], v[128:129], v[96:97]
	v_add_f64_e32 v[4:5], v[4:5], v[134:135]
	v_add_f64_e32 v[8:9], v[8:9], v[136:137]
	v_fmac_f64_e32 v[130:131], v[76:77], v[90:91]
	v_fma_f64 v[90:91], v[74:75], v[90:91], -v[92:93]
	v_fmac_f64_e32 v[118:119], v[128:129], v[94:95]
	v_fma_f64 v[94:95], v[126:127], v[94:95], -v[96:97]
	v_add_f64_e32 v[4:5], v[4:5], v[86:87]
	v_add_f64_e32 v[8:9], v[8:9], v[132:133]
	ds_load_b128 v[74:77], v2 offset:752
	ds_load_b128 v[86:89], v2 offset:768
	s_wait_loadcnt_dscnt 0x901
	v_mul_f64_e32 v[120:121], v[74:75], v[100:101]
	v_mul_f64_e32 v[92:93], v[76:77], v[100:101]
	s_wait_loadcnt_dscnt 0x800
	v_mul_f64_e32 v[96:97], v[86:87], v[104:105]
	v_mul_f64_e32 v[100:101], v[88:89], v[104:105]
	v_add_f64_e32 v[4:5], v[4:5], v[90:91]
	v_add_f64_e32 v[8:9], v[8:9], v[130:131]
	v_fmac_f64_e32 v[120:121], v[76:77], v[98:99]
	v_fma_f64 v[98:99], v[74:75], v[98:99], -v[92:93]
	ds_load_b128 v[74:77], v2 offset:784
	ds_load_b128 v[90:93], v2 offset:800
	v_fmac_f64_e32 v[96:97], v[88:89], v[102:103]
	v_fma_f64 v[86:87], v[86:87], v[102:103], -v[100:101]
	v_add_f64_e32 v[4:5], v[4:5], v[94:95]
	v_add_f64_e32 v[8:9], v[8:9], v[118:119]
	s_wait_loadcnt_dscnt 0x701
	v_mul_f64_e32 v[94:95], v[74:75], v[112:113]
	v_mul_f64_e32 v[104:105], v[76:77], v[112:113]
	s_delay_alu instid0(VALU_DEP_4) | instskip(NEXT) | instid1(VALU_DEP_4)
	v_add_f64_e32 v[4:5], v[4:5], v[98:99]
	v_add_f64_e32 v[8:9], v[8:9], v[120:121]
	s_wait_loadcnt_dscnt 0x400
	v_mul_f64_e32 v[98:99], v[90:91], v[12:13]
	v_mul_f64_e32 v[12:13], v[92:93], v[12:13]
	v_fmac_f64_e32 v[94:95], v[76:77], v[110:111]
	v_fma_f64 v[100:101], v[74:75], v[110:111], -v[104:105]
	v_add_f64_e32 v[4:5], v[4:5], v[86:87]
	v_add_f64_e32 v[8:9], v[8:9], v[96:97]
	ds_load_b128 v[74:77], v2 offset:816
	ds_load_b128 v[86:89], v2 offset:832
	v_fmac_f64_e32 v[98:99], v[92:93], v[10:11]
	v_fma_f64 v[10:11], v[90:91], v[10:11], -v[12:13]
	s_wait_dscnt 0x1
	v_mul_f64_e32 v[96:97], v[74:75], v[124:125]
	v_mul_f64_e32 v[102:103], v[76:77], v[124:125]
	v_add_f64_e32 v[4:5], v[4:5], v[100:101]
	v_add_f64_e32 v[8:9], v[8:9], v[94:95]
	s_wait_loadcnt_dscnt 0x300
	v_mul_f64_e32 v[12:13], v[86:87], v[72:73]
	v_mul_f64_e32 v[90:91], v[88:89], v[72:73]
	v_fmac_f64_e32 v[96:97], v[76:77], v[122:123]
	v_fma_f64 v[76:77], v[74:75], v[122:123], -v[102:103]
	v_add_f64_e32 v[4:5], v[4:5], v[10:11]
	v_add_f64_e32 v[92:93], v[8:9], v[98:99]
	ds_load_b128 v[8:11], v2 offset:848
	ds_load_b128 v[72:75], v2 offset:864
	v_fmac_f64_e32 v[12:13], v[88:89], v[70:71]
	v_fma_f64 v[70:71], v[86:87], v[70:71], -v[90:91]
	s_wait_loadcnt_dscnt 0x201
	v_mul_f64_e32 v[94:95], v[8:9], v[108:109]
	v_mul_f64_e32 v[98:99], v[10:11], v[108:109]
	s_wait_loadcnt_dscnt 0x100
	v_mul_f64_e32 v[86:87], v[72:73], v[80:81]
	v_mul_f64_e32 v[80:81], v[74:75], v[80:81]
	v_add_f64_e32 v[4:5], v[4:5], v[76:77]
	v_add_f64_e32 v[76:77], v[92:93], v[96:97]
	v_fmac_f64_e32 v[94:95], v[10:11], v[106:107]
	v_fma_f64 v[88:89], v[8:9], v[106:107], -v[98:99]
	ds_load_b128 v[8:11], v2 offset:880
	v_fmac_f64_e32 v[86:87], v[74:75], v[78:79]
	v_fma_f64 v[72:73], v[72:73], v[78:79], -v[80:81]
	v_add_f64_e32 v[4:5], v[4:5], v[70:71]
	v_add_f64_e32 v[12:13], v[76:77], v[12:13]
	s_wait_loadcnt_dscnt 0x0
	v_mul_f64_e32 v[70:71], v[8:9], v[84:85]
	v_mul_f64_e32 v[76:77], v[10:11], v[84:85]
	s_delay_alu instid0(VALU_DEP_4) | instskip(NEXT) | instid1(VALU_DEP_4)
	v_add_f64_e32 v[4:5], v[4:5], v[88:89]
	v_add_f64_e32 v[12:13], v[12:13], v[94:95]
	s_delay_alu instid0(VALU_DEP_4) | instskip(NEXT) | instid1(VALU_DEP_4)
	v_fmac_f64_e32 v[70:71], v[10:11], v[82:83]
	v_fma_f64 v[8:9], v[8:9], v[82:83], -v[76:77]
	s_delay_alu instid0(VALU_DEP_4) | instskip(NEXT) | instid1(VALU_DEP_4)
	v_add_f64_e32 v[4:5], v[4:5], v[72:73]
	v_add_f64_e32 v[10:11], v[12:13], v[86:87]
	s_delay_alu instid0(VALU_DEP_2) | instskip(NEXT) | instid1(VALU_DEP_2)
	v_add_f64_e32 v[4:5], v[4:5], v[8:9]
	v_add_f64_e32 v[10:11], v[10:11], v[70:71]
	s_delay_alu instid0(VALU_DEP_2) | instskip(NEXT) | instid1(VALU_DEP_2)
	v_add_f64_e64 v[8:9], v[114:115], -v[4:5]
	v_add_f64_e64 v[10:11], v[116:117], -v[10:11]
	scratch_store_b128 off, v[8:11], off offset:160
	s_wait_xcnt 0x0
	v_cmpx_lt_u32_e32 9, v1
	s_cbranch_execz .LBB91_163
; %bb.162:
	scratch_load_b128 v[8:11], off, s35
	v_dual_mov_b32 v3, v2 :: v_dual_mov_b32 v4, v2
	v_mov_b32_e32 v5, v2
	scratch_store_b128 off, v[2:5], off offset:144
	s_wait_loadcnt 0x0
	ds_store_b128 v6, v[8:11]
.LBB91_163:
	s_wait_xcnt 0x0
	s_or_b32 exec_lo, exec_lo, s2
	s_wait_storecnt_dscnt 0x0
	s_barrier_signal -1
	s_barrier_wait -1
	s_clause 0x9
	scratch_load_b128 v[8:11], off, off offset:160
	scratch_load_b128 v[70:73], off, off offset:176
	;; [unrolled: 1-line block ×10, first 2 shown]
	ds_load_b128 v[106:109], v2 offset:608
	ds_load_b128 v[114:117], v2 offset:624
	s_clause 0x1
	scratch_load_b128 v[110:113], off, off offset:320
	scratch_load_b128 v[118:121], off, off offset:144
	s_mov_b32 s2, exec_lo
	s_wait_loadcnt_dscnt 0xb01
	v_mul_f64_e32 v[4:5], v[108:109], v[10:11]
	v_mul_f64_e32 v[130:131], v[106:107], v[10:11]
	scratch_load_b128 v[10:13], off, off offset:336
	s_wait_loadcnt_dscnt 0xb00
	v_mul_f64_e32 v[132:133], v[114:115], v[72:73]
	v_mul_f64_e32 v[72:73], v[116:117], v[72:73]
	v_fma_f64 v[4:5], v[106:107], v[8:9], -v[4:5]
	v_fmac_f64_e32 v[130:131], v[108:109], v[8:9]
	ds_load_b128 v[106:109], v2 offset:640
	ds_load_b128 v[122:125], v2 offset:656
	scratch_load_b128 v[126:129], off, off offset:352
	v_fmac_f64_e32 v[132:133], v[116:117], v[70:71]
	v_fma_f64 v[114:115], v[114:115], v[70:71], -v[72:73]
	scratch_load_b128 v[70:73], off, off offset:368
	s_wait_loadcnt_dscnt 0xc01
	v_mul_f64_e32 v[8:9], v[106:107], v[76:77]
	v_mul_f64_e32 v[76:77], v[108:109], v[76:77]
	v_add_f64_e32 v[4:5], 0, v[4:5]
	v_add_f64_e32 v[116:117], 0, v[130:131]
	s_wait_loadcnt_dscnt 0xb00
	v_mul_f64_e32 v[130:131], v[122:123], v[80:81]
	v_mul_f64_e32 v[80:81], v[124:125], v[80:81]
	v_fmac_f64_e32 v[8:9], v[108:109], v[74:75]
	v_fma_f64 v[134:135], v[106:107], v[74:75], -v[76:77]
	ds_load_b128 v[74:77], v2 offset:672
	ds_load_b128 v[106:109], v2 offset:688
	v_add_f64_e32 v[4:5], v[4:5], v[114:115]
	v_add_f64_e32 v[132:133], v[116:117], v[132:133]
	scratch_load_b128 v[114:117], off, off offset:384
	v_fmac_f64_e32 v[130:131], v[124:125], v[78:79]
	v_fma_f64 v[122:123], v[122:123], v[78:79], -v[80:81]
	scratch_load_b128 v[78:81], off, off offset:400
	s_wait_loadcnt_dscnt 0xc01
	v_mul_f64_e32 v[136:137], v[74:75], v[84:85]
	v_mul_f64_e32 v[84:85], v[76:77], v[84:85]
	v_add_f64_e32 v[4:5], v[4:5], v[134:135]
	v_add_f64_e32 v[8:9], v[132:133], v[8:9]
	s_wait_loadcnt_dscnt 0xb00
	v_mul_f64_e32 v[132:133], v[106:107], v[88:89]
	v_mul_f64_e32 v[88:89], v[108:109], v[88:89]
	v_fmac_f64_e32 v[136:137], v[76:77], v[82:83]
	v_fma_f64 v[134:135], v[74:75], v[82:83], -v[84:85]
	ds_load_b128 v[74:77], v2 offset:704
	ds_load_b128 v[82:85], v2 offset:720
	v_add_f64_e32 v[4:5], v[4:5], v[122:123]
	v_add_f64_e32 v[8:9], v[8:9], v[130:131]
	scratch_load_b128 v[122:125], off, off offset:416
	s_wait_loadcnt_dscnt 0xb01
	v_mul_f64_e32 v[130:131], v[74:75], v[92:93]
	v_mul_f64_e32 v[92:93], v[76:77], v[92:93]
	v_fmac_f64_e32 v[132:133], v[108:109], v[86:87]
	v_fma_f64 v[106:107], v[106:107], v[86:87], -v[88:89]
	scratch_load_b128 v[86:89], off, off offset:432
	s_wait_loadcnt_dscnt 0xb00
	v_mul_f64_e32 v[108:109], v[82:83], v[96:97]
	v_mul_f64_e32 v[96:97], v[84:85], v[96:97]
	v_add_f64_e32 v[4:5], v[4:5], v[134:135]
	v_add_f64_e32 v[8:9], v[8:9], v[136:137]
	v_fmac_f64_e32 v[130:131], v[76:77], v[90:91]
	v_fma_f64 v[134:135], v[74:75], v[90:91], -v[92:93]
	ds_load_b128 v[74:77], v2 offset:736
	ds_load_b128 v[90:93], v2 offset:752
	v_fmac_f64_e32 v[108:109], v[84:85], v[94:95]
	v_fma_f64 v[82:83], v[82:83], v[94:95], -v[96:97]
	s_wait_loadcnt_dscnt 0x900
	v_mul_f64_e32 v[94:95], v[90:91], v[104:105]
	v_mul_f64_e32 v[96:97], v[92:93], v[104:105]
	v_add_f64_e32 v[4:5], v[4:5], v[106:107]
	v_add_f64_e32 v[8:9], v[8:9], v[132:133]
	v_mul_f64_e32 v[106:107], v[74:75], v[100:101]
	v_mul_f64_e32 v[100:101], v[76:77], v[100:101]
	v_fmac_f64_e32 v[94:95], v[92:93], v[102:103]
	v_fma_f64 v[90:91], v[90:91], v[102:103], -v[96:97]
	v_add_f64_e32 v[4:5], v[4:5], v[134:135]
	v_add_f64_e32 v[8:9], v[8:9], v[130:131]
	v_fmac_f64_e32 v[106:107], v[76:77], v[98:99]
	v_fma_f64 v[98:99], v[74:75], v[98:99], -v[100:101]
	s_delay_alu instid0(VALU_DEP_4) | instskip(NEXT) | instid1(VALU_DEP_4)
	v_add_f64_e32 v[4:5], v[4:5], v[82:83]
	v_add_f64_e32 v[8:9], v[8:9], v[108:109]
	ds_load_b128 v[74:77], v2 offset:768
	ds_load_b128 v[82:85], v2 offset:784
	s_wait_loadcnt_dscnt 0x801
	v_mul_f64_e32 v[100:101], v[74:75], v[112:113]
	v_mul_f64_e32 v[104:105], v[76:77], v[112:113]
	v_add_f64_e32 v[4:5], v[4:5], v[98:99]
	v_add_f64_e32 v[8:9], v[8:9], v[106:107]
	s_wait_loadcnt_dscnt 0x600
	v_mul_f64_e32 v[96:97], v[82:83], v[12:13]
	v_mul_f64_e32 v[12:13], v[84:85], v[12:13]
	v_fmac_f64_e32 v[100:101], v[76:77], v[110:111]
	v_fma_f64 v[98:99], v[74:75], v[110:111], -v[104:105]
	v_add_f64_e32 v[4:5], v[4:5], v[90:91]
	v_add_f64_e32 v[8:9], v[8:9], v[94:95]
	ds_load_b128 v[74:77], v2 offset:800
	ds_load_b128 v[90:93], v2 offset:816
	v_fmac_f64_e32 v[96:97], v[84:85], v[10:11]
	v_fma_f64 v[10:11], v[82:83], v[10:11], -v[12:13]
	s_wait_loadcnt_dscnt 0x501
	v_mul_f64_e32 v[94:95], v[74:75], v[128:129]
	v_mul_f64_e32 v[102:103], v[76:77], v[128:129]
	s_wait_loadcnt_dscnt 0x400
	v_mul_f64_e32 v[12:13], v[90:91], v[72:73]
	v_mul_f64_e32 v[82:83], v[92:93], v[72:73]
	v_add_f64_e32 v[4:5], v[4:5], v[98:99]
	v_add_f64_e32 v[8:9], v[8:9], v[100:101]
	v_fmac_f64_e32 v[94:95], v[76:77], v[126:127]
	v_fma_f64 v[76:77], v[74:75], v[126:127], -v[102:103]
	v_fmac_f64_e32 v[12:13], v[92:93], v[70:71]
	v_fma_f64 v[70:71], v[90:91], v[70:71], -v[82:83]
	v_add_f64_e32 v[4:5], v[4:5], v[10:11]
	v_add_f64_e32 v[84:85], v[8:9], v[96:97]
	ds_load_b128 v[8:11], v2 offset:832
	ds_load_b128 v[72:75], v2 offset:848
	s_wait_loadcnt_dscnt 0x301
	v_mul_f64_e32 v[96:97], v[8:9], v[116:117]
	v_mul_f64_e32 v[98:99], v[10:11], v[116:117]
	s_wait_loadcnt_dscnt 0x200
	v_mul_f64_e32 v[82:83], v[72:73], v[80:81]
	v_mul_f64_e32 v[80:81], v[74:75], v[80:81]
	v_add_f64_e32 v[4:5], v[4:5], v[76:77]
	v_add_f64_e32 v[76:77], v[84:85], v[94:95]
	v_fmac_f64_e32 v[96:97], v[10:11], v[114:115]
	v_fma_f64 v[84:85], v[8:9], v[114:115], -v[98:99]
	v_fmac_f64_e32 v[82:83], v[74:75], v[78:79]
	v_fma_f64 v[72:73], v[72:73], v[78:79], -v[80:81]
	v_add_f64_e32 v[70:71], v[4:5], v[70:71]
	v_add_f64_e32 v[12:13], v[76:77], v[12:13]
	ds_load_b128 v[8:11], v2 offset:864
	ds_load_b128 v[2:5], v2 offset:880
	s_wait_loadcnt_dscnt 0x101
	v_mul_f64_e32 v[76:77], v[8:9], v[124:125]
	v_mul_f64_e32 v[90:91], v[10:11], v[124:125]
	s_wait_loadcnt_dscnt 0x0
	v_mul_f64_e32 v[74:75], v[2:3], v[88:89]
	v_mul_f64_e32 v[78:79], v[4:5], v[88:89]
	v_add_f64_e32 v[70:71], v[70:71], v[84:85]
	v_add_f64_e32 v[12:13], v[12:13], v[96:97]
	v_fmac_f64_e32 v[76:77], v[10:11], v[122:123]
	v_fma_f64 v[8:9], v[8:9], v[122:123], -v[90:91]
	v_fmac_f64_e32 v[74:75], v[4:5], v[86:87]
	v_fma_f64 v[2:3], v[2:3], v[86:87], -v[78:79]
	v_add_f64_e32 v[10:11], v[70:71], v[72:73]
	v_add_f64_e32 v[12:13], v[12:13], v[82:83]
	s_delay_alu instid0(VALU_DEP_2) | instskip(NEXT) | instid1(VALU_DEP_2)
	v_add_f64_e32 v[4:5], v[10:11], v[8:9]
	v_add_f64_e32 v[8:9], v[12:13], v[76:77]
	s_delay_alu instid0(VALU_DEP_2) | instskip(NEXT) | instid1(VALU_DEP_2)
	;; [unrolled: 3-line block ×3, first 2 shown]
	v_add_f64_e64 v[2:3], v[118:119], -v[2:3]
	v_add_f64_e64 v[4:5], v[120:121], -v[4:5]
	scratch_store_b128 off, v[2:5], off offset:144
	s_wait_xcnt 0x0
	v_cmpx_lt_u32_e32 8, v1
	s_cbranch_execz .LBB91_165
; %bb.164:
	scratch_load_b128 v[2:5], off, s36
	v_mov_b32_e32 v8, 0
	s_delay_alu instid0(VALU_DEP_1)
	v_dual_mov_b32 v9, v8 :: v_dual_mov_b32 v10, v8
	v_mov_b32_e32 v11, v8
	scratch_store_b128 off, v[8:11], off offset:128
	s_wait_loadcnt 0x0
	ds_store_b128 v6, v[2:5]
.LBB91_165:
	s_wait_xcnt 0x0
	s_or_b32 exec_lo, exec_lo, s2
	s_wait_storecnt_dscnt 0x0
	s_barrier_signal -1
	s_barrier_wait -1
	s_clause 0x9
	scratch_load_b128 v[8:11], off, off offset:144
	scratch_load_b128 v[70:73], off, off offset:160
	;; [unrolled: 1-line block ×10, first 2 shown]
	v_mov_b32_e32 v2, 0
	s_mov_b32 s2, exec_lo
	ds_load_b128 v[106:109], v2 offset:592
	s_clause 0x2
	scratch_load_b128 v[110:113], off, off offset:304
	scratch_load_b128 v[114:117], off, off offset:128
	;; [unrolled: 1-line block ×3, first 2 shown]
	s_wait_loadcnt_dscnt 0xc00
	v_mul_f64_e32 v[4:5], v[108:109], v[10:11]
	v_mul_f64_e32 v[130:131], v[106:107], v[10:11]
	ds_load_b128 v[118:121], v2 offset:608
	scratch_load_b128 v[10:13], off, off offset:320
	ds_load_b128 v[126:129], v2 offset:640
	v_fma_f64 v[4:5], v[106:107], v[8:9], -v[4:5]
	v_fmac_f64_e32 v[130:131], v[108:109], v[8:9]
	ds_load_b128 v[106:109], v2 offset:624
	s_wait_loadcnt_dscnt 0xc02
	v_mul_f64_e32 v[132:133], v[118:119], v[72:73]
	v_mul_f64_e32 v[72:73], v[120:121], v[72:73]
	s_wait_loadcnt_dscnt 0xb00
	v_mul_f64_e32 v[8:9], v[106:107], v[76:77]
	v_mul_f64_e32 v[76:77], v[108:109], v[76:77]
	v_add_f64_e32 v[4:5], 0, v[4:5]
	v_fmac_f64_e32 v[132:133], v[120:121], v[70:71]
	v_fma_f64 v[118:119], v[118:119], v[70:71], -v[72:73]
	v_add_f64_e32 v[120:121], 0, v[130:131]
	scratch_load_b128 v[70:73], off, off offset:352
	v_fmac_f64_e32 v[8:9], v[108:109], v[74:75]
	v_fma_f64 v[134:135], v[106:107], v[74:75], -v[76:77]
	ds_load_b128 v[74:77], v2 offset:656
	s_wait_loadcnt 0xb
	v_mul_f64_e32 v[130:131], v[126:127], v[80:81]
	v_mul_f64_e32 v[80:81], v[128:129], v[80:81]
	scratch_load_b128 v[106:109], off, off offset:368
	v_add_f64_e32 v[4:5], v[4:5], v[118:119]
	v_add_f64_e32 v[132:133], v[120:121], v[132:133]
	ds_load_b128 v[118:121], v2 offset:672
	s_wait_loadcnt_dscnt 0xb01
	v_mul_f64_e32 v[136:137], v[74:75], v[84:85]
	v_mul_f64_e32 v[84:85], v[76:77], v[84:85]
	v_fmac_f64_e32 v[130:131], v[128:129], v[78:79]
	v_fma_f64 v[126:127], v[126:127], v[78:79], -v[80:81]
	scratch_load_b128 v[78:81], off, off offset:384
	v_add_f64_e32 v[4:5], v[4:5], v[134:135]
	v_add_f64_e32 v[8:9], v[132:133], v[8:9]
	v_fmac_f64_e32 v[136:137], v[76:77], v[82:83]
	v_fma_f64 v[134:135], v[74:75], v[82:83], -v[84:85]
	ds_load_b128 v[74:77], v2 offset:688
	s_wait_loadcnt_dscnt 0xb01
	v_mul_f64_e32 v[132:133], v[118:119], v[88:89]
	v_mul_f64_e32 v[88:89], v[120:121], v[88:89]
	scratch_load_b128 v[82:85], off, off offset:400
	v_add_f64_e32 v[4:5], v[4:5], v[126:127]
	v_add_f64_e32 v[8:9], v[8:9], v[130:131]
	s_wait_loadcnt_dscnt 0xb00
	v_mul_f64_e32 v[130:131], v[74:75], v[92:93]
	v_mul_f64_e32 v[92:93], v[76:77], v[92:93]
	ds_load_b128 v[126:129], v2 offset:704
	v_fmac_f64_e32 v[132:133], v[120:121], v[86:87]
	v_fma_f64 v[118:119], v[118:119], v[86:87], -v[88:89]
	scratch_load_b128 v[86:89], off, off offset:416
	v_add_f64_e32 v[4:5], v[4:5], v[134:135]
	v_add_f64_e32 v[8:9], v[8:9], v[136:137]
	v_fmac_f64_e32 v[130:131], v[76:77], v[90:91]
	v_fma_f64 v[136:137], v[74:75], v[90:91], -v[92:93]
	ds_load_b128 v[74:77], v2 offset:720
	s_wait_loadcnt_dscnt 0xb01
	v_mul_f64_e32 v[134:135], v[126:127], v[96:97]
	v_mul_f64_e32 v[96:97], v[128:129], v[96:97]
	scratch_load_b128 v[90:93], off, off offset:432
	v_add_f64_e32 v[4:5], v[4:5], v[118:119]
	v_add_f64_e32 v[8:9], v[8:9], v[132:133]
	s_wait_loadcnt_dscnt 0xb00
	v_mul_f64_e32 v[132:133], v[74:75], v[100:101]
	v_mul_f64_e32 v[100:101], v[76:77], v[100:101]
	ds_load_b128 v[118:121], v2 offset:736
	v_fmac_f64_e32 v[134:135], v[128:129], v[94:95]
	v_fma_f64 v[94:95], v[126:127], v[94:95], -v[96:97]
	s_wait_loadcnt_dscnt 0xa00
	v_mul_f64_e32 v[126:127], v[118:119], v[104:105]
	v_mul_f64_e32 v[104:105], v[120:121], v[104:105]
	v_add_f64_e32 v[4:5], v[4:5], v[136:137]
	v_add_f64_e32 v[8:9], v[8:9], v[130:131]
	v_fmac_f64_e32 v[132:133], v[76:77], v[98:99]
	v_fma_f64 v[98:99], v[74:75], v[98:99], -v[100:101]
	v_fmac_f64_e32 v[126:127], v[120:121], v[102:103]
	v_fma_f64 v[102:103], v[118:119], v[102:103], -v[104:105]
	v_add_f64_e32 v[4:5], v[4:5], v[94:95]
	v_add_f64_e32 v[8:9], v[8:9], v[134:135]
	ds_load_b128 v[74:77], v2 offset:752
	ds_load_b128 v[94:97], v2 offset:768
	s_wait_loadcnt_dscnt 0x901
	v_mul_f64_e32 v[128:129], v[74:75], v[112:113]
	v_mul_f64_e32 v[100:101], v[76:77], v[112:113]
	s_wait_loadcnt_dscnt 0x600
	v_mul_f64_e32 v[104:105], v[94:95], v[12:13]
	v_add_f64_e32 v[4:5], v[4:5], v[98:99]
	v_add_f64_e32 v[8:9], v[8:9], v[132:133]
	v_mul_f64_e32 v[12:13], v[96:97], v[12:13]
	v_fmac_f64_e32 v[128:129], v[76:77], v[110:111]
	v_fma_f64 v[110:111], v[74:75], v[110:111], -v[100:101]
	ds_load_b128 v[74:77], v2 offset:784
	ds_load_b128 v[98:101], v2 offset:800
	v_fmac_f64_e32 v[104:105], v[96:97], v[10:11]
	v_add_f64_e32 v[4:5], v[4:5], v[102:103]
	v_add_f64_e32 v[8:9], v[8:9], v[126:127]
	v_fma_f64 v[10:11], v[94:95], v[10:11], -v[12:13]
	s_wait_dscnt 0x1
	v_mul_f64_e32 v[102:103], v[74:75], v[124:125]
	v_mul_f64_e32 v[112:113], v[76:77], v[124:125]
	v_add_f64_e32 v[4:5], v[4:5], v[110:111]
	v_add_f64_e32 v[8:9], v[8:9], v[128:129]
	s_wait_loadcnt_dscnt 0x500
	v_mul_f64_e32 v[12:13], v[98:99], v[72:73]
	v_mul_f64_e32 v[94:95], v[100:101], v[72:73]
	v_fmac_f64_e32 v[102:103], v[76:77], v[122:123]
	v_fma_f64 v[76:77], v[74:75], v[122:123], -v[112:113]
	v_add_f64_e32 v[4:5], v[4:5], v[10:11]
	v_add_f64_e32 v[96:97], v[8:9], v[104:105]
	ds_load_b128 v[8:11], v2 offset:816
	ds_load_b128 v[72:75], v2 offset:832
	v_fmac_f64_e32 v[12:13], v[100:101], v[70:71]
	v_fma_f64 v[70:71], v[98:99], v[70:71], -v[94:95]
	s_wait_loadcnt_dscnt 0x401
	v_mul_f64_e32 v[104:105], v[8:9], v[108:109]
	v_mul_f64_e32 v[108:109], v[10:11], v[108:109]
	s_wait_loadcnt_dscnt 0x300
	v_mul_f64_e32 v[98:99], v[72:73], v[80:81]
	v_mul_f64_e32 v[80:81], v[74:75], v[80:81]
	v_add_f64_e32 v[4:5], v[4:5], v[76:77]
	v_add_f64_e32 v[76:77], v[96:97], v[102:103]
	v_fmac_f64_e32 v[104:105], v[10:11], v[106:107]
	v_fma_f64 v[100:101], v[8:9], v[106:107], -v[108:109]
	ds_load_b128 v[8:11], v2 offset:848
	ds_load_b128 v[94:97], v2 offset:864
	v_fmac_f64_e32 v[98:99], v[74:75], v[78:79]
	v_fma_f64 v[72:73], v[72:73], v[78:79], -v[80:81]
	v_add_f64_e32 v[4:5], v[4:5], v[70:71]
	v_add_f64_e32 v[12:13], v[76:77], v[12:13]
	s_wait_loadcnt_dscnt 0x201
	v_mul_f64_e32 v[70:71], v[8:9], v[84:85]
	v_mul_f64_e32 v[76:77], v[10:11], v[84:85]
	s_wait_loadcnt_dscnt 0x100
	v_mul_f64_e32 v[74:75], v[94:95], v[88:89]
	v_mul_f64_e32 v[78:79], v[96:97], v[88:89]
	v_add_f64_e32 v[4:5], v[4:5], v[100:101]
	v_add_f64_e32 v[12:13], v[12:13], v[104:105]
	v_fmac_f64_e32 v[70:71], v[10:11], v[82:83]
	v_fma_f64 v[76:77], v[8:9], v[82:83], -v[76:77]
	ds_load_b128 v[8:11], v2 offset:880
	v_fmac_f64_e32 v[74:75], v[96:97], v[86:87]
	v_fma_f64 v[78:79], v[94:95], v[86:87], -v[78:79]
	s_wait_loadcnt_dscnt 0x0
	v_mul_f64_e32 v[80:81], v[10:11], v[92:93]
	v_add_f64_e32 v[4:5], v[4:5], v[72:73]
	v_add_f64_e32 v[12:13], v[12:13], v[98:99]
	v_mul_f64_e32 v[72:73], v[8:9], v[92:93]
	s_delay_alu instid0(VALU_DEP_4) | instskip(NEXT) | instid1(VALU_DEP_4)
	v_fma_f64 v[8:9], v[8:9], v[90:91], -v[80:81]
	v_add_f64_e32 v[4:5], v[4:5], v[76:77]
	s_delay_alu instid0(VALU_DEP_4) | instskip(NEXT) | instid1(VALU_DEP_4)
	v_add_f64_e32 v[12:13], v[12:13], v[70:71]
	v_fmac_f64_e32 v[72:73], v[10:11], v[90:91]
	s_delay_alu instid0(VALU_DEP_3) | instskip(NEXT) | instid1(VALU_DEP_3)
	v_add_f64_e32 v[4:5], v[4:5], v[78:79]
	v_add_f64_e32 v[10:11], v[12:13], v[74:75]
	s_delay_alu instid0(VALU_DEP_2) | instskip(NEXT) | instid1(VALU_DEP_2)
	v_add_f64_e32 v[4:5], v[4:5], v[8:9]
	v_add_f64_e32 v[10:11], v[10:11], v[72:73]
	s_delay_alu instid0(VALU_DEP_2) | instskip(NEXT) | instid1(VALU_DEP_2)
	v_add_f64_e64 v[8:9], v[114:115], -v[4:5]
	v_add_f64_e64 v[10:11], v[116:117], -v[10:11]
	scratch_store_b128 off, v[8:11], off offset:128
	s_wait_xcnt 0x0
	v_cmpx_lt_u32_e32 7, v1
	s_cbranch_execz .LBB91_167
; %bb.166:
	scratch_load_b128 v[8:11], off, s37
	v_dual_mov_b32 v3, v2 :: v_dual_mov_b32 v4, v2
	v_mov_b32_e32 v5, v2
	scratch_store_b128 off, v[2:5], off offset:112
	s_wait_loadcnt 0x0
	ds_store_b128 v6, v[8:11]
.LBB91_167:
	s_wait_xcnt 0x0
	s_or_b32 exec_lo, exec_lo, s2
	s_wait_storecnt_dscnt 0x0
	s_barrier_signal -1
	s_barrier_wait -1
	s_clause 0x9
	scratch_load_b128 v[8:11], off, off offset:128
	scratch_load_b128 v[70:73], off, off offset:144
	;; [unrolled: 1-line block ×10, first 2 shown]
	ds_load_b128 v[106:109], v2 offset:576
	ds_load_b128 v[114:117], v2 offset:592
	s_clause 0x1
	scratch_load_b128 v[110:113], off, off offset:288
	scratch_load_b128 v[118:121], off, off offset:112
	s_mov_b32 s2, exec_lo
	s_wait_loadcnt_dscnt 0xb01
	v_mul_f64_e32 v[4:5], v[108:109], v[10:11]
	v_mul_f64_e32 v[130:131], v[106:107], v[10:11]
	scratch_load_b128 v[10:13], off, off offset:304
	s_wait_loadcnt_dscnt 0xb00
	v_mul_f64_e32 v[132:133], v[114:115], v[72:73]
	v_mul_f64_e32 v[72:73], v[116:117], v[72:73]
	v_fma_f64 v[4:5], v[106:107], v[8:9], -v[4:5]
	v_fmac_f64_e32 v[130:131], v[108:109], v[8:9]
	ds_load_b128 v[106:109], v2 offset:608
	ds_load_b128 v[122:125], v2 offset:624
	scratch_load_b128 v[126:129], off, off offset:320
	v_fmac_f64_e32 v[132:133], v[116:117], v[70:71]
	v_fma_f64 v[114:115], v[114:115], v[70:71], -v[72:73]
	scratch_load_b128 v[70:73], off, off offset:336
	s_wait_loadcnt_dscnt 0xc01
	v_mul_f64_e32 v[8:9], v[106:107], v[76:77]
	v_mul_f64_e32 v[76:77], v[108:109], v[76:77]
	v_add_f64_e32 v[4:5], 0, v[4:5]
	v_add_f64_e32 v[116:117], 0, v[130:131]
	s_wait_loadcnt_dscnt 0xb00
	v_mul_f64_e32 v[130:131], v[122:123], v[80:81]
	v_mul_f64_e32 v[80:81], v[124:125], v[80:81]
	v_fmac_f64_e32 v[8:9], v[108:109], v[74:75]
	v_fma_f64 v[134:135], v[106:107], v[74:75], -v[76:77]
	ds_load_b128 v[74:77], v2 offset:640
	ds_load_b128 v[106:109], v2 offset:656
	v_add_f64_e32 v[4:5], v[4:5], v[114:115]
	v_add_f64_e32 v[132:133], v[116:117], v[132:133]
	scratch_load_b128 v[114:117], off, off offset:352
	v_fmac_f64_e32 v[130:131], v[124:125], v[78:79]
	v_fma_f64 v[122:123], v[122:123], v[78:79], -v[80:81]
	scratch_load_b128 v[78:81], off, off offset:368
	s_wait_loadcnt_dscnt 0xc01
	v_mul_f64_e32 v[136:137], v[74:75], v[84:85]
	v_mul_f64_e32 v[84:85], v[76:77], v[84:85]
	v_add_f64_e32 v[4:5], v[4:5], v[134:135]
	v_add_f64_e32 v[8:9], v[132:133], v[8:9]
	s_wait_loadcnt_dscnt 0xb00
	v_mul_f64_e32 v[132:133], v[106:107], v[88:89]
	v_mul_f64_e32 v[88:89], v[108:109], v[88:89]
	v_fmac_f64_e32 v[136:137], v[76:77], v[82:83]
	v_fma_f64 v[134:135], v[74:75], v[82:83], -v[84:85]
	ds_load_b128 v[74:77], v2 offset:672
	ds_load_b128 v[82:85], v2 offset:688
	v_add_f64_e32 v[4:5], v[4:5], v[122:123]
	v_add_f64_e32 v[8:9], v[8:9], v[130:131]
	scratch_load_b128 v[122:125], off, off offset:384
	s_wait_loadcnt_dscnt 0xb01
	v_mul_f64_e32 v[130:131], v[74:75], v[92:93]
	v_mul_f64_e32 v[92:93], v[76:77], v[92:93]
	v_fmac_f64_e32 v[132:133], v[108:109], v[86:87]
	v_fma_f64 v[106:107], v[106:107], v[86:87], -v[88:89]
	scratch_load_b128 v[86:89], off, off offset:400
	v_add_f64_e32 v[4:5], v[4:5], v[134:135]
	v_add_f64_e32 v[8:9], v[8:9], v[136:137]
	s_wait_loadcnt_dscnt 0xb00
	v_mul_f64_e32 v[134:135], v[82:83], v[96:97]
	v_mul_f64_e32 v[96:97], v[84:85], v[96:97]
	v_fmac_f64_e32 v[130:131], v[76:77], v[90:91]
	v_fma_f64 v[136:137], v[74:75], v[90:91], -v[92:93]
	ds_load_b128 v[74:77], v2 offset:704
	ds_load_b128 v[90:93], v2 offset:720
	v_add_f64_e32 v[4:5], v[4:5], v[106:107]
	v_add_f64_e32 v[8:9], v[8:9], v[132:133]
	scratch_load_b128 v[106:109], off, off offset:416
	s_wait_loadcnt_dscnt 0xb01
	v_mul_f64_e32 v[132:133], v[74:75], v[100:101]
	v_mul_f64_e32 v[100:101], v[76:77], v[100:101]
	v_fmac_f64_e32 v[134:135], v[84:85], v[94:95]
	v_fma_f64 v[94:95], v[82:83], v[94:95], -v[96:97]
	scratch_load_b128 v[82:85], off, off offset:432
	v_add_f64_e32 v[4:5], v[4:5], v[136:137]
	v_add_f64_e32 v[8:9], v[8:9], v[130:131]
	s_wait_loadcnt_dscnt 0xb00
	v_mul_f64_e32 v[130:131], v[90:91], v[104:105]
	v_mul_f64_e32 v[104:105], v[92:93], v[104:105]
	v_fmac_f64_e32 v[132:133], v[76:77], v[98:99]
	v_fma_f64 v[98:99], v[74:75], v[98:99], -v[100:101]
	v_add_f64_e32 v[4:5], v[4:5], v[94:95]
	v_add_f64_e32 v[8:9], v[8:9], v[134:135]
	ds_load_b128 v[74:77], v2 offset:736
	ds_load_b128 v[94:97], v2 offset:752
	v_fmac_f64_e32 v[130:131], v[92:93], v[102:103]
	v_fma_f64 v[90:91], v[90:91], v[102:103], -v[104:105]
	s_wait_loadcnt_dscnt 0xa01
	v_mul_f64_e32 v[100:101], v[74:75], v[112:113]
	v_mul_f64_e32 v[112:113], v[76:77], v[112:113]
	v_add_f64_e32 v[4:5], v[4:5], v[98:99]
	v_add_f64_e32 v[8:9], v[8:9], v[132:133]
	s_wait_loadcnt_dscnt 0x800
	v_mul_f64_e32 v[98:99], v[94:95], v[12:13]
	v_mul_f64_e32 v[12:13], v[96:97], v[12:13]
	v_fmac_f64_e32 v[100:101], v[76:77], v[110:111]
	v_fma_f64 v[102:103], v[74:75], v[110:111], -v[112:113]
	v_add_f64_e32 v[4:5], v[4:5], v[90:91]
	v_add_f64_e32 v[8:9], v[8:9], v[130:131]
	ds_load_b128 v[74:77], v2 offset:768
	ds_load_b128 v[90:93], v2 offset:784
	v_fmac_f64_e32 v[98:99], v[96:97], v[10:11]
	v_fma_f64 v[10:11], v[94:95], v[10:11], -v[12:13]
	s_wait_loadcnt_dscnt 0x701
	v_mul_f64_e32 v[104:105], v[74:75], v[128:129]
	v_mul_f64_e32 v[110:111], v[76:77], v[128:129]
	s_wait_loadcnt_dscnt 0x600
	v_mul_f64_e32 v[12:13], v[90:91], v[72:73]
	v_mul_f64_e32 v[94:95], v[92:93], v[72:73]
	v_add_f64_e32 v[4:5], v[4:5], v[102:103]
	v_add_f64_e32 v[8:9], v[8:9], v[100:101]
	v_fmac_f64_e32 v[104:105], v[76:77], v[126:127]
	v_fma_f64 v[76:77], v[74:75], v[126:127], -v[110:111]
	v_fmac_f64_e32 v[12:13], v[92:93], v[70:71]
	v_fma_f64 v[70:71], v[90:91], v[70:71], -v[94:95]
	v_add_f64_e32 v[4:5], v[4:5], v[10:11]
	v_add_f64_e32 v[96:97], v[8:9], v[98:99]
	ds_load_b128 v[8:11], v2 offset:800
	ds_load_b128 v[72:75], v2 offset:816
	s_wait_loadcnt_dscnt 0x501
	v_mul_f64_e32 v[98:99], v[8:9], v[116:117]
	v_mul_f64_e32 v[100:101], v[10:11], v[116:117]
	s_wait_loadcnt_dscnt 0x400
	v_mul_f64_e32 v[94:95], v[72:73], v[80:81]
	v_mul_f64_e32 v[80:81], v[74:75], v[80:81]
	v_add_f64_e32 v[4:5], v[4:5], v[76:77]
	v_add_f64_e32 v[76:77], v[96:97], v[104:105]
	v_fmac_f64_e32 v[98:99], v[10:11], v[114:115]
	v_fma_f64 v[96:97], v[8:9], v[114:115], -v[100:101]
	ds_load_b128 v[8:11], v2 offset:832
	ds_load_b128 v[90:93], v2 offset:848
	v_fmac_f64_e32 v[94:95], v[74:75], v[78:79]
	v_fma_f64 v[72:73], v[72:73], v[78:79], -v[80:81]
	v_add_f64_e32 v[4:5], v[4:5], v[70:71]
	v_add_f64_e32 v[12:13], v[76:77], v[12:13]
	s_wait_loadcnt_dscnt 0x301
	v_mul_f64_e32 v[70:71], v[8:9], v[124:125]
	v_mul_f64_e32 v[76:77], v[10:11], v[124:125]
	s_wait_loadcnt_dscnt 0x200
	v_mul_f64_e32 v[74:75], v[90:91], v[88:89]
	v_mul_f64_e32 v[78:79], v[92:93], v[88:89]
	v_add_f64_e32 v[4:5], v[4:5], v[96:97]
	v_add_f64_e32 v[12:13], v[12:13], v[98:99]
	v_fmac_f64_e32 v[70:71], v[10:11], v[122:123]
	v_fma_f64 v[76:77], v[8:9], v[122:123], -v[76:77]
	v_fmac_f64_e32 v[74:75], v[92:93], v[86:87]
	v_fma_f64 v[78:79], v[90:91], v[86:87], -v[78:79]
	v_add_f64_e32 v[72:73], v[4:5], v[72:73]
	v_add_f64_e32 v[12:13], v[12:13], v[94:95]
	ds_load_b128 v[8:11], v2 offset:864
	ds_load_b128 v[2:5], v2 offset:880
	s_wait_loadcnt_dscnt 0x101
	v_mul_f64_e32 v[80:81], v[8:9], v[108:109]
	v_mul_f64_e32 v[88:89], v[10:11], v[108:109]
	v_add_f64_e32 v[72:73], v[72:73], v[76:77]
	v_add_f64_e32 v[12:13], v[12:13], v[70:71]
	s_wait_loadcnt_dscnt 0x0
	v_mul_f64_e32 v[70:71], v[2:3], v[84:85]
	v_mul_f64_e32 v[76:77], v[4:5], v[84:85]
	v_fmac_f64_e32 v[80:81], v[10:11], v[106:107]
	v_fma_f64 v[8:9], v[8:9], v[106:107], -v[88:89]
	v_add_f64_e32 v[10:11], v[72:73], v[78:79]
	v_add_f64_e32 v[12:13], v[12:13], v[74:75]
	v_fmac_f64_e32 v[70:71], v[4:5], v[82:83]
	v_fma_f64 v[2:3], v[2:3], v[82:83], -v[76:77]
	s_delay_alu instid0(VALU_DEP_4) | instskip(NEXT) | instid1(VALU_DEP_4)
	v_add_f64_e32 v[4:5], v[10:11], v[8:9]
	v_add_f64_e32 v[8:9], v[12:13], v[80:81]
	s_delay_alu instid0(VALU_DEP_2) | instskip(NEXT) | instid1(VALU_DEP_2)
	v_add_f64_e32 v[2:3], v[4:5], v[2:3]
	v_add_f64_e32 v[4:5], v[8:9], v[70:71]
	s_delay_alu instid0(VALU_DEP_2) | instskip(NEXT) | instid1(VALU_DEP_2)
	v_add_f64_e64 v[2:3], v[118:119], -v[2:3]
	v_add_f64_e64 v[4:5], v[120:121], -v[4:5]
	scratch_store_b128 off, v[2:5], off offset:112
	s_wait_xcnt 0x0
	v_cmpx_lt_u32_e32 6, v1
	s_cbranch_execz .LBB91_169
; %bb.168:
	scratch_load_b128 v[2:5], off, s38
	v_mov_b32_e32 v8, 0
	s_delay_alu instid0(VALU_DEP_1)
	v_dual_mov_b32 v9, v8 :: v_dual_mov_b32 v10, v8
	v_mov_b32_e32 v11, v8
	scratch_store_b128 off, v[8:11], off offset:96
	s_wait_loadcnt 0x0
	ds_store_b128 v6, v[2:5]
.LBB91_169:
	s_wait_xcnt 0x0
	s_or_b32 exec_lo, exec_lo, s2
	s_wait_storecnt_dscnt 0x0
	s_barrier_signal -1
	s_barrier_wait -1
	s_clause 0x9
	scratch_load_b128 v[8:11], off, off offset:112
	scratch_load_b128 v[70:73], off, off offset:128
	;; [unrolled: 1-line block ×10, first 2 shown]
	v_mov_b32_e32 v2, 0
	s_mov_b32 s2, exec_lo
	ds_load_b128 v[106:109], v2 offset:560
	s_clause 0x2
	scratch_load_b128 v[110:113], off, off offset:272
	scratch_load_b128 v[114:117], off, off offset:96
	;; [unrolled: 1-line block ×3, first 2 shown]
	s_wait_loadcnt_dscnt 0xc00
	v_mul_f64_e32 v[4:5], v[108:109], v[10:11]
	v_mul_f64_e32 v[130:131], v[106:107], v[10:11]
	ds_load_b128 v[118:121], v2 offset:576
	scratch_load_b128 v[10:13], off, off offset:288
	ds_load_b128 v[126:129], v2 offset:608
	v_fma_f64 v[4:5], v[106:107], v[8:9], -v[4:5]
	v_fmac_f64_e32 v[130:131], v[108:109], v[8:9]
	ds_load_b128 v[106:109], v2 offset:592
	s_wait_loadcnt_dscnt 0xc02
	v_mul_f64_e32 v[132:133], v[118:119], v[72:73]
	v_mul_f64_e32 v[72:73], v[120:121], v[72:73]
	s_wait_loadcnt_dscnt 0xb00
	v_mul_f64_e32 v[8:9], v[106:107], v[76:77]
	v_mul_f64_e32 v[76:77], v[108:109], v[76:77]
	v_add_f64_e32 v[4:5], 0, v[4:5]
	v_fmac_f64_e32 v[132:133], v[120:121], v[70:71]
	v_fma_f64 v[118:119], v[118:119], v[70:71], -v[72:73]
	v_add_f64_e32 v[120:121], 0, v[130:131]
	scratch_load_b128 v[70:73], off, off offset:320
	v_fmac_f64_e32 v[8:9], v[108:109], v[74:75]
	v_fma_f64 v[134:135], v[106:107], v[74:75], -v[76:77]
	ds_load_b128 v[74:77], v2 offset:624
	s_wait_loadcnt 0xb
	v_mul_f64_e32 v[130:131], v[126:127], v[80:81]
	v_mul_f64_e32 v[80:81], v[128:129], v[80:81]
	scratch_load_b128 v[106:109], off, off offset:336
	v_add_f64_e32 v[4:5], v[4:5], v[118:119]
	v_add_f64_e32 v[132:133], v[120:121], v[132:133]
	ds_load_b128 v[118:121], v2 offset:640
	s_wait_loadcnt_dscnt 0xb01
	v_mul_f64_e32 v[136:137], v[74:75], v[84:85]
	v_mul_f64_e32 v[84:85], v[76:77], v[84:85]
	v_fmac_f64_e32 v[130:131], v[128:129], v[78:79]
	v_fma_f64 v[126:127], v[126:127], v[78:79], -v[80:81]
	scratch_load_b128 v[78:81], off, off offset:352
	v_add_f64_e32 v[4:5], v[4:5], v[134:135]
	v_add_f64_e32 v[8:9], v[132:133], v[8:9]
	v_fmac_f64_e32 v[136:137], v[76:77], v[82:83]
	v_fma_f64 v[134:135], v[74:75], v[82:83], -v[84:85]
	ds_load_b128 v[74:77], v2 offset:656
	s_wait_loadcnt_dscnt 0xb01
	v_mul_f64_e32 v[132:133], v[118:119], v[88:89]
	v_mul_f64_e32 v[88:89], v[120:121], v[88:89]
	scratch_load_b128 v[82:85], off, off offset:368
	v_add_f64_e32 v[4:5], v[4:5], v[126:127]
	v_add_f64_e32 v[8:9], v[8:9], v[130:131]
	s_wait_loadcnt_dscnt 0xb00
	v_mul_f64_e32 v[130:131], v[74:75], v[92:93]
	v_mul_f64_e32 v[92:93], v[76:77], v[92:93]
	ds_load_b128 v[126:129], v2 offset:672
	v_fmac_f64_e32 v[132:133], v[120:121], v[86:87]
	v_fma_f64 v[118:119], v[118:119], v[86:87], -v[88:89]
	scratch_load_b128 v[86:89], off, off offset:384
	v_add_f64_e32 v[4:5], v[4:5], v[134:135]
	v_add_f64_e32 v[8:9], v[8:9], v[136:137]
	v_fmac_f64_e32 v[130:131], v[76:77], v[90:91]
	v_fma_f64 v[136:137], v[74:75], v[90:91], -v[92:93]
	ds_load_b128 v[74:77], v2 offset:688
	s_wait_loadcnt_dscnt 0xb01
	v_mul_f64_e32 v[134:135], v[126:127], v[96:97]
	v_mul_f64_e32 v[96:97], v[128:129], v[96:97]
	scratch_load_b128 v[90:93], off, off offset:400
	v_add_f64_e32 v[4:5], v[4:5], v[118:119]
	v_add_f64_e32 v[8:9], v[8:9], v[132:133]
	s_wait_loadcnt_dscnt 0xb00
	v_mul_f64_e32 v[132:133], v[74:75], v[100:101]
	v_mul_f64_e32 v[100:101], v[76:77], v[100:101]
	ds_load_b128 v[118:121], v2 offset:704
	;; [unrolled: 18-line block ×3, first 2 shown]
	v_fmac_f64_e32 v[130:131], v[120:121], v[102:103]
	v_fma_f64 v[102:103], v[118:119], v[102:103], -v[104:105]
	s_wait_loadcnt_dscnt 0x800
	v_mul_f64_e32 v[118:119], v[126:127], v[12:13]
	v_add_f64_e32 v[4:5], v[4:5], v[136:137]
	v_add_f64_e32 v[8:9], v[8:9], v[132:133]
	v_mul_f64_e32 v[12:13], v[128:129], v[12:13]
	v_fmac_f64_e32 v[134:135], v[76:77], v[110:111]
	v_fma_f64 v[110:111], v[74:75], v[110:111], -v[112:113]
	v_fmac_f64_e32 v[118:119], v[128:129], v[10:11]
	v_add_f64_e32 v[4:5], v[4:5], v[102:103]
	v_add_f64_e32 v[8:9], v[8:9], v[130:131]
	ds_load_b128 v[74:77], v2 offset:752
	ds_load_b128 v[102:105], v2 offset:768
	v_fma_f64 v[10:11], v[126:127], v[10:11], -v[12:13]
	s_wait_dscnt 0x1
	v_mul_f64_e32 v[112:113], v[74:75], v[124:125]
	v_mul_f64_e32 v[120:121], v[76:77], v[124:125]
	v_add_f64_e32 v[4:5], v[4:5], v[110:111]
	v_add_f64_e32 v[8:9], v[8:9], v[134:135]
	s_wait_loadcnt_dscnt 0x700
	v_mul_f64_e32 v[12:13], v[102:103], v[72:73]
	v_mul_f64_e32 v[110:111], v[104:105], v[72:73]
	v_fmac_f64_e32 v[112:113], v[76:77], v[122:123]
	v_fma_f64 v[76:77], v[74:75], v[122:123], -v[120:121]
	v_add_f64_e32 v[4:5], v[4:5], v[10:11]
	v_add_f64_e32 v[118:119], v[8:9], v[118:119]
	ds_load_b128 v[8:11], v2 offset:784
	ds_load_b128 v[72:75], v2 offset:800
	v_fmac_f64_e32 v[12:13], v[104:105], v[70:71]
	v_fma_f64 v[70:71], v[102:103], v[70:71], -v[110:111]
	s_wait_loadcnt_dscnt 0x601
	v_mul_f64_e32 v[120:121], v[8:9], v[108:109]
	v_mul_f64_e32 v[108:109], v[10:11], v[108:109]
	s_wait_loadcnt_dscnt 0x500
	v_mul_f64_e32 v[110:111], v[72:73], v[80:81]
	v_mul_f64_e32 v[80:81], v[74:75], v[80:81]
	v_add_f64_e32 v[4:5], v[4:5], v[76:77]
	v_add_f64_e32 v[76:77], v[118:119], v[112:113]
	v_fmac_f64_e32 v[120:121], v[10:11], v[106:107]
	v_fma_f64 v[106:107], v[8:9], v[106:107], -v[108:109]
	ds_load_b128 v[8:11], v2 offset:816
	ds_load_b128 v[102:105], v2 offset:832
	v_fmac_f64_e32 v[110:111], v[74:75], v[78:79]
	v_fma_f64 v[72:73], v[72:73], v[78:79], -v[80:81]
	v_add_f64_e32 v[4:5], v[4:5], v[70:71]
	v_add_f64_e32 v[12:13], v[76:77], v[12:13]
	s_wait_loadcnt_dscnt 0x401
	v_mul_f64_e32 v[76:77], v[8:9], v[84:85]
	v_mul_f64_e32 v[70:71], v[10:11], v[84:85]
	s_wait_loadcnt_dscnt 0x300
	v_mul_f64_e32 v[74:75], v[102:103], v[88:89]
	v_mul_f64_e32 v[78:79], v[104:105], v[88:89]
	v_add_f64_e32 v[4:5], v[4:5], v[106:107]
	v_add_f64_e32 v[12:13], v[12:13], v[120:121]
	v_fmac_f64_e32 v[76:77], v[10:11], v[82:83]
	v_fma_f64 v[80:81], v[8:9], v[82:83], -v[70:71]
	v_fmac_f64_e32 v[74:75], v[104:105], v[86:87]
	v_fma_f64 v[78:79], v[102:103], v[86:87], -v[78:79]
	v_add_f64_e32 v[4:5], v[4:5], v[72:73]
	v_add_f64_e32 v[12:13], v[12:13], v[110:111]
	ds_load_b128 v[8:11], v2 offset:848
	ds_load_b128 v[70:73], v2 offset:864
	s_wait_loadcnt_dscnt 0x201
	v_mul_f64_e32 v[82:83], v[8:9], v[92:93]
	v_mul_f64_e32 v[84:85], v[10:11], v[92:93]
	v_add_f64_e32 v[4:5], v[4:5], v[80:81]
	v_add_f64_e32 v[12:13], v[12:13], v[76:77]
	s_wait_loadcnt_dscnt 0x100
	v_mul_f64_e32 v[76:77], v[70:71], v[96:97]
	v_mul_f64_e32 v[80:81], v[72:73], v[96:97]
	v_fmac_f64_e32 v[82:83], v[10:11], v[90:91]
	v_fma_f64 v[84:85], v[8:9], v[90:91], -v[84:85]
	ds_load_b128 v[8:11], v2 offset:880
	v_add_f64_e32 v[4:5], v[4:5], v[78:79]
	v_add_f64_e32 v[12:13], v[12:13], v[74:75]
	v_fmac_f64_e32 v[76:77], v[72:73], v[94:95]
	v_fma_f64 v[70:71], v[70:71], v[94:95], -v[80:81]
	s_wait_loadcnt_dscnt 0x0
	v_mul_f64_e32 v[74:75], v[8:9], v[100:101]
	v_mul_f64_e32 v[78:79], v[10:11], v[100:101]
	v_add_f64_e32 v[4:5], v[4:5], v[84:85]
	v_add_f64_e32 v[12:13], v[12:13], v[82:83]
	s_delay_alu instid0(VALU_DEP_4) | instskip(NEXT) | instid1(VALU_DEP_4)
	v_fmac_f64_e32 v[74:75], v[10:11], v[98:99]
	v_fma_f64 v[8:9], v[8:9], v[98:99], -v[78:79]
	s_delay_alu instid0(VALU_DEP_4) | instskip(NEXT) | instid1(VALU_DEP_4)
	v_add_f64_e32 v[4:5], v[4:5], v[70:71]
	v_add_f64_e32 v[10:11], v[12:13], v[76:77]
	s_delay_alu instid0(VALU_DEP_2) | instskip(NEXT) | instid1(VALU_DEP_2)
	v_add_f64_e32 v[4:5], v[4:5], v[8:9]
	v_add_f64_e32 v[10:11], v[10:11], v[74:75]
	s_delay_alu instid0(VALU_DEP_2) | instskip(NEXT) | instid1(VALU_DEP_2)
	v_add_f64_e64 v[8:9], v[114:115], -v[4:5]
	v_add_f64_e64 v[10:11], v[116:117], -v[10:11]
	scratch_store_b128 off, v[8:11], off offset:96
	s_wait_xcnt 0x0
	v_cmpx_lt_u32_e32 5, v1
	s_cbranch_execz .LBB91_171
; %bb.170:
	scratch_load_b128 v[8:11], off, s39
	v_dual_mov_b32 v3, v2 :: v_dual_mov_b32 v4, v2
	v_mov_b32_e32 v5, v2
	scratch_store_b128 off, v[2:5], off offset:80
	s_wait_loadcnt 0x0
	ds_store_b128 v6, v[8:11]
.LBB91_171:
	s_wait_xcnt 0x0
	s_or_b32 exec_lo, exec_lo, s2
	s_wait_storecnt_dscnt 0x0
	s_barrier_signal -1
	s_barrier_wait -1
	s_clause 0x9
	scratch_load_b128 v[8:11], off, off offset:96
	scratch_load_b128 v[70:73], off, off offset:112
	;; [unrolled: 1-line block ×10, first 2 shown]
	ds_load_b128 v[106:109], v2 offset:544
	ds_load_b128 v[114:117], v2 offset:560
	s_clause 0x1
	scratch_load_b128 v[110:113], off, off offset:256
	scratch_load_b128 v[118:121], off, off offset:80
	s_mov_b32 s2, exec_lo
	s_wait_loadcnt_dscnt 0xb01
	v_mul_f64_e32 v[4:5], v[108:109], v[10:11]
	v_mul_f64_e32 v[130:131], v[106:107], v[10:11]
	scratch_load_b128 v[10:13], off, off offset:272
	s_wait_loadcnt_dscnt 0xb00
	v_mul_f64_e32 v[132:133], v[114:115], v[72:73]
	v_mul_f64_e32 v[72:73], v[116:117], v[72:73]
	v_fma_f64 v[4:5], v[106:107], v[8:9], -v[4:5]
	v_fmac_f64_e32 v[130:131], v[108:109], v[8:9]
	ds_load_b128 v[106:109], v2 offset:576
	ds_load_b128 v[122:125], v2 offset:592
	scratch_load_b128 v[126:129], off, off offset:288
	v_fmac_f64_e32 v[132:133], v[116:117], v[70:71]
	v_fma_f64 v[114:115], v[114:115], v[70:71], -v[72:73]
	scratch_load_b128 v[70:73], off, off offset:304
	s_wait_loadcnt_dscnt 0xc01
	v_mul_f64_e32 v[8:9], v[106:107], v[76:77]
	v_mul_f64_e32 v[76:77], v[108:109], v[76:77]
	v_add_f64_e32 v[4:5], 0, v[4:5]
	v_add_f64_e32 v[116:117], 0, v[130:131]
	s_wait_loadcnt_dscnt 0xb00
	v_mul_f64_e32 v[130:131], v[122:123], v[80:81]
	v_mul_f64_e32 v[80:81], v[124:125], v[80:81]
	v_fmac_f64_e32 v[8:9], v[108:109], v[74:75]
	v_fma_f64 v[134:135], v[106:107], v[74:75], -v[76:77]
	ds_load_b128 v[74:77], v2 offset:608
	ds_load_b128 v[106:109], v2 offset:624
	v_add_f64_e32 v[4:5], v[4:5], v[114:115]
	v_add_f64_e32 v[132:133], v[116:117], v[132:133]
	scratch_load_b128 v[114:117], off, off offset:320
	v_fmac_f64_e32 v[130:131], v[124:125], v[78:79]
	v_fma_f64 v[122:123], v[122:123], v[78:79], -v[80:81]
	scratch_load_b128 v[78:81], off, off offset:336
	s_wait_loadcnt_dscnt 0xc01
	v_mul_f64_e32 v[136:137], v[74:75], v[84:85]
	v_mul_f64_e32 v[84:85], v[76:77], v[84:85]
	v_add_f64_e32 v[4:5], v[4:5], v[134:135]
	v_add_f64_e32 v[8:9], v[132:133], v[8:9]
	s_wait_loadcnt_dscnt 0xb00
	v_mul_f64_e32 v[132:133], v[106:107], v[88:89]
	v_mul_f64_e32 v[88:89], v[108:109], v[88:89]
	v_fmac_f64_e32 v[136:137], v[76:77], v[82:83]
	v_fma_f64 v[134:135], v[74:75], v[82:83], -v[84:85]
	ds_load_b128 v[74:77], v2 offset:640
	ds_load_b128 v[82:85], v2 offset:656
	v_add_f64_e32 v[4:5], v[4:5], v[122:123]
	v_add_f64_e32 v[8:9], v[8:9], v[130:131]
	scratch_load_b128 v[122:125], off, off offset:352
	s_wait_loadcnt_dscnt 0xb01
	v_mul_f64_e32 v[130:131], v[74:75], v[92:93]
	v_mul_f64_e32 v[92:93], v[76:77], v[92:93]
	v_fmac_f64_e32 v[132:133], v[108:109], v[86:87]
	v_fma_f64 v[106:107], v[106:107], v[86:87], -v[88:89]
	scratch_load_b128 v[86:89], off, off offset:368
	v_add_f64_e32 v[4:5], v[4:5], v[134:135]
	v_add_f64_e32 v[8:9], v[8:9], v[136:137]
	s_wait_loadcnt_dscnt 0xb00
	v_mul_f64_e32 v[134:135], v[82:83], v[96:97]
	v_mul_f64_e32 v[96:97], v[84:85], v[96:97]
	v_fmac_f64_e32 v[130:131], v[76:77], v[90:91]
	v_fma_f64 v[136:137], v[74:75], v[90:91], -v[92:93]
	ds_load_b128 v[74:77], v2 offset:672
	ds_load_b128 v[90:93], v2 offset:688
	v_add_f64_e32 v[4:5], v[4:5], v[106:107]
	v_add_f64_e32 v[8:9], v[8:9], v[132:133]
	scratch_load_b128 v[106:109], off, off offset:384
	s_wait_loadcnt_dscnt 0xb01
	v_mul_f64_e32 v[132:133], v[74:75], v[100:101]
	v_mul_f64_e32 v[100:101], v[76:77], v[100:101]
	v_fmac_f64_e32 v[134:135], v[84:85], v[94:95]
	v_fma_f64 v[94:95], v[82:83], v[94:95], -v[96:97]
	scratch_load_b128 v[82:85], off, off offset:400
	v_add_f64_e32 v[4:5], v[4:5], v[136:137]
	v_add_f64_e32 v[8:9], v[8:9], v[130:131]
	s_wait_loadcnt_dscnt 0xb00
	v_mul_f64_e32 v[130:131], v[90:91], v[104:105]
	v_mul_f64_e32 v[104:105], v[92:93], v[104:105]
	v_fmac_f64_e32 v[132:133], v[76:77], v[98:99]
	v_fma_f64 v[136:137], v[74:75], v[98:99], -v[100:101]
	v_add_f64_e32 v[4:5], v[4:5], v[94:95]
	v_add_f64_e32 v[8:9], v[8:9], v[134:135]
	ds_load_b128 v[74:77], v2 offset:704
	ds_load_b128 v[94:97], v2 offset:720
	scratch_load_b128 v[98:101], off, off offset:416
	v_fmac_f64_e32 v[130:131], v[92:93], v[102:103]
	v_fma_f64 v[102:103], v[90:91], v[102:103], -v[104:105]
	scratch_load_b128 v[90:93], off, off offset:432
	s_wait_loadcnt_dscnt 0xc01
	v_mul_f64_e32 v[134:135], v[74:75], v[112:113]
	v_mul_f64_e32 v[112:113], v[76:77], v[112:113]
	v_add_f64_e32 v[4:5], v[4:5], v[136:137]
	v_add_f64_e32 v[8:9], v[8:9], v[132:133]
	s_wait_loadcnt_dscnt 0xa00
	v_mul_f64_e32 v[132:133], v[94:95], v[12:13]
	v_mul_f64_e32 v[12:13], v[96:97], v[12:13]
	v_fmac_f64_e32 v[134:135], v[76:77], v[110:111]
	v_fma_f64 v[110:111], v[74:75], v[110:111], -v[112:113]
	v_add_f64_e32 v[4:5], v[4:5], v[102:103]
	v_add_f64_e32 v[8:9], v[8:9], v[130:131]
	ds_load_b128 v[74:77], v2 offset:736
	ds_load_b128 v[102:105], v2 offset:752
	v_fmac_f64_e32 v[132:133], v[96:97], v[10:11]
	v_fma_f64 v[10:11], v[94:95], v[10:11], -v[12:13]
	s_wait_loadcnt_dscnt 0x901
	v_mul_f64_e32 v[112:113], v[74:75], v[128:129]
	v_mul_f64_e32 v[128:129], v[76:77], v[128:129]
	s_wait_loadcnt_dscnt 0x800
	v_mul_f64_e32 v[12:13], v[102:103], v[72:73]
	v_mul_f64_e32 v[94:95], v[104:105], v[72:73]
	v_add_f64_e32 v[4:5], v[4:5], v[110:111]
	v_add_f64_e32 v[8:9], v[8:9], v[134:135]
	v_fmac_f64_e32 v[112:113], v[76:77], v[126:127]
	v_fma_f64 v[76:77], v[74:75], v[126:127], -v[128:129]
	v_fmac_f64_e32 v[12:13], v[104:105], v[70:71]
	v_fma_f64 v[70:71], v[102:103], v[70:71], -v[94:95]
	v_add_f64_e32 v[4:5], v[4:5], v[10:11]
	v_add_f64_e32 v[96:97], v[8:9], v[132:133]
	ds_load_b128 v[8:11], v2 offset:768
	ds_load_b128 v[72:75], v2 offset:784
	s_wait_loadcnt_dscnt 0x701
	v_mul_f64_e32 v[110:111], v[8:9], v[116:117]
	v_mul_f64_e32 v[116:117], v[10:11], v[116:117]
	s_wait_loadcnt_dscnt 0x600
	v_mul_f64_e32 v[102:103], v[72:73], v[80:81]
	v_mul_f64_e32 v[80:81], v[74:75], v[80:81]
	v_add_f64_e32 v[4:5], v[4:5], v[76:77]
	v_add_f64_e32 v[76:77], v[96:97], v[112:113]
	v_fmac_f64_e32 v[110:111], v[10:11], v[114:115]
	v_fma_f64 v[104:105], v[8:9], v[114:115], -v[116:117]
	ds_load_b128 v[8:11], v2 offset:800
	ds_load_b128 v[94:97], v2 offset:816
	v_fmac_f64_e32 v[102:103], v[74:75], v[78:79]
	v_fma_f64 v[72:73], v[72:73], v[78:79], -v[80:81]
	v_add_f64_e32 v[4:5], v[4:5], v[70:71]
	v_add_f64_e32 v[12:13], v[76:77], v[12:13]
	s_wait_loadcnt_dscnt 0x501
	v_mul_f64_e32 v[76:77], v[8:9], v[124:125]
	v_mul_f64_e32 v[70:71], v[10:11], v[124:125]
	s_wait_loadcnt_dscnt 0x400
	v_mul_f64_e32 v[74:75], v[94:95], v[88:89]
	v_mul_f64_e32 v[78:79], v[96:97], v[88:89]
	v_add_f64_e32 v[4:5], v[4:5], v[104:105]
	v_add_f64_e32 v[12:13], v[12:13], v[110:111]
	v_fmac_f64_e32 v[76:77], v[10:11], v[122:123]
	v_fma_f64 v[80:81], v[8:9], v[122:123], -v[70:71]
	v_fmac_f64_e32 v[74:75], v[96:97], v[86:87]
	v_fma_f64 v[78:79], v[94:95], v[86:87], -v[78:79]
	v_add_f64_e32 v[4:5], v[4:5], v[72:73]
	v_add_f64_e32 v[12:13], v[12:13], v[102:103]
	ds_load_b128 v[8:11], v2 offset:832
	ds_load_b128 v[70:73], v2 offset:848
	s_wait_loadcnt_dscnt 0x301
	v_mul_f64_e32 v[88:89], v[8:9], v[108:109]
	v_mul_f64_e32 v[102:103], v[10:11], v[108:109]
	v_add_f64_e32 v[4:5], v[4:5], v[80:81]
	v_add_f64_e32 v[12:13], v[12:13], v[76:77]
	s_wait_loadcnt_dscnt 0x200
	v_mul_f64_e32 v[76:77], v[70:71], v[84:85]
	v_mul_f64_e32 v[80:81], v[72:73], v[84:85]
	v_fmac_f64_e32 v[88:89], v[10:11], v[106:107]
	v_fma_f64 v[84:85], v[8:9], v[106:107], -v[102:103]
	v_add_f64_e32 v[78:79], v[4:5], v[78:79]
	v_add_f64_e32 v[12:13], v[12:13], v[74:75]
	ds_load_b128 v[8:11], v2 offset:864
	ds_load_b128 v[2:5], v2 offset:880
	v_fmac_f64_e32 v[76:77], v[72:73], v[82:83]
	v_fma_f64 v[70:71], v[70:71], v[82:83], -v[80:81]
	s_wait_loadcnt_dscnt 0x101
	v_mul_f64_e32 v[74:75], v[8:9], v[100:101]
	v_mul_f64_e32 v[86:87], v[10:11], v[100:101]
	s_wait_loadcnt_dscnt 0x0
	v_mul_f64_e32 v[80:81], v[4:5], v[92:93]
	v_add_f64_e32 v[72:73], v[78:79], v[84:85]
	v_add_f64_e32 v[12:13], v[12:13], v[88:89]
	v_mul_f64_e32 v[78:79], v[2:3], v[92:93]
	v_fmac_f64_e32 v[74:75], v[10:11], v[98:99]
	v_fma_f64 v[8:9], v[8:9], v[98:99], -v[86:87]
	v_fma_f64 v[2:3], v[2:3], v[90:91], -v[80:81]
	v_add_f64_e32 v[10:11], v[72:73], v[70:71]
	v_add_f64_e32 v[12:13], v[12:13], v[76:77]
	v_fmac_f64_e32 v[78:79], v[4:5], v[90:91]
	s_delay_alu instid0(VALU_DEP_3) | instskip(NEXT) | instid1(VALU_DEP_3)
	v_add_f64_e32 v[4:5], v[10:11], v[8:9]
	v_add_f64_e32 v[8:9], v[12:13], v[74:75]
	s_delay_alu instid0(VALU_DEP_2) | instskip(NEXT) | instid1(VALU_DEP_2)
	v_add_f64_e32 v[2:3], v[4:5], v[2:3]
	v_add_f64_e32 v[4:5], v[8:9], v[78:79]
	s_delay_alu instid0(VALU_DEP_2) | instskip(NEXT) | instid1(VALU_DEP_2)
	v_add_f64_e64 v[2:3], v[118:119], -v[2:3]
	v_add_f64_e64 v[4:5], v[120:121], -v[4:5]
	scratch_store_b128 off, v[2:5], off offset:80
	s_wait_xcnt 0x0
	v_cmpx_lt_u32_e32 4, v1
	s_cbranch_execz .LBB91_173
; %bb.172:
	scratch_load_b128 v[2:5], off, s12
	v_mov_b32_e32 v8, 0
	s_delay_alu instid0(VALU_DEP_1)
	v_dual_mov_b32 v9, v8 :: v_dual_mov_b32 v10, v8
	v_mov_b32_e32 v11, v8
	scratch_store_b128 off, v[8:11], off offset:64
	s_wait_loadcnt 0x0
	ds_store_b128 v6, v[2:5]
.LBB91_173:
	s_wait_xcnt 0x0
	s_or_b32 exec_lo, exec_lo, s2
	s_wait_storecnt_dscnt 0x0
	s_barrier_signal -1
	s_barrier_wait -1
	s_clause 0x9
	scratch_load_b128 v[8:11], off, off offset:80
	scratch_load_b128 v[70:73], off, off offset:96
	;; [unrolled: 1-line block ×10, first 2 shown]
	v_mov_b32_e32 v2, 0
	s_mov_b32 s2, exec_lo
	ds_load_b128 v[106:109], v2 offset:528
	s_clause 0x2
	scratch_load_b128 v[110:113], off, off offset:240
	scratch_load_b128 v[114:117], off, off offset:64
	;; [unrolled: 1-line block ×3, first 2 shown]
	s_wait_loadcnt_dscnt 0xc00
	v_mul_f64_e32 v[4:5], v[108:109], v[10:11]
	v_mul_f64_e32 v[130:131], v[106:107], v[10:11]
	ds_load_b128 v[118:121], v2 offset:544
	scratch_load_b128 v[10:13], off, off offset:256
	ds_load_b128 v[126:129], v2 offset:576
	v_fma_f64 v[4:5], v[106:107], v[8:9], -v[4:5]
	v_fmac_f64_e32 v[130:131], v[108:109], v[8:9]
	ds_load_b128 v[106:109], v2 offset:560
	s_wait_loadcnt_dscnt 0xc02
	v_mul_f64_e32 v[132:133], v[118:119], v[72:73]
	v_mul_f64_e32 v[72:73], v[120:121], v[72:73]
	s_wait_loadcnt_dscnt 0xb00
	v_mul_f64_e32 v[8:9], v[106:107], v[76:77]
	v_mul_f64_e32 v[76:77], v[108:109], v[76:77]
	v_add_f64_e32 v[4:5], 0, v[4:5]
	v_fmac_f64_e32 v[132:133], v[120:121], v[70:71]
	v_fma_f64 v[118:119], v[118:119], v[70:71], -v[72:73]
	v_add_f64_e32 v[120:121], 0, v[130:131]
	scratch_load_b128 v[70:73], off, off offset:288
	v_fmac_f64_e32 v[8:9], v[108:109], v[74:75]
	v_fma_f64 v[134:135], v[106:107], v[74:75], -v[76:77]
	ds_load_b128 v[74:77], v2 offset:592
	s_wait_loadcnt 0xb
	v_mul_f64_e32 v[130:131], v[126:127], v[80:81]
	v_mul_f64_e32 v[80:81], v[128:129], v[80:81]
	scratch_load_b128 v[106:109], off, off offset:304
	v_add_f64_e32 v[4:5], v[4:5], v[118:119]
	v_add_f64_e32 v[132:133], v[120:121], v[132:133]
	ds_load_b128 v[118:121], v2 offset:608
	s_wait_loadcnt_dscnt 0xb01
	v_mul_f64_e32 v[136:137], v[74:75], v[84:85]
	v_mul_f64_e32 v[84:85], v[76:77], v[84:85]
	v_fmac_f64_e32 v[130:131], v[128:129], v[78:79]
	v_fma_f64 v[126:127], v[126:127], v[78:79], -v[80:81]
	scratch_load_b128 v[78:81], off, off offset:320
	v_add_f64_e32 v[4:5], v[4:5], v[134:135]
	v_add_f64_e32 v[8:9], v[132:133], v[8:9]
	v_fmac_f64_e32 v[136:137], v[76:77], v[82:83]
	v_fma_f64 v[134:135], v[74:75], v[82:83], -v[84:85]
	ds_load_b128 v[74:77], v2 offset:624
	s_wait_loadcnt_dscnt 0xb01
	v_mul_f64_e32 v[132:133], v[118:119], v[88:89]
	v_mul_f64_e32 v[88:89], v[120:121], v[88:89]
	scratch_load_b128 v[82:85], off, off offset:336
	v_add_f64_e32 v[4:5], v[4:5], v[126:127]
	v_add_f64_e32 v[8:9], v[8:9], v[130:131]
	s_wait_loadcnt_dscnt 0xb00
	v_mul_f64_e32 v[130:131], v[74:75], v[92:93]
	v_mul_f64_e32 v[92:93], v[76:77], v[92:93]
	ds_load_b128 v[126:129], v2 offset:640
	v_fmac_f64_e32 v[132:133], v[120:121], v[86:87]
	v_fma_f64 v[118:119], v[118:119], v[86:87], -v[88:89]
	scratch_load_b128 v[86:89], off, off offset:352
	v_add_f64_e32 v[4:5], v[4:5], v[134:135]
	v_add_f64_e32 v[8:9], v[8:9], v[136:137]
	v_fmac_f64_e32 v[130:131], v[76:77], v[90:91]
	v_fma_f64 v[136:137], v[74:75], v[90:91], -v[92:93]
	ds_load_b128 v[74:77], v2 offset:656
	s_wait_loadcnt_dscnt 0xb01
	v_mul_f64_e32 v[134:135], v[126:127], v[96:97]
	v_mul_f64_e32 v[96:97], v[128:129], v[96:97]
	scratch_load_b128 v[90:93], off, off offset:368
	v_add_f64_e32 v[4:5], v[4:5], v[118:119]
	v_add_f64_e32 v[8:9], v[8:9], v[132:133]
	s_wait_loadcnt_dscnt 0xb00
	v_mul_f64_e32 v[132:133], v[74:75], v[100:101]
	v_mul_f64_e32 v[100:101], v[76:77], v[100:101]
	ds_load_b128 v[118:121], v2 offset:672
	;; [unrolled: 18-line block ×3, first 2 shown]
	v_fmac_f64_e32 v[130:131], v[120:121], v[102:103]
	v_fma_f64 v[118:119], v[118:119], v[102:103], -v[104:105]
	scratch_load_b128 v[102:105], off, off offset:416
	v_add_f64_e32 v[4:5], v[4:5], v[136:137]
	v_add_f64_e32 v[8:9], v[8:9], v[132:133]
	v_fmac_f64_e32 v[134:135], v[76:77], v[110:111]
	v_fma_f64 v[136:137], v[74:75], v[110:111], -v[112:113]
	ds_load_b128 v[74:77], v2 offset:720
	s_wait_loadcnt_dscnt 0x901
	v_mul_f64_e32 v[132:133], v[126:127], v[12:13]
	v_mul_f64_e32 v[12:13], v[128:129], v[12:13]
	scratch_load_b128 v[110:113], off, off offset:432
	v_add_f64_e32 v[4:5], v[4:5], v[118:119]
	v_add_f64_e32 v[8:9], v[8:9], v[130:131]
	s_wait_dscnt 0x0
	v_mul_f64_e32 v[130:131], v[74:75], v[124:125]
	v_mul_f64_e32 v[124:125], v[76:77], v[124:125]
	ds_load_b128 v[118:121], v2 offset:736
	v_fmac_f64_e32 v[132:133], v[128:129], v[10:11]
	v_fma_f64 v[10:11], v[126:127], v[10:11], -v[12:13]
	v_add_f64_e32 v[4:5], v[4:5], v[136:137]
	v_add_f64_e32 v[8:9], v[8:9], v[134:135]
	s_wait_loadcnt_dscnt 0x900
	v_mul_f64_e32 v[12:13], v[118:119], v[72:73]
	v_mul_f64_e32 v[126:127], v[120:121], v[72:73]
	v_fmac_f64_e32 v[130:131], v[76:77], v[122:123]
	v_fma_f64 v[76:77], v[74:75], v[122:123], -v[124:125]
	v_add_f64_e32 v[4:5], v[4:5], v[10:11]
	v_add_f64_e32 v[122:123], v[8:9], v[132:133]
	ds_load_b128 v[8:11], v2 offset:752
	ds_load_b128 v[72:75], v2 offset:768
	v_fmac_f64_e32 v[12:13], v[120:121], v[70:71]
	v_fma_f64 v[70:71], v[118:119], v[70:71], -v[126:127]
	s_wait_loadcnt_dscnt 0x801
	v_mul_f64_e32 v[124:125], v[8:9], v[108:109]
	v_mul_f64_e32 v[108:109], v[10:11], v[108:109]
	s_wait_loadcnt_dscnt 0x700
	v_mul_f64_e32 v[118:119], v[72:73], v[80:81]
	v_mul_f64_e32 v[80:81], v[74:75], v[80:81]
	v_add_f64_e32 v[4:5], v[4:5], v[76:77]
	v_add_f64_e32 v[76:77], v[122:123], v[130:131]
	v_fmac_f64_e32 v[124:125], v[10:11], v[106:107]
	v_fma_f64 v[120:121], v[8:9], v[106:107], -v[108:109]
	ds_load_b128 v[8:11], v2 offset:784
	ds_load_b128 v[106:109], v2 offset:800
	v_fmac_f64_e32 v[118:119], v[74:75], v[78:79]
	v_fma_f64 v[72:73], v[72:73], v[78:79], -v[80:81]
	v_add_f64_e32 v[4:5], v[4:5], v[70:71]
	v_add_f64_e32 v[12:13], v[76:77], v[12:13]
	s_wait_loadcnt_dscnt 0x601
	v_mul_f64_e32 v[76:77], v[8:9], v[84:85]
	v_mul_f64_e32 v[70:71], v[10:11], v[84:85]
	s_wait_loadcnt_dscnt 0x500
	v_mul_f64_e32 v[74:75], v[106:107], v[88:89]
	v_mul_f64_e32 v[78:79], v[108:109], v[88:89]
	v_add_f64_e32 v[4:5], v[4:5], v[120:121]
	v_add_f64_e32 v[12:13], v[12:13], v[124:125]
	v_fmac_f64_e32 v[76:77], v[10:11], v[82:83]
	v_fma_f64 v[80:81], v[8:9], v[82:83], -v[70:71]
	v_fmac_f64_e32 v[74:75], v[108:109], v[86:87]
	v_fma_f64 v[78:79], v[106:107], v[86:87], -v[78:79]
	v_add_f64_e32 v[4:5], v[4:5], v[72:73]
	v_add_f64_e32 v[12:13], v[12:13], v[118:119]
	ds_load_b128 v[8:11], v2 offset:816
	ds_load_b128 v[70:73], v2 offset:832
	s_wait_loadcnt_dscnt 0x401
	v_mul_f64_e32 v[82:83], v[8:9], v[92:93]
	v_mul_f64_e32 v[84:85], v[10:11], v[92:93]
	s_wait_loadcnt_dscnt 0x300
	v_mul_f64_e32 v[86:87], v[72:73], v[96:97]
	v_add_f64_e32 v[4:5], v[4:5], v[80:81]
	v_add_f64_e32 v[12:13], v[12:13], v[76:77]
	v_mul_f64_e32 v[80:81], v[70:71], v[96:97]
	v_fmac_f64_e32 v[82:83], v[10:11], v[90:91]
	v_fma_f64 v[84:85], v[8:9], v[90:91], -v[84:85]
	v_fma_f64 v[70:71], v[70:71], v[94:95], -v[86:87]
	v_add_f64_e32 v[4:5], v[4:5], v[78:79]
	v_add_f64_e32 v[12:13], v[12:13], v[74:75]
	ds_load_b128 v[8:11], v2 offset:848
	ds_load_b128 v[74:77], v2 offset:864
	v_fmac_f64_e32 v[80:81], v[72:73], v[94:95]
	s_wait_loadcnt_dscnt 0x201
	v_mul_f64_e32 v[78:79], v[8:9], v[100:101]
	v_mul_f64_e32 v[88:89], v[10:11], v[100:101]
	s_wait_loadcnt_dscnt 0x100
	v_mul_f64_e32 v[72:73], v[74:75], v[104:105]
	v_add_f64_e32 v[4:5], v[4:5], v[84:85]
	v_add_f64_e32 v[12:13], v[12:13], v[82:83]
	v_mul_f64_e32 v[82:83], v[76:77], v[104:105]
	v_fmac_f64_e32 v[78:79], v[10:11], v[98:99]
	v_fma_f64 v[84:85], v[8:9], v[98:99], -v[88:89]
	ds_load_b128 v[8:11], v2 offset:880
	v_fmac_f64_e32 v[72:73], v[76:77], v[102:103]
	v_add_f64_e32 v[4:5], v[4:5], v[70:71]
	v_add_f64_e32 v[12:13], v[12:13], v[80:81]
	v_fma_f64 v[74:75], v[74:75], v[102:103], -v[82:83]
	s_wait_loadcnt_dscnt 0x0
	v_mul_f64_e32 v[70:71], v[8:9], v[112:113]
	v_mul_f64_e32 v[80:81], v[10:11], v[112:113]
	v_add_f64_e32 v[4:5], v[4:5], v[84:85]
	v_add_f64_e32 v[12:13], v[12:13], v[78:79]
	s_delay_alu instid0(VALU_DEP_4) | instskip(NEXT) | instid1(VALU_DEP_4)
	v_fmac_f64_e32 v[70:71], v[10:11], v[110:111]
	v_fma_f64 v[8:9], v[8:9], v[110:111], -v[80:81]
	s_delay_alu instid0(VALU_DEP_4) | instskip(NEXT) | instid1(VALU_DEP_4)
	v_add_f64_e32 v[4:5], v[4:5], v[74:75]
	v_add_f64_e32 v[10:11], v[12:13], v[72:73]
	s_delay_alu instid0(VALU_DEP_2) | instskip(NEXT) | instid1(VALU_DEP_2)
	v_add_f64_e32 v[4:5], v[4:5], v[8:9]
	v_add_f64_e32 v[10:11], v[10:11], v[70:71]
	s_delay_alu instid0(VALU_DEP_2) | instskip(NEXT) | instid1(VALU_DEP_2)
	v_add_f64_e64 v[8:9], v[114:115], -v[4:5]
	v_add_f64_e64 v[10:11], v[116:117], -v[10:11]
	scratch_store_b128 off, v[8:11], off offset:64
	s_wait_xcnt 0x0
	v_cmpx_lt_u32_e32 3, v1
	s_cbranch_execz .LBB91_175
; %bb.174:
	scratch_load_b128 v[8:11], off, s14
	v_dual_mov_b32 v3, v2 :: v_dual_mov_b32 v4, v2
	v_mov_b32_e32 v5, v2
	scratch_store_b128 off, v[2:5], off offset:48
	s_wait_loadcnt 0x0
	ds_store_b128 v6, v[8:11]
.LBB91_175:
	s_wait_xcnt 0x0
	s_or_b32 exec_lo, exec_lo, s2
	s_wait_storecnt_dscnt 0x0
	s_barrier_signal -1
	s_barrier_wait -1
	s_clause 0x9
	scratch_load_b128 v[8:11], off, off offset:64
	scratch_load_b128 v[70:73], off, off offset:80
	;; [unrolled: 1-line block ×10, first 2 shown]
	ds_load_b128 v[106:109], v2 offset:512
	ds_load_b128 v[114:117], v2 offset:528
	s_clause 0x1
	scratch_load_b128 v[110:113], off, off offset:224
	scratch_load_b128 v[118:121], off, off offset:48
	s_mov_b32 s2, exec_lo
	s_wait_loadcnt_dscnt 0xb01
	v_mul_f64_e32 v[4:5], v[108:109], v[10:11]
	v_mul_f64_e32 v[130:131], v[106:107], v[10:11]
	scratch_load_b128 v[10:13], off, off offset:240
	s_wait_loadcnt_dscnt 0xb00
	v_mul_f64_e32 v[132:133], v[114:115], v[72:73]
	v_mul_f64_e32 v[72:73], v[116:117], v[72:73]
	v_fma_f64 v[4:5], v[106:107], v[8:9], -v[4:5]
	v_fmac_f64_e32 v[130:131], v[108:109], v[8:9]
	ds_load_b128 v[106:109], v2 offset:544
	ds_load_b128 v[122:125], v2 offset:560
	scratch_load_b128 v[126:129], off, off offset:256
	v_fmac_f64_e32 v[132:133], v[116:117], v[70:71]
	v_fma_f64 v[114:115], v[114:115], v[70:71], -v[72:73]
	scratch_load_b128 v[70:73], off, off offset:272
	s_wait_loadcnt_dscnt 0xc01
	v_mul_f64_e32 v[8:9], v[106:107], v[76:77]
	v_mul_f64_e32 v[76:77], v[108:109], v[76:77]
	v_add_f64_e32 v[4:5], 0, v[4:5]
	v_add_f64_e32 v[116:117], 0, v[130:131]
	s_wait_loadcnt_dscnt 0xb00
	v_mul_f64_e32 v[130:131], v[122:123], v[80:81]
	v_mul_f64_e32 v[80:81], v[124:125], v[80:81]
	v_fmac_f64_e32 v[8:9], v[108:109], v[74:75]
	v_fma_f64 v[134:135], v[106:107], v[74:75], -v[76:77]
	ds_load_b128 v[74:77], v2 offset:576
	ds_load_b128 v[106:109], v2 offset:592
	v_add_f64_e32 v[4:5], v[4:5], v[114:115]
	v_add_f64_e32 v[132:133], v[116:117], v[132:133]
	scratch_load_b128 v[114:117], off, off offset:288
	v_fmac_f64_e32 v[130:131], v[124:125], v[78:79]
	v_fma_f64 v[122:123], v[122:123], v[78:79], -v[80:81]
	scratch_load_b128 v[78:81], off, off offset:304
	s_wait_loadcnt_dscnt 0xc01
	v_mul_f64_e32 v[136:137], v[74:75], v[84:85]
	v_mul_f64_e32 v[84:85], v[76:77], v[84:85]
	v_add_f64_e32 v[4:5], v[4:5], v[134:135]
	v_add_f64_e32 v[8:9], v[132:133], v[8:9]
	s_wait_loadcnt_dscnt 0xb00
	v_mul_f64_e32 v[132:133], v[106:107], v[88:89]
	v_mul_f64_e32 v[88:89], v[108:109], v[88:89]
	v_fmac_f64_e32 v[136:137], v[76:77], v[82:83]
	v_fma_f64 v[134:135], v[74:75], v[82:83], -v[84:85]
	ds_load_b128 v[74:77], v2 offset:608
	ds_load_b128 v[82:85], v2 offset:624
	v_add_f64_e32 v[4:5], v[4:5], v[122:123]
	v_add_f64_e32 v[8:9], v[8:9], v[130:131]
	scratch_load_b128 v[122:125], off, off offset:320
	s_wait_loadcnt_dscnt 0xb01
	v_mul_f64_e32 v[130:131], v[74:75], v[92:93]
	v_mul_f64_e32 v[92:93], v[76:77], v[92:93]
	v_fmac_f64_e32 v[132:133], v[108:109], v[86:87]
	v_fma_f64 v[106:107], v[106:107], v[86:87], -v[88:89]
	scratch_load_b128 v[86:89], off, off offset:336
	v_add_f64_e32 v[4:5], v[4:5], v[134:135]
	v_add_f64_e32 v[8:9], v[8:9], v[136:137]
	s_wait_loadcnt_dscnt 0xb00
	v_mul_f64_e32 v[134:135], v[82:83], v[96:97]
	v_mul_f64_e32 v[96:97], v[84:85], v[96:97]
	v_fmac_f64_e32 v[130:131], v[76:77], v[90:91]
	v_fma_f64 v[136:137], v[74:75], v[90:91], -v[92:93]
	ds_load_b128 v[74:77], v2 offset:640
	ds_load_b128 v[90:93], v2 offset:656
	v_add_f64_e32 v[4:5], v[4:5], v[106:107]
	v_add_f64_e32 v[8:9], v[8:9], v[132:133]
	scratch_load_b128 v[106:109], off, off offset:352
	s_wait_loadcnt_dscnt 0xb01
	v_mul_f64_e32 v[132:133], v[74:75], v[100:101]
	v_mul_f64_e32 v[100:101], v[76:77], v[100:101]
	v_fmac_f64_e32 v[134:135], v[84:85], v[94:95]
	v_fma_f64 v[94:95], v[82:83], v[94:95], -v[96:97]
	scratch_load_b128 v[82:85], off, off offset:368
	v_add_f64_e32 v[4:5], v[4:5], v[136:137]
	v_add_f64_e32 v[8:9], v[8:9], v[130:131]
	s_wait_loadcnt_dscnt 0xb00
	v_mul_f64_e32 v[130:131], v[90:91], v[104:105]
	v_mul_f64_e32 v[104:105], v[92:93], v[104:105]
	v_fmac_f64_e32 v[132:133], v[76:77], v[98:99]
	v_fma_f64 v[136:137], v[74:75], v[98:99], -v[100:101]
	v_add_f64_e32 v[4:5], v[4:5], v[94:95]
	v_add_f64_e32 v[8:9], v[8:9], v[134:135]
	ds_load_b128 v[74:77], v2 offset:672
	ds_load_b128 v[94:97], v2 offset:688
	scratch_load_b128 v[98:101], off, off offset:384
	v_fmac_f64_e32 v[130:131], v[92:93], v[102:103]
	v_fma_f64 v[102:103], v[90:91], v[102:103], -v[104:105]
	scratch_load_b128 v[90:93], off, off offset:400
	s_wait_loadcnt_dscnt 0xc01
	v_mul_f64_e32 v[134:135], v[74:75], v[112:113]
	v_mul_f64_e32 v[112:113], v[76:77], v[112:113]
	v_add_f64_e32 v[4:5], v[4:5], v[136:137]
	v_add_f64_e32 v[8:9], v[8:9], v[132:133]
	s_wait_loadcnt_dscnt 0xa00
	v_mul_f64_e32 v[132:133], v[94:95], v[12:13]
	v_mul_f64_e32 v[12:13], v[96:97], v[12:13]
	v_fmac_f64_e32 v[134:135], v[76:77], v[110:111]
	v_fma_f64 v[136:137], v[74:75], v[110:111], -v[112:113]
	v_add_f64_e32 v[4:5], v[4:5], v[102:103]
	v_add_f64_e32 v[8:9], v[8:9], v[130:131]
	ds_load_b128 v[74:77], v2 offset:704
	ds_load_b128 v[102:105], v2 offset:720
	scratch_load_b128 v[110:113], off, off offset:416
	v_fmac_f64_e32 v[132:133], v[96:97], v[10:11]
	v_fma_f64 v[12:13], v[94:95], v[10:11], -v[12:13]
	s_wait_loadcnt_dscnt 0xa01
	v_mul_f64_e32 v[130:131], v[74:75], v[128:129]
	v_mul_f64_e32 v[128:129], v[76:77], v[128:129]
	v_add_f64_e32 v[4:5], v[4:5], v[136:137]
	v_add_f64_e32 v[94:95], v[8:9], v[134:135]
	scratch_load_b128 v[8:11], off, off offset:432
	s_wait_loadcnt_dscnt 0xa00
	v_mul_f64_e32 v[134:135], v[102:103], v[72:73]
	v_mul_f64_e32 v[136:137], v[104:105], v[72:73]
	v_fmac_f64_e32 v[130:131], v[76:77], v[126:127]
	v_fma_f64 v[76:77], v[74:75], v[126:127], -v[128:129]
	v_add_f64_e32 v[4:5], v[4:5], v[12:13]
	v_add_f64_e32 v[12:13], v[94:95], v[132:133]
	ds_load_b128 v[72:75], v2 offset:736
	ds_load_b128 v[94:97], v2 offset:752
	v_fmac_f64_e32 v[134:135], v[104:105], v[70:71]
	v_fma_f64 v[70:71], v[102:103], v[70:71], -v[136:137]
	s_wait_loadcnt_dscnt 0x901
	v_mul_f64_e32 v[126:127], v[72:73], v[116:117]
	v_mul_f64_e32 v[116:117], v[74:75], v[116:117]
	s_wait_loadcnt_dscnt 0x800
	v_mul_f64_e32 v[102:103], v[94:95], v[80:81]
	v_mul_f64_e32 v[80:81], v[96:97], v[80:81]
	v_add_f64_e32 v[4:5], v[4:5], v[76:77]
	v_add_f64_e32 v[12:13], v[12:13], v[130:131]
	v_fmac_f64_e32 v[126:127], v[74:75], v[114:115]
	v_fma_f64 v[104:105], v[72:73], v[114:115], -v[116:117]
	v_fmac_f64_e32 v[102:103], v[96:97], v[78:79]
	v_fma_f64 v[78:79], v[94:95], v[78:79], -v[80:81]
	v_add_f64_e32 v[4:5], v[4:5], v[70:71]
	v_add_f64_e32 v[12:13], v[12:13], v[134:135]
	ds_load_b128 v[70:73], v2 offset:768
	ds_load_b128 v[74:77], v2 offset:784
	s_wait_loadcnt_dscnt 0x701
	v_mul_f64_e32 v[114:115], v[70:71], v[124:125]
	v_mul_f64_e32 v[116:117], v[72:73], v[124:125]
	s_wait_loadcnt_dscnt 0x600
	v_mul_f64_e32 v[94:95], v[74:75], v[88:89]
	v_mul_f64_e32 v[88:89], v[76:77], v[88:89]
	v_add_f64_e32 v[4:5], v[4:5], v[104:105]
	v_add_f64_e32 v[12:13], v[12:13], v[126:127]
	v_fmac_f64_e32 v[114:115], v[72:73], v[122:123]
	v_fma_f64 v[96:97], v[70:71], v[122:123], -v[116:117]
	v_fmac_f64_e32 v[94:95], v[76:77], v[86:87]
	v_fma_f64 v[74:75], v[74:75], v[86:87], -v[88:89]
	v_add_f64_e32 v[4:5], v[4:5], v[78:79]
	v_add_f64_e32 v[12:13], v[12:13], v[102:103]
	ds_load_b128 v[70:73], v2 offset:800
	ds_load_b128 v[78:81], v2 offset:816
	;; [unrolled: 16-line block ×4, first 2 shown]
	s_wait_loadcnt_dscnt 0x101
	v_mul_f64_e32 v[86:87], v[70:71], v[112:113]
	v_mul_f64_e32 v[88:89], v[72:73], v[112:113]
	v_add_f64_e32 v[76:77], v[78:79], v[84:85]
	v_add_f64_e32 v[12:13], v[12:13], v[94:95]
	s_wait_loadcnt_dscnt 0x0
	v_mul_f64_e32 v[78:79], v[2:3], v[10:11]
	v_mul_f64_e32 v[10:11], v[4:5], v[10:11]
	v_fmac_f64_e32 v[86:87], v[72:73], v[110:111]
	v_fma_f64 v[70:71], v[70:71], v[110:111], -v[88:89]
	v_add_f64_e32 v[72:73], v[76:77], v[74:75]
	v_add_f64_e32 v[12:13], v[12:13], v[80:81]
	v_fmac_f64_e32 v[78:79], v[4:5], v[8:9]
	v_fma_f64 v[2:3], v[2:3], v[8:9], -v[10:11]
	s_delay_alu instid0(VALU_DEP_4) | instskip(NEXT) | instid1(VALU_DEP_4)
	v_add_f64_e32 v[4:5], v[72:73], v[70:71]
	v_add_f64_e32 v[8:9], v[12:13], v[86:87]
	s_delay_alu instid0(VALU_DEP_2) | instskip(NEXT) | instid1(VALU_DEP_2)
	v_add_f64_e32 v[2:3], v[4:5], v[2:3]
	v_add_f64_e32 v[4:5], v[8:9], v[78:79]
	s_delay_alu instid0(VALU_DEP_2) | instskip(NEXT) | instid1(VALU_DEP_2)
	v_add_f64_e64 v[2:3], v[118:119], -v[2:3]
	v_add_f64_e64 v[4:5], v[120:121], -v[4:5]
	scratch_store_b128 off, v[2:5], off offset:48
	s_wait_xcnt 0x0
	v_cmpx_lt_u32_e32 2, v1
	s_cbranch_execz .LBB91_177
; %bb.176:
	scratch_load_b128 v[2:5], off, s16
	v_mov_b32_e32 v8, 0
	s_delay_alu instid0(VALU_DEP_1)
	v_dual_mov_b32 v9, v8 :: v_dual_mov_b32 v10, v8
	v_mov_b32_e32 v11, v8
	scratch_store_b128 off, v[8:11], off offset:32
	s_wait_loadcnt 0x0
	ds_store_b128 v6, v[2:5]
.LBB91_177:
	s_wait_xcnt 0x0
	s_or_b32 exec_lo, exec_lo, s2
	s_wait_storecnt_dscnt 0x0
	s_barrier_signal -1
	s_barrier_wait -1
	s_clause 0x9
	scratch_load_b128 v[8:11], off, off offset:48
	scratch_load_b128 v[70:73], off, off offset:64
	;; [unrolled: 1-line block ×10, first 2 shown]
	v_mov_b32_e32 v2, 0
	s_mov_b32 s2, exec_lo
	v_dual_ashrrev_i32 v21, 31, v20 :: v_dual_ashrrev_i32 v19, 31, v18
	v_ashrrev_i32_e32 v23, 31, v22
	ds_load_b128 v[106:109], v2 offset:496
	s_clause 0x2
	scratch_load_b128 v[110:113], off, off offset:208
	scratch_load_b128 v[114:117], off, off offset:32
	;; [unrolled: 1-line block ×3, first 2 shown]
	v_ashrrev_i32_e32 v27, 31, v26
	v_ashrrev_i32_e32 v31, 31, v30
	v_dual_ashrrev_i32 v35, 31, v34 :: v_dual_ashrrev_i32 v25, 31, v24
	v_dual_ashrrev_i32 v29, 31, v28 :: v_dual_ashrrev_i32 v39, 31, v38
	;; [unrolled: 1-line block ×4, first 2 shown]
	v_ashrrev_i32_e32 v51, 31, v50
	v_ashrrev_i32_e32 v55, 31, v54
	v_dual_ashrrev_i32 v59, 31, v58 :: v_dual_ashrrev_i32 v41, 31, v40
	v_dual_ashrrev_i32 v45, 31, v44 :: v_dual_ashrrev_i32 v63, 31, v62
	;; [unrolled: 1-line block ×3, first 2 shown]
	v_ashrrev_i32_e32 v53, 31, v52
	v_ashrrev_i32_e32 v57, 31, v56
	;; [unrolled: 1-line block ×4, first 2 shown]
	s_wait_loadcnt_dscnt 0xc00
	v_dual_mul_f64 v[4:5], v[108:109], v[10:11] :: v_dual_ashrrev_i32 v69, 31, v68
	v_mul_f64_e32 v[130:131], v[106:107], v[10:11]
	ds_load_b128 v[118:121], v2 offset:512
	scratch_load_b128 v[10:13], off, off offset:224
	ds_load_b128 v[126:129], v2 offset:544
	v_fma_f64 v[4:5], v[106:107], v[8:9], -v[4:5]
	v_fmac_f64_e32 v[130:131], v[108:109], v[8:9]
	ds_load_b128 v[106:109], v2 offset:528
	s_wait_loadcnt_dscnt 0xc02
	v_mul_f64_e32 v[132:133], v[118:119], v[72:73]
	v_mul_f64_e32 v[72:73], v[120:121], v[72:73]
	s_wait_loadcnt_dscnt 0xb00
	v_mul_f64_e32 v[8:9], v[106:107], v[76:77]
	v_mul_f64_e32 v[76:77], v[108:109], v[76:77]
	v_add_f64_e32 v[4:5], 0, v[4:5]
	v_fmac_f64_e32 v[132:133], v[120:121], v[70:71]
	v_fma_f64 v[118:119], v[118:119], v[70:71], -v[72:73]
	v_add_f64_e32 v[120:121], 0, v[130:131]
	scratch_load_b128 v[70:73], off, off offset:256
	v_fmac_f64_e32 v[8:9], v[108:109], v[74:75]
	v_fma_f64 v[134:135], v[106:107], v[74:75], -v[76:77]
	ds_load_b128 v[74:77], v2 offset:560
	s_wait_loadcnt 0xb
	v_mul_f64_e32 v[130:131], v[126:127], v[80:81]
	v_mul_f64_e32 v[80:81], v[128:129], v[80:81]
	scratch_load_b128 v[106:109], off, off offset:272
	v_add_f64_e32 v[4:5], v[4:5], v[118:119]
	v_add_f64_e32 v[132:133], v[120:121], v[132:133]
	ds_load_b128 v[118:121], v2 offset:576
	s_wait_loadcnt_dscnt 0xb01
	v_mul_f64_e32 v[136:137], v[74:75], v[84:85]
	v_mul_f64_e32 v[84:85], v[76:77], v[84:85]
	v_fmac_f64_e32 v[130:131], v[128:129], v[78:79]
	v_fma_f64 v[126:127], v[126:127], v[78:79], -v[80:81]
	scratch_load_b128 v[78:81], off, off offset:288
	v_add_f64_e32 v[4:5], v[4:5], v[134:135]
	v_add_f64_e32 v[8:9], v[132:133], v[8:9]
	v_fmac_f64_e32 v[136:137], v[76:77], v[82:83]
	v_fma_f64 v[134:135], v[74:75], v[82:83], -v[84:85]
	ds_load_b128 v[74:77], v2 offset:592
	s_wait_loadcnt_dscnt 0xb01
	v_mul_f64_e32 v[132:133], v[118:119], v[88:89]
	v_mul_f64_e32 v[88:89], v[120:121], v[88:89]
	scratch_load_b128 v[82:85], off, off offset:304
	v_add_f64_e32 v[4:5], v[4:5], v[126:127]
	v_add_f64_e32 v[8:9], v[8:9], v[130:131]
	s_wait_loadcnt_dscnt 0xb00
	v_mul_f64_e32 v[130:131], v[74:75], v[92:93]
	v_mul_f64_e32 v[92:93], v[76:77], v[92:93]
	ds_load_b128 v[126:129], v2 offset:608
	v_fmac_f64_e32 v[132:133], v[120:121], v[86:87]
	v_fma_f64 v[118:119], v[118:119], v[86:87], -v[88:89]
	scratch_load_b128 v[86:89], off, off offset:320
	v_add_f64_e32 v[4:5], v[4:5], v[134:135]
	v_add_f64_e32 v[8:9], v[8:9], v[136:137]
	v_fmac_f64_e32 v[130:131], v[76:77], v[90:91]
	v_fma_f64 v[136:137], v[74:75], v[90:91], -v[92:93]
	ds_load_b128 v[74:77], v2 offset:624
	s_wait_loadcnt_dscnt 0xb01
	v_mul_f64_e32 v[134:135], v[126:127], v[96:97]
	v_mul_f64_e32 v[96:97], v[128:129], v[96:97]
	scratch_load_b128 v[90:93], off, off offset:336
	v_add_f64_e32 v[4:5], v[4:5], v[118:119]
	v_add_f64_e32 v[8:9], v[8:9], v[132:133]
	s_wait_loadcnt_dscnt 0xb00
	v_mul_f64_e32 v[132:133], v[74:75], v[100:101]
	v_mul_f64_e32 v[100:101], v[76:77], v[100:101]
	ds_load_b128 v[118:121], v2 offset:640
	;; [unrolled: 18-line block ×3, first 2 shown]
	v_fmac_f64_e32 v[130:131], v[120:121], v[102:103]
	v_fma_f64 v[118:119], v[118:119], v[102:103], -v[104:105]
	scratch_load_b128 v[102:105], off, off offset:384
	v_add_f64_e32 v[4:5], v[4:5], v[136:137]
	v_add_f64_e32 v[8:9], v[8:9], v[132:133]
	v_fmac_f64_e32 v[134:135], v[76:77], v[110:111]
	v_fma_f64 v[136:137], v[74:75], v[110:111], -v[112:113]
	ds_load_b128 v[74:77], v2 offset:688
	s_wait_loadcnt_dscnt 0x901
	v_mul_f64_e32 v[132:133], v[126:127], v[12:13]
	v_mul_f64_e32 v[12:13], v[128:129], v[12:13]
	scratch_load_b128 v[110:113], off, off offset:400
	v_add_f64_e32 v[4:5], v[4:5], v[118:119]
	v_add_f64_e32 v[8:9], v[8:9], v[130:131]
	s_wait_dscnt 0x0
	v_mul_f64_e32 v[130:131], v[74:75], v[124:125]
	v_mul_f64_e32 v[124:125], v[76:77], v[124:125]
	ds_load_b128 v[118:121], v2 offset:704
	v_fmac_f64_e32 v[132:133], v[128:129], v[10:11]
	v_fma_f64 v[12:13], v[126:127], v[10:11], -v[12:13]
	v_add_f64_e32 v[4:5], v[4:5], v[136:137]
	v_add_f64_e32 v[126:127], v[8:9], v[134:135]
	scratch_load_b128 v[8:11], off, off offset:416
	v_fmac_f64_e32 v[130:131], v[76:77], v[122:123]
	v_fma_f64 v[76:77], v[74:75], v[122:123], -v[124:125]
	scratch_load_b128 v[122:125], off, off offset:432
	v_add_f64_e32 v[4:5], v[4:5], v[12:13]
	v_add_f64_e32 v[12:13], v[126:127], v[132:133]
	ds_load_b128 v[126:129], v2 offset:736
	s_wait_loadcnt_dscnt 0xb01
	v_mul_f64_e32 v[134:135], v[118:119], v[72:73]
	v_mul_f64_e32 v[136:137], v[120:121], v[72:73]
	ds_load_b128 v[72:75], v2 offset:720
	s_wait_loadcnt_dscnt 0xa00
	v_mul_f64_e32 v[132:133], v[72:73], v[108:109]
	v_mul_f64_e32 v[108:109], v[74:75], v[108:109]
	v_add_f64_e32 v[4:5], v[4:5], v[76:77]
	v_add_f64_e32 v[12:13], v[12:13], v[130:131]
	v_fmac_f64_e32 v[134:135], v[120:121], v[70:71]
	v_fma_f64 v[70:71], v[118:119], v[70:71], -v[136:137]
	s_wait_loadcnt 0x9
	v_mul_f64_e32 v[118:119], v[126:127], v[80:81]
	v_mul_f64_e32 v[80:81], v[128:129], v[80:81]
	v_fmac_f64_e32 v[132:133], v[74:75], v[106:107]
	v_fma_f64 v[106:107], v[72:73], v[106:107], -v[108:109]
	v_add_f64_e32 v[12:13], v[12:13], v[134:135]
	v_add_f64_e32 v[4:5], v[4:5], v[70:71]
	ds_load_b128 v[70:73], v2 offset:752
	ds_load_b128 v[74:77], v2 offset:768
	v_fmac_f64_e32 v[118:119], v[128:129], v[78:79]
	v_fma_f64 v[78:79], v[126:127], v[78:79], -v[80:81]
	s_wait_loadcnt_dscnt 0x801
	v_mul_f64_e32 v[108:109], v[70:71], v[84:85]
	v_mul_f64_e32 v[84:85], v[72:73], v[84:85]
	v_add_f64_e32 v[12:13], v[12:13], v[132:133]
	v_add_f64_e32 v[4:5], v[4:5], v[106:107]
	s_wait_loadcnt_dscnt 0x700
	v_mul_f64_e32 v[106:107], v[74:75], v[88:89]
	v_mul_f64_e32 v[88:89], v[76:77], v[88:89]
	v_fmac_f64_e32 v[108:109], v[72:73], v[82:83]
	v_fma_f64 v[82:83], v[70:71], v[82:83], -v[84:85]
	v_add_f64_e32 v[12:13], v[12:13], v[118:119]
	v_add_f64_e32 v[4:5], v[4:5], v[78:79]
	ds_load_b128 v[70:73], v2 offset:784
	ds_load_b128 v[78:81], v2 offset:800
	v_fmac_f64_e32 v[106:107], v[76:77], v[86:87]
	v_fma_f64 v[74:75], v[74:75], v[86:87], -v[88:89]
	s_wait_loadcnt_dscnt 0x601
	v_mul_f64_e32 v[84:85], v[70:71], v[92:93]
	v_mul_f64_e32 v[92:93], v[72:73], v[92:93]
	s_wait_loadcnt_dscnt 0x500
	v_mul_f64_e32 v[86:87], v[80:81], v[96:97]
	v_add_f64_e32 v[12:13], v[12:13], v[108:109]
	v_add_f64_e32 v[4:5], v[4:5], v[82:83]
	v_mul_f64_e32 v[82:83], v[78:79], v[96:97]
	v_fmac_f64_e32 v[84:85], v[72:73], v[90:91]
	v_fma_f64 v[88:89], v[70:71], v[90:91], -v[92:93]
	v_fma_f64 v[78:79], v[78:79], v[94:95], -v[86:87]
	v_add_f64_e32 v[12:13], v[12:13], v[106:107]
	v_add_f64_e32 v[4:5], v[4:5], v[74:75]
	ds_load_b128 v[70:73], v2 offset:816
	ds_load_b128 v[74:77], v2 offset:832
	v_fmac_f64_e32 v[82:83], v[80:81], v[94:95]
	s_wait_loadcnt_dscnt 0x401
	v_mul_f64_e32 v[90:91], v[70:71], v[100:101]
	v_mul_f64_e32 v[92:93], v[72:73], v[100:101]
	s_wait_loadcnt_dscnt 0x300
	v_mul_f64_e32 v[86:87], v[76:77], v[104:105]
	v_add_f64_e32 v[12:13], v[12:13], v[84:85]
	v_add_f64_e32 v[4:5], v[4:5], v[88:89]
	v_mul_f64_e32 v[84:85], v[74:75], v[104:105]
	v_fmac_f64_e32 v[90:91], v[72:73], v[98:99]
	v_fma_f64 v[88:89], v[70:71], v[98:99], -v[92:93]
	v_fma_f64 v[74:75], v[74:75], v[102:103], -v[86:87]
	v_add_f64_e32 v[12:13], v[12:13], v[82:83]
	v_add_f64_e32 v[4:5], v[4:5], v[78:79]
	ds_load_b128 v[70:73], v2 offset:848
	ds_load_b128 v[78:81], v2 offset:864
	v_fmac_f64_e32 v[84:85], v[76:77], v[102:103]
	s_wait_loadcnt_dscnt 0x201
	v_mul_f64_e32 v[82:83], v[70:71], v[112:113]
	v_mul_f64_e32 v[92:93], v[72:73], v[112:113]
	s_wait_loadcnt_dscnt 0x100
	v_mul_f64_e32 v[76:77], v[78:79], v[10:11]
	v_add_f64_e32 v[12:13], v[12:13], v[90:91]
	v_add_f64_e32 v[4:5], v[4:5], v[88:89]
	v_mul_f64_e32 v[86:87], v[80:81], v[10:11]
	v_fmac_f64_e32 v[82:83], v[72:73], v[110:111]
	v_fma_f64 v[70:71], v[70:71], v[110:111], -v[92:93]
	v_fmac_f64_e32 v[76:77], v[80:81], v[8:9]
	v_add_f64_e32 v[72:73], v[12:13], v[84:85]
	v_add_f64_e32 v[4:5], v[4:5], v[74:75]
	ds_load_b128 v[10:13], v2 offset:880
	v_fma_f64 v[8:9], v[78:79], v[8:9], -v[86:87]
	s_wait_loadcnt_dscnt 0x0
	v_mul_f64_e32 v[74:75], v[10:11], v[124:125]
	v_mul_f64_e32 v[84:85], v[12:13], v[124:125]
	v_add_f64_e32 v[4:5], v[4:5], v[70:71]
	v_add_f64_e32 v[70:71], v[72:73], v[82:83]
	s_delay_alu instid0(VALU_DEP_4) | instskip(NEXT) | instid1(VALU_DEP_4)
	v_fmac_f64_e32 v[74:75], v[12:13], v[122:123]
	v_fma_f64 v[10:11], v[10:11], v[122:123], -v[84:85]
	s_delay_alu instid0(VALU_DEP_4) | instskip(NEXT) | instid1(VALU_DEP_4)
	v_add_f64_e32 v[4:5], v[4:5], v[8:9]
	v_add_f64_e32 v[8:9], v[70:71], v[76:77]
	s_delay_alu instid0(VALU_DEP_2) | instskip(NEXT) | instid1(VALU_DEP_2)
	v_add_f64_e32 v[4:5], v[4:5], v[10:11]
	v_add_f64_e32 v[10:11], v[8:9], v[74:75]
	s_delay_alu instid0(VALU_DEP_2) | instskip(NEXT) | instid1(VALU_DEP_2)
	v_add_f64_e64 v[8:9], v[114:115], -v[4:5]
	v_add_f64_e64 v[10:11], v[116:117], -v[10:11]
	scratch_store_b128 off, v[8:11], off offset:32
	s_wait_xcnt 0x0
	v_cmpx_lt_u32_e32 1, v1
	s_cbranch_execz .LBB91_179
; %bb.178:
	scratch_load_b128 v[8:11], off, s18
	v_dual_mov_b32 v3, v2 :: v_dual_mov_b32 v4, v2
	v_mov_b32_e32 v5, v2
	scratch_store_b128 off, v[2:5], off offset:16
	s_wait_loadcnt 0x0
	ds_store_b128 v6, v[8:11]
.LBB91_179:
	s_wait_xcnt 0x0
	s_or_b32 exec_lo, exec_lo, s2
	s_wait_storecnt_dscnt 0x0
	s_barrier_signal -1
	s_barrier_wait -1
	s_clause 0x9
	scratch_load_b128 v[8:11], off, off offset:32
	scratch_load_b128 v[70:73], off, off offset:48
	;; [unrolled: 1-line block ×10, first 2 shown]
	ds_load_b128 v[106:109], v2 offset:480
	s_clause 0x2
	scratch_load_b128 v[110:113], off, off offset:192
	scratch_load_b128 v[114:117], off, off offset:208
	;; [unrolled: 1-line block ×3, first 2 shown]
	s_mov_b32 s2, exec_lo
	s_wait_loadcnt_dscnt 0xc00
	v_mul_f64_e32 v[4:5], v[108:109], v[10:11]
	v_mul_f64_e32 v[122:123], v[106:107], v[10:11]
	ds_load_b128 v[10:13], v2 offset:496
	v_fma_f64 v[4:5], v[106:107], v[8:9], -v[4:5]
	v_fmac_f64_e32 v[122:123], v[108:109], v[8:9]
	ds_load_b128 v[106:109], v2 offset:512
	s_wait_loadcnt_dscnt 0xb01
	v_mul_f64_e32 v[124:125], v[10:11], v[72:73]
	v_mul_f64_e32 v[72:73], v[12:13], v[72:73]
	s_wait_loadcnt_dscnt 0xa00
	v_mul_f64_e32 v[126:127], v[106:107], v[76:77]
	v_mul_f64_e32 v[76:77], v[108:109], v[76:77]
	v_add_f64_e32 v[4:5], 0, v[4:5]
	v_add_f64_e32 v[122:123], 0, v[122:123]
	v_fmac_f64_e32 v[124:125], v[12:13], v[70:71]
	v_fma_f64 v[12:13], v[10:11], v[70:71], -v[72:73]
	ds_load_b128 v[8:11], v2 offset:528
	scratch_load_b128 v[70:73], off, off offset:240
	v_fmac_f64_e32 v[126:127], v[108:109], v[74:75]
	v_fma_f64 v[130:131], v[106:107], v[74:75], -v[76:77]
	ds_load_b128 v[74:77], v2 offset:544
	s_wait_loadcnt_dscnt 0xa01
	v_mul_f64_e32 v[128:129], v[8:9], v[80:81]
	v_mul_f64_e32 v[80:81], v[10:11], v[80:81]
	scratch_load_b128 v[106:109], off, off offset:256
	v_add_f64_e32 v[4:5], v[4:5], v[12:13]
	v_add_f64_e32 v[12:13], v[122:123], v[124:125]
	s_wait_loadcnt_dscnt 0xa00
	v_mul_f64_e32 v[122:123], v[74:75], v[84:85]
	v_mul_f64_e32 v[84:85], v[76:77], v[84:85]
	v_fmac_f64_e32 v[128:129], v[10:11], v[78:79]
	v_fma_f64 v[124:125], v[8:9], v[78:79], -v[80:81]
	ds_load_b128 v[8:11], v2 offset:560
	scratch_load_b128 v[78:81], off, off offset:272
	v_add_f64_e32 v[4:5], v[4:5], v[130:131]
	v_add_f64_e32 v[12:13], v[12:13], v[126:127]
	v_fmac_f64_e32 v[122:123], v[76:77], v[82:83]
	v_fma_f64 v[130:131], v[74:75], v[82:83], -v[84:85]
	ds_load_b128 v[74:77], v2 offset:576
	s_wait_loadcnt_dscnt 0xa01
	v_mul_f64_e32 v[126:127], v[8:9], v[88:89]
	v_mul_f64_e32 v[88:89], v[10:11], v[88:89]
	scratch_load_b128 v[82:85], off, off offset:288
	v_add_f64_e32 v[4:5], v[4:5], v[124:125]
	v_add_f64_e32 v[12:13], v[12:13], v[128:129]
	s_wait_loadcnt_dscnt 0xa00
	v_mul_f64_e32 v[124:125], v[74:75], v[92:93]
	v_mul_f64_e32 v[92:93], v[76:77], v[92:93]
	v_fmac_f64_e32 v[126:127], v[10:11], v[86:87]
	v_fma_f64 v[128:129], v[8:9], v[86:87], -v[88:89]
	ds_load_b128 v[8:11], v2 offset:592
	scratch_load_b128 v[86:89], off, off offset:304
	v_add_f64_e32 v[4:5], v[4:5], v[130:131]
	v_add_f64_e32 v[12:13], v[12:13], v[122:123]
	;; [unrolled: 18-line block ×5, first 2 shown]
	s_wait_loadcnt_dscnt 0xa00
	v_mul_f64_e32 v[130:131], v[8:9], v[72:73]
	v_mul_f64_e32 v[122:123], v[10:11], v[72:73]
	v_fmac_f64_e32 v[124:125], v[76:77], v[118:119]
	v_fma_f64 v[76:77], v[74:75], v[118:119], -v[120:121]
	ds_load_b128 v[72:75], v2 offset:704
	scratch_load_b128 v[118:121], off, off offset:416
	v_add_f64_e32 v[4:5], v[4:5], v[128:129]
	v_add_f64_e32 v[12:13], v[12:13], v[126:127]
	v_fmac_f64_e32 v[130:131], v[10:11], v[70:71]
	v_fma_f64 v[70:71], v[8:9], v[70:71], -v[122:123]
	ds_load_b128 v[8:11], v2 offset:720
	s_wait_loadcnt_dscnt 0xa01
	v_mul_f64_e32 v[126:127], v[72:73], v[108:109]
	v_mul_f64_e32 v[108:109], v[74:75], v[108:109]
	v_add_f64_e32 v[4:5], v[4:5], v[76:77]
	v_add_f64_e32 v[12:13], v[12:13], v[124:125]
	s_wait_loadcnt_dscnt 0x900
	v_mul_f64_e32 v[76:77], v[8:9], v[80:81]
	scratch_load_b128 v[122:125], off, off offset:432
	v_mul_f64_e32 v[80:81], v[10:11], v[80:81]
	v_fmac_f64_e32 v[126:127], v[74:75], v[106:107]
	v_fma_f64 v[74:75], v[72:73], v[106:107], -v[108:109]
	v_add_f64_e32 v[4:5], v[4:5], v[70:71]
	v_add_f64_e32 v[12:13], v[12:13], v[130:131]
	v_fmac_f64_e32 v[76:77], v[10:11], v[78:79]
	ds_load_b128 v[70:73], v2 offset:736
	v_fma_f64 v[78:79], v[8:9], v[78:79], -v[80:81]
	ds_load_b128 v[8:11], v2 offset:752
	s_wait_loadcnt_dscnt 0x800
	v_mul_f64_e32 v[80:81], v[8:9], v[88:89]
	v_mul_f64_e32 v[88:89], v[10:11], v[88:89]
	v_add_f64_e32 v[4:5], v[4:5], v[74:75]
	v_add_f64_e32 v[12:13], v[12:13], v[126:127]
	s_delay_alu instid0(VALU_DEP_4) | instskip(NEXT) | instid1(VALU_DEP_4)
	v_fmac_f64_e32 v[80:81], v[10:11], v[86:87]
	v_fma_f64 v[86:87], v[8:9], v[86:87], -v[88:89]
	ds_load_b128 v[8:11], v2 offset:784
	v_add_f64_e32 v[4:5], v[4:5], v[78:79]
	v_add_f64_e32 v[12:13], v[12:13], v[76:77]
	scratch_load_b128 v[74:77], off, off offset:16
	v_mul_f64_e32 v[106:107], v[70:71], v[84:85]
	v_mul_f64_e32 v[84:85], v[72:73], v[84:85]
	s_wait_loadcnt_dscnt 0x700
	v_mul_f64_e32 v[88:89], v[10:11], v[96:97]
	s_delay_alu instid0(VALU_DEP_3) | instskip(NEXT) | instid1(VALU_DEP_3)
	v_fmac_f64_e32 v[106:107], v[72:73], v[82:83]
	v_fma_f64 v[82:83], v[70:71], v[82:83], -v[84:85]
	ds_load_b128 v[70:73], v2 offset:768
	v_fma_f64 v[88:89], v[8:9], v[94:95], -v[88:89]
	s_wait_dscnt 0x0
	v_mul_f64_e32 v[78:79], v[70:71], v[92:93]
	v_mul_f64_e32 v[84:85], v[72:73], v[92:93]
	v_add_f64_e32 v[12:13], v[12:13], v[106:107]
	v_add_f64_e32 v[4:5], v[4:5], v[82:83]
	v_mul_f64_e32 v[82:83], v[8:9], v[96:97]
	v_fmac_f64_e32 v[78:79], v[72:73], v[90:91]
	v_fma_f64 v[84:85], v[70:71], v[90:91], -v[84:85]
	ds_load_b128 v[70:73], v2 offset:800
	v_add_f64_e32 v[12:13], v[12:13], v[80:81]
	v_add_f64_e32 v[4:5], v[4:5], v[86:87]
	v_fmac_f64_e32 v[82:83], v[10:11], v[94:95]
	ds_load_b128 v[8:11], v2 offset:816
	s_wait_loadcnt_dscnt 0x601
	v_mul_f64_e32 v[80:81], v[70:71], v[100:101]
	v_mul_f64_e32 v[86:87], v[72:73], v[100:101]
	v_add_f64_e32 v[12:13], v[12:13], v[78:79]
	v_add_f64_e32 v[4:5], v[4:5], v[84:85]
	s_wait_loadcnt_dscnt 0x500
	v_mul_f64_e32 v[78:79], v[8:9], v[104:105]
	v_mul_f64_e32 v[84:85], v[10:11], v[104:105]
	v_fmac_f64_e32 v[80:81], v[72:73], v[98:99]
	v_fma_f64 v[86:87], v[70:71], v[98:99], -v[86:87]
	ds_load_b128 v[70:73], v2 offset:832
	v_add_f64_e32 v[12:13], v[12:13], v[82:83]
	v_add_f64_e32 v[4:5], v[4:5], v[88:89]
	v_fmac_f64_e32 v[78:79], v[10:11], v[102:103]
	v_fma_f64 v[84:85], v[8:9], v[102:103], -v[84:85]
	ds_load_b128 v[8:11], v2 offset:848
	s_wait_loadcnt_dscnt 0x401
	v_mul_f64_e32 v[82:83], v[70:71], v[112:113]
	v_mul_f64_e32 v[88:89], v[72:73], v[112:113]
	v_add_f64_e32 v[12:13], v[12:13], v[80:81]
	v_add_f64_e32 v[4:5], v[4:5], v[86:87]
	s_wait_loadcnt_dscnt 0x300
	v_mul_f64_e32 v[80:81], v[8:9], v[116:117]
	v_mul_f64_e32 v[86:87], v[10:11], v[116:117]
	v_fmac_f64_e32 v[82:83], v[72:73], v[110:111]
	v_fma_f64 v[88:89], v[70:71], v[110:111], -v[88:89]
	ds_load_b128 v[70:73], v2 offset:864
	v_add_f64_e32 v[12:13], v[12:13], v[78:79]
	v_add_f64_e32 v[4:5], v[4:5], v[84:85]
	s_wait_loadcnt_dscnt 0x200
	v_mul_f64_e32 v[78:79], v[70:71], v[120:121]
	v_mul_f64_e32 v[84:85], v[72:73], v[120:121]
	v_fmac_f64_e32 v[80:81], v[10:11], v[114:115]
	v_fma_f64 v[8:9], v[8:9], v[114:115], -v[86:87]
	v_add_f64_e32 v[12:13], v[12:13], v[82:83]
	v_add_f64_e32 v[10:11], v[4:5], v[88:89]
	ds_load_b128 v[2:5], v2 offset:880
	v_fmac_f64_e32 v[78:79], v[72:73], v[118:119]
	v_fma_f64 v[70:71], v[70:71], v[118:119], -v[84:85]
	s_wait_loadcnt_dscnt 0x100
	v_mul_f64_e32 v[82:83], v[2:3], v[124:125]
	v_mul_f64_e32 v[86:87], v[4:5], v[124:125]
	v_add_f64_e32 v[8:9], v[10:11], v[8:9]
	v_add_f64_e32 v[10:11], v[12:13], v[80:81]
	s_delay_alu instid0(VALU_DEP_4) | instskip(NEXT) | instid1(VALU_DEP_4)
	v_fmac_f64_e32 v[82:83], v[4:5], v[122:123]
	v_fma_f64 v[2:3], v[2:3], v[122:123], -v[86:87]
	s_delay_alu instid0(VALU_DEP_4) | instskip(NEXT) | instid1(VALU_DEP_4)
	v_add_f64_e32 v[4:5], v[8:9], v[70:71]
	v_add_f64_e32 v[8:9], v[10:11], v[78:79]
	s_delay_alu instid0(VALU_DEP_2) | instskip(NEXT) | instid1(VALU_DEP_2)
	v_add_f64_e32 v[2:3], v[4:5], v[2:3]
	v_add_f64_e32 v[4:5], v[8:9], v[82:83]
	s_wait_loadcnt 0x0
	s_delay_alu instid0(VALU_DEP_2) | instskip(NEXT) | instid1(VALU_DEP_2)
	v_add_f64_e64 v[2:3], v[74:75], -v[2:3]
	v_add_f64_e64 v[4:5], v[76:77], -v[4:5]
	scratch_store_b128 off, v[2:5], off offset:16
	s_wait_xcnt 0x0
	v_cmpx_ne_u32_e32 0, v1
	s_cbranch_execz .LBB91_181
; %bb.180:
	scratch_load_b128 v[2:5], off, off
	v_mov_b32_e32 v8, 0
	s_delay_alu instid0(VALU_DEP_1)
	v_dual_mov_b32 v9, v8 :: v_dual_mov_b32 v10, v8
	v_mov_b32_e32 v11, v8
	scratch_store_b128 off, v[8:11], off
	s_wait_loadcnt 0x0
	ds_store_b128 v6, v[2:5]
.LBB91_181:
	s_wait_xcnt 0x0
	s_or_b32 exec_lo, exec_lo, s2
	s_wait_storecnt_dscnt 0x0
	s_barrier_signal -1
	s_barrier_wait -1
	s_clause 0x9
	scratch_load_b128 v[2:5], off, off offset:16
	scratch_load_b128 v[6:9], off, off offset:32
	;; [unrolled: 1-line block ×10, first 2 shown]
	v_mov_b32_e32 v90, 0
	s_and_b32 vcc_lo, exec_lo, s40
	ds_load_b128 v[100:103], v90 offset:464
	s_clause 0x2
	scratch_load_b128 v[104:107], off, off offset:176
	scratch_load_b128 v[108:111], off, off
	scratch_load_b128 v[116:119], off, off offset:192
	s_wait_loadcnt_dscnt 0xc00
	v_mul_f64_e32 v[120:121], v[102:103], v[4:5]
	v_mul_f64_e32 v[124:125], v[100:101], v[4:5]
	ds_load_b128 v[112:115], v90 offset:480
	v_fma_f64 v[128:129], v[100:101], v[2:3], -v[120:121]
	v_fmac_f64_e32 v[124:125], v[102:103], v[2:3]
	ds_load_b128 v[2:5], v90 offset:496
	s_wait_loadcnt_dscnt 0xb01
	v_mul_f64_e32 v[126:127], v[112:113], v[8:9]
	v_mul_f64_e32 v[8:9], v[114:115], v[8:9]
	scratch_load_b128 v[100:103], off, off offset:208
	ds_load_b128 v[120:123], v90 offset:512
	s_wait_loadcnt_dscnt 0xb01
	v_mul_f64_e32 v[130:131], v[2:3], v[12:13]
	v_mul_f64_e32 v[12:13], v[4:5], v[12:13]
	v_add_f64_e32 v[124:125], 0, v[124:125]
	v_fmac_f64_e32 v[126:127], v[114:115], v[6:7]
	v_fma_f64 v[112:113], v[112:113], v[6:7], -v[8:9]
	v_add_f64_e32 v[114:115], 0, v[128:129]
	scratch_load_b128 v[6:9], off, off offset:224
	v_fmac_f64_e32 v[130:131], v[4:5], v[10:11]
	v_fma_f64 v[132:133], v[2:3], v[10:11], -v[12:13]
	ds_load_b128 v[2:5], v90 offset:528
	s_wait_loadcnt_dscnt 0xb01
	v_mul_f64_e32 v[128:129], v[120:121], v[72:73]
	v_mul_f64_e32 v[72:73], v[122:123], v[72:73]
	scratch_load_b128 v[10:13], off, off offset:240
	v_add_f64_e32 v[124:125], v[124:125], v[126:127]
	v_add_f64_e32 v[134:135], v[114:115], v[112:113]
	ds_load_b128 v[112:115], v90 offset:544
	s_wait_loadcnt_dscnt 0xb01
	v_mul_f64_e32 v[126:127], v[2:3], v[76:77]
	v_mul_f64_e32 v[76:77], v[4:5], v[76:77]
	v_fmac_f64_e32 v[128:129], v[122:123], v[70:71]
	v_fma_f64 v[120:121], v[120:121], v[70:71], -v[72:73]
	scratch_load_b128 v[70:73], off, off offset:256
	v_add_f64_e32 v[124:125], v[124:125], v[130:131]
	v_add_f64_e32 v[122:123], v[134:135], v[132:133]
	v_fmac_f64_e32 v[126:127], v[4:5], v[74:75]
	v_fma_f64 v[132:133], v[2:3], v[74:75], -v[76:77]
	ds_load_b128 v[2:5], v90 offset:560
	s_wait_loadcnt_dscnt 0xb01
	v_mul_f64_e32 v[130:131], v[112:113], v[80:81]
	v_mul_f64_e32 v[80:81], v[114:115], v[80:81]
	scratch_load_b128 v[74:77], off, off offset:272
	v_add_f64_e32 v[124:125], v[124:125], v[128:129]
	s_wait_loadcnt_dscnt 0xb00
	v_mul_f64_e32 v[128:129], v[2:3], v[84:85]
	v_add_f64_e32 v[134:135], v[122:123], v[120:121]
	v_mul_f64_e32 v[84:85], v[4:5], v[84:85]
	ds_load_b128 v[120:123], v90 offset:576
	v_fmac_f64_e32 v[130:131], v[114:115], v[78:79]
	v_fma_f64 v[112:113], v[112:113], v[78:79], -v[80:81]
	scratch_load_b128 v[78:81], off, off offset:288
	v_add_f64_e32 v[124:125], v[124:125], v[126:127]
	v_fmac_f64_e32 v[128:129], v[4:5], v[82:83]
	v_add_f64_e32 v[114:115], v[134:135], v[132:133]
	v_fma_f64 v[132:133], v[2:3], v[82:83], -v[84:85]
	ds_load_b128 v[2:5], v90 offset:592
	s_wait_loadcnt_dscnt 0xb01
	v_mul_f64_e32 v[126:127], v[120:121], v[88:89]
	v_mul_f64_e32 v[88:89], v[122:123], v[88:89]
	scratch_load_b128 v[82:85], off, off offset:304
	v_add_f64_e32 v[124:125], v[124:125], v[130:131]
	s_wait_loadcnt_dscnt 0xb00
	v_mul_f64_e32 v[130:131], v[2:3], v[94:95]
	v_add_f64_e32 v[134:135], v[114:115], v[112:113]
	v_mul_f64_e32 v[94:95], v[4:5], v[94:95]
	ds_load_b128 v[112:115], v90 offset:608
	v_fmac_f64_e32 v[126:127], v[122:123], v[86:87]
	v_fma_f64 v[120:121], v[120:121], v[86:87], -v[88:89]
	scratch_load_b128 v[86:89], off, off offset:320
	v_add_f64_e32 v[124:125], v[124:125], v[128:129]
	v_fmac_f64_e32 v[130:131], v[4:5], v[92:93]
	v_add_f64_e32 v[122:123], v[134:135], v[132:133]
	v_fma_f64 v[132:133], v[2:3], v[92:93], -v[94:95]
	ds_load_b128 v[2:5], v90 offset:624
	s_wait_loadcnt_dscnt 0xb01
	v_mul_f64_e32 v[128:129], v[112:113], v[98:99]
	v_mul_f64_e32 v[98:99], v[114:115], v[98:99]
	scratch_load_b128 v[92:95], off, off offset:336
	v_add_f64_e32 v[124:125], v[124:125], v[126:127]
	s_wait_loadcnt_dscnt 0xb00
	v_mul_f64_e32 v[126:127], v[2:3], v[106:107]
	v_add_f64_e32 v[134:135], v[122:123], v[120:121]
	v_mul_f64_e32 v[106:107], v[4:5], v[106:107]
	ds_load_b128 v[120:123], v90 offset:640
	v_fmac_f64_e32 v[128:129], v[114:115], v[96:97]
	v_fma_f64 v[112:113], v[112:113], v[96:97], -v[98:99]
	scratch_load_b128 v[96:99], off, off offset:352
	v_add_f64_e32 v[124:125], v[124:125], v[130:131]
	v_fmac_f64_e32 v[126:127], v[4:5], v[104:105]
	v_add_f64_e32 v[114:115], v[134:135], v[132:133]
	v_fma_f64 v[132:133], v[2:3], v[104:105], -v[106:107]
	ds_load_b128 v[2:5], v90 offset:656
	s_wait_loadcnt_dscnt 0xa01
	v_mul_f64_e32 v[130:131], v[120:121], v[118:119]
	v_mul_f64_e32 v[118:119], v[122:123], v[118:119]
	scratch_load_b128 v[104:107], off, off offset:368
	v_add_f64_e32 v[124:125], v[124:125], v[128:129]
	v_add_f64_e32 v[134:135], v[114:115], v[112:113]
	s_wait_loadcnt_dscnt 0xa00
	v_mul_f64_e32 v[128:129], v[2:3], v[102:103]
	v_mul_f64_e32 v[102:103], v[4:5], v[102:103]
	v_fmac_f64_e32 v[130:131], v[122:123], v[116:117]
	v_fma_f64 v[120:121], v[120:121], v[116:117], -v[118:119]
	ds_load_b128 v[112:115], v90 offset:672
	scratch_load_b128 v[116:119], off, off offset:384
	v_add_f64_e32 v[124:125], v[124:125], v[126:127]
	v_add_f64_e32 v[122:123], v[134:135], v[132:133]
	v_fmac_f64_e32 v[128:129], v[4:5], v[100:101]
	v_fma_f64 v[132:133], v[2:3], v[100:101], -v[102:103]
	ds_load_b128 v[2:5], v90 offset:688
	s_wait_loadcnt_dscnt 0xa01
	v_mul_f64_e32 v[126:127], v[112:113], v[8:9]
	v_mul_f64_e32 v[8:9], v[114:115], v[8:9]
	scratch_load_b128 v[100:103], off, off offset:400
	v_add_f64_e32 v[124:125], v[124:125], v[130:131]
	s_wait_loadcnt_dscnt 0xa00
	v_mul_f64_e32 v[130:131], v[2:3], v[12:13]
	v_add_f64_e32 v[134:135], v[122:123], v[120:121]
	v_mul_f64_e32 v[12:13], v[4:5], v[12:13]
	ds_load_b128 v[120:123], v90 offset:704
	v_fmac_f64_e32 v[126:127], v[114:115], v[6:7]
	v_fma_f64 v[112:113], v[112:113], v[6:7], -v[8:9]
	scratch_load_b128 v[6:9], off, off offset:416
	v_add_f64_e32 v[124:125], v[124:125], v[128:129]
	v_fmac_f64_e32 v[130:131], v[4:5], v[10:11]
	v_add_f64_e32 v[114:115], v[134:135], v[132:133]
	v_fma_f64 v[132:133], v[2:3], v[10:11], -v[12:13]
	ds_load_b128 v[2:5], v90 offset:720
	s_wait_loadcnt_dscnt 0xa01
	v_mul_f64_e32 v[128:129], v[120:121], v[72:73]
	v_mul_f64_e32 v[72:73], v[122:123], v[72:73]
	scratch_load_b128 v[10:13], off, off offset:432
	v_add_f64_e32 v[124:125], v[124:125], v[126:127]
	s_wait_loadcnt_dscnt 0xa00
	v_mul_f64_e32 v[126:127], v[2:3], v[76:77]
	v_add_f64_e32 v[134:135], v[114:115], v[112:113]
	v_mul_f64_e32 v[76:77], v[4:5], v[76:77]
	ds_load_b128 v[112:115], v90 offset:736
	v_fmac_f64_e32 v[128:129], v[122:123], v[70:71]
	v_fma_f64 v[70:71], v[120:121], v[70:71], -v[72:73]
	s_wait_loadcnt_dscnt 0x900
	v_mul_f64_e32 v[122:123], v[112:113], v[80:81]
	v_mul_f64_e32 v[80:81], v[114:115], v[80:81]
	v_add_f64_e32 v[120:121], v[124:125], v[130:131]
	v_fmac_f64_e32 v[126:127], v[4:5], v[74:75]
	v_add_f64_e32 v[72:73], v[134:135], v[132:133]
	v_fma_f64 v[74:75], v[2:3], v[74:75], -v[76:77]
	v_fmac_f64_e32 v[122:123], v[114:115], v[78:79]
	v_fma_f64 v[78:79], v[112:113], v[78:79], -v[80:81]
	v_add_f64_e32 v[120:121], v[120:121], v[128:129]
	v_add_f64_e32 v[76:77], v[72:73], v[70:71]
	ds_load_b128 v[2:5], v90 offset:752
	ds_load_b128 v[70:73], v90 offset:768
	s_wait_loadcnt_dscnt 0x801
	v_mul_f64_e32 v[124:125], v[2:3], v[84:85]
	v_mul_f64_e32 v[84:85], v[4:5], v[84:85]
	s_wait_loadcnt_dscnt 0x700
	v_mul_f64_e32 v[80:81], v[70:71], v[88:89]
	v_mul_f64_e32 v[88:89], v[72:73], v[88:89]
	v_add_f64_e32 v[74:75], v[76:77], v[74:75]
	v_add_f64_e32 v[76:77], v[120:121], v[126:127]
	v_fmac_f64_e32 v[124:125], v[4:5], v[82:83]
	v_fma_f64 v[82:83], v[2:3], v[82:83], -v[84:85]
	v_fmac_f64_e32 v[80:81], v[72:73], v[86:87]
	v_fma_f64 v[70:71], v[70:71], v[86:87], -v[88:89]
	v_add_f64_e32 v[78:79], v[74:75], v[78:79]
	v_add_f64_e32 v[84:85], v[76:77], v[122:123]
	ds_load_b128 v[2:5], v90 offset:784
	ds_load_b128 v[74:77], v90 offset:800
	s_wait_loadcnt_dscnt 0x601
	v_mul_f64_e32 v[112:113], v[2:3], v[94:95]
	v_mul_f64_e32 v[94:95], v[4:5], v[94:95]
	v_add_f64_e32 v[72:73], v[78:79], v[82:83]
	v_add_f64_e32 v[78:79], v[84:85], v[124:125]
	s_wait_loadcnt_dscnt 0x500
	v_mul_f64_e32 v[82:83], v[74:75], v[98:99]
	v_mul_f64_e32 v[84:85], v[76:77], v[98:99]
	v_fmac_f64_e32 v[112:113], v[4:5], v[92:93]
	v_fma_f64 v[86:87], v[2:3], v[92:93], -v[94:95]
	v_add_f64_e32 v[88:89], v[72:73], v[70:71]
	v_add_f64_e32 v[78:79], v[78:79], v[80:81]
	ds_load_b128 v[2:5], v90 offset:816
	ds_load_b128 v[70:73], v90 offset:832
	v_fmac_f64_e32 v[82:83], v[76:77], v[96:97]
	v_fma_f64 v[74:75], v[74:75], v[96:97], -v[84:85]
	s_wait_loadcnt_dscnt 0x401
	v_mul_f64_e32 v[80:81], v[2:3], v[106:107]
	v_mul_f64_e32 v[92:93], v[4:5], v[106:107]
	s_wait_loadcnt_dscnt 0x300
	v_mul_f64_e32 v[84:85], v[70:71], v[118:119]
	v_add_f64_e32 v[76:77], v[88:89], v[86:87]
	v_add_f64_e32 v[78:79], v[78:79], v[112:113]
	v_mul_f64_e32 v[86:87], v[72:73], v[118:119]
	v_fmac_f64_e32 v[80:81], v[4:5], v[104:105]
	v_fma_f64 v[88:89], v[2:3], v[104:105], -v[92:93]
	v_fmac_f64_e32 v[84:85], v[72:73], v[116:117]
	v_add_f64_e32 v[92:93], v[76:77], v[74:75]
	v_add_f64_e32 v[78:79], v[78:79], v[82:83]
	ds_load_b128 v[2:5], v90 offset:848
	ds_load_b128 v[74:77], v90 offset:864
	v_fma_f64 v[70:71], v[70:71], v[116:117], -v[86:87]
	s_wait_loadcnt_dscnt 0x201
	v_mul_f64_e32 v[82:83], v[2:3], v[102:103]
	v_mul_f64_e32 v[94:95], v[4:5], v[102:103]
	v_add_f64_e32 v[72:73], v[92:93], v[88:89]
	v_add_f64_e32 v[78:79], v[78:79], v[80:81]
	s_wait_loadcnt_dscnt 0x100
	v_mul_f64_e32 v[80:81], v[74:75], v[8:9]
	v_mul_f64_e32 v[8:9], v[76:77], v[8:9]
	v_lshl_add_u64 v[88:89], v[18:19], 4, s[4:5]
	v_lshl_add_u64 v[18:19], v[56:57], 4, s[4:5]
	v_fmac_f64_e32 v[82:83], v[4:5], v[100:101]
	v_fma_f64 v[86:87], v[2:3], v[100:101], -v[94:95]
	ds_load_b128 v[2:5], v90 offset:880
	v_add_f64_e32 v[70:71], v[72:73], v[70:71]
	v_add_f64_e32 v[72:73], v[78:79], v[84:85]
	v_fmac_f64_e32 v[80:81], v[76:77], v[6:7]
	v_fma_f64 v[6:7], v[74:75], v[6:7], -v[8:9]
	v_lshl_add_u64 v[84:85], v[22:23], 4, s[4:5]
	v_lshl_add_u64 v[76:77], v[30:31], 4, s[4:5]
	;; [unrolled: 1-line block ×6, first 2 shown]
	s_wait_loadcnt_dscnt 0x0
	v_mul_f64_e32 v[78:79], v[2:3], v[12:13]
	v_mul_f64_e32 v[12:13], v[4:5], v[12:13]
	v_add_f64_e32 v[8:9], v[70:71], v[86:87]
	v_add_f64_e32 v[70:71], v[72:73], v[82:83]
	v_lshl_add_u64 v[86:87], v[20:21], 4, s[4:5]
	v_lshl_add_u64 v[82:83], v[24:25], 4, s[4:5]
	;; [unrolled: 1-line block ×6, first 2 shown]
	v_fmac_f64_e32 v[78:79], v[4:5], v[10:11]
	v_fma_f64 v[2:3], v[2:3], v[10:11], -v[12:13]
	v_lshl_add_u64 v[12:13], v[58:59], 4, s[4:5]
	v_lshl_add_u64 v[10:11], v[60:61], 4, s[4:5]
	v_add_f64_e32 v[4:5], v[8:9], v[6:7]
	v_add_f64_e32 v[6:7], v[70:71], v[80:81]
	v_lshl_add_u64 v[80:81], v[26:27], 4, s[4:5]
	v_lshl_add_u64 v[70:71], v[36:37], 4, s[4:5]
	;; [unrolled: 1-line block ×5, first 2 shown]
	v_add_f64_e32 v[2:3], v[4:5], v[2:3]
	v_add_f64_e32 v[4:5], v[6:7], v[78:79]
	v_lshl_add_u64 v[78:79], v[28:29], 4, s[4:5]
	v_lshl_add_u64 v[28:29], v[46:47], 4, s[4:5]
	;; [unrolled: 1-line block ×3, first 2 shown]
	v_add_f64_e64 v[92:93], v[108:109], -v[2:3]
	v_add_f64_e64 v[94:95], v[110:111], -v[4:5]
	v_lshl_add_u64 v[4:5], v[66:67], 4, s[4:5]
	v_lshl_add_u64 v[2:3], v[68:69], 4, s[4:5]
	scratch_store_b128 off, v[92:95], off
	s_cbranch_vccz .LBB91_236
; %bb.182:
	global_load_b32 v38, v90, s[8:9] offset:104
	s_load_b64 s[2:3], s[0:1], 0x4
	v_bfe_u32 v39, v0, 10, 10
	v_bfe_u32 v0, v0, 20, 10
	s_wait_kmcnt 0x0
	s_lshr_b32 s0, s2, 16
	s_delay_alu instid0(VALU_DEP_2) | instskip(SKIP_1) | instid1(SALU_CYCLE_1)
	v_mul_u32_u24_e32 v39, s3, v39
	s_mul_i32 s0, s0, s3
	v_mul_u32_u24_e32 v1, s0, v1
	s_delay_alu instid0(VALU_DEP_1) | instskip(NEXT) | instid1(VALU_DEP_1)
	v_add3_u32 v0, v1, v39, v0
	v_lshl_add_u32 v0, v0, 4, 0x388
	s_wait_loadcnt 0x0
	v_cmp_ne_u32_e32 vcc_lo, 27, v38
	s_cbranch_vccz .LBB91_184
; %bb.183:
	v_lshlrev_b32_e32 v1, 4, v38
	s_clause 0x1
	scratch_load_b128 v[38:41], off, s15
	scratch_load_b128 v[42:45], v1, off offset:-16
	s_wait_loadcnt 0x1
	ds_store_2addr_b64 v0, v[38:39], v[40:41] offset1:1
	s_wait_loadcnt 0x0
	s_clause 0x1
	scratch_store_b128 off, v[42:45], s15
	scratch_store_b128 v1, v[38:41], off offset:-16
.LBB91_184:
	s_wait_xcnt 0x0
	v_mov_b32_e32 v1, 0
	global_load_b32 v38, v1, s[8:9] offset:100
	s_wait_loadcnt 0x0
	v_cmp_eq_u32_e32 vcc_lo, 26, v38
	s_cbranch_vccnz .LBB91_186
; %bb.185:
	v_lshlrev_b32_e32 v38, 4, v38
	s_delay_alu instid0(VALU_DEP_1)
	v_mov_b32_e32 v46, v38
	s_clause 0x1
	scratch_load_b128 v[38:41], off, s17
	scratch_load_b128 v[42:45], v46, off offset:-16
	s_wait_loadcnt 0x1
	ds_store_2addr_b64 v0, v[38:39], v[40:41] offset1:1
	s_wait_loadcnt 0x0
	s_clause 0x1
	scratch_store_b128 off, v[42:45], s17
	scratch_store_b128 v46, v[38:41], off offset:-16
.LBB91_186:
	global_load_b32 v1, v1, s[8:9] offset:96
	s_wait_loadcnt 0x0
	v_cmp_eq_u32_e32 vcc_lo, 25, v1
	s_cbranch_vccnz .LBB91_188
; %bb.187:
	s_wait_xcnt 0x0
	v_lshlrev_b32_e32 v1, 4, v1
	s_clause 0x1
	scratch_load_b128 v[38:41], off, s19
	scratch_load_b128 v[42:45], v1, off offset:-16
	s_wait_loadcnt 0x1
	ds_store_2addr_b64 v0, v[38:39], v[40:41] offset1:1
	s_wait_loadcnt 0x0
	s_clause 0x1
	scratch_store_b128 off, v[42:45], s19
	scratch_store_b128 v1, v[38:41], off offset:-16
.LBB91_188:
	s_wait_xcnt 0x0
	v_mov_b32_e32 v1, 0
	global_load_b32 v38, v1, s[8:9] offset:92
	s_wait_loadcnt 0x0
	v_cmp_eq_u32_e32 vcc_lo, 24, v38
	s_cbranch_vccnz .LBB91_190
; %bb.189:
	v_lshlrev_b32_e32 v38, 4, v38
	s_delay_alu instid0(VALU_DEP_1)
	v_mov_b32_e32 v46, v38
	s_clause 0x1
	scratch_load_b128 v[38:41], off, s20
	scratch_load_b128 v[42:45], v46, off offset:-16
	s_wait_loadcnt 0x1
	ds_store_2addr_b64 v0, v[38:39], v[40:41] offset1:1
	s_wait_loadcnt 0x0
	s_clause 0x1
	scratch_store_b128 off, v[42:45], s20
	scratch_store_b128 v46, v[38:41], off offset:-16
.LBB91_190:
	global_load_b32 v1, v1, s[8:9] offset:88
	s_wait_loadcnt 0x0
	v_cmp_eq_u32_e32 vcc_lo, 23, v1
	s_cbranch_vccnz .LBB91_192
; %bb.191:
	s_wait_xcnt 0x0
	v_lshlrev_b32_e32 v1, 4, v1
	s_clause 0x1
	scratch_load_b128 v[38:41], off, s21
	scratch_load_b128 v[42:45], v1, off offset:-16
	s_wait_loadcnt 0x1
	ds_store_2addr_b64 v0, v[38:39], v[40:41] offset1:1
	s_wait_loadcnt 0x0
	s_clause 0x1
	scratch_store_b128 off, v[42:45], s21
	scratch_store_b128 v1, v[38:41], off offset:-16
.LBB91_192:
	;; [unrolled: 37-line block ×12, first 2 shown]
	s_wait_xcnt 0x0
	v_mov_b32_e32 v1, 0
	global_load_b32 v38, v1, s[8:9] offset:4
	s_wait_loadcnt 0x0
	v_cmp_eq_u32_e32 vcc_lo, 2, v38
	s_cbranch_vccnz .LBB91_234
; %bb.233:
	v_lshlrev_b32_e32 v38, 4, v38
	s_delay_alu instid0(VALU_DEP_1)
	v_mov_b32_e32 v46, v38
	s_clause 0x1
	scratch_load_b128 v[38:41], off, s18
	scratch_load_b128 v[42:45], v46, off offset:-16
	s_wait_loadcnt 0x1
	ds_store_2addr_b64 v0, v[38:39], v[40:41] offset1:1
	s_wait_loadcnt 0x0
	s_clause 0x1
	scratch_store_b128 off, v[42:45], s18
	scratch_store_b128 v46, v[38:41], off offset:-16
.LBB91_234:
	global_load_b32 v1, v1, s[8:9]
	s_wait_loadcnt 0x0
	v_cmp_eq_u32_e32 vcc_lo, 1, v1
	s_cbranch_vccnz .LBB91_236
; %bb.235:
	s_wait_xcnt 0x0
	v_lshlrev_b32_e32 v1, 4, v1
	scratch_load_b128 v[38:41], off, off
	scratch_load_b128 v[42:45], v1, off offset:-16
	s_wait_loadcnt 0x1
	ds_store_2addr_b64 v0, v[38:39], v[40:41] offset1:1
	s_wait_loadcnt 0x0
	scratch_store_b128 off, v[42:45], off
	scratch_store_b128 v1, v[38:41], off offset:-16
.LBB91_236:
	scratch_load_b128 v[38:41], off, off
	s_wait_loadcnt 0x0
	flat_store_b128 v[14:15], v[38:41]
	scratch_load_b128 v[38:41], off, s18
	s_wait_loadcnt 0x0
	flat_store_b128 v[16:17], v[38:41]
	scratch_load_b128 v[14:17], off, s16
	;; [unrolled: 3-line block ×27, first 2 shown]
	s_wait_loadcnt 0x0
	flat_store_b128 v[2:3], v[4:7]
	s_sendmsg sendmsg(MSG_DEALLOC_VGPRS)
	s_endpgm
	.section	.rodata,"a",@progbits
	.p2align	6, 0x0
	.amdhsa_kernel _ZN9rocsolver6v33100L18getri_kernel_smallILi28E19rocblas_complex_numIdEPKPS3_EEvT1_iilPiilS8_bb
		.amdhsa_group_segment_fixed_size 1928
		.amdhsa_private_segment_fixed_size 464
		.amdhsa_kernarg_size 60
		.amdhsa_user_sgpr_count 4
		.amdhsa_user_sgpr_dispatch_ptr 1
		.amdhsa_user_sgpr_queue_ptr 0
		.amdhsa_user_sgpr_kernarg_segment_ptr 1
		.amdhsa_user_sgpr_dispatch_id 0
		.amdhsa_user_sgpr_kernarg_preload_length 0
		.amdhsa_user_sgpr_kernarg_preload_offset 0
		.amdhsa_user_sgpr_private_segment_size 0
		.amdhsa_wavefront_size32 1
		.amdhsa_uses_dynamic_stack 0
		.amdhsa_enable_private_segment 1
		.amdhsa_system_sgpr_workgroup_id_x 1
		.amdhsa_system_sgpr_workgroup_id_y 0
		.amdhsa_system_sgpr_workgroup_id_z 0
		.amdhsa_system_sgpr_workgroup_info 0
		.amdhsa_system_vgpr_workitem_id 2
		.amdhsa_next_free_vgpr 138
		.amdhsa_next_free_sgpr 52
		.amdhsa_named_barrier_count 0
		.amdhsa_reserve_vcc 1
		.amdhsa_float_round_mode_32 0
		.amdhsa_float_round_mode_16_64 0
		.amdhsa_float_denorm_mode_32 3
		.amdhsa_float_denorm_mode_16_64 3
		.amdhsa_fp16_overflow 0
		.amdhsa_memory_ordered 1
		.amdhsa_forward_progress 1
		.amdhsa_inst_pref_size 255
		.amdhsa_round_robin_scheduling 0
		.amdhsa_exception_fp_ieee_invalid_op 0
		.amdhsa_exception_fp_denorm_src 0
		.amdhsa_exception_fp_ieee_div_zero 0
		.amdhsa_exception_fp_ieee_overflow 0
		.amdhsa_exception_fp_ieee_underflow 0
		.amdhsa_exception_fp_ieee_inexact 0
		.amdhsa_exception_int_div_zero 0
	.end_amdhsa_kernel
	.section	.text._ZN9rocsolver6v33100L18getri_kernel_smallILi28E19rocblas_complex_numIdEPKPS3_EEvT1_iilPiilS8_bb,"axG",@progbits,_ZN9rocsolver6v33100L18getri_kernel_smallILi28E19rocblas_complex_numIdEPKPS3_EEvT1_iilPiilS8_bb,comdat
.Lfunc_end91:
	.size	_ZN9rocsolver6v33100L18getri_kernel_smallILi28E19rocblas_complex_numIdEPKPS3_EEvT1_iilPiilS8_bb, .Lfunc_end91-_ZN9rocsolver6v33100L18getri_kernel_smallILi28E19rocblas_complex_numIdEPKPS3_EEvT1_iilPiilS8_bb
                                        ; -- End function
	.set _ZN9rocsolver6v33100L18getri_kernel_smallILi28E19rocblas_complex_numIdEPKPS3_EEvT1_iilPiilS8_bb.num_vgpr, 138
	.set _ZN9rocsolver6v33100L18getri_kernel_smallILi28E19rocblas_complex_numIdEPKPS3_EEvT1_iilPiilS8_bb.num_agpr, 0
	.set _ZN9rocsolver6v33100L18getri_kernel_smallILi28E19rocblas_complex_numIdEPKPS3_EEvT1_iilPiilS8_bb.numbered_sgpr, 52
	.set _ZN9rocsolver6v33100L18getri_kernel_smallILi28E19rocblas_complex_numIdEPKPS3_EEvT1_iilPiilS8_bb.num_named_barrier, 0
	.set _ZN9rocsolver6v33100L18getri_kernel_smallILi28E19rocblas_complex_numIdEPKPS3_EEvT1_iilPiilS8_bb.private_seg_size, 464
	.set _ZN9rocsolver6v33100L18getri_kernel_smallILi28E19rocblas_complex_numIdEPKPS3_EEvT1_iilPiilS8_bb.uses_vcc, 1
	.set _ZN9rocsolver6v33100L18getri_kernel_smallILi28E19rocblas_complex_numIdEPKPS3_EEvT1_iilPiilS8_bb.uses_flat_scratch, 1
	.set _ZN9rocsolver6v33100L18getri_kernel_smallILi28E19rocblas_complex_numIdEPKPS3_EEvT1_iilPiilS8_bb.has_dyn_sized_stack, 0
	.set _ZN9rocsolver6v33100L18getri_kernel_smallILi28E19rocblas_complex_numIdEPKPS3_EEvT1_iilPiilS8_bb.has_recursion, 0
	.set _ZN9rocsolver6v33100L18getri_kernel_smallILi28E19rocblas_complex_numIdEPKPS3_EEvT1_iilPiilS8_bb.has_indirect_call, 0
	.section	.AMDGPU.csdata,"",@progbits
; Kernel info:
; codeLenInByte = 37292
; TotalNumSgprs: 54
; NumVgprs: 138
; ScratchSize: 464
; MemoryBound: 0
; FloatMode: 240
; IeeeMode: 1
; LDSByteSize: 1928 bytes/workgroup (compile time only)
; SGPRBlocks: 0
; VGPRBlocks: 8
; NumSGPRsForWavesPerEU: 54
; NumVGPRsForWavesPerEU: 138
; NamedBarCnt: 0
; Occupancy: 7
; WaveLimiterHint : 1
; COMPUTE_PGM_RSRC2:SCRATCH_EN: 1
; COMPUTE_PGM_RSRC2:USER_SGPR: 4
; COMPUTE_PGM_RSRC2:TRAP_HANDLER: 0
; COMPUTE_PGM_RSRC2:TGID_X_EN: 1
; COMPUTE_PGM_RSRC2:TGID_Y_EN: 0
; COMPUTE_PGM_RSRC2:TGID_Z_EN: 0
; COMPUTE_PGM_RSRC2:TIDIG_COMP_CNT: 2
	.section	.text._ZN9rocsolver6v33100L18getri_kernel_smallILi29E19rocblas_complex_numIdEPKPS3_EEvT1_iilPiilS8_bb,"axG",@progbits,_ZN9rocsolver6v33100L18getri_kernel_smallILi29E19rocblas_complex_numIdEPKPS3_EEvT1_iilPiilS8_bb,comdat
	.globl	_ZN9rocsolver6v33100L18getri_kernel_smallILi29E19rocblas_complex_numIdEPKPS3_EEvT1_iilPiilS8_bb ; -- Begin function _ZN9rocsolver6v33100L18getri_kernel_smallILi29E19rocblas_complex_numIdEPKPS3_EEvT1_iilPiilS8_bb
	.p2align	8
	.type	_ZN9rocsolver6v33100L18getri_kernel_smallILi29E19rocblas_complex_numIdEPKPS3_EEvT1_iilPiilS8_bb,@function
_ZN9rocsolver6v33100L18getri_kernel_smallILi29E19rocblas_complex_numIdEPKPS3_EEvT1_iilPiilS8_bb: ; @_ZN9rocsolver6v33100L18getri_kernel_smallILi29E19rocblas_complex_numIdEPKPS3_EEvT1_iilPiilS8_bb
; %bb.0:
	v_and_b32_e32 v1, 0x3ff, v0
	s_mov_b32 s4, exec_lo
	s_delay_alu instid0(VALU_DEP_1)
	v_cmpx_gt_u32_e32 29, v1
	s_cbranch_execz .LBB92_130
; %bb.1:
	s_clause 0x1
	s_load_b32 s16, s[2:3], 0x38
	s_load_b64 s[8:9], s[2:3], 0x0
	s_getreg_b32 s6, hwreg(HW_REG_IB_STS2, 6, 4)
	s_wait_kmcnt 0x0
	s_bitcmp1_b32 s16, 8
	s_cselect_b32 s41, -1, 0
	s_bfe_u32 s4, ttmp6, 0x4000c
	s_and_b32 s5, ttmp6, 15
	s_add_co_i32 s4, s4, 1
	s_delay_alu instid0(SALU_CYCLE_1) | instskip(NEXT) | instid1(SALU_CYCLE_1)
	s_mul_i32 s4, ttmp9, s4
	s_add_co_i32 s5, s5, s4
	s_cmp_eq_u32 s6, 0
	s_cselect_b32 s10, ttmp9, s5
	s_load_b128 s[4:7], s[2:3], 0x28
	s_ashr_i32 s11, s10, 31
	s_delay_alu instid0(SALU_CYCLE_1) | instskip(NEXT) | instid1(SALU_CYCLE_1)
	s_lshl_b64 s[12:13], s[10:11], 3
	s_add_nc_u64 s[8:9], s[8:9], s[12:13]
	s_load_b64 s[14:15], s[8:9], 0x0
	s_wait_xcnt 0x0
	s_bfe_u32 s8, s16, 0x10008
	s_delay_alu instid0(SALU_CYCLE_1)
	s_cmp_eq_u32 s8, 0
                                        ; implicit-def: $sgpr8_sgpr9
	s_cbranch_scc1 .LBB92_3
; %bb.2:
	s_load_b96 s[16:18], s[2:3], 0x18
	s_wait_kmcnt 0x0
	s_mul_u64 s[4:5], s[4:5], s[10:11]
	s_delay_alu instid0(SALU_CYCLE_1) | instskip(SKIP_4) | instid1(SALU_CYCLE_1)
	s_lshl_b64 s[4:5], s[4:5], 2
	s_ashr_i32 s9, s18, 31
	s_mov_b32 s8, s18
	s_add_nc_u64 s[4:5], s[16:17], s[4:5]
	s_lshl_b64 s[8:9], s[8:9], 2
	s_add_nc_u64 s[8:9], s[4:5], s[8:9]
.LBB92_3:
	s_clause 0x1
	s_load_b64 s[12:13], s[2:3], 0x8
	s_load_b32 s42, s[2:3], 0x38
	v_dual_mov_b32 v73, 0 :: v_dual_lshlrev_b32 v72, 4, v1
	s_movk_i32 s43, 0x120
	s_movk_i32 s44, 0x130
	s_movk_i32 s45, 0x140
	s_movk_i32 s46, 0x150
	s_movk_i32 s47, 0x160
	s_movk_i32 s48, 0x170
	s_movk_i32 s49, 0x180
	s_movk_i32 s50, 0x190
	s_movk_i32 s51, 0x1a0
	s_movk_i32 s52, 0x1b0
	s_movk_i32 s53, 0x1c0
	s_mov_b32 s18, 16
	s_mov_b32 s16, 32
	s_movk_i32 s40, 0x50
	s_movk_i32 s39, 0x60
	;; [unrolled: 1-line block ×3, first 2 shown]
	s_wait_kmcnt 0x0
	s_ashr_i32 s3, s12, 31
	s_mov_b32 s2, s12
	v_add3_u32 v18, s13, s13, v1
	s_lshl_b64 s[2:3], s[2:3], 4
	s_mov_b32 s12, 64
	s_add_nc_u64 s[4:5], s[14:15], s[2:3]
	s_ashr_i32 s3, s13, 31
	flat_load_b128 v[2:5], v1, s[4:5] scale_offset
	v_add_nc_u64_e32 v[14:15], s[4:5], v[72:73]
	s_mov_b32 s2, s13
	v_add_nc_u32_e32 v20, s13, v18
	s_mov_b32 s14, 48
	s_movk_i32 s37, 0x80
	s_movk_i32 s36, 0x90
	;; [unrolled: 1-line block ×3, first 2 shown]
	v_lshl_add_u64 v[16:17], s[2:3], 4, v[14:15]
	v_add_nc_u32_e32 v22, s13, v20
	s_movk_i32 s34, 0xb0
	s_movk_i32 s33, 0xc0
	;; [unrolled: 1-line block ×4, first 2 shown]
	v_add_nc_u32_e32 v24, s13, v22
	s_movk_i32 s29, 0xf0
	s_movk_i32 s28, 0x100
	;; [unrolled: 1-line block ×3, first 2 shown]
	s_mov_b32 s26, s43
	v_add_nc_u32_e32 v26, s13, v24
	s_mov_b32 s25, s44
	s_mov_b32 s24, s45
	;; [unrolled: 1-line block ×4, first 2 shown]
	v_add_nc_u32_e32 v28, s13, v26
	s_mov_b32 s21, s48
	s_mov_b32 s20, s49
	;; [unrolled: 1-line block ×4, first 2 shown]
	v_add_nc_u32_e32 v30, s13, v28
	s_mov_b32 s15, s52
	s_bitcmp0_b32 s42, 0
	s_mov_b32 s3, -1
	s_delay_alu instid0(VALU_DEP_1) | instskip(NEXT) | instid1(VALU_DEP_1)
	v_add_nc_u32_e32 v32, s13, v30
	v_add_nc_u32_e32 v34, s13, v32
	s_delay_alu instid0(VALU_DEP_1) | instskip(NEXT) | instid1(VALU_DEP_1)
	v_add_nc_u32_e32 v36, s13, v34
	v_add_nc_u32_e32 v38, s13, v36
	;; [unrolled: 3-line block ×10, first 2 shown]
	s_mov_b32 s13, s53
	s_wait_loadcnt_dscnt 0x0
	scratch_store_b128 off, v[2:5], off
	flat_load_b128 v[2:5], v[16:17]
	s_wait_loadcnt_dscnt 0x0
	scratch_store_b128 off, v[2:5], off offset:16
	flat_load_b128 v[2:5], v18, s[4:5] scale_offset
	s_wait_loadcnt_dscnt 0x0
	scratch_store_b128 off, v[2:5], off offset:32
	flat_load_b128 v[2:5], v20, s[4:5] scale_offset
	;; [unrolled: 3-line block ×27, first 2 shown]
	s_wait_loadcnt_dscnt 0x0
	scratch_store_b128 off, v[2:5], off offset:448
	s_cbranch_scc1 .LBB92_128
; %bb.4:
	v_cmp_eq_u32_e64 s2, 0, v1
	s_wait_xcnt 0x0
	s_and_saveexec_b32 s3, s2
; %bb.5:
	v_mov_b32_e32 v2, 0
	ds_store_b32 v2, v2 offset:928
; %bb.6:
	s_or_b32 exec_lo, exec_lo, s3
	s_wait_storecnt_dscnt 0x0
	s_barrier_signal -1
	s_barrier_wait -1
	scratch_load_b128 v[2:5], v1, off scale_offset
	s_wait_loadcnt 0x0
	v_cmp_eq_f64_e32 vcc_lo, 0, v[2:3]
	v_cmp_eq_f64_e64 s3, 0, v[4:5]
	s_and_b32 s3, vcc_lo, s3
	s_delay_alu instid0(SALU_CYCLE_1)
	s_and_saveexec_b32 s42, s3
	s_cbranch_execz .LBB92_10
; %bb.7:
	v_mov_b32_e32 v2, 0
	s_mov_b32 s43, 0
	ds_load_b32 v3, v2 offset:928
	s_wait_dscnt 0x0
	v_readfirstlane_b32 s3, v3
	v_add_nc_u32_e32 v3, 1, v1
	s_cmp_eq_u32 s3, 0
	s_delay_alu instid0(VALU_DEP_1) | instskip(SKIP_1) | instid1(SALU_CYCLE_1)
	v_cmp_gt_i32_e32 vcc_lo, s3, v3
	s_cselect_b32 s44, -1, 0
	s_or_b32 s44, s44, vcc_lo
	s_delay_alu instid0(SALU_CYCLE_1)
	s_and_b32 exec_lo, exec_lo, s44
	s_cbranch_execz .LBB92_10
; %bb.8:
	v_mov_b32_e32 v4, s3
.LBB92_9:                               ; =>This Inner Loop Header: Depth=1
	ds_cmpstore_rtn_b32 v4, v2, v3, v4 offset:928
	s_wait_dscnt 0x0
	v_cmp_ne_u32_e32 vcc_lo, 0, v4
	v_cmp_le_i32_e64 s3, v4, v3
	s_and_b32 s3, vcc_lo, s3
	s_delay_alu instid0(SALU_CYCLE_1) | instskip(NEXT) | instid1(SALU_CYCLE_1)
	s_and_b32 s3, exec_lo, s3
	s_or_b32 s43, s3, s43
	s_delay_alu instid0(SALU_CYCLE_1)
	s_and_not1_b32 exec_lo, exec_lo, s43
	s_cbranch_execnz .LBB92_9
.LBB92_10:
	s_or_b32 exec_lo, exec_lo, s42
	v_mov_b32_e32 v2, 0
	s_barrier_signal -1
	s_barrier_wait -1
	ds_load_b32 v3, v2 offset:928
	s_and_saveexec_b32 s3, s2
	s_cbranch_execz .LBB92_12
; %bb.11:
	s_lshl_b64 s[42:43], s[10:11], 2
	s_delay_alu instid0(SALU_CYCLE_1)
	s_add_nc_u64 s[42:43], s[6:7], s[42:43]
	s_wait_dscnt 0x0
	global_store_b32 v2, v3, s[42:43]
.LBB92_12:
	s_wait_xcnt 0x0
	s_or_b32 exec_lo, exec_lo, s3
	s_wait_dscnt 0x0
	v_cmp_ne_u32_e32 vcc_lo, 0, v3
	s_mov_b32 s3, 0
	s_cbranch_vccnz .LBB92_128
; %bb.13:
	v_lshl_add_u32 v19, v1, 4, 0
                                        ; implicit-def: $vgpr6_vgpr7
                                        ; implicit-def: $vgpr10_vgpr11
	scratch_load_b128 v[2:5], v19, off
	s_wait_loadcnt 0x0
	v_cmp_ngt_f64_e64 s3, |v[2:3]|, |v[4:5]|
	s_wait_xcnt 0x0
	s_and_saveexec_b32 s42, s3
	s_delay_alu instid0(SALU_CYCLE_1)
	s_xor_b32 s3, exec_lo, s42
	s_cbranch_execz .LBB92_15
; %bb.14:
	v_div_scale_f64 v[6:7], null, v[4:5], v[4:5], v[2:3]
	v_div_scale_f64 v[12:13], vcc_lo, v[2:3], v[4:5], v[2:3]
	s_delay_alu instid0(VALU_DEP_2) | instskip(SKIP_1) | instid1(TRANS32_DEP_1)
	v_rcp_f64_e32 v[8:9], v[6:7]
	v_nop
	v_fma_f64 v[10:11], -v[6:7], v[8:9], 1.0
	s_delay_alu instid0(VALU_DEP_1) | instskip(NEXT) | instid1(VALU_DEP_1)
	v_fmac_f64_e32 v[8:9], v[8:9], v[10:11]
	v_fma_f64 v[10:11], -v[6:7], v[8:9], 1.0
	s_delay_alu instid0(VALU_DEP_1) | instskip(NEXT) | instid1(VALU_DEP_1)
	v_fmac_f64_e32 v[8:9], v[8:9], v[10:11]
	v_mul_f64_e32 v[10:11], v[12:13], v[8:9]
	s_delay_alu instid0(VALU_DEP_1) | instskip(NEXT) | instid1(VALU_DEP_1)
	v_fma_f64 v[6:7], -v[6:7], v[10:11], v[12:13]
	v_div_fmas_f64 v[6:7], v[6:7], v[8:9], v[10:11]
	s_delay_alu instid0(VALU_DEP_1) | instskip(NEXT) | instid1(VALU_DEP_1)
	v_div_fixup_f64 v[6:7], v[6:7], v[4:5], v[2:3]
	v_fmac_f64_e32 v[4:5], v[2:3], v[6:7]
	s_delay_alu instid0(VALU_DEP_1) | instskip(SKIP_1) | instid1(VALU_DEP_2)
	v_div_scale_f64 v[2:3], null, v[4:5], v[4:5], 1.0
	v_div_scale_f64 v[12:13], vcc_lo, 1.0, v[4:5], 1.0
	v_rcp_f64_e32 v[8:9], v[2:3]
	v_nop
	s_delay_alu instid0(TRANS32_DEP_1) | instskip(NEXT) | instid1(VALU_DEP_1)
	v_fma_f64 v[10:11], -v[2:3], v[8:9], 1.0
	v_fmac_f64_e32 v[8:9], v[8:9], v[10:11]
	s_delay_alu instid0(VALU_DEP_1) | instskip(NEXT) | instid1(VALU_DEP_1)
	v_fma_f64 v[10:11], -v[2:3], v[8:9], 1.0
	v_fmac_f64_e32 v[8:9], v[8:9], v[10:11]
	s_delay_alu instid0(VALU_DEP_1) | instskip(NEXT) | instid1(VALU_DEP_1)
	v_mul_f64_e32 v[10:11], v[12:13], v[8:9]
	v_fma_f64 v[2:3], -v[2:3], v[10:11], v[12:13]
	s_delay_alu instid0(VALU_DEP_1) | instskip(NEXT) | instid1(VALU_DEP_1)
	v_div_fmas_f64 v[2:3], v[2:3], v[8:9], v[10:11]
	v_div_fixup_f64 v[8:9], v[2:3], v[4:5], 1.0
                                        ; implicit-def: $vgpr2_vgpr3
	s_delay_alu instid0(VALU_DEP_1) | instskip(SKIP_1) | instid1(VALU_DEP_2)
	v_mul_f64_e32 v[6:7], v[6:7], v[8:9]
	v_xor_b32_e32 v9, 0x80000000, v9
	v_xor_b32_e32 v11, 0x80000000, v7
	s_delay_alu instid0(VALU_DEP_3)
	v_mov_b32_e32 v10, v6
.LBB92_15:
	s_and_not1_saveexec_b32 s3, s3
	s_cbranch_execz .LBB92_17
; %bb.16:
	v_div_scale_f64 v[6:7], null, v[2:3], v[2:3], v[4:5]
	v_div_scale_f64 v[12:13], vcc_lo, v[4:5], v[2:3], v[4:5]
	s_delay_alu instid0(VALU_DEP_2) | instskip(SKIP_1) | instid1(TRANS32_DEP_1)
	v_rcp_f64_e32 v[8:9], v[6:7]
	v_nop
	v_fma_f64 v[10:11], -v[6:7], v[8:9], 1.0
	s_delay_alu instid0(VALU_DEP_1) | instskip(NEXT) | instid1(VALU_DEP_1)
	v_fmac_f64_e32 v[8:9], v[8:9], v[10:11]
	v_fma_f64 v[10:11], -v[6:7], v[8:9], 1.0
	s_delay_alu instid0(VALU_DEP_1) | instskip(NEXT) | instid1(VALU_DEP_1)
	v_fmac_f64_e32 v[8:9], v[8:9], v[10:11]
	v_mul_f64_e32 v[10:11], v[12:13], v[8:9]
	s_delay_alu instid0(VALU_DEP_1) | instskip(NEXT) | instid1(VALU_DEP_1)
	v_fma_f64 v[6:7], -v[6:7], v[10:11], v[12:13]
	v_div_fmas_f64 v[6:7], v[6:7], v[8:9], v[10:11]
	s_delay_alu instid0(VALU_DEP_1) | instskip(NEXT) | instid1(VALU_DEP_1)
	v_div_fixup_f64 v[8:9], v[6:7], v[2:3], v[4:5]
	v_fmac_f64_e32 v[2:3], v[4:5], v[8:9]
	s_delay_alu instid0(VALU_DEP_1) | instskip(NEXT) | instid1(VALU_DEP_1)
	v_div_scale_f64 v[4:5], null, v[2:3], v[2:3], 1.0
	v_rcp_f64_e32 v[6:7], v[4:5]
	v_nop
	s_delay_alu instid0(TRANS32_DEP_1) | instskip(NEXT) | instid1(VALU_DEP_1)
	v_fma_f64 v[10:11], -v[4:5], v[6:7], 1.0
	v_fmac_f64_e32 v[6:7], v[6:7], v[10:11]
	s_delay_alu instid0(VALU_DEP_1) | instskip(NEXT) | instid1(VALU_DEP_1)
	v_fma_f64 v[10:11], -v[4:5], v[6:7], 1.0
	v_fmac_f64_e32 v[6:7], v[6:7], v[10:11]
	v_div_scale_f64 v[10:11], vcc_lo, 1.0, v[2:3], 1.0
	s_delay_alu instid0(VALU_DEP_1) | instskip(NEXT) | instid1(VALU_DEP_1)
	v_mul_f64_e32 v[12:13], v[10:11], v[6:7]
	v_fma_f64 v[4:5], -v[4:5], v[12:13], v[10:11]
	s_delay_alu instid0(VALU_DEP_1) | instskip(NEXT) | instid1(VALU_DEP_1)
	v_div_fmas_f64 v[4:5], v[4:5], v[6:7], v[12:13]
	v_div_fixup_f64 v[6:7], v[4:5], v[2:3], 1.0
	s_delay_alu instid0(VALU_DEP_1)
	v_mul_f64_e64 v[8:9], v[8:9], -v[6:7]
	v_xor_b32_e32 v11, 0x80000000, v7
	v_mov_b32_e32 v10, v6
.LBB92_17:
	s_or_b32 exec_lo, exec_lo, s3
	s_clause 0x1
	scratch_store_b128 v19, v[6:9], off
	scratch_load_b128 v[2:5], off, s18
	v_xor_b32_e32 v13, 0x80000000, v9
	v_mov_b32_e32 v12, v8
	s_wait_xcnt 0x1
	v_add_nc_u32_e32 v6, 0x1d0, v72
	ds_store_b128 v72, v[10:13]
	s_wait_loadcnt 0x0
	ds_store_b128 v72, v[2:5] offset:464
	s_wait_storecnt_dscnt 0x0
	s_barrier_signal -1
	s_barrier_wait -1
	s_wait_xcnt 0x0
	s_and_saveexec_b32 s3, s2
	s_cbranch_execz .LBB92_19
; %bb.18:
	scratch_load_b128 v[2:5], v19, off
	ds_load_b128 v[8:11], v6
	v_mov_b32_e32 v7, 0
	ds_load_b128 v[74:77], v7 offset:16
	s_wait_loadcnt_dscnt 0x1
	v_mul_f64_e32 v[12:13], v[8:9], v[4:5]
	v_mul_f64_e32 v[4:5], v[10:11], v[4:5]
	s_delay_alu instid0(VALU_DEP_2) | instskip(NEXT) | instid1(VALU_DEP_2)
	v_fmac_f64_e32 v[12:13], v[10:11], v[2:3]
	v_fma_f64 v[2:3], v[8:9], v[2:3], -v[4:5]
	s_delay_alu instid0(VALU_DEP_2) | instskip(NEXT) | instid1(VALU_DEP_2)
	v_add_f64_e32 v[8:9], 0, v[12:13]
	v_add_f64_e32 v[2:3], 0, v[2:3]
	s_wait_dscnt 0x0
	s_delay_alu instid0(VALU_DEP_2) | instskip(NEXT) | instid1(VALU_DEP_2)
	v_mul_f64_e32 v[10:11], v[8:9], v[76:77]
	v_mul_f64_e32 v[4:5], v[2:3], v[76:77]
	s_delay_alu instid0(VALU_DEP_2) | instskip(NEXT) | instid1(VALU_DEP_2)
	v_fma_f64 v[2:3], v[2:3], v[74:75], -v[10:11]
	v_fmac_f64_e32 v[4:5], v[8:9], v[74:75]
	scratch_store_b128 off, v[2:5], off offset:16
.LBB92_19:
	s_wait_xcnt 0x0
	s_or_b32 exec_lo, exec_lo, s3
	s_wait_storecnt 0x0
	s_barrier_signal -1
	s_barrier_wait -1
	scratch_load_b128 v[2:5], off, s16
	s_mov_b32 s3, exec_lo
	s_wait_loadcnt 0x0
	ds_store_b128 v6, v[2:5]
	s_wait_dscnt 0x0
	s_barrier_signal -1
	s_barrier_wait -1
	v_cmpx_gt_u32_e32 2, v1
	s_cbranch_execz .LBB92_23
; %bb.20:
	scratch_load_b128 v[2:5], v19, off
	ds_load_b128 v[8:11], v6
	s_wait_loadcnt_dscnt 0x0
	v_mul_f64_e32 v[12:13], v[10:11], v[4:5]
	v_mul_f64_e32 v[74:75], v[8:9], v[4:5]
	s_delay_alu instid0(VALU_DEP_2) | instskip(NEXT) | instid1(VALU_DEP_2)
	v_fma_f64 v[4:5], v[8:9], v[2:3], -v[12:13]
	v_fmac_f64_e32 v[74:75], v[10:11], v[2:3]
	s_delay_alu instid0(VALU_DEP_2) | instskip(NEXT) | instid1(VALU_DEP_2)
	v_add_f64_e32 v[4:5], 0, v[4:5]
	v_add_f64_e32 v[2:3], 0, v[74:75]
	s_and_saveexec_b32 s42, s2
	s_cbranch_execz .LBB92_22
; %bb.21:
	scratch_load_b128 v[8:11], off, off offset:16
	v_mov_b32_e32 v7, 0
	ds_load_b128 v[74:77], v7 offset:480
	s_wait_loadcnt_dscnt 0x0
	v_mul_f64_e32 v[12:13], v[74:75], v[10:11]
	v_mul_f64_e32 v[10:11], v[76:77], v[10:11]
	s_delay_alu instid0(VALU_DEP_2) | instskip(NEXT) | instid1(VALU_DEP_2)
	v_fmac_f64_e32 v[12:13], v[76:77], v[8:9]
	v_fma_f64 v[8:9], v[74:75], v[8:9], -v[10:11]
	s_delay_alu instid0(VALU_DEP_2) | instskip(NEXT) | instid1(VALU_DEP_2)
	v_add_f64_e32 v[2:3], v[2:3], v[12:13]
	v_add_f64_e32 v[4:5], v[4:5], v[8:9]
.LBB92_22:
	s_or_b32 exec_lo, exec_lo, s42
	v_mov_b32_e32 v7, 0
	ds_load_b128 v[8:11], v7 offset:32
	s_wait_dscnt 0x0
	v_mul_f64_e32 v[74:75], v[2:3], v[10:11]
	v_mul_f64_e32 v[12:13], v[4:5], v[10:11]
	s_delay_alu instid0(VALU_DEP_2) | instskip(NEXT) | instid1(VALU_DEP_2)
	v_fma_f64 v[10:11], v[4:5], v[8:9], -v[74:75]
	v_fmac_f64_e32 v[12:13], v[2:3], v[8:9]
	scratch_store_b128 off, v[10:13], off offset:32
.LBB92_23:
	s_wait_xcnt 0x0
	s_or_b32 exec_lo, exec_lo, s3
	s_wait_storecnt 0x0
	s_barrier_signal -1
	s_barrier_wait -1
	scratch_load_b128 v[2:5], off, s14
	v_add_nc_u32_e32 v7, -1, v1
	s_mov_b32 s2, exec_lo
	s_wait_loadcnt 0x0
	ds_store_b128 v6, v[2:5]
	s_wait_dscnt 0x0
	s_barrier_signal -1
	s_barrier_wait -1
	v_cmpx_gt_u32_e32 3, v1
	s_cbranch_execz .LBB92_27
; %bb.24:
	v_dual_mov_b32 v10, v72 :: v_dual_add_nc_u32 v8, -1, v1
	v_mov_b64_e32 v[2:3], 0
	v_mov_b64_e32 v[4:5], 0
	v_add_nc_u32_e32 v9, 0x1d0, v72
	s_delay_alu instid0(VALU_DEP_4)
	v_or_b32_e32 v10, 8, v10
	s_mov_b32 s3, 0
.LBB92_25:                              ; =>This Inner Loop Header: Depth=1
	scratch_load_b128 v[74:77], v10, off offset:-8
	ds_load_b128 v[78:81], v9
	s_wait_xcnt 0x0
	v_dual_add_nc_u32 v9, 16, v9 :: v_dual_add_nc_u32 v10, 16, v10
	v_add_nc_u32_e32 v8, 1, v8
	s_delay_alu instid0(VALU_DEP_1) | instskip(SKIP_4) | instid1(VALU_DEP_2)
	v_cmp_lt_u32_e32 vcc_lo, 1, v8
	s_or_b32 s3, vcc_lo, s3
	s_wait_loadcnt_dscnt 0x0
	v_mul_f64_e32 v[12:13], v[80:81], v[76:77]
	v_mul_f64_e32 v[76:77], v[78:79], v[76:77]
	v_fma_f64 v[12:13], v[78:79], v[74:75], -v[12:13]
	s_delay_alu instid0(VALU_DEP_2) | instskip(NEXT) | instid1(VALU_DEP_2)
	v_fmac_f64_e32 v[76:77], v[80:81], v[74:75]
	v_add_f64_e32 v[4:5], v[4:5], v[12:13]
	s_delay_alu instid0(VALU_DEP_2)
	v_add_f64_e32 v[2:3], v[2:3], v[76:77]
	s_and_not1_b32 exec_lo, exec_lo, s3
	s_cbranch_execnz .LBB92_25
; %bb.26:
	s_or_b32 exec_lo, exec_lo, s3
	v_mov_b32_e32 v8, 0
	ds_load_b128 v[8:11], v8 offset:48
	s_wait_dscnt 0x0
	v_mul_f64_e32 v[74:75], v[2:3], v[10:11]
	v_mul_f64_e32 v[12:13], v[4:5], v[10:11]
	s_delay_alu instid0(VALU_DEP_2) | instskip(NEXT) | instid1(VALU_DEP_2)
	v_fma_f64 v[10:11], v[4:5], v[8:9], -v[74:75]
	v_fmac_f64_e32 v[12:13], v[2:3], v[8:9]
	scratch_store_b128 off, v[10:13], off offset:48
.LBB92_27:
	s_wait_xcnt 0x0
	s_or_b32 exec_lo, exec_lo, s2
	s_wait_storecnt 0x0
	s_barrier_signal -1
	s_barrier_wait -1
	scratch_load_b128 v[2:5], off, s12
	s_mov_b32 s2, exec_lo
	s_wait_loadcnt 0x0
	ds_store_b128 v6, v[2:5]
	s_wait_dscnt 0x0
	s_barrier_signal -1
	s_barrier_wait -1
	v_cmpx_gt_u32_e32 4, v1
	s_cbranch_execz .LBB92_31
; %bb.28:
	v_dual_mov_b32 v10, v72 :: v_dual_add_nc_u32 v8, -1, v1
	v_mov_b64_e32 v[2:3], 0
	v_mov_b64_e32 v[4:5], 0
	v_add_nc_u32_e32 v9, 0x1d0, v72
	s_delay_alu instid0(VALU_DEP_4)
	v_or_b32_e32 v10, 8, v10
	s_mov_b32 s3, 0
.LBB92_29:                              ; =>This Inner Loop Header: Depth=1
	scratch_load_b128 v[74:77], v10, off offset:-8
	ds_load_b128 v[78:81], v9
	s_wait_xcnt 0x0
	v_dual_add_nc_u32 v9, 16, v9 :: v_dual_add_nc_u32 v10, 16, v10
	v_add_nc_u32_e32 v8, 1, v8
	s_delay_alu instid0(VALU_DEP_1) | instskip(SKIP_4) | instid1(VALU_DEP_2)
	v_cmp_lt_u32_e32 vcc_lo, 2, v8
	s_or_b32 s3, vcc_lo, s3
	s_wait_loadcnt_dscnt 0x0
	v_mul_f64_e32 v[12:13], v[80:81], v[76:77]
	v_mul_f64_e32 v[76:77], v[78:79], v[76:77]
	v_fma_f64 v[12:13], v[78:79], v[74:75], -v[12:13]
	s_delay_alu instid0(VALU_DEP_2) | instskip(NEXT) | instid1(VALU_DEP_2)
	v_fmac_f64_e32 v[76:77], v[80:81], v[74:75]
	v_add_f64_e32 v[4:5], v[4:5], v[12:13]
	s_delay_alu instid0(VALU_DEP_2)
	v_add_f64_e32 v[2:3], v[2:3], v[76:77]
	s_and_not1_b32 exec_lo, exec_lo, s3
	s_cbranch_execnz .LBB92_29
; %bb.30:
	s_or_b32 exec_lo, exec_lo, s3
	v_mov_b32_e32 v8, 0
	ds_load_b128 v[8:11], v8 offset:64
	s_wait_dscnt 0x0
	v_mul_f64_e32 v[74:75], v[2:3], v[10:11]
	v_mul_f64_e32 v[12:13], v[4:5], v[10:11]
	s_delay_alu instid0(VALU_DEP_2) | instskip(NEXT) | instid1(VALU_DEP_2)
	v_fma_f64 v[10:11], v[4:5], v[8:9], -v[74:75]
	v_fmac_f64_e32 v[12:13], v[2:3], v[8:9]
	scratch_store_b128 off, v[10:13], off offset:64
.LBB92_31:
	s_wait_xcnt 0x0
	s_or_b32 exec_lo, exec_lo, s2
	s_wait_storecnt 0x0
	s_barrier_signal -1
	s_barrier_wait -1
	scratch_load_b128 v[2:5], off, s40
	;; [unrolled: 54-line block ×19, first 2 shown]
	s_mov_b32 s2, exec_lo
	s_wait_loadcnt 0x0
	ds_store_b128 v6, v[2:5]
	s_wait_dscnt 0x0
	s_barrier_signal -1
	s_barrier_wait -1
	v_cmpx_gt_u32_e32 22, v1
	s_cbranch_execz .LBB92_103
; %bb.100:
	v_dual_mov_b32 v10, v72 :: v_dual_add_nc_u32 v8, -1, v1
	v_mov_b64_e32 v[2:3], 0
	v_mov_b64_e32 v[4:5], 0
	v_add_nc_u32_e32 v9, 0x1d0, v72
	s_delay_alu instid0(VALU_DEP_4)
	v_or_b32_e32 v10, 8, v10
	s_mov_b32 s3, 0
.LBB92_101:                             ; =>This Inner Loop Header: Depth=1
	scratch_load_b128 v[74:77], v10, off offset:-8
	ds_load_b128 v[78:81], v9
	s_wait_xcnt 0x0
	v_dual_add_nc_u32 v9, 16, v9 :: v_dual_add_nc_u32 v10, 16, v10
	v_add_nc_u32_e32 v8, 1, v8
	s_delay_alu instid0(VALU_DEP_1) | instskip(SKIP_4) | instid1(VALU_DEP_2)
	v_cmp_lt_u32_e32 vcc_lo, 20, v8
	s_or_b32 s3, vcc_lo, s3
	s_wait_loadcnt_dscnt 0x0
	v_mul_f64_e32 v[12:13], v[80:81], v[76:77]
	v_mul_f64_e32 v[76:77], v[78:79], v[76:77]
	v_fma_f64 v[12:13], v[78:79], v[74:75], -v[12:13]
	s_delay_alu instid0(VALU_DEP_2) | instskip(NEXT) | instid1(VALU_DEP_2)
	v_fmac_f64_e32 v[76:77], v[80:81], v[74:75]
	v_add_f64_e32 v[4:5], v[4:5], v[12:13]
	s_delay_alu instid0(VALU_DEP_2)
	v_add_f64_e32 v[2:3], v[2:3], v[76:77]
	s_and_not1_b32 exec_lo, exec_lo, s3
	s_cbranch_execnz .LBB92_101
; %bb.102:
	s_or_b32 exec_lo, exec_lo, s3
	v_mov_b32_e32 v8, 0
	ds_load_b128 v[8:11], v8 offset:352
	s_wait_dscnt 0x0
	v_mul_f64_e32 v[74:75], v[2:3], v[10:11]
	v_mul_f64_e32 v[12:13], v[4:5], v[10:11]
	s_delay_alu instid0(VALU_DEP_2) | instskip(NEXT) | instid1(VALU_DEP_2)
	v_fma_f64 v[10:11], v[4:5], v[8:9], -v[74:75]
	v_fmac_f64_e32 v[12:13], v[2:3], v[8:9]
	scratch_store_b128 off, v[10:13], off offset:352
.LBB92_103:
	s_wait_xcnt 0x0
	s_or_b32 exec_lo, exec_lo, s2
	s_wait_storecnt 0x0
	s_barrier_signal -1
	s_barrier_wait -1
	scratch_load_b128 v[2:5], off, s21
	s_mov_b32 s2, exec_lo
	s_wait_loadcnt 0x0
	ds_store_b128 v6, v[2:5]
	s_wait_dscnt 0x0
	s_barrier_signal -1
	s_barrier_wait -1
	v_cmpx_gt_u32_e32 23, v1
	s_cbranch_execz .LBB92_107
; %bb.104:
	v_dual_mov_b32 v10, v72 :: v_dual_add_nc_u32 v8, -1, v1
	v_mov_b64_e32 v[2:3], 0
	v_mov_b64_e32 v[4:5], 0
	v_add_nc_u32_e32 v9, 0x1d0, v72
	s_delay_alu instid0(VALU_DEP_4)
	v_or_b32_e32 v10, 8, v10
	s_mov_b32 s3, 0
.LBB92_105:                             ; =>This Inner Loop Header: Depth=1
	scratch_load_b128 v[74:77], v10, off offset:-8
	ds_load_b128 v[78:81], v9
	s_wait_xcnt 0x0
	v_dual_add_nc_u32 v9, 16, v9 :: v_dual_add_nc_u32 v10, 16, v10
	v_add_nc_u32_e32 v8, 1, v8
	s_delay_alu instid0(VALU_DEP_1) | instskip(SKIP_4) | instid1(VALU_DEP_2)
	v_cmp_lt_u32_e32 vcc_lo, 21, v8
	s_or_b32 s3, vcc_lo, s3
	s_wait_loadcnt_dscnt 0x0
	v_mul_f64_e32 v[12:13], v[80:81], v[76:77]
	v_mul_f64_e32 v[76:77], v[78:79], v[76:77]
	v_fma_f64 v[12:13], v[78:79], v[74:75], -v[12:13]
	s_delay_alu instid0(VALU_DEP_2) | instskip(NEXT) | instid1(VALU_DEP_2)
	v_fmac_f64_e32 v[76:77], v[80:81], v[74:75]
	v_add_f64_e32 v[4:5], v[4:5], v[12:13]
	s_delay_alu instid0(VALU_DEP_2)
	v_add_f64_e32 v[2:3], v[2:3], v[76:77]
	s_and_not1_b32 exec_lo, exec_lo, s3
	s_cbranch_execnz .LBB92_105
; %bb.106:
	s_or_b32 exec_lo, exec_lo, s3
	v_mov_b32_e32 v8, 0
	ds_load_b128 v[8:11], v8 offset:368
	s_wait_dscnt 0x0
	v_mul_f64_e32 v[74:75], v[2:3], v[10:11]
	v_mul_f64_e32 v[12:13], v[4:5], v[10:11]
	s_delay_alu instid0(VALU_DEP_2) | instskip(NEXT) | instid1(VALU_DEP_2)
	v_fma_f64 v[10:11], v[4:5], v[8:9], -v[74:75]
	v_fmac_f64_e32 v[12:13], v[2:3], v[8:9]
	scratch_store_b128 off, v[10:13], off offset:368
.LBB92_107:
	s_wait_xcnt 0x0
	s_or_b32 exec_lo, exec_lo, s2
	s_wait_storecnt 0x0
	s_barrier_signal -1
	s_barrier_wait -1
	scratch_load_b128 v[2:5], off, s20
	;; [unrolled: 54-line block ×6, first 2 shown]
	s_mov_b32 s2, exec_lo
	s_wait_loadcnt 0x0
	ds_store_b128 v6, v[2:5]
	s_wait_dscnt 0x0
	s_barrier_signal -1
	s_barrier_wait -1
	v_cmpx_ne_u32_e32 28, v1
	s_cbranch_execz .LBB92_127
; %bb.124:
	v_mov_b32_e32 v8, v72
	v_mov_b64_e32 v[2:3], 0
	v_mov_b64_e32 v[4:5], 0
	s_mov_b32 s3, 0
	s_delay_alu instid0(VALU_DEP_3)
	v_or_b32_e32 v8, 8, v8
.LBB92_125:                             ; =>This Inner Loop Header: Depth=1
	scratch_load_b128 v[10:13], v8, off offset:-8
	ds_load_b128 v[72:75], v6
	v_dual_add_nc_u32 v7, 1, v7 :: v_dual_add_nc_u32 v6, 16, v6
	s_wait_xcnt 0x0
	v_add_nc_u32_e32 v8, 16, v8
	s_delay_alu instid0(VALU_DEP_2) | instskip(SKIP_4) | instid1(VALU_DEP_2)
	v_cmp_lt_u32_e32 vcc_lo, 26, v7
	s_or_b32 s3, vcc_lo, s3
	s_wait_loadcnt_dscnt 0x0
	v_mul_f64_e32 v[76:77], v[74:75], v[12:13]
	v_mul_f64_e32 v[12:13], v[72:73], v[12:13]
	v_fma_f64 v[72:73], v[72:73], v[10:11], -v[76:77]
	s_delay_alu instid0(VALU_DEP_2) | instskip(NEXT) | instid1(VALU_DEP_2)
	v_fmac_f64_e32 v[12:13], v[74:75], v[10:11]
	v_add_f64_e32 v[4:5], v[4:5], v[72:73]
	s_delay_alu instid0(VALU_DEP_2)
	v_add_f64_e32 v[2:3], v[2:3], v[12:13]
	s_and_not1_b32 exec_lo, exec_lo, s3
	s_cbranch_execnz .LBB92_125
; %bb.126:
	s_or_b32 exec_lo, exec_lo, s3
	v_mov_b32_e32 v6, 0
	ds_load_b128 v[6:9], v6 offset:448
	s_wait_dscnt 0x0
	v_mul_f64_e32 v[12:13], v[2:3], v[8:9]
	v_mul_f64_e32 v[10:11], v[4:5], v[8:9]
	s_delay_alu instid0(VALU_DEP_2) | instskip(NEXT) | instid1(VALU_DEP_2)
	v_fma_f64 v[8:9], v[4:5], v[6:7], -v[12:13]
	v_fmac_f64_e32 v[10:11], v[2:3], v[6:7]
	scratch_store_b128 off, v[8:11], off offset:448
.LBB92_127:
	s_wait_xcnt 0x0
	s_or_b32 exec_lo, exec_lo, s2
	s_mov_b32 s3, -1
	s_wait_storecnt 0x0
	s_barrier_signal -1
	s_barrier_wait -1
.LBB92_128:
	s_and_b32 vcc_lo, exec_lo, s3
	s_cbranch_vccz .LBB92_130
; %bb.129:
	s_wait_xcnt 0x0
	v_mov_b32_e32 v2, 0
	s_lshl_b64 s[2:3], s[10:11], 2
	s_delay_alu instid0(SALU_CYCLE_1)
	s_add_nc_u64 s[2:3], s[6:7], s[2:3]
	global_load_b32 v2, v2, s[2:3]
	s_wait_loadcnt 0x0
	v_cmp_ne_u32_e32 vcc_lo, 0, v2
	s_cbranch_vccz .LBB92_131
.LBB92_130:
	s_sendmsg sendmsg(MSG_DEALLOC_VGPRS)
	s_endpgm
.LBB92_131:
	v_lshl_add_u32 v6, v1, 4, 0x1d0
	s_wait_xcnt 0x0
	s_mov_b32 s2, exec_lo
	v_cmpx_eq_u32_e32 28, v1
	s_cbranch_execz .LBB92_133
; %bb.132:
	scratch_load_b128 v[2:5], off, s15
	v_mov_b32_e32 v8, 0
	s_delay_alu instid0(VALU_DEP_1)
	v_dual_mov_b32 v9, v8 :: v_dual_mov_b32 v10, v8
	v_mov_b32_e32 v11, v8
	scratch_store_b128 off, v[8:11], off offset:432
	s_wait_loadcnt 0x0
	ds_store_b128 v6, v[2:5]
.LBB92_133:
	s_wait_xcnt 0x0
	s_or_b32 exec_lo, exec_lo, s2
	s_wait_storecnt_dscnt 0x0
	s_barrier_signal -1
	s_barrier_wait -1
	s_clause 0x1
	scratch_load_b128 v[8:11], off, off offset:448
	scratch_load_b128 v[72:75], off, off offset:432
	v_mov_b32_e32 v2, 0
	s_mov_b32 s2, exec_lo
	ds_load_b128 v[76:79], v2 offset:912
	s_wait_loadcnt_dscnt 0x100
	v_mul_f64_e32 v[4:5], v[78:79], v[10:11]
	v_mul_f64_e32 v[10:11], v[76:77], v[10:11]
	s_delay_alu instid0(VALU_DEP_2) | instskip(NEXT) | instid1(VALU_DEP_2)
	v_fma_f64 v[4:5], v[76:77], v[8:9], -v[4:5]
	v_fmac_f64_e32 v[10:11], v[78:79], v[8:9]
	s_delay_alu instid0(VALU_DEP_2) | instskip(NEXT) | instid1(VALU_DEP_2)
	v_add_f64_e32 v[4:5], 0, v[4:5]
	v_add_f64_e32 v[10:11], 0, v[10:11]
	s_wait_loadcnt 0x0
	s_delay_alu instid0(VALU_DEP_2) | instskip(NEXT) | instid1(VALU_DEP_2)
	v_add_f64_e64 v[8:9], v[72:73], -v[4:5]
	v_add_f64_e64 v[10:11], v[74:75], -v[10:11]
	scratch_store_b128 off, v[8:11], off offset:432
	s_wait_xcnt 0x0
	v_cmpx_lt_u32_e32 26, v1
	s_cbranch_execz .LBB92_135
; %bb.134:
	scratch_load_b128 v[8:11], off, s17
	v_dual_mov_b32 v3, v2 :: v_dual_mov_b32 v4, v2
	v_mov_b32_e32 v5, v2
	scratch_store_b128 off, v[2:5], off offset:416
	s_wait_loadcnt 0x0
	ds_store_b128 v6, v[8:11]
.LBB92_135:
	s_wait_xcnt 0x0
	s_or_b32 exec_lo, exec_lo, s2
	s_wait_storecnt_dscnt 0x0
	s_barrier_signal -1
	s_barrier_wait -1
	s_clause 0x2
	scratch_load_b128 v[8:11], off, off offset:432
	scratch_load_b128 v[72:75], off, off offset:448
	;; [unrolled: 1-line block ×3, first 2 shown]
	ds_load_b128 v[80:83], v2 offset:896
	ds_load_b128 v[2:5], v2 offset:912
	s_mov_b32 s2, exec_lo
	s_wait_loadcnt_dscnt 0x201
	v_mul_f64_e32 v[12:13], v[82:83], v[10:11]
	v_mul_f64_e32 v[10:11], v[80:81], v[10:11]
	s_wait_loadcnt_dscnt 0x100
	v_mul_f64_e32 v[84:85], v[2:3], v[74:75]
	v_mul_f64_e32 v[74:75], v[4:5], v[74:75]
	s_delay_alu instid0(VALU_DEP_4) | instskip(NEXT) | instid1(VALU_DEP_4)
	v_fma_f64 v[12:13], v[80:81], v[8:9], -v[12:13]
	v_fmac_f64_e32 v[10:11], v[82:83], v[8:9]
	s_delay_alu instid0(VALU_DEP_4) | instskip(NEXT) | instid1(VALU_DEP_4)
	v_fmac_f64_e32 v[84:85], v[4:5], v[72:73]
	v_fma_f64 v[2:3], v[2:3], v[72:73], -v[74:75]
	s_delay_alu instid0(VALU_DEP_4) | instskip(NEXT) | instid1(VALU_DEP_4)
	v_add_f64_e32 v[4:5], 0, v[12:13]
	v_add_f64_e32 v[8:9], 0, v[10:11]
	s_delay_alu instid0(VALU_DEP_2) | instskip(NEXT) | instid1(VALU_DEP_2)
	v_add_f64_e32 v[2:3], v[4:5], v[2:3]
	v_add_f64_e32 v[4:5], v[8:9], v[84:85]
	s_wait_loadcnt 0x0
	s_delay_alu instid0(VALU_DEP_2) | instskip(NEXT) | instid1(VALU_DEP_2)
	v_add_f64_e64 v[2:3], v[76:77], -v[2:3]
	v_add_f64_e64 v[4:5], v[78:79], -v[4:5]
	scratch_store_b128 off, v[2:5], off offset:416
	s_wait_xcnt 0x0
	v_cmpx_lt_u32_e32 25, v1
	s_cbranch_execz .LBB92_137
; %bb.136:
	scratch_load_b128 v[2:5], off, s19
	v_mov_b32_e32 v8, 0
	s_delay_alu instid0(VALU_DEP_1)
	v_dual_mov_b32 v9, v8 :: v_dual_mov_b32 v10, v8
	v_mov_b32_e32 v11, v8
	scratch_store_b128 off, v[8:11], off offset:400
	s_wait_loadcnt 0x0
	ds_store_b128 v6, v[2:5]
.LBB92_137:
	s_wait_xcnt 0x0
	s_or_b32 exec_lo, exec_lo, s2
	s_wait_storecnt_dscnt 0x0
	s_barrier_signal -1
	s_barrier_wait -1
	s_clause 0x3
	scratch_load_b128 v[8:11], off, off offset:416
	scratch_load_b128 v[72:75], off, off offset:432
	;; [unrolled: 1-line block ×4, first 2 shown]
	v_mov_b32_e32 v2, 0
	ds_load_b128 v[84:87], v2 offset:880
	ds_load_b128 v[88:91], v2 offset:896
	s_mov_b32 s2, exec_lo
	s_wait_loadcnt_dscnt 0x301
	v_mul_f64_e32 v[4:5], v[86:87], v[10:11]
	v_mul_f64_e32 v[12:13], v[84:85], v[10:11]
	s_wait_loadcnt_dscnt 0x200
	v_mul_f64_e32 v[92:93], v[88:89], v[74:75]
	v_mul_f64_e32 v[74:75], v[90:91], v[74:75]
	s_delay_alu instid0(VALU_DEP_4) | instskip(NEXT) | instid1(VALU_DEP_4)
	v_fma_f64 v[4:5], v[84:85], v[8:9], -v[4:5]
	v_fmac_f64_e32 v[12:13], v[86:87], v[8:9]
	ds_load_b128 v[8:11], v2 offset:912
	v_fmac_f64_e32 v[92:93], v[90:91], v[72:73]
	v_fma_f64 v[72:73], v[88:89], v[72:73], -v[74:75]
	s_wait_loadcnt_dscnt 0x100
	v_mul_f64_e32 v[84:85], v[8:9], v[78:79]
	v_mul_f64_e32 v[78:79], v[10:11], v[78:79]
	v_add_f64_e32 v[4:5], 0, v[4:5]
	v_add_f64_e32 v[12:13], 0, v[12:13]
	s_delay_alu instid0(VALU_DEP_4) | instskip(NEXT) | instid1(VALU_DEP_4)
	v_fmac_f64_e32 v[84:85], v[10:11], v[76:77]
	v_fma_f64 v[8:9], v[8:9], v[76:77], -v[78:79]
	s_delay_alu instid0(VALU_DEP_4) | instskip(NEXT) | instid1(VALU_DEP_4)
	v_add_f64_e32 v[4:5], v[4:5], v[72:73]
	v_add_f64_e32 v[10:11], v[12:13], v[92:93]
	s_delay_alu instid0(VALU_DEP_2) | instskip(NEXT) | instid1(VALU_DEP_2)
	v_add_f64_e32 v[4:5], v[4:5], v[8:9]
	v_add_f64_e32 v[10:11], v[10:11], v[84:85]
	s_wait_loadcnt 0x0
	s_delay_alu instid0(VALU_DEP_2) | instskip(NEXT) | instid1(VALU_DEP_2)
	v_add_f64_e64 v[8:9], v[80:81], -v[4:5]
	v_add_f64_e64 v[10:11], v[82:83], -v[10:11]
	scratch_store_b128 off, v[8:11], off offset:400
	s_wait_xcnt 0x0
	v_cmpx_lt_u32_e32 24, v1
	s_cbranch_execz .LBB92_139
; %bb.138:
	scratch_load_b128 v[8:11], off, s20
	v_dual_mov_b32 v3, v2 :: v_dual_mov_b32 v4, v2
	v_mov_b32_e32 v5, v2
	scratch_store_b128 off, v[2:5], off offset:384
	s_wait_loadcnt 0x0
	ds_store_b128 v6, v[8:11]
.LBB92_139:
	s_wait_xcnt 0x0
	s_or_b32 exec_lo, exec_lo, s2
	s_wait_storecnt_dscnt 0x0
	s_barrier_signal -1
	s_barrier_wait -1
	s_clause 0x4
	scratch_load_b128 v[8:11], off, off offset:400
	scratch_load_b128 v[72:75], off, off offset:416
	;; [unrolled: 1-line block ×5, first 2 shown]
	ds_load_b128 v[88:91], v2 offset:864
	ds_load_b128 v[92:95], v2 offset:880
	s_mov_b32 s2, exec_lo
	s_wait_loadcnt_dscnt 0x401
	v_mul_f64_e32 v[4:5], v[90:91], v[10:11]
	v_mul_f64_e32 v[12:13], v[88:89], v[10:11]
	s_wait_loadcnt_dscnt 0x300
	v_mul_f64_e32 v[96:97], v[92:93], v[74:75]
	v_mul_f64_e32 v[74:75], v[94:95], v[74:75]
	s_delay_alu instid0(VALU_DEP_4) | instskip(NEXT) | instid1(VALU_DEP_4)
	v_fma_f64 v[88:89], v[88:89], v[8:9], -v[4:5]
	v_fmac_f64_e32 v[12:13], v[90:91], v[8:9]
	ds_load_b128 v[8:11], v2 offset:896
	ds_load_b128 v[2:5], v2 offset:912
	v_fmac_f64_e32 v[96:97], v[94:95], v[72:73]
	v_fma_f64 v[72:73], v[92:93], v[72:73], -v[74:75]
	s_wait_loadcnt_dscnt 0x201
	v_mul_f64_e32 v[90:91], v[8:9], v[78:79]
	v_mul_f64_e32 v[78:79], v[10:11], v[78:79]
	v_add_f64_e32 v[74:75], 0, v[88:89]
	v_add_f64_e32 v[12:13], 0, v[12:13]
	s_wait_loadcnt_dscnt 0x100
	v_mul_f64_e32 v[88:89], v[2:3], v[82:83]
	v_mul_f64_e32 v[82:83], v[4:5], v[82:83]
	v_fmac_f64_e32 v[90:91], v[10:11], v[76:77]
	v_fma_f64 v[8:9], v[8:9], v[76:77], -v[78:79]
	v_add_f64_e32 v[10:11], v[74:75], v[72:73]
	v_add_f64_e32 v[12:13], v[12:13], v[96:97]
	v_fmac_f64_e32 v[88:89], v[4:5], v[80:81]
	v_fma_f64 v[2:3], v[2:3], v[80:81], -v[82:83]
	s_delay_alu instid0(VALU_DEP_4) | instskip(NEXT) | instid1(VALU_DEP_4)
	v_add_f64_e32 v[4:5], v[10:11], v[8:9]
	v_add_f64_e32 v[8:9], v[12:13], v[90:91]
	s_delay_alu instid0(VALU_DEP_2) | instskip(NEXT) | instid1(VALU_DEP_2)
	v_add_f64_e32 v[2:3], v[4:5], v[2:3]
	v_add_f64_e32 v[4:5], v[8:9], v[88:89]
	s_wait_loadcnt 0x0
	s_delay_alu instid0(VALU_DEP_2) | instskip(NEXT) | instid1(VALU_DEP_2)
	v_add_f64_e64 v[2:3], v[84:85], -v[2:3]
	v_add_f64_e64 v[4:5], v[86:87], -v[4:5]
	scratch_store_b128 off, v[2:5], off offset:384
	s_wait_xcnt 0x0
	v_cmpx_lt_u32_e32 23, v1
	s_cbranch_execz .LBB92_141
; %bb.140:
	scratch_load_b128 v[2:5], off, s21
	v_mov_b32_e32 v8, 0
	s_delay_alu instid0(VALU_DEP_1)
	v_dual_mov_b32 v9, v8 :: v_dual_mov_b32 v10, v8
	v_mov_b32_e32 v11, v8
	scratch_store_b128 off, v[8:11], off offset:368
	s_wait_loadcnt 0x0
	ds_store_b128 v6, v[2:5]
.LBB92_141:
	s_wait_xcnt 0x0
	s_or_b32 exec_lo, exec_lo, s2
	s_wait_storecnt_dscnt 0x0
	s_barrier_signal -1
	s_barrier_wait -1
	s_clause 0x5
	scratch_load_b128 v[8:11], off, off offset:384
	scratch_load_b128 v[72:75], off, off offset:400
	;; [unrolled: 1-line block ×6, first 2 shown]
	v_mov_b32_e32 v2, 0
	ds_load_b128 v[92:95], v2 offset:848
	ds_load_b128 v[96:99], v2 offset:864
	s_mov_b32 s2, exec_lo
	s_wait_loadcnt_dscnt 0x501
	v_mul_f64_e32 v[4:5], v[94:95], v[10:11]
	v_mul_f64_e32 v[12:13], v[92:93], v[10:11]
	s_wait_loadcnt_dscnt 0x400
	v_mul_f64_e32 v[100:101], v[96:97], v[74:75]
	v_mul_f64_e32 v[74:75], v[98:99], v[74:75]
	s_delay_alu instid0(VALU_DEP_4) | instskip(NEXT) | instid1(VALU_DEP_4)
	v_fma_f64 v[4:5], v[92:93], v[8:9], -v[4:5]
	v_fmac_f64_e32 v[12:13], v[94:95], v[8:9]
	ds_load_b128 v[8:11], v2 offset:880
	ds_load_b128 v[92:95], v2 offset:896
	v_fmac_f64_e32 v[100:101], v[98:99], v[72:73]
	v_fma_f64 v[72:73], v[96:97], v[72:73], -v[74:75]
	s_wait_loadcnt_dscnt 0x301
	v_mul_f64_e32 v[102:103], v[8:9], v[78:79]
	v_mul_f64_e32 v[78:79], v[10:11], v[78:79]
	s_wait_loadcnt_dscnt 0x200
	v_mul_f64_e32 v[74:75], v[92:93], v[82:83]
	v_mul_f64_e32 v[82:83], v[94:95], v[82:83]
	v_add_f64_e32 v[4:5], 0, v[4:5]
	v_add_f64_e32 v[12:13], 0, v[12:13]
	v_fmac_f64_e32 v[102:103], v[10:11], v[76:77]
	v_fma_f64 v[76:77], v[8:9], v[76:77], -v[78:79]
	ds_load_b128 v[8:11], v2 offset:912
	v_fmac_f64_e32 v[74:75], v[94:95], v[80:81]
	v_fma_f64 v[80:81], v[92:93], v[80:81], -v[82:83]
	v_add_f64_e32 v[4:5], v[4:5], v[72:73]
	v_add_f64_e32 v[12:13], v[12:13], v[100:101]
	s_wait_loadcnt_dscnt 0x100
	v_mul_f64_e32 v[72:73], v[8:9], v[86:87]
	v_mul_f64_e32 v[78:79], v[10:11], v[86:87]
	s_delay_alu instid0(VALU_DEP_4) | instskip(NEXT) | instid1(VALU_DEP_4)
	v_add_f64_e32 v[4:5], v[4:5], v[76:77]
	v_add_f64_e32 v[12:13], v[12:13], v[102:103]
	s_delay_alu instid0(VALU_DEP_4) | instskip(NEXT) | instid1(VALU_DEP_4)
	v_fmac_f64_e32 v[72:73], v[10:11], v[84:85]
	v_fma_f64 v[8:9], v[8:9], v[84:85], -v[78:79]
	s_delay_alu instid0(VALU_DEP_4) | instskip(NEXT) | instid1(VALU_DEP_4)
	v_add_f64_e32 v[4:5], v[4:5], v[80:81]
	v_add_f64_e32 v[10:11], v[12:13], v[74:75]
	s_delay_alu instid0(VALU_DEP_2) | instskip(NEXT) | instid1(VALU_DEP_2)
	v_add_f64_e32 v[4:5], v[4:5], v[8:9]
	v_add_f64_e32 v[10:11], v[10:11], v[72:73]
	s_wait_loadcnt 0x0
	s_delay_alu instid0(VALU_DEP_2) | instskip(NEXT) | instid1(VALU_DEP_2)
	v_add_f64_e64 v[8:9], v[88:89], -v[4:5]
	v_add_f64_e64 v[10:11], v[90:91], -v[10:11]
	scratch_store_b128 off, v[8:11], off offset:368
	s_wait_xcnt 0x0
	v_cmpx_lt_u32_e32 22, v1
	s_cbranch_execz .LBB92_143
; %bb.142:
	scratch_load_b128 v[8:11], off, s22
	v_dual_mov_b32 v3, v2 :: v_dual_mov_b32 v4, v2
	v_mov_b32_e32 v5, v2
	scratch_store_b128 off, v[2:5], off offset:352
	s_wait_loadcnt 0x0
	ds_store_b128 v6, v[8:11]
.LBB92_143:
	s_wait_xcnt 0x0
	s_or_b32 exec_lo, exec_lo, s2
	s_wait_storecnt_dscnt 0x0
	s_barrier_signal -1
	s_barrier_wait -1
	s_clause 0x6
	scratch_load_b128 v[8:11], off, off offset:368
	scratch_load_b128 v[72:75], off, off offset:384
	;; [unrolled: 1-line block ×7, first 2 shown]
	ds_load_b128 v[96:99], v2 offset:832
	ds_load_b128 v[100:103], v2 offset:848
	s_mov_b32 s2, exec_lo
	s_wait_loadcnt_dscnt 0x601
	v_mul_f64_e32 v[4:5], v[98:99], v[10:11]
	v_mul_f64_e32 v[12:13], v[96:97], v[10:11]
	s_wait_loadcnt_dscnt 0x500
	v_mul_f64_e32 v[104:105], v[100:101], v[74:75]
	v_mul_f64_e32 v[74:75], v[102:103], v[74:75]
	s_delay_alu instid0(VALU_DEP_4) | instskip(NEXT) | instid1(VALU_DEP_4)
	v_fma_f64 v[4:5], v[96:97], v[8:9], -v[4:5]
	v_fmac_f64_e32 v[12:13], v[98:99], v[8:9]
	ds_load_b128 v[8:11], v2 offset:864
	ds_load_b128 v[96:99], v2 offset:880
	v_fmac_f64_e32 v[104:105], v[102:103], v[72:73]
	v_fma_f64 v[72:73], v[100:101], v[72:73], -v[74:75]
	s_wait_loadcnt_dscnt 0x401
	v_mul_f64_e32 v[106:107], v[8:9], v[78:79]
	v_mul_f64_e32 v[78:79], v[10:11], v[78:79]
	s_wait_loadcnt_dscnt 0x300
	v_mul_f64_e32 v[74:75], v[96:97], v[82:83]
	v_mul_f64_e32 v[82:83], v[98:99], v[82:83]
	v_add_f64_e32 v[4:5], 0, v[4:5]
	v_add_f64_e32 v[12:13], 0, v[12:13]
	v_fmac_f64_e32 v[106:107], v[10:11], v[76:77]
	v_fma_f64 v[76:77], v[8:9], v[76:77], -v[78:79]
	v_fmac_f64_e32 v[74:75], v[98:99], v[80:81]
	v_fma_f64 v[80:81], v[96:97], v[80:81], -v[82:83]
	v_add_f64_e32 v[72:73], v[4:5], v[72:73]
	v_add_f64_e32 v[12:13], v[12:13], v[104:105]
	ds_load_b128 v[8:11], v2 offset:896
	ds_load_b128 v[2:5], v2 offset:912
	s_wait_loadcnt_dscnt 0x201
	v_mul_f64_e32 v[78:79], v[8:9], v[86:87]
	v_mul_f64_e32 v[86:87], v[10:11], v[86:87]
	s_wait_loadcnt_dscnt 0x100
	v_mul_f64_e32 v[82:83], v[4:5], v[90:91]
	v_add_f64_e32 v[72:73], v[72:73], v[76:77]
	v_add_f64_e32 v[12:13], v[12:13], v[106:107]
	v_mul_f64_e32 v[76:77], v[2:3], v[90:91]
	v_fmac_f64_e32 v[78:79], v[10:11], v[84:85]
	v_fma_f64 v[8:9], v[8:9], v[84:85], -v[86:87]
	v_fma_f64 v[2:3], v[2:3], v[88:89], -v[82:83]
	v_add_f64_e32 v[10:11], v[72:73], v[80:81]
	v_add_f64_e32 v[12:13], v[12:13], v[74:75]
	v_fmac_f64_e32 v[76:77], v[4:5], v[88:89]
	s_delay_alu instid0(VALU_DEP_3) | instskip(NEXT) | instid1(VALU_DEP_3)
	v_add_f64_e32 v[4:5], v[10:11], v[8:9]
	v_add_f64_e32 v[8:9], v[12:13], v[78:79]
	s_delay_alu instid0(VALU_DEP_2) | instskip(NEXT) | instid1(VALU_DEP_2)
	v_add_f64_e32 v[2:3], v[4:5], v[2:3]
	v_add_f64_e32 v[4:5], v[8:9], v[76:77]
	s_wait_loadcnt 0x0
	s_delay_alu instid0(VALU_DEP_2) | instskip(NEXT) | instid1(VALU_DEP_2)
	v_add_f64_e64 v[2:3], v[92:93], -v[2:3]
	v_add_f64_e64 v[4:5], v[94:95], -v[4:5]
	scratch_store_b128 off, v[2:5], off offset:352
	s_wait_xcnt 0x0
	v_cmpx_lt_u32_e32 21, v1
	s_cbranch_execz .LBB92_145
; %bb.144:
	scratch_load_b128 v[2:5], off, s23
	v_mov_b32_e32 v8, 0
	s_delay_alu instid0(VALU_DEP_1)
	v_dual_mov_b32 v9, v8 :: v_dual_mov_b32 v10, v8
	v_mov_b32_e32 v11, v8
	scratch_store_b128 off, v[8:11], off offset:336
	s_wait_loadcnt 0x0
	ds_store_b128 v6, v[2:5]
.LBB92_145:
	s_wait_xcnt 0x0
	s_or_b32 exec_lo, exec_lo, s2
	s_wait_storecnt_dscnt 0x0
	s_barrier_signal -1
	s_barrier_wait -1
	s_clause 0x7
	scratch_load_b128 v[8:11], off, off offset:352
	scratch_load_b128 v[72:75], off, off offset:368
	;; [unrolled: 1-line block ×8, first 2 shown]
	v_mov_b32_e32 v2, 0
	ds_load_b128 v[100:103], v2 offset:816
	ds_load_b128 v[104:107], v2 offset:832
	s_mov_b32 s2, exec_lo
	s_wait_loadcnt_dscnt 0x701
	v_mul_f64_e32 v[4:5], v[102:103], v[10:11]
	v_mul_f64_e32 v[12:13], v[100:101], v[10:11]
	s_wait_loadcnt_dscnt 0x600
	v_mul_f64_e32 v[108:109], v[104:105], v[74:75]
	v_mul_f64_e32 v[74:75], v[106:107], v[74:75]
	s_delay_alu instid0(VALU_DEP_4) | instskip(NEXT) | instid1(VALU_DEP_4)
	v_fma_f64 v[4:5], v[100:101], v[8:9], -v[4:5]
	v_fmac_f64_e32 v[12:13], v[102:103], v[8:9]
	ds_load_b128 v[8:11], v2 offset:848
	ds_load_b128 v[100:103], v2 offset:864
	v_fmac_f64_e32 v[108:109], v[106:107], v[72:73]
	v_fma_f64 v[72:73], v[104:105], v[72:73], -v[74:75]
	s_wait_loadcnt_dscnt 0x501
	v_mul_f64_e32 v[110:111], v[8:9], v[78:79]
	v_mul_f64_e32 v[78:79], v[10:11], v[78:79]
	s_wait_loadcnt_dscnt 0x400
	v_mul_f64_e32 v[104:105], v[100:101], v[82:83]
	v_mul_f64_e32 v[82:83], v[102:103], v[82:83]
	v_add_f64_e32 v[4:5], 0, v[4:5]
	v_add_f64_e32 v[12:13], 0, v[12:13]
	v_fmac_f64_e32 v[110:111], v[10:11], v[76:77]
	v_fma_f64 v[76:77], v[8:9], v[76:77], -v[78:79]
	v_fmac_f64_e32 v[104:105], v[102:103], v[80:81]
	v_fma_f64 v[80:81], v[100:101], v[80:81], -v[82:83]
	v_add_f64_e32 v[4:5], v[4:5], v[72:73]
	v_add_f64_e32 v[12:13], v[12:13], v[108:109]
	ds_load_b128 v[8:11], v2 offset:880
	ds_load_b128 v[72:75], v2 offset:896
	s_wait_loadcnt_dscnt 0x301
	v_mul_f64_e32 v[78:79], v[8:9], v[86:87]
	v_mul_f64_e32 v[86:87], v[10:11], v[86:87]
	s_wait_loadcnt_dscnt 0x200
	v_mul_f64_e32 v[82:83], v[74:75], v[90:91]
	v_add_f64_e32 v[4:5], v[4:5], v[76:77]
	v_add_f64_e32 v[12:13], v[12:13], v[110:111]
	v_mul_f64_e32 v[76:77], v[72:73], v[90:91]
	v_fmac_f64_e32 v[78:79], v[10:11], v[84:85]
	v_fma_f64 v[84:85], v[8:9], v[84:85], -v[86:87]
	ds_load_b128 v[8:11], v2 offset:912
	v_fma_f64 v[72:73], v[72:73], v[88:89], -v[82:83]
	v_add_f64_e32 v[4:5], v[4:5], v[80:81]
	v_add_f64_e32 v[12:13], v[12:13], v[104:105]
	v_fmac_f64_e32 v[76:77], v[74:75], v[88:89]
	s_wait_loadcnt_dscnt 0x100
	v_mul_f64_e32 v[80:81], v[8:9], v[94:95]
	v_mul_f64_e32 v[86:87], v[10:11], v[94:95]
	v_add_f64_e32 v[4:5], v[4:5], v[84:85]
	v_add_f64_e32 v[12:13], v[12:13], v[78:79]
	s_delay_alu instid0(VALU_DEP_4) | instskip(NEXT) | instid1(VALU_DEP_4)
	v_fmac_f64_e32 v[80:81], v[10:11], v[92:93]
	v_fma_f64 v[8:9], v[8:9], v[92:93], -v[86:87]
	s_delay_alu instid0(VALU_DEP_4) | instskip(NEXT) | instid1(VALU_DEP_4)
	v_add_f64_e32 v[4:5], v[4:5], v[72:73]
	v_add_f64_e32 v[10:11], v[12:13], v[76:77]
	s_delay_alu instid0(VALU_DEP_2) | instskip(NEXT) | instid1(VALU_DEP_2)
	v_add_f64_e32 v[4:5], v[4:5], v[8:9]
	v_add_f64_e32 v[10:11], v[10:11], v[80:81]
	s_wait_loadcnt 0x0
	s_delay_alu instid0(VALU_DEP_2) | instskip(NEXT) | instid1(VALU_DEP_2)
	v_add_f64_e64 v[8:9], v[96:97], -v[4:5]
	v_add_f64_e64 v[10:11], v[98:99], -v[10:11]
	scratch_store_b128 off, v[8:11], off offset:336
	s_wait_xcnt 0x0
	v_cmpx_lt_u32_e32 20, v1
	s_cbranch_execz .LBB92_147
; %bb.146:
	scratch_load_b128 v[8:11], off, s24
	v_dual_mov_b32 v3, v2 :: v_dual_mov_b32 v4, v2
	v_mov_b32_e32 v5, v2
	scratch_store_b128 off, v[2:5], off offset:320
	s_wait_loadcnt 0x0
	ds_store_b128 v6, v[8:11]
.LBB92_147:
	s_wait_xcnt 0x0
	s_or_b32 exec_lo, exec_lo, s2
	s_wait_storecnt_dscnt 0x0
	s_barrier_signal -1
	s_barrier_wait -1
	s_clause 0x7
	scratch_load_b128 v[8:11], off, off offset:336
	scratch_load_b128 v[72:75], off, off offset:352
	;; [unrolled: 1-line block ×8, first 2 shown]
	ds_load_b128 v[100:103], v2 offset:800
	ds_load_b128 v[104:107], v2 offset:816
	scratch_load_b128 v[108:111], off, off offset:320
	s_mov_b32 s2, exec_lo
	s_wait_loadcnt_dscnt 0x801
	v_mul_f64_e32 v[4:5], v[102:103], v[10:11]
	v_mul_f64_e32 v[12:13], v[100:101], v[10:11]
	s_wait_loadcnt_dscnt 0x700
	v_mul_f64_e32 v[112:113], v[104:105], v[74:75]
	v_mul_f64_e32 v[74:75], v[106:107], v[74:75]
	s_delay_alu instid0(VALU_DEP_4) | instskip(NEXT) | instid1(VALU_DEP_4)
	v_fma_f64 v[4:5], v[100:101], v[8:9], -v[4:5]
	v_fmac_f64_e32 v[12:13], v[102:103], v[8:9]
	ds_load_b128 v[8:11], v2 offset:832
	ds_load_b128 v[100:103], v2 offset:848
	v_fmac_f64_e32 v[112:113], v[106:107], v[72:73]
	v_fma_f64 v[72:73], v[104:105], v[72:73], -v[74:75]
	s_wait_loadcnt_dscnt 0x601
	v_mul_f64_e32 v[114:115], v[8:9], v[78:79]
	v_mul_f64_e32 v[78:79], v[10:11], v[78:79]
	s_wait_loadcnt_dscnt 0x500
	v_mul_f64_e32 v[104:105], v[100:101], v[82:83]
	v_mul_f64_e32 v[82:83], v[102:103], v[82:83]
	v_add_f64_e32 v[4:5], 0, v[4:5]
	v_add_f64_e32 v[12:13], 0, v[12:13]
	v_fmac_f64_e32 v[114:115], v[10:11], v[76:77]
	v_fma_f64 v[76:77], v[8:9], v[76:77], -v[78:79]
	v_fmac_f64_e32 v[104:105], v[102:103], v[80:81]
	v_fma_f64 v[80:81], v[100:101], v[80:81], -v[82:83]
	v_add_f64_e32 v[4:5], v[4:5], v[72:73]
	v_add_f64_e32 v[12:13], v[12:13], v[112:113]
	ds_load_b128 v[8:11], v2 offset:864
	ds_load_b128 v[72:75], v2 offset:880
	s_wait_loadcnt_dscnt 0x401
	v_mul_f64_e32 v[78:79], v[8:9], v[86:87]
	v_mul_f64_e32 v[86:87], v[10:11], v[86:87]
	s_wait_loadcnt_dscnt 0x300
	v_mul_f64_e32 v[82:83], v[74:75], v[90:91]
	v_add_f64_e32 v[4:5], v[4:5], v[76:77]
	v_add_f64_e32 v[12:13], v[12:13], v[114:115]
	v_mul_f64_e32 v[76:77], v[72:73], v[90:91]
	v_fmac_f64_e32 v[78:79], v[10:11], v[84:85]
	v_fma_f64 v[84:85], v[8:9], v[84:85], -v[86:87]
	v_fma_f64 v[72:73], v[72:73], v[88:89], -v[82:83]
	v_add_f64_e32 v[80:81], v[4:5], v[80:81]
	v_add_f64_e32 v[12:13], v[12:13], v[104:105]
	ds_load_b128 v[8:11], v2 offset:896
	ds_load_b128 v[2:5], v2 offset:912
	v_fmac_f64_e32 v[76:77], v[74:75], v[88:89]
	s_wait_loadcnt_dscnt 0x201
	v_mul_f64_e32 v[86:87], v[8:9], v[94:95]
	v_mul_f64_e32 v[90:91], v[10:11], v[94:95]
	v_add_f64_e32 v[74:75], v[80:81], v[84:85]
	v_add_f64_e32 v[12:13], v[12:13], v[78:79]
	s_wait_loadcnt_dscnt 0x100
	v_mul_f64_e32 v[78:79], v[2:3], v[98:99]
	v_mul_f64_e32 v[80:81], v[4:5], v[98:99]
	v_fmac_f64_e32 v[86:87], v[10:11], v[92:93]
	v_fma_f64 v[8:9], v[8:9], v[92:93], -v[90:91]
	v_add_f64_e32 v[10:11], v[74:75], v[72:73]
	v_add_f64_e32 v[12:13], v[12:13], v[76:77]
	v_fmac_f64_e32 v[78:79], v[4:5], v[96:97]
	v_fma_f64 v[2:3], v[2:3], v[96:97], -v[80:81]
	s_delay_alu instid0(VALU_DEP_4) | instskip(NEXT) | instid1(VALU_DEP_4)
	v_add_f64_e32 v[4:5], v[10:11], v[8:9]
	v_add_f64_e32 v[8:9], v[12:13], v[86:87]
	s_delay_alu instid0(VALU_DEP_2) | instskip(NEXT) | instid1(VALU_DEP_2)
	v_add_f64_e32 v[2:3], v[4:5], v[2:3]
	v_add_f64_e32 v[4:5], v[8:9], v[78:79]
	s_wait_loadcnt 0x0
	s_delay_alu instid0(VALU_DEP_2) | instskip(NEXT) | instid1(VALU_DEP_2)
	v_add_f64_e64 v[2:3], v[108:109], -v[2:3]
	v_add_f64_e64 v[4:5], v[110:111], -v[4:5]
	scratch_store_b128 off, v[2:5], off offset:320
	s_wait_xcnt 0x0
	v_cmpx_lt_u32_e32 19, v1
	s_cbranch_execz .LBB92_149
; %bb.148:
	scratch_load_b128 v[2:5], off, s25
	v_mov_b32_e32 v8, 0
	s_delay_alu instid0(VALU_DEP_1)
	v_dual_mov_b32 v9, v8 :: v_dual_mov_b32 v10, v8
	v_mov_b32_e32 v11, v8
	scratch_store_b128 off, v[8:11], off offset:304
	s_wait_loadcnt 0x0
	ds_store_b128 v6, v[2:5]
.LBB92_149:
	s_wait_xcnt 0x0
	s_or_b32 exec_lo, exec_lo, s2
	s_wait_storecnt_dscnt 0x0
	s_barrier_signal -1
	s_barrier_wait -1
	s_clause 0x8
	scratch_load_b128 v[8:11], off, off offset:320
	scratch_load_b128 v[72:75], off, off offset:336
	scratch_load_b128 v[76:79], off, off offset:352
	scratch_load_b128 v[80:83], off, off offset:368
	scratch_load_b128 v[84:87], off, off offset:384
	scratch_load_b128 v[88:91], off, off offset:400
	scratch_load_b128 v[92:95], off, off offset:416
	scratch_load_b128 v[96:99], off, off offset:432
	scratch_load_b128 v[100:103], off, off offset:448
	v_mov_b32_e32 v2, 0
	scratch_load_b128 v[108:111], off, off offset:304
	s_mov_b32 s2, exec_lo
	ds_load_b128 v[104:107], v2 offset:784
	ds_load_b128 v[112:115], v2 offset:800
	s_wait_loadcnt_dscnt 0x901
	v_mul_f64_e32 v[4:5], v[106:107], v[10:11]
	v_mul_f64_e32 v[12:13], v[104:105], v[10:11]
	s_wait_loadcnt_dscnt 0x800
	v_mul_f64_e32 v[116:117], v[112:113], v[74:75]
	v_mul_f64_e32 v[74:75], v[114:115], v[74:75]
	s_delay_alu instid0(VALU_DEP_4) | instskip(NEXT) | instid1(VALU_DEP_4)
	v_fma_f64 v[4:5], v[104:105], v[8:9], -v[4:5]
	v_fmac_f64_e32 v[12:13], v[106:107], v[8:9]
	ds_load_b128 v[8:11], v2 offset:816
	ds_load_b128 v[104:107], v2 offset:832
	v_fmac_f64_e32 v[116:117], v[114:115], v[72:73]
	v_fma_f64 v[72:73], v[112:113], v[72:73], -v[74:75]
	s_wait_loadcnt_dscnt 0x701
	v_mul_f64_e32 v[118:119], v[8:9], v[78:79]
	v_mul_f64_e32 v[78:79], v[10:11], v[78:79]
	s_wait_loadcnt_dscnt 0x600
	v_mul_f64_e32 v[112:113], v[104:105], v[82:83]
	v_mul_f64_e32 v[82:83], v[106:107], v[82:83]
	v_add_f64_e32 v[4:5], 0, v[4:5]
	v_add_f64_e32 v[12:13], 0, v[12:13]
	v_fmac_f64_e32 v[118:119], v[10:11], v[76:77]
	v_fma_f64 v[76:77], v[8:9], v[76:77], -v[78:79]
	v_fmac_f64_e32 v[112:113], v[106:107], v[80:81]
	v_fma_f64 v[80:81], v[104:105], v[80:81], -v[82:83]
	v_add_f64_e32 v[4:5], v[4:5], v[72:73]
	v_add_f64_e32 v[12:13], v[12:13], v[116:117]
	ds_load_b128 v[8:11], v2 offset:848
	ds_load_b128 v[72:75], v2 offset:864
	s_wait_loadcnt_dscnt 0x501
	v_mul_f64_e32 v[114:115], v[8:9], v[86:87]
	v_mul_f64_e32 v[78:79], v[10:11], v[86:87]
	s_wait_loadcnt_dscnt 0x400
	v_mul_f64_e32 v[82:83], v[72:73], v[90:91]
	v_mul_f64_e32 v[86:87], v[74:75], v[90:91]
	v_add_f64_e32 v[4:5], v[4:5], v[76:77]
	v_add_f64_e32 v[12:13], v[12:13], v[118:119]
	v_fmac_f64_e32 v[114:115], v[10:11], v[84:85]
	v_fma_f64 v[84:85], v[8:9], v[84:85], -v[78:79]
	ds_load_b128 v[8:11], v2 offset:880
	ds_load_b128 v[76:79], v2 offset:896
	v_fmac_f64_e32 v[82:83], v[74:75], v[88:89]
	v_fma_f64 v[72:73], v[72:73], v[88:89], -v[86:87]
	v_add_f64_e32 v[4:5], v[4:5], v[80:81]
	v_add_f64_e32 v[12:13], v[12:13], v[112:113]
	s_wait_loadcnt_dscnt 0x301
	v_mul_f64_e32 v[80:81], v[8:9], v[94:95]
	v_mul_f64_e32 v[90:91], v[10:11], v[94:95]
	s_wait_loadcnt_dscnt 0x200
	v_mul_f64_e32 v[74:75], v[76:77], v[98:99]
	v_add_f64_e32 v[4:5], v[4:5], v[84:85]
	v_add_f64_e32 v[12:13], v[12:13], v[114:115]
	v_mul_f64_e32 v[84:85], v[78:79], v[98:99]
	v_fmac_f64_e32 v[80:81], v[10:11], v[92:93]
	v_fma_f64 v[86:87], v[8:9], v[92:93], -v[90:91]
	ds_load_b128 v[8:11], v2 offset:912
	v_fmac_f64_e32 v[74:75], v[78:79], v[96:97]
	v_add_f64_e32 v[4:5], v[4:5], v[72:73]
	v_add_f64_e32 v[12:13], v[12:13], v[82:83]
	s_wait_loadcnt_dscnt 0x100
	v_mul_f64_e32 v[72:73], v[8:9], v[102:103]
	v_mul_f64_e32 v[82:83], v[10:11], v[102:103]
	v_fma_f64 v[76:77], v[76:77], v[96:97], -v[84:85]
	v_add_f64_e32 v[4:5], v[4:5], v[86:87]
	v_add_f64_e32 v[12:13], v[12:13], v[80:81]
	v_fmac_f64_e32 v[72:73], v[10:11], v[100:101]
	v_fma_f64 v[8:9], v[8:9], v[100:101], -v[82:83]
	s_delay_alu instid0(VALU_DEP_4) | instskip(NEXT) | instid1(VALU_DEP_4)
	v_add_f64_e32 v[4:5], v[4:5], v[76:77]
	v_add_f64_e32 v[10:11], v[12:13], v[74:75]
	s_delay_alu instid0(VALU_DEP_2) | instskip(NEXT) | instid1(VALU_DEP_2)
	v_add_f64_e32 v[4:5], v[4:5], v[8:9]
	v_add_f64_e32 v[10:11], v[10:11], v[72:73]
	s_wait_loadcnt 0x0
	s_delay_alu instid0(VALU_DEP_2) | instskip(NEXT) | instid1(VALU_DEP_2)
	v_add_f64_e64 v[8:9], v[108:109], -v[4:5]
	v_add_f64_e64 v[10:11], v[110:111], -v[10:11]
	scratch_store_b128 off, v[8:11], off offset:304
	s_wait_xcnt 0x0
	v_cmpx_lt_u32_e32 18, v1
	s_cbranch_execz .LBB92_151
; %bb.150:
	scratch_load_b128 v[8:11], off, s26
	v_dual_mov_b32 v3, v2 :: v_dual_mov_b32 v4, v2
	v_mov_b32_e32 v5, v2
	scratch_store_b128 off, v[2:5], off offset:288
	s_wait_loadcnt 0x0
	ds_store_b128 v6, v[8:11]
.LBB92_151:
	s_wait_xcnt 0x0
	s_or_b32 exec_lo, exec_lo, s2
	s_wait_storecnt_dscnt 0x0
	s_barrier_signal -1
	s_barrier_wait -1
	s_clause 0x9
	scratch_load_b128 v[8:11], off, off offset:304
	scratch_load_b128 v[72:75], off, off offset:320
	;; [unrolled: 1-line block ×10, first 2 shown]
	ds_load_b128 v[108:111], v2 offset:768
	ds_load_b128 v[112:115], v2 offset:784
	scratch_load_b128 v[116:119], off, off offset:288
	s_mov_b32 s2, exec_lo
	s_wait_loadcnt_dscnt 0xa01
	v_mul_f64_e32 v[4:5], v[110:111], v[10:11]
	v_mul_f64_e32 v[12:13], v[108:109], v[10:11]
	s_wait_loadcnt_dscnt 0x900
	v_mul_f64_e32 v[120:121], v[112:113], v[74:75]
	v_mul_f64_e32 v[74:75], v[114:115], v[74:75]
	s_delay_alu instid0(VALU_DEP_4) | instskip(NEXT) | instid1(VALU_DEP_4)
	v_fma_f64 v[4:5], v[108:109], v[8:9], -v[4:5]
	v_fmac_f64_e32 v[12:13], v[110:111], v[8:9]
	ds_load_b128 v[8:11], v2 offset:800
	ds_load_b128 v[108:111], v2 offset:816
	v_fmac_f64_e32 v[120:121], v[114:115], v[72:73]
	v_fma_f64 v[72:73], v[112:113], v[72:73], -v[74:75]
	s_wait_loadcnt_dscnt 0x801
	v_mul_f64_e32 v[122:123], v[8:9], v[78:79]
	v_mul_f64_e32 v[78:79], v[10:11], v[78:79]
	s_wait_loadcnt_dscnt 0x700
	v_mul_f64_e32 v[112:113], v[108:109], v[82:83]
	v_mul_f64_e32 v[82:83], v[110:111], v[82:83]
	v_add_f64_e32 v[4:5], 0, v[4:5]
	v_add_f64_e32 v[12:13], 0, v[12:13]
	v_fmac_f64_e32 v[122:123], v[10:11], v[76:77]
	v_fma_f64 v[76:77], v[8:9], v[76:77], -v[78:79]
	v_fmac_f64_e32 v[112:113], v[110:111], v[80:81]
	v_fma_f64 v[80:81], v[108:109], v[80:81], -v[82:83]
	v_add_f64_e32 v[4:5], v[4:5], v[72:73]
	v_add_f64_e32 v[12:13], v[12:13], v[120:121]
	ds_load_b128 v[8:11], v2 offset:832
	ds_load_b128 v[72:75], v2 offset:848
	s_wait_loadcnt_dscnt 0x601
	v_mul_f64_e32 v[114:115], v[8:9], v[86:87]
	v_mul_f64_e32 v[78:79], v[10:11], v[86:87]
	s_wait_loadcnt_dscnt 0x500
	v_mul_f64_e32 v[82:83], v[72:73], v[90:91]
	v_mul_f64_e32 v[86:87], v[74:75], v[90:91]
	v_add_f64_e32 v[4:5], v[4:5], v[76:77]
	v_add_f64_e32 v[12:13], v[12:13], v[122:123]
	v_fmac_f64_e32 v[114:115], v[10:11], v[84:85]
	v_fma_f64 v[84:85], v[8:9], v[84:85], -v[78:79]
	ds_load_b128 v[8:11], v2 offset:864
	ds_load_b128 v[76:79], v2 offset:880
	v_fmac_f64_e32 v[82:83], v[74:75], v[88:89]
	v_fma_f64 v[72:73], v[72:73], v[88:89], -v[86:87]
	v_add_f64_e32 v[4:5], v[4:5], v[80:81]
	v_add_f64_e32 v[12:13], v[12:13], v[112:113]
	s_wait_loadcnt_dscnt 0x401
	v_mul_f64_e32 v[80:81], v[8:9], v[94:95]
	v_mul_f64_e32 v[90:91], v[10:11], v[94:95]
	s_wait_loadcnt_dscnt 0x300
	v_mul_f64_e32 v[74:75], v[76:77], v[98:99]
	v_add_f64_e32 v[4:5], v[4:5], v[84:85]
	v_add_f64_e32 v[12:13], v[12:13], v[114:115]
	v_mul_f64_e32 v[84:85], v[78:79], v[98:99]
	v_fmac_f64_e32 v[80:81], v[10:11], v[92:93]
	v_fma_f64 v[86:87], v[8:9], v[92:93], -v[90:91]
	v_fmac_f64_e32 v[74:75], v[78:79], v[96:97]
	v_add_f64_e32 v[72:73], v[4:5], v[72:73]
	v_add_f64_e32 v[12:13], v[12:13], v[82:83]
	ds_load_b128 v[8:11], v2 offset:896
	ds_load_b128 v[2:5], v2 offset:912
	v_fma_f64 v[76:77], v[76:77], v[96:97], -v[84:85]
	s_wait_loadcnt_dscnt 0x201
	v_mul_f64_e32 v[82:83], v[8:9], v[102:103]
	v_mul_f64_e32 v[88:89], v[10:11], v[102:103]
	s_wait_loadcnt_dscnt 0x100
	v_mul_f64_e32 v[78:79], v[2:3], v[106:107]
	v_add_f64_e32 v[72:73], v[72:73], v[86:87]
	v_add_f64_e32 v[12:13], v[12:13], v[80:81]
	v_mul_f64_e32 v[80:81], v[4:5], v[106:107]
	v_fmac_f64_e32 v[82:83], v[10:11], v[100:101]
	v_fma_f64 v[8:9], v[8:9], v[100:101], -v[88:89]
	v_fmac_f64_e32 v[78:79], v[4:5], v[104:105]
	v_add_f64_e32 v[10:11], v[72:73], v[76:77]
	v_add_f64_e32 v[12:13], v[12:13], v[74:75]
	v_fma_f64 v[2:3], v[2:3], v[104:105], -v[80:81]
	s_delay_alu instid0(VALU_DEP_3) | instskip(NEXT) | instid1(VALU_DEP_3)
	v_add_f64_e32 v[4:5], v[10:11], v[8:9]
	v_add_f64_e32 v[8:9], v[12:13], v[82:83]
	s_delay_alu instid0(VALU_DEP_2) | instskip(NEXT) | instid1(VALU_DEP_2)
	v_add_f64_e32 v[2:3], v[4:5], v[2:3]
	v_add_f64_e32 v[4:5], v[8:9], v[78:79]
	s_wait_loadcnt 0x0
	s_delay_alu instid0(VALU_DEP_2) | instskip(NEXT) | instid1(VALU_DEP_2)
	v_add_f64_e64 v[2:3], v[116:117], -v[2:3]
	v_add_f64_e64 v[4:5], v[118:119], -v[4:5]
	scratch_store_b128 off, v[2:5], off offset:288
	s_wait_xcnt 0x0
	v_cmpx_lt_u32_e32 17, v1
	s_cbranch_execz .LBB92_153
; %bb.152:
	scratch_load_b128 v[2:5], off, s27
	v_mov_b32_e32 v8, 0
	s_delay_alu instid0(VALU_DEP_1)
	v_dual_mov_b32 v9, v8 :: v_dual_mov_b32 v10, v8
	v_mov_b32_e32 v11, v8
	scratch_store_b128 off, v[8:11], off offset:272
	s_wait_loadcnt 0x0
	ds_store_b128 v6, v[2:5]
.LBB92_153:
	s_wait_xcnt 0x0
	s_or_b32 exec_lo, exec_lo, s2
	s_wait_storecnt_dscnt 0x0
	s_barrier_signal -1
	s_barrier_wait -1
	s_clause 0x9
	scratch_load_b128 v[8:11], off, off offset:288
	scratch_load_b128 v[72:75], off, off offset:304
	;; [unrolled: 1-line block ×10, first 2 shown]
	v_mov_b32_e32 v2, 0
	s_mov_b32 s2, exec_lo
	ds_load_b128 v[108:111], v2 offset:752
	s_clause 0x1
	scratch_load_b128 v[112:115], off, off offset:448
	scratch_load_b128 v[116:119], off, off offset:272
	s_wait_loadcnt_dscnt 0xb00
	v_mul_f64_e32 v[4:5], v[110:111], v[10:11]
	v_mul_f64_e32 v[12:13], v[108:109], v[10:11]
	ds_load_b128 v[120:123], v2 offset:768
	s_wait_loadcnt_dscnt 0xa00
	v_mul_f64_e32 v[124:125], v[120:121], v[74:75]
	v_mul_f64_e32 v[74:75], v[122:123], v[74:75]
	v_fma_f64 v[4:5], v[108:109], v[8:9], -v[4:5]
	v_fmac_f64_e32 v[12:13], v[110:111], v[8:9]
	ds_load_b128 v[8:11], v2 offset:784
	ds_load_b128 v[108:111], v2 offset:800
	s_wait_loadcnt_dscnt 0x901
	v_mul_f64_e32 v[126:127], v[8:9], v[78:79]
	v_mul_f64_e32 v[78:79], v[10:11], v[78:79]
	v_fmac_f64_e32 v[124:125], v[122:123], v[72:73]
	v_fma_f64 v[72:73], v[120:121], v[72:73], -v[74:75]
	s_wait_loadcnt_dscnt 0x800
	v_mul_f64_e32 v[120:121], v[108:109], v[82:83]
	v_mul_f64_e32 v[82:83], v[110:111], v[82:83]
	v_add_f64_e32 v[4:5], 0, v[4:5]
	v_add_f64_e32 v[12:13], 0, v[12:13]
	v_fmac_f64_e32 v[126:127], v[10:11], v[76:77]
	v_fma_f64 v[76:77], v[8:9], v[76:77], -v[78:79]
	v_fmac_f64_e32 v[120:121], v[110:111], v[80:81]
	v_fma_f64 v[80:81], v[108:109], v[80:81], -v[82:83]
	v_add_f64_e32 v[4:5], v[4:5], v[72:73]
	v_add_f64_e32 v[12:13], v[12:13], v[124:125]
	ds_load_b128 v[8:11], v2 offset:816
	ds_load_b128 v[72:75], v2 offset:832
	s_wait_loadcnt_dscnt 0x701
	v_mul_f64_e32 v[122:123], v[8:9], v[86:87]
	v_mul_f64_e32 v[78:79], v[10:11], v[86:87]
	s_wait_loadcnt_dscnt 0x600
	v_mul_f64_e32 v[82:83], v[72:73], v[90:91]
	v_mul_f64_e32 v[86:87], v[74:75], v[90:91]
	v_add_f64_e32 v[4:5], v[4:5], v[76:77]
	v_add_f64_e32 v[12:13], v[12:13], v[126:127]
	v_fmac_f64_e32 v[122:123], v[10:11], v[84:85]
	v_fma_f64 v[84:85], v[8:9], v[84:85], -v[78:79]
	ds_load_b128 v[8:11], v2 offset:848
	ds_load_b128 v[76:79], v2 offset:864
	v_fmac_f64_e32 v[82:83], v[74:75], v[88:89]
	v_fma_f64 v[72:73], v[72:73], v[88:89], -v[86:87]
	v_add_f64_e32 v[4:5], v[4:5], v[80:81]
	v_add_f64_e32 v[12:13], v[12:13], v[120:121]
	s_wait_loadcnt_dscnt 0x501
	v_mul_f64_e32 v[80:81], v[8:9], v[94:95]
	v_mul_f64_e32 v[90:91], v[10:11], v[94:95]
	s_wait_loadcnt_dscnt 0x400
	v_mul_f64_e32 v[86:87], v[78:79], v[98:99]
	v_add_f64_e32 v[4:5], v[4:5], v[84:85]
	v_add_f64_e32 v[12:13], v[12:13], v[122:123]
	v_mul_f64_e32 v[84:85], v[76:77], v[98:99]
	v_fmac_f64_e32 v[80:81], v[10:11], v[92:93]
	v_fma_f64 v[88:89], v[8:9], v[92:93], -v[90:91]
	v_fma_f64 v[76:77], v[76:77], v[96:97], -v[86:87]
	v_add_f64_e32 v[4:5], v[4:5], v[72:73]
	v_add_f64_e32 v[12:13], v[12:13], v[82:83]
	ds_load_b128 v[8:11], v2 offset:880
	ds_load_b128 v[72:75], v2 offset:896
	v_fmac_f64_e32 v[84:85], v[78:79], v[96:97]
	s_wait_loadcnt_dscnt 0x301
	v_mul_f64_e32 v[82:83], v[8:9], v[102:103]
	v_mul_f64_e32 v[90:91], v[10:11], v[102:103]
	s_wait_loadcnt_dscnt 0x200
	v_mul_f64_e32 v[78:79], v[72:73], v[106:107]
	v_add_f64_e32 v[4:5], v[4:5], v[88:89]
	v_add_f64_e32 v[12:13], v[12:13], v[80:81]
	v_mul_f64_e32 v[80:81], v[74:75], v[106:107]
	v_fmac_f64_e32 v[82:83], v[10:11], v[100:101]
	v_fma_f64 v[86:87], v[8:9], v[100:101], -v[90:91]
	ds_load_b128 v[8:11], v2 offset:912
	v_fmac_f64_e32 v[78:79], v[74:75], v[104:105]
	v_add_f64_e32 v[4:5], v[4:5], v[76:77]
	v_add_f64_e32 v[12:13], v[12:13], v[84:85]
	v_fma_f64 v[72:73], v[72:73], v[104:105], -v[80:81]
	s_wait_loadcnt_dscnt 0x100
	v_mul_f64_e32 v[76:77], v[8:9], v[114:115]
	v_mul_f64_e32 v[84:85], v[10:11], v[114:115]
	v_add_f64_e32 v[4:5], v[4:5], v[86:87]
	v_add_f64_e32 v[12:13], v[12:13], v[82:83]
	s_delay_alu instid0(VALU_DEP_4) | instskip(NEXT) | instid1(VALU_DEP_4)
	v_fmac_f64_e32 v[76:77], v[10:11], v[112:113]
	v_fma_f64 v[8:9], v[8:9], v[112:113], -v[84:85]
	s_delay_alu instid0(VALU_DEP_4) | instskip(NEXT) | instid1(VALU_DEP_4)
	v_add_f64_e32 v[4:5], v[4:5], v[72:73]
	v_add_f64_e32 v[10:11], v[12:13], v[78:79]
	s_delay_alu instid0(VALU_DEP_2) | instskip(NEXT) | instid1(VALU_DEP_2)
	v_add_f64_e32 v[4:5], v[4:5], v[8:9]
	v_add_f64_e32 v[10:11], v[10:11], v[76:77]
	s_wait_loadcnt 0x0
	s_delay_alu instid0(VALU_DEP_2) | instskip(NEXT) | instid1(VALU_DEP_2)
	v_add_f64_e64 v[8:9], v[116:117], -v[4:5]
	v_add_f64_e64 v[10:11], v[118:119], -v[10:11]
	scratch_store_b128 off, v[8:11], off offset:272
	s_wait_xcnt 0x0
	v_cmpx_lt_u32_e32 16, v1
	s_cbranch_execz .LBB92_155
; %bb.154:
	scratch_load_b128 v[8:11], off, s28
	v_dual_mov_b32 v3, v2 :: v_dual_mov_b32 v4, v2
	v_mov_b32_e32 v5, v2
	scratch_store_b128 off, v[2:5], off offset:256
	s_wait_loadcnt 0x0
	ds_store_b128 v6, v[8:11]
.LBB92_155:
	s_wait_xcnt 0x0
	s_or_b32 exec_lo, exec_lo, s2
	s_wait_storecnt_dscnt 0x0
	s_barrier_signal -1
	s_barrier_wait -1
	s_clause 0x9
	scratch_load_b128 v[8:11], off, off offset:272
	scratch_load_b128 v[72:75], off, off offset:288
	;; [unrolled: 1-line block ×10, first 2 shown]
	ds_load_b128 v[108:111], v2 offset:736
	ds_load_b128 v[116:119], v2 offset:752
	s_clause 0x1
	scratch_load_b128 v[112:115], off, off offset:432
	scratch_load_b128 v[120:123], off, off offset:256
	s_mov_b32 s2, exec_lo
	s_wait_loadcnt_dscnt 0xb01
	v_mul_f64_e32 v[4:5], v[110:111], v[10:11]
	v_mul_f64_e32 v[128:129], v[108:109], v[10:11]
	scratch_load_b128 v[10:13], off, off offset:448
	s_wait_loadcnt_dscnt 0xb00
	v_mul_f64_e32 v[130:131], v[116:117], v[74:75]
	v_mul_f64_e32 v[74:75], v[118:119], v[74:75]
	v_fma_f64 v[4:5], v[108:109], v[8:9], -v[4:5]
	v_fmac_f64_e32 v[128:129], v[110:111], v[8:9]
	ds_load_b128 v[108:111], v2 offset:768
	ds_load_b128 v[124:127], v2 offset:784
	v_fmac_f64_e32 v[130:131], v[118:119], v[72:73]
	v_fma_f64 v[72:73], v[116:117], v[72:73], -v[74:75]
	s_wait_loadcnt_dscnt 0xa01
	v_mul_f64_e32 v[8:9], v[108:109], v[78:79]
	v_mul_f64_e32 v[78:79], v[110:111], v[78:79]
	s_wait_loadcnt_dscnt 0x900
	v_mul_f64_e32 v[116:117], v[124:125], v[82:83]
	v_mul_f64_e32 v[82:83], v[126:127], v[82:83]
	v_add_f64_e32 v[4:5], 0, v[4:5]
	v_add_f64_e32 v[74:75], 0, v[128:129]
	v_fmac_f64_e32 v[8:9], v[110:111], v[76:77]
	v_fma_f64 v[108:109], v[108:109], v[76:77], -v[78:79]
	v_fmac_f64_e32 v[116:117], v[126:127], v[80:81]
	v_fma_f64 v[80:81], v[124:125], v[80:81], -v[82:83]
	v_add_f64_e32 v[4:5], v[4:5], v[72:73]
	v_add_f64_e32 v[110:111], v[74:75], v[130:131]
	ds_load_b128 v[72:75], v2 offset:800
	ds_load_b128 v[76:79], v2 offset:816
	s_wait_loadcnt_dscnt 0x801
	v_mul_f64_e32 v[118:119], v[72:73], v[86:87]
	v_mul_f64_e32 v[86:87], v[74:75], v[86:87]
	v_add_f64_e32 v[4:5], v[4:5], v[108:109]
	v_add_f64_e32 v[8:9], v[110:111], v[8:9]
	s_wait_loadcnt_dscnt 0x700
	v_mul_f64_e32 v[108:109], v[76:77], v[90:91]
	v_mul_f64_e32 v[90:91], v[78:79], v[90:91]
	v_fmac_f64_e32 v[118:119], v[74:75], v[84:85]
	v_fma_f64 v[84:85], v[72:73], v[84:85], -v[86:87]
	v_add_f64_e32 v[4:5], v[4:5], v[80:81]
	v_add_f64_e32 v[8:9], v[8:9], v[116:117]
	ds_load_b128 v[72:75], v2 offset:832
	ds_load_b128 v[80:83], v2 offset:848
	v_fmac_f64_e32 v[108:109], v[78:79], v[88:89]
	v_fma_f64 v[76:77], v[76:77], v[88:89], -v[90:91]
	s_wait_loadcnt_dscnt 0x601
	v_mul_f64_e32 v[86:87], v[72:73], v[94:95]
	v_mul_f64_e32 v[94:95], v[74:75], v[94:95]
	s_wait_loadcnt_dscnt 0x500
	v_mul_f64_e32 v[88:89], v[82:83], v[98:99]
	v_add_f64_e32 v[4:5], v[4:5], v[84:85]
	v_add_f64_e32 v[8:9], v[8:9], v[118:119]
	v_mul_f64_e32 v[84:85], v[80:81], v[98:99]
	v_fmac_f64_e32 v[86:87], v[74:75], v[92:93]
	v_fma_f64 v[90:91], v[72:73], v[92:93], -v[94:95]
	v_fma_f64 v[80:81], v[80:81], v[96:97], -v[88:89]
	v_add_f64_e32 v[4:5], v[4:5], v[76:77]
	v_add_f64_e32 v[8:9], v[8:9], v[108:109]
	ds_load_b128 v[72:75], v2 offset:864
	ds_load_b128 v[76:79], v2 offset:880
	v_fmac_f64_e32 v[84:85], v[82:83], v[96:97]
	s_wait_loadcnt_dscnt 0x401
	v_mul_f64_e32 v[92:93], v[72:73], v[102:103]
	v_mul_f64_e32 v[94:95], v[74:75], v[102:103]
	s_wait_loadcnt_dscnt 0x300
	v_mul_f64_e32 v[82:83], v[76:77], v[106:107]
	v_add_f64_e32 v[4:5], v[4:5], v[90:91]
	v_add_f64_e32 v[8:9], v[8:9], v[86:87]
	v_mul_f64_e32 v[86:87], v[78:79], v[106:107]
	v_fmac_f64_e32 v[92:93], v[74:75], v[100:101]
	v_fma_f64 v[88:89], v[72:73], v[100:101], -v[94:95]
	v_fmac_f64_e32 v[82:83], v[78:79], v[104:105]
	v_add_f64_e32 v[80:81], v[4:5], v[80:81]
	v_add_f64_e32 v[8:9], v[8:9], v[84:85]
	ds_load_b128 v[72:75], v2 offset:896
	ds_load_b128 v[2:5], v2 offset:912
	v_fma_f64 v[76:77], v[76:77], v[104:105], -v[86:87]
	s_wait_loadcnt_dscnt 0x201
	v_mul_f64_e32 v[84:85], v[72:73], v[114:115]
	v_mul_f64_e32 v[90:91], v[74:75], v[114:115]
	v_add_f64_e32 v[78:79], v[80:81], v[88:89]
	v_add_f64_e32 v[8:9], v[8:9], v[92:93]
	s_wait_loadcnt_dscnt 0x0
	v_mul_f64_e32 v[80:81], v[2:3], v[12:13]
	v_mul_f64_e32 v[12:13], v[4:5], v[12:13]
	v_fmac_f64_e32 v[84:85], v[74:75], v[112:113]
	v_fma_f64 v[72:73], v[72:73], v[112:113], -v[90:91]
	v_add_f64_e32 v[74:75], v[78:79], v[76:77]
	v_add_f64_e32 v[8:9], v[8:9], v[82:83]
	v_fmac_f64_e32 v[80:81], v[4:5], v[10:11]
	v_fma_f64 v[2:3], v[2:3], v[10:11], -v[12:13]
	s_delay_alu instid0(VALU_DEP_4) | instskip(NEXT) | instid1(VALU_DEP_4)
	v_add_f64_e32 v[4:5], v[74:75], v[72:73]
	v_add_f64_e32 v[8:9], v[8:9], v[84:85]
	s_delay_alu instid0(VALU_DEP_2) | instskip(NEXT) | instid1(VALU_DEP_2)
	v_add_f64_e32 v[2:3], v[4:5], v[2:3]
	v_add_f64_e32 v[4:5], v[8:9], v[80:81]
	s_delay_alu instid0(VALU_DEP_2) | instskip(NEXT) | instid1(VALU_DEP_2)
	v_add_f64_e64 v[2:3], v[120:121], -v[2:3]
	v_add_f64_e64 v[4:5], v[122:123], -v[4:5]
	scratch_store_b128 off, v[2:5], off offset:256
	s_wait_xcnt 0x0
	v_cmpx_lt_u32_e32 15, v1
	s_cbranch_execz .LBB92_157
; %bb.156:
	scratch_load_b128 v[2:5], off, s29
	v_mov_b32_e32 v8, 0
	s_delay_alu instid0(VALU_DEP_1)
	v_dual_mov_b32 v9, v8 :: v_dual_mov_b32 v10, v8
	v_mov_b32_e32 v11, v8
	scratch_store_b128 off, v[8:11], off offset:240
	s_wait_loadcnt 0x0
	ds_store_b128 v6, v[2:5]
.LBB92_157:
	s_wait_xcnt 0x0
	s_or_b32 exec_lo, exec_lo, s2
	s_wait_storecnt_dscnt 0x0
	s_barrier_signal -1
	s_barrier_wait -1
	s_clause 0x9
	scratch_load_b128 v[8:11], off, off offset:256
	scratch_load_b128 v[72:75], off, off offset:272
	;; [unrolled: 1-line block ×10, first 2 shown]
	v_mov_b32_e32 v2, 0
	s_mov_b32 s2, exec_lo
	ds_load_b128 v[108:111], v2 offset:720
	s_clause 0x2
	scratch_load_b128 v[112:115], off, off offset:416
	scratch_load_b128 v[116:119], off, off offset:240
	;; [unrolled: 1-line block ×3, first 2 shown]
	s_wait_loadcnt_dscnt 0xc00
	v_mul_f64_e32 v[4:5], v[110:111], v[10:11]
	v_mul_f64_e32 v[132:133], v[108:109], v[10:11]
	ds_load_b128 v[120:123], v2 offset:736
	scratch_load_b128 v[10:13], off, off offset:432
	ds_load_b128 v[128:131], v2 offset:768
	v_fma_f64 v[4:5], v[108:109], v[8:9], -v[4:5]
	v_fmac_f64_e32 v[132:133], v[110:111], v[8:9]
	ds_load_b128 v[108:111], v2 offset:752
	s_wait_loadcnt_dscnt 0xc02
	v_mul_f64_e32 v[134:135], v[120:121], v[74:75]
	v_mul_f64_e32 v[74:75], v[122:123], v[74:75]
	s_wait_loadcnt_dscnt 0xb00
	v_mul_f64_e32 v[8:9], v[108:109], v[78:79]
	v_mul_f64_e32 v[78:79], v[110:111], v[78:79]
	v_add_f64_e32 v[4:5], 0, v[4:5]
	v_fmac_f64_e32 v[134:135], v[122:123], v[72:73]
	v_fma_f64 v[72:73], v[120:121], v[72:73], -v[74:75]
	v_add_f64_e32 v[74:75], 0, v[132:133]
	s_wait_loadcnt 0xa
	v_mul_f64_e32 v[120:121], v[128:129], v[82:83]
	v_mul_f64_e32 v[82:83], v[130:131], v[82:83]
	v_fmac_f64_e32 v[8:9], v[110:111], v[76:77]
	v_fma_f64 v[108:109], v[108:109], v[76:77], -v[78:79]
	v_add_f64_e32 v[4:5], v[4:5], v[72:73]
	v_add_f64_e32 v[110:111], v[74:75], v[134:135]
	ds_load_b128 v[72:75], v2 offset:784
	ds_load_b128 v[76:79], v2 offset:800
	v_fmac_f64_e32 v[120:121], v[130:131], v[80:81]
	v_fma_f64 v[80:81], v[128:129], v[80:81], -v[82:83]
	s_wait_loadcnt_dscnt 0x901
	v_mul_f64_e32 v[122:123], v[72:73], v[86:87]
	v_mul_f64_e32 v[86:87], v[74:75], v[86:87]
	v_add_f64_e32 v[4:5], v[4:5], v[108:109]
	v_add_f64_e32 v[8:9], v[110:111], v[8:9]
	s_wait_loadcnt_dscnt 0x800
	v_mul_f64_e32 v[108:109], v[76:77], v[90:91]
	v_mul_f64_e32 v[90:91], v[78:79], v[90:91]
	v_fmac_f64_e32 v[122:123], v[74:75], v[84:85]
	v_fma_f64 v[84:85], v[72:73], v[84:85], -v[86:87]
	v_add_f64_e32 v[4:5], v[4:5], v[80:81]
	v_add_f64_e32 v[8:9], v[8:9], v[120:121]
	ds_load_b128 v[72:75], v2 offset:816
	ds_load_b128 v[80:83], v2 offset:832
	v_fmac_f64_e32 v[108:109], v[78:79], v[88:89]
	v_fma_f64 v[76:77], v[76:77], v[88:89], -v[90:91]
	s_wait_loadcnt_dscnt 0x701
	v_mul_f64_e32 v[86:87], v[72:73], v[94:95]
	v_mul_f64_e32 v[94:95], v[74:75], v[94:95]
	s_wait_loadcnt_dscnt 0x600
	v_mul_f64_e32 v[88:89], v[82:83], v[98:99]
	v_add_f64_e32 v[4:5], v[4:5], v[84:85]
	v_add_f64_e32 v[8:9], v[8:9], v[122:123]
	v_mul_f64_e32 v[84:85], v[80:81], v[98:99]
	v_fmac_f64_e32 v[86:87], v[74:75], v[92:93]
	v_fma_f64 v[90:91], v[72:73], v[92:93], -v[94:95]
	v_fma_f64 v[80:81], v[80:81], v[96:97], -v[88:89]
	v_add_f64_e32 v[4:5], v[4:5], v[76:77]
	v_add_f64_e32 v[8:9], v[8:9], v[108:109]
	ds_load_b128 v[72:75], v2 offset:848
	ds_load_b128 v[76:79], v2 offset:864
	v_fmac_f64_e32 v[84:85], v[82:83], v[96:97]
	s_wait_loadcnt_dscnt 0x501
	v_mul_f64_e32 v[92:93], v[72:73], v[102:103]
	v_mul_f64_e32 v[94:95], v[74:75], v[102:103]
	s_wait_loadcnt_dscnt 0x400
	v_mul_f64_e32 v[88:89], v[78:79], v[106:107]
	v_add_f64_e32 v[4:5], v[4:5], v[90:91]
	v_add_f64_e32 v[8:9], v[8:9], v[86:87]
	v_mul_f64_e32 v[86:87], v[76:77], v[106:107]
	v_fmac_f64_e32 v[92:93], v[74:75], v[100:101]
	v_fma_f64 v[90:91], v[72:73], v[100:101], -v[94:95]
	v_fma_f64 v[76:77], v[76:77], v[104:105], -v[88:89]
	v_add_f64_e32 v[4:5], v[4:5], v[80:81]
	v_add_f64_e32 v[8:9], v[8:9], v[84:85]
	ds_load_b128 v[72:75], v2 offset:880
	ds_load_b128 v[80:83], v2 offset:896
	v_fmac_f64_e32 v[86:87], v[78:79], v[104:105]
	s_wait_loadcnt_dscnt 0x301
	v_mul_f64_e32 v[84:85], v[72:73], v[114:115]
	v_mul_f64_e32 v[94:95], v[74:75], v[114:115]
	s_wait_loadcnt_dscnt 0x0
	v_mul_f64_e32 v[78:79], v[80:81], v[12:13]
	v_add_f64_e32 v[4:5], v[4:5], v[90:91]
	v_add_f64_e32 v[8:9], v[8:9], v[92:93]
	v_mul_f64_e32 v[12:13], v[82:83], v[12:13]
	v_fmac_f64_e32 v[84:85], v[74:75], v[112:113]
	v_fma_f64 v[88:89], v[72:73], v[112:113], -v[94:95]
	ds_load_b128 v[72:75], v2 offset:912
	v_fmac_f64_e32 v[78:79], v[82:83], v[10:11]
	v_add_f64_e32 v[4:5], v[4:5], v[76:77]
	v_add_f64_e32 v[8:9], v[8:9], v[86:87]
	v_fma_f64 v[10:11], v[80:81], v[10:11], -v[12:13]
	s_wait_dscnt 0x0
	v_mul_f64_e32 v[76:77], v[72:73], v[126:127]
	v_mul_f64_e32 v[86:87], v[74:75], v[126:127]
	v_add_f64_e32 v[4:5], v[4:5], v[88:89]
	v_add_f64_e32 v[8:9], v[8:9], v[84:85]
	s_delay_alu instid0(VALU_DEP_4) | instskip(NEXT) | instid1(VALU_DEP_4)
	v_fmac_f64_e32 v[76:77], v[74:75], v[124:125]
	v_fma_f64 v[12:13], v[72:73], v[124:125], -v[86:87]
	s_delay_alu instid0(VALU_DEP_4) | instskip(NEXT) | instid1(VALU_DEP_4)
	v_add_f64_e32 v[4:5], v[4:5], v[10:11]
	v_add_f64_e32 v[8:9], v[8:9], v[78:79]
	s_delay_alu instid0(VALU_DEP_2) | instskip(NEXT) | instid1(VALU_DEP_2)
	v_add_f64_e32 v[4:5], v[4:5], v[12:13]
	v_add_f64_e32 v[10:11], v[8:9], v[76:77]
	s_delay_alu instid0(VALU_DEP_2) | instskip(NEXT) | instid1(VALU_DEP_2)
	v_add_f64_e64 v[8:9], v[116:117], -v[4:5]
	v_add_f64_e64 v[10:11], v[118:119], -v[10:11]
	scratch_store_b128 off, v[8:11], off offset:240
	s_wait_xcnt 0x0
	v_cmpx_lt_u32_e32 14, v1
	s_cbranch_execz .LBB92_159
; %bb.158:
	scratch_load_b128 v[8:11], off, s30
	v_dual_mov_b32 v3, v2 :: v_dual_mov_b32 v4, v2
	v_mov_b32_e32 v5, v2
	scratch_store_b128 off, v[2:5], off offset:224
	s_wait_loadcnt 0x0
	ds_store_b128 v6, v[8:11]
.LBB92_159:
	s_wait_xcnt 0x0
	s_or_b32 exec_lo, exec_lo, s2
	s_wait_storecnt_dscnt 0x0
	s_barrier_signal -1
	s_barrier_wait -1
	s_clause 0x9
	scratch_load_b128 v[8:11], off, off offset:240
	scratch_load_b128 v[72:75], off, off offset:256
	;; [unrolled: 1-line block ×10, first 2 shown]
	ds_load_b128 v[108:111], v2 offset:704
	ds_load_b128 v[116:119], v2 offset:720
	s_clause 0x1
	scratch_load_b128 v[112:115], off, off offset:400
	scratch_load_b128 v[120:123], off, off offset:224
	s_mov_b32 s2, exec_lo
	s_wait_loadcnt_dscnt 0xb01
	v_mul_f64_e32 v[4:5], v[110:111], v[10:11]
	v_mul_f64_e32 v[132:133], v[108:109], v[10:11]
	scratch_load_b128 v[10:13], off, off offset:416
	s_wait_loadcnt_dscnt 0xb00
	v_mul_f64_e32 v[134:135], v[116:117], v[74:75]
	v_mul_f64_e32 v[74:75], v[118:119], v[74:75]
	v_fma_f64 v[4:5], v[108:109], v[8:9], -v[4:5]
	v_fmac_f64_e32 v[132:133], v[110:111], v[8:9]
	ds_load_b128 v[108:111], v2 offset:736
	ds_load_b128 v[124:127], v2 offset:752
	scratch_load_b128 v[128:131], off, off offset:432
	v_fmac_f64_e32 v[134:135], v[118:119], v[72:73]
	v_fma_f64 v[116:117], v[116:117], v[72:73], -v[74:75]
	scratch_load_b128 v[72:75], off, off offset:448
	s_wait_loadcnt_dscnt 0xc01
	v_mul_f64_e32 v[8:9], v[108:109], v[78:79]
	v_mul_f64_e32 v[78:79], v[110:111], v[78:79]
	v_add_f64_e32 v[4:5], 0, v[4:5]
	v_add_f64_e32 v[118:119], 0, v[132:133]
	s_wait_loadcnt_dscnt 0xb00
	v_mul_f64_e32 v[132:133], v[124:125], v[82:83]
	v_mul_f64_e32 v[82:83], v[126:127], v[82:83]
	v_fmac_f64_e32 v[8:9], v[110:111], v[76:77]
	v_fma_f64 v[136:137], v[108:109], v[76:77], -v[78:79]
	ds_load_b128 v[76:79], v2 offset:768
	ds_load_b128 v[108:111], v2 offset:784
	v_add_f64_e32 v[4:5], v[4:5], v[116:117]
	v_add_f64_e32 v[116:117], v[118:119], v[134:135]
	v_fmac_f64_e32 v[132:133], v[126:127], v[80:81]
	v_fma_f64 v[80:81], v[124:125], v[80:81], -v[82:83]
	s_wait_loadcnt_dscnt 0xa01
	v_mul_f64_e32 v[118:119], v[76:77], v[86:87]
	v_mul_f64_e32 v[86:87], v[78:79], v[86:87]
	v_add_f64_e32 v[4:5], v[4:5], v[136:137]
	v_add_f64_e32 v[8:9], v[116:117], v[8:9]
	s_wait_loadcnt_dscnt 0x900
	v_mul_f64_e32 v[116:117], v[108:109], v[90:91]
	v_mul_f64_e32 v[90:91], v[110:111], v[90:91]
	v_fmac_f64_e32 v[118:119], v[78:79], v[84:85]
	v_fma_f64 v[84:85], v[76:77], v[84:85], -v[86:87]
	v_add_f64_e32 v[4:5], v[4:5], v[80:81]
	v_add_f64_e32 v[8:9], v[8:9], v[132:133]
	ds_load_b128 v[76:79], v2 offset:800
	ds_load_b128 v[80:83], v2 offset:816
	v_fmac_f64_e32 v[116:117], v[110:111], v[88:89]
	v_fma_f64 v[88:89], v[108:109], v[88:89], -v[90:91]
	s_wait_loadcnt_dscnt 0x801
	v_mul_f64_e32 v[124:125], v[76:77], v[94:95]
	v_mul_f64_e32 v[86:87], v[78:79], v[94:95]
	s_wait_loadcnt_dscnt 0x700
	v_mul_f64_e32 v[90:91], v[80:81], v[98:99]
	v_mul_f64_e32 v[94:95], v[82:83], v[98:99]
	v_add_f64_e32 v[4:5], v[4:5], v[84:85]
	v_add_f64_e32 v[8:9], v[8:9], v[118:119]
	v_fmac_f64_e32 v[124:125], v[78:79], v[92:93]
	v_fma_f64 v[92:93], v[76:77], v[92:93], -v[86:87]
	ds_load_b128 v[76:79], v2 offset:832
	ds_load_b128 v[84:87], v2 offset:848
	v_fmac_f64_e32 v[90:91], v[82:83], v[96:97]
	v_fma_f64 v[80:81], v[80:81], v[96:97], -v[94:95]
	v_add_f64_e32 v[4:5], v[4:5], v[88:89]
	v_add_f64_e32 v[8:9], v[8:9], v[116:117]
	s_wait_loadcnt_dscnt 0x601
	v_mul_f64_e32 v[88:89], v[76:77], v[102:103]
	v_mul_f64_e32 v[98:99], v[78:79], v[102:103]
	s_wait_loadcnt_dscnt 0x500
	v_mul_f64_e32 v[94:95], v[86:87], v[106:107]
	v_add_f64_e32 v[4:5], v[4:5], v[92:93]
	v_add_f64_e32 v[8:9], v[8:9], v[124:125]
	v_mul_f64_e32 v[92:93], v[84:85], v[106:107]
	v_fmac_f64_e32 v[88:89], v[78:79], v[100:101]
	v_fma_f64 v[96:97], v[76:77], v[100:101], -v[98:99]
	v_fma_f64 v[84:85], v[84:85], v[104:105], -v[94:95]
	v_add_f64_e32 v[4:5], v[4:5], v[80:81]
	v_add_f64_e32 v[8:9], v[8:9], v[90:91]
	ds_load_b128 v[76:79], v2 offset:864
	ds_load_b128 v[80:83], v2 offset:880
	v_fmac_f64_e32 v[92:93], v[86:87], v[104:105]
	s_wait_loadcnt_dscnt 0x401
	v_mul_f64_e32 v[90:91], v[76:77], v[114:115]
	v_mul_f64_e32 v[98:99], v[78:79], v[114:115]
	v_add_f64_e32 v[4:5], v[4:5], v[96:97]
	v_add_f64_e32 v[8:9], v[8:9], v[88:89]
	s_wait_loadcnt_dscnt 0x200
	v_mul_f64_e32 v[86:87], v[80:81], v[12:13]
	v_mul_f64_e32 v[12:13], v[82:83], v[12:13]
	v_fmac_f64_e32 v[90:91], v[78:79], v[112:113]
	v_fma_f64 v[88:89], v[76:77], v[112:113], -v[98:99]
	v_add_f64_e32 v[84:85], v[4:5], v[84:85]
	v_add_f64_e32 v[8:9], v[8:9], v[92:93]
	ds_load_b128 v[76:79], v2 offset:896
	ds_load_b128 v[2:5], v2 offset:912
	v_fmac_f64_e32 v[86:87], v[82:83], v[10:11]
	v_fma_f64 v[10:11], v[80:81], v[10:11], -v[12:13]
	s_wait_loadcnt_dscnt 0x101
	v_mul_f64_e32 v[92:93], v[76:77], v[130:131]
	v_mul_f64_e32 v[94:95], v[78:79], v[130:131]
	s_wait_loadcnt_dscnt 0x0
	v_mul_f64_e32 v[80:81], v[2:3], v[74:75]
	v_mul_f64_e32 v[74:75], v[4:5], v[74:75]
	v_add_f64_e32 v[12:13], v[84:85], v[88:89]
	v_add_f64_e32 v[8:9], v[8:9], v[90:91]
	v_fmac_f64_e32 v[92:93], v[78:79], v[128:129]
	v_fma_f64 v[76:77], v[76:77], v[128:129], -v[94:95]
	v_fmac_f64_e32 v[80:81], v[4:5], v[72:73]
	v_fma_f64 v[2:3], v[2:3], v[72:73], -v[74:75]
	v_add_f64_e32 v[10:11], v[12:13], v[10:11]
	v_add_f64_e32 v[8:9], v[8:9], v[86:87]
	s_delay_alu instid0(VALU_DEP_2) | instskip(NEXT) | instid1(VALU_DEP_2)
	v_add_f64_e32 v[4:5], v[10:11], v[76:77]
	v_add_f64_e32 v[8:9], v[8:9], v[92:93]
	s_delay_alu instid0(VALU_DEP_2) | instskip(NEXT) | instid1(VALU_DEP_2)
	;; [unrolled: 3-line block ×3, first 2 shown]
	v_add_f64_e64 v[2:3], v[120:121], -v[2:3]
	v_add_f64_e64 v[4:5], v[122:123], -v[4:5]
	scratch_store_b128 off, v[2:5], off offset:224
	s_wait_xcnt 0x0
	v_cmpx_lt_u32_e32 13, v1
	s_cbranch_execz .LBB92_161
; %bb.160:
	scratch_load_b128 v[2:5], off, s31
	v_mov_b32_e32 v8, 0
	s_delay_alu instid0(VALU_DEP_1)
	v_dual_mov_b32 v9, v8 :: v_dual_mov_b32 v10, v8
	v_mov_b32_e32 v11, v8
	scratch_store_b128 off, v[8:11], off offset:208
	s_wait_loadcnt 0x0
	ds_store_b128 v6, v[2:5]
.LBB92_161:
	s_wait_xcnt 0x0
	s_or_b32 exec_lo, exec_lo, s2
	s_wait_storecnt_dscnt 0x0
	s_barrier_signal -1
	s_barrier_wait -1
	s_clause 0x9
	scratch_load_b128 v[8:11], off, off offset:224
	scratch_load_b128 v[72:75], off, off offset:240
	scratch_load_b128 v[76:79], off, off offset:256
	scratch_load_b128 v[80:83], off, off offset:272
	scratch_load_b128 v[84:87], off, off offset:288
	scratch_load_b128 v[88:91], off, off offset:304
	scratch_load_b128 v[92:95], off, off offset:320
	scratch_load_b128 v[96:99], off, off offset:336
	scratch_load_b128 v[100:103], off, off offset:352
	scratch_load_b128 v[104:107], off, off offset:368
	v_mov_b32_e32 v2, 0
	s_mov_b32 s2, exec_lo
	ds_load_b128 v[108:111], v2 offset:688
	s_clause 0x2
	scratch_load_b128 v[112:115], off, off offset:384
	scratch_load_b128 v[116:119], off, off offset:208
	;; [unrolled: 1-line block ×3, first 2 shown]
	s_wait_loadcnt_dscnt 0xc00
	v_mul_f64_e32 v[4:5], v[110:111], v[10:11]
	v_mul_f64_e32 v[132:133], v[108:109], v[10:11]
	ds_load_b128 v[120:123], v2 offset:704
	scratch_load_b128 v[10:13], off, off offset:400
	ds_load_b128 v[128:131], v2 offset:736
	v_fma_f64 v[4:5], v[108:109], v[8:9], -v[4:5]
	v_fmac_f64_e32 v[132:133], v[110:111], v[8:9]
	ds_load_b128 v[108:111], v2 offset:720
	s_wait_loadcnt_dscnt 0xc02
	v_mul_f64_e32 v[134:135], v[120:121], v[74:75]
	v_mul_f64_e32 v[74:75], v[122:123], v[74:75]
	s_wait_loadcnt_dscnt 0xb00
	v_mul_f64_e32 v[8:9], v[108:109], v[78:79]
	v_mul_f64_e32 v[78:79], v[110:111], v[78:79]
	v_add_f64_e32 v[4:5], 0, v[4:5]
	v_fmac_f64_e32 v[134:135], v[122:123], v[72:73]
	v_fma_f64 v[120:121], v[120:121], v[72:73], -v[74:75]
	v_add_f64_e32 v[122:123], 0, v[132:133]
	scratch_load_b128 v[72:75], off, off offset:432
	v_fmac_f64_e32 v[8:9], v[110:111], v[76:77]
	v_fma_f64 v[136:137], v[108:109], v[76:77], -v[78:79]
	ds_load_b128 v[76:79], v2 offset:752
	s_wait_loadcnt 0xb
	v_mul_f64_e32 v[132:133], v[128:129], v[82:83]
	v_mul_f64_e32 v[82:83], v[130:131], v[82:83]
	scratch_load_b128 v[108:111], off, off offset:448
	v_add_f64_e32 v[4:5], v[4:5], v[120:121]
	v_add_f64_e32 v[134:135], v[122:123], v[134:135]
	ds_load_b128 v[120:123], v2 offset:768
	s_wait_loadcnt_dscnt 0xb01
	v_mul_f64_e32 v[138:139], v[76:77], v[86:87]
	v_mul_f64_e32 v[86:87], v[78:79], v[86:87]
	v_fmac_f64_e32 v[132:133], v[130:131], v[80:81]
	v_fma_f64 v[80:81], v[128:129], v[80:81], -v[82:83]
	s_wait_loadcnt_dscnt 0xa00
	v_mul_f64_e32 v[128:129], v[120:121], v[90:91]
	v_mul_f64_e32 v[90:91], v[122:123], v[90:91]
	v_add_f64_e32 v[4:5], v[4:5], v[136:137]
	v_add_f64_e32 v[8:9], v[134:135], v[8:9]
	v_fmac_f64_e32 v[138:139], v[78:79], v[84:85]
	v_fma_f64 v[84:85], v[76:77], v[84:85], -v[86:87]
	v_fmac_f64_e32 v[128:129], v[122:123], v[88:89]
	v_fma_f64 v[88:89], v[120:121], v[88:89], -v[90:91]
	v_add_f64_e32 v[4:5], v[4:5], v[80:81]
	v_add_f64_e32 v[8:9], v[8:9], v[132:133]
	ds_load_b128 v[76:79], v2 offset:784
	ds_load_b128 v[80:83], v2 offset:800
	s_wait_loadcnt_dscnt 0x901
	v_mul_f64_e32 v[130:131], v[76:77], v[94:95]
	v_mul_f64_e32 v[86:87], v[78:79], v[94:95]
	s_wait_loadcnt_dscnt 0x800
	v_mul_f64_e32 v[90:91], v[80:81], v[98:99]
	v_mul_f64_e32 v[94:95], v[82:83], v[98:99]
	v_add_f64_e32 v[4:5], v[4:5], v[84:85]
	v_add_f64_e32 v[8:9], v[8:9], v[138:139]
	v_fmac_f64_e32 v[130:131], v[78:79], v[92:93]
	v_fma_f64 v[92:93], v[76:77], v[92:93], -v[86:87]
	ds_load_b128 v[76:79], v2 offset:816
	ds_load_b128 v[84:87], v2 offset:832
	v_fmac_f64_e32 v[90:91], v[82:83], v[96:97]
	v_fma_f64 v[80:81], v[80:81], v[96:97], -v[94:95]
	v_add_f64_e32 v[4:5], v[4:5], v[88:89]
	v_add_f64_e32 v[8:9], v[8:9], v[128:129]
	s_wait_loadcnt_dscnt 0x701
	v_mul_f64_e32 v[88:89], v[76:77], v[102:103]
	v_mul_f64_e32 v[98:99], v[78:79], v[102:103]
	s_wait_loadcnt_dscnt 0x600
	v_mul_f64_e32 v[94:95], v[86:87], v[106:107]
	v_add_f64_e32 v[4:5], v[4:5], v[92:93]
	v_add_f64_e32 v[8:9], v[8:9], v[130:131]
	v_mul_f64_e32 v[92:93], v[84:85], v[106:107]
	v_fmac_f64_e32 v[88:89], v[78:79], v[100:101]
	v_fma_f64 v[96:97], v[76:77], v[100:101], -v[98:99]
	v_fma_f64 v[84:85], v[84:85], v[104:105], -v[94:95]
	v_add_f64_e32 v[4:5], v[4:5], v[80:81]
	v_add_f64_e32 v[8:9], v[8:9], v[90:91]
	ds_load_b128 v[76:79], v2 offset:848
	ds_load_b128 v[80:83], v2 offset:864
	v_fmac_f64_e32 v[92:93], v[86:87], v[104:105]
	s_wait_loadcnt_dscnt 0x501
	v_mul_f64_e32 v[90:91], v[76:77], v[114:115]
	v_mul_f64_e32 v[98:99], v[78:79], v[114:115]
	v_add_f64_e32 v[4:5], v[4:5], v[96:97]
	v_add_f64_e32 v[8:9], v[8:9], v[88:89]
	s_wait_loadcnt_dscnt 0x200
	v_mul_f64_e32 v[88:89], v[80:81], v[12:13]
	v_mul_f64_e32 v[12:13], v[82:83], v[12:13]
	v_fmac_f64_e32 v[90:91], v[78:79], v[112:113]
	v_fma_f64 v[94:95], v[76:77], v[112:113], -v[98:99]
	v_add_f64_e32 v[4:5], v[4:5], v[84:85]
	v_add_f64_e32 v[8:9], v[8:9], v[92:93]
	ds_load_b128 v[76:79], v2 offset:880
	ds_load_b128 v[84:87], v2 offset:896
	v_fmac_f64_e32 v[88:89], v[82:83], v[10:11]
	v_fma_f64 v[10:11], v[80:81], v[10:11], -v[12:13]
	s_wait_dscnt 0x1
	v_mul_f64_e32 v[92:93], v[76:77], v[126:127]
	v_mul_f64_e32 v[96:97], v[78:79], v[126:127]
	v_add_f64_e32 v[4:5], v[4:5], v[94:95]
	v_add_f64_e32 v[8:9], v[8:9], v[90:91]
	s_wait_loadcnt_dscnt 0x100
	v_mul_f64_e32 v[12:13], v[84:85], v[74:75]
	v_mul_f64_e32 v[74:75], v[86:87], v[74:75]
	v_fmac_f64_e32 v[92:93], v[78:79], v[124:125]
	v_fma_f64 v[76:77], v[76:77], v[124:125], -v[96:97]
	v_add_f64_e32 v[4:5], v[4:5], v[10:11]
	v_add_f64_e32 v[78:79], v[8:9], v[88:89]
	ds_load_b128 v[8:11], v2 offset:912
	v_fmac_f64_e32 v[12:13], v[86:87], v[72:73]
	v_fma_f64 v[72:73], v[84:85], v[72:73], -v[74:75]
	s_wait_loadcnt_dscnt 0x0
	v_mul_f64_e32 v[80:81], v[8:9], v[110:111]
	v_mul_f64_e32 v[82:83], v[10:11], v[110:111]
	v_add_f64_e32 v[4:5], v[4:5], v[76:77]
	v_add_f64_e32 v[74:75], v[78:79], v[92:93]
	s_delay_alu instid0(VALU_DEP_4) | instskip(NEXT) | instid1(VALU_DEP_4)
	v_fmac_f64_e32 v[80:81], v[10:11], v[108:109]
	v_fma_f64 v[8:9], v[8:9], v[108:109], -v[82:83]
	s_delay_alu instid0(VALU_DEP_4) | instskip(NEXT) | instid1(VALU_DEP_4)
	v_add_f64_e32 v[4:5], v[4:5], v[72:73]
	v_add_f64_e32 v[10:11], v[74:75], v[12:13]
	s_delay_alu instid0(VALU_DEP_2) | instskip(NEXT) | instid1(VALU_DEP_2)
	v_add_f64_e32 v[4:5], v[4:5], v[8:9]
	v_add_f64_e32 v[10:11], v[10:11], v[80:81]
	s_delay_alu instid0(VALU_DEP_2) | instskip(NEXT) | instid1(VALU_DEP_2)
	v_add_f64_e64 v[8:9], v[116:117], -v[4:5]
	v_add_f64_e64 v[10:11], v[118:119], -v[10:11]
	scratch_store_b128 off, v[8:11], off offset:208
	s_wait_xcnt 0x0
	v_cmpx_lt_u32_e32 12, v1
	s_cbranch_execz .LBB92_163
; %bb.162:
	scratch_load_b128 v[8:11], off, s33
	v_dual_mov_b32 v3, v2 :: v_dual_mov_b32 v4, v2
	v_mov_b32_e32 v5, v2
	scratch_store_b128 off, v[2:5], off offset:192
	s_wait_loadcnt 0x0
	ds_store_b128 v6, v[8:11]
.LBB92_163:
	s_wait_xcnt 0x0
	s_or_b32 exec_lo, exec_lo, s2
	s_wait_storecnt_dscnt 0x0
	s_barrier_signal -1
	s_barrier_wait -1
	s_clause 0x9
	scratch_load_b128 v[8:11], off, off offset:208
	scratch_load_b128 v[72:75], off, off offset:224
	;; [unrolled: 1-line block ×10, first 2 shown]
	ds_load_b128 v[108:111], v2 offset:672
	ds_load_b128 v[116:119], v2 offset:688
	s_clause 0x1
	scratch_load_b128 v[112:115], off, off offset:368
	scratch_load_b128 v[120:123], off, off offset:192
	s_mov_b32 s2, exec_lo
	s_wait_loadcnt_dscnt 0xb01
	v_mul_f64_e32 v[4:5], v[110:111], v[10:11]
	v_mul_f64_e32 v[132:133], v[108:109], v[10:11]
	scratch_load_b128 v[10:13], off, off offset:384
	s_wait_loadcnt_dscnt 0xb00
	v_mul_f64_e32 v[134:135], v[116:117], v[74:75]
	v_mul_f64_e32 v[74:75], v[118:119], v[74:75]
	v_fma_f64 v[4:5], v[108:109], v[8:9], -v[4:5]
	v_fmac_f64_e32 v[132:133], v[110:111], v[8:9]
	ds_load_b128 v[108:111], v2 offset:704
	ds_load_b128 v[124:127], v2 offset:720
	scratch_load_b128 v[128:131], off, off offset:400
	v_fmac_f64_e32 v[134:135], v[118:119], v[72:73]
	v_fma_f64 v[116:117], v[116:117], v[72:73], -v[74:75]
	scratch_load_b128 v[72:75], off, off offset:416
	s_wait_loadcnt_dscnt 0xc01
	v_mul_f64_e32 v[8:9], v[108:109], v[78:79]
	v_mul_f64_e32 v[78:79], v[110:111], v[78:79]
	v_add_f64_e32 v[4:5], 0, v[4:5]
	v_add_f64_e32 v[118:119], 0, v[132:133]
	s_wait_loadcnt_dscnt 0xb00
	v_mul_f64_e32 v[132:133], v[124:125], v[82:83]
	v_mul_f64_e32 v[82:83], v[126:127], v[82:83]
	v_fmac_f64_e32 v[8:9], v[110:111], v[76:77]
	v_fma_f64 v[136:137], v[108:109], v[76:77], -v[78:79]
	ds_load_b128 v[76:79], v2 offset:736
	ds_load_b128 v[108:111], v2 offset:752
	v_add_f64_e32 v[4:5], v[4:5], v[116:117]
	v_add_f64_e32 v[134:135], v[118:119], v[134:135]
	scratch_load_b128 v[116:119], off, off offset:432
	v_fmac_f64_e32 v[132:133], v[126:127], v[80:81]
	v_fma_f64 v[124:125], v[124:125], v[80:81], -v[82:83]
	scratch_load_b128 v[80:83], off, off offset:448
	s_wait_loadcnt_dscnt 0xc01
	v_mul_f64_e32 v[138:139], v[76:77], v[86:87]
	v_mul_f64_e32 v[86:87], v[78:79], v[86:87]
	s_wait_loadcnt_dscnt 0xb00
	v_mul_f64_e32 v[126:127], v[108:109], v[90:91]
	v_mul_f64_e32 v[90:91], v[110:111], v[90:91]
	v_add_f64_e32 v[4:5], v[4:5], v[136:137]
	v_add_f64_e32 v[8:9], v[134:135], v[8:9]
	v_fmac_f64_e32 v[138:139], v[78:79], v[84:85]
	v_fma_f64 v[134:135], v[76:77], v[84:85], -v[86:87]
	ds_load_b128 v[76:79], v2 offset:768
	ds_load_b128 v[84:87], v2 offset:784
	v_fmac_f64_e32 v[126:127], v[110:111], v[88:89]
	v_fma_f64 v[88:89], v[108:109], v[88:89], -v[90:91]
	s_wait_loadcnt_dscnt 0x900
	v_mul_f64_e32 v[108:109], v[84:85], v[98:99]
	v_add_f64_e32 v[4:5], v[4:5], v[124:125]
	v_add_f64_e32 v[8:9], v[8:9], v[132:133]
	v_mul_f64_e32 v[124:125], v[76:77], v[94:95]
	v_mul_f64_e32 v[94:95], v[78:79], v[94:95]
	;; [unrolled: 1-line block ×3, first 2 shown]
	v_fmac_f64_e32 v[108:109], v[86:87], v[96:97]
	v_add_f64_e32 v[4:5], v[4:5], v[134:135]
	v_add_f64_e32 v[8:9], v[8:9], v[138:139]
	v_fmac_f64_e32 v[124:125], v[78:79], v[92:93]
	v_fma_f64 v[92:93], v[76:77], v[92:93], -v[94:95]
	v_fma_f64 v[84:85], v[84:85], v[96:97], -v[98:99]
	v_add_f64_e32 v[4:5], v[4:5], v[88:89]
	v_add_f64_e32 v[8:9], v[8:9], v[126:127]
	ds_load_b128 v[76:79], v2 offset:800
	ds_load_b128 v[88:91], v2 offset:816
	s_wait_loadcnt_dscnt 0x801
	v_mul_f64_e32 v[94:95], v[76:77], v[102:103]
	v_mul_f64_e32 v[102:103], v[78:79], v[102:103]
	s_wait_loadcnt_dscnt 0x700
	v_mul_f64_e32 v[96:97], v[90:91], v[106:107]
	v_add_f64_e32 v[4:5], v[4:5], v[92:93]
	v_add_f64_e32 v[8:9], v[8:9], v[124:125]
	v_mul_f64_e32 v[92:93], v[88:89], v[106:107]
	v_fmac_f64_e32 v[94:95], v[78:79], v[100:101]
	v_fma_f64 v[98:99], v[76:77], v[100:101], -v[102:103]
	v_fma_f64 v[88:89], v[88:89], v[104:105], -v[96:97]
	v_add_f64_e32 v[4:5], v[4:5], v[84:85]
	v_add_f64_e32 v[8:9], v[8:9], v[108:109]
	ds_load_b128 v[76:79], v2 offset:832
	ds_load_b128 v[84:87], v2 offset:848
	v_fmac_f64_e32 v[92:93], v[90:91], v[104:105]
	s_wait_loadcnt_dscnt 0x601
	v_mul_f64_e32 v[100:101], v[76:77], v[114:115]
	v_mul_f64_e32 v[102:103], v[78:79], v[114:115]
	v_add_f64_e32 v[4:5], v[4:5], v[98:99]
	v_add_f64_e32 v[8:9], v[8:9], v[94:95]
	s_wait_loadcnt_dscnt 0x400
	v_mul_f64_e32 v[94:95], v[84:85], v[12:13]
	v_mul_f64_e32 v[12:13], v[86:87], v[12:13]
	v_fmac_f64_e32 v[100:101], v[78:79], v[112:113]
	v_fma_f64 v[96:97], v[76:77], v[112:113], -v[102:103]
	v_add_f64_e32 v[4:5], v[4:5], v[88:89]
	v_add_f64_e32 v[8:9], v[8:9], v[92:93]
	ds_load_b128 v[76:79], v2 offset:864
	ds_load_b128 v[88:91], v2 offset:880
	v_fmac_f64_e32 v[94:95], v[86:87], v[10:11]
	v_fma_f64 v[10:11], v[84:85], v[10:11], -v[12:13]
	s_wait_loadcnt_dscnt 0x301
	v_mul_f64_e32 v[92:93], v[76:77], v[130:131]
	v_mul_f64_e32 v[98:99], v[78:79], v[130:131]
	s_wait_loadcnt_dscnt 0x200
	v_mul_f64_e32 v[12:13], v[88:89], v[74:75]
	v_mul_f64_e32 v[74:75], v[90:91], v[74:75]
	v_add_f64_e32 v[4:5], v[4:5], v[96:97]
	v_add_f64_e32 v[8:9], v[8:9], v[100:101]
	v_fmac_f64_e32 v[92:93], v[78:79], v[128:129]
	v_fma_f64 v[76:77], v[76:77], v[128:129], -v[98:99]
	v_fmac_f64_e32 v[12:13], v[90:91], v[72:73]
	v_fma_f64 v[72:73], v[88:89], v[72:73], -v[74:75]
	v_add_f64_e32 v[78:79], v[4:5], v[10:11]
	v_add_f64_e32 v[84:85], v[8:9], v[94:95]
	ds_load_b128 v[8:11], v2 offset:896
	ds_load_b128 v[2:5], v2 offset:912
	s_wait_loadcnt_dscnt 0x101
	v_mul_f64_e32 v[86:87], v[8:9], v[118:119]
	v_mul_f64_e32 v[94:95], v[10:11], v[118:119]
	v_add_f64_e32 v[74:75], v[78:79], v[76:77]
	v_add_f64_e32 v[76:77], v[84:85], v[92:93]
	s_wait_loadcnt_dscnt 0x0
	v_mul_f64_e32 v[78:79], v[2:3], v[82:83]
	v_mul_f64_e32 v[82:83], v[4:5], v[82:83]
	v_fmac_f64_e32 v[86:87], v[10:11], v[116:117]
	v_fma_f64 v[8:9], v[8:9], v[116:117], -v[94:95]
	v_add_f64_e32 v[10:11], v[74:75], v[72:73]
	v_add_f64_e32 v[12:13], v[76:77], v[12:13]
	v_fmac_f64_e32 v[78:79], v[4:5], v[80:81]
	v_fma_f64 v[2:3], v[2:3], v[80:81], -v[82:83]
	s_delay_alu instid0(VALU_DEP_4) | instskip(NEXT) | instid1(VALU_DEP_4)
	v_add_f64_e32 v[4:5], v[10:11], v[8:9]
	v_add_f64_e32 v[8:9], v[12:13], v[86:87]
	s_delay_alu instid0(VALU_DEP_2) | instskip(NEXT) | instid1(VALU_DEP_2)
	v_add_f64_e32 v[2:3], v[4:5], v[2:3]
	v_add_f64_e32 v[4:5], v[8:9], v[78:79]
	s_delay_alu instid0(VALU_DEP_2) | instskip(NEXT) | instid1(VALU_DEP_2)
	v_add_f64_e64 v[2:3], v[120:121], -v[2:3]
	v_add_f64_e64 v[4:5], v[122:123], -v[4:5]
	scratch_store_b128 off, v[2:5], off offset:192
	s_wait_xcnt 0x0
	v_cmpx_lt_u32_e32 11, v1
	s_cbranch_execz .LBB92_165
; %bb.164:
	scratch_load_b128 v[2:5], off, s34
	v_mov_b32_e32 v8, 0
	s_delay_alu instid0(VALU_DEP_1)
	v_dual_mov_b32 v9, v8 :: v_dual_mov_b32 v10, v8
	v_mov_b32_e32 v11, v8
	scratch_store_b128 off, v[8:11], off offset:176
	s_wait_loadcnt 0x0
	ds_store_b128 v6, v[2:5]
.LBB92_165:
	s_wait_xcnt 0x0
	s_or_b32 exec_lo, exec_lo, s2
	s_wait_storecnt_dscnt 0x0
	s_barrier_signal -1
	s_barrier_wait -1
	s_clause 0x9
	scratch_load_b128 v[8:11], off, off offset:192
	scratch_load_b128 v[72:75], off, off offset:208
	;; [unrolled: 1-line block ×10, first 2 shown]
	v_mov_b32_e32 v2, 0
	s_mov_b32 s2, exec_lo
	ds_load_b128 v[108:111], v2 offset:656
	s_clause 0x2
	scratch_load_b128 v[112:115], off, off offset:352
	scratch_load_b128 v[116:119], off, off offset:176
	;; [unrolled: 1-line block ×3, first 2 shown]
	s_wait_loadcnt_dscnt 0xc00
	v_mul_f64_e32 v[4:5], v[110:111], v[10:11]
	v_mul_f64_e32 v[132:133], v[108:109], v[10:11]
	ds_load_b128 v[120:123], v2 offset:672
	scratch_load_b128 v[10:13], off, off offset:368
	ds_load_b128 v[128:131], v2 offset:704
	v_fma_f64 v[4:5], v[108:109], v[8:9], -v[4:5]
	v_fmac_f64_e32 v[132:133], v[110:111], v[8:9]
	ds_load_b128 v[108:111], v2 offset:688
	s_wait_loadcnt_dscnt 0xc02
	v_mul_f64_e32 v[134:135], v[120:121], v[74:75]
	v_mul_f64_e32 v[74:75], v[122:123], v[74:75]
	s_wait_loadcnt_dscnt 0xb00
	v_mul_f64_e32 v[8:9], v[108:109], v[78:79]
	v_mul_f64_e32 v[78:79], v[110:111], v[78:79]
	v_add_f64_e32 v[4:5], 0, v[4:5]
	v_fmac_f64_e32 v[134:135], v[122:123], v[72:73]
	v_fma_f64 v[120:121], v[120:121], v[72:73], -v[74:75]
	v_add_f64_e32 v[122:123], 0, v[132:133]
	scratch_load_b128 v[72:75], off, off offset:400
	v_fmac_f64_e32 v[8:9], v[110:111], v[76:77]
	v_fma_f64 v[136:137], v[108:109], v[76:77], -v[78:79]
	ds_load_b128 v[76:79], v2 offset:720
	s_wait_loadcnt 0xb
	v_mul_f64_e32 v[132:133], v[128:129], v[82:83]
	v_mul_f64_e32 v[82:83], v[130:131], v[82:83]
	scratch_load_b128 v[108:111], off, off offset:416
	v_add_f64_e32 v[4:5], v[4:5], v[120:121]
	v_add_f64_e32 v[134:135], v[122:123], v[134:135]
	ds_load_b128 v[120:123], v2 offset:736
	s_wait_loadcnt_dscnt 0xb01
	v_mul_f64_e32 v[138:139], v[76:77], v[86:87]
	v_mul_f64_e32 v[86:87], v[78:79], v[86:87]
	v_fmac_f64_e32 v[132:133], v[130:131], v[80:81]
	v_fma_f64 v[128:129], v[128:129], v[80:81], -v[82:83]
	scratch_load_b128 v[80:83], off, off offset:432
	v_add_f64_e32 v[4:5], v[4:5], v[136:137]
	v_add_f64_e32 v[8:9], v[134:135], v[8:9]
	v_fmac_f64_e32 v[138:139], v[78:79], v[84:85]
	v_fma_f64 v[136:137], v[76:77], v[84:85], -v[86:87]
	ds_load_b128 v[76:79], v2 offset:752
	s_wait_loadcnt_dscnt 0xb01
	v_mul_f64_e32 v[134:135], v[120:121], v[90:91]
	v_mul_f64_e32 v[90:91], v[122:123], v[90:91]
	scratch_load_b128 v[84:87], off, off offset:448
	v_add_f64_e32 v[4:5], v[4:5], v[128:129]
	v_add_f64_e32 v[8:9], v[8:9], v[132:133]
	s_wait_loadcnt_dscnt 0xb00
	v_mul_f64_e32 v[132:133], v[76:77], v[94:95]
	v_mul_f64_e32 v[94:95], v[78:79], v[94:95]
	ds_load_b128 v[128:131], v2 offset:768
	v_fmac_f64_e32 v[134:135], v[122:123], v[88:89]
	v_fma_f64 v[88:89], v[120:121], v[88:89], -v[90:91]
	s_wait_loadcnt_dscnt 0xa00
	v_mul_f64_e32 v[120:121], v[128:129], v[98:99]
	v_mul_f64_e32 v[98:99], v[130:131], v[98:99]
	v_add_f64_e32 v[4:5], v[4:5], v[136:137]
	v_add_f64_e32 v[8:9], v[8:9], v[138:139]
	v_fmac_f64_e32 v[132:133], v[78:79], v[92:93]
	v_fma_f64 v[92:93], v[76:77], v[92:93], -v[94:95]
	v_fmac_f64_e32 v[120:121], v[130:131], v[96:97]
	v_fma_f64 v[96:97], v[128:129], v[96:97], -v[98:99]
	v_add_f64_e32 v[4:5], v[4:5], v[88:89]
	v_add_f64_e32 v[8:9], v[8:9], v[134:135]
	ds_load_b128 v[76:79], v2 offset:784
	ds_load_b128 v[88:91], v2 offset:800
	s_wait_loadcnt_dscnt 0x901
	v_mul_f64_e32 v[122:123], v[76:77], v[102:103]
	v_mul_f64_e32 v[94:95], v[78:79], v[102:103]
	s_wait_loadcnt_dscnt 0x800
	v_mul_f64_e32 v[98:99], v[88:89], v[106:107]
	v_mul_f64_e32 v[102:103], v[90:91], v[106:107]
	v_add_f64_e32 v[4:5], v[4:5], v[92:93]
	v_add_f64_e32 v[8:9], v[8:9], v[132:133]
	v_fmac_f64_e32 v[122:123], v[78:79], v[100:101]
	v_fma_f64 v[100:101], v[76:77], v[100:101], -v[94:95]
	ds_load_b128 v[76:79], v2 offset:816
	ds_load_b128 v[92:95], v2 offset:832
	v_fmac_f64_e32 v[98:99], v[90:91], v[104:105]
	v_fma_f64 v[88:89], v[88:89], v[104:105], -v[102:103]
	v_add_f64_e32 v[4:5], v[4:5], v[96:97]
	v_add_f64_e32 v[8:9], v[8:9], v[120:121]
	s_wait_loadcnt_dscnt 0x701
	v_mul_f64_e32 v[96:97], v[76:77], v[114:115]
	v_mul_f64_e32 v[106:107], v[78:79], v[114:115]
	s_delay_alu instid0(VALU_DEP_4) | instskip(NEXT) | instid1(VALU_DEP_4)
	v_add_f64_e32 v[4:5], v[4:5], v[100:101]
	v_add_f64_e32 v[8:9], v[8:9], v[122:123]
	s_wait_loadcnt_dscnt 0x400
	v_mul_f64_e32 v[100:101], v[92:93], v[12:13]
	v_mul_f64_e32 v[12:13], v[94:95], v[12:13]
	v_fmac_f64_e32 v[96:97], v[78:79], v[112:113]
	v_fma_f64 v[102:103], v[76:77], v[112:113], -v[106:107]
	v_add_f64_e32 v[4:5], v[4:5], v[88:89]
	v_add_f64_e32 v[8:9], v[8:9], v[98:99]
	ds_load_b128 v[76:79], v2 offset:848
	ds_load_b128 v[88:91], v2 offset:864
	v_fmac_f64_e32 v[100:101], v[94:95], v[10:11]
	v_fma_f64 v[10:11], v[92:93], v[10:11], -v[12:13]
	s_wait_dscnt 0x1
	v_mul_f64_e32 v[98:99], v[76:77], v[126:127]
	v_mul_f64_e32 v[104:105], v[78:79], v[126:127]
	v_add_f64_e32 v[4:5], v[4:5], v[102:103]
	v_add_f64_e32 v[8:9], v[8:9], v[96:97]
	s_wait_loadcnt_dscnt 0x300
	v_mul_f64_e32 v[12:13], v[88:89], v[74:75]
	v_mul_f64_e32 v[92:93], v[90:91], v[74:75]
	v_fmac_f64_e32 v[98:99], v[78:79], v[124:125]
	v_fma_f64 v[78:79], v[76:77], v[124:125], -v[104:105]
	v_add_f64_e32 v[4:5], v[4:5], v[10:11]
	v_add_f64_e32 v[94:95], v[8:9], v[100:101]
	ds_load_b128 v[8:11], v2 offset:880
	ds_load_b128 v[74:77], v2 offset:896
	v_fmac_f64_e32 v[12:13], v[90:91], v[72:73]
	v_fma_f64 v[72:73], v[88:89], v[72:73], -v[92:93]
	s_wait_loadcnt_dscnt 0x201
	v_mul_f64_e32 v[96:97], v[8:9], v[110:111]
	v_mul_f64_e32 v[100:101], v[10:11], v[110:111]
	s_wait_loadcnt_dscnt 0x100
	v_mul_f64_e32 v[88:89], v[74:75], v[82:83]
	v_mul_f64_e32 v[82:83], v[76:77], v[82:83]
	v_add_f64_e32 v[4:5], v[4:5], v[78:79]
	v_add_f64_e32 v[78:79], v[94:95], v[98:99]
	v_fmac_f64_e32 v[96:97], v[10:11], v[108:109]
	v_fma_f64 v[90:91], v[8:9], v[108:109], -v[100:101]
	ds_load_b128 v[8:11], v2 offset:912
	v_fmac_f64_e32 v[88:89], v[76:77], v[80:81]
	v_fma_f64 v[74:75], v[74:75], v[80:81], -v[82:83]
	v_add_f64_e32 v[4:5], v[4:5], v[72:73]
	v_add_f64_e32 v[12:13], v[78:79], v[12:13]
	s_wait_loadcnt_dscnt 0x0
	v_mul_f64_e32 v[72:73], v[8:9], v[86:87]
	v_mul_f64_e32 v[78:79], v[10:11], v[86:87]
	s_delay_alu instid0(VALU_DEP_4) | instskip(NEXT) | instid1(VALU_DEP_4)
	v_add_f64_e32 v[4:5], v[4:5], v[90:91]
	v_add_f64_e32 v[12:13], v[12:13], v[96:97]
	s_delay_alu instid0(VALU_DEP_4) | instskip(NEXT) | instid1(VALU_DEP_4)
	v_fmac_f64_e32 v[72:73], v[10:11], v[84:85]
	v_fma_f64 v[8:9], v[8:9], v[84:85], -v[78:79]
	s_delay_alu instid0(VALU_DEP_4) | instskip(NEXT) | instid1(VALU_DEP_4)
	v_add_f64_e32 v[4:5], v[4:5], v[74:75]
	v_add_f64_e32 v[10:11], v[12:13], v[88:89]
	s_delay_alu instid0(VALU_DEP_2) | instskip(NEXT) | instid1(VALU_DEP_2)
	v_add_f64_e32 v[4:5], v[4:5], v[8:9]
	v_add_f64_e32 v[10:11], v[10:11], v[72:73]
	s_delay_alu instid0(VALU_DEP_2) | instskip(NEXT) | instid1(VALU_DEP_2)
	v_add_f64_e64 v[8:9], v[116:117], -v[4:5]
	v_add_f64_e64 v[10:11], v[118:119], -v[10:11]
	scratch_store_b128 off, v[8:11], off offset:176
	s_wait_xcnt 0x0
	v_cmpx_lt_u32_e32 10, v1
	s_cbranch_execz .LBB92_167
; %bb.166:
	scratch_load_b128 v[8:11], off, s35
	v_dual_mov_b32 v3, v2 :: v_dual_mov_b32 v4, v2
	v_mov_b32_e32 v5, v2
	scratch_store_b128 off, v[2:5], off offset:160
	s_wait_loadcnt 0x0
	ds_store_b128 v6, v[8:11]
.LBB92_167:
	s_wait_xcnt 0x0
	s_or_b32 exec_lo, exec_lo, s2
	s_wait_storecnt_dscnt 0x0
	s_barrier_signal -1
	s_barrier_wait -1
	s_clause 0x9
	scratch_load_b128 v[8:11], off, off offset:176
	scratch_load_b128 v[72:75], off, off offset:192
	;; [unrolled: 1-line block ×10, first 2 shown]
	ds_load_b128 v[108:111], v2 offset:640
	ds_load_b128 v[116:119], v2 offset:656
	s_clause 0x1
	scratch_load_b128 v[112:115], off, off offset:336
	scratch_load_b128 v[120:123], off, off offset:160
	s_mov_b32 s2, exec_lo
	s_wait_loadcnt_dscnt 0xb01
	v_mul_f64_e32 v[4:5], v[110:111], v[10:11]
	v_mul_f64_e32 v[132:133], v[108:109], v[10:11]
	scratch_load_b128 v[10:13], off, off offset:352
	s_wait_loadcnt_dscnt 0xb00
	v_mul_f64_e32 v[134:135], v[116:117], v[74:75]
	v_mul_f64_e32 v[74:75], v[118:119], v[74:75]
	v_fma_f64 v[4:5], v[108:109], v[8:9], -v[4:5]
	v_fmac_f64_e32 v[132:133], v[110:111], v[8:9]
	ds_load_b128 v[108:111], v2 offset:672
	ds_load_b128 v[124:127], v2 offset:688
	scratch_load_b128 v[128:131], off, off offset:368
	v_fmac_f64_e32 v[134:135], v[118:119], v[72:73]
	v_fma_f64 v[116:117], v[116:117], v[72:73], -v[74:75]
	scratch_load_b128 v[72:75], off, off offset:384
	s_wait_loadcnt_dscnt 0xc01
	v_mul_f64_e32 v[8:9], v[108:109], v[78:79]
	v_mul_f64_e32 v[78:79], v[110:111], v[78:79]
	v_add_f64_e32 v[4:5], 0, v[4:5]
	v_add_f64_e32 v[118:119], 0, v[132:133]
	s_wait_loadcnt_dscnt 0xb00
	v_mul_f64_e32 v[132:133], v[124:125], v[82:83]
	v_mul_f64_e32 v[82:83], v[126:127], v[82:83]
	v_fmac_f64_e32 v[8:9], v[110:111], v[76:77]
	v_fma_f64 v[136:137], v[108:109], v[76:77], -v[78:79]
	ds_load_b128 v[76:79], v2 offset:704
	ds_load_b128 v[108:111], v2 offset:720
	v_add_f64_e32 v[4:5], v[4:5], v[116:117]
	v_add_f64_e32 v[134:135], v[118:119], v[134:135]
	scratch_load_b128 v[116:119], off, off offset:400
	v_fmac_f64_e32 v[132:133], v[126:127], v[80:81]
	v_fma_f64 v[124:125], v[124:125], v[80:81], -v[82:83]
	scratch_load_b128 v[80:83], off, off offset:416
	s_wait_loadcnt_dscnt 0xc01
	v_mul_f64_e32 v[138:139], v[76:77], v[86:87]
	v_mul_f64_e32 v[86:87], v[78:79], v[86:87]
	v_add_f64_e32 v[4:5], v[4:5], v[136:137]
	v_add_f64_e32 v[8:9], v[134:135], v[8:9]
	s_wait_loadcnt_dscnt 0xb00
	v_mul_f64_e32 v[134:135], v[108:109], v[90:91]
	v_mul_f64_e32 v[90:91], v[110:111], v[90:91]
	v_fmac_f64_e32 v[138:139], v[78:79], v[84:85]
	v_fma_f64 v[136:137], v[76:77], v[84:85], -v[86:87]
	ds_load_b128 v[76:79], v2 offset:736
	ds_load_b128 v[84:87], v2 offset:752
	v_add_f64_e32 v[4:5], v[4:5], v[124:125]
	v_add_f64_e32 v[8:9], v[8:9], v[132:133]
	scratch_load_b128 v[124:127], off, off offset:432
	s_wait_loadcnt_dscnt 0xb01
	v_mul_f64_e32 v[132:133], v[76:77], v[94:95]
	v_mul_f64_e32 v[94:95], v[78:79], v[94:95]
	v_fmac_f64_e32 v[134:135], v[110:111], v[88:89]
	v_fma_f64 v[108:109], v[108:109], v[88:89], -v[90:91]
	scratch_load_b128 v[88:91], off, off offset:448
	s_wait_loadcnt_dscnt 0xb00
	v_mul_f64_e32 v[110:111], v[84:85], v[98:99]
	v_mul_f64_e32 v[98:99], v[86:87], v[98:99]
	v_add_f64_e32 v[4:5], v[4:5], v[136:137]
	v_add_f64_e32 v[8:9], v[8:9], v[138:139]
	v_fmac_f64_e32 v[132:133], v[78:79], v[92:93]
	v_fma_f64 v[136:137], v[76:77], v[92:93], -v[94:95]
	ds_load_b128 v[76:79], v2 offset:768
	ds_load_b128 v[92:95], v2 offset:784
	v_fmac_f64_e32 v[110:111], v[86:87], v[96:97]
	v_fma_f64 v[84:85], v[84:85], v[96:97], -v[98:99]
	s_wait_loadcnt_dscnt 0x900
	v_mul_f64_e32 v[96:97], v[92:93], v[106:107]
	v_mul_f64_e32 v[98:99], v[94:95], v[106:107]
	v_add_f64_e32 v[4:5], v[4:5], v[108:109]
	v_add_f64_e32 v[8:9], v[8:9], v[134:135]
	v_mul_f64_e32 v[108:109], v[76:77], v[102:103]
	v_mul_f64_e32 v[102:103], v[78:79], v[102:103]
	v_fmac_f64_e32 v[96:97], v[94:95], v[104:105]
	v_fma_f64 v[92:93], v[92:93], v[104:105], -v[98:99]
	v_add_f64_e32 v[4:5], v[4:5], v[136:137]
	v_add_f64_e32 v[8:9], v[8:9], v[132:133]
	v_fmac_f64_e32 v[108:109], v[78:79], v[100:101]
	v_fma_f64 v[100:101], v[76:77], v[100:101], -v[102:103]
	s_delay_alu instid0(VALU_DEP_4) | instskip(NEXT) | instid1(VALU_DEP_4)
	v_add_f64_e32 v[4:5], v[4:5], v[84:85]
	v_add_f64_e32 v[8:9], v[8:9], v[110:111]
	ds_load_b128 v[76:79], v2 offset:800
	ds_load_b128 v[84:87], v2 offset:816
	s_wait_loadcnt_dscnt 0x801
	v_mul_f64_e32 v[102:103], v[76:77], v[114:115]
	v_mul_f64_e32 v[106:107], v[78:79], v[114:115]
	v_add_f64_e32 v[4:5], v[4:5], v[100:101]
	v_add_f64_e32 v[8:9], v[8:9], v[108:109]
	s_wait_loadcnt_dscnt 0x600
	v_mul_f64_e32 v[98:99], v[84:85], v[12:13]
	v_mul_f64_e32 v[12:13], v[86:87], v[12:13]
	v_fmac_f64_e32 v[102:103], v[78:79], v[112:113]
	v_fma_f64 v[100:101], v[76:77], v[112:113], -v[106:107]
	v_add_f64_e32 v[4:5], v[4:5], v[92:93]
	v_add_f64_e32 v[8:9], v[8:9], v[96:97]
	ds_load_b128 v[76:79], v2 offset:832
	ds_load_b128 v[92:95], v2 offset:848
	v_fmac_f64_e32 v[98:99], v[86:87], v[10:11]
	v_fma_f64 v[10:11], v[84:85], v[10:11], -v[12:13]
	s_wait_loadcnt_dscnt 0x501
	v_mul_f64_e32 v[96:97], v[76:77], v[130:131]
	v_mul_f64_e32 v[104:105], v[78:79], v[130:131]
	s_wait_loadcnt_dscnt 0x400
	v_mul_f64_e32 v[12:13], v[92:93], v[74:75]
	v_mul_f64_e32 v[84:85], v[94:95], v[74:75]
	v_add_f64_e32 v[4:5], v[4:5], v[100:101]
	v_add_f64_e32 v[8:9], v[8:9], v[102:103]
	v_fmac_f64_e32 v[96:97], v[78:79], v[128:129]
	v_fma_f64 v[78:79], v[76:77], v[128:129], -v[104:105]
	v_fmac_f64_e32 v[12:13], v[94:95], v[72:73]
	v_fma_f64 v[72:73], v[92:93], v[72:73], -v[84:85]
	v_add_f64_e32 v[4:5], v[4:5], v[10:11]
	v_add_f64_e32 v[86:87], v[8:9], v[98:99]
	ds_load_b128 v[8:11], v2 offset:864
	ds_load_b128 v[74:77], v2 offset:880
	s_wait_loadcnt_dscnt 0x301
	v_mul_f64_e32 v[98:99], v[8:9], v[118:119]
	v_mul_f64_e32 v[100:101], v[10:11], v[118:119]
	s_wait_loadcnt_dscnt 0x200
	v_mul_f64_e32 v[84:85], v[74:75], v[82:83]
	v_mul_f64_e32 v[82:83], v[76:77], v[82:83]
	v_add_f64_e32 v[4:5], v[4:5], v[78:79]
	v_add_f64_e32 v[78:79], v[86:87], v[96:97]
	v_fmac_f64_e32 v[98:99], v[10:11], v[116:117]
	v_fma_f64 v[86:87], v[8:9], v[116:117], -v[100:101]
	v_fmac_f64_e32 v[84:85], v[76:77], v[80:81]
	v_fma_f64 v[74:75], v[74:75], v[80:81], -v[82:83]
	v_add_f64_e32 v[72:73], v[4:5], v[72:73]
	v_add_f64_e32 v[12:13], v[78:79], v[12:13]
	ds_load_b128 v[8:11], v2 offset:896
	ds_load_b128 v[2:5], v2 offset:912
	s_wait_loadcnt_dscnt 0x101
	v_mul_f64_e32 v[78:79], v[8:9], v[126:127]
	v_mul_f64_e32 v[92:93], v[10:11], v[126:127]
	s_wait_loadcnt_dscnt 0x0
	v_mul_f64_e32 v[76:77], v[2:3], v[90:91]
	v_mul_f64_e32 v[80:81], v[4:5], v[90:91]
	v_add_f64_e32 v[72:73], v[72:73], v[86:87]
	v_add_f64_e32 v[12:13], v[12:13], v[98:99]
	v_fmac_f64_e32 v[78:79], v[10:11], v[124:125]
	v_fma_f64 v[8:9], v[8:9], v[124:125], -v[92:93]
	v_fmac_f64_e32 v[76:77], v[4:5], v[88:89]
	v_fma_f64 v[2:3], v[2:3], v[88:89], -v[80:81]
	v_add_f64_e32 v[10:11], v[72:73], v[74:75]
	v_add_f64_e32 v[12:13], v[12:13], v[84:85]
	s_delay_alu instid0(VALU_DEP_2) | instskip(NEXT) | instid1(VALU_DEP_2)
	v_add_f64_e32 v[4:5], v[10:11], v[8:9]
	v_add_f64_e32 v[8:9], v[12:13], v[78:79]
	s_delay_alu instid0(VALU_DEP_2) | instskip(NEXT) | instid1(VALU_DEP_2)
	;; [unrolled: 3-line block ×3, first 2 shown]
	v_add_f64_e64 v[2:3], v[120:121], -v[2:3]
	v_add_f64_e64 v[4:5], v[122:123], -v[4:5]
	scratch_store_b128 off, v[2:5], off offset:160
	s_wait_xcnt 0x0
	v_cmpx_lt_u32_e32 9, v1
	s_cbranch_execz .LBB92_169
; %bb.168:
	scratch_load_b128 v[2:5], off, s36
	v_mov_b32_e32 v8, 0
	s_delay_alu instid0(VALU_DEP_1)
	v_dual_mov_b32 v9, v8 :: v_dual_mov_b32 v10, v8
	v_mov_b32_e32 v11, v8
	scratch_store_b128 off, v[8:11], off offset:144
	s_wait_loadcnt 0x0
	ds_store_b128 v6, v[2:5]
.LBB92_169:
	s_wait_xcnt 0x0
	s_or_b32 exec_lo, exec_lo, s2
	s_wait_storecnt_dscnt 0x0
	s_barrier_signal -1
	s_barrier_wait -1
	s_clause 0x9
	scratch_load_b128 v[8:11], off, off offset:160
	scratch_load_b128 v[72:75], off, off offset:176
	;; [unrolled: 1-line block ×10, first 2 shown]
	v_mov_b32_e32 v2, 0
	s_mov_b32 s2, exec_lo
	ds_load_b128 v[108:111], v2 offset:624
	s_clause 0x2
	scratch_load_b128 v[112:115], off, off offset:320
	scratch_load_b128 v[116:119], off, off offset:144
	;; [unrolled: 1-line block ×3, first 2 shown]
	s_wait_loadcnt_dscnt 0xc00
	v_mul_f64_e32 v[4:5], v[110:111], v[10:11]
	v_mul_f64_e32 v[132:133], v[108:109], v[10:11]
	ds_load_b128 v[120:123], v2 offset:640
	scratch_load_b128 v[10:13], off, off offset:336
	ds_load_b128 v[128:131], v2 offset:672
	v_fma_f64 v[4:5], v[108:109], v[8:9], -v[4:5]
	v_fmac_f64_e32 v[132:133], v[110:111], v[8:9]
	ds_load_b128 v[108:111], v2 offset:656
	s_wait_loadcnt_dscnt 0xc02
	v_mul_f64_e32 v[134:135], v[120:121], v[74:75]
	v_mul_f64_e32 v[74:75], v[122:123], v[74:75]
	s_wait_loadcnt_dscnt 0xb00
	v_mul_f64_e32 v[8:9], v[108:109], v[78:79]
	v_mul_f64_e32 v[78:79], v[110:111], v[78:79]
	v_add_f64_e32 v[4:5], 0, v[4:5]
	v_fmac_f64_e32 v[134:135], v[122:123], v[72:73]
	v_fma_f64 v[120:121], v[120:121], v[72:73], -v[74:75]
	v_add_f64_e32 v[122:123], 0, v[132:133]
	scratch_load_b128 v[72:75], off, off offset:368
	v_fmac_f64_e32 v[8:9], v[110:111], v[76:77]
	v_fma_f64 v[136:137], v[108:109], v[76:77], -v[78:79]
	ds_load_b128 v[76:79], v2 offset:688
	s_wait_loadcnt 0xb
	v_mul_f64_e32 v[132:133], v[128:129], v[82:83]
	v_mul_f64_e32 v[82:83], v[130:131], v[82:83]
	scratch_load_b128 v[108:111], off, off offset:384
	v_add_f64_e32 v[4:5], v[4:5], v[120:121]
	v_add_f64_e32 v[134:135], v[122:123], v[134:135]
	ds_load_b128 v[120:123], v2 offset:704
	s_wait_loadcnt_dscnt 0xb01
	v_mul_f64_e32 v[138:139], v[76:77], v[86:87]
	v_mul_f64_e32 v[86:87], v[78:79], v[86:87]
	v_fmac_f64_e32 v[132:133], v[130:131], v[80:81]
	v_fma_f64 v[128:129], v[128:129], v[80:81], -v[82:83]
	scratch_load_b128 v[80:83], off, off offset:400
	v_add_f64_e32 v[4:5], v[4:5], v[136:137]
	v_add_f64_e32 v[8:9], v[134:135], v[8:9]
	v_fmac_f64_e32 v[138:139], v[78:79], v[84:85]
	v_fma_f64 v[136:137], v[76:77], v[84:85], -v[86:87]
	ds_load_b128 v[76:79], v2 offset:720
	s_wait_loadcnt_dscnt 0xb01
	v_mul_f64_e32 v[134:135], v[120:121], v[90:91]
	v_mul_f64_e32 v[90:91], v[122:123], v[90:91]
	scratch_load_b128 v[84:87], off, off offset:416
	v_add_f64_e32 v[4:5], v[4:5], v[128:129]
	v_add_f64_e32 v[8:9], v[8:9], v[132:133]
	s_wait_loadcnt_dscnt 0xb00
	v_mul_f64_e32 v[132:133], v[76:77], v[94:95]
	v_mul_f64_e32 v[94:95], v[78:79], v[94:95]
	ds_load_b128 v[128:131], v2 offset:736
	v_fmac_f64_e32 v[134:135], v[122:123], v[88:89]
	v_fma_f64 v[120:121], v[120:121], v[88:89], -v[90:91]
	scratch_load_b128 v[88:91], off, off offset:432
	v_add_f64_e32 v[4:5], v[4:5], v[136:137]
	v_add_f64_e32 v[8:9], v[8:9], v[138:139]
	v_fmac_f64_e32 v[132:133], v[78:79], v[92:93]
	v_fma_f64 v[138:139], v[76:77], v[92:93], -v[94:95]
	ds_load_b128 v[76:79], v2 offset:752
	s_wait_loadcnt_dscnt 0xb01
	v_mul_f64_e32 v[136:137], v[128:129], v[98:99]
	v_mul_f64_e32 v[98:99], v[130:131], v[98:99]
	scratch_load_b128 v[92:95], off, off offset:448
	v_add_f64_e32 v[4:5], v[4:5], v[120:121]
	v_add_f64_e32 v[8:9], v[8:9], v[134:135]
	s_wait_loadcnt_dscnt 0xb00
	v_mul_f64_e32 v[134:135], v[76:77], v[102:103]
	v_mul_f64_e32 v[102:103], v[78:79], v[102:103]
	ds_load_b128 v[120:123], v2 offset:768
	v_fmac_f64_e32 v[136:137], v[130:131], v[96:97]
	v_fma_f64 v[96:97], v[128:129], v[96:97], -v[98:99]
	s_wait_loadcnt_dscnt 0xa00
	v_mul_f64_e32 v[128:129], v[120:121], v[106:107]
	v_mul_f64_e32 v[106:107], v[122:123], v[106:107]
	v_add_f64_e32 v[4:5], v[4:5], v[138:139]
	v_add_f64_e32 v[8:9], v[8:9], v[132:133]
	v_fmac_f64_e32 v[134:135], v[78:79], v[100:101]
	v_fma_f64 v[100:101], v[76:77], v[100:101], -v[102:103]
	v_fmac_f64_e32 v[128:129], v[122:123], v[104:105]
	v_fma_f64 v[104:105], v[120:121], v[104:105], -v[106:107]
	v_add_f64_e32 v[4:5], v[4:5], v[96:97]
	v_add_f64_e32 v[8:9], v[8:9], v[136:137]
	ds_load_b128 v[76:79], v2 offset:784
	ds_load_b128 v[96:99], v2 offset:800
	s_wait_loadcnt_dscnt 0x901
	v_mul_f64_e32 v[130:131], v[76:77], v[114:115]
	v_mul_f64_e32 v[102:103], v[78:79], v[114:115]
	s_wait_loadcnt_dscnt 0x600
	v_mul_f64_e32 v[106:107], v[96:97], v[12:13]
	v_add_f64_e32 v[4:5], v[4:5], v[100:101]
	v_add_f64_e32 v[8:9], v[8:9], v[134:135]
	v_mul_f64_e32 v[12:13], v[98:99], v[12:13]
	v_fmac_f64_e32 v[130:131], v[78:79], v[112:113]
	v_fma_f64 v[112:113], v[76:77], v[112:113], -v[102:103]
	ds_load_b128 v[76:79], v2 offset:816
	ds_load_b128 v[100:103], v2 offset:832
	v_fmac_f64_e32 v[106:107], v[98:99], v[10:11]
	v_add_f64_e32 v[4:5], v[4:5], v[104:105]
	v_add_f64_e32 v[8:9], v[8:9], v[128:129]
	v_fma_f64 v[10:11], v[96:97], v[10:11], -v[12:13]
	s_wait_dscnt 0x1
	v_mul_f64_e32 v[104:105], v[76:77], v[126:127]
	v_mul_f64_e32 v[114:115], v[78:79], v[126:127]
	v_add_f64_e32 v[4:5], v[4:5], v[112:113]
	v_add_f64_e32 v[8:9], v[8:9], v[130:131]
	s_wait_loadcnt_dscnt 0x500
	v_mul_f64_e32 v[12:13], v[100:101], v[74:75]
	v_mul_f64_e32 v[96:97], v[102:103], v[74:75]
	v_fmac_f64_e32 v[104:105], v[78:79], v[124:125]
	v_fma_f64 v[78:79], v[76:77], v[124:125], -v[114:115]
	v_add_f64_e32 v[4:5], v[4:5], v[10:11]
	v_add_f64_e32 v[98:99], v[8:9], v[106:107]
	ds_load_b128 v[8:11], v2 offset:848
	ds_load_b128 v[74:77], v2 offset:864
	v_fmac_f64_e32 v[12:13], v[102:103], v[72:73]
	v_fma_f64 v[72:73], v[100:101], v[72:73], -v[96:97]
	s_wait_loadcnt_dscnt 0x401
	v_mul_f64_e32 v[106:107], v[8:9], v[110:111]
	v_mul_f64_e32 v[110:111], v[10:11], v[110:111]
	s_wait_loadcnt_dscnt 0x300
	v_mul_f64_e32 v[100:101], v[74:75], v[82:83]
	v_mul_f64_e32 v[82:83], v[76:77], v[82:83]
	v_add_f64_e32 v[4:5], v[4:5], v[78:79]
	v_add_f64_e32 v[78:79], v[98:99], v[104:105]
	v_fmac_f64_e32 v[106:107], v[10:11], v[108:109]
	v_fma_f64 v[102:103], v[8:9], v[108:109], -v[110:111]
	ds_load_b128 v[8:11], v2 offset:880
	ds_load_b128 v[96:99], v2 offset:896
	v_fmac_f64_e32 v[100:101], v[76:77], v[80:81]
	v_fma_f64 v[74:75], v[74:75], v[80:81], -v[82:83]
	v_add_f64_e32 v[4:5], v[4:5], v[72:73]
	v_add_f64_e32 v[12:13], v[78:79], v[12:13]
	s_wait_loadcnt_dscnt 0x201
	v_mul_f64_e32 v[72:73], v[8:9], v[86:87]
	v_mul_f64_e32 v[78:79], v[10:11], v[86:87]
	s_wait_loadcnt_dscnt 0x100
	v_mul_f64_e32 v[76:77], v[96:97], v[90:91]
	v_mul_f64_e32 v[80:81], v[98:99], v[90:91]
	v_add_f64_e32 v[4:5], v[4:5], v[102:103]
	v_add_f64_e32 v[12:13], v[12:13], v[106:107]
	v_fmac_f64_e32 v[72:73], v[10:11], v[84:85]
	v_fma_f64 v[78:79], v[8:9], v[84:85], -v[78:79]
	ds_load_b128 v[8:11], v2 offset:912
	v_fmac_f64_e32 v[76:77], v[98:99], v[88:89]
	v_fma_f64 v[80:81], v[96:97], v[88:89], -v[80:81]
	s_wait_loadcnt_dscnt 0x0
	v_mul_f64_e32 v[82:83], v[10:11], v[94:95]
	v_add_f64_e32 v[4:5], v[4:5], v[74:75]
	v_add_f64_e32 v[12:13], v[12:13], v[100:101]
	v_mul_f64_e32 v[74:75], v[8:9], v[94:95]
	s_delay_alu instid0(VALU_DEP_4) | instskip(NEXT) | instid1(VALU_DEP_4)
	v_fma_f64 v[8:9], v[8:9], v[92:93], -v[82:83]
	v_add_f64_e32 v[4:5], v[4:5], v[78:79]
	s_delay_alu instid0(VALU_DEP_4) | instskip(NEXT) | instid1(VALU_DEP_4)
	v_add_f64_e32 v[12:13], v[12:13], v[72:73]
	v_fmac_f64_e32 v[74:75], v[10:11], v[92:93]
	s_delay_alu instid0(VALU_DEP_3) | instskip(NEXT) | instid1(VALU_DEP_3)
	v_add_f64_e32 v[4:5], v[4:5], v[80:81]
	v_add_f64_e32 v[10:11], v[12:13], v[76:77]
	s_delay_alu instid0(VALU_DEP_2) | instskip(NEXT) | instid1(VALU_DEP_2)
	v_add_f64_e32 v[4:5], v[4:5], v[8:9]
	v_add_f64_e32 v[10:11], v[10:11], v[74:75]
	s_delay_alu instid0(VALU_DEP_2) | instskip(NEXT) | instid1(VALU_DEP_2)
	v_add_f64_e64 v[8:9], v[116:117], -v[4:5]
	v_add_f64_e64 v[10:11], v[118:119], -v[10:11]
	scratch_store_b128 off, v[8:11], off offset:144
	s_wait_xcnt 0x0
	v_cmpx_lt_u32_e32 8, v1
	s_cbranch_execz .LBB92_171
; %bb.170:
	scratch_load_b128 v[8:11], off, s37
	v_dual_mov_b32 v3, v2 :: v_dual_mov_b32 v4, v2
	v_mov_b32_e32 v5, v2
	scratch_store_b128 off, v[2:5], off offset:128
	s_wait_loadcnt 0x0
	ds_store_b128 v6, v[8:11]
.LBB92_171:
	s_wait_xcnt 0x0
	s_or_b32 exec_lo, exec_lo, s2
	s_wait_storecnt_dscnt 0x0
	s_barrier_signal -1
	s_barrier_wait -1
	s_clause 0x9
	scratch_load_b128 v[8:11], off, off offset:144
	scratch_load_b128 v[72:75], off, off offset:160
	;; [unrolled: 1-line block ×10, first 2 shown]
	ds_load_b128 v[108:111], v2 offset:608
	ds_load_b128 v[116:119], v2 offset:624
	s_clause 0x1
	scratch_load_b128 v[112:115], off, off offset:304
	scratch_load_b128 v[120:123], off, off offset:128
	s_mov_b32 s2, exec_lo
	s_wait_loadcnt_dscnt 0xb01
	v_mul_f64_e32 v[4:5], v[110:111], v[10:11]
	v_mul_f64_e32 v[132:133], v[108:109], v[10:11]
	scratch_load_b128 v[10:13], off, off offset:320
	s_wait_loadcnt_dscnt 0xb00
	v_mul_f64_e32 v[134:135], v[116:117], v[74:75]
	v_mul_f64_e32 v[74:75], v[118:119], v[74:75]
	v_fma_f64 v[4:5], v[108:109], v[8:9], -v[4:5]
	v_fmac_f64_e32 v[132:133], v[110:111], v[8:9]
	ds_load_b128 v[108:111], v2 offset:640
	ds_load_b128 v[124:127], v2 offset:656
	scratch_load_b128 v[128:131], off, off offset:336
	v_fmac_f64_e32 v[134:135], v[118:119], v[72:73]
	v_fma_f64 v[116:117], v[116:117], v[72:73], -v[74:75]
	scratch_load_b128 v[72:75], off, off offset:352
	s_wait_loadcnt_dscnt 0xc01
	v_mul_f64_e32 v[8:9], v[108:109], v[78:79]
	v_mul_f64_e32 v[78:79], v[110:111], v[78:79]
	v_add_f64_e32 v[4:5], 0, v[4:5]
	v_add_f64_e32 v[118:119], 0, v[132:133]
	s_wait_loadcnt_dscnt 0xb00
	v_mul_f64_e32 v[132:133], v[124:125], v[82:83]
	v_mul_f64_e32 v[82:83], v[126:127], v[82:83]
	v_fmac_f64_e32 v[8:9], v[110:111], v[76:77]
	v_fma_f64 v[136:137], v[108:109], v[76:77], -v[78:79]
	ds_load_b128 v[76:79], v2 offset:672
	ds_load_b128 v[108:111], v2 offset:688
	v_add_f64_e32 v[4:5], v[4:5], v[116:117]
	v_add_f64_e32 v[134:135], v[118:119], v[134:135]
	scratch_load_b128 v[116:119], off, off offset:368
	v_fmac_f64_e32 v[132:133], v[126:127], v[80:81]
	v_fma_f64 v[124:125], v[124:125], v[80:81], -v[82:83]
	scratch_load_b128 v[80:83], off, off offset:384
	s_wait_loadcnt_dscnt 0xc01
	v_mul_f64_e32 v[138:139], v[76:77], v[86:87]
	v_mul_f64_e32 v[86:87], v[78:79], v[86:87]
	v_add_f64_e32 v[4:5], v[4:5], v[136:137]
	v_add_f64_e32 v[8:9], v[134:135], v[8:9]
	s_wait_loadcnt_dscnt 0xb00
	v_mul_f64_e32 v[134:135], v[108:109], v[90:91]
	v_mul_f64_e32 v[90:91], v[110:111], v[90:91]
	v_fmac_f64_e32 v[138:139], v[78:79], v[84:85]
	v_fma_f64 v[136:137], v[76:77], v[84:85], -v[86:87]
	ds_load_b128 v[76:79], v2 offset:704
	ds_load_b128 v[84:87], v2 offset:720
	v_add_f64_e32 v[4:5], v[4:5], v[124:125]
	v_add_f64_e32 v[8:9], v[8:9], v[132:133]
	scratch_load_b128 v[124:127], off, off offset:400
	s_wait_loadcnt_dscnt 0xb01
	v_mul_f64_e32 v[132:133], v[76:77], v[94:95]
	v_mul_f64_e32 v[94:95], v[78:79], v[94:95]
	v_fmac_f64_e32 v[134:135], v[110:111], v[88:89]
	v_fma_f64 v[108:109], v[108:109], v[88:89], -v[90:91]
	scratch_load_b128 v[88:91], off, off offset:416
	v_add_f64_e32 v[4:5], v[4:5], v[136:137]
	v_add_f64_e32 v[8:9], v[8:9], v[138:139]
	s_wait_loadcnt_dscnt 0xb00
	v_mul_f64_e32 v[136:137], v[84:85], v[98:99]
	v_mul_f64_e32 v[98:99], v[86:87], v[98:99]
	v_fmac_f64_e32 v[132:133], v[78:79], v[92:93]
	v_fma_f64 v[138:139], v[76:77], v[92:93], -v[94:95]
	ds_load_b128 v[76:79], v2 offset:736
	ds_load_b128 v[92:95], v2 offset:752
	v_add_f64_e32 v[4:5], v[4:5], v[108:109]
	v_add_f64_e32 v[8:9], v[8:9], v[134:135]
	scratch_load_b128 v[108:111], off, off offset:432
	s_wait_loadcnt_dscnt 0xb01
	v_mul_f64_e32 v[134:135], v[76:77], v[102:103]
	v_mul_f64_e32 v[102:103], v[78:79], v[102:103]
	v_fmac_f64_e32 v[136:137], v[86:87], v[96:97]
	v_fma_f64 v[96:97], v[84:85], v[96:97], -v[98:99]
	scratch_load_b128 v[84:87], off, off offset:448
	v_add_f64_e32 v[4:5], v[4:5], v[138:139]
	v_add_f64_e32 v[8:9], v[8:9], v[132:133]
	s_wait_loadcnt_dscnt 0xb00
	v_mul_f64_e32 v[132:133], v[92:93], v[106:107]
	v_mul_f64_e32 v[106:107], v[94:95], v[106:107]
	v_fmac_f64_e32 v[134:135], v[78:79], v[100:101]
	v_fma_f64 v[100:101], v[76:77], v[100:101], -v[102:103]
	v_add_f64_e32 v[4:5], v[4:5], v[96:97]
	v_add_f64_e32 v[8:9], v[8:9], v[136:137]
	ds_load_b128 v[76:79], v2 offset:768
	ds_load_b128 v[96:99], v2 offset:784
	v_fmac_f64_e32 v[132:133], v[94:95], v[104:105]
	v_fma_f64 v[92:93], v[92:93], v[104:105], -v[106:107]
	s_wait_loadcnt_dscnt 0xa01
	v_mul_f64_e32 v[102:103], v[76:77], v[114:115]
	v_mul_f64_e32 v[114:115], v[78:79], v[114:115]
	v_add_f64_e32 v[4:5], v[4:5], v[100:101]
	v_add_f64_e32 v[8:9], v[8:9], v[134:135]
	s_wait_loadcnt_dscnt 0x800
	v_mul_f64_e32 v[100:101], v[96:97], v[12:13]
	v_mul_f64_e32 v[12:13], v[98:99], v[12:13]
	v_fmac_f64_e32 v[102:103], v[78:79], v[112:113]
	v_fma_f64 v[104:105], v[76:77], v[112:113], -v[114:115]
	v_add_f64_e32 v[4:5], v[4:5], v[92:93]
	v_add_f64_e32 v[8:9], v[8:9], v[132:133]
	ds_load_b128 v[76:79], v2 offset:800
	ds_load_b128 v[92:95], v2 offset:816
	v_fmac_f64_e32 v[100:101], v[98:99], v[10:11]
	v_fma_f64 v[10:11], v[96:97], v[10:11], -v[12:13]
	s_wait_loadcnt_dscnt 0x701
	v_mul_f64_e32 v[106:107], v[76:77], v[130:131]
	v_mul_f64_e32 v[112:113], v[78:79], v[130:131]
	s_wait_loadcnt_dscnt 0x600
	v_mul_f64_e32 v[12:13], v[92:93], v[74:75]
	v_mul_f64_e32 v[96:97], v[94:95], v[74:75]
	v_add_f64_e32 v[4:5], v[4:5], v[104:105]
	v_add_f64_e32 v[8:9], v[8:9], v[102:103]
	v_fmac_f64_e32 v[106:107], v[78:79], v[128:129]
	v_fma_f64 v[78:79], v[76:77], v[128:129], -v[112:113]
	v_fmac_f64_e32 v[12:13], v[94:95], v[72:73]
	v_fma_f64 v[72:73], v[92:93], v[72:73], -v[96:97]
	v_add_f64_e32 v[4:5], v[4:5], v[10:11]
	v_add_f64_e32 v[98:99], v[8:9], v[100:101]
	ds_load_b128 v[8:11], v2 offset:832
	ds_load_b128 v[74:77], v2 offset:848
	s_wait_loadcnt_dscnt 0x501
	v_mul_f64_e32 v[100:101], v[8:9], v[118:119]
	v_mul_f64_e32 v[102:103], v[10:11], v[118:119]
	s_wait_loadcnt_dscnt 0x400
	v_mul_f64_e32 v[96:97], v[74:75], v[82:83]
	v_mul_f64_e32 v[82:83], v[76:77], v[82:83]
	v_add_f64_e32 v[4:5], v[4:5], v[78:79]
	v_add_f64_e32 v[78:79], v[98:99], v[106:107]
	v_fmac_f64_e32 v[100:101], v[10:11], v[116:117]
	v_fma_f64 v[98:99], v[8:9], v[116:117], -v[102:103]
	ds_load_b128 v[8:11], v2 offset:864
	ds_load_b128 v[92:95], v2 offset:880
	v_fmac_f64_e32 v[96:97], v[76:77], v[80:81]
	v_fma_f64 v[74:75], v[74:75], v[80:81], -v[82:83]
	v_add_f64_e32 v[4:5], v[4:5], v[72:73]
	v_add_f64_e32 v[12:13], v[78:79], v[12:13]
	s_wait_loadcnt_dscnt 0x301
	v_mul_f64_e32 v[72:73], v[8:9], v[126:127]
	v_mul_f64_e32 v[78:79], v[10:11], v[126:127]
	s_wait_loadcnt_dscnt 0x200
	v_mul_f64_e32 v[76:77], v[92:93], v[90:91]
	v_mul_f64_e32 v[80:81], v[94:95], v[90:91]
	v_add_f64_e32 v[4:5], v[4:5], v[98:99]
	v_add_f64_e32 v[12:13], v[12:13], v[100:101]
	v_fmac_f64_e32 v[72:73], v[10:11], v[124:125]
	v_fma_f64 v[78:79], v[8:9], v[124:125], -v[78:79]
	v_fmac_f64_e32 v[76:77], v[94:95], v[88:89]
	v_fma_f64 v[80:81], v[92:93], v[88:89], -v[80:81]
	v_add_f64_e32 v[74:75], v[4:5], v[74:75]
	v_add_f64_e32 v[12:13], v[12:13], v[96:97]
	ds_load_b128 v[8:11], v2 offset:896
	ds_load_b128 v[2:5], v2 offset:912
	s_wait_loadcnt_dscnt 0x101
	v_mul_f64_e32 v[82:83], v[8:9], v[110:111]
	v_mul_f64_e32 v[90:91], v[10:11], v[110:111]
	v_add_f64_e32 v[74:75], v[74:75], v[78:79]
	v_add_f64_e32 v[12:13], v[12:13], v[72:73]
	s_wait_loadcnt_dscnt 0x0
	v_mul_f64_e32 v[72:73], v[2:3], v[86:87]
	v_mul_f64_e32 v[78:79], v[4:5], v[86:87]
	v_fmac_f64_e32 v[82:83], v[10:11], v[108:109]
	v_fma_f64 v[8:9], v[8:9], v[108:109], -v[90:91]
	v_add_f64_e32 v[10:11], v[74:75], v[80:81]
	v_add_f64_e32 v[12:13], v[12:13], v[76:77]
	v_fmac_f64_e32 v[72:73], v[4:5], v[84:85]
	v_fma_f64 v[2:3], v[2:3], v[84:85], -v[78:79]
	s_delay_alu instid0(VALU_DEP_4) | instskip(NEXT) | instid1(VALU_DEP_4)
	v_add_f64_e32 v[4:5], v[10:11], v[8:9]
	v_add_f64_e32 v[8:9], v[12:13], v[82:83]
	s_delay_alu instid0(VALU_DEP_2) | instskip(NEXT) | instid1(VALU_DEP_2)
	v_add_f64_e32 v[2:3], v[4:5], v[2:3]
	v_add_f64_e32 v[4:5], v[8:9], v[72:73]
	s_delay_alu instid0(VALU_DEP_2) | instskip(NEXT) | instid1(VALU_DEP_2)
	v_add_f64_e64 v[2:3], v[120:121], -v[2:3]
	v_add_f64_e64 v[4:5], v[122:123], -v[4:5]
	scratch_store_b128 off, v[2:5], off offset:128
	s_wait_xcnt 0x0
	v_cmpx_lt_u32_e32 7, v1
	s_cbranch_execz .LBB92_173
; %bb.172:
	scratch_load_b128 v[2:5], off, s38
	v_mov_b32_e32 v8, 0
	s_delay_alu instid0(VALU_DEP_1)
	v_dual_mov_b32 v9, v8 :: v_dual_mov_b32 v10, v8
	v_mov_b32_e32 v11, v8
	scratch_store_b128 off, v[8:11], off offset:112
	s_wait_loadcnt 0x0
	ds_store_b128 v6, v[2:5]
.LBB92_173:
	s_wait_xcnt 0x0
	s_or_b32 exec_lo, exec_lo, s2
	s_wait_storecnt_dscnt 0x0
	s_barrier_signal -1
	s_barrier_wait -1
	s_clause 0x9
	scratch_load_b128 v[8:11], off, off offset:128
	scratch_load_b128 v[72:75], off, off offset:144
	;; [unrolled: 1-line block ×10, first 2 shown]
	v_mov_b32_e32 v2, 0
	s_mov_b32 s2, exec_lo
	ds_load_b128 v[108:111], v2 offset:592
	s_clause 0x2
	scratch_load_b128 v[112:115], off, off offset:288
	scratch_load_b128 v[116:119], off, off offset:112
	;; [unrolled: 1-line block ×3, first 2 shown]
	s_wait_loadcnt_dscnt 0xc00
	v_mul_f64_e32 v[4:5], v[110:111], v[10:11]
	v_mul_f64_e32 v[132:133], v[108:109], v[10:11]
	ds_load_b128 v[120:123], v2 offset:608
	scratch_load_b128 v[10:13], off, off offset:304
	ds_load_b128 v[128:131], v2 offset:640
	v_fma_f64 v[4:5], v[108:109], v[8:9], -v[4:5]
	v_fmac_f64_e32 v[132:133], v[110:111], v[8:9]
	ds_load_b128 v[108:111], v2 offset:624
	s_wait_loadcnt_dscnt 0xc02
	v_mul_f64_e32 v[134:135], v[120:121], v[74:75]
	v_mul_f64_e32 v[74:75], v[122:123], v[74:75]
	s_wait_loadcnt_dscnt 0xb00
	v_mul_f64_e32 v[8:9], v[108:109], v[78:79]
	v_mul_f64_e32 v[78:79], v[110:111], v[78:79]
	v_add_f64_e32 v[4:5], 0, v[4:5]
	v_fmac_f64_e32 v[134:135], v[122:123], v[72:73]
	v_fma_f64 v[120:121], v[120:121], v[72:73], -v[74:75]
	v_add_f64_e32 v[122:123], 0, v[132:133]
	scratch_load_b128 v[72:75], off, off offset:336
	v_fmac_f64_e32 v[8:9], v[110:111], v[76:77]
	v_fma_f64 v[136:137], v[108:109], v[76:77], -v[78:79]
	ds_load_b128 v[76:79], v2 offset:656
	s_wait_loadcnt 0xb
	v_mul_f64_e32 v[132:133], v[128:129], v[82:83]
	v_mul_f64_e32 v[82:83], v[130:131], v[82:83]
	scratch_load_b128 v[108:111], off, off offset:352
	v_add_f64_e32 v[4:5], v[4:5], v[120:121]
	v_add_f64_e32 v[134:135], v[122:123], v[134:135]
	ds_load_b128 v[120:123], v2 offset:672
	s_wait_loadcnt_dscnt 0xb01
	v_mul_f64_e32 v[138:139], v[76:77], v[86:87]
	v_mul_f64_e32 v[86:87], v[78:79], v[86:87]
	v_fmac_f64_e32 v[132:133], v[130:131], v[80:81]
	v_fma_f64 v[128:129], v[128:129], v[80:81], -v[82:83]
	scratch_load_b128 v[80:83], off, off offset:368
	v_add_f64_e32 v[4:5], v[4:5], v[136:137]
	v_add_f64_e32 v[8:9], v[134:135], v[8:9]
	v_fmac_f64_e32 v[138:139], v[78:79], v[84:85]
	v_fma_f64 v[136:137], v[76:77], v[84:85], -v[86:87]
	ds_load_b128 v[76:79], v2 offset:688
	s_wait_loadcnt_dscnt 0xb01
	v_mul_f64_e32 v[134:135], v[120:121], v[90:91]
	v_mul_f64_e32 v[90:91], v[122:123], v[90:91]
	scratch_load_b128 v[84:87], off, off offset:384
	v_add_f64_e32 v[4:5], v[4:5], v[128:129]
	v_add_f64_e32 v[8:9], v[8:9], v[132:133]
	s_wait_loadcnt_dscnt 0xb00
	v_mul_f64_e32 v[132:133], v[76:77], v[94:95]
	v_mul_f64_e32 v[94:95], v[78:79], v[94:95]
	ds_load_b128 v[128:131], v2 offset:704
	v_fmac_f64_e32 v[134:135], v[122:123], v[88:89]
	v_fma_f64 v[120:121], v[120:121], v[88:89], -v[90:91]
	scratch_load_b128 v[88:91], off, off offset:400
	v_add_f64_e32 v[4:5], v[4:5], v[136:137]
	v_add_f64_e32 v[8:9], v[8:9], v[138:139]
	v_fmac_f64_e32 v[132:133], v[78:79], v[92:93]
	v_fma_f64 v[138:139], v[76:77], v[92:93], -v[94:95]
	ds_load_b128 v[76:79], v2 offset:720
	s_wait_loadcnt_dscnt 0xb01
	v_mul_f64_e32 v[136:137], v[128:129], v[98:99]
	v_mul_f64_e32 v[98:99], v[130:131], v[98:99]
	scratch_load_b128 v[92:95], off, off offset:416
	v_add_f64_e32 v[4:5], v[4:5], v[120:121]
	v_add_f64_e32 v[8:9], v[8:9], v[134:135]
	s_wait_loadcnt_dscnt 0xb00
	v_mul_f64_e32 v[134:135], v[76:77], v[102:103]
	v_mul_f64_e32 v[102:103], v[78:79], v[102:103]
	ds_load_b128 v[120:123], v2 offset:736
	;; [unrolled: 18-line block ×3, first 2 shown]
	v_fmac_f64_e32 v[132:133], v[122:123], v[104:105]
	v_fma_f64 v[104:105], v[120:121], v[104:105], -v[106:107]
	s_wait_loadcnt_dscnt 0x800
	v_mul_f64_e32 v[120:121], v[128:129], v[12:13]
	v_add_f64_e32 v[4:5], v[4:5], v[138:139]
	v_add_f64_e32 v[8:9], v[8:9], v[134:135]
	v_mul_f64_e32 v[12:13], v[130:131], v[12:13]
	v_fmac_f64_e32 v[136:137], v[78:79], v[112:113]
	v_fma_f64 v[112:113], v[76:77], v[112:113], -v[114:115]
	v_fmac_f64_e32 v[120:121], v[130:131], v[10:11]
	v_add_f64_e32 v[4:5], v[4:5], v[104:105]
	v_add_f64_e32 v[8:9], v[8:9], v[132:133]
	ds_load_b128 v[76:79], v2 offset:784
	ds_load_b128 v[104:107], v2 offset:800
	v_fma_f64 v[10:11], v[128:129], v[10:11], -v[12:13]
	s_wait_dscnt 0x1
	v_mul_f64_e32 v[114:115], v[76:77], v[126:127]
	v_mul_f64_e32 v[122:123], v[78:79], v[126:127]
	v_add_f64_e32 v[4:5], v[4:5], v[112:113]
	v_add_f64_e32 v[8:9], v[8:9], v[136:137]
	s_wait_loadcnt_dscnt 0x700
	v_mul_f64_e32 v[12:13], v[104:105], v[74:75]
	v_mul_f64_e32 v[112:113], v[106:107], v[74:75]
	v_fmac_f64_e32 v[114:115], v[78:79], v[124:125]
	v_fma_f64 v[78:79], v[76:77], v[124:125], -v[122:123]
	v_add_f64_e32 v[4:5], v[4:5], v[10:11]
	v_add_f64_e32 v[120:121], v[8:9], v[120:121]
	ds_load_b128 v[8:11], v2 offset:816
	ds_load_b128 v[74:77], v2 offset:832
	v_fmac_f64_e32 v[12:13], v[106:107], v[72:73]
	v_fma_f64 v[72:73], v[104:105], v[72:73], -v[112:113]
	s_wait_loadcnt_dscnt 0x601
	v_mul_f64_e32 v[122:123], v[8:9], v[110:111]
	v_mul_f64_e32 v[110:111], v[10:11], v[110:111]
	s_wait_loadcnt_dscnt 0x500
	v_mul_f64_e32 v[112:113], v[74:75], v[82:83]
	v_mul_f64_e32 v[82:83], v[76:77], v[82:83]
	v_add_f64_e32 v[4:5], v[4:5], v[78:79]
	v_add_f64_e32 v[78:79], v[120:121], v[114:115]
	v_fmac_f64_e32 v[122:123], v[10:11], v[108:109]
	v_fma_f64 v[108:109], v[8:9], v[108:109], -v[110:111]
	ds_load_b128 v[8:11], v2 offset:848
	ds_load_b128 v[104:107], v2 offset:864
	v_fmac_f64_e32 v[112:113], v[76:77], v[80:81]
	v_fma_f64 v[74:75], v[74:75], v[80:81], -v[82:83]
	v_add_f64_e32 v[4:5], v[4:5], v[72:73]
	v_add_f64_e32 v[12:13], v[78:79], v[12:13]
	s_wait_loadcnt_dscnt 0x401
	v_mul_f64_e32 v[78:79], v[8:9], v[86:87]
	v_mul_f64_e32 v[72:73], v[10:11], v[86:87]
	s_wait_loadcnt_dscnt 0x300
	v_mul_f64_e32 v[76:77], v[104:105], v[90:91]
	v_mul_f64_e32 v[80:81], v[106:107], v[90:91]
	v_add_f64_e32 v[4:5], v[4:5], v[108:109]
	v_add_f64_e32 v[12:13], v[12:13], v[122:123]
	v_fmac_f64_e32 v[78:79], v[10:11], v[84:85]
	v_fma_f64 v[82:83], v[8:9], v[84:85], -v[72:73]
	v_fmac_f64_e32 v[76:77], v[106:107], v[88:89]
	v_fma_f64 v[80:81], v[104:105], v[88:89], -v[80:81]
	v_add_f64_e32 v[4:5], v[4:5], v[74:75]
	v_add_f64_e32 v[12:13], v[12:13], v[112:113]
	ds_load_b128 v[8:11], v2 offset:880
	ds_load_b128 v[72:75], v2 offset:896
	s_wait_loadcnt_dscnt 0x201
	v_mul_f64_e32 v[84:85], v[8:9], v[94:95]
	v_mul_f64_e32 v[86:87], v[10:11], v[94:95]
	v_add_f64_e32 v[4:5], v[4:5], v[82:83]
	v_add_f64_e32 v[12:13], v[12:13], v[78:79]
	s_wait_loadcnt_dscnt 0x100
	v_mul_f64_e32 v[78:79], v[72:73], v[98:99]
	v_mul_f64_e32 v[82:83], v[74:75], v[98:99]
	v_fmac_f64_e32 v[84:85], v[10:11], v[92:93]
	v_fma_f64 v[86:87], v[8:9], v[92:93], -v[86:87]
	ds_load_b128 v[8:11], v2 offset:912
	v_add_f64_e32 v[4:5], v[4:5], v[80:81]
	v_add_f64_e32 v[12:13], v[12:13], v[76:77]
	v_fmac_f64_e32 v[78:79], v[74:75], v[96:97]
	v_fma_f64 v[72:73], v[72:73], v[96:97], -v[82:83]
	s_wait_loadcnt_dscnt 0x0
	v_mul_f64_e32 v[76:77], v[8:9], v[102:103]
	v_mul_f64_e32 v[80:81], v[10:11], v[102:103]
	v_add_f64_e32 v[4:5], v[4:5], v[86:87]
	v_add_f64_e32 v[12:13], v[12:13], v[84:85]
	s_delay_alu instid0(VALU_DEP_4) | instskip(NEXT) | instid1(VALU_DEP_4)
	v_fmac_f64_e32 v[76:77], v[10:11], v[100:101]
	v_fma_f64 v[8:9], v[8:9], v[100:101], -v[80:81]
	s_delay_alu instid0(VALU_DEP_4) | instskip(NEXT) | instid1(VALU_DEP_4)
	v_add_f64_e32 v[4:5], v[4:5], v[72:73]
	v_add_f64_e32 v[10:11], v[12:13], v[78:79]
	s_delay_alu instid0(VALU_DEP_2) | instskip(NEXT) | instid1(VALU_DEP_2)
	v_add_f64_e32 v[4:5], v[4:5], v[8:9]
	v_add_f64_e32 v[10:11], v[10:11], v[76:77]
	s_delay_alu instid0(VALU_DEP_2) | instskip(NEXT) | instid1(VALU_DEP_2)
	v_add_f64_e64 v[8:9], v[116:117], -v[4:5]
	v_add_f64_e64 v[10:11], v[118:119], -v[10:11]
	scratch_store_b128 off, v[8:11], off offset:112
	s_wait_xcnt 0x0
	v_cmpx_lt_u32_e32 6, v1
	s_cbranch_execz .LBB92_175
; %bb.174:
	scratch_load_b128 v[8:11], off, s39
	v_dual_mov_b32 v3, v2 :: v_dual_mov_b32 v4, v2
	v_mov_b32_e32 v5, v2
	scratch_store_b128 off, v[2:5], off offset:96
	s_wait_loadcnt 0x0
	ds_store_b128 v6, v[8:11]
.LBB92_175:
	s_wait_xcnt 0x0
	s_or_b32 exec_lo, exec_lo, s2
	s_wait_storecnt_dscnt 0x0
	s_barrier_signal -1
	s_barrier_wait -1
	s_clause 0x9
	scratch_load_b128 v[8:11], off, off offset:112
	scratch_load_b128 v[72:75], off, off offset:128
	;; [unrolled: 1-line block ×10, first 2 shown]
	ds_load_b128 v[108:111], v2 offset:576
	ds_load_b128 v[116:119], v2 offset:592
	s_clause 0x1
	scratch_load_b128 v[112:115], off, off offset:272
	scratch_load_b128 v[120:123], off, off offset:96
	s_mov_b32 s2, exec_lo
	s_wait_loadcnt_dscnt 0xb01
	v_mul_f64_e32 v[4:5], v[110:111], v[10:11]
	v_mul_f64_e32 v[132:133], v[108:109], v[10:11]
	scratch_load_b128 v[10:13], off, off offset:288
	s_wait_loadcnt_dscnt 0xb00
	v_mul_f64_e32 v[134:135], v[116:117], v[74:75]
	v_mul_f64_e32 v[74:75], v[118:119], v[74:75]
	v_fma_f64 v[4:5], v[108:109], v[8:9], -v[4:5]
	v_fmac_f64_e32 v[132:133], v[110:111], v[8:9]
	ds_load_b128 v[108:111], v2 offset:608
	ds_load_b128 v[124:127], v2 offset:624
	scratch_load_b128 v[128:131], off, off offset:304
	v_fmac_f64_e32 v[134:135], v[118:119], v[72:73]
	v_fma_f64 v[116:117], v[116:117], v[72:73], -v[74:75]
	scratch_load_b128 v[72:75], off, off offset:320
	s_wait_loadcnt_dscnt 0xc01
	v_mul_f64_e32 v[8:9], v[108:109], v[78:79]
	v_mul_f64_e32 v[78:79], v[110:111], v[78:79]
	v_add_f64_e32 v[4:5], 0, v[4:5]
	v_add_f64_e32 v[118:119], 0, v[132:133]
	s_wait_loadcnt_dscnt 0xb00
	v_mul_f64_e32 v[132:133], v[124:125], v[82:83]
	v_mul_f64_e32 v[82:83], v[126:127], v[82:83]
	v_fmac_f64_e32 v[8:9], v[110:111], v[76:77]
	v_fma_f64 v[136:137], v[108:109], v[76:77], -v[78:79]
	ds_load_b128 v[76:79], v2 offset:640
	ds_load_b128 v[108:111], v2 offset:656
	v_add_f64_e32 v[4:5], v[4:5], v[116:117]
	v_add_f64_e32 v[134:135], v[118:119], v[134:135]
	scratch_load_b128 v[116:119], off, off offset:336
	v_fmac_f64_e32 v[132:133], v[126:127], v[80:81]
	v_fma_f64 v[124:125], v[124:125], v[80:81], -v[82:83]
	scratch_load_b128 v[80:83], off, off offset:352
	s_wait_loadcnt_dscnt 0xc01
	v_mul_f64_e32 v[138:139], v[76:77], v[86:87]
	v_mul_f64_e32 v[86:87], v[78:79], v[86:87]
	v_add_f64_e32 v[4:5], v[4:5], v[136:137]
	v_add_f64_e32 v[8:9], v[134:135], v[8:9]
	s_wait_loadcnt_dscnt 0xb00
	v_mul_f64_e32 v[134:135], v[108:109], v[90:91]
	v_mul_f64_e32 v[90:91], v[110:111], v[90:91]
	v_fmac_f64_e32 v[138:139], v[78:79], v[84:85]
	v_fma_f64 v[136:137], v[76:77], v[84:85], -v[86:87]
	ds_load_b128 v[76:79], v2 offset:672
	ds_load_b128 v[84:87], v2 offset:688
	v_add_f64_e32 v[4:5], v[4:5], v[124:125]
	v_add_f64_e32 v[8:9], v[8:9], v[132:133]
	scratch_load_b128 v[124:127], off, off offset:368
	s_wait_loadcnt_dscnt 0xb01
	v_mul_f64_e32 v[132:133], v[76:77], v[94:95]
	v_mul_f64_e32 v[94:95], v[78:79], v[94:95]
	v_fmac_f64_e32 v[134:135], v[110:111], v[88:89]
	v_fma_f64 v[108:109], v[108:109], v[88:89], -v[90:91]
	scratch_load_b128 v[88:91], off, off offset:384
	v_add_f64_e32 v[4:5], v[4:5], v[136:137]
	v_add_f64_e32 v[8:9], v[8:9], v[138:139]
	s_wait_loadcnt_dscnt 0xb00
	v_mul_f64_e32 v[136:137], v[84:85], v[98:99]
	v_mul_f64_e32 v[98:99], v[86:87], v[98:99]
	v_fmac_f64_e32 v[132:133], v[78:79], v[92:93]
	v_fma_f64 v[138:139], v[76:77], v[92:93], -v[94:95]
	ds_load_b128 v[76:79], v2 offset:704
	ds_load_b128 v[92:95], v2 offset:720
	v_add_f64_e32 v[4:5], v[4:5], v[108:109]
	v_add_f64_e32 v[8:9], v[8:9], v[134:135]
	scratch_load_b128 v[108:111], off, off offset:400
	s_wait_loadcnt_dscnt 0xb01
	v_mul_f64_e32 v[134:135], v[76:77], v[102:103]
	v_mul_f64_e32 v[102:103], v[78:79], v[102:103]
	v_fmac_f64_e32 v[136:137], v[86:87], v[96:97]
	v_fma_f64 v[96:97], v[84:85], v[96:97], -v[98:99]
	scratch_load_b128 v[84:87], off, off offset:416
	v_add_f64_e32 v[4:5], v[4:5], v[138:139]
	v_add_f64_e32 v[8:9], v[8:9], v[132:133]
	s_wait_loadcnt_dscnt 0xb00
	v_mul_f64_e32 v[132:133], v[92:93], v[106:107]
	v_mul_f64_e32 v[106:107], v[94:95], v[106:107]
	v_fmac_f64_e32 v[134:135], v[78:79], v[100:101]
	v_fma_f64 v[138:139], v[76:77], v[100:101], -v[102:103]
	v_add_f64_e32 v[4:5], v[4:5], v[96:97]
	v_add_f64_e32 v[8:9], v[8:9], v[136:137]
	ds_load_b128 v[76:79], v2 offset:736
	ds_load_b128 v[96:99], v2 offset:752
	scratch_load_b128 v[100:103], off, off offset:432
	v_fmac_f64_e32 v[132:133], v[94:95], v[104:105]
	v_fma_f64 v[104:105], v[92:93], v[104:105], -v[106:107]
	scratch_load_b128 v[92:95], off, off offset:448
	s_wait_loadcnt_dscnt 0xc01
	v_mul_f64_e32 v[136:137], v[76:77], v[114:115]
	v_mul_f64_e32 v[114:115], v[78:79], v[114:115]
	v_add_f64_e32 v[4:5], v[4:5], v[138:139]
	v_add_f64_e32 v[8:9], v[8:9], v[134:135]
	s_wait_loadcnt_dscnt 0xa00
	v_mul_f64_e32 v[134:135], v[96:97], v[12:13]
	v_mul_f64_e32 v[12:13], v[98:99], v[12:13]
	v_fmac_f64_e32 v[136:137], v[78:79], v[112:113]
	v_fma_f64 v[112:113], v[76:77], v[112:113], -v[114:115]
	v_add_f64_e32 v[4:5], v[4:5], v[104:105]
	v_add_f64_e32 v[8:9], v[8:9], v[132:133]
	ds_load_b128 v[76:79], v2 offset:768
	ds_load_b128 v[104:107], v2 offset:784
	v_fmac_f64_e32 v[134:135], v[98:99], v[10:11]
	v_fma_f64 v[10:11], v[96:97], v[10:11], -v[12:13]
	s_wait_loadcnt_dscnt 0x901
	v_mul_f64_e32 v[114:115], v[76:77], v[130:131]
	v_mul_f64_e32 v[130:131], v[78:79], v[130:131]
	s_wait_loadcnt_dscnt 0x800
	v_mul_f64_e32 v[12:13], v[104:105], v[74:75]
	v_mul_f64_e32 v[96:97], v[106:107], v[74:75]
	v_add_f64_e32 v[4:5], v[4:5], v[112:113]
	v_add_f64_e32 v[8:9], v[8:9], v[136:137]
	v_fmac_f64_e32 v[114:115], v[78:79], v[128:129]
	v_fma_f64 v[78:79], v[76:77], v[128:129], -v[130:131]
	v_fmac_f64_e32 v[12:13], v[106:107], v[72:73]
	v_fma_f64 v[72:73], v[104:105], v[72:73], -v[96:97]
	v_add_f64_e32 v[4:5], v[4:5], v[10:11]
	v_add_f64_e32 v[98:99], v[8:9], v[134:135]
	ds_load_b128 v[8:11], v2 offset:800
	ds_load_b128 v[74:77], v2 offset:816
	s_wait_loadcnt_dscnt 0x701
	v_mul_f64_e32 v[112:113], v[8:9], v[118:119]
	v_mul_f64_e32 v[118:119], v[10:11], v[118:119]
	s_wait_loadcnt_dscnt 0x600
	v_mul_f64_e32 v[104:105], v[74:75], v[82:83]
	v_mul_f64_e32 v[82:83], v[76:77], v[82:83]
	v_add_f64_e32 v[4:5], v[4:5], v[78:79]
	v_add_f64_e32 v[78:79], v[98:99], v[114:115]
	v_fmac_f64_e32 v[112:113], v[10:11], v[116:117]
	v_fma_f64 v[106:107], v[8:9], v[116:117], -v[118:119]
	ds_load_b128 v[8:11], v2 offset:832
	ds_load_b128 v[96:99], v2 offset:848
	v_fmac_f64_e32 v[104:105], v[76:77], v[80:81]
	v_fma_f64 v[74:75], v[74:75], v[80:81], -v[82:83]
	v_add_f64_e32 v[4:5], v[4:5], v[72:73]
	v_add_f64_e32 v[12:13], v[78:79], v[12:13]
	s_wait_loadcnt_dscnt 0x501
	v_mul_f64_e32 v[78:79], v[8:9], v[126:127]
	v_mul_f64_e32 v[72:73], v[10:11], v[126:127]
	s_wait_loadcnt_dscnt 0x400
	v_mul_f64_e32 v[76:77], v[96:97], v[90:91]
	v_mul_f64_e32 v[80:81], v[98:99], v[90:91]
	v_add_f64_e32 v[4:5], v[4:5], v[106:107]
	v_add_f64_e32 v[12:13], v[12:13], v[112:113]
	v_fmac_f64_e32 v[78:79], v[10:11], v[124:125]
	v_fma_f64 v[82:83], v[8:9], v[124:125], -v[72:73]
	v_fmac_f64_e32 v[76:77], v[98:99], v[88:89]
	v_fma_f64 v[80:81], v[96:97], v[88:89], -v[80:81]
	v_add_f64_e32 v[4:5], v[4:5], v[74:75]
	v_add_f64_e32 v[12:13], v[12:13], v[104:105]
	ds_load_b128 v[8:11], v2 offset:864
	ds_load_b128 v[72:75], v2 offset:880
	s_wait_loadcnt_dscnt 0x301
	v_mul_f64_e32 v[90:91], v[8:9], v[110:111]
	v_mul_f64_e32 v[104:105], v[10:11], v[110:111]
	v_add_f64_e32 v[4:5], v[4:5], v[82:83]
	v_add_f64_e32 v[12:13], v[12:13], v[78:79]
	s_wait_loadcnt_dscnt 0x200
	v_mul_f64_e32 v[78:79], v[72:73], v[86:87]
	v_mul_f64_e32 v[82:83], v[74:75], v[86:87]
	v_fmac_f64_e32 v[90:91], v[10:11], v[108:109]
	v_fma_f64 v[86:87], v[8:9], v[108:109], -v[104:105]
	v_add_f64_e32 v[80:81], v[4:5], v[80:81]
	v_add_f64_e32 v[12:13], v[12:13], v[76:77]
	ds_load_b128 v[8:11], v2 offset:896
	ds_load_b128 v[2:5], v2 offset:912
	v_fmac_f64_e32 v[78:79], v[74:75], v[84:85]
	v_fma_f64 v[72:73], v[72:73], v[84:85], -v[82:83]
	s_wait_loadcnt_dscnt 0x101
	v_mul_f64_e32 v[76:77], v[8:9], v[102:103]
	v_mul_f64_e32 v[88:89], v[10:11], v[102:103]
	s_wait_loadcnt_dscnt 0x0
	v_mul_f64_e32 v[82:83], v[4:5], v[94:95]
	v_add_f64_e32 v[74:75], v[80:81], v[86:87]
	v_add_f64_e32 v[12:13], v[12:13], v[90:91]
	v_mul_f64_e32 v[80:81], v[2:3], v[94:95]
	v_fmac_f64_e32 v[76:77], v[10:11], v[100:101]
	v_fma_f64 v[8:9], v[8:9], v[100:101], -v[88:89]
	v_fma_f64 v[2:3], v[2:3], v[92:93], -v[82:83]
	v_add_f64_e32 v[10:11], v[74:75], v[72:73]
	v_add_f64_e32 v[12:13], v[12:13], v[78:79]
	v_fmac_f64_e32 v[80:81], v[4:5], v[92:93]
	s_delay_alu instid0(VALU_DEP_3) | instskip(NEXT) | instid1(VALU_DEP_3)
	v_add_f64_e32 v[4:5], v[10:11], v[8:9]
	v_add_f64_e32 v[8:9], v[12:13], v[76:77]
	s_delay_alu instid0(VALU_DEP_2) | instskip(NEXT) | instid1(VALU_DEP_2)
	v_add_f64_e32 v[2:3], v[4:5], v[2:3]
	v_add_f64_e32 v[4:5], v[8:9], v[80:81]
	s_delay_alu instid0(VALU_DEP_2) | instskip(NEXT) | instid1(VALU_DEP_2)
	v_add_f64_e64 v[2:3], v[120:121], -v[2:3]
	v_add_f64_e64 v[4:5], v[122:123], -v[4:5]
	scratch_store_b128 off, v[2:5], off offset:96
	s_wait_xcnt 0x0
	v_cmpx_lt_u32_e32 5, v1
	s_cbranch_execz .LBB92_177
; %bb.176:
	scratch_load_b128 v[2:5], off, s40
	v_mov_b32_e32 v8, 0
	s_delay_alu instid0(VALU_DEP_1)
	v_dual_mov_b32 v9, v8 :: v_dual_mov_b32 v10, v8
	v_mov_b32_e32 v11, v8
	scratch_store_b128 off, v[8:11], off offset:80
	s_wait_loadcnt 0x0
	ds_store_b128 v6, v[2:5]
.LBB92_177:
	s_wait_xcnt 0x0
	s_or_b32 exec_lo, exec_lo, s2
	s_wait_storecnt_dscnt 0x0
	s_barrier_signal -1
	s_barrier_wait -1
	s_clause 0x9
	scratch_load_b128 v[8:11], off, off offset:96
	scratch_load_b128 v[72:75], off, off offset:112
	;; [unrolled: 1-line block ×10, first 2 shown]
	v_mov_b32_e32 v2, 0
	s_mov_b32 s2, exec_lo
	ds_load_b128 v[108:111], v2 offset:560
	s_clause 0x2
	scratch_load_b128 v[112:115], off, off offset:256
	scratch_load_b128 v[116:119], off, off offset:80
	;; [unrolled: 1-line block ×3, first 2 shown]
	s_wait_loadcnt_dscnt 0xc00
	v_mul_f64_e32 v[4:5], v[110:111], v[10:11]
	v_mul_f64_e32 v[132:133], v[108:109], v[10:11]
	ds_load_b128 v[120:123], v2 offset:576
	scratch_load_b128 v[10:13], off, off offset:272
	ds_load_b128 v[128:131], v2 offset:608
	v_fma_f64 v[4:5], v[108:109], v[8:9], -v[4:5]
	v_fmac_f64_e32 v[132:133], v[110:111], v[8:9]
	ds_load_b128 v[108:111], v2 offset:592
	s_wait_loadcnt_dscnt 0xc02
	v_mul_f64_e32 v[134:135], v[120:121], v[74:75]
	v_mul_f64_e32 v[74:75], v[122:123], v[74:75]
	s_wait_loadcnt_dscnt 0xb00
	v_mul_f64_e32 v[8:9], v[108:109], v[78:79]
	v_mul_f64_e32 v[78:79], v[110:111], v[78:79]
	v_add_f64_e32 v[4:5], 0, v[4:5]
	v_fmac_f64_e32 v[134:135], v[122:123], v[72:73]
	v_fma_f64 v[120:121], v[120:121], v[72:73], -v[74:75]
	v_add_f64_e32 v[122:123], 0, v[132:133]
	scratch_load_b128 v[72:75], off, off offset:304
	v_fmac_f64_e32 v[8:9], v[110:111], v[76:77]
	v_fma_f64 v[136:137], v[108:109], v[76:77], -v[78:79]
	ds_load_b128 v[76:79], v2 offset:624
	s_wait_loadcnt 0xb
	v_mul_f64_e32 v[132:133], v[128:129], v[82:83]
	v_mul_f64_e32 v[82:83], v[130:131], v[82:83]
	scratch_load_b128 v[108:111], off, off offset:320
	v_add_f64_e32 v[4:5], v[4:5], v[120:121]
	v_add_f64_e32 v[134:135], v[122:123], v[134:135]
	ds_load_b128 v[120:123], v2 offset:640
	s_wait_loadcnt_dscnt 0xb01
	v_mul_f64_e32 v[138:139], v[76:77], v[86:87]
	v_mul_f64_e32 v[86:87], v[78:79], v[86:87]
	v_fmac_f64_e32 v[132:133], v[130:131], v[80:81]
	v_fma_f64 v[128:129], v[128:129], v[80:81], -v[82:83]
	scratch_load_b128 v[80:83], off, off offset:336
	v_add_f64_e32 v[4:5], v[4:5], v[136:137]
	v_add_f64_e32 v[8:9], v[134:135], v[8:9]
	v_fmac_f64_e32 v[138:139], v[78:79], v[84:85]
	v_fma_f64 v[136:137], v[76:77], v[84:85], -v[86:87]
	ds_load_b128 v[76:79], v2 offset:656
	s_wait_loadcnt_dscnt 0xb01
	v_mul_f64_e32 v[134:135], v[120:121], v[90:91]
	v_mul_f64_e32 v[90:91], v[122:123], v[90:91]
	scratch_load_b128 v[84:87], off, off offset:352
	v_add_f64_e32 v[4:5], v[4:5], v[128:129]
	v_add_f64_e32 v[8:9], v[8:9], v[132:133]
	s_wait_loadcnt_dscnt 0xb00
	v_mul_f64_e32 v[132:133], v[76:77], v[94:95]
	v_mul_f64_e32 v[94:95], v[78:79], v[94:95]
	ds_load_b128 v[128:131], v2 offset:672
	v_fmac_f64_e32 v[134:135], v[122:123], v[88:89]
	v_fma_f64 v[120:121], v[120:121], v[88:89], -v[90:91]
	scratch_load_b128 v[88:91], off, off offset:368
	v_add_f64_e32 v[4:5], v[4:5], v[136:137]
	v_add_f64_e32 v[8:9], v[8:9], v[138:139]
	v_fmac_f64_e32 v[132:133], v[78:79], v[92:93]
	v_fma_f64 v[138:139], v[76:77], v[92:93], -v[94:95]
	ds_load_b128 v[76:79], v2 offset:688
	s_wait_loadcnt_dscnt 0xb01
	v_mul_f64_e32 v[136:137], v[128:129], v[98:99]
	v_mul_f64_e32 v[98:99], v[130:131], v[98:99]
	scratch_load_b128 v[92:95], off, off offset:384
	v_add_f64_e32 v[4:5], v[4:5], v[120:121]
	v_add_f64_e32 v[8:9], v[8:9], v[134:135]
	s_wait_loadcnt_dscnt 0xb00
	v_mul_f64_e32 v[134:135], v[76:77], v[102:103]
	v_mul_f64_e32 v[102:103], v[78:79], v[102:103]
	ds_load_b128 v[120:123], v2 offset:704
	;; [unrolled: 18-line block ×3, first 2 shown]
	v_fmac_f64_e32 v[132:133], v[122:123], v[104:105]
	v_fma_f64 v[120:121], v[120:121], v[104:105], -v[106:107]
	scratch_load_b128 v[104:107], off, off offset:432
	v_add_f64_e32 v[4:5], v[4:5], v[138:139]
	v_add_f64_e32 v[8:9], v[8:9], v[134:135]
	v_fmac_f64_e32 v[136:137], v[78:79], v[112:113]
	v_fma_f64 v[138:139], v[76:77], v[112:113], -v[114:115]
	ds_load_b128 v[76:79], v2 offset:752
	s_wait_loadcnt_dscnt 0x901
	v_mul_f64_e32 v[134:135], v[128:129], v[12:13]
	v_mul_f64_e32 v[12:13], v[130:131], v[12:13]
	scratch_load_b128 v[112:115], off, off offset:448
	v_add_f64_e32 v[4:5], v[4:5], v[120:121]
	v_add_f64_e32 v[8:9], v[8:9], v[132:133]
	s_wait_dscnt 0x0
	v_mul_f64_e32 v[132:133], v[76:77], v[126:127]
	v_mul_f64_e32 v[126:127], v[78:79], v[126:127]
	ds_load_b128 v[120:123], v2 offset:768
	v_fmac_f64_e32 v[134:135], v[130:131], v[10:11]
	v_fma_f64 v[10:11], v[128:129], v[10:11], -v[12:13]
	v_add_f64_e32 v[4:5], v[4:5], v[138:139]
	v_add_f64_e32 v[8:9], v[8:9], v[136:137]
	s_wait_loadcnt_dscnt 0x900
	v_mul_f64_e32 v[12:13], v[120:121], v[74:75]
	v_mul_f64_e32 v[128:129], v[122:123], v[74:75]
	v_fmac_f64_e32 v[132:133], v[78:79], v[124:125]
	v_fma_f64 v[78:79], v[76:77], v[124:125], -v[126:127]
	v_add_f64_e32 v[4:5], v[4:5], v[10:11]
	v_add_f64_e32 v[124:125], v[8:9], v[134:135]
	ds_load_b128 v[8:11], v2 offset:784
	ds_load_b128 v[74:77], v2 offset:800
	v_fmac_f64_e32 v[12:13], v[122:123], v[72:73]
	v_fma_f64 v[72:73], v[120:121], v[72:73], -v[128:129]
	s_wait_loadcnt_dscnt 0x801
	v_mul_f64_e32 v[126:127], v[8:9], v[110:111]
	v_mul_f64_e32 v[110:111], v[10:11], v[110:111]
	s_wait_loadcnt_dscnt 0x700
	v_mul_f64_e32 v[120:121], v[74:75], v[82:83]
	v_mul_f64_e32 v[82:83], v[76:77], v[82:83]
	v_add_f64_e32 v[4:5], v[4:5], v[78:79]
	v_add_f64_e32 v[78:79], v[124:125], v[132:133]
	v_fmac_f64_e32 v[126:127], v[10:11], v[108:109]
	v_fma_f64 v[122:123], v[8:9], v[108:109], -v[110:111]
	ds_load_b128 v[8:11], v2 offset:816
	ds_load_b128 v[108:111], v2 offset:832
	v_fmac_f64_e32 v[120:121], v[76:77], v[80:81]
	v_fma_f64 v[74:75], v[74:75], v[80:81], -v[82:83]
	v_add_f64_e32 v[4:5], v[4:5], v[72:73]
	v_add_f64_e32 v[12:13], v[78:79], v[12:13]
	s_wait_loadcnt_dscnt 0x601
	v_mul_f64_e32 v[78:79], v[8:9], v[86:87]
	v_mul_f64_e32 v[72:73], v[10:11], v[86:87]
	s_wait_loadcnt_dscnt 0x500
	v_mul_f64_e32 v[76:77], v[108:109], v[90:91]
	v_mul_f64_e32 v[80:81], v[110:111], v[90:91]
	v_add_f64_e32 v[4:5], v[4:5], v[122:123]
	v_add_f64_e32 v[12:13], v[12:13], v[126:127]
	v_fmac_f64_e32 v[78:79], v[10:11], v[84:85]
	v_fma_f64 v[82:83], v[8:9], v[84:85], -v[72:73]
	v_fmac_f64_e32 v[76:77], v[110:111], v[88:89]
	v_fma_f64 v[80:81], v[108:109], v[88:89], -v[80:81]
	v_add_f64_e32 v[4:5], v[4:5], v[74:75]
	v_add_f64_e32 v[12:13], v[12:13], v[120:121]
	ds_load_b128 v[8:11], v2 offset:848
	ds_load_b128 v[72:75], v2 offset:864
	s_wait_loadcnt_dscnt 0x401
	v_mul_f64_e32 v[84:85], v[8:9], v[94:95]
	v_mul_f64_e32 v[86:87], v[10:11], v[94:95]
	s_wait_loadcnt_dscnt 0x300
	v_mul_f64_e32 v[88:89], v[74:75], v[98:99]
	v_add_f64_e32 v[4:5], v[4:5], v[82:83]
	v_add_f64_e32 v[12:13], v[12:13], v[78:79]
	v_mul_f64_e32 v[82:83], v[72:73], v[98:99]
	v_fmac_f64_e32 v[84:85], v[10:11], v[92:93]
	v_fma_f64 v[86:87], v[8:9], v[92:93], -v[86:87]
	v_fma_f64 v[72:73], v[72:73], v[96:97], -v[88:89]
	v_add_f64_e32 v[4:5], v[4:5], v[80:81]
	v_add_f64_e32 v[12:13], v[12:13], v[76:77]
	ds_load_b128 v[8:11], v2 offset:880
	ds_load_b128 v[76:79], v2 offset:896
	v_fmac_f64_e32 v[82:83], v[74:75], v[96:97]
	s_wait_loadcnt_dscnt 0x201
	v_mul_f64_e32 v[80:81], v[8:9], v[102:103]
	v_mul_f64_e32 v[90:91], v[10:11], v[102:103]
	s_wait_loadcnt_dscnt 0x100
	v_mul_f64_e32 v[74:75], v[76:77], v[106:107]
	v_add_f64_e32 v[4:5], v[4:5], v[86:87]
	v_add_f64_e32 v[12:13], v[12:13], v[84:85]
	v_mul_f64_e32 v[84:85], v[78:79], v[106:107]
	v_fmac_f64_e32 v[80:81], v[10:11], v[100:101]
	v_fma_f64 v[86:87], v[8:9], v[100:101], -v[90:91]
	ds_load_b128 v[8:11], v2 offset:912
	v_fmac_f64_e32 v[74:75], v[78:79], v[104:105]
	v_add_f64_e32 v[4:5], v[4:5], v[72:73]
	v_add_f64_e32 v[12:13], v[12:13], v[82:83]
	v_fma_f64 v[76:77], v[76:77], v[104:105], -v[84:85]
	s_wait_loadcnt_dscnt 0x0
	v_mul_f64_e32 v[72:73], v[8:9], v[114:115]
	v_mul_f64_e32 v[82:83], v[10:11], v[114:115]
	v_add_f64_e32 v[4:5], v[4:5], v[86:87]
	v_add_f64_e32 v[12:13], v[12:13], v[80:81]
	s_delay_alu instid0(VALU_DEP_4) | instskip(NEXT) | instid1(VALU_DEP_4)
	v_fmac_f64_e32 v[72:73], v[10:11], v[112:113]
	v_fma_f64 v[8:9], v[8:9], v[112:113], -v[82:83]
	s_delay_alu instid0(VALU_DEP_4) | instskip(NEXT) | instid1(VALU_DEP_4)
	v_add_f64_e32 v[4:5], v[4:5], v[76:77]
	v_add_f64_e32 v[10:11], v[12:13], v[74:75]
	s_delay_alu instid0(VALU_DEP_2) | instskip(NEXT) | instid1(VALU_DEP_2)
	v_add_f64_e32 v[4:5], v[4:5], v[8:9]
	v_add_f64_e32 v[10:11], v[10:11], v[72:73]
	s_delay_alu instid0(VALU_DEP_2) | instskip(NEXT) | instid1(VALU_DEP_2)
	v_add_f64_e64 v[8:9], v[116:117], -v[4:5]
	v_add_f64_e64 v[10:11], v[118:119], -v[10:11]
	scratch_store_b128 off, v[8:11], off offset:80
	s_wait_xcnt 0x0
	v_cmpx_lt_u32_e32 4, v1
	s_cbranch_execz .LBB92_179
; %bb.178:
	scratch_load_b128 v[8:11], off, s12
	v_dual_mov_b32 v3, v2 :: v_dual_mov_b32 v4, v2
	v_mov_b32_e32 v5, v2
	scratch_store_b128 off, v[2:5], off offset:64
	s_wait_loadcnt 0x0
	ds_store_b128 v6, v[8:11]
.LBB92_179:
	s_wait_xcnt 0x0
	s_or_b32 exec_lo, exec_lo, s2
	s_wait_storecnt_dscnt 0x0
	s_barrier_signal -1
	s_barrier_wait -1
	s_clause 0x9
	scratch_load_b128 v[8:11], off, off offset:80
	scratch_load_b128 v[72:75], off, off offset:96
	;; [unrolled: 1-line block ×10, first 2 shown]
	ds_load_b128 v[108:111], v2 offset:544
	ds_load_b128 v[116:119], v2 offset:560
	s_clause 0x1
	scratch_load_b128 v[112:115], off, off offset:240
	scratch_load_b128 v[120:123], off, off offset:64
	s_mov_b32 s2, exec_lo
	s_wait_loadcnt_dscnt 0xb01
	v_mul_f64_e32 v[4:5], v[110:111], v[10:11]
	v_mul_f64_e32 v[132:133], v[108:109], v[10:11]
	scratch_load_b128 v[10:13], off, off offset:256
	s_wait_loadcnt_dscnt 0xb00
	v_mul_f64_e32 v[134:135], v[116:117], v[74:75]
	v_mul_f64_e32 v[74:75], v[118:119], v[74:75]
	v_fma_f64 v[4:5], v[108:109], v[8:9], -v[4:5]
	v_fmac_f64_e32 v[132:133], v[110:111], v[8:9]
	ds_load_b128 v[108:111], v2 offset:576
	ds_load_b128 v[124:127], v2 offset:592
	scratch_load_b128 v[128:131], off, off offset:272
	v_fmac_f64_e32 v[134:135], v[118:119], v[72:73]
	v_fma_f64 v[116:117], v[116:117], v[72:73], -v[74:75]
	scratch_load_b128 v[72:75], off, off offset:288
	s_wait_loadcnt_dscnt 0xc01
	v_mul_f64_e32 v[8:9], v[108:109], v[78:79]
	v_mul_f64_e32 v[78:79], v[110:111], v[78:79]
	v_add_f64_e32 v[4:5], 0, v[4:5]
	v_add_f64_e32 v[118:119], 0, v[132:133]
	s_wait_loadcnt_dscnt 0xb00
	v_mul_f64_e32 v[132:133], v[124:125], v[82:83]
	v_mul_f64_e32 v[82:83], v[126:127], v[82:83]
	v_fmac_f64_e32 v[8:9], v[110:111], v[76:77]
	v_fma_f64 v[136:137], v[108:109], v[76:77], -v[78:79]
	ds_load_b128 v[76:79], v2 offset:608
	ds_load_b128 v[108:111], v2 offset:624
	v_add_f64_e32 v[4:5], v[4:5], v[116:117]
	v_add_f64_e32 v[134:135], v[118:119], v[134:135]
	scratch_load_b128 v[116:119], off, off offset:304
	v_fmac_f64_e32 v[132:133], v[126:127], v[80:81]
	v_fma_f64 v[124:125], v[124:125], v[80:81], -v[82:83]
	scratch_load_b128 v[80:83], off, off offset:320
	s_wait_loadcnt_dscnt 0xc01
	v_mul_f64_e32 v[138:139], v[76:77], v[86:87]
	v_mul_f64_e32 v[86:87], v[78:79], v[86:87]
	v_add_f64_e32 v[4:5], v[4:5], v[136:137]
	v_add_f64_e32 v[8:9], v[134:135], v[8:9]
	s_wait_loadcnt_dscnt 0xb00
	v_mul_f64_e32 v[134:135], v[108:109], v[90:91]
	v_mul_f64_e32 v[90:91], v[110:111], v[90:91]
	v_fmac_f64_e32 v[138:139], v[78:79], v[84:85]
	v_fma_f64 v[136:137], v[76:77], v[84:85], -v[86:87]
	ds_load_b128 v[76:79], v2 offset:640
	ds_load_b128 v[84:87], v2 offset:656
	v_add_f64_e32 v[4:5], v[4:5], v[124:125]
	v_add_f64_e32 v[8:9], v[8:9], v[132:133]
	scratch_load_b128 v[124:127], off, off offset:336
	s_wait_loadcnt_dscnt 0xb01
	v_mul_f64_e32 v[132:133], v[76:77], v[94:95]
	v_mul_f64_e32 v[94:95], v[78:79], v[94:95]
	v_fmac_f64_e32 v[134:135], v[110:111], v[88:89]
	v_fma_f64 v[108:109], v[108:109], v[88:89], -v[90:91]
	scratch_load_b128 v[88:91], off, off offset:352
	v_add_f64_e32 v[4:5], v[4:5], v[136:137]
	v_add_f64_e32 v[8:9], v[8:9], v[138:139]
	s_wait_loadcnt_dscnt 0xb00
	v_mul_f64_e32 v[136:137], v[84:85], v[98:99]
	v_mul_f64_e32 v[98:99], v[86:87], v[98:99]
	v_fmac_f64_e32 v[132:133], v[78:79], v[92:93]
	v_fma_f64 v[138:139], v[76:77], v[92:93], -v[94:95]
	ds_load_b128 v[76:79], v2 offset:672
	ds_load_b128 v[92:95], v2 offset:688
	v_add_f64_e32 v[4:5], v[4:5], v[108:109]
	v_add_f64_e32 v[8:9], v[8:9], v[134:135]
	scratch_load_b128 v[108:111], off, off offset:368
	s_wait_loadcnt_dscnt 0xb01
	v_mul_f64_e32 v[134:135], v[76:77], v[102:103]
	v_mul_f64_e32 v[102:103], v[78:79], v[102:103]
	v_fmac_f64_e32 v[136:137], v[86:87], v[96:97]
	v_fma_f64 v[96:97], v[84:85], v[96:97], -v[98:99]
	scratch_load_b128 v[84:87], off, off offset:384
	v_add_f64_e32 v[4:5], v[4:5], v[138:139]
	v_add_f64_e32 v[8:9], v[8:9], v[132:133]
	s_wait_loadcnt_dscnt 0xb00
	v_mul_f64_e32 v[132:133], v[92:93], v[106:107]
	v_mul_f64_e32 v[106:107], v[94:95], v[106:107]
	v_fmac_f64_e32 v[134:135], v[78:79], v[100:101]
	v_fma_f64 v[138:139], v[76:77], v[100:101], -v[102:103]
	v_add_f64_e32 v[4:5], v[4:5], v[96:97]
	v_add_f64_e32 v[8:9], v[8:9], v[136:137]
	ds_load_b128 v[76:79], v2 offset:704
	ds_load_b128 v[96:99], v2 offset:720
	scratch_load_b128 v[100:103], off, off offset:400
	v_fmac_f64_e32 v[132:133], v[94:95], v[104:105]
	v_fma_f64 v[104:105], v[92:93], v[104:105], -v[106:107]
	scratch_load_b128 v[92:95], off, off offset:416
	s_wait_loadcnt_dscnt 0xc01
	v_mul_f64_e32 v[136:137], v[76:77], v[114:115]
	v_mul_f64_e32 v[114:115], v[78:79], v[114:115]
	v_add_f64_e32 v[4:5], v[4:5], v[138:139]
	v_add_f64_e32 v[8:9], v[8:9], v[134:135]
	s_wait_loadcnt_dscnt 0xa00
	v_mul_f64_e32 v[134:135], v[96:97], v[12:13]
	v_mul_f64_e32 v[12:13], v[98:99], v[12:13]
	v_fmac_f64_e32 v[136:137], v[78:79], v[112:113]
	v_fma_f64 v[138:139], v[76:77], v[112:113], -v[114:115]
	v_add_f64_e32 v[4:5], v[4:5], v[104:105]
	v_add_f64_e32 v[8:9], v[8:9], v[132:133]
	ds_load_b128 v[76:79], v2 offset:736
	ds_load_b128 v[104:107], v2 offset:752
	scratch_load_b128 v[112:115], off, off offset:432
	v_fmac_f64_e32 v[134:135], v[98:99], v[10:11]
	v_fma_f64 v[12:13], v[96:97], v[10:11], -v[12:13]
	s_wait_loadcnt_dscnt 0xa01
	v_mul_f64_e32 v[132:133], v[76:77], v[130:131]
	v_mul_f64_e32 v[130:131], v[78:79], v[130:131]
	v_add_f64_e32 v[4:5], v[4:5], v[138:139]
	v_add_f64_e32 v[96:97], v[8:9], v[136:137]
	scratch_load_b128 v[8:11], off, off offset:448
	s_wait_loadcnt_dscnt 0xa00
	v_mul_f64_e32 v[136:137], v[104:105], v[74:75]
	v_mul_f64_e32 v[138:139], v[106:107], v[74:75]
	v_fmac_f64_e32 v[132:133], v[78:79], v[128:129]
	v_fma_f64 v[78:79], v[76:77], v[128:129], -v[130:131]
	v_add_f64_e32 v[4:5], v[4:5], v[12:13]
	v_add_f64_e32 v[12:13], v[96:97], v[134:135]
	ds_load_b128 v[74:77], v2 offset:768
	ds_load_b128 v[96:99], v2 offset:784
	v_fmac_f64_e32 v[136:137], v[106:107], v[72:73]
	v_fma_f64 v[72:73], v[104:105], v[72:73], -v[138:139]
	s_wait_loadcnt_dscnt 0x901
	v_mul_f64_e32 v[128:129], v[74:75], v[118:119]
	v_mul_f64_e32 v[118:119], v[76:77], v[118:119]
	s_wait_loadcnt_dscnt 0x800
	v_mul_f64_e32 v[104:105], v[96:97], v[82:83]
	v_mul_f64_e32 v[82:83], v[98:99], v[82:83]
	v_add_f64_e32 v[4:5], v[4:5], v[78:79]
	v_add_f64_e32 v[12:13], v[12:13], v[132:133]
	v_fmac_f64_e32 v[128:129], v[76:77], v[116:117]
	v_fma_f64 v[106:107], v[74:75], v[116:117], -v[118:119]
	v_fmac_f64_e32 v[104:105], v[98:99], v[80:81]
	v_fma_f64 v[80:81], v[96:97], v[80:81], -v[82:83]
	v_add_f64_e32 v[4:5], v[4:5], v[72:73]
	v_add_f64_e32 v[12:13], v[12:13], v[136:137]
	ds_load_b128 v[72:75], v2 offset:800
	ds_load_b128 v[76:79], v2 offset:816
	s_wait_loadcnt_dscnt 0x701
	v_mul_f64_e32 v[116:117], v[72:73], v[126:127]
	v_mul_f64_e32 v[118:119], v[74:75], v[126:127]
	s_wait_loadcnt_dscnt 0x600
	v_mul_f64_e32 v[96:97], v[76:77], v[90:91]
	v_mul_f64_e32 v[90:91], v[78:79], v[90:91]
	v_add_f64_e32 v[4:5], v[4:5], v[106:107]
	v_add_f64_e32 v[12:13], v[12:13], v[128:129]
	v_fmac_f64_e32 v[116:117], v[74:75], v[124:125]
	v_fma_f64 v[98:99], v[72:73], v[124:125], -v[118:119]
	v_fmac_f64_e32 v[96:97], v[78:79], v[88:89]
	v_fma_f64 v[76:77], v[76:77], v[88:89], -v[90:91]
	v_add_f64_e32 v[4:5], v[4:5], v[80:81]
	v_add_f64_e32 v[12:13], v[12:13], v[104:105]
	ds_load_b128 v[72:75], v2 offset:832
	ds_load_b128 v[80:83], v2 offset:848
	;; [unrolled: 16-line block ×4, first 2 shown]
	s_wait_loadcnt_dscnt 0x101
	v_mul_f64_e32 v[88:89], v[72:73], v[114:115]
	v_mul_f64_e32 v[90:91], v[74:75], v[114:115]
	v_add_f64_e32 v[78:79], v[80:81], v[86:87]
	v_add_f64_e32 v[12:13], v[12:13], v[96:97]
	s_wait_loadcnt_dscnt 0x0
	v_mul_f64_e32 v[80:81], v[2:3], v[10:11]
	v_mul_f64_e32 v[10:11], v[4:5], v[10:11]
	v_fmac_f64_e32 v[88:89], v[74:75], v[112:113]
	v_fma_f64 v[72:73], v[72:73], v[112:113], -v[90:91]
	v_add_f64_e32 v[74:75], v[78:79], v[76:77]
	v_add_f64_e32 v[12:13], v[12:13], v[82:83]
	v_fmac_f64_e32 v[80:81], v[4:5], v[8:9]
	v_fma_f64 v[2:3], v[2:3], v[8:9], -v[10:11]
	s_delay_alu instid0(VALU_DEP_4) | instskip(NEXT) | instid1(VALU_DEP_4)
	v_add_f64_e32 v[4:5], v[74:75], v[72:73]
	v_add_f64_e32 v[8:9], v[12:13], v[88:89]
	s_delay_alu instid0(VALU_DEP_2) | instskip(NEXT) | instid1(VALU_DEP_2)
	v_add_f64_e32 v[2:3], v[4:5], v[2:3]
	v_add_f64_e32 v[4:5], v[8:9], v[80:81]
	s_delay_alu instid0(VALU_DEP_2) | instskip(NEXT) | instid1(VALU_DEP_2)
	v_add_f64_e64 v[2:3], v[120:121], -v[2:3]
	v_add_f64_e64 v[4:5], v[122:123], -v[4:5]
	scratch_store_b128 off, v[2:5], off offset:64
	s_wait_xcnt 0x0
	v_cmpx_lt_u32_e32 3, v1
	s_cbranch_execz .LBB92_181
; %bb.180:
	scratch_load_b128 v[2:5], off, s14
	v_mov_b32_e32 v8, 0
	s_delay_alu instid0(VALU_DEP_1)
	v_dual_mov_b32 v9, v8 :: v_dual_mov_b32 v10, v8
	v_mov_b32_e32 v11, v8
	scratch_store_b128 off, v[8:11], off offset:48
	s_wait_loadcnt 0x0
	ds_store_b128 v6, v[2:5]
.LBB92_181:
	s_wait_xcnt 0x0
	s_or_b32 exec_lo, exec_lo, s2
	s_wait_storecnt_dscnt 0x0
	s_barrier_signal -1
	s_barrier_wait -1
	s_clause 0x9
	scratch_load_b128 v[8:11], off, off offset:64
	scratch_load_b128 v[72:75], off, off offset:80
	;; [unrolled: 1-line block ×10, first 2 shown]
	v_mov_b32_e32 v2, 0
	s_mov_b32 s2, exec_lo
	ds_load_b128 v[108:111], v2 offset:528
	s_clause 0x2
	scratch_load_b128 v[112:115], off, off offset:224
	scratch_load_b128 v[116:119], off, off offset:48
	;; [unrolled: 1-line block ×3, first 2 shown]
	s_wait_loadcnt_dscnt 0xc00
	v_mul_f64_e32 v[4:5], v[110:111], v[10:11]
	v_mul_f64_e32 v[132:133], v[108:109], v[10:11]
	ds_load_b128 v[120:123], v2 offset:544
	scratch_load_b128 v[10:13], off, off offset:240
	ds_load_b128 v[128:131], v2 offset:576
	v_fma_f64 v[4:5], v[108:109], v[8:9], -v[4:5]
	v_fmac_f64_e32 v[132:133], v[110:111], v[8:9]
	ds_load_b128 v[108:111], v2 offset:560
	s_wait_loadcnt_dscnt 0xc02
	v_mul_f64_e32 v[134:135], v[120:121], v[74:75]
	v_mul_f64_e32 v[74:75], v[122:123], v[74:75]
	s_wait_loadcnt_dscnt 0xb00
	v_mul_f64_e32 v[8:9], v[108:109], v[78:79]
	v_mul_f64_e32 v[78:79], v[110:111], v[78:79]
	v_add_f64_e32 v[4:5], 0, v[4:5]
	v_fmac_f64_e32 v[134:135], v[122:123], v[72:73]
	v_fma_f64 v[120:121], v[120:121], v[72:73], -v[74:75]
	v_add_f64_e32 v[122:123], 0, v[132:133]
	scratch_load_b128 v[72:75], off, off offset:272
	v_fmac_f64_e32 v[8:9], v[110:111], v[76:77]
	v_fma_f64 v[136:137], v[108:109], v[76:77], -v[78:79]
	ds_load_b128 v[76:79], v2 offset:592
	s_wait_loadcnt 0xb
	v_mul_f64_e32 v[132:133], v[128:129], v[82:83]
	v_mul_f64_e32 v[82:83], v[130:131], v[82:83]
	scratch_load_b128 v[108:111], off, off offset:288
	v_add_f64_e32 v[4:5], v[4:5], v[120:121]
	v_add_f64_e32 v[134:135], v[122:123], v[134:135]
	ds_load_b128 v[120:123], v2 offset:608
	s_wait_loadcnt_dscnt 0xb01
	v_mul_f64_e32 v[138:139], v[76:77], v[86:87]
	v_mul_f64_e32 v[86:87], v[78:79], v[86:87]
	v_fmac_f64_e32 v[132:133], v[130:131], v[80:81]
	v_fma_f64 v[128:129], v[128:129], v[80:81], -v[82:83]
	scratch_load_b128 v[80:83], off, off offset:304
	v_add_f64_e32 v[4:5], v[4:5], v[136:137]
	v_add_f64_e32 v[8:9], v[134:135], v[8:9]
	v_fmac_f64_e32 v[138:139], v[78:79], v[84:85]
	v_fma_f64 v[136:137], v[76:77], v[84:85], -v[86:87]
	ds_load_b128 v[76:79], v2 offset:624
	s_wait_loadcnt_dscnt 0xb01
	v_mul_f64_e32 v[134:135], v[120:121], v[90:91]
	v_mul_f64_e32 v[90:91], v[122:123], v[90:91]
	scratch_load_b128 v[84:87], off, off offset:320
	v_add_f64_e32 v[4:5], v[4:5], v[128:129]
	v_add_f64_e32 v[8:9], v[8:9], v[132:133]
	s_wait_loadcnt_dscnt 0xb00
	v_mul_f64_e32 v[132:133], v[76:77], v[94:95]
	v_mul_f64_e32 v[94:95], v[78:79], v[94:95]
	ds_load_b128 v[128:131], v2 offset:640
	v_fmac_f64_e32 v[134:135], v[122:123], v[88:89]
	v_fma_f64 v[120:121], v[120:121], v[88:89], -v[90:91]
	scratch_load_b128 v[88:91], off, off offset:336
	v_add_f64_e32 v[4:5], v[4:5], v[136:137]
	v_add_f64_e32 v[8:9], v[8:9], v[138:139]
	v_fmac_f64_e32 v[132:133], v[78:79], v[92:93]
	v_fma_f64 v[138:139], v[76:77], v[92:93], -v[94:95]
	ds_load_b128 v[76:79], v2 offset:656
	s_wait_loadcnt_dscnt 0xb01
	v_mul_f64_e32 v[136:137], v[128:129], v[98:99]
	v_mul_f64_e32 v[98:99], v[130:131], v[98:99]
	scratch_load_b128 v[92:95], off, off offset:352
	v_add_f64_e32 v[4:5], v[4:5], v[120:121]
	v_add_f64_e32 v[8:9], v[8:9], v[134:135]
	s_wait_loadcnt_dscnt 0xb00
	v_mul_f64_e32 v[134:135], v[76:77], v[102:103]
	v_mul_f64_e32 v[102:103], v[78:79], v[102:103]
	ds_load_b128 v[120:123], v2 offset:672
	;; [unrolled: 18-line block ×3, first 2 shown]
	v_fmac_f64_e32 v[132:133], v[122:123], v[104:105]
	v_fma_f64 v[120:121], v[120:121], v[104:105], -v[106:107]
	scratch_load_b128 v[104:107], off, off offset:400
	v_add_f64_e32 v[4:5], v[4:5], v[138:139]
	v_add_f64_e32 v[8:9], v[8:9], v[134:135]
	v_fmac_f64_e32 v[136:137], v[78:79], v[112:113]
	v_fma_f64 v[138:139], v[76:77], v[112:113], -v[114:115]
	ds_load_b128 v[76:79], v2 offset:720
	s_wait_loadcnt_dscnt 0x901
	v_mul_f64_e32 v[134:135], v[128:129], v[12:13]
	v_mul_f64_e32 v[12:13], v[130:131], v[12:13]
	scratch_load_b128 v[112:115], off, off offset:416
	v_add_f64_e32 v[4:5], v[4:5], v[120:121]
	v_add_f64_e32 v[8:9], v[8:9], v[132:133]
	s_wait_dscnt 0x0
	v_mul_f64_e32 v[132:133], v[76:77], v[126:127]
	v_mul_f64_e32 v[126:127], v[78:79], v[126:127]
	ds_load_b128 v[120:123], v2 offset:736
	v_fmac_f64_e32 v[134:135], v[130:131], v[10:11]
	v_fma_f64 v[12:13], v[128:129], v[10:11], -v[12:13]
	v_add_f64_e32 v[4:5], v[4:5], v[138:139]
	v_add_f64_e32 v[128:129], v[8:9], v[136:137]
	scratch_load_b128 v[8:11], off, off offset:432
	v_fmac_f64_e32 v[132:133], v[78:79], v[124:125]
	v_fma_f64 v[78:79], v[76:77], v[124:125], -v[126:127]
	scratch_load_b128 v[124:127], off, off offset:448
	v_add_f64_e32 v[4:5], v[4:5], v[12:13]
	v_add_f64_e32 v[12:13], v[128:129], v[134:135]
	ds_load_b128 v[128:131], v2 offset:768
	s_wait_loadcnt_dscnt 0xb01
	v_mul_f64_e32 v[136:137], v[120:121], v[74:75]
	v_mul_f64_e32 v[138:139], v[122:123], v[74:75]
	ds_load_b128 v[74:77], v2 offset:752
	s_wait_loadcnt_dscnt 0xa00
	v_mul_f64_e32 v[134:135], v[74:75], v[110:111]
	v_mul_f64_e32 v[110:111], v[76:77], v[110:111]
	v_add_f64_e32 v[4:5], v[4:5], v[78:79]
	v_add_f64_e32 v[12:13], v[12:13], v[132:133]
	v_fmac_f64_e32 v[136:137], v[122:123], v[72:73]
	v_fma_f64 v[72:73], v[120:121], v[72:73], -v[138:139]
	s_wait_loadcnt 0x9
	v_mul_f64_e32 v[120:121], v[128:129], v[82:83]
	v_mul_f64_e32 v[82:83], v[130:131], v[82:83]
	v_fmac_f64_e32 v[134:135], v[76:77], v[108:109]
	v_fma_f64 v[108:109], v[74:75], v[108:109], -v[110:111]
	v_add_f64_e32 v[12:13], v[12:13], v[136:137]
	v_add_f64_e32 v[4:5], v[4:5], v[72:73]
	ds_load_b128 v[72:75], v2 offset:784
	ds_load_b128 v[76:79], v2 offset:800
	v_fmac_f64_e32 v[120:121], v[130:131], v[80:81]
	v_fma_f64 v[80:81], v[128:129], v[80:81], -v[82:83]
	s_wait_loadcnt_dscnt 0x801
	v_mul_f64_e32 v[110:111], v[72:73], v[86:87]
	v_mul_f64_e32 v[86:87], v[74:75], v[86:87]
	v_add_f64_e32 v[12:13], v[12:13], v[134:135]
	v_add_f64_e32 v[4:5], v[4:5], v[108:109]
	s_wait_loadcnt_dscnt 0x700
	v_mul_f64_e32 v[108:109], v[76:77], v[90:91]
	v_mul_f64_e32 v[90:91], v[78:79], v[90:91]
	v_fmac_f64_e32 v[110:111], v[74:75], v[84:85]
	v_fma_f64 v[84:85], v[72:73], v[84:85], -v[86:87]
	v_add_f64_e32 v[12:13], v[12:13], v[120:121]
	v_add_f64_e32 v[4:5], v[4:5], v[80:81]
	ds_load_b128 v[72:75], v2 offset:816
	ds_load_b128 v[80:83], v2 offset:832
	v_fmac_f64_e32 v[108:109], v[78:79], v[88:89]
	v_fma_f64 v[76:77], v[76:77], v[88:89], -v[90:91]
	s_wait_loadcnt_dscnt 0x601
	v_mul_f64_e32 v[86:87], v[72:73], v[94:95]
	v_mul_f64_e32 v[94:95], v[74:75], v[94:95]
	s_wait_loadcnt_dscnt 0x500
	v_mul_f64_e32 v[88:89], v[82:83], v[98:99]
	v_add_f64_e32 v[12:13], v[12:13], v[110:111]
	v_add_f64_e32 v[4:5], v[4:5], v[84:85]
	v_mul_f64_e32 v[84:85], v[80:81], v[98:99]
	v_fmac_f64_e32 v[86:87], v[74:75], v[92:93]
	v_fma_f64 v[90:91], v[72:73], v[92:93], -v[94:95]
	v_fma_f64 v[80:81], v[80:81], v[96:97], -v[88:89]
	v_add_f64_e32 v[12:13], v[12:13], v[108:109]
	v_add_f64_e32 v[4:5], v[4:5], v[76:77]
	ds_load_b128 v[72:75], v2 offset:848
	ds_load_b128 v[76:79], v2 offset:864
	v_fmac_f64_e32 v[84:85], v[82:83], v[96:97]
	s_wait_loadcnt_dscnt 0x401
	v_mul_f64_e32 v[92:93], v[72:73], v[102:103]
	v_mul_f64_e32 v[94:95], v[74:75], v[102:103]
	s_wait_loadcnt_dscnt 0x300
	v_mul_f64_e32 v[88:89], v[78:79], v[106:107]
	v_add_f64_e32 v[12:13], v[12:13], v[86:87]
	v_add_f64_e32 v[4:5], v[4:5], v[90:91]
	v_mul_f64_e32 v[86:87], v[76:77], v[106:107]
	v_fmac_f64_e32 v[92:93], v[74:75], v[100:101]
	v_fma_f64 v[90:91], v[72:73], v[100:101], -v[94:95]
	v_fma_f64 v[76:77], v[76:77], v[104:105], -v[88:89]
	v_add_f64_e32 v[12:13], v[12:13], v[84:85]
	v_add_f64_e32 v[4:5], v[4:5], v[80:81]
	ds_load_b128 v[72:75], v2 offset:880
	ds_load_b128 v[80:83], v2 offset:896
	v_fmac_f64_e32 v[86:87], v[78:79], v[104:105]
	s_wait_loadcnt_dscnt 0x201
	v_mul_f64_e32 v[84:85], v[72:73], v[114:115]
	v_mul_f64_e32 v[94:95], v[74:75], v[114:115]
	s_wait_loadcnt_dscnt 0x100
	v_mul_f64_e32 v[78:79], v[80:81], v[10:11]
	v_add_f64_e32 v[12:13], v[12:13], v[92:93]
	v_add_f64_e32 v[4:5], v[4:5], v[90:91]
	v_mul_f64_e32 v[88:89], v[82:83], v[10:11]
	v_fmac_f64_e32 v[84:85], v[74:75], v[112:113]
	v_fma_f64 v[72:73], v[72:73], v[112:113], -v[94:95]
	v_fmac_f64_e32 v[78:79], v[82:83], v[8:9]
	v_add_f64_e32 v[74:75], v[12:13], v[86:87]
	v_add_f64_e32 v[4:5], v[4:5], v[76:77]
	ds_load_b128 v[10:13], v2 offset:912
	v_fma_f64 v[8:9], v[80:81], v[8:9], -v[88:89]
	s_wait_loadcnt_dscnt 0x0
	v_mul_f64_e32 v[76:77], v[10:11], v[126:127]
	v_mul_f64_e32 v[86:87], v[12:13], v[126:127]
	v_add_f64_e32 v[4:5], v[4:5], v[72:73]
	v_add_f64_e32 v[72:73], v[74:75], v[84:85]
	s_delay_alu instid0(VALU_DEP_4) | instskip(NEXT) | instid1(VALU_DEP_4)
	v_fmac_f64_e32 v[76:77], v[12:13], v[124:125]
	v_fma_f64 v[10:11], v[10:11], v[124:125], -v[86:87]
	s_delay_alu instid0(VALU_DEP_4) | instskip(NEXT) | instid1(VALU_DEP_4)
	v_add_f64_e32 v[4:5], v[4:5], v[8:9]
	v_add_f64_e32 v[8:9], v[72:73], v[78:79]
	s_delay_alu instid0(VALU_DEP_2) | instskip(NEXT) | instid1(VALU_DEP_2)
	v_add_f64_e32 v[4:5], v[4:5], v[10:11]
	v_add_f64_e32 v[10:11], v[8:9], v[76:77]
	s_delay_alu instid0(VALU_DEP_2) | instskip(NEXT) | instid1(VALU_DEP_2)
	v_add_f64_e64 v[8:9], v[116:117], -v[4:5]
	v_add_f64_e64 v[10:11], v[118:119], -v[10:11]
	scratch_store_b128 off, v[8:11], off offset:48
	s_wait_xcnt 0x0
	v_cmpx_lt_u32_e32 2, v1
	s_cbranch_execz .LBB92_183
; %bb.182:
	scratch_load_b128 v[8:11], off, s16
	v_dual_mov_b32 v3, v2 :: v_dual_mov_b32 v4, v2
	v_mov_b32_e32 v5, v2
	scratch_store_b128 off, v[2:5], off offset:32
	s_wait_loadcnt 0x0
	ds_store_b128 v6, v[8:11]
.LBB92_183:
	s_wait_xcnt 0x0
	s_or_b32 exec_lo, exec_lo, s2
	s_wait_storecnt_dscnt 0x0
	s_barrier_signal -1
	s_barrier_wait -1
	s_clause 0x9
	scratch_load_b128 v[8:11], off, off offset:48
	scratch_load_b128 v[72:75], off, off offset:64
	scratch_load_b128 v[76:79], off, off offset:80
	scratch_load_b128 v[80:83], off, off offset:96
	scratch_load_b128 v[84:87], off, off offset:112
	scratch_load_b128 v[88:91], off, off offset:128
	scratch_load_b128 v[92:95], off, off offset:144
	scratch_load_b128 v[96:99], off, off offset:160
	scratch_load_b128 v[100:103], off, off offset:176
	scratch_load_b128 v[104:107], off, off offset:192
	ds_load_b128 v[108:111], v2 offset:512
	ds_load_b128 v[116:119], v2 offset:528
	s_clause 0x1
	scratch_load_b128 v[112:115], off, off offset:208
	scratch_load_b128 v[120:123], off, off offset:32
	s_mov_b32 s2, exec_lo
	v_ashrrev_i32_e32 v21, 31, v20
	v_ashrrev_i32_e32 v25, 31, v24
	;; [unrolled: 1-line block ×3, first 2 shown]
	v_dual_ashrrev_i32 v33, 31, v32 :: v_dual_ashrrev_i32 v19, 31, v18
	v_dual_ashrrev_i32 v23, 31, v22 :: v_dual_ashrrev_i32 v37, 31, v36
	;; [unrolled: 1-line block ×10, first 2 shown]
	v_ashrrev_i32_e32 v59, 31, v58
	v_ashrrev_i32_e32 v63, 31, v62
	;; [unrolled: 1-line block ×4, first 2 shown]
	s_wait_loadcnt_dscnt 0xb01
	v_mul_f64_e32 v[4:5], v[110:111], v[10:11]
	v_mul_f64_e32 v[132:133], v[108:109], v[10:11]
	scratch_load_b128 v[10:13], off, off offset:224
	s_wait_loadcnt_dscnt 0xb00
	v_mul_f64_e32 v[134:135], v[116:117], v[74:75]
	v_mul_f64_e32 v[74:75], v[118:119], v[74:75]
	v_fma_f64 v[4:5], v[108:109], v[8:9], -v[4:5]
	v_fmac_f64_e32 v[132:133], v[110:111], v[8:9]
	ds_load_b128 v[108:111], v2 offset:544
	ds_load_b128 v[124:127], v2 offset:560
	scratch_load_b128 v[128:131], off, off offset:240
	v_fmac_f64_e32 v[134:135], v[118:119], v[72:73]
	v_fma_f64 v[116:117], v[116:117], v[72:73], -v[74:75]
	scratch_load_b128 v[72:75], off, off offset:256
	s_wait_loadcnt_dscnt 0xc01
	v_mul_f64_e32 v[8:9], v[108:109], v[78:79]
	v_mul_f64_e32 v[78:79], v[110:111], v[78:79]
	v_add_f64_e32 v[4:5], 0, v[4:5]
	v_add_f64_e32 v[118:119], 0, v[132:133]
	s_wait_loadcnt_dscnt 0xb00
	v_mul_f64_e32 v[132:133], v[124:125], v[82:83]
	v_mul_f64_e32 v[82:83], v[126:127], v[82:83]
	v_fmac_f64_e32 v[8:9], v[110:111], v[76:77]
	v_fma_f64 v[136:137], v[108:109], v[76:77], -v[78:79]
	ds_load_b128 v[76:79], v2 offset:576
	ds_load_b128 v[108:111], v2 offset:592
	v_add_f64_e32 v[4:5], v[4:5], v[116:117]
	v_add_f64_e32 v[134:135], v[118:119], v[134:135]
	scratch_load_b128 v[116:119], off, off offset:272
	v_fmac_f64_e32 v[132:133], v[126:127], v[80:81]
	v_fma_f64 v[124:125], v[124:125], v[80:81], -v[82:83]
	scratch_load_b128 v[80:83], off, off offset:288
	s_wait_loadcnt_dscnt 0xc01
	v_mul_f64_e32 v[138:139], v[76:77], v[86:87]
	v_mul_f64_e32 v[86:87], v[78:79], v[86:87]
	v_add_f64_e32 v[4:5], v[4:5], v[136:137]
	v_add_f64_e32 v[8:9], v[134:135], v[8:9]
	s_wait_loadcnt_dscnt 0xb00
	v_mul_f64_e32 v[134:135], v[108:109], v[90:91]
	v_mul_f64_e32 v[90:91], v[110:111], v[90:91]
	v_fmac_f64_e32 v[138:139], v[78:79], v[84:85]
	v_fma_f64 v[136:137], v[76:77], v[84:85], -v[86:87]
	ds_load_b128 v[76:79], v2 offset:608
	ds_load_b128 v[84:87], v2 offset:624
	v_add_f64_e32 v[4:5], v[4:5], v[124:125]
	v_add_f64_e32 v[8:9], v[8:9], v[132:133]
	scratch_load_b128 v[124:127], off, off offset:304
	s_wait_loadcnt_dscnt 0xb01
	v_mul_f64_e32 v[132:133], v[76:77], v[94:95]
	v_mul_f64_e32 v[94:95], v[78:79], v[94:95]
	v_fmac_f64_e32 v[134:135], v[110:111], v[88:89]
	v_fma_f64 v[108:109], v[108:109], v[88:89], -v[90:91]
	scratch_load_b128 v[88:91], off, off offset:320
	v_add_f64_e32 v[4:5], v[4:5], v[136:137]
	v_add_f64_e32 v[8:9], v[8:9], v[138:139]
	s_wait_loadcnt_dscnt 0xb00
	v_mul_f64_e32 v[136:137], v[84:85], v[98:99]
	v_mul_f64_e32 v[98:99], v[86:87], v[98:99]
	v_fmac_f64_e32 v[132:133], v[78:79], v[92:93]
	v_fma_f64 v[138:139], v[76:77], v[92:93], -v[94:95]
	ds_load_b128 v[76:79], v2 offset:640
	ds_load_b128 v[92:95], v2 offset:656
	v_add_f64_e32 v[4:5], v[4:5], v[108:109]
	v_add_f64_e32 v[8:9], v[8:9], v[134:135]
	scratch_load_b128 v[108:111], off, off offset:336
	s_wait_loadcnt_dscnt 0xb01
	v_mul_f64_e32 v[134:135], v[76:77], v[102:103]
	v_mul_f64_e32 v[102:103], v[78:79], v[102:103]
	v_fmac_f64_e32 v[136:137], v[86:87], v[96:97]
	v_fma_f64 v[96:97], v[84:85], v[96:97], -v[98:99]
	scratch_load_b128 v[84:87], off, off offset:352
	v_add_f64_e32 v[4:5], v[4:5], v[138:139]
	v_add_f64_e32 v[8:9], v[8:9], v[132:133]
	s_wait_loadcnt_dscnt 0xb00
	v_mul_f64_e32 v[132:133], v[92:93], v[106:107]
	v_mul_f64_e32 v[106:107], v[94:95], v[106:107]
	v_fmac_f64_e32 v[134:135], v[78:79], v[100:101]
	v_fma_f64 v[138:139], v[76:77], v[100:101], -v[102:103]
	v_add_f64_e32 v[4:5], v[4:5], v[96:97]
	v_add_f64_e32 v[8:9], v[8:9], v[136:137]
	ds_load_b128 v[76:79], v2 offset:672
	ds_load_b128 v[96:99], v2 offset:688
	scratch_load_b128 v[100:103], off, off offset:368
	v_fmac_f64_e32 v[132:133], v[94:95], v[104:105]
	v_fma_f64 v[104:105], v[92:93], v[104:105], -v[106:107]
	scratch_load_b128 v[92:95], off, off offset:384
	s_wait_loadcnt_dscnt 0xc01
	v_mul_f64_e32 v[136:137], v[76:77], v[114:115]
	v_mul_f64_e32 v[114:115], v[78:79], v[114:115]
	v_add_f64_e32 v[4:5], v[4:5], v[138:139]
	v_add_f64_e32 v[8:9], v[8:9], v[134:135]
	s_wait_loadcnt_dscnt 0xa00
	v_mul_f64_e32 v[134:135], v[96:97], v[12:13]
	v_mul_f64_e32 v[12:13], v[98:99], v[12:13]
	v_fmac_f64_e32 v[136:137], v[78:79], v[112:113]
	v_fma_f64 v[138:139], v[76:77], v[112:113], -v[114:115]
	v_add_f64_e32 v[4:5], v[4:5], v[104:105]
	v_add_f64_e32 v[8:9], v[8:9], v[132:133]
	ds_load_b128 v[76:79], v2 offset:704
	ds_load_b128 v[104:107], v2 offset:720
	scratch_load_b128 v[112:115], off, off offset:400
	v_fmac_f64_e32 v[134:135], v[98:99], v[10:11]
	v_fma_f64 v[12:13], v[96:97], v[10:11], -v[12:13]
	s_wait_loadcnt_dscnt 0xa01
	v_mul_f64_e32 v[132:133], v[76:77], v[130:131]
	v_mul_f64_e32 v[130:131], v[78:79], v[130:131]
	v_add_f64_e32 v[4:5], v[4:5], v[138:139]
	v_add_f64_e32 v[96:97], v[8:9], v[136:137]
	scratch_load_b128 v[8:11], off, off offset:416
	s_wait_loadcnt_dscnt 0xa00
	v_mul_f64_e32 v[136:137], v[104:105], v[74:75]
	v_mul_f64_e32 v[138:139], v[106:107], v[74:75]
	v_fmac_f64_e32 v[132:133], v[78:79], v[128:129]
	v_fma_f64 v[78:79], v[76:77], v[128:129], -v[130:131]
	v_add_f64_e32 v[4:5], v[4:5], v[12:13]
	v_add_f64_e32 v[12:13], v[96:97], v[134:135]
	ds_load_b128 v[74:77], v2 offset:736
	ds_load_b128 v[96:99], v2 offset:752
	scratch_load_b128 v[128:131], off, off offset:432
	v_fmac_f64_e32 v[136:137], v[106:107], v[72:73]
	v_fma_f64 v[72:73], v[104:105], v[72:73], -v[138:139]
	scratch_load_b128 v[104:107], off, off offset:448
	s_wait_loadcnt_dscnt 0xb01
	v_mul_f64_e32 v[134:135], v[74:75], v[118:119]
	v_mul_f64_e32 v[118:119], v[76:77], v[118:119]
	v_add_f64_e32 v[4:5], v[4:5], v[78:79]
	v_add_f64_e32 v[12:13], v[12:13], v[132:133]
	s_wait_loadcnt_dscnt 0xa00
	v_mul_f64_e32 v[132:133], v[96:97], v[82:83]
	v_mul_f64_e32 v[82:83], v[98:99], v[82:83]
	v_fmac_f64_e32 v[134:135], v[76:77], v[116:117]
	v_fma_f64 v[116:117], v[74:75], v[116:117], -v[118:119]
	v_add_f64_e32 v[4:5], v[4:5], v[72:73]
	v_add_f64_e32 v[12:13], v[12:13], v[136:137]
	ds_load_b128 v[72:75], v2 offset:768
	ds_load_b128 v[76:79], v2 offset:784
	v_fmac_f64_e32 v[132:133], v[98:99], v[80:81]
	v_fma_f64 v[80:81], v[96:97], v[80:81], -v[82:83]
	s_wait_loadcnt_dscnt 0x901
	v_mul_f64_e32 v[118:119], v[72:73], v[126:127]
	v_mul_f64_e32 v[126:127], v[74:75], v[126:127]
	s_wait_loadcnt_dscnt 0x800
	v_mul_f64_e32 v[96:97], v[76:77], v[90:91]
	v_mul_f64_e32 v[90:91], v[78:79], v[90:91]
	v_add_f64_e32 v[4:5], v[4:5], v[116:117]
	v_add_f64_e32 v[12:13], v[12:13], v[134:135]
	v_fmac_f64_e32 v[118:119], v[74:75], v[124:125]
	v_fma_f64 v[98:99], v[72:73], v[124:125], -v[126:127]
	v_fmac_f64_e32 v[96:97], v[78:79], v[88:89]
	v_fma_f64 v[76:77], v[76:77], v[88:89], -v[90:91]
	v_add_f64_e32 v[4:5], v[4:5], v[80:81]
	v_add_f64_e32 v[12:13], v[12:13], v[132:133]
	ds_load_b128 v[72:75], v2 offset:800
	ds_load_b128 v[80:83], v2 offset:816
	s_wait_loadcnt_dscnt 0x701
	v_mul_f64_e32 v[116:117], v[72:73], v[110:111]
	v_mul_f64_e32 v[110:111], v[74:75], v[110:111]
	s_wait_loadcnt_dscnt 0x600
	v_mul_f64_e32 v[88:89], v[80:81], v[86:87]
	v_mul_f64_e32 v[86:87], v[82:83], v[86:87]
	v_add_f64_e32 v[4:5], v[4:5], v[98:99]
	v_add_f64_e32 v[12:13], v[12:13], v[118:119]
	v_fmac_f64_e32 v[116:117], v[74:75], v[108:109]
	v_fma_f64 v[90:91], v[72:73], v[108:109], -v[110:111]
	v_fmac_f64_e32 v[88:89], v[82:83], v[84:85]
	v_fma_f64 v[80:81], v[80:81], v[84:85], -v[86:87]
	v_add_f64_e32 v[4:5], v[4:5], v[76:77]
	v_add_f64_e32 v[12:13], v[12:13], v[96:97]
	ds_load_b128 v[72:75], v2 offset:832
	ds_load_b128 v[76:79], v2 offset:848
	;; [unrolled: 16-line block ×3, first 2 shown]
	s_wait_loadcnt_dscnt 0x301
	v_mul_f64_e32 v[88:89], v[72:73], v[114:115]
	v_mul_f64_e32 v[94:95], v[74:75], v[114:115]
	v_add_f64_e32 v[4:5], v[4:5], v[90:91]
	v_add_f64_e32 v[12:13], v[12:13], v[96:97]
	s_wait_loadcnt_dscnt 0x200
	v_mul_f64_e32 v[78:79], v[80:81], v[10:11]
	v_mul_f64_e32 v[86:87], v[82:83], v[10:11]
	v_fmac_f64_e32 v[88:89], v[74:75], v[112:113]
	v_fma_f64 v[72:73], v[72:73], v[112:113], -v[94:95]
	v_add_f64_e32 v[74:75], v[4:5], v[76:77]
	v_add_f64_e32 v[76:77], v[12:13], v[84:85]
	ds_load_b128 v[10:13], v2 offset:896
	ds_load_b128 v[2:5], v2 offset:912
	v_fmac_f64_e32 v[78:79], v[82:83], v[8:9]
	v_fma_f64 v[8:9], v[80:81], v[8:9], -v[86:87]
	s_wait_loadcnt_dscnt 0x101
	v_mul_f64_e32 v[84:85], v[10:11], v[130:131]
	v_mul_f64_e32 v[90:91], v[12:13], v[130:131]
	s_wait_loadcnt_dscnt 0x0
	v_mul_f64_e32 v[80:81], v[4:5], v[106:107]
	v_add_f64_e32 v[72:73], v[74:75], v[72:73]
	v_add_f64_e32 v[74:75], v[76:77], v[88:89]
	v_mul_f64_e32 v[76:77], v[2:3], v[106:107]
	v_fmac_f64_e32 v[84:85], v[12:13], v[128:129]
	v_fma_f64 v[10:11], v[10:11], v[128:129], -v[90:91]
	v_fma_f64 v[2:3], v[2:3], v[104:105], -v[80:81]
	v_add_f64_e32 v[8:9], v[72:73], v[8:9]
	v_add_f64_e32 v[12:13], v[74:75], v[78:79]
	v_fmac_f64_e32 v[76:77], v[4:5], v[104:105]
	s_delay_alu instid0(VALU_DEP_3) | instskip(NEXT) | instid1(VALU_DEP_3)
	v_add_f64_e32 v[4:5], v[8:9], v[10:11]
	v_add_f64_e32 v[8:9], v[12:13], v[84:85]
	s_delay_alu instid0(VALU_DEP_2) | instskip(NEXT) | instid1(VALU_DEP_2)
	v_add_f64_e32 v[2:3], v[4:5], v[2:3]
	v_add_f64_e32 v[4:5], v[8:9], v[76:77]
	s_delay_alu instid0(VALU_DEP_2) | instskip(NEXT) | instid1(VALU_DEP_2)
	v_add_f64_e64 v[2:3], v[120:121], -v[2:3]
	v_add_f64_e64 v[4:5], v[122:123], -v[4:5]
	scratch_store_b128 off, v[2:5], off offset:32
	s_wait_xcnt 0x0
	v_cmpx_lt_u32_e32 1, v1
	s_cbranch_execz .LBB92_185
; %bb.184:
	scratch_load_b128 v[2:5], off, s18
	v_mov_b32_e32 v8, 0
	s_delay_alu instid0(VALU_DEP_1)
	v_dual_mov_b32 v9, v8 :: v_dual_mov_b32 v10, v8
	v_mov_b32_e32 v11, v8
	scratch_store_b128 off, v[8:11], off offset:16
	s_wait_loadcnt 0x0
	ds_store_b128 v6, v[2:5]
.LBB92_185:
	s_wait_xcnt 0x0
	s_or_b32 exec_lo, exec_lo, s2
	s_wait_storecnt_dscnt 0x0
	s_barrier_signal -1
	s_barrier_wait -1
	s_clause 0x9
	scratch_load_b128 v[8:11], off, off offset:32
	scratch_load_b128 v[72:75], off, off offset:48
	;; [unrolled: 1-line block ×10, first 2 shown]
	v_mov_b32_e32 v2, 0
	s_clause 0x2
	scratch_load_b128 v[112:115], off, off offset:192
	scratch_load_b128 v[116:119], off, off offset:208
	;; [unrolled: 1-line block ×3, first 2 shown]
	s_mov_b32 s2, exec_lo
	ds_load_b128 v[108:111], v2 offset:496
	s_wait_loadcnt_dscnt 0xc00
	v_mul_f64_e32 v[4:5], v[110:111], v[10:11]
	v_mul_f64_e32 v[124:125], v[108:109], v[10:11]
	ds_load_b128 v[10:13], v2 offset:512
	v_fma_f64 v[4:5], v[108:109], v[8:9], -v[4:5]
	v_fmac_f64_e32 v[124:125], v[110:111], v[8:9]
	ds_load_b128 v[108:111], v2 offset:528
	s_wait_loadcnt_dscnt 0xb01
	v_mul_f64_e32 v[126:127], v[10:11], v[74:75]
	v_mul_f64_e32 v[74:75], v[12:13], v[74:75]
	s_wait_loadcnt_dscnt 0xa00
	v_mul_f64_e32 v[128:129], v[108:109], v[78:79]
	v_mul_f64_e32 v[78:79], v[110:111], v[78:79]
	v_add_f64_e32 v[4:5], 0, v[4:5]
	v_add_f64_e32 v[124:125], 0, v[124:125]
	v_fmac_f64_e32 v[126:127], v[12:13], v[72:73]
	v_fma_f64 v[12:13], v[10:11], v[72:73], -v[74:75]
	ds_load_b128 v[8:11], v2 offset:544
	scratch_load_b128 v[72:75], off, off offset:240
	v_fmac_f64_e32 v[128:129], v[110:111], v[76:77]
	v_fma_f64 v[132:133], v[108:109], v[76:77], -v[78:79]
	ds_load_b128 v[76:79], v2 offset:560
	s_wait_loadcnt_dscnt 0xa01
	v_mul_f64_e32 v[130:131], v[8:9], v[82:83]
	v_mul_f64_e32 v[82:83], v[10:11], v[82:83]
	scratch_load_b128 v[108:111], off, off offset:256
	v_add_f64_e32 v[4:5], v[4:5], v[12:13]
	v_add_f64_e32 v[12:13], v[124:125], v[126:127]
	s_wait_loadcnt_dscnt 0xa00
	v_mul_f64_e32 v[124:125], v[76:77], v[86:87]
	v_mul_f64_e32 v[86:87], v[78:79], v[86:87]
	v_fmac_f64_e32 v[130:131], v[10:11], v[80:81]
	v_fma_f64 v[126:127], v[8:9], v[80:81], -v[82:83]
	ds_load_b128 v[8:11], v2 offset:576
	scratch_load_b128 v[80:83], off, off offset:272
	v_add_f64_e32 v[4:5], v[4:5], v[132:133]
	v_add_f64_e32 v[12:13], v[12:13], v[128:129]
	v_fmac_f64_e32 v[124:125], v[78:79], v[84:85]
	v_fma_f64 v[132:133], v[76:77], v[84:85], -v[86:87]
	ds_load_b128 v[76:79], v2 offset:592
	s_wait_loadcnt_dscnt 0xa01
	v_mul_f64_e32 v[128:129], v[8:9], v[90:91]
	v_mul_f64_e32 v[90:91], v[10:11], v[90:91]
	scratch_load_b128 v[84:87], off, off offset:288
	v_add_f64_e32 v[4:5], v[4:5], v[126:127]
	v_add_f64_e32 v[12:13], v[12:13], v[130:131]
	s_wait_loadcnt_dscnt 0xa00
	v_mul_f64_e32 v[126:127], v[76:77], v[94:95]
	v_mul_f64_e32 v[94:95], v[78:79], v[94:95]
	v_fmac_f64_e32 v[128:129], v[10:11], v[88:89]
	v_fma_f64 v[130:131], v[8:9], v[88:89], -v[90:91]
	scratch_load_b128 v[88:91], off, off offset:304
	ds_load_b128 v[8:11], v2 offset:608
	v_add_f64_e32 v[4:5], v[4:5], v[132:133]
	v_add_f64_e32 v[12:13], v[12:13], v[124:125]
	v_fmac_f64_e32 v[126:127], v[78:79], v[92:93]
	v_fma_f64 v[132:133], v[76:77], v[92:93], -v[94:95]
	ds_load_b128 v[76:79], v2 offset:624
	s_wait_loadcnt_dscnt 0xa01
	v_mul_f64_e32 v[124:125], v[8:9], v[98:99]
	v_mul_f64_e32 v[98:99], v[10:11], v[98:99]
	scratch_load_b128 v[92:95], off, off offset:320
	v_add_f64_e32 v[4:5], v[4:5], v[130:131]
	v_add_f64_e32 v[12:13], v[12:13], v[128:129]
	s_wait_loadcnt_dscnt 0xa00
	v_mul_f64_e32 v[128:129], v[76:77], v[102:103]
	v_mul_f64_e32 v[102:103], v[78:79], v[102:103]
	v_fmac_f64_e32 v[124:125], v[10:11], v[96:97]
	v_fma_f64 v[130:131], v[8:9], v[96:97], -v[98:99]
	ds_load_b128 v[8:11], v2 offset:640
	scratch_load_b128 v[96:99], off, off offset:336
	v_add_f64_e32 v[4:5], v[4:5], v[132:133]
	v_add_f64_e32 v[12:13], v[12:13], v[126:127]
	v_fmac_f64_e32 v[128:129], v[78:79], v[100:101]
	v_fma_f64 v[132:133], v[76:77], v[100:101], -v[102:103]
	ds_load_b128 v[76:79], v2 offset:656
	s_wait_loadcnt_dscnt 0xa01
	v_mul_f64_e32 v[126:127], v[8:9], v[106:107]
	v_mul_f64_e32 v[106:107], v[10:11], v[106:107]
	scratch_load_b128 v[100:103], off, off offset:352
	v_add_f64_e32 v[4:5], v[4:5], v[130:131]
	v_add_f64_e32 v[12:13], v[12:13], v[124:125]
	s_wait_loadcnt_dscnt 0xa00
	v_mul_f64_e32 v[124:125], v[76:77], v[114:115]
	v_mul_f64_e32 v[114:115], v[78:79], v[114:115]
	v_fmac_f64_e32 v[126:127], v[10:11], v[104:105]
	v_fma_f64 v[130:131], v[8:9], v[104:105], -v[106:107]
	ds_load_b128 v[8:11], v2 offset:672
	scratch_load_b128 v[104:107], off, off offset:368
	;; [unrolled: 18-line block ×3, first 2 shown]
	v_add_f64_e32 v[4:5], v[4:5], v[132:133]
	v_add_f64_e32 v[12:13], v[12:13], v[124:125]
	s_wait_loadcnt_dscnt 0xa00
	v_mul_f64_e32 v[132:133], v[8:9], v[74:75]
	v_mul_f64_e32 v[124:125], v[10:11], v[74:75]
	v_fmac_f64_e32 v[126:127], v[78:79], v[120:121]
	v_fma_f64 v[78:79], v[76:77], v[120:121], -v[122:123]
	ds_load_b128 v[74:77], v2 offset:720
	scratch_load_b128 v[120:123], off, off offset:416
	v_add_f64_e32 v[4:5], v[4:5], v[130:131]
	v_add_f64_e32 v[12:13], v[12:13], v[128:129]
	v_fmac_f64_e32 v[132:133], v[10:11], v[72:73]
	v_fma_f64 v[72:73], v[8:9], v[72:73], -v[124:125]
	ds_load_b128 v[8:11], v2 offset:736
	s_wait_loadcnt_dscnt 0xa01
	v_mul_f64_e32 v[128:129], v[74:75], v[110:111]
	v_mul_f64_e32 v[110:111], v[76:77], v[110:111]
	s_wait_loadcnt_dscnt 0x900
	v_mul_f64_e32 v[130:131], v[8:9], v[82:83]
	v_mul_f64_e32 v[82:83], v[10:11], v[82:83]
	v_add_f64_e32 v[4:5], v[4:5], v[78:79]
	v_add_f64_e32 v[12:13], v[12:13], v[126:127]
	scratch_load_b128 v[124:127], off, off offset:432
	v_fmac_f64_e32 v[128:129], v[76:77], v[108:109]
	v_fma_f64 v[108:109], v[74:75], v[108:109], -v[110:111]
	scratch_load_b128 v[76:79], off, off offset:448
	v_fmac_f64_e32 v[130:131], v[10:11], v[80:81]
	v_fma_f64 v[80:81], v[8:9], v[80:81], -v[82:83]
	ds_load_b128 v[8:11], v2 offset:768
	v_add_f64_e32 v[4:5], v[4:5], v[72:73]
	ds_load_b128 v[72:75], v2 offset:752
	v_add_f64_e32 v[12:13], v[12:13], v[132:133]
	s_wait_loadcnt_dscnt 0x901
	v_mul_f64_e32 v[82:83], v[10:11], v[90:91]
	v_add_f64_e32 v[4:5], v[4:5], v[108:109]
	v_mul_f64_e32 v[108:109], v[8:9], v[90:91]
	s_delay_alu instid0(VALU_DEP_4) | instskip(NEXT) | instid1(VALU_DEP_3)
	v_add_f64_e32 v[12:13], v[12:13], v[128:129]
	v_add_f64_e32 v[4:5], v[4:5], v[80:81]
	s_delay_alu instid0(VALU_DEP_3)
	v_fmac_f64_e32 v[108:109], v[10:11], v[88:89]
	v_fma_f64 v[88:89], v[8:9], v[88:89], -v[82:83]
	scratch_load_b128 v[80:83], off, off offset:16
	s_wait_dscnt 0x0
	v_mul_f64_e32 v[110:111], v[72:73], v[86:87]
	v_mul_f64_e32 v[86:87], v[74:75], v[86:87]
	v_add_f64_e32 v[12:13], v[12:13], v[130:131]
	ds_load_b128 v[8:11], v2 offset:800
	v_fmac_f64_e32 v[110:111], v[74:75], v[84:85]
	v_fma_f64 v[84:85], v[72:73], v[84:85], -v[86:87]
	ds_load_b128 v[72:75], v2 offset:784
	s_wait_loadcnt_dscnt 0x900
	v_mul_f64_e32 v[86:87], v[72:73], v[94:95]
	v_mul_f64_e32 v[90:91], v[74:75], v[94:95]
	s_wait_loadcnt 0x8
	v_mul_f64_e32 v[94:95], v[10:11], v[98:99]
	v_add_f64_e32 v[12:13], v[12:13], v[110:111]
	v_add_f64_e32 v[4:5], v[4:5], v[84:85]
	v_mul_f64_e32 v[84:85], v[8:9], v[98:99]
	v_fmac_f64_e32 v[86:87], v[74:75], v[92:93]
	v_fma_f64 v[90:91], v[72:73], v[92:93], -v[90:91]
	ds_load_b128 v[72:75], v2 offset:816
	v_fma_f64 v[94:95], v[8:9], v[96:97], -v[94:95]
	v_add_f64_e32 v[12:13], v[12:13], v[108:109]
	v_add_f64_e32 v[4:5], v[4:5], v[88:89]
	v_fmac_f64_e32 v[84:85], v[10:11], v[96:97]
	ds_load_b128 v[8:11], v2 offset:832
	s_wait_loadcnt_dscnt 0x701
	v_mul_f64_e32 v[88:89], v[72:73], v[102:103]
	v_mul_f64_e32 v[92:93], v[74:75], v[102:103]
	v_add_f64_e32 v[12:13], v[12:13], v[86:87]
	v_add_f64_e32 v[4:5], v[4:5], v[90:91]
	s_wait_loadcnt_dscnt 0x600
	v_mul_f64_e32 v[86:87], v[8:9], v[106:107]
	v_mul_f64_e32 v[90:91], v[10:11], v[106:107]
	v_fmac_f64_e32 v[88:89], v[74:75], v[100:101]
	v_fma_f64 v[92:93], v[72:73], v[100:101], -v[92:93]
	ds_load_b128 v[72:75], v2 offset:848
	v_add_f64_e32 v[12:13], v[12:13], v[84:85]
	v_add_f64_e32 v[4:5], v[4:5], v[94:95]
	v_fmac_f64_e32 v[86:87], v[10:11], v[104:105]
	v_fma_f64 v[90:91], v[8:9], v[104:105], -v[90:91]
	ds_load_b128 v[8:11], v2 offset:864
	s_wait_loadcnt_dscnt 0x501
	v_mul_f64_e32 v[84:85], v[72:73], v[114:115]
	v_mul_f64_e32 v[94:95], v[74:75], v[114:115]
	v_add_f64_e32 v[12:13], v[12:13], v[88:89]
	v_add_f64_e32 v[4:5], v[4:5], v[92:93]
	s_wait_loadcnt_dscnt 0x400
	v_mul_f64_e32 v[88:89], v[8:9], v[118:119]
	v_mul_f64_e32 v[92:93], v[10:11], v[118:119]
	v_fmac_f64_e32 v[84:85], v[74:75], v[112:113]
	v_fma_f64 v[94:95], v[72:73], v[112:113], -v[94:95]
	ds_load_b128 v[72:75], v2 offset:880
	v_add_f64_e32 v[12:13], v[12:13], v[86:87]
	v_add_f64_e32 v[4:5], v[4:5], v[90:91]
	v_fmac_f64_e32 v[88:89], v[10:11], v[116:117]
	v_fma_f64 v[92:93], v[8:9], v[116:117], -v[92:93]
	ds_load_b128 v[8:11], v2 offset:896
	s_wait_loadcnt_dscnt 0x301
	v_mul_f64_e32 v[86:87], v[72:73], v[122:123]
	v_mul_f64_e32 v[90:91], v[74:75], v[122:123]
	v_add_f64_e32 v[12:13], v[12:13], v[84:85]
	v_add_f64_e32 v[4:5], v[4:5], v[94:95]
	s_wait_loadcnt_dscnt 0x200
	v_mul_f64_e32 v[84:85], v[8:9], v[126:127]
	v_mul_f64_e32 v[94:95], v[10:11], v[126:127]
	v_fmac_f64_e32 v[86:87], v[74:75], v[120:121]
	v_fma_f64 v[90:91], v[72:73], v[120:121], -v[90:91]
	ds_load_b128 v[72:75], v2 offset:912
	v_add_f64_e32 v[12:13], v[12:13], v[88:89]
	v_add_f64_e32 v[4:5], v[4:5], v[92:93]
	s_wait_loadcnt_dscnt 0x100
	v_mul_f64_e32 v[88:89], v[72:73], v[78:79]
	v_mul_f64_e32 v[78:79], v[74:75], v[78:79]
	v_fmac_f64_e32 v[84:85], v[10:11], v[124:125]
	v_fma_f64 v[8:9], v[8:9], v[124:125], -v[94:95]
	v_add_f64_e32 v[10:11], v[12:13], v[86:87]
	v_add_f64_e32 v[4:5], v[4:5], v[90:91]
	v_fmac_f64_e32 v[88:89], v[74:75], v[76:77]
	v_fma_f64 v[12:13], v[72:73], v[76:77], -v[78:79]
	s_delay_alu instid0(VALU_DEP_3) | instskip(SKIP_1) | instid1(VALU_DEP_2)
	v_add_f64_e32 v[4:5], v[4:5], v[8:9]
	v_add_f64_e32 v[8:9], v[10:11], v[84:85]
	;; [unrolled: 1-line block ×3, first 2 shown]
	s_delay_alu instid0(VALU_DEP_2) | instskip(SKIP_1) | instid1(VALU_DEP_2)
	v_add_f64_e32 v[10:11], v[8:9], v[88:89]
	s_wait_loadcnt 0x0
	v_add_f64_e64 v[8:9], v[80:81], -v[4:5]
	s_delay_alu instid0(VALU_DEP_2)
	v_add_f64_e64 v[10:11], v[82:83], -v[10:11]
	scratch_store_b128 off, v[8:11], off offset:16
	s_wait_xcnt 0x0
	v_cmpx_ne_u32_e32 0, v1
	s_cbranch_execz .LBB92_187
; %bb.186:
	scratch_load_b128 v[8:11], off, off
	v_dual_mov_b32 v3, v2 :: v_dual_mov_b32 v4, v2
	v_mov_b32_e32 v5, v2
	scratch_store_b128 off, v[2:5], off
	s_wait_loadcnt 0x0
	ds_store_b128 v6, v[8:11]
.LBB92_187:
	s_wait_xcnt 0x0
	s_or_b32 exec_lo, exec_lo, s2
	s_wait_storecnt_dscnt 0x0
	s_barrier_signal -1
	s_barrier_wait -1
	s_clause 0x9
	scratch_load_b128 v[4:7], off, off offset:16
	scratch_load_b128 v[8:11], off, off offset:32
	;; [unrolled: 1-line block ×10, first 2 shown]
	ds_load_b128 v[104:107], v2 offset:480
	ds_load_b128 v[112:115], v2 offset:496
	s_clause 0x2
	scratch_load_b128 v[108:111], off, off offset:176
	scratch_load_b128 v[116:119], off, off
	scratch_load_b128 v[120:123], off, off offset:192
	v_lshl_add_u64 v[38:39], v[38:39], 4, s[4:5]
	s_and_b32 vcc_lo, exec_lo, s41
	s_wait_loadcnt_dscnt 0xc01
	v_mul_f64_e32 v[12:13], v[106:107], v[6:7]
	v_mul_f64_e32 v[124:125], v[104:105], v[6:7]
	s_wait_loadcnt_dscnt 0xb00
	v_mul_f64_e32 v[126:127], v[112:113], v[10:11]
	v_mul_f64_e32 v[128:129], v[114:115], v[10:11]
	s_delay_alu instid0(VALU_DEP_4) | instskip(NEXT) | instid1(VALU_DEP_4)
	v_fma_f64 v[130:131], v[104:105], v[4:5], -v[12:13]
	v_fmac_f64_e32 v[124:125], v[106:107], v[4:5]
	ds_load_b128 v[4:7], v2 offset:512
	ds_load_b128 v[10:13], v2 offset:528
	scratch_load_b128 v[104:107], off, off offset:208
	v_fmac_f64_e32 v[126:127], v[114:115], v[8:9]
	v_fma_f64 v[8:9], v[112:113], v[8:9], -v[128:129]
	scratch_load_b128 v[112:115], off, off offset:224
	s_wait_loadcnt_dscnt 0xc01
	v_mul_f64_e32 v[132:133], v[4:5], v[74:75]
	v_mul_f64_e32 v[74:75], v[6:7], v[74:75]
	v_add_f64_e32 v[128:129], 0, v[130:131]
	v_add_f64_e32 v[124:125], 0, v[124:125]
	s_wait_loadcnt_dscnt 0xb00
	v_mul_f64_e32 v[130:131], v[10:11], v[78:79]
	v_mul_f64_e32 v[78:79], v[12:13], v[78:79]
	v_fmac_f64_e32 v[132:133], v[6:7], v[72:73]
	v_fma_f64 v[134:135], v[4:5], v[72:73], -v[74:75]
	ds_load_b128 v[4:7], v2 offset:544
	ds_load_b128 v[72:75], v2 offset:560
	v_add_f64_e32 v[8:9], v[128:129], v[8:9]
	v_add_f64_e32 v[128:129], v[124:125], v[126:127]
	scratch_load_b128 v[124:127], off, off offset:240
	v_fmac_f64_e32 v[130:131], v[12:13], v[76:77]
	v_fma_f64 v[12:13], v[10:11], v[76:77], -v[78:79]
	s_wait_loadcnt_dscnt 0xb01
	v_mul_f64_e32 v[136:137], v[4:5], v[82:83]
	v_mul_f64_e32 v[82:83], v[6:7], v[82:83]
	v_add_f64_e32 v[76:77], v[8:9], v[134:135]
	v_add_f64_e32 v[78:79], v[128:129], v[132:133]
	scratch_load_b128 v[8:11], off, off offset:256
	s_wait_loadcnt_dscnt 0xb00
	v_mul_f64_e32 v[128:129], v[72:73], v[86:87]
	v_mul_f64_e32 v[86:87], v[74:75], v[86:87]
	v_fmac_f64_e32 v[136:137], v[6:7], v[80:81]
	v_fma_f64 v[132:133], v[4:5], v[80:81], -v[82:83]
	v_add_f64_e32 v[12:13], v[76:77], v[12:13]
	v_add_f64_e32 v[130:131], v[78:79], v[130:131]
	ds_load_b128 v[4:7], v2 offset:576
	ds_load_b128 v[76:79], v2 offset:592
	scratch_load_b128 v[80:83], off, off offset:272
	v_fmac_f64_e32 v[128:129], v[74:75], v[84:85]
	v_fma_f64 v[84:85], v[72:73], v[84:85], -v[86:87]
	scratch_load_b128 v[72:75], off, off offset:288
	s_wait_loadcnt_dscnt 0xc01
	v_mul_f64_e32 v[134:135], v[4:5], v[90:91]
	v_mul_f64_e32 v[90:91], v[6:7], v[90:91]
	v_add_f64_e32 v[12:13], v[12:13], v[132:133]
	v_add_f64_e32 v[86:87], v[130:131], v[136:137]
	s_wait_loadcnt_dscnt 0xb00
	v_mul_f64_e32 v[130:131], v[76:77], v[94:95]
	v_mul_f64_e32 v[94:95], v[78:79], v[94:95]
	v_fmac_f64_e32 v[134:135], v[6:7], v[88:89]
	v_fma_f64 v[132:133], v[4:5], v[88:89], -v[90:91]
	v_add_f64_e32 v[12:13], v[12:13], v[84:85]
	v_add_f64_e32 v[128:129], v[86:87], v[128:129]
	ds_load_b128 v[4:7], v2 offset:608
	ds_load_b128 v[84:87], v2 offset:624
	scratch_load_b128 v[88:91], off, off offset:304
	v_fmac_f64_e32 v[130:131], v[78:79], v[92:93]
	v_fma_f64 v[92:93], v[76:77], v[92:93], -v[94:95]
	scratch_load_b128 v[76:79], off, off offset:320
	s_wait_loadcnt_dscnt 0xc01
	v_mul_f64_e32 v[136:137], v[4:5], v[98:99]
	v_mul_f64_e32 v[98:99], v[6:7], v[98:99]
	v_add_f64_e32 v[12:13], v[12:13], v[132:133]
	v_add_f64_e32 v[94:95], v[128:129], v[134:135]
	s_wait_loadcnt_dscnt 0xb00
	v_mul_f64_e32 v[128:129], v[84:85], v[102:103]
	v_mul_f64_e32 v[102:103], v[86:87], v[102:103]
	v_fmac_f64_e32 v[136:137], v[6:7], v[96:97]
	v_fma_f64 v[132:133], v[4:5], v[96:97], -v[98:99]
	v_add_f64_e32 v[12:13], v[12:13], v[92:93]
	v_add_f64_e32 v[130:131], v[94:95], v[130:131]
	ds_load_b128 v[4:7], v2 offset:640
	ds_load_b128 v[92:95], v2 offset:656
	scratch_load_b128 v[96:99], off, off offset:336
	v_fmac_f64_e32 v[128:129], v[86:87], v[100:101]
	v_fma_f64 v[100:101], v[84:85], v[100:101], -v[102:103]
	scratch_load_b128 v[84:87], off, off offset:352
	s_wait_loadcnt_dscnt 0xc01
	v_mul_f64_e32 v[134:135], v[4:5], v[110:111]
	v_mul_f64_e32 v[110:111], v[6:7], v[110:111]
	v_add_f64_e32 v[12:13], v[12:13], v[132:133]
	v_add_f64_e32 v[102:103], v[130:131], v[136:137]
	s_wait_loadcnt_dscnt 0xa00
	v_mul_f64_e32 v[130:131], v[92:93], v[122:123]
	v_mul_f64_e32 v[122:123], v[94:95], v[122:123]
	v_fmac_f64_e32 v[134:135], v[6:7], v[108:109]
	v_fma_f64 v[132:133], v[4:5], v[108:109], -v[110:111]
	v_add_f64_e32 v[12:13], v[12:13], v[100:101]
	v_add_f64_e32 v[128:129], v[102:103], v[128:129]
	ds_load_b128 v[4:7], v2 offset:672
	ds_load_b128 v[100:103], v2 offset:688
	scratch_load_b128 v[108:111], off, off offset:368
	v_fmac_f64_e32 v[130:131], v[94:95], v[120:121]
	v_fma_f64 v[120:121], v[92:93], v[120:121], -v[122:123]
	scratch_load_b128 v[92:95], off, off offset:384
	s_wait_loadcnt_dscnt 0xb01
	v_mul_f64_e32 v[136:137], v[4:5], v[106:107]
	v_mul_f64_e32 v[106:107], v[6:7], v[106:107]
	v_add_f64_e32 v[12:13], v[12:13], v[132:133]
	v_add_f64_e32 v[122:123], v[128:129], v[134:135]
	s_wait_loadcnt_dscnt 0xa00
	v_mul_f64_e32 v[128:129], v[100:101], v[114:115]
	v_mul_f64_e32 v[114:115], v[102:103], v[114:115]
	v_fmac_f64_e32 v[136:137], v[6:7], v[104:105]
	v_fma_f64 v[132:133], v[4:5], v[104:105], -v[106:107]
	ds_load_b128 v[4:7], v2 offset:704
	ds_load_b128 v[104:107], v2 offset:720
	v_add_f64_e32 v[12:13], v[12:13], v[120:121]
	v_add_f64_e32 v[130:131], v[122:123], v[130:131]
	scratch_load_b128 v[120:123], off, off offset:400
	v_fmac_f64_e32 v[128:129], v[102:103], v[112:113]
	v_fma_f64 v[112:113], v[100:101], v[112:113], -v[114:115]
	scratch_load_b128 v[100:103], off, off offset:416
	s_wait_loadcnt_dscnt 0xb01
	v_mul_f64_e32 v[134:135], v[4:5], v[126:127]
	v_mul_f64_e32 v[126:127], v[6:7], v[126:127]
	v_add_f64_e32 v[12:13], v[12:13], v[132:133]
	v_add_f64_e32 v[114:115], v[130:131], v[136:137]
	s_wait_loadcnt_dscnt 0xa00
	v_mul_f64_e32 v[130:131], v[104:105], v[10:11]
	v_mul_f64_e32 v[132:133], v[106:107], v[10:11]
	v_fmac_f64_e32 v[134:135], v[6:7], v[124:125]
	v_fma_f64 v[124:125], v[4:5], v[124:125], -v[126:127]
	v_add_f64_e32 v[126:127], v[12:13], v[112:113]
	v_add_f64_e32 v[128:129], v[114:115], v[128:129]
	ds_load_b128 v[4:7], v2 offset:736
	ds_load_b128 v[10:13], v2 offset:752
	scratch_load_b128 v[112:115], off, off offset:432
	v_fmac_f64_e32 v[130:131], v[106:107], v[8:9]
	v_fma_f64 v[8:9], v[104:105], v[8:9], -v[132:133]
	scratch_load_b128 v[104:107], off, off offset:448
	s_wait_loadcnt_dscnt 0xb01
	v_mul_f64_e32 v[136:137], v[4:5], v[82:83]
	v_mul_f64_e32 v[82:83], v[6:7], v[82:83]
	v_add_f64_e32 v[124:125], v[126:127], v[124:125]
	v_add_f64_e32 v[126:127], v[128:129], v[134:135]
	s_wait_loadcnt_dscnt 0xa00
	v_mul_f64_e32 v[128:129], v[10:11], v[74:75]
	v_mul_f64_e32 v[74:75], v[12:13], v[74:75]
	v_fmac_f64_e32 v[136:137], v[6:7], v[80:81]
	v_fma_f64 v[132:133], v[4:5], v[80:81], -v[82:83]
	ds_load_b128 v[4:7], v2 offset:768
	ds_load_b128 v[80:83], v2 offset:784
	v_add_f64_e32 v[8:9], v[124:125], v[8:9]
	v_add_f64_e32 v[124:125], v[126:127], v[130:131]
	v_fmac_f64_e32 v[128:129], v[12:13], v[72:73]
	v_fma_f64 v[10:11], v[10:11], v[72:73], -v[74:75]
	s_wait_loadcnt_dscnt 0x901
	v_mul_f64_e32 v[126:127], v[4:5], v[90:91]
	v_mul_f64_e32 v[90:91], v[6:7], v[90:91]
	s_wait_loadcnt_dscnt 0x800
	v_mul_f64_e32 v[72:73], v[80:81], v[78:79]
	v_mul_f64_e32 v[74:75], v[82:83], v[78:79]
	v_add_f64_e32 v[8:9], v[8:9], v[132:133]
	v_add_f64_e32 v[12:13], v[124:125], v[136:137]
	v_fmac_f64_e32 v[126:127], v[6:7], v[88:89]
	v_fma_f64 v[78:79], v[4:5], v[88:89], -v[90:91]
	v_fmac_f64_e32 v[72:73], v[82:83], v[76:77]
	v_fma_f64 v[74:75], v[80:81], v[76:77], -v[74:75]
	v_add_f64_e32 v[88:89], v[8:9], v[10:11]
	v_add_f64_e32 v[12:13], v[12:13], v[128:129]
	ds_load_b128 v[4:7], v2 offset:800
	ds_load_b128 v[8:11], v2 offset:816
	s_wait_loadcnt_dscnt 0x701
	v_mul_f64_e32 v[90:91], v[4:5], v[98:99]
	v_mul_f64_e32 v[98:99], v[6:7], v[98:99]
	s_wait_loadcnt_dscnt 0x600
	v_mul_f64_e32 v[80:81], v[10:11], v[86:87]
	v_add_f64_e32 v[76:77], v[88:89], v[78:79]
	v_add_f64_e32 v[12:13], v[12:13], v[126:127]
	v_mul_f64_e32 v[78:79], v[8:9], v[86:87]
	v_fmac_f64_e32 v[90:91], v[6:7], v[96:97]
	v_fma_f64 v[82:83], v[4:5], v[96:97], -v[98:99]
	v_fma_f64 v[8:9], v[8:9], v[84:85], -v[80:81]
	v_add_f64_e32 v[76:77], v[76:77], v[74:75]
	v_add_f64_e32 v[12:13], v[12:13], v[72:73]
	ds_load_b128 v[4:7], v2 offset:832
	ds_load_b128 v[72:75], v2 offset:848
	v_fmac_f64_e32 v[78:79], v[10:11], v[84:85]
	s_wait_loadcnt_dscnt 0x501
	v_mul_f64_e32 v[86:87], v[4:5], v[110:111]
	v_mul_f64_e32 v[88:89], v[6:7], v[110:111]
	s_wait_loadcnt_dscnt 0x400
	v_mul_f64_e32 v[80:81], v[74:75], v[94:95]
	v_add_f64_e32 v[10:11], v[76:77], v[82:83]
	v_add_f64_e32 v[12:13], v[12:13], v[90:91]
	v_mul_f64_e32 v[76:77], v[72:73], v[94:95]
	v_lshl_add_u64 v[90:91], v[18:19], 4, s[4:5]
	v_lshl_add_u64 v[18:19], v[58:59], 4, s[4:5]
	v_fmac_f64_e32 v[86:87], v[6:7], v[108:109]
	v_fma_f64 v[82:83], v[4:5], v[108:109], -v[88:89]
	v_fma_f64 v[72:73], v[72:73], v[92:93], -v[80:81]
	v_add_f64_e32 v[84:85], v[10:11], v[8:9]
	v_add_f64_e32 v[12:13], v[12:13], v[78:79]
	ds_load_b128 v[4:7], v2 offset:864
	ds_load_b128 v[8:11], v2 offset:880
	v_fmac_f64_e32 v[76:77], v[74:75], v[92:93]
	s_wait_loadcnt_dscnt 0x301
	v_mul_f64_e32 v[78:79], v[4:5], v[122:123]
	v_mul_f64_e32 v[88:89], v[6:7], v[122:123]
	s_wait_loadcnt_dscnt 0x200
	v_mul_f64_e32 v[80:81], v[8:9], v[102:103]
	v_add_f64_e32 v[74:75], v[84:85], v[82:83]
	v_add_f64_e32 v[12:13], v[12:13], v[86:87]
	v_mul_f64_e32 v[82:83], v[10:11], v[102:103]
	v_fmac_f64_e32 v[78:79], v[6:7], v[120:121]
	v_fma_f64 v[84:85], v[4:5], v[120:121], -v[88:89]
	v_fmac_f64_e32 v[80:81], v[10:11], v[100:101]
	v_lshl_add_u64 v[88:89], v[20:21], 4, s[4:5]
	v_lshl_add_u64 v[20:21], v[56:57], 4, s[4:5]
	v_add_f64_e32 v[86:87], v[74:75], v[72:73]
	v_add_f64_e32 v[12:13], v[12:13], v[76:77]
	ds_load_b128 v[4:7], v2 offset:896
	ds_load_b128 v[72:75], v2 offset:912
	v_fma_f64 v[8:9], v[8:9], v[100:101], -v[82:83]
	s_wait_loadcnt_dscnt 0x101
	v_mul_f64_e32 v[2:3], v[4:5], v[114:115]
	v_mul_f64_e32 v[76:77], v[6:7], v[114:115]
	s_wait_loadcnt_dscnt 0x0
	v_mul_f64_e32 v[82:83], v[74:75], v[106:107]
	v_add_f64_e32 v[10:11], v[86:87], v[84:85]
	v_add_f64_e32 v[12:13], v[12:13], v[78:79]
	v_mul_f64_e32 v[78:79], v[72:73], v[106:107]
	v_lshl_add_u64 v[86:87], v[22:23], 4, s[4:5]
	v_lshl_add_u64 v[84:85], v[24:25], 4, s[4:5]
	;; [unrolled: 1-line block ×4, first 2 shown]
	v_fmac_f64_e32 v[2:3], v[6:7], v[112:113]
	v_fma_f64 v[4:5], v[4:5], v[112:113], -v[76:77]
	v_lshl_add_u64 v[76:77], v[32:33], 4, s[4:5]
	v_lshl_add_u64 v[32:33], v[44:45], 4, s[4:5]
	v_add_f64_e32 v[6:7], v[10:11], v[8:9]
	v_add_f64_e32 v[8:9], v[12:13], v[80:81]
	v_fmac_f64_e32 v[78:79], v[74:75], v[104:105]
	v_fma_f64 v[10:11], v[72:73], v[104:105], -v[82:83]
	v_lshl_add_u64 v[82:83], v[26:27], 4, s[4:5]
	v_lshl_add_u64 v[80:81], v[28:29], 4, s[4:5]
	;; [unrolled: 1-line block ×9, first 2 shown]
	v_add_f64_e32 v[4:5], v[6:7], v[4:5]
	v_add_f64_e32 v[2:3], v[8:9], v[2:3]
	v_lshl_add_u64 v[8:9], v[64:65], 4, s[4:5]
	v_lshl_add_u64 v[6:7], v[66:67], 4, s[4:5]
	s_delay_alu instid0(VALU_DEP_4) | instskip(NEXT) | instid1(VALU_DEP_4)
	v_add_f64_e32 v[4:5], v[4:5], v[10:11]
	v_add_f64_e32 v[2:3], v[2:3], v[78:79]
	v_lshl_add_u64 v[78:79], v[30:31], 4, s[4:5]
	v_lshl_add_u64 v[30:31], v[46:47], 4, s[4:5]
	;; [unrolled: 1-line block ×3, first 2 shown]
	v_add_f64_e64 v[92:93], v[116:117], -v[4:5]
	v_add_f64_e64 v[94:95], v[118:119], -v[2:3]
	v_lshl_add_u64 v[4:5], v[68:69], 4, s[4:5]
	v_lshl_add_u64 v[2:3], v[70:71], 4, s[4:5]
	scratch_store_b128 off, v[92:95], off
	s_cbranch_vccz .LBB92_244
; %bb.188:
	v_mov_b32_e32 v40, 0
	s_load_b64 s[2:3], s[0:1], 0x4
	v_bfe_u32 v42, v0, 10, 10
	v_bfe_u32 v0, v0, 20, 10
	global_load_b32 v41, v40, s[8:9] offset:108
	s_wait_kmcnt 0x0
	s_lshr_b32 s0, s2, 16
	v_mul_u32_u24_e32 v42, s3, v42
	s_mul_i32 s0, s0, s3
	s_delay_alu instid0(SALU_CYCLE_1) | instskip(NEXT) | instid1(VALU_DEP_1)
	v_mul_u32_u24_e32 v1, s0, v1
	v_add3_u32 v0, v1, v42, v0
	s_delay_alu instid0(VALU_DEP_1)
	v_lshl_add_u32 v0, v0, 4, 0x3a8
	s_wait_loadcnt 0x0
	v_cmp_ne_u32_e32 vcc_lo, 28, v41
	s_cbranch_vccz .LBB92_190
; %bb.189:
	v_lshlrev_b32_e32 v1, 4, v41
	s_clause 0x1
	scratch_load_b128 v[42:45], off, s15
	scratch_load_b128 v[46:49], v1, off offset:-16
	s_wait_loadcnt 0x1
	ds_store_2addr_b64 v0, v[42:43], v[44:45] offset1:1
	s_wait_loadcnt 0x0
	s_clause 0x1
	scratch_store_b128 off, v[46:49], s15
	scratch_store_b128 v1, v[42:45], off offset:-16
.LBB92_190:
	global_load_b32 v1, v40, s[8:9] offset:104
	s_wait_loadcnt 0x0
	v_cmp_eq_u32_e32 vcc_lo, 27, v1
	s_cbranch_vccnz .LBB92_192
; %bb.191:
	v_lshlrev_b32_e32 v1, 4, v1
	s_clause 0x1
	scratch_load_b128 v[40:43], off, s17
	scratch_load_b128 v[44:47], v1, off offset:-16
	s_wait_loadcnt 0x1
	ds_store_2addr_b64 v0, v[40:41], v[42:43] offset1:1
	s_wait_loadcnt 0x0
	s_clause 0x1
	scratch_store_b128 off, v[44:47], s17
	scratch_store_b128 v1, v[40:43], off offset:-16
.LBB92_192:
	s_wait_xcnt 0x0
	v_mov_b32_e32 v1, 0
	global_load_b32 v40, v1, s[8:9] offset:100
	s_wait_loadcnt 0x0
	v_cmp_eq_u32_e32 vcc_lo, 26, v40
	s_cbranch_vccnz .LBB92_194
; %bb.193:
	v_lshlrev_b32_e32 v40, 4, v40
	s_delay_alu instid0(VALU_DEP_1)
	v_mov_b32_e32 v48, v40
	s_clause 0x1
	scratch_load_b128 v[40:43], off, s19
	scratch_load_b128 v[44:47], v48, off offset:-16
	s_wait_loadcnt 0x1
	ds_store_2addr_b64 v0, v[40:41], v[42:43] offset1:1
	s_wait_loadcnt 0x0
	s_clause 0x1
	scratch_store_b128 off, v[44:47], s19
	scratch_store_b128 v48, v[40:43], off offset:-16
.LBB92_194:
	global_load_b32 v1, v1, s[8:9] offset:96
	s_wait_loadcnt 0x0
	v_cmp_eq_u32_e32 vcc_lo, 25, v1
	s_cbranch_vccnz .LBB92_196
; %bb.195:
	s_wait_xcnt 0x0
	v_lshlrev_b32_e32 v1, 4, v1
	s_clause 0x1
	scratch_load_b128 v[40:43], off, s20
	scratch_load_b128 v[44:47], v1, off offset:-16
	s_wait_loadcnt 0x1
	ds_store_2addr_b64 v0, v[40:41], v[42:43] offset1:1
	s_wait_loadcnt 0x0
	s_clause 0x1
	scratch_store_b128 off, v[44:47], s20
	scratch_store_b128 v1, v[40:43], off offset:-16
.LBB92_196:
	s_wait_xcnt 0x0
	v_mov_b32_e32 v1, 0
	global_load_b32 v40, v1, s[8:9] offset:92
	s_wait_loadcnt 0x0
	v_cmp_eq_u32_e32 vcc_lo, 24, v40
	s_cbranch_vccnz .LBB92_198
; %bb.197:
	v_lshlrev_b32_e32 v40, 4, v40
	s_delay_alu instid0(VALU_DEP_1)
	v_mov_b32_e32 v48, v40
	s_clause 0x1
	scratch_load_b128 v[40:43], off, s21
	scratch_load_b128 v[44:47], v48, off offset:-16
	s_wait_loadcnt 0x1
	ds_store_2addr_b64 v0, v[40:41], v[42:43] offset1:1
	s_wait_loadcnt 0x0
	s_clause 0x1
	scratch_store_b128 off, v[44:47], s21
	scratch_store_b128 v48, v[40:43], off offset:-16
.LBB92_198:
	global_load_b32 v1, v1, s[8:9] offset:88
	s_wait_loadcnt 0x0
	v_cmp_eq_u32_e32 vcc_lo, 23, v1
	s_cbranch_vccnz .LBB92_200
; %bb.199:
	s_wait_xcnt 0x0
	v_lshlrev_b32_e32 v1, 4, v1
	s_clause 0x1
	scratch_load_b128 v[40:43], off, s22
	scratch_load_b128 v[44:47], v1, off offset:-16
	s_wait_loadcnt 0x1
	ds_store_2addr_b64 v0, v[40:41], v[42:43] offset1:1
	s_wait_loadcnt 0x0
	s_clause 0x1
	scratch_store_b128 off, v[44:47], s22
	scratch_store_b128 v1, v[40:43], off offset:-16
.LBB92_200:
	;; [unrolled: 37-line block ×12, first 2 shown]
	s_wait_xcnt 0x0
	v_mov_b32_e32 v1, 0
	global_load_b32 v40, v1, s[8:9] offset:4
	s_wait_loadcnt 0x0
	v_cmp_eq_u32_e32 vcc_lo, 2, v40
	s_cbranch_vccnz .LBB92_242
; %bb.241:
	v_lshlrev_b32_e32 v40, 4, v40
	s_delay_alu instid0(VALU_DEP_1)
	v_mov_b32_e32 v48, v40
	s_clause 0x1
	scratch_load_b128 v[40:43], off, s18
	scratch_load_b128 v[44:47], v48, off offset:-16
	s_wait_loadcnt 0x1
	ds_store_2addr_b64 v0, v[40:41], v[42:43] offset1:1
	s_wait_loadcnt 0x0
	s_clause 0x1
	scratch_store_b128 off, v[44:47], s18
	scratch_store_b128 v48, v[40:43], off offset:-16
.LBB92_242:
	global_load_b32 v1, v1, s[8:9]
	s_wait_loadcnt 0x0
	v_cmp_eq_u32_e32 vcc_lo, 1, v1
	s_cbranch_vccnz .LBB92_244
; %bb.243:
	s_wait_xcnt 0x0
	v_lshlrev_b32_e32 v1, 4, v1
	scratch_load_b128 v[40:43], off, off
	scratch_load_b128 v[44:47], v1, off offset:-16
	s_wait_loadcnt 0x1
	ds_store_2addr_b64 v0, v[40:41], v[42:43] offset1:1
	s_wait_loadcnt 0x0
	scratch_store_b128 off, v[44:47], off
	scratch_store_b128 v1, v[40:43], off offset:-16
.LBB92_244:
	scratch_load_b128 v[40:43], off, off
	s_wait_loadcnt 0x0
	flat_store_b128 v[14:15], v[40:43]
	scratch_load_b128 v[40:43], off, s18
	s_wait_loadcnt 0x0
	flat_store_b128 v[16:17], v[40:43]
	scratch_load_b128 v[14:17], off, s16
	;; [unrolled: 3-line block ×28, first 2 shown]
	s_wait_loadcnt 0x0
	flat_store_b128 v[2:3], v[4:7]
	s_sendmsg sendmsg(MSG_DEALLOC_VGPRS)
	s_endpgm
	.section	.rodata,"a",@progbits
	.p2align	6, 0x0
	.amdhsa_kernel _ZN9rocsolver6v33100L18getri_kernel_smallILi29E19rocblas_complex_numIdEPKPS3_EEvT1_iilPiilS8_bb
		.amdhsa_group_segment_fixed_size 1960
		.amdhsa_private_segment_fixed_size 480
		.amdhsa_kernarg_size 60
		.amdhsa_user_sgpr_count 4
		.amdhsa_user_sgpr_dispatch_ptr 1
		.amdhsa_user_sgpr_queue_ptr 0
		.amdhsa_user_sgpr_kernarg_segment_ptr 1
		.amdhsa_user_sgpr_dispatch_id 0
		.amdhsa_user_sgpr_kernarg_preload_length 0
		.amdhsa_user_sgpr_kernarg_preload_offset 0
		.amdhsa_user_sgpr_private_segment_size 0
		.amdhsa_wavefront_size32 1
		.amdhsa_uses_dynamic_stack 0
		.amdhsa_enable_private_segment 1
		.amdhsa_system_sgpr_workgroup_id_x 1
		.amdhsa_system_sgpr_workgroup_id_y 0
		.amdhsa_system_sgpr_workgroup_id_z 0
		.amdhsa_system_sgpr_workgroup_info 0
		.amdhsa_system_vgpr_workitem_id 2
		.amdhsa_next_free_vgpr 140
		.amdhsa_next_free_sgpr 54
		.amdhsa_named_barrier_count 0
		.amdhsa_reserve_vcc 1
		.amdhsa_float_round_mode_32 0
		.amdhsa_float_round_mode_16_64 0
		.amdhsa_float_denorm_mode_32 3
		.amdhsa_float_denorm_mode_16_64 3
		.amdhsa_fp16_overflow 0
		.amdhsa_memory_ordered 1
		.amdhsa_forward_progress 1
		.amdhsa_inst_pref_size 255
		.amdhsa_round_robin_scheduling 0
		.amdhsa_exception_fp_ieee_invalid_op 0
		.amdhsa_exception_fp_denorm_src 0
		.amdhsa_exception_fp_ieee_div_zero 0
		.amdhsa_exception_fp_ieee_overflow 0
		.amdhsa_exception_fp_ieee_underflow 0
		.amdhsa_exception_fp_ieee_inexact 0
		.amdhsa_exception_int_div_zero 0
	.end_amdhsa_kernel
	.section	.text._ZN9rocsolver6v33100L18getri_kernel_smallILi29E19rocblas_complex_numIdEPKPS3_EEvT1_iilPiilS8_bb,"axG",@progbits,_ZN9rocsolver6v33100L18getri_kernel_smallILi29E19rocblas_complex_numIdEPKPS3_EEvT1_iilPiilS8_bb,comdat
.Lfunc_end92:
	.size	_ZN9rocsolver6v33100L18getri_kernel_smallILi29E19rocblas_complex_numIdEPKPS3_EEvT1_iilPiilS8_bb, .Lfunc_end92-_ZN9rocsolver6v33100L18getri_kernel_smallILi29E19rocblas_complex_numIdEPKPS3_EEvT1_iilPiilS8_bb
                                        ; -- End function
	.set _ZN9rocsolver6v33100L18getri_kernel_smallILi29E19rocblas_complex_numIdEPKPS3_EEvT1_iilPiilS8_bb.num_vgpr, 140
	.set _ZN9rocsolver6v33100L18getri_kernel_smallILi29E19rocblas_complex_numIdEPKPS3_EEvT1_iilPiilS8_bb.num_agpr, 0
	.set _ZN9rocsolver6v33100L18getri_kernel_smallILi29E19rocblas_complex_numIdEPKPS3_EEvT1_iilPiilS8_bb.numbered_sgpr, 54
	.set _ZN9rocsolver6v33100L18getri_kernel_smallILi29E19rocblas_complex_numIdEPKPS3_EEvT1_iilPiilS8_bb.num_named_barrier, 0
	.set _ZN9rocsolver6v33100L18getri_kernel_smallILi29E19rocblas_complex_numIdEPKPS3_EEvT1_iilPiilS8_bb.private_seg_size, 480
	.set _ZN9rocsolver6v33100L18getri_kernel_smallILi29E19rocblas_complex_numIdEPKPS3_EEvT1_iilPiilS8_bb.uses_vcc, 1
	.set _ZN9rocsolver6v33100L18getri_kernel_smallILi29E19rocblas_complex_numIdEPKPS3_EEvT1_iilPiilS8_bb.uses_flat_scratch, 1
	.set _ZN9rocsolver6v33100L18getri_kernel_smallILi29E19rocblas_complex_numIdEPKPS3_EEvT1_iilPiilS8_bb.has_dyn_sized_stack, 0
	.set _ZN9rocsolver6v33100L18getri_kernel_smallILi29E19rocblas_complex_numIdEPKPS3_EEvT1_iilPiilS8_bb.has_recursion, 0
	.set _ZN9rocsolver6v33100L18getri_kernel_smallILi29E19rocblas_complex_numIdEPKPS3_EEvT1_iilPiilS8_bb.has_indirect_call, 0
	.section	.AMDGPU.csdata,"",@progbits
; Kernel info:
; codeLenInByte = 39352
; TotalNumSgprs: 56
; NumVgprs: 140
; ScratchSize: 480
; MemoryBound: 0
; FloatMode: 240
; IeeeMode: 1
; LDSByteSize: 1960 bytes/workgroup (compile time only)
; SGPRBlocks: 0
; VGPRBlocks: 8
; NumSGPRsForWavesPerEU: 56
; NumVGPRsForWavesPerEU: 140
; NamedBarCnt: 0
; Occupancy: 7
; WaveLimiterHint : 1
; COMPUTE_PGM_RSRC2:SCRATCH_EN: 1
; COMPUTE_PGM_RSRC2:USER_SGPR: 4
; COMPUTE_PGM_RSRC2:TRAP_HANDLER: 0
; COMPUTE_PGM_RSRC2:TGID_X_EN: 1
; COMPUTE_PGM_RSRC2:TGID_Y_EN: 0
; COMPUTE_PGM_RSRC2:TGID_Z_EN: 0
; COMPUTE_PGM_RSRC2:TIDIG_COMP_CNT: 2
	.section	.text._ZN9rocsolver6v33100L18getri_kernel_smallILi30E19rocblas_complex_numIdEPKPS3_EEvT1_iilPiilS8_bb,"axG",@progbits,_ZN9rocsolver6v33100L18getri_kernel_smallILi30E19rocblas_complex_numIdEPKPS3_EEvT1_iilPiilS8_bb,comdat
	.globl	_ZN9rocsolver6v33100L18getri_kernel_smallILi30E19rocblas_complex_numIdEPKPS3_EEvT1_iilPiilS8_bb ; -- Begin function _ZN9rocsolver6v33100L18getri_kernel_smallILi30E19rocblas_complex_numIdEPKPS3_EEvT1_iilPiilS8_bb
	.p2align	8
	.type	_ZN9rocsolver6v33100L18getri_kernel_smallILi30E19rocblas_complex_numIdEPKPS3_EEvT1_iilPiilS8_bb,@function
_ZN9rocsolver6v33100L18getri_kernel_smallILi30E19rocblas_complex_numIdEPKPS3_EEvT1_iilPiilS8_bb: ; @_ZN9rocsolver6v33100L18getri_kernel_smallILi30E19rocblas_complex_numIdEPKPS3_EEvT1_iilPiilS8_bb
; %bb.0:
	v_and_b32_e32 v1, 0x3ff, v0
	s_mov_b32 s4, exec_lo
	s_delay_alu instid0(VALU_DEP_1)
	v_cmpx_gt_u32_e32 30, v1
	s_cbranch_execz .LBB93_134
; %bb.1:
	s_clause 0x1
	s_load_b32 s16, s[2:3], 0x38
	s_load_b64 s[8:9], s[2:3], 0x0
	s_getreg_b32 s6, hwreg(HW_REG_IB_STS2, 6, 4)
	s_wait_kmcnt 0x0
	s_bitcmp1_b32 s16, 8
	s_cselect_b32 s42, -1, 0
	s_bfe_u32 s4, ttmp6, 0x4000c
	s_and_b32 s5, ttmp6, 15
	s_add_co_i32 s4, s4, 1
	s_delay_alu instid0(SALU_CYCLE_1) | instskip(NEXT) | instid1(SALU_CYCLE_1)
	s_mul_i32 s4, ttmp9, s4
	s_add_co_i32 s5, s5, s4
	s_cmp_eq_u32 s6, 0
	s_cselect_b32 s10, ttmp9, s5
	s_load_b128 s[4:7], s[2:3], 0x28
	s_ashr_i32 s11, s10, 31
	s_delay_alu instid0(SALU_CYCLE_1) | instskip(NEXT) | instid1(SALU_CYCLE_1)
	s_lshl_b64 s[12:13], s[10:11], 3
	s_add_nc_u64 s[8:9], s[8:9], s[12:13]
	s_load_b64 s[14:15], s[8:9], 0x0
	s_wait_xcnt 0x0
	s_bfe_u32 s8, s16, 0x10008
	s_delay_alu instid0(SALU_CYCLE_1)
	s_cmp_eq_u32 s8, 0
                                        ; implicit-def: $sgpr8_sgpr9
	s_cbranch_scc1 .LBB93_3
; %bb.2:
	s_load_b96 s[16:18], s[2:3], 0x18
	s_wait_kmcnt 0x0
	s_mul_u64 s[4:5], s[4:5], s[10:11]
	s_delay_alu instid0(SALU_CYCLE_1) | instskip(SKIP_4) | instid1(SALU_CYCLE_1)
	s_lshl_b64 s[4:5], s[4:5], 2
	s_ashr_i32 s9, s18, 31
	s_mov_b32 s8, s18
	s_add_nc_u64 s[4:5], s[16:17], s[4:5]
	s_lshl_b64 s[8:9], s[8:9], 2
	s_add_nc_u64 s[8:9], s[4:5], s[8:9]
.LBB93_3:
	s_clause 0x1
	s_load_b64 s[12:13], s[2:3], 0x8
	s_load_b32 s43, s[2:3], 0x38
	v_dual_mov_b32 v75, 0 :: v_dual_lshlrev_b32 v74, 4, v1
	s_movk_i32 s44, 0x130
	s_movk_i32 s45, 0x140
	;; [unrolled: 1-line block ×11, first 2 shown]
	s_mov_b32 s18, 16
	s_mov_b32 s16, 32
	s_movk_i32 s41, 0x50
	s_movk_i32 s40, 0x60
	;; [unrolled: 1-line block ×3, first 2 shown]
	s_wait_kmcnt 0x0
	s_ashr_i32 s3, s12, 31
	s_mov_b32 s2, s12
	v_add3_u32 v18, s13, s13, v1
	s_lshl_b64 s[2:3], s[2:3], 4
	s_mov_b32 s12, 64
	s_add_nc_u64 s[4:5], s[14:15], s[2:3]
	s_ashr_i32 s3, s13, 31
	flat_load_b128 v[2:5], v1, s[4:5] scale_offset
	v_add_nc_u64_e32 v[14:15], s[4:5], v[74:75]
	s_mov_b32 s2, s13
	v_add_nc_u32_e32 v20, s13, v18
	s_mov_b32 s14, 48
	s_movk_i32 s38, 0x80
	s_movk_i32 s37, 0x90
	;; [unrolled: 1-line block ×3, first 2 shown]
	v_lshl_add_u64 v[16:17], s[2:3], 4, v[14:15]
	v_add_nc_u32_e32 v22, s13, v20
	s_movk_i32 s35, 0xb0
	s_movk_i32 s34, 0xc0
	;; [unrolled: 1-line block ×4, first 2 shown]
	v_add_nc_u32_e32 v24, s13, v22
	s_movk_i32 s30, 0xf0
	s_movk_i32 s29, 0x100
	;; [unrolled: 1-line block ×4, first 2 shown]
	v_add_nc_u32_e32 v26, s13, v24
	s_mov_b32 s26, s44
	s_mov_b32 s25, s45
	;; [unrolled: 1-line block ×4, first 2 shown]
	v_add_nc_u32_e32 v28, s13, v26
	s_mov_b32 s22, s48
	s_mov_b32 s21, s49
	;; [unrolled: 1-line block ×4, first 2 shown]
	v_add_nc_u32_e32 v30, s13, v28
	s_mov_b32 s17, s52
	s_mov_b32 s15, s53
	s_bitcmp0_b32 s43, 0
	s_mov_b32 s3, -1
	v_add_nc_u32_e32 v32, s13, v30
	s_delay_alu instid0(VALU_DEP_1) | instskip(NEXT) | instid1(VALU_DEP_1)
	v_add_nc_u32_e32 v34, s13, v32
	v_add_nc_u32_e32 v36, s13, v34
	s_delay_alu instid0(VALU_DEP_1) | instskip(NEXT) | instid1(VALU_DEP_1)
	v_add_nc_u32_e32 v38, s13, v36
	;; [unrolled: 3-line block ×10, first 2 shown]
	v_add_nc_u32_e32 v72, s13, v70
	s_mov_b32 s13, s54
	s_wait_loadcnt_dscnt 0x0
	scratch_store_b128 off, v[2:5], off
	flat_load_b128 v[2:5], v[16:17]
	s_wait_loadcnt_dscnt 0x0
	scratch_store_b128 off, v[2:5], off offset:16
	flat_load_b128 v[2:5], v18, s[4:5] scale_offset
	s_wait_loadcnt_dscnt 0x0
	scratch_store_b128 off, v[2:5], off offset:32
	flat_load_b128 v[2:5], v20, s[4:5] scale_offset
	;; [unrolled: 3-line block ×28, first 2 shown]
	s_wait_loadcnt_dscnt 0x0
	scratch_store_b128 off, v[2:5], off offset:464
	s_cbranch_scc1 .LBB93_132
; %bb.4:
	v_cmp_eq_u32_e64 s2, 0, v1
	s_wait_xcnt 0x0
	s_and_saveexec_b32 s3, s2
; %bb.5:
	v_mov_b32_e32 v2, 0
	ds_store_b32 v2, v2 offset:960
; %bb.6:
	s_or_b32 exec_lo, exec_lo, s3
	s_wait_storecnt_dscnt 0x0
	s_barrier_signal -1
	s_barrier_wait -1
	scratch_load_b128 v[2:5], v1, off scale_offset
	s_wait_loadcnt 0x0
	v_cmp_eq_f64_e32 vcc_lo, 0, v[2:3]
	v_cmp_eq_f64_e64 s3, 0, v[4:5]
	s_and_b32 s3, vcc_lo, s3
	s_delay_alu instid0(SALU_CYCLE_1)
	s_and_saveexec_b32 s43, s3
	s_cbranch_execz .LBB93_10
; %bb.7:
	v_mov_b32_e32 v2, 0
	s_mov_b32 s44, 0
	ds_load_b32 v3, v2 offset:960
	s_wait_dscnt 0x0
	v_readfirstlane_b32 s3, v3
	v_add_nc_u32_e32 v3, 1, v1
	s_cmp_eq_u32 s3, 0
	s_delay_alu instid0(VALU_DEP_1) | instskip(SKIP_1) | instid1(SALU_CYCLE_1)
	v_cmp_gt_i32_e32 vcc_lo, s3, v3
	s_cselect_b32 s45, -1, 0
	s_or_b32 s45, s45, vcc_lo
	s_delay_alu instid0(SALU_CYCLE_1)
	s_and_b32 exec_lo, exec_lo, s45
	s_cbranch_execz .LBB93_10
; %bb.8:
	v_mov_b32_e32 v4, s3
.LBB93_9:                               ; =>This Inner Loop Header: Depth=1
	ds_cmpstore_rtn_b32 v4, v2, v3, v4 offset:960
	s_wait_dscnt 0x0
	v_cmp_ne_u32_e32 vcc_lo, 0, v4
	v_cmp_le_i32_e64 s3, v4, v3
	s_and_b32 s3, vcc_lo, s3
	s_delay_alu instid0(SALU_CYCLE_1) | instskip(NEXT) | instid1(SALU_CYCLE_1)
	s_and_b32 s3, exec_lo, s3
	s_or_b32 s44, s3, s44
	s_delay_alu instid0(SALU_CYCLE_1)
	s_and_not1_b32 exec_lo, exec_lo, s44
	s_cbranch_execnz .LBB93_9
.LBB93_10:
	s_or_b32 exec_lo, exec_lo, s43
	v_mov_b32_e32 v2, 0
	s_barrier_signal -1
	s_barrier_wait -1
	ds_load_b32 v3, v2 offset:960
	s_and_saveexec_b32 s3, s2
	s_cbranch_execz .LBB93_12
; %bb.11:
	s_lshl_b64 s[44:45], s[10:11], 2
	s_delay_alu instid0(SALU_CYCLE_1)
	s_add_nc_u64 s[44:45], s[6:7], s[44:45]
	s_wait_dscnt 0x0
	global_store_b32 v2, v3, s[44:45]
.LBB93_12:
	s_wait_xcnt 0x0
	s_or_b32 exec_lo, exec_lo, s3
	s_wait_dscnt 0x0
	v_cmp_ne_u32_e32 vcc_lo, 0, v3
	s_mov_b32 s3, 0
	s_cbranch_vccnz .LBB93_132
; %bb.13:
	v_lshl_add_u32 v19, v1, 4, 0
                                        ; implicit-def: $vgpr6_vgpr7
                                        ; implicit-def: $vgpr10_vgpr11
	scratch_load_b128 v[2:5], v19, off
	s_wait_loadcnt 0x0
	v_cmp_ngt_f64_e64 s3, |v[2:3]|, |v[4:5]|
	s_wait_xcnt 0x0
	s_and_saveexec_b32 s43, s3
	s_delay_alu instid0(SALU_CYCLE_1)
	s_xor_b32 s3, exec_lo, s43
	s_cbranch_execz .LBB93_15
; %bb.14:
	v_div_scale_f64 v[6:7], null, v[4:5], v[4:5], v[2:3]
	v_div_scale_f64 v[12:13], vcc_lo, v[2:3], v[4:5], v[2:3]
	s_delay_alu instid0(VALU_DEP_2) | instskip(SKIP_1) | instid1(TRANS32_DEP_1)
	v_rcp_f64_e32 v[8:9], v[6:7]
	v_nop
	v_fma_f64 v[10:11], -v[6:7], v[8:9], 1.0
	s_delay_alu instid0(VALU_DEP_1) | instskip(NEXT) | instid1(VALU_DEP_1)
	v_fmac_f64_e32 v[8:9], v[8:9], v[10:11]
	v_fma_f64 v[10:11], -v[6:7], v[8:9], 1.0
	s_delay_alu instid0(VALU_DEP_1) | instskip(NEXT) | instid1(VALU_DEP_1)
	v_fmac_f64_e32 v[8:9], v[8:9], v[10:11]
	v_mul_f64_e32 v[10:11], v[12:13], v[8:9]
	s_delay_alu instid0(VALU_DEP_1) | instskip(NEXT) | instid1(VALU_DEP_1)
	v_fma_f64 v[6:7], -v[6:7], v[10:11], v[12:13]
	v_div_fmas_f64 v[6:7], v[6:7], v[8:9], v[10:11]
	s_delay_alu instid0(VALU_DEP_1) | instskip(NEXT) | instid1(VALU_DEP_1)
	v_div_fixup_f64 v[6:7], v[6:7], v[4:5], v[2:3]
	v_fmac_f64_e32 v[4:5], v[2:3], v[6:7]
	s_delay_alu instid0(VALU_DEP_1) | instskip(SKIP_1) | instid1(VALU_DEP_2)
	v_div_scale_f64 v[2:3], null, v[4:5], v[4:5], 1.0
	v_div_scale_f64 v[12:13], vcc_lo, 1.0, v[4:5], 1.0
	v_rcp_f64_e32 v[8:9], v[2:3]
	v_nop
	s_delay_alu instid0(TRANS32_DEP_1) | instskip(NEXT) | instid1(VALU_DEP_1)
	v_fma_f64 v[10:11], -v[2:3], v[8:9], 1.0
	v_fmac_f64_e32 v[8:9], v[8:9], v[10:11]
	s_delay_alu instid0(VALU_DEP_1) | instskip(NEXT) | instid1(VALU_DEP_1)
	v_fma_f64 v[10:11], -v[2:3], v[8:9], 1.0
	v_fmac_f64_e32 v[8:9], v[8:9], v[10:11]
	s_delay_alu instid0(VALU_DEP_1) | instskip(NEXT) | instid1(VALU_DEP_1)
	v_mul_f64_e32 v[10:11], v[12:13], v[8:9]
	v_fma_f64 v[2:3], -v[2:3], v[10:11], v[12:13]
	s_delay_alu instid0(VALU_DEP_1) | instskip(NEXT) | instid1(VALU_DEP_1)
	v_div_fmas_f64 v[2:3], v[2:3], v[8:9], v[10:11]
	v_div_fixup_f64 v[8:9], v[2:3], v[4:5], 1.0
                                        ; implicit-def: $vgpr2_vgpr3
	s_delay_alu instid0(VALU_DEP_1) | instskip(SKIP_1) | instid1(VALU_DEP_2)
	v_mul_f64_e32 v[6:7], v[6:7], v[8:9]
	v_xor_b32_e32 v9, 0x80000000, v9
	v_xor_b32_e32 v11, 0x80000000, v7
	s_delay_alu instid0(VALU_DEP_3)
	v_mov_b32_e32 v10, v6
.LBB93_15:
	s_and_not1_saveexec_b32 s3, s3
	s_cbranch_execz .LBB93_17
; %bb.16:
	v_div_scale_f64 v[6:7], null, v[2:3], v[2:3], v[4:5]
	v_div_scale_f64 v[12:13], vcc_lo, v[4:5], v[2:3], v[4:5]
	s_delay_alu instid0(VALU_DEP_2) | instskip(SKIP_1) | instid1(TRANS32_DEP_1)
	v_rcp_f64_e32 v[8:9], v[6:7]
	v_nop
	v_fma_f64 v[10:11], -v[6:7], v[8:9], 1.0
	s_delay_alu instid0(VALU_DEP_1) | instskip(NEXT) | instid1(VALU_DEP_1)
	v_fmac_f64_e32 v[8:9], v[8:9], v[10:11]
	v_fma_f64 v[10:11], -v[6:7], v[8:9], 1.0
	s_delay_alu instid0(VALU_DEP_1) | instskip(NEXT) | instid1(VALU_DEP_1)
	v_fmac_f64_e32 v[8:9], v[8:9], v[10:11]
	v_mul_f64_e32 v[10:11], v[12:13], v[8:9]
	s_delay_alu instid0(VALU_DEP_1) | instskip(NEXT) | instid1(VALU_DEP_1)
	v_fma_f64 v[6:7], -v[6:7], v[10:11], v[12:13]
	v_div_fmas_f64 v[6:7], v[6:7], v[8:9], v[10:11]
	s_delay_alu instid0(VALU_DEP_1) | instskip(NEXT) | instid1(VALU_DEP_1)
	v_div_fixup_f64 v[8:9], v[6:7], v[2:3], v[4:5]
	v_fmac_f64_e32 v[2:3], v[4:5], v[8:9]
	s_delay_alu instid0(VALU_DEP_1) | instskip(NEXT) | instid1(VALU_DEP_1)
	v_div_scale_f64 v[4:5], null, v[2:3], v[2:3], 1.0
	v_rcp_f64_e32 v[6:7], v[4:5]
	v_nop
	s_delay_alu instid0(TRANS32_DEP_1) | instskip(NEXT) | instid1(VALU_DEP_1)
	v_fma_f64 v[10:11], -v[4:5], v[6:7], 1.0
	v_fmac_f64_e32 v[6:7], v[6:7], v[10:11]
	s_delay_alu instid0(VALU_DEP_1) | instskip(NEXT) | instid1(VALU_DEP_1)
	v_fma_f64 v[10:11], -v[4:5], v[6:7], 1.0
	v_fmac_f64_e32 v[6:7], v[6:7], v[10:11]
	v_div_scale_f64 v[10:11], vcc_lo, 1.0, v[2:3], 1.0
	s_delay_alu instid0(VALU_DEP_1) | instskip(NEXT) | instid1(VALU_DEP_1)
	v_mul_f64_e32 v[12:13], v[10:11], v[6:7]
	v_fma_f64 v[4:5], -v[4:5], v[12:13], v[10:11]
	s_delay_alu instid0(VALU_DEP_1) | instskip(NEXT) | instid1(VALU_DEP_1)
	v_div_fmas_f64 v[4:5], v[4:5], v[6:7], v[12:13]
	v_div_fixup_f64 v[6:7], v[4:5], v[2:3], 1.0
	s_delay_alu instid0(VALU_DEP_1)
	v_mul_f64_e64 v[8:9], v[8:9], -v[6:7]
	v_xor_b32_e32 v11, 0x80000000, v7
	v_mov_b32_e32 v10, v6
.LBB93_17:
	s_or_b32 exec_lo, exec_lo, s3
	s_clause 0x1
	scratch_store_b128 v19, v[6:9], off
	scratch_load_b128 v[2:5], off, s18
	v_xor_b32_e32 v13, 0x80000000, v9
	v_mov_b32_e32 v12, v8
	s_wait_xcnt 0x1
	v_add_nc_u32_e32 v6, 0x1e0, v74
	ds_store_b128 v74, v[10:13]
	s_wait_loadcnt 0x0
	ds_store_b128 v74, v[2:5] offset:480
	s_wait_storecnt_dscnt 0x0
	s_barrier_signal -1
	s_barrier_wait -1
	s_wait_xcnt 0x0
	s_and_saveexec_b32 s3, s2
	s_cbranch_execz .LBB93_19
; %bb.18:
	scratch_load_b128 v[2:5], v19, off
	ds_load_b128 v[8:11], v6
	v_mov_b32_e32 v7, 0
	ds_load_b128 v[76:79], v7 offset:16
	s_wait_loadcnt_dscnt 0x1
	v_mul_f64_e32 v[12:13], v[8:9], v[4:5]
	v_mul_f64_e32 v[4:5], v[10:11], v[4:5]
	s_delay_alu instid0(VALU_DEP_2) | instskip(NEXT) | instid1(VALU_DEP_2)
	v_fmac_f64_e32 v[12:13], v[10:11], v[2:3]
	v_fma_f64 v[2:3], v[8:9], v[2:3], -v[4:5]
	s_delay_alu instid0(VALU_DEP_2) | instskip(NEXT) | instid1(VALU_DEP_2)
	v_add_f64_e32 v[8:9], 0, v[12:13]
	v_add_f64_e32 v[2:3], 0, v[2:3]
	s_wait_dscnt 0x0
	s_delay_alu instid0(VALU_DEP_2) | instskip(NEXT) | instid1(VALU_DEP_2)
	v_mul_f64_e32 v[10:11], v[8:9], v[78:79]
	v_mul_f64_e32 v[4:5], v[2:3], v[78:79]
	s_delay_alu instid0(VALU_DEP_2) | instskip(NEXT) | instid1(VALU_DEP_2)
	v_fma_f64 v[2:3], v[2:3], v[76:77], -v[10:11]
	v_fmac_f64_e32 v[4:5], v[8:9], v[76:77]
	scratch_store_b128 off, v[2:5], off offset:16
.LBB93_19:
	s_wait_xcnt 0x0
	s_or_b32 exec_lo, exec_lo, s3
	s_wait_storecnt 0x0
	s_barrier_signal -1
	s_barrier_wait -1
	scratch_load_b128 v[2:5], off, s16
	s_mov_b32 s3, exec_lo
	s_wait_loadcnt 0x0
	ds_store_b128 v6, v[2:5]
	s_wait_dscnt 0x0
	s_barrier_signal -1
	s_barrier_wait -1
	v_cmpx_gt_u32_e32 2, v1
	s_cbranch_execz .LBB93_23
; %bb.20:
	scratch_load_b128 v[2:5], v19, off
	ds_load_b128 v[8:11], v6
	s_wait_loadcnt_dscnt 0x0
	v_mul_f64_e32 v[12:13], v[10:11], v[4:5]
	v_mul_f64_e32 v[76:77], v[8:9], v[4:5]
	s_delay_alu instid0(VALU_DEP_2) | instskip(NEXT) | instid1(VALU_DEP_2)
	v_fma_f64 v[4:5], v[8:9], v[2:3], -v[12:13]
	v_fmac_f64_e32 v[76:77], v[10:11], v[2:3]
	s_delay_alu instid0(VALU_DEP_2) | instskip(NEXT) | instid1(VALU_DEP_2)
	v_add_f64_e32 v[4:5], 0, v[4:5]
	v_add_f64_e32 v[2:3], 0, v[76:77]
	s_and_saveexec_b32 s43, s2
	s_cbranch_execz .LBB93_22
; %bb.21:
	scratch_load_b128 v[8:11], off, off offset:16
	v_mov_b32_e32 v7, 0
	ds_load_b128 v[76:79], v7 offset:496
	s_wait_loadcnt_dscnt 0x0
	v_mul_f64_e32 v[12:13], v[76:77], v[10:11]
	v_mul_f64_e32 v[10:11], v[78:79], v[10:11]
	s_delay_alu instid0(VALU_DEP_2) | instskip(NEXT) | instid1(VALU_DEP_2)
	v_fmac_f64_e32 v[12:13], v[78:79], v[8:9]
	v_fma_f64 v[8:9], v[76:77], v[8:9], -v[10:11]
	s_delay_alu instid0(VALU_DEP_2) | instskip(NEXT) | instid1(VALU_DEP_2)
	v_add_f64_e32 v[2:3], v[2:3], v[12:13]
	v_add_f64_e32 v[4:5], v[4:5], v[8:9]
.LBB93_22:
	s_or_b32 exec_lo, exec_lo, s43
	v_mov_b32_e32 v7, 0
	ds_load_b128 v[8:11], v7 offset:32
	s_wait_dscnt 0x0
	v_mul_f64_e32 v[76:77], v[2:3], v[10:11]
	v_mul_f64_e32 v[12:13], v[4:5], v[10:11]
	s_delay_alu instid0(VALU_DEP_2) | instskip(NEXT) | instid1(VALU_DEP_2)
	v_fma_f64 v[10:11], v[4:5], v[8:9], -v[76:77]
	v_fmac_f64_e32 v[12:13], v[2:3], v[8:9]
	scratch_store_b128 off, v[10:13], off offset:32
.LBB93_23:
	s_wait_xcnt 0x0
	s_or_b32 exec_lo, exec_lo, s3
	s_wait_storecnt 0x0
	s_barrier_signal -1
	s_barrier_wait -1
	scratch_load_b128 v[2:5], off, s14
	v_add_nc_u32_e32 v7, -1, v1
	s_mov_b32 s2, exec_lo
	s_wait_loadcnt 0x0
	ds_store_b128 v6, v[2:5]
	s_wait_dscnt 0x0
	s_barrier_signal -1
	s_barrier_wait -1
	v_cmpx_gt_u32_e32 3, v1
	s_cbranch_execz .LBB93_27
; %bb.24:
	v_dual_mov_b32 v10, v74 :: v_dual_add_nc_u32 v8, -1, v1
	v_mov_b64_e32 v[2:3], 0
	v_mov_b64_e32 v[4:5], 0
	v_add_nc_u32_e32 v9, 0x1e0, v74
	s_delay_alu instid0(VALU_DEP_4)
	v_or_b32_e32 v10, 8, v10
	s_mov_b32 s3, 0
.LBB93_25:                              ; =>This Inner Loop Header: Depth=1
	scratch_load_b128 v[76:79], v10, off offset:-8
	ds_load_b128 v[80:83], v9
	v_dual_add_nc_u32 v8, 1, v8 :: v_dual_add_nc_u32 v9, 16, v9
	s_wait_xcnt 0x0
	v_add_nc_u32_e32 v10, 16, v10
	s_delay_alu instid0(VALU_DEP_2) | instskip(SKIP_4) | instid1(VALU_DEP_2)
	v_cmp_lt_u32_e32 vcc_lo, 1, v8
	s_or_b32 s3, vcc_lo, s3
	s_wait_loadcnt_dscnt 0x0
	v_mul_f64_e32 v[12:13], v[82:83], v[78:79]
	v_mul_f64_e32 v[78:79], v[80:81], v[78:79]
	v_fma_f64 v[12:13], v[80:81], v[76:77], -v[12:13]
	s_delay_alu instid0(VALU_DEP_2) | instskip(NEXT) | instid1(VALU_DEP_2)
	v_fmac_f64_e32 v[78:79], v[82:83], v[76:77]
	v_add_f64_e32 v[4:5], v[4:5], v[12:13]
	s_delay_alu instid0(VALU_DEP_2)
	v_add_f64_e32 v[2:3], v[2:3], v[78:79]
	s_and_not1_b32 exec_lo, exec_lo, s3
	s_cbranch_execnz .LBB93_25
; %bb.26:
	s_or_b32 exec_lo, exec_lo, s3
	v_mov_b32_e32 v8, 0
	ds_load_b128 v[8:11], v8 offset:48
	s_wait_dscnt 0x0
	v_mul_f64_e32 v[76:77], v[2:3], v[10:11]
	v_mul_f64_e32 v[12:13], v[4:5], v[10:11]
	s_delay_alu instid0(VALU_DEP_2) | instskip(NEXT) | instid1(VALU_DEP_2)
	v_fma_f64 v[10:11], v[4:5], v[8:9], -v[76:77]
	v_fmac_f64_e32 v[12:13], v[2:3], v[8:9]
	scratch_store_b128 off, v[10:13], off offset:48
.LBB93_27:
	s_wait_xcnt 0x0
	s_or_b32 exec_lo, exec_lo, s2
	s_wait_storecnt 0x0
	s_barrier_signal -1
	s_barrier_wait -1
	scratch_load_b128 v[2:5], off, s12
	s_mov_b32 s2, exec_lo
	s_wait_loadcnt 0x0
	ds_store_b128 v6, v[2:5]
	s_wait_dscnt 0x0
	s_barrier_signal -1
	s_barrier_wait -1
	v_cmpx_gt_u32_e32 4, v1
	s_cbranch_execz .LBB93_31
; %bb.28:
	v_dual_mov_b32 v10, v74 :: v_dual_add_nc_u32 v8, -1, v1
	v_mov_b64_e32 v[2:3], 0
	v_mov_b64_e32 v[4:5], 0
	v_add_nc_u32_e32 v9, 0x1e0, v74
	s_delay_alu instid0(VALU_DEP_4)
	v_or_b32_e32 v10, 8, v10
	s_mov_b32 s3, 0
.LBB93_29:                              ; =>This Inner Loop Header: Depth=1
	scratch_load_b128 v[76:79], v10, off offset:-8
	ds_load_b128 v[80:83], v9
	v_dual_add_nc_u32 v8, 1, v8 :: v_dual_add_nc_u32 v9, 16, v9
	s_wait_xcnt 0x0
	v_add_nc_u32_e32 v10, 16, v10
	s_delay_alu instid0(VALU_DEP_2) | instskip(SKIP_4) | instid1(VALU_DEP_2)
	v_cmp_lt_u32_e32 vcc_lo, 2, v8
	s_or_b32 s3, vcc_lo, s3
	s_wait_loadcnt_dscnt 0x0
	v_mul_f64_e32 v[12:13], v[82:83], v[78:79]
	v_mul_f64_e32 v[78:79], v[80:81], v[78:79]
	v_fma_f64 v[12:13], v[80:81], v[76:77], -v[12:13]
	s_delay_alu instid0(VALU_DEP_2) | instskip(NEXT) | instid1(VALU_DEP_2)
	v_fmac_f64_e32 v[78:79], v[82:83], v[76:77]
	v_add_f64_e32 v[4:5], v[4:5], v[12:13]
	s_delay_alu instid0(VALU_DEP_2)
	v_add_f64_e32 v[2:3], v[2:3], v[78:79]
	s_and_not1_b32 exec_lo, exec_lo, s3
	s_cbranch_execnz .LBB93_29
; %bb.30:
	s_or_b32 exec_lo, exec_lo, s3
	v_mov_b32_e32 v8, 0
	ds_load_b128 v[8:11], v8 offset:64
	s_wait_dscnt 0x0
	v_mul_f64_e32 v[76:77], v[2:3], v[10:11]
	v_mul_f64_e32 v[12:13], v[4:5], v[10:11]
	s_delay_alu instid0(VALU_DEP_2) | instskip(NEXT) | instid1(VALU_DEP_2)
	v_fma_f64 v[10:11], v[4:5], v[8:9], -v[76:77]
	v_fmac_f64_e32 v[12:13], v[2:3], v[8:9]
	scratch_store_b128 off, v[10:13], off offset:64
.LBB93_31:
	s_wait_xcnt 0x0
	s_or_b32 exec_lo, exec_lo, s2
	s_wait_storecnt 0x0
	s_barrier_signal -1
	s_barrier_wait -1
	scratch_load_b128 v[2:5], off, s41
	;; [unrolled: 54-line block ×19, first 2 shown]
	s_mov_b32 s2, exec_lo
	s_wait_loadcnt 0x0
	ds_store_b128 v6, v[2:5]
	s_wait_dscnt 0x0
	s_barrier_signal -1
	s_barrier_wait -1
	v_cmpx_gt_u32_e32 22, v1
	s_cbranch_execz .LBB93_103
; %bb.100:
	v_dual_mov_b32 v10, v74 :: v_dual_add_nc_u32 v8, -1, v1
	v_mov_b64_e32 v[2:3], 0
	v_mov_b64_e32 v[4:5], 0
	v_add_nc_u32_e32 v9, 0x1e0, v74
	s_delay_alu instid0(VALU_DEP_4)
	v_or_b32_e32 v10, 8, v10
	s_mov_b32 s3, 0
.LBB93_101:                             ; =>This Inner Loop Header: Depth=1
	scratch_load_b128 v[76:79], v10, off offset:-8
	ds_load_b128 v[80:83], v9
	v_dual_add_nc_u32 v8, 1, v8 :: v_dual_add_nc_u32 v9, 16, v9
	s_wait_xcnt 0x0
	v_add_nc_u32_e32 v10, 16, v10
	s_delay_alu instid0(VALU_DEP_2) | instskip(SKIP_4) | instid1(VALU_DEP_2)
	v_cmp_lt_u32_e32 vcc_lo, 20, v8
	s_or_b32 s3, vcc_lo, s3
	s_wait_loadcnt_dscnt 0x0
	v_mul_f64_e32 v[12:13], v[82:83], v[78:79]
	v_mul_f64_e32 v[78:79], v[80:81], v[78:79]
	v_fma_f64 v[12:13], v[80:81], v[76:77], -v[12:13]
	s_delay_alu instid0(VALU_DEP_2) | instskip(NEXT) | instid1(VALU_DEP_2)
	v_fmac_f64_e32 v[78:79], v[82:83], v[76:77]
	v_add_f64_e32 v[4:5], v[4:5], v[12:13]
	s_delay_alu instid0(VALU_DEP_2)
	v_add_f64_e32 v[2:3], v[2:3], v[78:79]
	s_and_not1_b32 exec_lo, exec_lo, s3
	s_cbranch_execnz .LBB93_101
; %bb.102:
	s_or_b32 exec_lo, exec_lo, s3
	v_mov_b32_e32 v8, 0
	ds_load_b128 v[8:11], v8 offset:352
	s_wait_dscnt 0x0
	v_mul_f64_e32 v[76:77], v[2:3], v[10:11]
	v_mul_f64_e32 v[12:13], v[4:5], v[10:11]
	s_delay_alu instid0(VALU_DEP_2) | instskip(NEXT) | instid1(VALU_DEP_2)
	v_fma_f64 v[10:11], v[4:5], v[8:9], -v[76:77]
	v_fmac_f64_e32 v[12:13], v[2:3], v[8:9]
	scratch_store_b128 off, v[10:13], off offset:352
.LBB93_103:
	s_wait_xcnt 0x0
	s_or_b32 exec_lo, exec_lo, s2
	s_wait_storecnt 0x0
	s_barrier_signal -1
	s_barrier_wait -1
	scratch_load_b128 v[2:5], off, s22
	s_mov_b32 s2, exec_lo
	s_wait_loadcnt 0x0
	ds_store_b128 v6, v[2:5]
	s_wait_dscnt 0x0
	s_barrier_signal -1
	s_barrier_wait -1
	v_cmpx_gt_u32_e32 23, v1
	s_cbranch_execz .LBB93_107
; %bb.104:
	v_dual_mov_b32 v10, v74 :: v_dual_add_nc_u32 v8, -1, v1
	v_mov_b64_e32 v[2:3], 0
	v_mov_b64_e32 v[4:5], 0
	v_add_nc_u32_e32 v9, 0x1e0, v74
	s_delay_alu instid0(VALU_DEP_4)
	v_or_b32_e32 v10, 8, v10
	s_mov_b32 s3, 0
.LBB93_105:                             ; =>This Inner Loop Header: Depth=1
	scratch_load_b128 v[76:79], v10, off offset:-8
	ds_load_b128 v[80:83], v9
	v_dual_add_nc_u32 v8, 1, v8 :: v_dual_add_nc_u32 v9, 16, v9
	s_wait_xcnt 0x0
	v_add_nc_u32_e32 v10, 16, v10
	s_delay_alu instid0(VALU_DEP_2) | instskip(SKIP_4) | instid1(VALU_DEP_2)
	v_cmp_lt_u32_e32 vcc_lo, 21, v8
	s_or_b32 s3, vcc_lo, s3
	s_wait_loadcnt_dscnt 0x0
	v_mul_f64_e32 v[12:13], v[82:83], v[78:79]
	v_mul_f64_e32 v[78:79], v[80:81], v[78:79]
	v_fma_f64 v[12:13], v[80:81], v[76:77], -v[12:13]
	s_delay_alu instid0(VALU_DEP_2) | instskip(NEXT) | instid1(VALU_DEP_2)
	v_fmac_f64_e32 v[78:79], v[82:83], v[76:77]
	v_add_f64_e32 v[4:5], v[4:5], v[12:13]
	s_delay_alu instid0(VALU_DEP_2)
	v_add_f64_e32 v[2:3], v[2:3], v[78:79]
	s_and_not1_b32 exec_lo, exec_lo, s3
	s_cbranch_execnz .LBB93_105
; %bb.106:
	s_or_b32 exec_lo, exec_lo, s3
	v_mov_b32_e32 v8, 0
	ds_load_b128 v[8:11], v8 offset:368
	s_wait_dscnt 0x0
	v_mul_f64_e32 v[76:77], v[2:3], v[10:11]
	v_mul_f64_e32 v[12:13], v[4:5], v[10:11]
	s_delay_alu instid0(VALU_DEP_2) | instskip(NEXT) | instid1(VALU_DEP_2)
	v_fma_f64 v[10:11], v[4:5], v[8:9], -v[76:77]
	v_fmac_f64_e32 v[12:13], v[2:3], v[8:9]
	scratch_store_b128 off, v[10:13], off offset:368
.LBB93_107:
	s_wait_xcnt 0x0
	s_or_b32 exec_lo, exec_lo, s2
	s_wait_storecnt 0x0
	s_barrier_signal -1
	s_barrier_wait -1
	scratch_load_b128 v[2:5], off, s21
	;; [unrolled: 54-line block ×7, first 2 shown]
	s_mov_b32 s2, exec_lo
	s_wait_loadcnt 0x0
	ds_store_b128 v6, v[2:5]
	s_wait_dscnt 0x0
	s_barrier_signal -1
	s_barrier_wait -1
	v_cmpx_ne_u32_e32 29, v1
	s_cbranch_execz .LBB93_131
; %bb.128:
	v_mov_b32_e32 v8, v74
	v_mov_b64_e32 v[2:3], 0
	v_mov_b64_e32 v[4:5], 0
	s_mov_b32 s3, 0
	s_delay_alu instid0(VALU_DEP_3)
	v_or_b32_e32 v8, 8, v8
.LBB93_129:                             ; =>This Inner Loop Header: Depth=1
	scratch_load_b128 v[10:13], v8, off offset:-8
	ds_load_b128 v[74:77], v6
	v_dual_add_nc_u32 v7, 1, v7 :: v_dual_add_nc_u32 v6, 16, v6
	s_wait_xcnt 0x0
	v_add_nc_u32_e32 v8, 16, v8
	s_delay_alu instid0(VALU_DEP_2) | instskip(SKIP_4) | instid1(VALU_DEP_2)
	v_cmp_lt_u32_e32 vcc_lo, 27, v7
	s_or_b32 s3, vcc_lo, s3
	s_wait_loadcnt_dscnt 0x0
	v_mul_f64_e32 v[78:79], v[76:77], v[12:13]
	v_mul_f64_e32 v[12:13], v[74:75], v[12:13]
	v_fma_f64 v[74:75], v[74:75], v[10:11], -v[78:79]
	s_delay_alu instid0(VALU_DEP_2) | instskip(NEXT) | instid1(VALU_DEP_2)
	v_fmac_f64_e32 v[12:13], v[76:77], v[10:11]
	v_add_f64_e32 v[4:5], v[4:5], v[74:75]
	s_delay_alu instid0(VALU_DEP_2)
	v_add_f64_e32 v[2:3], v[2:3], v[12:13]
	s_and_not1_b32 exec_lo, exec_lo, s3
	s_cbranch_execnz .LBB93_129
; %bb.130:
	s_or_b32 exec_lo, exec_lo, s3
	v_mov_b32_e32 v6, 0
	ds_load_b128 v[6:9], v6 offset:464
	s_wait_dscnt 0x0
	v_mul_f64_e32 v[12:13], v[2:3], v[8:9]
	v_mul_f64_e32 v[10:11], v[4:5], v[8:9]
	s_delay_alu instid0(VALU_DEP_2) | instskip(NEXT) | instid1(VALU_DEP_2)
	v_fma_f64 v[8:9], v[4:5], v[6:7], -v[12:13]
	v_fmac_f64_e32 v[10:11], v[2:3], v[6:7]
	scratch_store_b128 off, v[8:11], off offset:464
.LBB93_131:
	s_wait_xcnt 0x0
	s_or_b32 exec_lo, exec_lo, s2
	s_mov_b32 s3, -1
	s_wait_storecnt 0x0
	s_barrier_signal -1
	s_barrier_wait -1
.LBB93_132:
	s_and_b32 vcc_lo, exec_lo, s3
	s_cbranch_vccz .LBB93_134
; %bb.133:
	s_wait_xcnt 0x0
	v_mov_b32_e32 v2, 0
	s_lshl_b64 s[2:3], s[10:11], 2
	s_delay_alu instid0(SALU_CYCLE_1)
	s_add_nc_u64 s[2:3], s[6:7], s[2:3]
	global_load_b32 v2, v2, s[2:3]
	s_wait_loadcnt 0x0
	v_cmp_ne_u32_e32 vcc_lo, 0, v2
	s_cbranch_vccz .LBB93_135
.LBB93_134:
	s_sendmsg sendmsg(MSG_DEALLOC_VGPRS)
	s_endpgm
.LBB93_135:
	v_lshl_add_u32 v6, v1, 4, 0x1e0
	s_wait_xcnt 0x0
	s_mov_b32 s2, exec_lo
	v_cmpx_eq_u32_e32 29, v1
	s_cbranch_execz .LBB93_137
; %bb.136:
	scratch_load_b128 v[2:5], off, s15
	v_mov_b32_e32 v8, 0
	s_delay_alu instid0(VALU_DEP_1)
	v_dual_mov_b32 v9, v8 :: v_dual_mov_b32 v10, v8
	v_mov_b32_e32 v11, v8
	scratch_store_b128 off, v[8:11], off offset:448
	s_wait_loadcnt 0x0
	ds_store_b128 v6, v[2:5]
.LBB93_137:
	s_wait_xcnt 0x0
	s_or_b32 exec_lo, exec_lo, s2
	s_wait_storecnt_dscnt 0x0
	s_barrier_signal -1
	s_barrier_wait -1
	s_clause 0x1
	scratch_load_b128 v[8:11], off, off offset:464
	scratch_load_b128 v[74:77], off, off offset:448
	v_mov_b32_e32 v2, 0
	s_mov_b32 s2, exec_lo
	ds_load_b128 v[78:81], v2 offset:944
	s_wait_loadcnt_dscnt 0x100
	v_mul_f64_e32 v[4:5], v[80:81], v[10:11]
	v_mul_f64_e32 v[10:11], v[78:79], v[10:11]
	s_delay_alu instid0(VALU_DEP_2) | instskip(NEXT) | instid1(VALU_DEP_2)
	v_fma_f64 v[4:5], v[78:79], v[8:9], -v[4:5]
	v_fmac_f64_e32 v[10:11], v[80:81], v[8:9]
	s_delay_alu instid0(VALU_DEP_2) | instskip(NEXT) | instid1(VALU_DEP_2)
	v_add_f64_e32 v[4:5], 0, v[4:5]
	v_add_f64_e32 v[10:11], 0, v[10:11]
	s_wait_loadcnt 0x0
	s_delay_alu instid0(VALU_DEP_2) | instskip(NEXT) | instid1(VALU_DEP_2)
	v_add_f64_e64 v[8:9], v[74:75], -v[4:5]
	v_add_f64_e64 v[10:11], v[76:77], -v[10:11]
	scratch_store_b128 off, v[8:11], off offset:448
	s_wait_xcnt 0x0
	v_cmpx_lt_u32_e32 27, v1
	s_cbranch_execz .LBB93_139
; %bb.138:
	scratch_load_b128 v[8:11], off, s17
	v_dual_mov_b32 v3, v2 :: v_dual_mov_b32 v4, v2
	v_mov_b32_e32 v5, v2
	scratch_store_b128 off, v[2:5], off offset:432
	s_wait_loadcnt 0x0
	ds_store_b128 v6, v[8:11]
.LBB93_139:
	s_wait_xcnt 0x0
	s_or_b32 exec_lo, exec_lo, s2
	s_wait_storecnt_dscnt 0x0
	s_barrier_signal -1
	s_barrier_wait -1
	s_clause 0x2
	scratch_load_b128 v[8:11], off, off offset:448
	scratch_load_b128 v[74:77], off, off offset:464
	;; [unrolled: 1-line block ×3, first 2 shown]
	ds_load_b128 v[82:85], v2 offset:928
	ds_load_b128 v[2:5], v2 offset:944
	s_mov_b32 s2, exec_lo
	s_wait_loadcnt_dscnt 0x201
	v_mul_f64_e32 v[12:13], v[84:85], v[10:11]
	v_mul_f64_e32 v[10:11], v[82:83], v[10:11]
	s_wait_loadcnt_dscnt 0x100
	v_mul_f64_e32 v[86:87], v[2:3], v[76:77]
	v_mul_f64_e32 v[76:77], v[4:5], v[76:77]
	s_delay_alu instid0(VALU_DEP_4) | instskip(NEXT) | instid1(VALU_DEP_4)
	v_fma_f64 v[12:13], v[82:83], v[8:9], -v[12:13]
	v_fmac_f64_e32 v[10:11], v[84:85], v[8:9]
	s_delay_alu instid0(VALU_DEP_4) | instskip(NEXT) | instid1(VALU_DEP_4)
	v_fmac_f64_e32 v[86:87], v[4:5], v[74:75]
	v_fma_f64 v[2:3], v[2:3], v[74:75], -v[76:77]
	s_delay_alu instid0(VALU_DEP_4) | instskip(NEXT) | instid1(VALU_DEP_4)
	v_add_f64_e32 v[4:5], 0, v[12:13]
	v_add_f64_e32 v[8:9], 0, v[10:11]
	s_delay_alu instid0(VALU_DEP_2) | instskip(NEXT) | instid1(VALU_DEP_2)
	v_add_f64_e32 v[2:3], v[4:5], v[2:3]
	v_add_f64_e32 v[4:5], v[8:9], v[86:87]
	s_wait_loadcnt 0x0
	s_delay_alu instid0(VALU_DEP_2) | instskip(NEXT) | instid1(VALU_DEP_2)
	v_add_f64_e64 v[2:3], v[78:79], -v[2:3]
	v_add_f64_e64 v[4:5], v[80:81], -v[4:5]
	scratch_store_b128 off, v[2:5], off offset:432
	s_wait_xcnt 0x0
	v_cmpx_lt_u32_e32 26, v1
	s_cbranch_execz .LBB93_141
; %bb.140:
	scratch_load_b128 v[2:5], off, s19
	v_mov_b32_e32 v8, 0
	s_delay_alu instid0(VALU_DEP_1)
	v_dual_mov_b32 v9, v8 :: v_dual_mov_b32 v10, v8
	v_mov_b32_e32 v11, v8
	scratch_store_b128 off, v[8:11], off offset:416
	s_wait_loadcnt 0x0
	ds_store_b128 v6, v[2:5]
.LBB93_141:
	s_wait_xcnt 0x0
	s_or_b32 exec_lo, exec_lo, s2
	s_wait_storecnt_dscnt 0x0
	s_barrier_signal -1
	s_barrier_wait -1
	s_clause 0x3
	scratch_load_b128 v[8:11], off, off offset:432
	scratch_load_b128 v[74:77], off, off offset:448
	;; [unrolled: 1-line block ×4, first 2 shown]
	v_mov_b32_e32 v2, 0
	ds_load_b128 v[86:89], v2 offset:912
	ds_load_b128 v[90:93], v2 offset:928
	s_mov_b32 s2, exec_lo
	s_wait_loadcnt_dscnt 0x301
	v_mul_f64_e32 v[4:5], v[88:89], v[10:11]
	v_mul_f64_e32 v[12:13], v[86:87], v[10:11]
	s_wait_loadcnt_dscnt 0x200
	v_mul_f64_e32 v[94:95], v[90:91], v[76:77]
	v_mul_f64_e32 v[76:77], v[92:93], v[76:77]
	s_delay_alu instid0(VALU_DEP_4) | instskip(NEXT) | instid1(VALU_DEP_4)
	v_fma_f64 v[4:5], v[86:87], v[8:9], -v[4:5]
	v_fmac_f64_e32 v[12:13], v[88:89], v[8:9]
	ds_load_b128 v[8:11], v2 offset:944
	v_fmac_f64_e32 v[94:95], v[92:93], v[74:75]
	v_fma_f64 v[74:75], v[90:91], v[74:75], -v[76:77]
	s_wait_loadcnt_dscnt 0x100
	v_mul_f64_e32 v[86:87], v[8:9], v[80:81]
	v_mul_f64_e32 v[80:81], v[10:11], v[80:81]
	v_add_f64_e32 v[4:5], 0, v[4:5]
	v_add_f64_e32 v[12:13], 0, v[12:13]
	s_delay_alu instid0(VALU_DEP_4) | instskip(NEXT) | instid1(VALU_DEP_4)
	v_fmac_f64_e32 v[86:87], v[10:11], v[78:79]
	v_fma_f64 v[8:9], v[8:9], v[78:79], -v[80:81]
	s_delay_alu instid0(VALU_DEP_4) | instskip(NEXT) | instid1(VALU_DEP_4)
	v_add_f64_e32 v[4:5], v[4:5], v[74:75]
	v_add_f64_e32 v[10:11], v[12:13], v[94:95]
	s_delay_alu instid0(VALU_DEP_2) | instskip(NEXT) | instid1(VALU_DEP_2)
	v_add_f64_e32 v[4:5], v[4:5], v[8:9]
	v_add_f64_e32 v[10:11], v[10:11], v[86:87]
	s_wait_loadcnt 0x0
	s_delay_alu instid0(VALU_DEP_2) | instskip(NEXT) | instid1(VALU_DEP_2)
	v_add_f64_e64 v[8:9], v[82:83], -v[4:5]
	v_add_f64_e64 v[10:11], v[84:85], -v[10:11]
	scratch_store_b128 off, v[8:11], off offset:416
	s_wait_xcnt 0x0
	v_cmpx_lt_u32_e32 25, v1
	s_cbranch_execz .LBB93_143
; %bb.142:
	scratch_load_b128 v[8:11], off, s20
	v_dual_mov_b32 v3, v2 :: v_dual_mov_b32 v4, v2
	v_mov_b32_e32 v5, v2
	scratch_store_b128 off, v[2:5], off offset:400
	s_wait_loadcnt 0x0
	ds_store_b128 v6, v[8:11]
.LBB93_143:
	s_wait_xcnt 0x0
	s_or_b32 exec_lo, exec_lo, s2
	s_wait_storecnt_dscnt 0x0
	s_barrier_signal -1
	s_barrier_wait -1
	s_clause 0x4
	scratch_load_b128 v[8:11], off, off offset:416
	scratch_load_b128 v[74:77], off, off offset:432
	scratch_load_b128 v[78:81], off, off offset:448
	scratch_load_b128 v[82:85], off, off offset:464
	scratch_load_b128 v[86:89], off, off offset:400
	ds_load_b128 v[90:93], v2 offset:896
	ds_load_b128 v[94:97], v2 offset:912
	s_mov_b32 s2, exec_lo
	s_wait_loadcnt_dscnt 0x401
	v_mul_f64_e32 v[4:5], v[92:93], v[10:11]
	v_mul_f64_e32 v[12:13], v[90:91], v[10:11]
	s_wait_loadcnt_dscnt 0x300
	v_mul_f64_e32 v[98:99], v[94:95], v[76:77]
	v_mul_f64_e32 v[76:77], v[96:97], v[76:77]
	s_delay_alu instid0(VALU_DEP_4) | instskip(NEXT) | instid1(VALU_DEP_4)
	v_fma_f64 v[90:91], v[90:91], v[8:9], -v[4:5]
	v_fmac_f64_e32 v[12:13], v[92:93], v[8:9]
	ds_load_b128 v[8:11], v2 offset:928
	ds_load_b128 v[2:5], v2 offset:944
	v_fmac_f64_e32 v[98:99], v[96:97], v[74:75]
	v_fma_f64 v[74:75], v[94:95], v[74:75], -v[76:77]
	s_wait_loadcnt_dscnt 0x201
	v_mul_f64_e32 v[92:93], v[8:9], v[80:81]
	v_mul_f64_e32 v[80:81], v[10:11], v[80:81]
	v_add_f64_e32 v[76:77], 0, v[90:91]
	v_add_f64_e32 v[12:13], 0, v[12:13]
	s_wait_loadcnt_dscnt 0x100
	v_mul_f64_e32 v[90:91], v[2:3], v[84:85]
	v_mul_f64_e32 v[84:85], v[4:5], v[84:85]
	v_fmac_f64_e32 v[92:93], v[10:11], v[78:79]
	v_fma_f64 v[8:9], v[8:9], v[78:79], -v[80:81]
	v_add_f64_e32 v[10:11], v[76:77], v[74:75]
	v_add_f64_e32 v[12:13], v[12:13], v[98:99]
	v_fmac_f64_e32 v[90:91], v[4:5], v[82:83]
	v_fma_f64 v[2:3], v[2:3], v[82:83], -v[84:85]
	s_delay_alu instid0(VALU_DEP_4) | instskip(NEXT) | instid1(VALU_DEP_4)
	v_add_f64_e32 v[4:5], v[10:11], v[8:9]
	v_add_f64_e32 v[8:9], v[12:13], v[92:93]
	s_delay_alu instid0(VALU_DEP_2) | instskip(NEXT) | instid1(VALU_DEP_2)
	v_add_f64_e32 v[2:3], v[4:5], v[2:3]
	v_add_f64_e32 v[4:5], v[8:9], v[90:91]
	s_wait_loadcnt 0x0
	s_delay_alu instid0(VALU_DEP_2) | instskip(NEXT) | instid1(VALU_DEP_2)
	v_add_f64_e64 v[2:3], v[86:87], -v[2:3]
	v_add_f64_e64 v[4:5], v[88:89], -v[4:5]
	scratch_store_b128 off, v[2:5], off offset:400
	s_wait_xcnt 0x0
	v_cmpx_lt_u32_e32 24, v1
	s_cbranch_execz .LBB93_145
; %bb.144:
	scratch_load_b128 v[2:5], off, s21
	v_mov_b32_e32 v8, 0
	s_delay_alu instid0(VALU_DEP_1)
	v_dual_mov_b32 v9, v8 :: v_dual_mov_b32 v10, v8
	v_mov_b32_e32 v11, v8
	scratch_store_b128 off, v[8:11], off offset:384
	s_wait_loadcnt 0x0
	ds_store_b128 v6, v[2:5]
.LBB93_145:
	s_wait_xcnt 0x0
	s_or_b32 exec_lo, exec_lo, s2
	s_wait_storecnt_dscnt 0x0
	s_barrier_signal -1
	s_barrier_wait -1
	s_clause 0x5
	scratch_load_b128 v[8:11], off, off offset:400
	scratch_load_b128 v[74:77], off, off offset:416
	;; [unrolled: 1-line block ×6, first 2 shown]
	v_mov_b32_e32 v2, 0
	ds_load_b128 v[94:97], v2 offset:880
	ds_load_b128 v[98:101], v2 offset:896
	s_mov_b32 s2, exec_lo
	s_wait_loadcnt_dscnt 0x501
	v_mul_f64_e32 v[4:5], v[96:97], v[10:11]
	v_mul_f64_e32 v[12:13], v[94:95], v[10:11]
	s_wait_loadcnt_dscnt 0x400
	v_mul_f64_e32 v[102:103], v[98:99], v[76:77]
	v_mul_f64_e32 v[76:77], v[100:101], v[76:77]
	s_delay_alu instid0(VALU_DEP_4) | instskip(NEXT) | instid1(VALU_DEP_4)
	v_fma_f64 v[4:5], v[94:95], v[8:9], -v[4:5]
	v_fmac_f64_e32 v[12:13], v[96:97], v[8:9]
	ds_load_b128 v[8:11], v2 offset:912
	ds_load_b128 v[94:97], v2 offset:928
	v_fmac_f64_e32 v[102:103], v[100:101], v[74:75]
	v_fma_f64 v[74:75], v[98:99], v[74:75], -v[76:77]
	s_wait_loadcnt_dscnt 0x301
	v_mul_f64_e32 v[104:105], v[8:9], v[80:81]
	v_mul_f64_e32 v[80:81], v[10:11], v[80:81]
	s_wait_loadcnt_dscnt 0x200
	v_mul_f64_e32 v[76:77], v[94:95], v[84:85]
	v_mul_f64_e32 v[84:85], v[96:97], v[84:85]
	v_add_f64_e32 v[4:5], 0, v[4:5]
	v_add_f64_e32 v[12:13], 0, v[12:13]
	v_fmac_f64_e32 v[104:105], v[10:11], v[78:79]
	v_fma_f64 v[78:79], v[8:9], v[78:79], -v[80:81]
	ds_load_b128 v[8:11], v2 offset:944
	v_fmac_f64_e32 v[76:77], v[96:97], v[82:83]
	v_fma_f64 v[82:83], v[94:95], v[82:83], -v[84:85]
	v_add_f64_e32 v[4:5], v[4:5], v[74:75]
	v_add_f64_e32 v[12:13], v[12:13], v[102:103]
	s_wait_loadcnt_dscnt 0x100
	v_mul_f64_e32 v[74:75], v[8:9], v[88:89]
	v_mul_f64_e32 v[80:81], v[10:11], v[88:89]
	s_delay_alu instid0(VALU_DEP_4) | instskip(NEXT) | instid1(VALU_DEP_4)
	v_add_f64_e32 v[4:5], v[4:5], v[78:79]
	v_add_f64_e32 v[12:13], v[12:13], v[104:105]
	s_delay_alu instid0(VALU_DEP_4) | instskip(NEXT) | instid1(VALU_DEP_4)
	v_fmac_f64_e32 v[74:75], v[10:11], v[86:87]
	v_fma_f64 v[8:9], v[8:9], v[86:87], -v[80:81]
	s_delay_alu instid0(VALU_DEP_4) | instskip(NEXT) | instid1(VALU_DEP_4)
	v_add_f64_e32 v[4:5], v[4:5], v[82:83]
	v_add_f64_e32 v[10:11], v[12:13], v[76:77]
	s_delay_alu instid0(VALU_DEP_2) | instskip(NEXT) | instid1(VALU_DEP_2)
	v_add_f64_e32 v[4:5], v[4:5], v[8:9]
	v_add_f64_e32 v[10:11], v[10:11], v[74:75]
	s_wait_loadcnt 0x0
	s_delay_alu instid0(VALU_DEP_2) | instskip(NEXT) | instid1(VALU_DEP_2)
	v_add_f64_e64 v[8:9], v[90:91], -v[4:5]
	v_add_f64_e64 v[10:11], v[92:93], -v[10:11]
	scratch_store_b128 off, v[8:11], off offset:384
	s_wait_xcnt 0x0
	v_cmpx_lt_u32_e32 23, v1
	s_cbranch_execz .LBB93_147
; %bb.146:
	scratch_load_b128 v[8:11], off, s22
	v_dual_mov_b32 v3, v2 :: v_dual_mov_b32 v4, v2
	v_mov_b32_e32 v5, v2
	scratch_store_b128 off, v[2:5], off offset:368
	s_wait_loadcnt 0x0
	ds_store_b128 v6, v[8:11]
.LBB93_147:
	s_wait_xcnt 0x0
	s_or_b32 exec_lo, exec_lo, s2
	s_wait_storecnt_dscnt 0x0
	s_barrier_signal -1
	s_barrier_wait -1
	s_clause 0x6
	scratch_load_b128 v[8:11], off, off offset:384
	scratch_load_b128 v[74:77], off, off offset:400
	;; [unrolled: 1-line block ×7, first 2 shown]
	ds_load_b128 v[98:101], v2 offset:864
	ds_load_b128 v[102:105], v2 offset:880
	s_mov_b32 s2, exec_lo
	s_wait_loadcnt_dscnt 0x601
	v_mul_f64_e32 v[4:5], v[100:101], v[10:11]
	v_mul_f64_e32 v[12:13], v[98:99], v[10:11]
	s_wait_loadcnt_dscnt 0x500
	v_mul_f64_e32 v[106:107], v[102:103], v[76:77]
	v_mul_f64_e32 v[76:77], v[104:105], v[76:77]
	s_delay_alu instid0(VALU_DEP_4) | instskip(NEXT) | instid1(VALU_DEP_4)
	v_fma_f64 v[4:5], v[98:99], v[8:9], -v[4:5]
	v_fmac_f64_e32 v[12:13], v[100:101], v[8:9]
	ds_load_b128 v[8:11], v2 offset:896
	ds_load_b128 v[98:101], v2 offset:912
	v_fmac_f64_e32 v[106:107], v[104:105], v[74:75]
	v_fma_f64 v[74:75], v[102:103], v[74:75], -v[76:77]
	s_wait_loadcnt_dscnt 0x401
	v_mul_f64_e32 v[108:109], v[8:9], v[80:81]
	v_mul_f64_e32 v[80:81], v[10:11], v[80:81]
	s_wait_loadcnt_dscnt 0x300
	v_mul_f64_e32 v[76:77], v[98:99], v[84:85]
	v_mul_f64_e32 v[84:85], v[100:101], v[84:85]
	v_add_f64_e32 v[4:5], 0, v[4:5]
	v_add_f64_e32 v[12:13], 0, v[12:13]
	v_fmac_f64_e32 v[108:109], v[10:11], v[78:79]
	v_fma_f64 v[78:79], v[8:9], v[78:79], -v[80:81]
	v_fmac_f64_e32 v[76:77], v[100:101], v[82:83]
	v_fma_f64 v[82:83], v[98:99], v[82:83], -v[84:85]
	v_add_f64_e32 v[74:75], v[4:5], v[74:75]
	v_add_f64_e32 v[12:13], v[12:13], v[106:107]
	ds_load_b128 v[8:11], v2 offset:928
	ds_load_b128 v[2:5], v2 offset:944
	s_wait_loadcnt_dscnt 0x201
	v_mul_f64_e32 v[80:81], v[8:9], v[88:89]
	v_mul_f64_e32 v[88:89], v[10:11], v[88:89]
	s_wait_loadcnt_dscnt 0x100
	v_mul_f64_e32 v[84:85], v[4:5], v[92:93]
	v_add_f64_e32 v[74:75], v[74:75], v[78:79]
	v_add_f64_e32 v[12:13], v[12:13], v[108:109]
	v_mul_f64_e32 v[78:79], v[2:3], v[92:93]
	v_fmac_f64_e32 v[80:81], v[10:11], v[86:87]
	v_fma_f64 v[8:9], v[8:9], v[86:87], -v[88:89]
	v_fma_f64 v[2:3], v[2:3], v[90:91], -v[84:85]
	v_add_f64_e32 v[10:11], v[74:75], v[82:83]
	v_add_f64_e32 v[12:13], v[12:13], v[76:77]
	v_fmac_f64_e32 v[78:79], v[4:5], v[90:91]
	s_delay_alu instid0(VALU_DEP_3) | instskip(NEXT) | instid1(VALU_DEP_3)
	v_add_f64_e32 v[4:5], v[10:11], v[8:9]
	v_add_f64_e32 v[8:9], v[12:13], v[80:81]
	s_delay_alu instid0(VALU_DEP_2) | instskip(NEXT) | instid1(VALU_DEP_2)
	v_add_f64_e32 v[2:3], v[4:5], v[2:3]
	v_add_f64_e32 v[4:5], v[8:9], v[78:79]
	s_wait_loadcnt 0x0
	s_delay_alu instid0(VALU_DEP_2) | instskip(NEXT) | instid1(VALU_DEP_2)
	v_add_f64_e64 v[2:3], v[94:95], -v[2:3]
	v_add_f64_e64 v[4:5], v[96:97], -v[4:5]
	scratch_store_b128 off, v[2:5], off offset:368
	s_wait_xcnt 0x0
	v_cmpx_lt_u32_e32 22, v1
	s_cbranch_execz .LBB93_149
; %bb.148:
	scratch_load_b128 v[2:5], off, s23
	v_mov_b32_e32 v8, 0
	s_delay_alu instid0(VALU_DEP_1)
	v_dual_mov_b32 v9, v8 :: v_dual_mov_b32 v10, v8
	v_mov_b32_e32 v11, v8
	scratch_store_b128 off, v[8:11], off offset:352
	s_wait_loadcnt 0x0
	ds_store_b128 v6, v[2:5]
.LBB93_149:
	s_wait_xcnt 0x0
	s_or_b32 exec_lo, exec_lo, s2
	s_wait_storecnt_dscnt 0x0
	s_barrier_signal -1
	s_barrier_wait -1
	s_clause 0x7
	scratch_load_b128 v[8:11], off, off offset:368
	scratch_load_b128 v[74:77], off, off offset:384
	;; [unrolled: 1-line block ×8, first 2 shown]
	v_mov_b32_e32 v2, 0
	ds_load_b128 v[102:105], v2 offset:848
	ds_load_b128 v[106:109], v2 offset:864
	s_mov_b32 s2, exec_lo
	s_wait_loadcnt_dscnt 0x701
	v_mul_f64_e32 v[4:5], v[104:105], v[10:11]
	v_mul_f64_e32 v[12:13], v[102:103], v[10:11]
	s_wait_loadcnt_dscnt 0x600
	v_mul_f64_e32 v[110:111], v[106:107], v[76:77]
	v_mul_f64_e32 v[76:77], v[108:109], v[76:77]
	s_delay_alu instid0(VALU_DEP_4) | instskip(NEXT) | instid1(VALU_DEP_4)
	v_fma_f64 v[4:5], v[102:103], v[8:9], -v[4:5]
	v_fmac_f64_e32 v[12:13], v[104:105], v[8:9]
	ds_load_b128 v[8:11], v2 offset:880
	ds_load_b128 v[102:105], v2 offset:896
	v_fmac_f64_e32 v[110:111], v[108:109], v[74:75]
	v_fma_f64 v[74:75], v[106:107], v[74:75], -v[76:77]
	s_wait_loadcnt_dscnt 0x501
	v_mul_f64_e32 v[112:113], v[8:9], v[80:81]
	v_mul_f64_e32 v[80:81], v[10:11], v[80:81]
	s_wait_loadcnt_dscnt 0x400
	v_mul_f64_e32 v[106:107], v[102:103], v[84:85]
	v_mul_f64_e32 v[84:85], v[104:105], v[84:85]
	v_add_f64_e32 v[4:5], 0, v[4:5]
	v_add_f64_e32 v[12:13], 0, v[12:13]
	v_fmac_f64_e32 v[112:113], v[10:11], v[78:79]
	v_fma_f64 v[78:79], v[8:9], v[78:79], -v[80:81]
	v_fmac_f64_e32 v[106:107], v[104:105], v[82:83]
	v_fma_f64 v[82:83], v[102:103], v[82:83], -v[84:85]
	v_add_f64_e32 v[4:5], v[4:5], v[74:75]
	v_add_f64_e32 v[12:13], v[12:13], v[110:111]
	ds_load_b128 v[8:11], v2 offset:912
	ds_load_b128 v[74:77], v2 offset:928
	s_wait_loadcnt_dscnt 0x301
	v_mul_f64_e32 v[80:81], v[8:9], v[88:89]
	v_mul_f64_e32 v[88:89], v[10:11], v[88:89]
	s_wait_loadcnt_dscnt 0x200
	v_mul_f64_e32 v[84:85], v[76:77], v[92:93]
	v_add_f64_e32 v[4:5], v[4:5], v[78:79]
	v_add_f64_e32 v[12:13], v[12:13], v[112:113]
	v_mul_f64_e32 v[78:79], v[74:75], v[92:93]
	v_fmac_f64_e32 v[80:81], v[10:11], v[86:87]
	v_fma_f64 v[86:87], v[8:9], v[86:87], -v[88:89]
	ds_load_b128 v[8:11], v2 offset:944
	v_fma_f64 v[74:75], v[74:75], v[90:91], -v[84:85]
	v_add_f64_e32 v[4:5], v[4:5], v[82:83]
	v_add_f64_e32 v[12:13], v[12:13], v[106:107]
	v_fmac_f64_e32 v[78:79], v[76:77], v[90:91]
	s_wait_loadcnt_dscnt 0x100
	v_mul_f64_e32 v[82:83], v[8:9], v[96:97]
	v_mul_f64_e32 v[88:89], v[10:11], v[96:97]
	v_add_f64_e32 v[4:5], v[4:5], v[86:87]
	v_add_f64_e32 v[12:13], v[12:13], v[80:81]
	s_delay_alu instid0(VALU_DEP_4) | instskip(NEXT) | instid1(VALU_DEP_4)
	v_fmac_f64_e32 v[82:83], v[10:11], v[94:95]
	v_fma_f64 v[8:9], v[8:9], v[94:95], -v[88:89]
	s_delay_alu instid0(VALU_DEP_4) | instskip(NEXT) | instid1(VALU_DEP_4)
	v_add_f64_e32 v[4:5], v[4:5], v[74:75]
	v_add_f64_e32 v[10:11], v[12:13], v[78:79]
	s_delay_alu instid0(VALU_DEP_2) | instskip(NEXT) | instid1(VALU_DEP_2)
	v_add_f64_e32 v[4:5], v[4:5], v[8:9]
	v_add_f64_e32 v[10:11], v[10:11], v[82:83]
	s_wait_loadcnt 0x0
	s_delay_alu instid0(VALU_DEP_2) | instskip(NEXT) | instid1(VALU_DEP_2)
	v_add_f64_e64 v[8:9], v[98:99], -v[4:5]
	v_add_f64_e64 v[10:11], v[100:101], -v[10:11]
	scratch_store_b128 off, v[8:11], off offset:352
	s_wait_xcnt 0x0
	v_cmpx_lt_u32_e32 21, v1
	s_cbranch_execz .LBB93_151
; %bb.150:
	scratch_load_b128 v[8:11], off, s24
	v_dual_mov_b32 v3, v2 :: v_dual_mov_b32 v4, v2
	v_mov_b32_e32 v5, v2
	scratch_store_b128 off, v[2:5], off offset:336
	s_wait_loadcnt 0x0
	ds_store_b128 v6, v[8:11]
.LBB93_151:
	s_wait_xcnt 0x0
	s_or_b32 exec_lo, exec_lo, s2
	s_wait_storecnt_dscnt 0x0
	s_barrier_signal -1
	s_barrier_wait -1
	s_clause 0x7
	scratch_load_b128 v[8:11], off, off offset:352
	scratch_load_b128 v[74:77], off, off offset:368
	;; [unrolled: 1-line block ×8, first 2 shown]
	ds_load_b128 v[102:105], v2 offset:832
	ds_load_b128 v[106:109], v2 offset:848
	scratch_load_b128 v[110:113], off, off offset:336
	s_mov_b32 s2, exec_lo
	s_wait_loadcnt_dscnt 0x801
	v_mul_f64_e32 v[4:5], v[104:105], v[10:11]
	v_mul_f64_e32 v[12:13], v[102:103], v[10:11]
	s_wait_loadcnt_dscnt 0x700
	v_mul_f64_e32 v[114:115], v[106:107], v[76:77]
	v_mul_f64_e32 v[76:77], v[108:109], v[76:77]
	s_delay_alu instid0(VALU_DEP_4) | instskip(NEXT) | instid1(VALU_DEP_4)
	v_fma_f64 v[4:5], v[102:103], v[8:9], -v[4:5]
	v_fmac_f64_e32 v[12:13], v[104:105], v[8:9]
	ds_load_b128 v[8:11], v2 offset:864
	ds_load_b128 v[102:105], v2 offset:880
	v_fmac_f64_e32 v[114:115], v[108:109], v[74:75]
	v_fma_f64 v[74:75], v[106:107], v[74:75], -v[76:77]
	s_wait_loadcnt_dscnt 0x601
	v_mul_f64_e32 v[116:117], v[8:9], v[80:81]
	v_mul_f64_e32 v[80:81], v[10:11], v[80:81]
	s_wait_loadcnt_dscnt 0x500
	v_mul_f64_e32 v[106:107], v[102:103], v[84:85]
	v_mul_f64_e32 v[84:85], v[104:105], v[84:85]
	v_add_f64_e32 v[4:5], 0, v[4:5]
	v_add_f64_e32 v[12:13], 0, v[12:13]
	v_fmac_f64_e32 v[116:117], v[10:11], v[78:79]
	v_fma_f64 v[78:79], v[8:9], v[78:79], -v[80:81]
	v_fmac_f64_e32 v[106:107], v[104:105], v[82:83]
	v_fma_f64 v[82:83], v[102:103], v[82:83], -v[84:85]
	v_add_f64_e32 v[4:5], v[4:5], v[74:75]
	v_add_f64_e32 v[12:13], v[12:13], v[114:115]
	ds_load_b128 v[8:11], v2 offset:896
	ds_load_b128 v[74:77], v2 offset:912
	s_wait_loadcnt_dscnt 0x401
	v_mul_f64_e32 v[80:81], v[8:9], v[88:89]
	v_mul_f64_e32 v[88:89], v[10:11], v[88:89]
	s_wait_loadcnt_dscnt 0x300
	v_mul_f64_e32 v[84:85], v[76:77], v[92:93]
	v_add_f64_e32 v[4:5], v[4:5], v[78:79]
	v_add_f64_e32 v[12:13], v[12:13], v[116:117]
	v_mul_f64_e32 v[78:79], v[74:75], v[92:93]
	v_fmac_f64_e32 v[80:81], v[10:11], v[86:87]
	v_fma_f64 v[86:87], v[8:9], v[86:87], -v[88:89]
	v_fma_f64 v[74:75], v[74:75], v[90:91], -v[84:85]
	v_add_f64_e32 v[82:83], v[4:5], v[82:83]
	v_add_f64_e32 v[12:13], v[12:13], v[106:107]
	ds_load_b128 v[8:11], v2 offset:928
	ds_load_b128 v[2:5], v2 offset:944
	v_fmac_f64_e32 v[78:79], v[76:77], v[90:91]
	s_wait_loadcnt_dscnt 0x201
	v_mul_f64_e32 v[88:89], v[8:9], v[96:97]
	v_mul_f64_e32 v[92:93], v[10:11], v[96:97]
	v_add_f64_e32 v[76:77], v[82:83], v[86:87]
	v_add_f64_e32 v[12:13], v[12:13], v[80:81]
	s_wait_loadcnt_dscnt 0x100
	v_mul_f64_e32 v[80:81], v[2:3], v[100:101]
	v_mul_f64_e32 v[82:83], v[4:5], v[100:101]
	v_fmac_f64_e32 v[88:89], v[10:11], v[94:95]
	v_fma_f64 v[8:9], v[8:9], v[94:95], -v[92:93]
	v_add_f64_e32 v[10:11], v[76:77], v[74:75]
	v_add_f64_e32 v[12:13], v[12:13], v[78:79]
	v_fmac_f64_e32 v[80:81], v[4:5], v[98:99]
	v_fma_f64 v[2:3], v[2:3], v[98:99], -v[82:83]
	s_delay_alu instid0(VALU_DEP_4) | instskip(NEXT) | instid1(VALU_DEP_4)
	v_add_f64_e32 v[4:5], v[10:11], v[8:9]
	v_add_f64_e32 v[8:9], v[12:13], v[88:89]
	s_delay_alu instid0(VALU_DEP_2) | instskip(NEXT) | instid1(VALU_DEP_2)
	v_add_f64_e32 v[2:3], v[4:5], v[2:3]
	v_add_f64_e32 v[4:5], v[8:9], v[80:81]
	s_wait_loadcnt 0x0
	s_delay_alu instid0(VALU_DEP_2) | instskip(NEXT) | instid1(VALU_DEP_2)
	v_add_f64_e64 v[2:3], v[110:111], -v[2:3]
	v_add_f64_e64 v[4:5], v[112:113], -v[4:5]
	scratch_store_b128 off, v[2:5], off offset:336
	s_wait_xcnt 0x0
	v_cmpx_lt_u32_e32 20, v1
	s_cbranch_execz .LBB93_153
; %bb.152:
	scratch_load_b128 v[2:5], off, s25
	v_mov_b32_e32 v8, 0
	s_delay_alu instid0(VALU_DEP_1)
	v_dual_mov_b32 v9, v8 :: v_dual_mov_b32 v10, v8
	v_mov_b32_e32 v11, v8
	scratch_store_b128 off, v[8:11], off offset:320
	s_wait_loadcnt 0x0
	ds_store_b128 v6, v[2:5]
.LBB93_153:
	s_wait_xcnt 0x0
	s_or_b32 exec_lo, exec_lo, s2
	s_wait_storecnt_dscnt 0x0
	s_barrier_signal -1
	s_barrier_wait -1
	s_clause 0x8
	scratch_load_b128 v[8:11], off, off offset:336
	scratch_load_b128 v[74:77], off, off offset:352
	;; [unrolled: 1-line block ×9, first 2 shown]
	v_mov_b32_e32 v2, 0
	scratch_load_b128 v[110:113], off, off offset:320
	s_mov_b32 s2, exec_lo
	ds_load_b128 v[106:109], v2 offset:816
	ds_load_b128 v[114:117], v2 offset:832
	s_wait_loadcnt_dscnt 0x901
	v_mul_f64_e32 v[4:5], v[108:109], v[10:11]
	v_mul_f64_e32 v[12:13], v[106:107], v[10:11]
	s_wait_loadcnt_dscnt 0x800
	v_mul_f64_e32 v[118:119], v[114:115], v[76:77]
	v_mul_f64_e32 v[76:77], v[116:117], v[76:77]
	s_delay_alu instid0(VALU_DEP_4) | instskip(NEXT) | instid1(VALU_DEP_4)
	v_fma_f64 v[4:5], v[106:107], v[8:9], -v[4:5]
	v_fmac_f64_e32 v[12:13], v[108:109], v[8:9]
	ds_load_b128 v[8:11], v2 offset:848
	ds_load_b128 v[106:109], v2 offset:864
	v_fmac_f64_e32 v[118:119], v[116:117], v[74:75]
	v_fma_f64 v[74:75], v[114:115], v[74:75], -v[76:77]
	s_wait_loadcnt_dscnt 0x701
	v_mul_f64_e32 v[120:121], v[8:9], v[80:81]
	v_mul_f64_e32 v[80:81], v[10:11], v[80:81]
	s_wait_loadcnt_dscnt 0x600
	v_mul_f64_e32 v[114:115], v[106:107], v[84:85]
	v_mul_f64_e32 v[84:85], v[108:109], v[84:85]
	v_add_f64_e32 v[4:5], 0, v[4:5]
	v_add_f64_e32 v[12:13], 0, v[12:13]
	v_fmac_f64_e32 v[120:121], v[10:11], v[78:79]
	v_fma_f64 v[78:79], v[8:9], v[78:79], -v[80:81]
	v_fmac_f64_e32 v[114:115], v[108:109], v[82:83]
	v_fma_f64 v[82:83], v[106:107], v[82:83], -v[84:85]
	v_add_f64_e32 v[4:5], v[4:5], v[74:75]
	v_add_f64_e32 v[12:13], v[12:13], v[118:119]
	ds_load_b128 v[8:11], v2 offset:880
	ds_load_b128 v[74:77], v2 offset:896
	s_wait_loadcnt_dscnt 0x501
	v_mul_f64_e32 v[116:117], v[8:9], v[88:89]
	v_mul_f64_e32 v[80:81], v[10:11], v[88:89]
	s_wait_loadcnt_dscnt 0x400
	v_mul_f64_e32 v[84:85], v[74:75], v[92:93]
	v_mul_f64_e32 v[88:89], v[76:77], v[92:93]
	v_add_f64_e32 v[4:5], v[4:5], v[78:79]
	v_add_f64_e32 v[12:13], v[12:13], v[120:121]
	v_fmac_f64_e32 v[116:117], v[10:11], v[86:87]
	v_fma_f64 v[86:87], v[8:9], v[86:87], -v[80:81]
	ds_load_b128 v[8:11], v2 offset:912
	ds_load_b128 v[78:81], v2 offset:928
	v_fmac_f64_e32 v[84:85], v[76:77], v[90:91]
	v_fma_f64 v[74:75], v[74:75], v[90:91], -v[88:89]
	v_add_f64_e32 v[4:5], v[4:5], v[82:83]
	v_add_f64_e32 v[12:13], v[12:13], v[114:115]
	s_wait_loadcnt_dscnt 0x301
	v_mul_f64_e32 v[82:83], v[8:9], v[96:97]
	v_mul_f64_e32 v[92:93], v[10:11], v[96:97]
	s_wait_loadcnt_dscnt 0x200
	v_mul_f64_e32 v[76:77], v[78:79], v[100:101]
	v_add_f64_e32 v[4:5], v[4:5], v[86:87]
	v_add_f64_e32 v[12:13], v[12:13], v[116:117]
	v_mul_f64_e32 v[86:87], v[80:81], v[100:101]
	v_fmac_f64_e32 v[82:83], v[10:11], v[94:95]
	v_fma_f64 v[88:89], v[8:9], v[94:95], -v[92:93]
	ds_load_b128 v[8:11], v2 offset:944
	v_fmac_f64_e32 v[76:77], v[80:81], v[98:99]
	v_add_f64_e32 v[4:5], v[4:5], v[74:75]
	v_add_f64_e32 v[12:13], v[12:13], v[84:85]
	s_wait_loadcnt_dscnt 0x100
	v_mul_f64_e32 v[74:75], v[8:9], v[104:105]
	v_mul_f64_e32 v[84:85], v[10:11], v[104:105]
	v_fma_f64 v[78:79], v[78:79], v[98:99], -v[86:87]
	v_add_f64_e32 v[4:5], v[4:5], v[88:89]
	v_add_f64_e32 v[12:13], v[12:13], v[82:83]
	v_fmac_f64_e32 v[74:75], v[10:11], v[102:103]
	v_fma_f64 v[8:9], v[8:9], v[102:103], -v[84:85]
	s_delay_alu instid0(VALU_DEP_4) | instskip(NEXT) | instid1(VALU_DEP_4)
	v_add_f64_e32 v[4:5], v[4:5], v[78:79]
	v_add_f64_e32 v[10:11], v[12:13], v[76:77]
	s_delay_alu instid0(VALU_DEP_2) | instskip(NEXT) | instid1(VALU_DEP_2)
	v_add_f64_e32 v[4:5], v[4:5], v[8:9]
	v_add_f64_e32 v[10:11], v[10:11], v[74:75]
	s_wait_loadcnt 0x0
	s_delay_alu instid0(VALU_DEP_2) | instskip(NEXT) | instid1(VALU_DEP_2)
	v_add_f64_e64 v[8:9], v[110:111], -v[4:5]
	v_add_f64_e64 v[10:11], v[112:113], -v[10:11]
	scratch_store_b128 off, v[8:11], off offset:320
	s_wait_xcnt 0x0
	v_cmpx_lt_u32_e32 19, v1
	s_cbranch_execz .LBB93_155
; %bb.154:
	scratch_load_b128 v[8:11], off, s26
	v_dual_mov_b32 v3, v2 :: v_dual_mov_b32 v4, v2
	v_mov_b32_e32 v5, v2
	scratch_store_b128 off, v[2:5], off offset:304
	s_wait_loadcnt 0x0
	ds_store_b128 v6, v[8:11]
.LBB93_155:
	s_wait_xcnt 0x0
	s_or_b32 exec_lo, exec_lo, s2
	s_wait_storecnt_dscnt 0x0
	s_barrier_signal -1
	s_barrier_wait -1
	s_clause 0x9
	scratch_load_b128 v[8:11], off, off offset:320
	scratch_load_b128 v[74:77], off, off offset:336
	;; [unrolled: 1-line block ×10, first 2 shown]
	ds_load_b128 v[110:113], v2 offset:800
	ds_load_b128 v[114:117], v2 offset:816
	scratch_load_b128 v[118:121], off, off offset:304
	s_mov_b32 s2, exec_lo
	s_wait_loadcnt_dscnt 0xa01
	v_mul_f64_e32 v[4:5], v[112:113], v[10:11]
	v_mul_f64_e32 v[12:13], v[110:111], v[10:11]
	s_wait_loadcnt_dscnt 0x900
	v_mul_f64_e32 v[122:123], v[114:115], v[76:77]
	v_mul_f64_e32 v[76:77], v[116:117], v[76:77]
	s_delay_alu instid0(VALU_DEP_4) | instskip(NEXT) | instid1(VALU_DEP_4)
	v_fma_f64 v[4:5], v[110:111], v[8:9], -v[4:5]
	v_fmac_f64_e32 v[12:13], v[112:113], v[8:9]
	ds_load_b128 v[8:11], v2 offset:832
	ds_load_b128 v[110:113], v2 offset:848
	v_fmac_f64_e32 v[122:123], v[116:117], v[74:75]
	v_fma_f64 v[74:75], v[114:115], v[74:75], -v[76:77]
	s_wait_loadcnt_dscnt 0x801
	v_mul_f64_e32 v[124:125], v[8:9], v[80:81]
	v_mul_f64_e32 v[80:81], v[10:11], v[80:81]
	s_wait_loadcnt_dscnt 0x700
	v_mul_f64_e32 v[114:115], v[110:111], v[84:85]
	v_mul_f64_e32 v[84:85], v[112:113], v[84:85]
	v_add_f64_e32 v[4:5], 0, v[4:5]
	v_add_f64_e32 v[12:13], 0, v[12:13]
	v_fmac_f64_e32 v[124:125], v[10:11], v[78:79]
	v_fma_f64 v[78:79], v[8:9], v[78:79], -v[80:81]
	v_fmac_f64_e32 v[114:115], v[112:113], v[82:83]
	v_fma_f64 v[82:83], v[110:111], v[82:83], -v[84:85]
	v_add_f64_e32 v[4:5], v[4:5], v[74:75]
	v_add_f64_e32 v[12:13], v[12:13], v[122:123]
	ds_load_b128 v[8:11], v2 offset:864
	ds_load_b128 v[74:77], v2 offset:880
	s_wait_loadcnt_dscnt 0x601
	v_mul_f64_e32 v[116:117], v[8:9], v[88:89]
	v_mul_f64_e32 v[80:81], v[10:11], v[88:89]
	s_wait_loadcnt_dscnt 0x500
	v_mul_f64_e32 v[84:85], v[74:75], v[92:93]
	v_mul_f64_e32 v[88:89], v[76:77], v[92:93]
	v_add_f64_e32 v[4:5], v[4:5], v[78:79]
	v_add_f64_e32 v[12:13], v[12:13], v[124:125]
	v_fmac_f64_e32 v[116:117], v[10:11], v[86:87]
	v_fma_f64 v[86:87], v[8:9], v[86:87], -v[80:81]
	ds_load_b128 v[8:11], v2 offset:896
	ds_load_b128 v[78:81], v2 offset:912
	v_fmac_f64_e32 v[84:85], v[76:77], v[90:91]
	v_fma_f64 v[74:75], v[74:75], v[90:91], -v[88:89]
	v_add_f64_e32 v[4:5], v[4:5], v[82:83]
	v_add_f64_e32 v[12:13], v[12:13], v[114:115]
	s_wait_loadcnt_dscnt 0x401
	v_mul_f64_e32 v[82:83], v[8:9], v[96:97]
	v_mul_f64_e32 v[92:93], v[10:11], v[96:97]
	s_wait_loadcnt_dscnt 0x300
	v_mul_f64_e32 v[76:77], v[78:79], v[100:101]
	v_add_f64_e32 v[4:5], v[4:5], v[86:87]
	v_add_f64_e32 v[12:13], v[12:13], v[116:117]
	v_mul_f64_e32 v[86:87], v[80:81], v[100:101]
	v_fmac_f64_e32 v[82:83], v[10:11], v[94:95]
	v_fma_f64 v[88:89], v[8:9], v[94:95], -v[92:93]
	v_fmac_f64_e32 v[76:77], v[80:81], v[98:99]
	v_add_f64_e32 v[74:75], v[4:5], v[74:75]
	v_add_f64_e32 v[12:13], v[12:13], v[84:85]
	ds_load_b128 v[8:11], v2 offset:928
	ds_load_b128 v[2:5], v2 offset:944
	v_fma_f64 v[78:79], v[78:79], v[98:99], -v[86:87]
	s_wait_loadcnt_dscnt 0x201
	v_mul_f64_e32 v[84:85], v[8:9], v[104:105]
	v_mul_f64_e32 v[90:91], v[10:11], v[104:105]
	s_wait_loadcnt_dscnt 0x100
	v_mul_f64_e32 v[80:81], v[2:3], v[108:109]
	v_add_f64_e32 v[74:75], v[74:75], v[88:89]
	v_add_f64_e32 v[12:13], v[12:13], v[82:83]
	v_mul_f64_e32 v[82:83], v[4:5], v[108:109]
	v_fmac_f64_e32 v[84:85], v[10:11], v[102:103]
	v_fma_f64 v[8:9], v[8:9], v[102:103], -v[90:91]
	v_fmac_f64_e32 v[80:81], v[4:5], v[106:107]
	v_add_f64_e32 v[10:11], v[74:75], v[78:79]
	v_add_f64_e32 v[12:13], v[12:13], v[76:77]
	v_fma_f64 v[2:3], v[2:3], v[106:107], -v[82:83]
	s_delay_alu instid0(VALU_DEP_3) | instskip(NEXT) | instid1(VALU_DEP_3)
	v_add_f64_e32 v[4:5], v[10:11], v[8:9]
	v_add_f64_e32 v[8:9], v[12:13], v[84:85]
	s_delay_alu instid0(VALU_DEP_2) | instskip(NEXT) | instid1(VALU_DEP_2)
	v_add_f64_e32 v[2:3], v[4:5], v[2:3]
	v_add_f64_e32 v[4:5], v[8:9], v[80:81]
	s_wait_loadcnt 0x0
	s_delay_alu instid0(VALU_DEP_2) | instskip(NEXT) | instid1(VALU_DEP_2)
	v_add_f64_e64 v[2:3], v[118:119], -v[2:3]
	v_add_f64_e64 v[4:5], v[120:121], -v[4:5]
	scratch_store_b128 off, v[2:5], off offset:304
	s_wait_xcnt 0x0
	v_cmpx_lt_u32_e32 18, v1
	s_cbranch_execz .LBB93_157
; %bb.156:
	scratch_load_b128 v[2:5], off, s27
	v_mov_b32_e32 v8, 0
	s_delay_alu instid0(VALU_DEP_1)
	v_dual_mov_b32 v9, v8 :: v_dual_mov_b32 v10, v8
	v_mov_b32_e32 v11, v8
	scratch_store_b128 off, v[8:11], off offset:288
	s_wait_loadcnt 0x0
	ds_store_b128 v6, v[2:5]
.LBB93_157:
	s_wait_xcnt 0x0
	s_or_b32 exec_lo, exec_lo, s2
	s_wait_storecnt_dscnt 0x0
	s_barrier_signal -1
	s_barrier_wait -1
	s_clause 0x9
	scratch_load_b128 v[8:11], off, off offset:304
	scratch_load_b128 v[74:77], off, off offset:320
	;; [unrolled: 1-line block ×10, first 2 shown]
	v_mov_b32_e32 v2, 0
	s_mov_b32 s2, exec_lo
	ds_load_b128 v[110:113], v2 offset:784
	s_clause 0x1
	scratch_load_b128 v[114:117], off, off offset:464
	scratch_load_b128 v[118:121], off, off offset:288
	s_wait_loadcnt_dscnt 0xb00
	v_mul_f64_e32 v[4:5], v[112:113], v[10:11]
	v_mul_f64_e32 v[12:13], v[110:111], v[10:11]
	ds_load_b128 v[122:125], v2 offset:800
	s_wait_loadcnt_dscnt 0xa00
	v_mul_f64_e32 v[126:127], v[122:123], v[76:77]
	v_mul_f64_e32 v[76:77], v[124:125], v[76:77]
	v_fma_f64 v[4:5], v[110:111], v[8:9], -v[4:5]
	v_fmac_f64_e32 v[12:13], v[112:113], v[8:9]
	ds_load_b128 v[8:11], v2 offset:816
	ds_load_b128 v[110:113], v2 offset:832
	s_wait_loadcnt_dscnt 0x901
	v_mul_f64_e32 v[128:129], v[8:9], v[80:81]
	v_mul_f64_e32 v[80:81], v[10:11], v[80:81]
	v_fmac_f64_e32 v[126:127], v[124:125], v[74:75]
	v_fma_f64 v[74:75], v[122:123], v[74:75], -v[76:77]
	s_wait_loadcnt_dscnt 0x800
	v_mul_f64_e32 v[122:123], v[110:111], v[84:85]
	v_mul_f64_e32 v[84:85], v[112:113], v[84:85]
	v_add_f64_e32 v[4:5], 0, v[4:5]
	v_add_f64_e32 v[12:13], 0, v[12:13]
	v_fmac_f64_e32 v[128:129], v[10:11], v[78:79]
	v_fma_f64 v[78:79], v[8:9], v[78:79], -v[80:81]
	v_fmac_f64_e32 v[122:123], v[112:113], v[82:83]
	v_fma_f64 v[82:83], v[110:111], v[82:83], -v[84:85]
	v_add_f64_e32 v[4:5], v[4:5], v[74:75]
	v_add_f64_e32 v[12:13], v[12:13], v[126:127]
	ds_load_b128 v[8:11], v2 offset:848
	ds_load_b128 v[74:77], v2 offset:864
	s_wait_loadcnt_dscnt 0x701
	v_mul_f64_e32 v[124:125], v[8:9], v[88:89]
	v_mul_f64_e32 v[80:81], v[10:11], v[88:89]
	s_wait_loadcnt_dscnt 0x600
	v_mul_f64_e32 v[84:85], v[74:75], v[92:93]
	v_mul_f64_e32 v[88:89], v[76:77], v[92:93]
	v_add_f64_e32 v[4:5], v[4:5], v[78:79]
	v_add_f64_e32 v[12:13], v[12:13], v[128:129]
	v_fmac_f64_e32 v[124:125], v[10:11], v[86:87]
	v_fma_f64 v[86:87], v[8:9], v[86:87], -v[80:81]
	ds_load_b128 v[8:11], v2 offset:880
	ds_load_b128 v[78:81], v2 offset:896
	v_fmac_f64_e32 v[84:85], v[76:77], v[90:91]
	v_fma_f64 v[74:75], v[74:75], v[90:91], -v[88:89]
	v_add_f64_e32 v[4:5], v[4:5], v[82:83]
	v_add_f64_e32 v[12:13], v[12:13], v[122:123]
	s_wait_loadcnt_dscnt 0x501
	v_mul_f64_e32 v[82:83], v[8:9], v[96:97]
	v_mul_f64_e32 v[92:93], v[10:11], v[96:97]
	s_wait_loadcnt_dscnt 0x400
	v_mul_f64_e32 v[88:89], v[80:81], v[100:101]
	v_add_f64_e32 v[4:5], v[4:5], v[86:87]
	v_add_f64_e32 v[12:13], v[12:13], v[124:125]
	v_mul_f64_e32 v[86:87], v[78:79], v[100:101]
	v_fmac_f64_e32 v[82:83], v[10:11], v[94:95]
	v_fma_f64 v[90:91], v[8:9], v[94:95], -v[92:93]
	v_fma_f64 v[78:79], v[78:79], v[98:99], -v[88:89]
	v_add_f64_e32 v[4:5], v[4:5], v[74:75]
	v_add_f64_e32 v[12:13], v[12:13], v[84:85]
	ds_load_b128 v[8:11], v2 offset:912
	ds_load_b128 v[74:77], v2 offset:928
	v_fmac_f64_e32 v[86:87], v[80:81], v[98:99]
	s_wait_loadcnt_dscnt 0x301
	v_mul_f64_e32 v[84:85], v[8:9], v[104:105]
	v_mul_f64_e32 v[92:93], v[10:11], v[104:105]
	s_wait_loadcnt_dscnt 0x200
	v_mul_f64_e32 v[80:81], v[74:75], v[108:109]
	v_add_f64_e32 v[4:5], v[4:5], v[90:91]
	v_add_f64_e32 v[12:13], v[12:13], v[82:83]
	v_mul_f64_e32 v[82:83], v[76:77], v[108:109]
	v_fmac_f64_e32 v[84:85], v[10:11], v[102:103]
	v_fma_f64 v[88:89], v[8:9], v[102:103], -v[92:93]
	ds_load_b128 v[8:11], v2 offset:944
	v_fmac_f64_e32 v[80:81], v[76:77], v[106:107]
	v_add_f64_e32 v[4:5], v[4:5], v[78:79]
	v_add_f64_e32 v[12:13], v[12:13], v[86:87]
	v_fma_f64 v[74:75], v[74:75], v[106:107], -v[82:83]
	s_wait_loadcnt_dscnt 0x100
	v_mul_f64_e32 v[78:79], v[8:9], v[116:117]
	v_mul_f64_e32 v[86:87], v[10:11], v[116:117]
	v_add_f64_e32 v[4:5], v[4:5], v[88:89]
	v_add_f64_e32 v[12:13], v[12:13], v[84:85]
	s_delay_alu instid0(VALU_DEP_4) | instskip(NEXT) | instid1(VALU_DEP_4)
	v_fmac_f64_e32 v[78:79], v[10:11], v[114:115]
	v_fma_f64 v[8:9], v[8:9], v[114:115], -v[86:87]
	s_delay_alu instid0(VALU_DEP_4) | instskip(NEXT) | instid1(VALU_DEP_4)
	v_add_f64_e32 v[4:5], v[4:5], v[74:75]
	v_add_f64_e32 v[10:11], v[12:13], v[80:81]
	s_delay_alu instid0(VALU_DEP_2) | instskip(NEXT) | instid1(VALU_DEP_2)
	v_add_f64_e32 v[4:5], v[4:5], v[8:9]
	v_add_f64_e32 v[10:11], v[10:11], v[78:79]
	s_wait_loadcnt 0x0
	s_delay_alu instid0(VALU_DEP_2) | instskip(NEXT) | instid1(VALU_DEP_2)
	v_add_f64_e64 v[8:9], v[118:119], -v[4:5]
	v_add_f64_e64 v[10:11], v[120:121], -v[10:11]
	scratch_store_b128 off, v[8:11], off offset:288
	s_wait_xcnt 0x0
	v_cmpx_lt_u32_e32 17, v1
	s_cbranch_execz .LBB93_159
; %bb.158:
	scratch_load_b128 v[8:11], off, s28
	v_dual_mov_b32 v3, v2 :: v_dual_mov_b32 v4, v2
	v_mov_b32_e32 v5, v2
	scratch_store_b128 off, v[2:5], off offset:272
	s_wait_loadcnt 0x0
	ds_store_b128 v6, v[8:11]
.LBB93_159:
	s_wait_xcnt 0x0
	s_or_b32 exec_lo, exec_lo, s2
	s_wait_storecnt_dscnt 0x0
	s_barrier_signal -1
	s_barrier_wait -1
	s_clause 0x9
	scratch_load_b128 v[8:11], off, off offset:288
	scratch_load_b128 v[74:77], off, off offset:304
	;; [unrolled: 1-line block ×10, first 2 shown]
	ds_load_b128 v[110:113], v2 offset:768
	ds_load_b128 v[118:121], v2 offset:784
	s_clause 0x1
	scratch_load_b128 v[114:117], off, off offset:448
	scratch_load_b128 v[122:125], off, off offset:272
	s_mov_b32 s2, exec_lo
	s_wait_loadcnt_dscnt 0xb01
	v_mul_f64_e32 v[4:5], v[112:113], v[10:11]
	v_mul_f64_e32 v[130:131], v[110:111], v[10:11]
	scratch_load_b128 v[10:13], off, off offset:464
	s_wait_loadcnt_dscnt 0xb00
	v_mul_f64_e32 v[132:133], v[118:119], v[76:77]
	v_mul_f64_e32 v[76:77], v[120:121], v[76:77]
	v_fma_f64 v[4:5], v[110:111], v[8:9], -v[4:5]
	v_fmac_f64_e32 v[130:131], v[112:113], v[8:9]
	ds_load_b128 v[110:113], v2 offset:800
	ds_load_b128 v[126:129], v2 offset:816
	v_fmac_f64_e32 v[132:133], v[120:121], v[74:75]
	v_fma_f64 v[74:75], v[118:119], v[74:75], -v[76:77]
	s_wait_loadcnt_dscnt 0xa01
	v_mul_f64_e32 v[8:9], v[110:111], v[80:81]
	v_mul_f64_e32 v[80:81], v[112:113], v[80:81]
	s_wait_loadcnt_dscnt 0x900
	v_mul_f64_e32 v[118:119], v[126:127], v[84:85]
	v_mul_f64_e32 v[84:85], v[128:129], v[84:85]
	v_add_f64_e32 v[4:5], 0, v[4:5]
	v_add_f64_e32 v[76:77], 0, v[130:131]
	v_fmac_f64_e32 v[8:9], v[112:113], v[78:79]
	v_fma_f64 v[110:111], v[110:111], v[78:79], -v[80:81]
	v_fmac_f64_e32 v[118:119], v[128:129], v[82:83]
	v_fma_f64 v[82:83], v[126:127], v[82:83], -v[84:85]
	v_add_f64_e32 v[4:5], v[4:5], v[74:75]
	v_add_f64_e32 v[112:113], v[76:77], v[132:133]
	ds_load_b128 v[74:77], v2 offset:832
	ds_load_b128 v[78:81], v2 offset:848
	s_wait_loadcnt_dscnt 0x801
	v_mul_f64_e32 v[120:121], v[74:75], v[88:89]
	v_mul_f64_e32 v[88:89], v[76:77], v[88:89]
	v_add_f64_e32 v[4:5], v[4:5], v[110:111]
	v_add_f64_e32 v[8:9], v[112:113], v[8:9]
	s_wait_loadcnt_dscnt 0x700
	v_mul_f64_e32 v[110:111], v[78:79], v[92:93]
	v_mul_f64_e32 v[92:93], v[80:81], v[92:93]
	v_fmac_f64_e32 v[120:121], v[76:77], v[86:87]
	v_fma_f64 v[86:87], v[74:75], v[86:87], -v[88:89]
	v_add_f64_e32 v[4:5], v[4:5], v[82:83]
	v_add_f64_e32 v[8:9], v[8:9], v[118:119]
	ds_load_b128 v[74:77], v2 offset:864
	ds_load_b128 v[82:85], v2 offset:880
	v_fmac_f64_e32 v[110:111], v[80:81], v[90:91]
	v_fma_f64 v[78:79], v[78:79], v[90:91], -v[92:93]
	s_wait_loadcnt_dscnt 0x601
	v_mul_f64_e32 v[88:89], v[74:75], v[96:97]
	v_mul_f64_e32 v[96:97], v[76:77], v[96:97]
	s_wait_loadcnt_dscnt 0x500
	v_mul_f64_e32 v[90:91], v[84:85], v[100:101]
	v_add_f64_e32 v[4:5], v[4:5], v[86:87]
	v_add_f64_e32 v[8:9], v[8:9], v[120:121]
	v_mul_f64_e32 v[86:87], v[82:83], v[100:101]
	v_fmac_f64_e32 v[88:89], v[76:77], v[94:95]
	v_fma_f64 v[92:93], v[74:75], v[94:95], -v[96:97]
	v_fma_f64 v[82:83], v[82:83], v[98:99], -v[90:91]
	v_add_f64_e32 v[4:5], v[4:5], v[78:79]
	v_add_f64_e32 v[8:9], v[8:9], v[110:111]
	ds_load_b128 v[74:77], v2 offset:896
	ds_load_b128 v[78:81], v2 offset:912
	v_fmac_f64_e32 v[86:87], v[84:85], v[98:99]
	s_wait_loadcnt_dscnt 0x401
	v_mul_f64_e32 v[94:95], v[74:75], v[104:105]
	v_mul_f64_e32 v[96:97], v[76:77], v[104:105]
	s_wait_loadcnt_dscnt 0x300
	v_mul_f64_e32 v[84:85], v[78:79], v[108:109]
	v_add_f64_e32 v[4:5], v[4:5], v[92:93]
	v_add_f64_e32 v[8:9], v[8:9], v[88:89]
	v_mul_f64_e32 v[88:89], v[80:81], v[108:109]
	v_fmac_f64_e32 v[94:95], v[76:77], v[102:103]
	v_fma_f64 v[90:91], v[74:75], v[102:103], -v[96:97]
	v_fmac_f64_e32 v[84:85], v[80:81], v[106:107]
	v_add_f64_e32 v[82:83], v[4:5], v[82:83]
	v_add_f64_e32 v[8:9], v[8:9], v[86:87]
	ds_load_b128 v[74:77], v2 offset:928
	ds_load_b128 v[2:5], v2 offset:944
	v_fma_f64 v[78:79], v[78:79], v[106:107], -v[88:89]
	s_wait_loadcnt_dscnt 0x201
	v_mul_f64_e32 v[86:87], v[74:75], v[116:117]
	v_mul_f64_e32 v[92:93], v[76:77], v[116:117]
	v_add_f64_e32 v[80:81], v[82:83], v[90:91]
	v_add_f64_e32 v[8:9], v[8:9], v[94:95]
	s_wait_loadcnt_dscnt 0x0
	v_mul_f64_e32 v[82:83], v[2:3], v[12:13]
	v_mul_f64_e32 v[12:13], v[4:5], v[12:13]
	v_fmac_f64_e32 v[86:87], v[76:77], v[114:115]
	v_fma_f64 v[74:75], v[74:75], v[114:115], -v[92:93]
	v_add_f64_e32 v[76:77], v[80:81], v[78:79]
	v_add_f64_e32 v[8:9], v[8:9], v[84:85]
	v_fmac_f64_e32 v[82:83], v[4:5], v[10:11]
	v_fma_f64 v[2:3], v[2:3], v[10:11], -v[12:13]
	s_delay_alu instid0(VALU_DEP_4) | instskip(NEXT) | instid1(VALU_DEP_4)
	v_add_f64_e32 v[4:5], v[76:77], v[74:75]
	v_add_f64_e32 v[8:9], v[8:9], v[86:87]
	s_delay_alu instid0(VALU_DEP_2) | instskip(NEXT) | instid1(VALU_DEP_2)
	v_add_f64_e32 v[2:3], v[4:5], v[2:3]
	v_add_f64_e32 v[4:5], v[8:9], v[82:83]
	s_delay_alu instid0(VALU_DEP_2) | instskip(NEXT) | instid1(VALU_DEP_2)
	v_add_f64_e64 v[2:3], v[122:123], -v[2:3]
	v_add_f64_e64 v[4:5], v[124:125], -v[4:5]
	scratch_store_b128 off, v[2:5], off offset:272
	s_wait_xcnt 0x0
	v_cmpx_lt_u32_e32 16, v1
	s_cbranch_execz .LBB93_161
; %bb.160:
	scratch_load_b128 v[2:5], off, s29
	v_mov_b32_e32 v8, 0
	s_delay_alu instid0(VALU_DEP_1)
	v_dual_mov_b32 v9, v8 :: v_dual_mov_b32 v10, v8
	v_mov_b32_e32 v11, v8
	scratch_store_b128 off, v[8:11], off offset:256
	s_wait_loadcnt 0x0
	ds_store_b128 v6, v[2:5]
.LBB93_161:
	s_wait_xcnt 0x0
	s_or_b32 exec_lo, exec_lo, s2
	s_wait_storecnt_dscnt 0x0
	s_barrier_signal -1
	s_barrier_wait -1
	s_clause 0x9
	scratch_load_b128 v[8:11], off, off offset:272
	scratch_load_b128 v[74:77], off, off offset:288
	;; [unrolled: 1-line block ×10, first 2 shown]
	v_mov_b32_e32 v2, 0
	s_mov_b32 s2, exec_lo
	ds_load_b128 v[110:113], v2 offset:752
	s_clause 0x2
	scratch_load_b128 v[114:117], off, off offset:432
	scratch_load_b128 v[118:121], off, off offset:256
	;; [unrolled: 1-line block ×3, first 2 shown]
	s_wait_loadcnt_dscnt 0xc00
	v_mul_f64_e32 v[4:5], v[112:113], v[10:11]
	v_mul_f64_e32 v[134:135], v[110:111], v[10:11]
	ds_load_b128 v[122:125], v2 offset:768
	scratch_load_b128 v[10:13], off, off offset:448
	ds_load_b128 v[130:133], v2 offset:800
	v_fma_f64 v[4:5], v[110:111], v[8:9], -v[4:5]
	v_fmac_f64_e32 v[134:135], v[112:113], v[8:9]
	ds_load_b128 v[110:113], v2 offset:784
	s_wait_loadcnt_dscnt 0xc02
	v_mul_f64_e32 v[136:137], v[122:123], v[76:77]
	v_mul_f64_e32 v[76:77], v[124:125], v[76:77]
	s_wait_loadcnt_dscnt 0xb00
	v_mul_f64_e32 v[8:9], v[110:111], v[80:81]
	v_mul_f64_e32 v[80:81], v[112:113], v[80:81]
	v_add_f64_e32 v[4:5], 0, v[4:5]
	v_fmac_f64_e32 v[136:137], v[124:125], v[74:75]
	v_fma_f64 v[74:75], v[122:123], v[74:75], -v[76:77]
	v_add_f64_e32 v[76:77], 0, v[134:135]
	s_wait_loadcnt 0xa
	v_mul_f64_e32 v[122:123], v[130:131], v[84:85]
	v_mul_f64_e32 v[84:85], v[132:133], v[84:85]
	v_fmac_f64_e32 v[8:9], v[112:113], v[78:79]
	v_fma_f64 v[110:111], v[110:111], v[78:79], -v[80:81]
	v_add_f64_e32 v[4:5], v[4:5], v[74:75]
	v_add_f64_e32 v[112:113], v[76:77], v[136:137]
	ds_load_b128 v[74:77], v2 offset:816
	ds_load_b128 v[78:81], v2 offset:832
	v_fmac_f64_e32 v[122:123], v[132:133], v[82:83]
	v_fma_f64 v[82:83], v[130:131], v[82:83], -v[84:85]
	s_wait_loadcnt_dscnt 0x901
	v_mul_f64_e32 v[124:125], v[74:75], v[88:89]
	v_mul_f64_e32 v[88:89], v[76:77], v[88:89]
	v_add_f64_e32 v[4:5], v[4:5], v[110:111]
	v_add_f64_e32 v[8:9], v[112:113], v[8:9]
	s_wait_loadcnt_dscnt 0x800
	v_mul_f64_e32 v[110:111], v[78:79], v[92:93]
	v_mul_f64_e32 v[92:93], v[80:81], v[92:93]
	v_fmac_f64_e32 v[124:125], v[76:77], v[86:87]
	v_fma_f64 v[86:87], v[74:75], v[86:87], -v[88:89]
	v_add_f64_e32 v[4:5], v[4:5], v[82:83]
	v_add_f64_e32 v[8:9], v[8:9], v[122:123]
	ds_load_b128 v[74:77], v2 offset:848
	ds_load_b128 v[82:85], v2 offset:864
	v_fmac_f64_e32 v[110:111], v[80:81], v[90:91]
	v_fma_f64 v[78:79], v[78:79], v[90:91], -v[92:93]
	s_wait_loadcnt_dscnt 0x701
	v_mul_f64_e32 v[88:89], v[74:75], v[96:97]
	v_mul_f64_e32 v[96:97], v[76:77], v[96:97]
	s_wait_loadcnt_dscnt 0x600
	v_mul_f64_e32 v[90:91], v[84:85], v[100:101]
	v_add_f64_e32 v[4:5], v[4:5], v[86:87]
	v_add_f64_e32 v[8:9], v[8:9], v[124:125]
	v_mul_f64_e32 v[86:87], v[82:83], v[100:101]
	v_fmac_f64_e32 v[88:89], v[76:77], v[94:95]
	v_fma_f64 v[92:93], v[74:75], v[94:95], -v[96:97]
	v_fma_f64 v[82:83], v[82:83], v[98:99], -v[90:91]
	v_add_f64_e32 v[4:5], v[4:5], v[78:79]
	v_add_f64_e32 v[8:9], v[8:9], v[110:111]
	ds_load_b128 v[74:77], v2 offset:880
	ds_load_b128 v[78:81], v2 offset:896
	v_fmac_f64_e32 v[86:87], v[84:85], v[98:99]
	s_wait_loadcnt_dscnt 0x501
	v_mul_f64_e32 v[94:95], v[74:75], v[104:105]
	v_mul_f64_e32 v[96:97], v[76:77], v[104:105]
	s_wait_loadcnt_dscnt 0x400
	v_mul_f64_e32 v[90:91], v[80:81], v[108:109]
	v_add_f64_e32 v[4:5], v[4:5], v[92:93]
	v_add_f64_e32 v[8:9], v[8:9], v[88:89]
	v_mul_f64_e32 v[88:89], v[78:79], v[108:109]
	v_fmac_f64_e32 v[94:95], v[76:77], v[102:103]
	v_fma_f64 v[92:93], v[74:75], v[102:103], -v[96:97]
	v_fma_f64 v[78:79], v[78:79], v[106:107], -v[90:91]
	v_add_f64_e32 v[4:5], v[4:5], v[82:83]
	v_add_f64_e32 v[8:9], v[8:9], v[86:87]
	ds_load_b128 v[74:77], v2 offset:912
	ds_load_b128 v[82:85], v2 offset:928
	v_fmac_f64_e32 v[88:89], v[80:81], v[106:107]
	s_wait_loadcnt_dscnt 0x301
	v_mul_f64_e32 v[86:87], v[74:75], v[116:117]
	v_mul_f64_e32 v[96:97], v[76:77], v[116:117]
	s_wait_loadcnt_dscnt 0x0
	v_mul_f64_e32 v[80:81], v[82:83], v[12:13]
	v_add_f64_e32 v[4:5], v[4:5], v[92:93]
	v_add_f64_e32 v[8:9], v[8:9], v[94:95]
	v_mul_f64_e32 v[12:13], v[84:85], v[12:13]
	v_fmac_f64_e32 v[86:87], v[76:77], v[114:115]
	v_fma_f64 v[90:91], v[74:75], v[114:115], -v[96:97]
	ds_load_b128 v[74:77], v2 offset:944
	v_fmac_f64_e32 v[80:81], v[84:85], v[10:11]
	v_add_f64_e32 v[4:5], v[4:5], v[78:79]
	v_add_f64_e32 v[8:9], v[8:9], v[88:89]
	v_fma_f64 v[10:11], v[82:83], v[10:11], -v[12:13]
	s_wait_dscnt 0x0
	v_mul_f64_e32 v[78:79], v[74:75], v[128:129]
	v_mul_f64_e32 v[88:89], v[76:77], v[128:129]
	v_add_f64_e32 v[4:5], v[4:5], v[90:91]
	v_add_f64_e32 v[8:9], v[8:9], v[86:87]
	s_delay_alu instid0(VALU_DEP_4) | instskip(NEXT) | instid1(VALU_DEP_4)
	v_fmac_f64_e32 v[78:79], v[76:77], v[126:127]
	v_fma_f64 v[12:13], v[74:75], v[126:127], -v[88:89]
	s_delay_alu instid0(VALU_DEP_4) | instskip(NEXT) | instid1(VALU_DEP_4)
	v_add_f64_e32 v[4:5], v[4:5], v[10:11]
	v_add_f64_e32 v[8:9], v[8:9], v[80:81]
	s_delay_alu instid0(VALU_DEP_2) | instskip(NEXT) | instid1(VALU_DEP_2)
	v_add_f64_e32 v[4:5], v[4:5], v[12:13]
	v_add_f64_e32 v[10:11], v[8:9], v[78:79]
	s_delay_alu instid0(VALU_DEP_2) | instskip(NEXT) | instid1(VALU_DEP_2)
	v_add_f64_e64 v[8:9], v[118:119], -v[4:5]
	v_add_f64_e64 v[10:11], v[120:121], -v[10:11]
	scratch_store_b128 off, v[8:11], off offset:256
	s_wait_xcnt 0x0
	v_cmpx_lt_u32_e32 15, v1
	s_cbranch_execz .LBB93_163
; %bb.162:
	scratch_load_b128 v[8:11], off, s30
	v_dual_mov_b32 v3, v2 :: v_dual_mov_b32 v4, v2
	v_mov_b32_e32 v5, v2
	scratch_store_b128 off, v[2:5], off offset:240
	s_wait_loadcnt 0x0
	ds_store_b128 v6, v[8:11]
.LBB93_163:
	s_wait_xcnt 0x0
	s_or_b32 exec_lo, exec_lo, s2
	s_wait_storecnt_dscnt 0x0
	s_barrier_signal -1
	s_barrier_wait -1
	s_clause 0x9
	scratch_load_b128 v[8:11], off, off offset:256
	scratch_load_b128 v[74:77], off, off offset:272
	scratch_load_b128 v[78:81], off, off offset:288
	scratch_load_b128 v[82:85], off, off offset:304
	scratch_load_b128 v[86:89], off, off offset:320
	scratch_load_b128 v[90:93], off, off offset:336
	scratch_load_b128 v[94:97], off, off offset:352
	scratch_load_b128 v[98:101], off, off offset:368
	scratch_load_b128 v[102:105], off, off offset:384
	scratch_load_b128 v[106:109], off, off offset:400
	ds_load_b128 v[110:113], v2 offset:736
	ds_load_b128 v[118:121], v2 offset:752
	s_clause 0x1
	scratch_load_b128 v[114:117], off, off offset:416
	scratch_load_b128 v[122:125], off, off offset:240
	s_mov_b32 s2, exec_lo
	s_wait_loadcnt_dscnt 0xb01
	v_mul_f64_e32 v[4:5], v[112:113], v[10:11]
	v_mul_f64_e32 v[134:135], v[110:111], v[10:11]
	scratch_load_b128 v[10:13], off, off offset:432
	s_wait_loadcnt_dscnt 0xb00
	v_mul_f64_e32 v[136:137], v[118:119], v[76:77]
	v_mul_f64_e32 v[76:77], v[120:121], v[76:77]
	v_fma_f64 v[4:5], v[110:111], v[8:9], -v[4:5]
	v_fmac_f64_e32 v[134:135], v[112:113], v[8:9]
	ds_load_b128 v[110:113], v2 offset:768
	ds_load_b128 v[126:129], v2 offset:784
	scratch_load_b128 v[130:133], off, off offset:448
	v_fmac_f64_e32 v[136:137], v[120:121], v[74:75]
	v_fma_f64 v[118:119], v[118:119], v[74:75], -v[76:77]
	scratch_load_b128 v[74:77], off, off offset:464
	s_wait_loadcnt_dscnt 0xc01
	v_mul_f64_e32 v[8:9], v[110:111], v[80:81]
	v_mul_f64_e32 v[80:81], v[112:113], v[80:81]
	v_add_f64_e32 v[4:5], 0, v[4:5]
	v_add_f64_e32 v[120:121], 0, v[134:135]
	s_wait_loadcnt_dscnt 0xb00
	v_mul_f64_e32 v[134:135], v[126:127], v[84:85]
	v_mul_f64_e32 v[84:85], v[128:129], v[84:85]
	v_fmac_f64_e32 v[8:9], v[112:113], v[78:79]
	v_fma_f64 v[138:139], v[110:111], v[78:79], -v[80:81]
	ds_load_b128 v[78:81], v2 offset:800
	ds_load_b128 v[110:113], v2 offset:816
	v_add_f64_e32 v[4:5], v[4:5], v[118:119]
	v_add_f64_e32 v[118:119], v[120:121], v[136:137]
	v_fmac_f64_e32 v[134:135], v[128:129], v[82:83]
	v_fma_f64 v[82:83], v[126:127], v[82:83], -v[84:85]
	s_wait_loadcnt_dscnt 0xa01
	v_mul_f64_e32 v[120:121], v[78:79], v[88:89]
	v_mul_f64_e32 v[88:89], v[80:81], v[88:89]
	v_add_f64_e32 v[4:5], v[4:5], v[138:139]
	v_add_f64_e32 v[8:9], v[118:119], v[8:9]
	s_wait_loadcnt_dscnt 0x900
	v_mul_f64_e32 v[118:119], v[110:111], v[92:93]
	v_mul_f64_e32 v[92:93], v[112:113], v[92:93]
	v_fmac_f64_e32 v[120:121], v[80:81], v[86:87]
	v_fma_f64 v[86:87], v[78:79], v[86:87], -v[88:89]
	v_add_f64_e32 v[4:5], v[4:5], v[82:83]
	v_add_f64_e32 v[8:9], v[8:9], v[134:135]
	ds_load_b128 v[78:81], v2 offset:832
	ds_load_b128 v[82:85], v2 offset:848
	v_fmac_f64_e32 v[118:119], v[112:113], v[90:91]
	v_fma_f64 v[90:91], v[110:111], v[90:91], -v[92:93]
	s_wait_loadcnt_dscnt 0x801
	v_mul_f64_e32 v[126:127], v[78:79], v[96:97]
	v_mul_f64_e32 v[88:89], v[80:81], v[96:97]
	s_wait_loadcnt_dscnt 0x700
	v_mul_f64_e32 v[92:93], v[82:83], v[100:101]
	v_mul_f64_e32 v[96:97], v[84:85], v[100:101]
	v_add_f64_e32 v[4:5], v[4:5], v[86:87]
	v_add_f64_e32 v[8:9], v[8:9], v[120:121]
	v_fmac_f64_e32 v[126:127], v[80:81], v[94:95]
	v_fma_f64 v[94:95], v[78:79], v[94:95], -v[88:89]
	ds_load_b128 v[78:81], v2 offset:864
	ds_load_b128 v[86:89], v2 offset:880
	v_fmac_f64_e32 v[92:93], v[84:85], v[98:99]
	v_fma_f64 v[82:83], v[82:83], v[98:99], -v[96:97]
	v_add_f64_e32 v[4:5], v[4:5], v[90:91]
	v_add_f64_e32 v[8:9], v[8:9], v[118:119]
	s_wait_loadcnt_dscnt 0x601
	v_mul_f64_e32 v[90:91], v[78:79], v[104:105]
	v_mul_f64_e32 v[100:101], v[80:81], v[104:105]
	s_wait_loadcnt_dscnt 0x500
	v_mul_f64_e32 v[96:97], v[88:89], v[108:109]
	v_add_f64_e32 v[4:5], v[4:5], v[94:95]
	v_add_f64_e32 v[8:9], v[8:9], v[126:127]
	v_mul_f64_e32 v[94:95], v[86:87], v[108:109]
	v_fmac_f64_e32 v[90:91], v[80:81], v[102:103]
	v_fma_f64 v[98:99], v[78:79], v[102:103], -v[100:101]
	v_fma_f64 v[86:87], v[86:87], v[106:107], -v[96:97]
	v_add_f64_e32 v[4:5], v[4:5], v[82:83]
	v_add_f64_e32 v[8:9], v[8:9], v[92:93]
	ds_load_b128 v[78:81], v2 offset:896
	ds_load_b128 v[82:85], v2 offset:912
	v_fmac_f64_e32 v[94:95], v[88:89], v[106:107]
	s_wait_loadcnt_dscnt 0x401
	v_mul_f64_e32 v[92:93], v[78:79], v[116:117]
	v_mul_f64_e32 v[100:101], v[80:81], v[116:117]
	v_add_f64_e32 v[4:5], v[4:5], v[98:99]
	v_add_f64_e32 v[8:9], v[8:9], v[90:91]
	s_wait_loadcnt_dscnt 0x200
	v_mul_f64_e32 v[88:89], v[82:83], v[12:13]
	v_mul_f64_e32 v[12:13], v[84:85], v[12:13]
	v_fmac_f64_e32 v[92:93], v[80:81], v[114:115]
	v_fma_f64 v[90:91], v[78:79], v[114:115], -v[100:101]
	v_add_f64_e32 v[86:87], v[4:5], v[86:87]
	v_add_f64_e32 v[8:9], v[8:9], v[94:95]
	ds_load_b128 v[78:81], v2 offset:928
	ds_load_b128 v[2:5], v2 offset:944
	v_fmac_f64_e32 v[88:89], v[84:85], v[10:11]
	v_fma_f64 v[10:11], v[82:83], v[10:11], -v[12:13]
	s_wait_loadcnt_dscnt 0x101
	v_mul_f64_e32 v[94:95], v[78:79], v[132:133]
	v_mul_f64_e32 v[96:97], v[80:81], v[132:133]
	s_wait_loadcnt_dscnt 0x0
	v_mul_f64_e32 v[82:83], v[2:3], v[76:77]
	v_mul_f64_e32 v[76:77], v[4:5], v[76:77]
	v_add_f64_e32 v[12:13], v[86:87], v[90:91]
	v_add_f64_e32 v[8:9], v[8:9], v[92:93]
	v_fmac_f64_e32 v[94:95], v[80:81], v[130:131]
	v_fma_f64 v[78:79], v[78:79], v[130:131], -v[96:97]
	v_fmac_f64_e32 v[82:83], v[4:5], v[74:75]
	v_fma_f64 v[2:3], v[2:3], v[74:75], -v[76:77]
	v_add_f64_e32 v[10:11], v[12:13], v[10:11]
	v_add_f64_e32 v[8:9], v[8:9], v[88:89]
	s_delay_alu instid0(VALU_DEP_2) | instskip(NEXT) | instid1(VALU_DEP_2)
	v_add_f64_e32 v[4:5], v[10:11], v[78:79]
	v_add_f64_e32 v[8:9], v[8:9], v[94:95]
	s_delay_alu instid0(VALU_DEP_2) | instskip(NEXT) | instid1(VALU_DEP_2)
	;; [unrolled: 3-line block ×3, first 2 shown]
	v_add_f64_e64 v[2:3], v[122:123], -v[2:3]
	v_add_f64_e64 v[4:5], v[124:125], -v[4:5]
	scratch_store_b128 off, v[2:5], off offset:240
	s_wait_xcnt 0x0
	v_cmpx_lt_u32_e32 14, v1
	s_cbranch_execz .LBB93_165
; %bb.164:
	scratch_load_b128 v[2:5], off, s31
	v_mov_b32_e32 v8, 0
	s_delay_alu instid0(VALU_DEP_1)
	v_dual_mov_b32 v9, v8 :: v_dual_mov_b32 v10, v8
	v_mov_b32_e32 v11, v8
	scratch_store_b128 off, v[8:11], off offset:224
	s_wait_loadcnt 0x0
	ds_store_b128 v6, v[2:5]
.LBB93_165:
	s_wait_xcnt 0x0
	s_or_b32 exec_lo, exec_lo, s2
	s_wait_storecnt_dscnt 0x0
	s_barrier_signal -1
	s_barrier_wait -1
	s_clause 0x9
	scratch_load_b128 v[8:11], off, off offset:240
	scratch_load_b128 v[74:77], off, off offset:256
	;; [unrolled: 1-line block ×10, first 2 shown]
	v_mov_b32_e32 v2, 0
	s_mov_b32 s2, exec_lo
	ds_load_b128 v[110:113], v2 offset:720
	s_clause 0x2
	scratch_load_b128 v[114:117], off, off offset:400
	scratch_load_b128 v[118:121], off, off offset:224
	;; [unrolled: 1-line block ×3, first 2 shown]
	s_wait_loadcnt_dscnt 0xc00
	v_mul_f64_e32 v[4:5], v[112:113], v[10:11]
	v_mul_f64_e32 v[134:135], v[110:111], v[10:11]
	ds_load_b128 v[122:125], v2 offset:736
	scratch_load_b128 v[10:13], off, off offset:416
	ds_load_b128 v[130:133], v2 offset:768
	v_fma_f64 v[4:5], v[110:111], v[8:9], -v[4:5]
	v_fmac_f64_e32 v[134:135], v[112:113], v[8:9]
	ds_load_b128 v[110:113], v2 offset:752
	s_wait_loadcnt_dscnt 0xc02
	v_mul_f64_e32 v[136:137], v[122:123], v[76:77]
	v_mul_f64_e32 v[76:77], v[124:125], v[76:77]
	s_wait_loadcnt_dscnt 0xb00
	v_mul_f64_e32 v[8:9], v[110:111], v[80:81]
	v_mul_f64_e32 v[80:81], v[112:113], v[80:81]
	v_add_f64_e32 v[4:5], 0, v[4:5]
	v_fmac_f64_e32 v[136:137], v[124:125], v[74:75]
	v_fma_f64 v[122:123], v[122:123], v[74:75], -v[76:77]
	v_add_f64_e32 v[124:125], 0, v[134:135]
	scratch_load_b128 v[74:77], off, off offset:448
	v_fmac_f64_e32 v[8:9], v[112:113], v[78:79]
	v_fma_f64 v[138:139], v[110:111], v[78:79], -v[80:81]
	ds_load_b128 v[78:81], v2 offset:784
	s_wait_loadcnt 0xb
	v_mul_f64_e32 v[134:135], v[130:131], v[84:85]
	v_mul_f64_e32 v[84:85], v[132:133], v[84:85]
	scratch_load_b128 v[110:113], off, off offset:464
	v_add_f64_e32 v[4:5], v[4:5], v[122:123]
	v_add_f64_e32 v[136:137], v[124:125], v[136:137]
	ds_load_b128 v[122:125], v2 offset:800
	s_wait_loadcnt_dscnt 0xb01
	v_mul_f64_e32 v[140:141], v[78:79], v[88:89]
	v_mul_f64_e32 v[88:89], v[80:81], v[88:89]
	v_fmac_f64_e32 v[134:135], v[132:133], v[82:83]
	v_fma_f64 v[82:83], v[130:131], v[82:83], -v[84:85]
	s_wait_loadcnt_dscnt 0xa00
	v_mul_f64_e32 v[130:131], v[122:123], v[92:93]
	v_mul_f64_e32 v[92:93], v[124:125], v[92:93]
	v_add_f64_e32 v[4:5], v[4:5], v[138:139]
	v_add_f64_e32 v[8:9], v[136:137], v[8:9]
	v_fmac_f64_e32 v[140:141], v[80:81], v[86:87]
	v_fma_f64 v[86:87], v[78:79], v[86:87], -v[88:89]
	v_fmac_f64_e32 v[130:131], v[124:125], v[90:91]
	v_fma_f64 v[90:91], v[122:123], v[90:91], -v[92:93]
	v_add_f64_e32 v[4:5], v[4:5], v[82:83]
	v_add_f64_e32 v[8:9], v[8:9], v[134:135]
	ds_load_b128 v[78:81], v2 offset:816
	ds_load_b128 v[82:85], v2 offset:832
	s_wait_loadcnt_dscnt 0x901
	v_mul_f64_e32 v[132:133], v[78:79], v[96:97]
	v_mul_f64_e32 v[88:89], v[80:81], v[96:97]
	s_wait_loadcnt_dscnt 0x800
	v_mul_f64_e32 v[92:93], v[82:83], v[100:101]
	v_mul_f64_e32 v[96:97], v[84:85], v[100:101]
	v_add_f64_e32 v[4:5], v[4:5], v[86:87]
	v_add_f64_e32 v[8:9], v[8:9], v[140:141]
	v_fmac_f64_e32 v[132:133], v[80:81], v[94:95]
	v_fma_f64 v[94:95], v[78:79], v[94:95], -v[88:89]
	ds_load_b128 v[78:81], v2 offset:848
	ds_load_b128 v[86:89], v2 offset:864
	v_fmac_f64_e32 v[92:93], v[84:85], v[98:99]
	v_fma_f64 v[82:83], v[82:83], v[98:99], -v[96:97]
	v_add_f64_e32 v[4:5], v[4:5], v[90:91]
	v_add_f64_e32 v[8:9], v[8:9], v[130:131]
	s_wait_loadcnt_dscnt 0x701
	v_mul_f64_e32 v[90:91], v[78:79], v[104:105]
	v_mul_f64_e32 v[100:101], v[80:81], v[104:105]
	s_wait_loadcnt_dscnt 0x600
	v_mul_f64_e32 v[96:97], v[88:89], v[108:109]
	v_add_f64_e32 v[4:5], v[4:5], v[94:95]
	v_add_f64_e32 v[8:9], v[8:9], v[132:133]
	v_mul_f64_e32 v[94:95], v[86:87], v[108:109]
	v_fmac_f64_e32 v[90:91], v[80:81], v[102:103]
	v_fma_f64 v[98:99], v[78:79], v[102:103], -v[100:101]
	v_fma_f64 v[86:87], v[86:87], v[106:107], -v[96:97]
	v_add_f64_e32 v[4:5], v[4:5], v[82:83]
	v_add_f64_e32 v[8:9], v[8:9], v[92:93]
	ds_load_b128 v[78:81], v2 offset:880
	ds_load_b128 v[82:85], v2 offset:896
	v_fmac_f64_e32 v[94:95], v[88:89], v[106:107]
	s_wait_loadcnt_dscnt 0x501
	v_mul_f64_e32 v[92:93], v[78:79], v[116:117]
	v_mul_f64_e32 v[100:101], v[80:81], v[116:117]
	v_add_f64_e32 v[4:5], v[4:5], v[98:99]
	v_add_f64_e32 v[8:9], v[8:9], v[90:91]
	s_wait_loadcnt_dscnt 0x200
	v_mul_f64_e32 v[90:91], v[82:83], v[12:13]
	v_mul_f64_e32 v[12:13], v[84:85], v[12:13]
	v_fmac_f64_e32 v[92:93], v[80:81], v[114:115]
	v_fma_f64 v[96:97], v[78:79], v[114:115], -v[100:101]
	v_add_f64_e32 v[4:5], v[4:5], v[86:87]
	v_add_f64_e32 v[8:9], v[8:9], v[94:95]
	ds_load_b128 v[78:81], v2 offset:912
	ds_load_b128 v[86:89], v2 offset:928
	v_fmac_f64_e32 v[90:91], v[84:85], v[10:11]
	v_fma_f64 v[10:11], v[82:83], v[10:11], -v[12:13]
	s_wait_dscnt 0x1
	v_mul_f64_e32 v[94:95], v[78:79], v[128:129]
	v_mul_f64_e32 v[98:99], v[80:81], v[128:129]
	v_add_f64_e32 v[4:5], v[4:5], v[96:97]
	v_add_f64_e32 v[8:9], v[8:9], v[92:93]
	s_wait_loadcnt_dscnt 0x100
	v_mul_f64_e32 v[12:13], v[86:87], v[76:77]
	v_mul_f64_e32 v[76:77], v[88:89], v[76:77]
	v_fmac_f64_e32 v[94:95], v[80:81], v[126:127]
	v_fma_f64 v[78:79], v[78:79], v[126:127], -v[98:99]
	v_add_f64_e32 v[4:5], v[4:5], v[10:11]
	v_add_f64_e32 v[80:81], v[8:9], v[90:91]
	ds_load_b128 v[8:11], v2 offset:944
	v_fmac_f64_e32 v[12:13], v[88:89], v[74:75]
	v_fma_f64 v[74:75], v[86:87], v[74:75], -v[76:77]
	s_wait_loadcnt_dscnt 0x0
	v_mul_f64_e32 v[82:83], v[8:9], v[112:113]
	v_mul_f64_e32 v[84:85], v[10:11], v[112:113]
	v_add_f64_e32 v[4:5], v[4:5], v[78:79]
	v_add_f64_e32 v[76:77], v[80:81], v[94:95]
	s_delay_alu instid0(VALU_DEP_4) | instskip(NEXT) | instid1(VALU_DEP_4)
	v_fmac_f64_e32 v[82:83], v[10:11], v[110:111]
	v_fma_f64 v[8:9], v[8:9], v[110:111], -v[84:85]
	s_delay_alu instid0(VALU_DEP_4) | instskip(NEXT) | instid1(VALU_DEP_4)
	v_add_f64_e32 v[4:5], v[4:5], v[74:75]
	v_add_f64_e32 v[10:11], v[76:77], v[12:13]
	s_delay_alu instid0(VALU_DEP_2) | instskip(NEXT) | instid1(VALU_DEP_2)
	v_add_f64_e32 v[4:5], v[4:5], v[8:9]
	v_add_f64_e32 v[10:11], v[10:11], v[82:83]
	s_delay_alu instid0(VALU_DEP_2) | instskip(NEXT) | instid1(VALU_DEP_2)
	v_add_f64_e64 v[8:9], v[118:119], -v[4:5]
	v_add_f64_e64 v[10:11], v[120:121], -v[10:11]
	scratch_store_b128 off, v[8:11], off offset:224
	s_wait_xcnt 0x0
	v_cmpx_lt_u32_e32 13, v1
	s_cbranch_execz .LBB93_167
; %bb.166:
	scratch_load_b128 v[8:11], off, s33
	v_dual_mov_b32 v3, v2 :: v_dual_mov_b32 v4, v2
	v_mov_b32_e32 v5, v2
	scratch_store_b128 off, v[2:5], off offset:208
	s_wait_loadcnt 0x0
	ds_store_b128 v6, v[8:11]
.LBB93_167:
	s_wait_xcnt 0x0
	s_or_b32 exec_lo, exec_lo, s2
	s_wait_storecnt_dscnt 0x0
	s_barrier_signal -1
	s_barrier_wait -1
	s_clause 0x9
	scratch_load_b128 v[8:11], off, off offset:224
	scratch_load_b128 v[74:77], off, off offset:240
	;; [unrolled: 1-line block ×10, first 2 shown]
	ds_load_b128 v[110:113], v2 offset:704
	ds_load_b128 v[118:121], v2 offset:720
	s_clause 0x1
	scratch_load_b128 v[114:117], off, off offset:384
	scratch_load_b128 v[122:125], off, off offset:208
	s_mov_b32 s2, exec_lo
	s_wait_loadcnt_dscnt 0xb01
	v_mul_f64_e32 v[4:5], v[112:113], v[10:11]
	v_mul_f64_e32 v[134:135], v[110:111], v[10:11]
	scratch_load_b128 v[10:13], off, off offset:400
	s_wait_loadcnt_dscnt 0xb00
	v_mul_f64_e32 v[136:137], v[118:119], v[76:77]
	v_mul_f64_e32 v[76:77], v[120:121], v[76:77]
	v_fma_f64 v[4:5], v[110:111], v[8:9], -v[4:5]
	v_fmac_f64_e32 v[134:135], v[112:113], v[8:9]
	ds_load_b128 v[110:113], v2 offset:736
	ds_load_b128 v[126:129], v2 offset:752
	scratch_load_b128 v[130:133], off, off offset:416
	v_fmac_f64_e32 v[136:137], v[120:121], v[74:75]
	v_fma_f64 v[118:119], v[118:119], v[74:75], -v[76:77]
	scratch_load_b128 v[74:77], off, off offset:432
	s_wait_loadcnt_dscnt 0xc01
	v_mul_f64_e32 v[8:9], v[110:111], v[80:81]
	v_mul_f64_e32 v[80:81], v[112:113], v[80:81]
	v_add_f64_e32 v[4:5], 0, v[4:5]
	v_add_f64_e32 v[120:121], 0, v[134:135]
	s_wait_loadcnt_dscnt 0xb00
	v_mul_f64_e32 v[134:135], v[126:127], v[84:85]
	v_mul_f64_e32 v[84:85], v[128:129], v[84:85]
	v_fmac_f64_e32 v[8:9], v[112:113], v[78:79]
	v_fma_f64 v[138:139], v[110:111], v[78:79], -v[80:81]
	ds_load_b128 v[78:81], v2 offset:768
	ds_load_b128 v[110:113], v2 offset:784
	v_add_f64_e32 v[4:5], v[4:5], v[118:119]
	v_add_f64_e32 v[136:137], v[120:121], v[136:137]
	scratch_load_b128 v[118:121], off, off offset:448
	v_fmac_f64_e32 v[134:135], v[128:129], v[82:83]
	v_fma_f64 v[126:127], v[126:127], v[82:83], -v[84:85]
	scratch_load_b128 v[82:85], off, off offset:464
	s_wait_loadcnt_dscnt 0xc01
	v_mul_f64_e32 v[140:141], v[78:79], v[88:89]
	v_mul_f64_e32 v[88:89], v[80:81], v[88:89]
	s_wait_loadcnt_dscnt 0xb00
	v_mul_f64_e32 v[128:129], v[110:111], v[92:93]
	v_mul_f64_e32 v[92:93], v[112:113], v[92:93]
	v_add_f64_e32 v[4:5], v[4:5], v[138:139]
	v_add_f64_e32 v[8:9], v[136:137], v[8:9]
	v_fmac_f64_e32 v[140:141], v[80:81], v[86:87]
	v_fma_f64 v[136:137], v[78:79], v[86:87], -v[88:89]
	ds_load_b128 v[78:81], v2 offset:800
	ds_load_b128 v[86:89], v2 offset:816
	v_fmac_f64_e32 v[128:129], v[112:113], v[90:91]
	v_fma_f64 v[90:91], v[110:111], v[90:91], -v[92:93]
	s_wait_loadcnt_dscnt 0x900
	v_mul_f64_e32 v[110:111], v[86:87], v[100:101]
	v_add_f64_e32 v[4:5], v[4:5], v[126:127]
	v_add_f64_e32 v[8:9], v[8:9], v[134:135]
	v_mul_f64_e32 v[126:127], v[78:79], v[96:97]
	v_mul_f64_e32 v[96:97], v[80:81], v[96:97]
	;; [unrolled: 1-line block ×3, first 2 shown]
	v_fmac_f64_e32 v[110:111], v[88:89], v[98:99]
	v_add_f64_e32 v[4:5], v[4:5], v[136:137]
	v_add_f64_e32 v[8:9], v[8:9], v[140:141]
	v_fmac_f64_e32 v[126:127], v[80:81], v[94:95]
	v_fma_f64 v[94:95], v[78:79], v[94:95], -v[96:97]
	v_fma_f64 v[86:87], v[86:87], v[98:99], -v[100:101]
	v_add_f64_e32 v[4:5], v[4:5], v[90:91]
	v_add_f64_e32 v[8:9], v[8:9], v[128:129]
	ds_load_b128 v[78:81], v2 offset:832
	ds_load_b128 v[90:93], v2 offset:848
	s_wait_loadcnt_dscnt 0x801
	v_mul_f64_e32 v[96:97], v[78:79], v[104:105]
	v_mul_f64_e32 v[104:105], v[80:81], v[104:105]
	s_wait_loadcnt_dscnt 0x700
	v_mul_f64_e32 v[98:99], v[92:93], v[108:109]
	v_add_f64_e32 v[4:5], v[4:5], v[94:95]
	v_add_f64_e32 v[8:9], v[8:9], v[126:127]
	v_mul_f64_e32 v[94:95], v[90:91], v[108:109]
	v_fmac_f64_e32 v[96:97], v[80:81], v[102:103]
	v_fma_f64 v[100:101], v[78:79], v[102:103], -v[104:105]
	v_fma_f64 v[90:91], v[90:91], v[106:107], -v[98:99]
	v_add_f64_e32 v[4:5], v[4:5], v[86:87]
	v_add_f64_e32 v[8:9], v[8:9], v[110:111]
	ds_load_b128 v[78:81], v2 offset:864
	ds_load_b128 v[86:89], v2 offset:880
	v_fmac_f64_e32 v[94:95], v[92:93], v[106:107]
	s_wait_loadcnt_dscnt 0x601
	v_mul_f64_e32 v[102:103], v[78:79], v[116:117]
	v_mul_f64_e32 v[104:105], v[80:81], v[116:117]
	v_add_f64_e32 v[4:5], v[4:5], v[100:101]
	v_add_f64_e32 v[8:9], v[8:9], v[96:97]
	s_wait_loadcnt_dscnt 0x400
	v_mul_f64_e32 v[96:97], v[86:87], v[12:13]
	v_mul_f64_e32 v[12:13], v[88:89], v[12:13]
	v_fmac_f64_e32 v[102:103], v[80:81], v[114:115]
	v_fma_f64 v[98:99], v[78:79], v[114:115], -v[104:105]
	v_add_f64_e32 v[4:5], v[4:5], v[90:91]
	v_add_f64_e32 v[8:9], v[8:9], v[94:95]
	ds_load_b128 v[78:81], v2 offset:896
	ds_load_b128 v[90:93], v2 offset:912
	v_fmac_f64_e32 v[96:97], v[88:89], v[10:11]
	v_fma_f64 v[10:11], v[86:87], v[10:11], -v[12:13]
	s_wait_loadcnt_dscnt 0x301
	v_mul_f64_e32 v[94:95], v[78:79], v[132:133]
	v_mul_f64_e32 v[100:101], v[80:81], v[132:133]
	s_wait_loadcnt_dscnt 0x200
	v_mul_f64_e32 v[12:13], v[90:91], v[76:77]
	v_mul_f64_e32 v[76:77], v[92:93], v[76:77]
	v_add_f64_e32 v[4:5], v[4:5], v[98:99]
	v_add_f64_e32 v[8:9], v[8:9], v[102:103]
	v_fmac_f64_e32 v[94:95], v[80:81], v[130:131]
	v_fma_f64 v[78:79], v[78:79], v[130:131], -v[100:101]
	v_fmac_f64_e32 v[12:13], v[92:93], v[74:75]
	v_fma_f64 v[74:75], v[90:91], v[74:75], -v[76:77]
	v_add_f64_e32 v[80:81], v[4:5], v[10:11]
	v_add_f64_e32 v[86:87], v[8:9], v[96:97]
	ds_load_b128 v[8:11], v2 offset:928
	ds_load_b128 v[2:5], v2 offset:944
	s_wait_loadcnt_dscnt 0x101
	v_mul_f64_e32 v[88:89], v[8:9], v[120:121]
	v_mul_f64_e32 v[96:97], v[10:11], v[120:121]
	v_add_f64_e32 v[76:77], v[80:81], v[78:79]
	v_add_f64_e32 v[78:79], v[86:87], v[94:95]
	s_wait_loadcnt_dscnt 0x0
	v_mul_f64_e32 v[80:81], v[2:3], v[84:85]
	v_mul_f64_e32 v[84:85], v[4:5], v[84:85]
	v_fmac_f64_e32 v[88:89], v[10:11], v[118:119]
	v_fma_f64 v[8:9], v[8:9], v[118:119], -v[96:97]
	v_add_f64_e32 v[10:11], v[76:77], v[74:75]
	v_add_f64_e32 v[12:13], v[78:79], v[12:13]
	v_fmac_f64_e32 v[80:81], v[4:5], v[82:83]
	v_fma_f64 v[2:3], v[2:3], v[82:83], -v[84:85]
	s_delay_alu instid0(VALU_DEP_4) | instskip(NEXT) | instid1(VALU_DEP_4)
	v_add_f64_e32 v[4:5], v[10:11], v[8:9]
	v_add_f64_e32 v[8:9], v[12:13], v[88:89]
	s_delay_alu instid0(VALU_DEP_2) | instskip(NEXT) | instid1(VALU_DEP_2)
	v_add_f64_e32 v[2:3], v[4:5], v[2:3]
	v_add_f64_e32 v[4:5], v[8:9], v[80:81]
	s_delay_alu instid0(VALU_DEP_2) | instskip(NEXT) | instid1(VALU_DEP_2)
	v_add_f64_e64 v[2:3], v[122:123], -v[2:3]
	v_add_f64_e64 v[4:5], v[124:125], -v[4:5]
	scratch_store_b128 off, v[2:5], off offset:208
	s_wait_xcnt 0x0
	v_cmpx_lt_u32_e32 12, v1
	s_cbranch_execz .LBB93_169
; %bb.168:
	scratch_load_b128 v[2:5], off, s34
	v_mov_b32_e32 v8, 0
	s_delay_alu instid0(VALU_DEP_1)
	v_dual_mov_b32 v9, v8 :: v_dual_mov_b32 v10, v8
	v_mov_b32_e32 v11, v8
	scratch_store_b128 off, v[8:11], off offset:192
	s_wait_loadcnt 0x0
	ds_store_b128 v6, v[2:5]
.LBB93_169:
	s_wait_xcnt 0x0
	s_or_b32 exec_lo, exec_lo, s2
	s_wait_storecnt_dscnt 0x0
	s_barrier_signal -1
	s_barrier_wait -1
	s_clause 0x9
	scratch_load_b128 v[8:11], off, off offset:208
	scratch_load_b128 v[74:77], off, off offset:224
	scratch_load_b128 v[78:81], off, off offset:240
	scratch_load_b128 v[82:85], off, off offset:256
	scratch_load_b128 v[86:89], off, off offset:272
	scratch_load_b128 v[90:93], off, off offset:288
	scratch_load_b128 v[94:97], off, off offset:304
	scratch_load_b128 v[98:101], off, off offset:320
	scratch_load_b128 v[102:105], off, off offset:336
	scratch_load_b128 v[106:109], off, off offset:352
	v_mov_b32_e32 v2, 0
	s_mov_b32 s2, exec_lo
	ds_load_b128 v[110:113], v2 offset:688
	s_clause 0x2
	scratch_load_b128 v[114:117], off, off offset:368
	scratch_load_b128 v[118:121], off, off offset:192
	;; [unrolled: 1-line block ×3, first 2 shown]
	s_wait_loadcnt_dscnt 0xc00
	v_mul_f64_e32 v[4:5], v[112:113], v[10:11]
	v_mul_f64_e32 v[134:135], v[110:111], v[10:11]
	ds_load_b128 v[122:125], v2 offset:704
	scratch_load_b128 v[10:13], off, off offset:384
	ds_load_b128 v[130:133], v2 offset:736
	v_fma_f64 v[4:5], v[110:111], v[8:9], -v[4:5]
	v_fmac_f64_e32 v[134:135], v[112:113], v[8:9]
	ds_load_b128 v[110:113], v2 offset:720
	s_wait_loadcnt_dscnt 0xc02
	v_mul_f64_e32 v[136:137], v[122:123], v[76:77]
	v_mul_f64_e32 v[76:77], v[124:125], v[76:77]
	s_wait_loadcnt_dscnt 0xb00
	v_mul_f64_e32 v[8:9], v[110:111], v[80:81]
	v_mul_f64_e32 v[80:81], v[112:113], v[80:81]
	v_add_f64_e32 v[4:5], 0, v[4:5]
	v_fmac_f64_e32 v[136:137], v[124:125], v[74:75]
	v_fma_f64 v[122:123], v[122:123], v[74:75], -v[76:77]
	v_add_f64_e32 v[124:125], 0, v[134:135]
	scratch_load_b128 v[74:77], off, off offset:416
	v_fmac_f64_e32 v[8:9], v[112:113], v[78:79]
	v_fma_f64 v[138:139], v[110:111], v[78:79], -v[80:81]
	ds_load_b128 v[78:81], v2 offset:752
	s_wait_loadcnt 0xb
	v_mul_f64_e32 v[134:135], v[130:131], v[84:85]
	v_mul_f64_e32 v[84:85], v[132:133], v[84:85]
	scratch_load_b128 v[110:113], off, off offset:432
	v_add_f64_e32 v[4:5], v[4:5], v[122:123]
	v_add_f64_e32 v[136:137], v[124:125], v[136:137]
	ds_load_b128 v[122:125], v2 offset:768
	s_wait_loadcnt_dscnt 0xb01
	v_mul_f64_e32 v[140:141], v[78:79], v[88:89]
	v_mul_f64_e32 v[88:89], v[80:81], v[88:89]
	v_fmac_f64_e32 v[134:135], v[132:133], v[82:83]
	v_fma_f64 v[130:131], v[130:131], v[82:83], -v[84:85]
	scratch_load_b128 v[82:85], off, off offset:448
	v_add_f64_e32 v[4:5], v[4:5], v[138:139]
	v_add_f64_e32 v[8:9], v[136:137], v[8:9]
	v_fmac_f64_e32 v[140:141], v[80:81], v[86:87]
	v_fma_f64 v[138:139], v[78:79], v[86:87], -v[88:89]
	ds_load_b128 v[78:81], v2 offset:784
	s_wait_loadcnt_dscnt 0xb01
	v_mul_f64_e32 v[136:137], v[122:123], v[92:93]
	v_mul_f64_e32 v[92:93], v[124:125], v[92:93]
	scratch_load_b128 v[86:89], off, off offset:464
	v_add_f64_e32 v[4:5], v[4:5], v[130:131]
	v_add_f64_e32 v[8:9], v[8:9], v[134:135]
	s_wait_loadcnt_dscnt 0xb00
	v_mul_f64_e32 v[134:135], v[78:79], v[96:97]
	v_mul_f64_e32 v[96:97], v[80:81], v[96:97]
	ds_load_b128 v[130:133], v2 offset:800
	v_fmac_f64_e32 v[136:137], v[124:125], v[90:91]
	v_fma_f64 v[90:91], v[122:123], v[90:91], -v[92:93]
	s_wait_loadcnt_dscnt 0xa00
	v_mul_f64_e32 v[122:123], v[130:131], v[100:101]
	v_mul_f64_e32 v[100:101], v[132:133], v[100:101]
	v_add_f64_e32 v[4:5], v[4:5], v[138:139]
	v_add_f64_e32 v[8:9], v[8:9], v[140:141]
	v_fmac_f64_e32 v[134:135], v[80:81], v[94:95]
	v_fma_f64 v[94:95], v[78:79], v[94:95], -v[96:97]
	v_fmac_f64_e32 v[122:123], v[132:133], v[98:99]
	v_fma_f64 v[98:99], v[130:131], v[98:99], -v[100:101]
	v_add_f64_e32 v[4:5], v[4:5], v[90:91]
	v_add_f64_e32 v[8:9], v[8:9], v[136:137]
	ds_load_b128 v[78:81], v2 offset:816
	ds_load_b128 v[90:93], v2 offset:832
	s_wait_loadcnt_dscnt 0x901
	v_mul_f64_e32 v[124:125], v[78:79], v[104:105]
	v_mul_f64_e32 v[96:97], v[80:81], v[104:105]
	s_wait_loadcnt_dscnt 0x800
	v_mul_f64_e32 v[100:101], v[90:91], v[108:109]
	v_mul_f64_e32 v[104:105], v[92:93], v[108:109]
	v_add_f64_e32 v[4:5], v[4:5], v[94:95]
	v_add_f64_e32 v[8:9], v[8:9], v[134:135]
	v_fmac_f64_e32 v[124:125], v[80:81], v[102:103]
	v_fma_f64 v[102:103], v[78:79], v[102:103], -v[96:97]
	ds_load_b128 v[78:81], v2 offset:848
	ds_load_b128 v[94:97], v2 offset:864
	v_fmac_f64_e32 v[100:101], v[92:93], v[106:107]
	v_fma_f64 v[90:91], v[90:91], v[106:107], -v[104:105]
	v_add_f64_e32 v[4:5], v[4:5], v[98:99]
	v_add_f64_e32 v[8:9], v[8:9], v[122:123]
	s_wait_loadcnt_dscnt 0x701
	v_mul_f64_e32 v[98:99], v[78:79], v[116:117]
	v_mul_f64_e32 v[108:109], v[80:81], v[116:117]
	s_delay_alu instid0(VALU_DEP_4) | instskip(NEXT) | instid1(VALU_DEP_4)
	v_add_f64_e32 v[4:5], v[4:5], v[102:103]
	v_add_f64_e32 v[8:9], v[8:9], v[124:125]
	s_wait_loadcnt_dscnt 0x400
	v_mul_f64_e32 v[102:103], v[94:95], v[12:13]
	v_mul_f64_e32 v[12:13], v[96:97], v[12:13]
	v_fmac_f64_e32 v[98:99], v[80:81], v[114:115]
	v_fma_f64 v[104:105], v[78:79], v[114:115], -v[108:109]
	v_add_f64_e32 v[4:5], v[4:5], v[90:91]
	v_add_f64_e32 v[8:9], v[8:9], v[100:101]
	ds_load_b128 v[78:81], v2 offset:880
	ds_load_b128 v[90:93], v2 offset:896
	v_fmac_f64_e32 v[102:103], v[96:97], v[10:11]
	v_fma_f64 v[10:11], v[94:95], v[10:11], -v[12:13]
	s_wait_dscnt 0x1
	v_mul_f64_e32 v[100:101], v[78:79], v[128:129]
	v_mul_f64_e32 v[106:107], v[80:81], v[128:129]
	v_add_f64_e32 v[4:5], v[4:5], v[104:105]
	v_add_f64_e32 v[8:9], v[8:9], v[98:99]
	s_wait_loadcnt_dscnt 0x300
	v_mul_f64_e32 v[12:13], v[90:91], v[76:77]
	v_mul_f64_e32 v[94:95], v[92:93], v[76:77]
	v_fmac_f64_e32 v[100:101], v[80:81], v[126:127]
	v_fma_f64 v[80:81], v[78:79], v[126:127], -v[106:107]
	v_add_f64_e32 v[4:5], v[4:5], v[10:11]
	v_add_f64_e32 v[96:97], v[8:9], v[102:103]
	ds_load_b128 v[8:11], v2 offset:912
	ds_load_b128 v[76:79], v2 offset:928
	v_fmac_f64_e32 v[12:13], v[92:93], v[74:75]
	v_fma_f64 v[74:75], v[90:91], v[74:75], -v[94:95]
	s_wait_loadcnt_dscnt 0x201
	v_mul_f64_e32 v[98:99], v[8:9], v[112:113]
	v_mul_f64_e32 v[102:103], v[10:11], v[112:113]
	s_wait_loadcnt_dscnt 0x100
	v_mul_f64_e32 v[90:91], v[76:77], v[84:85]
	v_mul_f64_e32 v[84:85], v[78:79], v[84:85]
	v_add_f64_e32 v[4:5], v[4:5], v[80:81]
	v_add_f64_e32 v[80:81], v[96:97], v[100:101]
	v_fmac_f64_e32 v[98:99], v[10:11], v[110:111]
	v_fma_f64 v[92:93], v[8:9], v[110:111], -v[102:103]
	ds_load_b128 v[8:11], v2 offset:944
	v_fmac_f64_e32 v[90:91], v[78:79], v[82:83]
	v_fma_f64 v[76:77], v[76:77], v[82:83], -v[84:85]
	v_add_f64_e32 v[4:5], v[4:5], v[74:75]
	v_add_f64_e32 v[12:13], v[80:81], v[12:13]
	s_wait_loadcnt_dscnt 0x0
	v_mul_f64_e32 v[74:75], v[8:9], v[88:89]
	v_mul_f64_e32 v[80:81], v[10:11], v[88:89]
	s_delay_alu instid0(VALU_DEP_4) | instskip(NEXT) | instid1(VALU_DEP_4)
	v_add_f64_e32 v[4:5], v[4:5], v[92:93]
	v_add_f64_e32 v[12:13], v[12:13], v[98:99]
	s_delay_alu instid0(VALU_DEP_4) | instskip(NEXT) | instid1(VALU_DEP_4)
	v_fmac_f64_e32 v[74:75], v[10:11], v[86:87]
	v_fma_f64 v[8:9], v[8:9], v[86:87], -v[80:81]
	s_delay_alu instid0(VALU_DEP_4) | instskip(NEXT) | instid1(VALU_DEP_4)
	v_add_f64_e32 v[4:5], v[4:5], v[76:77]
	v_add_f64_e32 v[10:11], v[12:13], v[90:91]
	s_delay_alu instid0(VALU_DEP_2) | instskip(NEXT) | instid1(VALU_DEP_2)
	v_add_f64_e32 v[4:5], v[4:5], v[8:9]
	v_add_f64_e32 v[10:11], v[10:11], v[74:75]
	s_delay_alu instid0(VALU_DEP_2) | instskip(NEXT) | instid1(VALU_DEP_2)
	v_add_f64_e64 v[8:9], v[118:119], -v[4:5]
	v_add_f64_e64 v[10:11], v[120:121], -v[10:11]
	scratch_store_b128 off, v[8:11], off offset:192
	s_wait_xcnt 0x0
	v_cmpx_lt_u32_e32 11, v1
	s_cbranch_execz .LBB93_171
; %bb.170:
	scratch_load_b128 v[8:11], off, s35
	v_dual_mov_b32 v3, v2 :: v_dual_mov_b32 v4, v2
	v_mov_b32_e32 v5, v2
	scratch_store_b128 off, v[2:5], off offset:176
	s_wait_loadcnt 0x0
	ds_store_b128 v6, v[8:11]
.LBB93_171:
	s_wait_xcnt 0x0
	s_or_b32 exec_lo, exec_lo, s2
	s_wait_storecnt_dscnt 0x0
	s_barrier_signal -1
	s_barrier_wait -1
	s_clause 0x9
	scratch_load_b128 v[8:11], off, off offset:192
	scratch_load_b128 v[74:77], off, off offset:208
	;; [unrolled: 1-line block ×10, first 2 shown]
	ds_load_b128 v[110:113], v2 offset:672
	ds_load_b128 v[118:121], v2 offset:688
	s_clause 0x1
	scratch_load_b128 v[114:117], off, off offset:352
	scratch_load_b128 v[122:125], off, off offset:176
	s_mov_b32 s2, exec_lo
	s_wait_loadcnt_dscnt 0xb01
	v_mul_f64_e32 v[4:5], v[112:113], v[10:11]
	v_mul_f64_e32 v[134:135], v[110:111], v[10:11]
	scratch_load_b128 v[10:13], off, off offset:368
	s_wait_loadcnt_dscnt 0xb00
	v_mul_f64_e32 v[136:137], v[118:119], v[76:77]
	v_mul_f64_e32 v[76:77], v[120:121], v[76:77]
	v_fma_f64 v[4:5], v[110:111], v[8:9], -v[4:5]
	v_fmac_f64_e32 v[134:135], v[112:113], v[8:9]
	ds_load_b128 v[110:113], v2 offset:704
	ds_load_b128 v[126:129], v2 offset:720
	scratch_load_b128 v[130:133], off, off offset:384
	v_fmac_f64_e32 v[136:137], v[120:121], v[74:75]
	v_fma_f64 v[118:119], v[118:119], v[74:75], -v[76:77]
	scratch_load_b128 v[74:77], off, off offset:400
	s_wait_loadcnt_dscnt 0xc01
	v_mul_f64_e32 v[8:9], v[110:111], v[80:81]
	v_mul_f64_e32 v[80:81], v[112:113], v[80:81]
	v_add_f64_e32 v[4:5], 0, v[4:5]
	v_add_f64_e32 v[120:121], 0, v[134:135]
	s_wait_loadcnt_dscnt 0xb00
	v_mul_f64_e32 v[134:135], v[126:127], v[84:85]
	v_mul_f64_e32 v[84:85], v[128:129], v[84:85]
	v_fmac_f64_e32 v[8:9], v[112:113], v[78:79]
	v_fma_f64 v[138:139], v[110:111], v[78:79], -v[80:81]
	ds_load_b128 v[78:81], v2 offset:736
	ds_load_b128 v[110:113], v2 offset:752
	v_add_f64_e32 v[4:5], v[4:5], v[118:119]
	v_add_f64_e32 v[136:137], v[120:121], v[136:137]
	scratch_load_b128 v[118:121], off, off offset:416
	v_fmac_f64_e32 v[134:135], v[128:129], v[82:83]
	v_fma_f64 v[126:127], v[126:127], v[82:83], -v[84:85]
	scratch_load_b128 v[82:85], off, off offset:432
	s_wait_loadcnt_dscnt 0xc01
	v_mul_f64_e32 v[140:141], v[78:79], v[88:89]
	v_mul_f64_e32 v[88:89], v[80:81], v[88:89]
	v_add_f64_e32 v[4:5], v[4:5], v[138:139]
	v_add_f64_e32 v[8:9], v[136:137], v[8:9]
	s_wait_loadcnt_dscnt 0xb00
	v_mul_f64_e32 v[136:137], v[110:111], v[92:93]
	v_mul_f64_e32 v[92:93], v[112:113], v[92:93]
	v_fmac_f64_e32 v[140:141], v[80:81], v[86:87]
	v_fma_f64 v[138:139], v[78:79], v[86:87], -v[88:89]
	ds_load_b128 v[78:81], v2 offset:768
	ds_load_b128 v[86:89], v2 offset:784
	v_add_f64_e32 v[4:5], v[4:5], v[126:127]
	v_add_f64_e32 v[8:9], v[8:9], v[134:135]
	scratch_load_b128 v[126:129], off, off offset:448
	s_wait_loadcnt_dscnt 0xb01
	v_mul_f64_e32 v[134:135], v[78:79], v[96:97]
	v_mul_f64_e32 v[96:97], v[80:81], v[96:97]
	v_fmac_f64_e32 v[136:137], v[112:113], v[90:91]
	v_fma_f64 v[110:111], v[110:111], v[90:91], -v[92:93]
	scratch_load_b128 v[90:93], off, off offset:464
	s_wait_loadcnt_dscnt 0xb00
	v_mul_f64_e32 v[112:113], v[86:87], v[100:101]
	v_mul_f64_e32 v[100:101], v[88:89], v[100:101]
	v_add_f64_e32 v[4:5], v[4:5], v[138:139]
	v_add_f64_e32 v[8:9], v[8:9], v[140:141]
	v_fmac_f64_e32 v[134:135], v[80:81], v[94:95]
	v_fma_f64 v[138:139], v[78:79], v[94:95], -v[96:97]
	ds_load_b128 v[78:81], v2 offset:800
	ds_load_b128 v[94:97], v2 offset:816
	v_fmac_f64_e32 v[112:113], v[88:89], v[98:99]
	v_fma_f64 v[86:87], v[86:87], v[98:99], -v[100:101]
	s_wait_loadcnt_dscnt 0x900
	v_mul_f64_e32 v[98:99], v[94:95], v[108:109]
	v_mul_f64_e32 v[100:101], v[96:97], v[108:109]
	v_add_f64_e32 v[4:5], v[4:5], v[110:111]
	v_add_f64_e32 v[8:9], v[8:9], v[136:137]
	v_mul_f64_e32 v[110:111], v[78:79], v[104:105]
	v_mul_f64_e32 v[104:105], v[80:81], v[104:105]
	v_fmac_f64_e32 v[98:99], v[96:97], v[106:107]
	v_fma_f64 v[94:95], v[94:95], v[106:107], -v[100:101]
	v_add_f64_e32 v[4:5], v[4:5], v[138:139]
	v_add_f64_e32 v[8:9], v[8:9], v[134:135]
	v_fmac_f64_e32 v[110:111], v[80:81], v[102:103]
	v_fma_f64 v[102:103], v[78:79], v[102:103], -v[104:105]
	s_delay_alu instid0(VALU_DEP_4) | instskip(NEXT) | instid1(VALU_DEP_4)
	v_add_f64_e32 v[4:5], v[4:5], v[86:87]
	v_add_f64_e32 v[8:9], v[8:9], v[112:113]
	ds_load_b128 v[78:81], v2 offset:832
	ds_load_b128 v[86:89], v2 offset:848
	s_wait_loadcnt_dscnt 0x801
	v_mul_f64_e32 v[104:105], v[78:79], v[116:117]
	v_mul_f64_e32 v[108:109], v[80:81], v[116:117]
	v_add_f64_e32 v[4:5], v[4:5], v[102:103]
	v_add_f64_e32 v[8:9], v[8:9], v[110:111]
	s_wait_loadcnt_dscnt 0x600
	v_mul_f64_e32 v[100:101], v[86:87], v[12:13]
	v_mul_f64_e32 v[12:13], v[88:89], v[12:13]
	v_fmac_f64_e32 v[104:105], v[80:81], v[114:115]
	v_fma_f64 v[102:103], v[78:79], v[114:115], -v[108:109]
	v_add_f64_e32 v[4:5], v[4:5], v[94:95]
	v_add_f64_e32 v[8:9], v[8:9], v[98:99]
	ds_load_b128 v[78:81], v2 offset:864
	ds_load_b128 v[94:97], v2 offset:880
	v_fmac_f64_e32 v[100:101], v[88:89], v[10:11]
	v_fma_f64 v[10:11], v[86:87], v[10:11], -v[12:13]
	s_wait_loadcnt_dscnt 0x501
	v_mul_f64_e32 v[98:99], v[78:79], v[132:133]
	v_mul_f64_e32 v[106:107], v[80:81], v[132:133]
	s_wait_loadcnt_dscnt 0x400
	v_mul_f64_e32 v[12:13], v[94:95], v[76:77]
	v_mul_f64_e32 v[86:87], v[96:97], v[76:77]
	v_add_f64_e32 v[4:5], v[4:5], v[102:103]
	v_add_f64_e32 v[8:9], v[8:9], v[104:105]
	v_fmac_f64_e32 v[98:99], v[80:81], v[130:131]
	v_fma_f64 v[80:81], v[78:79], v[130:131], -v[106:107]
	v_fmac_f64_e32 v[12:13], v[96:97], v[74:75]
	v_fma_f64 v[74:75], v[94:95], v[74:75], -v[86:87]
	v_add_f64_e32 v[4:5], v[4:5], v[10:11]
	v_add_f64_e32 v[88:89], v[8:9], v[100:101]
	ds_load_b128 v[8:11], v2 offset:896
	ds_load_b128 v[76:79], v2 offset:912
	s_wait_loadcnt_dscnt 0x301
	v_mul_f64_e32 v[100:101], v[8:9], v[120:121]
	v_mul_f64_e32 v[102:103], v[10:11], v[120:121]
	s_wait_loadcnt_dscnt 0x200
	v_mul_f64_e32 v[86:87], v[76:77], v[84:85]
	v_mul_f64_e32 v[84:85], v[78:79], v[84:85]
	v_add_f64_e32 v[4:5], v[4:5], v[80:81]
	v_add_f64_e32 v[80:81], v[88:89], v[98:99]
	v_fmac_f64_e32 v[100:101], v[10:11], v[118:119]
	v_fma_f64 v[88:89], v[8:9], v[118:119], -v[102:103]
	v_fmac_f64_e32 v[86:87], v[78:79], v[82:83]
	v_fma_f64 v[76:77], v[76:77], v[82:83], -v[84:85]
	v_add_f64_e32 v[74:75], v[4:5], v[74:75]
	v_add_f64_e32 v[12:13], v[80:81], v[12:13]
	ds_load_b128 v[8:11], v2 offset:928
	ds_load_b128 v[2:5], v2 offset:944
	s_wait_loadcnt_dscnt 0x101
	v_mul_f64_e32 v[80:81], v[8:9], v[128:129]
	v_mul_f64_e32 v[94:95], v[10:11], v[128:129]
	s_wait_loadcnt_dscnt 0x0
	v_mul_f64_e32 v[78:79], v[2:3], v[92:93]
	v_mul_f64_e32 v[82:83], v[4:5], v[92:93]
	v_add_f64_e32 v[74:75], v[74:75], v[88:89]
	v_add_f64_e32 v[12:13], v[12:13], v[100:101]
	v_fmac_f64_e32 v[80:81], v[10:11], v[126:127]
	v_fma_f64 v[8:9], v[8:9], v[126:127], -v[94:95]
	v_fmac_f64_e32 v[78:79], v[4:5], v[90:91]
	v_fma_f64 v[2:3], v[2:3], v[90:91], -v[82:83]
	v_add_f64_e32 v[10:11], v[74:75], v[76:77]
	v_add_f64_e32 v[12:13], v[12:13], v[86:87]
	s_delay_alu instid0(VALU_DEP_2) | instskip(NEXT) | instid1(VALU_DEP_2)
	v_add_f64_e32 v[4:5], v[10:11], v[8:9]
	v_add_f64_e32 v[8:9], v[12:13], v[80:81]
	s_delay_alu instid0(VALU_DEP_2) | instskip(NEXT) | instid1(VALU_DEP_2)
	v_add_f64_e32 v[2:3], v[4:5], v[2:3]
	v_add_f64_e32 v[4:5], v[8:9], v[78:79]
	s_delay_alu instid0(VALU_DEP_2) | instskip(NEXT) | instid1(VALU_DEP_2)
	v_add_f64_e64 v[2:3], v[122:123], -v[2:3]
	v_add_f64_e64 v[4:5], v[124:125], -v[4:5]
	scratch_store_b128 off, v[2:5], off offset:176
	s_wait_xcnt 0x0
	v_cmpx_lt_u32_e32 10, v1
	s_cbranch_execz .LBB93_173
; %bb.172:
	scratch_load_b128 v[2:5], off, s36
	v_mov_b32_e32 v8, 0
	s_delay_alu instid0(VALU_DEP_1)
	v_dual_mov_b32 v9, v8 :: v_dual_mov_b32 v10, v8
	v_mov_b32_e32 v11, v8
	scratch_store_b128 off, v[8:11], off offset:160
	s_wait_loadcnt 0x0
	ds_store_b128 v6, v[2:5]
.LBB93_173:
	s_wait_xcnt 0x0
	s_or_b32 exec_lo, exec_lo, s2
	s_wait_storecnt_dscnt 0x0
	s_barrier_signal -1
	s_barrier_wait -1
	s_clause 0x9
	scratch_load_b128 v[8:11], off, off offset:176
	scratch_load_b128 v[74:77], off, off offset:192
	;; [unrolled: 1-line block ×10, first 2 shown]
	v_mov_b32_e32 v2, 0
	s_mov_b32 s2, exec_lo
	ds_load_b128 v[110:113], v2 offset:656
	s_clause 0x2
	scratch_load_b128 v[114:117], off, off offset:336
	scratch_load_b128 v[118:121], off, off offset:160
	;; [unrolled: 1-line block ×3, first 2 shown]
	s_wait_loadcnt_dscnt 0xc00
	v_mul_f64_e32 v[4:5], v[112:113], v[10:11]
	v_mul_f64_e32 v[134:135], v[110:111], v[10:11]
	ds_load_b128 v[122:125], v2 offset:672
	scratch_load_b128 v[10:13], off, off offset:352
	ds_load_b128 v[130:133], v2 offset:704
	v_fma_f64 v[4:5], v[110:111], v[8:9], -v[4:5]
	v_fmac_f64_e32 v[134:135], v[112:113], v[8:9]
	ds_load_b128 v[110:113], v2 offset:688
	s_wait_loadcnt_dscnt 0xc02
	v_mul_f64_e32 v[136:137], v[122:123], v[76:77]
	v_mul_f64_e32 v[76:77], v[124:125], v[76:77]
	s_wait_loadcnt_dscnt 0xb00
	v_mul_f64_e32 v[8:9], v[110:111], v[80:81]
	v_mul_f64_e32 v[80:81], v[112:113], v[80:81]
	v_add_f64_e32 v[4:5], 0, v[4:5]
	v_fmac_f64_e32 v[136:137], v[124:125], v[74:75]
	v_fma_f64 v[122:123], v[122:123], v[74:75], -v[76:77]
	v_add_f64_e32 v[124:125], 0, v[134:135]
	scratch_load_b128 v[74:77], off, off offset:384
	v_fmac_f64_e32 v[8:9], v[112:113], v[78:79]
	v_fma_f64 v[138:139], v[110:111], v[78:79], -v[80:81]
	ds_load_b128 v[78:81], v2 offset:720
	s_wait_loadcnt 0xb
	v_mul_f64_e32 v[134:135], v[130:131], v[84:85]
	v_mul_f64_e32 v[84:85], v[132:133], v[84:85]
	scratch_load_b128 v[110:113], off, off offset:400
	v_add_f64_e32 v[4:5], v[4:5], v[122:123]
	v_add_f64_e32 v[136:137], v[124:125], v[136:137]
	ds_load_b128 v[122:125], v2 offset:736
	s_wait_loadcnt_dscnt 0xb01
	v_mul_f64_e32 v[140:141], v[78:79], v[88:89]
	v_mul_f64_e32 v[88:89], v[80:81], v[88:89]
	v_fmac_f64_e32 v[134:135], v[132:133], v[82:83]
	v_fma_f64 v[130:131], v[130:131], v[82:83], -v[84:85]
	scratch_load_b128 v[82:85], off, off offset:416
	v_add_f64_e32 v[4:5], v[4:5], v[138:139]
	v_add_f64_e32 v[8:9], v[136:137], v[8:9]
	v_fmac_f64_e32 v[140:141], v[80:81], v[86:87]
	v_fma_f64 v[138:139], v[78:79], v[86:87], -v[88:89]
	ds_load_b128 v[78:81], v2 offset:752
	s_wait_loadcnt_dscnt 0xb01
	v_mul_f64_e32 v[136:137], v[122:123], v[92:93]
	v_mul_f64_e32 v[92:93], v[124:125], v[92:93]
	scratch_load_b128 v[86:89], off, off offset:432
	v_add_f64_e32 v[4:5], v[4:5], v[130:131]
	v_add_f64_e32 v[8:9], v[8:9], v[134:135]
	s_wait_loadcnt_dscnt 0xb00
	v_mul_f64_e32 v[134:135], v[78:79], v[96:97]
	v_mul_f64_e32 v[96:97], v[80:81], v[96:97]
	ds_load_b128 v[130:133], v2 offset:768
	v_fmac_f64_e32 v[136:137], v[124:125], v[90:91]
	v_fma_f64 v[122:123], v[122:123], v[90:91], -v[92:93]
	scratch_load_b128 v[90:93], off, off offset:448
	v_add_f64_e32 v[4:5], v[4:5], v[138:139]
	v_add_f64_e32 v[8:9], v[8:9], v[140:141]
	v_fmac_f64_e32 v[134:135], v[80:81], v[94:95]
	v_fma_f64 v[140:141], v[78:79], v[94:95], -v[96:97]
	ds_load_b128 v[78:81], v2 offset:784
	s_wait_loadcnt_dscnt 0xb01
	v_mul_f64_e32 v[138:139], v[130:131], v[100:101]
	v_mul_f64_e32 v[100:101], v[132:133], v[100:101]
	scratch_load_b128 v[94:97], off, off offset:464
	v_add_f64_e32 v[4:5], v[4:5], v[122:123]
	v_add_f64_e32 v[8:9], v[8:9], v[136:137]
	s_wait_loadcnt_dscnt 0xb00
	v_mul_f64_e32 v[136:137], v[78:79], v[104:105]
	v_mul_f64_e32 v[104:105], v[80:81], v[104:105]
	ds_load_b128 v[122:125], v2 offset:800
	v_fmac_f64_e32 v[138:139], v[132:133], v[98:99]
	v_fma_f64 v[98:99], v[130:131], v[98:99], -v[100:101]
	s_wait_loadcnt_dscnt 0xa00
	v_mul_f64_e32 v[130:131], v[122:123], v[108:109]
	v_mul_f64_e32 v[108:109], v[124:125], v[108:109]
	v_add_f64_e32 v[4:5], v[4:5], v[140:141]
	v_add_f64_e32 v[8:9], v[8:9], v[134:135]
	v_fmac_f64_e32 v[136:137], v[80:81], v[102:103]
	v_fma_f64 v[102:103], v[78:79], v[102:103], -v[104:105]
	v_fmac_f64_e32 v[130:131], v[124:125], v[106:107]
	v_fma_f64 v[106:107], v[122:123], v[106:107], -v[108:109]
	v_add_f64_e32 v[4:5], v[4:5], v[98:99]
	v_add_f64_e32 v[8:9], v[8:9], v[138:139]
	ds_load_b128 v[78:81], v2 offset:816
	ds_load_b128 v[98:101], v2 offset:832
	s_wait_loadcnt_dscnt 0x901
	v_mul_f64_e32 v[132:133], v[78:79], v[116:117]
	v_mul_f64_e32 v[104:105], v[80:81], v[116:117]
	s_wait_loadcnt_dscnt 0x600
	v_mul_f64_e32 v[108:109], v[98:99], v[12:13]
	v_add_f64_e32 v[4:5], v[4:5], v[102:103]
	v_add_f64_e32 v[8:9], v[8:9], v[136:137]
	v_mul_f64_e32 v[12:13], v[100:101], v[12:13]
	v_fmac_f64_e32 v[132:133], v[80:81], v[114:115]
	v_fma_f64 v[114:115], v[78:79], v[114:115], -v[104:105]
	ds_load_b128 v[78:81], v2 offset:848
	ds_load_b128 v[102:105], v2 offset:864
	v_fmac_f64_e32 v[108:109], v[100:101], v[10:11]
	v_add_f64_e32 v[4:5], v[4:5], v[106:107]
	v_add_f64_e32 v[8:9], v[8:9], v[130:131]
	v_fma_f64 v[10:11], v[98:99], v[10:11], -v[12:13]
	s_wait_dscnt 0x1
	v_mul_f64_e32 v[106:107], v[78:79], v[128:129]
	v_mul_f64_e32 v[116:117], v[80:81], v[128:129]
	v_add_f64_e32 v[4:5], v[4:5], v[114:115]
	v_add_f64_e32 v[8:9], v[8:9], v[132:133]
	s_wait_loadcnt_dscnt 0x500
	v_mul_f64_e32 v[12:13], v[102:103], v[76:77]
	v_mul_f64_e32 v[98:99], v[104:105], v[76:77]
	v_fmac_f64_e32 v[106:107], v[80:81], v[126:127]
	v_fma_f64 v[80:81], v[78:79], v[126:127], -v[116:117]
	v_add_f64_e32 v[4:5], v[4:5], v[10:11]
	v_add_f64_e32 v[100:101], v[8:9], v[108:109]
	ds_load_b128 v[8:11], v2 offset:880
	ds_load_b128 v[76:79], v2 offset:896
	v_fmac_f64_e32 v[12:13], v[104:105], v[74:75]
	v_fma_f64 v[74:75], v[102:103], v[74:75], -v[98:99]
	s_wait_loadcnt_dscnt 0x401
	v_mul_f64_e32 v[108:109], v[8:9], v[112:113]
	v_mul_f64_e32 v[112:113], v[10:11], v[112:113]
	s_wait_loadcnt_dscnt 0x300
	v_mul_f64_e32 v[102:103], v[76:77], v[84:85]
	v_mul_f64_e32 v[84:85], v[78:79], v[84:85]
	v_add_f64_e32 v[4:5], v[4:5], v[80:81]
	v_add_f64_e32 v[80:81], v[100:101], v[106:107]
	v_fmac_f64_e32 v[108:109], v[10:11], v[110:111]
	v_fma_f64 v[104:105], v[8:9], v[110:111], -v[112:113]
	ds_load_b128 v[8:11], v2 offset:912
	ds_load_b128 v[98:101], v2 offset:928
	v_fmac_f64_e32 v[102:103], v[78:79], v[82:83]
	v_fma_f64 v[76:77], v[76:77], v[82:83], -v[84:85]
	v_add_f64_e32 v[4:5], v[4:5], v[74:75]
	v_add_f64_e32 v[12:13], v[80:81], v[12:13]
	s_wait_loadcnt_dscnt 0x201
	v_mul_f64_e32 v[74:75], v[8:9], v[88:89]
	v_mul_f64_e32 v[80:81], v[10:11], v[88:89]
	s_wait_loadcnt_dscnt 0x100
	v_mul_f64_e32 v[78:79], v[98:99], v[92:93]
	v_mul_f64_e32 v[82:83], v[100:101], v[92:93]
	v_add_f64_e32 v[4:5], v[4:5], v[104:105]
	v_add_f64_e32 v[12:13], v[12:13], v[108:109]
	v_fmac_f64_e32 v[74:75], v[10:11], v[86:87]
	v_fma_f64 v[80:81], v[8:9], v[86:87], -v[80:81]
	ds_load_b128 v[8:11], v2 offset:944
	v_fmac_f64_e32 v[78:79], v[100:101], v[90:91]
	v_fma_f64 v[82:83], v[98:99], v[90:91], -v[82:83]
	s_wait_loadcnt_dscnt 0x0
	v_mul_f64_e32 v[84:85], v[10:11], v[96:97]
	v_add_f64_e32 v[4:5], v[4:5], v[76:77]
	v_add_f64_e32 v[12:13], v[12:13], v[102:103]
	v_mul_f64_e32 v[76:77], v[8:9], v[96:97]
	s_delay_alu instid0(VALU_DEP_4) | instskip(NEXT) | instid1(VALU_DEP_4)
	v_fma_f64 v[8:9], v[8:9], v[94:95], -v[84:85]
	v_add_f64_e32 v[4:5], v[4:5], v[80:81]
	s_delay_alu instid0(VALU_DEP_4) | instskip(NEXT) | instid1(VALU_DEP_4)
	v_add_f64_e32 v[12:13], v[12:13], v[74:75]
	v_fmac_f64_e32 v[76:77], v[10:11], v[94:95]
	s_delay_alu instid0(VALU_DEP_3) | instskip(NEXT) | instid1(VALU_DEP_3)
	v_add_f64_e32 v[4:5], v[4:5], v[82:83]
	v_add_f64_e32 v[10:11], v[12:13], v[78:79]
	s_delay_alu instid0(VALU_DEP_2) | instskip(NEXT) | instid1(VALU_DEP_2)
	v_add_f64_e32 v[4:5], v[4:5], v[8:9]
	v_add_f64_e32 v[10:11], v[10:11], v[76:77]
	s_delay_alu instid0(VALU_DEP_2) | instskip(NEXT) | instid1(VALU_DEP_2)
	v_add_f64_e64 v[8:9], v[118:119], -v[4:5]
	v_add_f64_e64 v[10:11], v[120:121], -v[10:11]
	scratch_store_b128 off, v[8:11], off offset:160
	s_wait_xcnt 0x0
	v_cmpx_lt_u32_e32 9, v1
	s_cbranch_execz .LBB93_175
; %bb.174:
	scratch_load_b128 v[8:11], off, s37
	v_dual_mov_b32 v3, v2 :: v_dual_mov_b32 v4, v2
	v_mov_b32_e32 v5, v2
	scratch_store_b128 off, v[2:5], off offset:144
	s_wait_loadcnt 0x0
	ds_store_b128 v6, v[8:11]
.LBB93_175:
	s_wait_xcnt 0x0
	s_or_b32 exec_lo, exec_lo, s2
	s_wait_storecnt_dscnt 0x0
	s_barrier_signal -1
	s_barrier_wait -1
	s_clause 0x9
	scratch_load_b128 v[8:11], off, off offset:160
	scratch_load_b128 v[74:77], off, off offset:176
	;; [unrolled: 1-line block ×10, first 2 shown]
	ds_load_b128 v[110:113], v2 offset:640
	ds_load_b128 v[118:121], v2 offset:656
	s_clause 0x1
	scratch_load_b128 v[114:117], off, off offset:320
	scratch_load_b128 v[122:125], off, off offset:144
	s_mov_b32 s2, exec_lo
	s_wait_loadcnt_dscnt 0xb01
	v_mul_f64_e32 v[4:5], v[112:113], v[10:11]
	v_mul_f64_e32 v[134:135], v[110:111], v[10:11]
	scratch_load_b128 v[10:13], off, off offset:336
	s_wait_loadcnt_dscnt 0xb00
	v_mul_f64_e32 v[136:137], v[118:119], v[76:77]
	v_mul_f64_e32 v[76:77], v[120:121], v[76:77]
	v_fma_f64 v[4:5], v[110:111], v[8:9], -v[4:5]
	v_fmac_f64_e32 v[134:135], v[112:113], v[8:9]
	ds_load_b128 v[110:113], v2 offset:672
	ds_load_b128 v[126:129], v2 offset:688
	scratch_load_b128 v[130:133], off, off offset:352
	v_fmac_f64_e32 v[136:137], v[120:121], v[74:75]
	v_fma_f64 v[118:119], v[118:119], v[74:75], -v[76:77]
	scratch_load_b128 v[74:77], off, off offset:368
	s_wait_loadcnt_dscnt 0xc01
	v_mul_f64_e32 v[8:9], v[110:111], v[80:81]
	v_mul_f64_e32 v[80:81], v[112:113], v[80:81]
	v_add_f64_e32 v[4:5], 0, v[4:5]
	v_add_f64_e32 v[120:121], 0, v[134:135]
	s_wait_loadcnt_dscnt 0xb00
	v_mul_f64_e32 v[134:135], v[126:127], v[84:85]
	v_mul_f64_e32 v[84:85], v[128:129], v[84:85]
	v_fmac_f64_e32 v[8:9], v[112:113], v[78:79]
	v_fma_f64 v[138:139], v[110:111], v[78:79], -v[80:81]
	ds_load_b128 v[78:81], v2 offset:704
	ds_load_b128 v[110:113], v2 offset:720
	v_add_f64_e32 v[4:5], v[4:5], v[118:119]
	v_add_f64_e32 v[136:137], v[120:121], v[136:137]
	scratch_load_b128 v[118:121], off, off offset:384
	v_fmac_f64_e32 v[134:135], v[128:129], v[82:83]
	v_fma_f64 v[126:127], v[126:127], v[82:83], -v[84:85]
	scratch_load_b128 v[82:85], off, off offset:400
	s_wait_loadcnt_dscnt 0xc01
	v_mul_f64_e32 v[140:141], v[78:79], v[88:89]
	v_mul_f64_e32 v[88:89], v[80:81], v[88:89]
	v_add_f64_e32 v[4:5], v[4:5], v[138:139]
	v_add_f64_e32 v[8:9], v[136:137], v[8:9]
	s_wait_loadcnt_dscnt 0xb00
	v_mul_f64_e32 v[136:137], v[110:111], v[92:93]
	v_mul_f64_e32 v[92:93], v[112:113], v[92:93]
	v_fmac_f64_e32 v[140:141], v[80:81], v[86:87]
	v_fma_f64 v[138:139], v[78:79], v[86:87], -v[88:89]
	ds_load_b128 v[78:81], v2 offset:736
	ds_load_b128 v[86:89], v2 offset:752
	v_add_f64_e32 v[4:5], v[4:5], v[126:127]
	v_add_f64_e32 v[8:9], v[8:9], v[134:135]
	scratch_load_b128 v[126:129], off, off offset:416
	s_wait_loadcnt_dscnt 0xb01
	v_mul_f64_e32 v[134:135], v[78:79], v[96:97]
	v_mul_f64_e32 v[96:97], v[80:81], v[96:97]
	v_fmac_f64_e32 v[136:137], v[112:113], v[90:91]
	v_fma_f64 v[110:111], v[110:111], v[90:91], -v[92:93]
	scratch_load_b128 v[90:93], off, off offset:432
	v_add_f64_e32 v[4:5], v[4:5], v[138:139]
	v_add_f64_e32 v[8:9], v[8:9], v[140:141]
	s_wait_loadcnt_dscnt 0xb00
	v_mul_f64_e32 v[138:139], v[86:87], v[100:101]
	v_mul_f64_e32 v[100:101], v[88:89], v[100:101]
	v_fmac_f64_e32 v[134:135], v[80:81], v[94:95]
	v_fma_f64 v[140:141], v[78:79], v[94:95], -v[96:97]
	ds_load_b128 v[78:81], v2 offset:768
	ds_load_b128 v[94:97], v2 offset:784
	v_add_f64_e32 v[4:5], v[4:5], v[110:111]
	v_add_f64_e32 v[8:9], v[8:9], v[136:137]
	scratch_load_b128 v[110:113], off, off offset:448
	s_wait_loadcnt_dscnt 0xb01
	v_mul_f64_e32 v[136:137], v[78:79], v[104:105]
	v_mul_f64_e32 v[104:105], v[80:81], v[104:105]
	v_fmac_f64_e32 v[138:139], v[88:89], v[98:99]
	v_fma_f64 v[98:99], v[86:87], v[98:99], -v[100:101]
	scratch_load_b128 v[86:89], off, off offset:464
	v_add_f64_e32 v[4:5], v[4:5], v[140:141]
	v_add_f64_e32 v[8:9], v[8:9], v[134:135]
	s_wait_loadcnt_dscnt 0xb00
	v_mul_f64_e32 v[134:135], v[94:95], v[108:109]
	v_mul_f64_e32 v[108:109], v[96:97], v[108:109]
	v_fmac_f64_e32 v[136:137], v[80:81], v[102:103]
	v_fma_f64 v[102:103], v[78:79], v[102:103], -v[104:105]
	v_add_f64_e32 v[4:5], v[4:5], v[98:99]
	v_add_f64_e32 v[8:9], v[8:9], v[138:139]
	ds_load_b128 v[78:81], v2 offset:800
	ds_load_b128 v[98:101], v2 offset:816
	v_fmac_f64_e32 v[134:135], v[96:97], v[106:107]
	v_fma_f64 v[94:95], v[94:95], v[106:107], -v[108:109]
	s_wait_loadcnt_dscnt 0xa01
	v_mul_f64_e32 v[104:105], v[78:79], v[116:117]
	v_mul_f64_e32 v[116:117], v[80:81], v[116:117]
	v_add_f64_e32 v[4:5], v[4:5], v[102:103]
	v_add_f64_e32 v[8:9], v[8:9], v[136:137]
	s_wait_loadcnt_dscnt 0x800
	v_mul_f64_e32 v[102:103], v[98:99], v[12:13]
	v_mul_f64_e32 v[12:13], v[100:101], v[12:13]
	v_fmac_f64_e32 v[104:105], v[80:81], v[114:115]
	v_fma_f64 v[106:107], v[78:79], v[114:115], -v[116:117]
	v_add_f64_e32 v[4:5], v[4:5], v[94:95]
	v_add_f64_e32 v[8:9], v[8:9], v[134:135]
	ds_load_b128 v[78:81], v2 offset:832
	ds_load_b128 v[94:97], v2 offset:848
	v_fmac_f64_e32 v[102:103], v[100:101], v[10:11]
	v_fma_f64 v[10:11], v[98:99], v[10:11], -v[12:13]
	s_wait_loadcnt_dscnt 0x701
	v_mul_f64_e32 v[108:109], v[78:79], v[132:133]
	v_mul_f64_e32 v[114:115], v[80:81], v[132:133]
	s_wait_loadcnt_dscnt 0x600
	v_mul_f64_e32 v[12:13], v[94:95], v[76:77]
	v_mul_f64_e32 v[98:99], v[96:97], v[76:77]
	v_add_f64_e32 v[4:5], v[4:5], v[106:107]
	v_add_f64_e32 v[8:9], v[8:9], v[104:105]
	v_fmac_f64_e32 v[108:109], v[80:81], v[130:131]
	v_fma_f64 v[80:81], v[78:79], v[130:131], -v[114:115]
	v_fmac_f64_e32 v[12:13], v[96:97], v[74:75]
	v_fma_f64 v[74:75], v[94:95], v[74:75], -v[98:99]
	v_add_f64_e32 v[4:5], v[4:5], v[10:11]
	v_add_f64_e32 v[100:101], v[8:9], v[102:103]
	ds_load_b128 v[8:11], v2 offset:864
	ds_load_b128 v[76:79], v2 offset:880
	s_wait_loadcnt_dscnt 0x501
	v_mul_f64_e32 v[102:103], v[8:9], v[120:121]
	v_mul_f64_e32 v[104:105], v[10:11], v[120:121]
	s_wait_loadcnt_dscnt 0x400
	v_mul_f64_e32 v[98:99], v[76:77], v[84:85]
	v_mul_f64_e32 v[84:85], v[78:79], v[84:85]
	v_add_f64_e32 v[4:5], v[4:5], v[80:81]
	v_add_f64_e32 v[80:81], v[100:101], v[108:109]
	v_fmac_f64_e32 v[102:103], v[10:11], v[118:119]
	v_fma_f64 v[100:101], v[8:9], v[118:119], -v[104:105]
	ds_load_b128 v[8:11], v2 offset:896
	ds_load_b128 v[94:97], v2 offset:912
	v_fmac_f64_e32 v[98:99], v[78:79], v[82:83]
	v_fma_f64 v[76:77], v[76:77], v[82:83], -v[84:85]
	v_add_f64_e32 v[4:5], v[4:5], v[74:75]
	v_add_f64_e32 v[12:13], v[80:81], v[12:13]
	s_wait_loadcnt_dscnt 0x301
	v_mul_f64_e32 v[74:75], v[8:9], v[128:129]
	v_mul_f64_e32 v[80:81], v[10:11], v[128:129]
	s_wait_loadcnt_dscnt 0x200
	v_mul_f64_e32 v[78:79], v[94:95], v[92:93]
	v_mul_f64_e32 v[82:83], v[96:97], v[92:93]
	v_add_f64_e32 v[4:5], v[4:5], v[100:101]
	v_add_f64_e32 v[12:13], v[12:13], v[102:103]
	v_fmac_f64_e32 v[74:75], v[10:11], v[126:127]
	v_fma_f64 v[80:81], v[8:9], v[126:127], -v[80:81]
	v_fmac_f64_e32 v[78:79], v[96:97], v[90:91]
	v_fma_f64 v[82:83], v[94:95], v[90:91], -v[82:83]
	v_add_f64_e32 v[76:77], v[4:5], v[76:77]
	v_add_f64_e32 v[12:13], v[12:13], v[98:99]
	ds_load_b128 v[8:11], v2 offset:928
	ds_load_b128 v[2:5], v2 offset:944
	s_wait_loadcnt_dscnt 0x101
	v_mul_f64_e32 v[84:85], v[8:9], v[112:113]
	v_mul_f64_e32 v[92:93], v[10:11], v[112:113]
	v_add_f64_e32 v[76:77], v[76:77], v[80:81]
	v_add_f64_e32 v[12:13], v[12:13], v[74:75]
	s_wait_loadcnt_dscnt 0x0
	v_mul_f64_e32 v[74:75], v[2:3], v[88:89]
	v_mul_f64_e32 v[80:81], v[4:5], v[88:89]
	v_fmac_f64_e32 v[84:85], v[10:11], v[110:111]
	v_fma_f64 v[8:9], v[8:9], v[110:111], -v[92:93]
	v_add_f64_e32 v[10:11], v[76:77], v[82:83]
	v_add_f64_e32 v[12:13], v[12:13], v[78:79]
	v_fmac_f64_e32 v[74:75], v[4:5], v[86:87]
	v_fma_f64 v[2:3], v[2:3], v[86:87], -v[80:81]
	s_delay_alu instid0(VALU_DEP_4) | instskip(NEXT) | instid1(VALU_DEP_4)
	v_add_f64_e32 v[4:5], v[10:11], v[8:9]
	v_add_f64_e32 v[8:9], v[12:13], v[84:85]
	s_delay_alu instid0(VALU_DEP_2) | instskip(NEXT) | instid1(VALU_DEP_2)
	v_add_f64_e32 v[2:3], v[4:5], v[2:3]
	v_add_f64_e32 v[4:5], v[8:9], v[74:75]
	s_delay_alu instid0(VALU_DEP_2) | instskip(NEXT) | instid1(VALU_DEP_2)
	v_add_f64_e64 v[2:3], v[122:123], -v[2:3]
	v_add_f64_e64 v[4:5], v[124:125], -v[4:5]
	scratch_store_b128 off, v[2:5], off offset:144
	s_wait_xcnt 0x0
	v_cmpx_lt_u32_e32 8, v1
	s_cbranch_execz .LBB93_177
; %bb.176:
	scratch_load_b128 v[2:5], off, s38
	v_mov_b32_e32 v8, 0
	s_delay_alu instid0(VALU_DEP_1)
	v_dual_mov_b32 v9, v8 :: v_dual_mov_b32 v10, v8
	v_mov_b32_e32 v11, v8
	scratch_store_b128 off, v[8:11], off offset:128
	s_wait_loadcnt 0x0
	ds_store_b128 v6, v[2:5]
.LBB93_177:
	s_wait_xcnt 0x0
	s_or_b32 exec_lo, exec_lo, s2
	s_wait_storecnt_dscnt 0x0
	s_barrier_signal -1
	s_barrier_wait -1
	s_clause 0x9
	scratch_load_b128 v[8:11], off, off offset:144
	scratch_load_b128 v[74:77], off, off offset:160
	;; [unrolled: 1-line block ×10, first 2 shown]
	v_mov_b32_e32 v2, 0
	s_mov_b32 s2, exec_lo
	ds_load_b128 v[110:113], v2 offset:624
	s_clause 0x2
	scratch_load_b128 v[114:117], off, off offset:304
	scratch_load_b128 v[118:121], off, off offset:128
	;; [unrolled: 1-line block ×3, first 2 shown]
	s_wait_loadcnt_dscnt 0xc00
	v_mul_f64_e32 v[4:5], v[112:113], v[10:11]
	v_mul_f64_e32 v[134:135], v[110:111], v[10:11]
	ds_load_b128 v[122:125], v2 offset:640
	scratch_load_b128 v[10:13], off, off offset:320
	ds_load_b128 v[130:133], v2 offset:672
	v_fma_f64 v[4:5], v[110:111], v[8:9], -v[4:5]
	v_fmac_f64_e32 v[134:135], v[112:113], v[8:9]
	ds_load_b128 v[110:113], v2 offset:656
	s_wait_loadcnt_dscnt 0xc02
	v_mul_f64_e32 v[136:137], v[122:123], v[76:77]
	v_mul_f64_e32 v[76:77], v[124:125], v[76:77]
	s_wait_loadcnt_dscnt 0xb00
	v_mul_f64_e32 v[8:9], v[110:111], v[80:81]
	v_mul_f64_e32 v[80:81], v[112:113], v[80:81]
	v_add_f64_e32 v[4:5], 0, v[4:5]
	v_fmac_f64_e32 v[136:137], v[124:125], v[74:75]
	v_fma_f64 v[122:123], v[122:123], v[74:75], -v[76:77]
	v_add_f64_e32 v[124:125], 0, v[134:135]
	scratch_load_b128 v[74:77], off, off offset:352
	v_fmac_f64_e32 v[8:9], v[112:113], v[78:79]
	v_fma_f64 v[138:139], v[110:111], v[78:79], -v[80:81]
	ds_load_b128 v[78:81], v2 offset:688
	s_wait_loadcnt 0xb
	v_mul_f64_e32 v[134:135], v[130:131], v[84:85]
	v_mul_f64_e32 v[84:85], v[132:133], v[84:85]
	scratch_load_b128 v[110:113], off, off offset:368
	v_add_f64_e32 v[4:5], v[4:5], v[122:123]
	v_add_f64_e32 v[136:137], v[124:125], v[136:137]
	ds_load_b128 v[122:125], v2 offset:704
	s_wait_loadcnt_dscnt 0xb01
	v_mul_f64_e32 v[140:141], v[78:79], v[88:89]
	v_mul_f64_e32 v[88:89], v[80:81], v[88:89]
	v_fmac_f64_e32 v[134:135], v[132:133], v[82:83]
	v_fma_f64 v[130:131], v[130:131], v[82:83], -v[84:85]
	scratch_load_b128 v[82:85], off, off offset:384
	v_add_f64_e32 v[4:5], v[4:5], v[138:139]
	v_add_f64_e32 v[8:9], v[136:137], v[8:9]
	v_fmac_f64_e32 v[140:141], v[80:81], v[86:87]
	v_fma_f64 v[138:139], v[78:79], v[86:87], -v[88:89]
	ds_load_b128 v[78:81], v2 offset:720
	s_wait_loadcnt_dscnt 0xb01
	v_mul_f64_e32 v[136:137], v[122:123], v[92:93]
	v_mul_f64_e32 v[92:93], v[124:125], v[92:93]
	scratch_load_b128 v[86:89], off, off offset:400
	v_add_f64_e32 v[4:5], v[4:5], v[130:131]
	v_add_f64_e32 v[8:9], v[8:9], v[134:135]
	s_wait_loadcnt_dscnt 0xb00
	v_mul_f64_e32 v[134:135], v[78:79], v[96:97]
	v_mul_f64_e32 v[96:97], v[80:81], v[96:97]
	ds_load_b128 v[130:133], v2 offset:736
	v_fmac_f64_e32 v[136:137], v[124:125], v[90:91]
	v_fma_f64 v[122:123], v[122:123], v[90:91], -v[92:93]
	scratch_load_b128 v[90:93], off, off offset:416
	v_add_f64_e32 v[4:5], v[4:5], v[138:139]
	v_add_f64_e32 v[8:9], v[8:9], v[140:141]
	v_fmac_f64_e32 v[134:135], v[80:81], v[94:95]
	v_fma_f64 v[140:141], v[78:79], v[94:95], -v[96:97]
	ds_load_b128 v[78:81], v2 offset:752
	s_wait_loadcnt_dscnt 0xb01
	v_mul_f64_e32 v[138:139], v[130:131], v[100:101]
	v_mul_f64_e32 v[100:101], v[132:133], v[100:101]
	scratch_load_b128 v[94:97], off, off offset:432
	v_add_f64_e32 v[4:5], v[4:5], v[122:123]
	v_add_f64_e32 v[8:9], v[8:9], v[136:137]
	s_wait_loadcnt_dscnt 0xb00
	v_mul_f64_e32 v[136:137], v[78:79], v[104:105]
	v_mul_f64_e32 v[104:105], v[80:81], v[104:105]
	ds_load_b128 v[122:125], v2 offset:768
	;; [unrolled: 18-line block ×3, first 2 shown]
	v_fmac_f64_e32 v[134:135], v[124:125], v[106:107]
	v_fma_f64 v[106:107], v[122:123], v[106:107], -v[108:109]
	s_wait_loadcnt_dscnt 0x800
	v_mul_f64_e32 v[122:123], v[130:131], v[12:13]
	v_add_f64_e32 v[4:5], v[4:5], v[140:141]
	v_add_f64_e32 v[8:9], v[8:9], v[136:137]
	v_mul_f64_e32 v[12:13], v[132:133], v[12:13]
	v_fmac_f64_e32 v[138:139], v[80:81], v[114:115]
	v_fma_f64 v[114:115], v[78:79], v[114:115], -v[116:117]
	v_fmac_f64_e32 v[122:123], v[132:133], v[10:11]
	v_add_f64_e32 v[4:5], v[4:5], v[106:107]
	v_add_f64_e32 v[8:9], v[8:9], v[134:135]
	ds_load_b128 v[78:81], v2 offset:816
	ds_load_b128 v[106:109], v2 offset:832
	v_fma_f64 v[10:11], v[130:131], v[10:11], -v[12:13]
	s_wait_dscnt 0x1
	v_mul_f64_e32 v[116:117], v[78:79], v[128:129]
	v_mul_f64_e32 v[124:125], v[80:81], v[128:129]
	v_add_f64_e32 v[4:5], v[4:5], v[114:115]
	v_add_f64_e32 v[8:9], v[8:9], v[138:139]
	s_wait_loadcnt_dscnt 0x700
	v_mul_f64_e32 v[12:13], v[106:107], v[76:77]
	v_mul_f64_e32 v[114:115], v[108:109], v[76:77]
	v_fmac_f64_e32 v[116:117], v[80:81], v[126:127]
	v_fma_f64 v[80:81], v[78:79], v[126:127], -v[124:125]
	v_add_f64_e32 v[4:5], v[4:5], v[10:11]
	v_add_f64_e32 v[122:123], v[8:9], v[122:123]
	ds_load_b128 v[8:11], v2 offset:848
	ds_load_b128 v[76:79], v2 offset:864
	v_fmac_f64_e32 v[12:13], v[108:109], v[74:75]
	v_fma_f64 v[74:75], v[106:107], v[74:75], -v[114:115]
	s_wait_loadcnt_dscnt 0x601
	v_mul_f64_e32 v[124:125], v[8:9], v[112:113]
	v_mul_f64_e32 v[112:113], v[10:11], v[112:113]
	s_wait_loadcnt_dscnt 0x500
	v_mul_f64_e32 v[114:115], v[76:77], v[84:85]
	v_mul_f64_e32 v[84:85], v[78:79], v[84:85]
	v_add_f64_e32 v[4:5], v[4:5], v[80:81]
	v_add_f64_e32 v[80:81], v[122:123], v[116:117]
	v_fmac_f64_e32 v[124:125], v[10:11], v[110:111]
	v_fma_f64 v[110:111], v[8:9], v[110:111], -v[112:113]
	ds_load_b128 v[8:11], v2 offset:880
	ds_load_b128 v[106:109], v2 offset:896
	v_fmac_f64_e32 v[114:115], v[78:79], v[82:83]
	v_fma_f64 v[76:77], v[76:77], v[82:83], -v[84:85]
	v_add_f64_e32 v[4:5], v[4:5], v[74:75]
	v_add_f64_e32 v[12:13], v[80:81], v[12:13]
	s_wait_loadcnt_dscnt 0x401
	v_mul_f64_e32 v[80:81], v[8:9], v[88:89]
	v_mul_f64_e32 v[74:75], v[10:11], v[88:89]
	s_wait_loadcnt_dscnt 0x300
	v_mul_f64_e32 v[78:79], v[106:107], v[92:93]
	v_mul_f64_e32 v[82:83], v[108:109], v[92:93]
	v_add_f64_e32 v[4:5], v[4:5], v[110:111]
	v_add_f64_e32 v[12:13], v[12:13], v[124:125]
	v_fmac_f64_e32 v[80:81], v[10:11], v[86:87]
	v_fma_f64 v[84:85], v[8:9], v[86:87], -v[74:75]
	v_fmac_f64_e32 v[78:79], v[108:109], v[90:91]
	v_fma_f64 v[82:83], v[106:107], v[90:91], -v[82:83]
	v_add_f64_e32 v[4:5], v[4:5], v[76:77]
	v_add_f64_e32 v[12:13], v[12:13], v[114:115]
	ds_load_b128 v[8:11], v2 offset:912
	ds_load_b128 v[74:77], v2 offset:928
	s_wait_loadcnt_dscnt 0x201
	v_mul_f64_e32 v[86:87], v[8:9], v[96:97]
	v_mul_f64_e32 v[88:89], v[10:11], v[96:97]
	v_add_f64_e32 v[4:5], v[4:5], v[84:85]
	v_add_f64_e32 v[12:13], v[12:13], v[80:81]
	s_wait_loadcnt_dscnt 0x100
	v_mul_f64_e32 v[80:81], v[74:75], v[100:101]
	v_mul_f64_e32 v[84:85], v[76:77], v[100:101]
	v_fmac_f64_e32 v[86:87], v[10:11], v[94:95]
	v_fma_f64 v[88:89], v[8:9], v[94:95], -v[88:89]
	ds_load_b128 v[8:11], v2 offset:944
	v_add_f64_e32 v[4:5], v[4:5], v[82:83]
	v_add_f64_e32 v[12:13], v[12:13], v[78:79]
	v_fmac_f64_e32 v[80:81], v[76:77], v[98:99]
	v_fma_f64 v[74:75], v[74:75], v[98:99], -v[84:85]
	s_wait_loadcnt_dscnt 0x0
	v_mul_f64_e32 v[78:79], v[8:9], v[104:105]
	v_mul_f64_e32 v[82:83], v[10:11], v[104:105]
	v_add_f64_e32 v[4:5], v[4:5], v[88:89]
	v_add_f64_e32 v[12:13], v[12:13], v[86:87]
	s_delay_alu instid0(VALU_DEP_4) | instskip(NEXT) | instid1(VALU_DEP_4)
	v_fmac_f64_e32 v[78:79], v[10:11], v[102:103]
	v_fma_f64 v[8:9], v[8:9], v[102:103], -v[82:83]
	s_delay_alu instid0(VALU_DEP_4) | instskip(NEXT) | instid1(VALU_DEP_4)
	v_add_f64_e32 v[4:5], v[4:5], v[74:75]
	v_add_f64_e32 v[10:11], v[12:13], v[80:81]
	s_delay_alu instid0(VALU_DEP_2) | instskip(NEXT) | instid1(VALU_DEP_2)
	v_add_f64_e32 v[4:5], v[4:5], v[8:9]
	v_add_f64_e32 v[10:11], v[10:11], v[78:79]
	s_delay_alu instid0(VALU_DEP_2) | instskip(NEXT) | instid1(VALU_DEP_2)
	v_add_f64_e64 v[8:9], v[118:119], -v[4:5]
	v_add_f64_e64 v[10:11], v[120:121], -v[10:11]
	scratch_store_b128 off, v[8:11], off offset:128
	s_wait_xcnt 0x0
	v_cmpx_lt_u32_e32 7, v1
	s_cbranch_execz .LBB93_179
; %bb.178:
	scratch_load_b128 v[8:11], off, s39
	v_dual_mov_b32 v3, v2 :: v_dual_mov_b32 v4, v2
	v_mov_b32_e32 v5, v2
	scratch_store_b128 off, v[2:5], off offset:112
	s_wait_loadcnt 0x0
	ds_store_b128 v6, v[8:11]
.LBB93_179:
	s_wait_xcnt 0x0
	s_or_b32 exec_lo, exec_lo, s2
	s_wait_storecnt_dscnt 0x0
	s_barrier_signal -1
	s_barrier_wait -1
	s_clause 0x9
	scratch_load_b128 v[8:11], off, off offset:128
	scratch_load_b128 v[74:77], off, off offset:144
	;; [unrolled: 1-line block ×10, first 2 shown]
	ds_load_b128 v[110:113], v2 offset:608
	ds_load_b128 v[118:121], v2 offset:624
	s_clause 0x1
	scratch_load_b128 v[114:117], off, off offset:288
	scratch_load_b128 v[122:125], off, off offset:112
	s_mov_b32 s2, exec_lo
	s_wait_loadcnt_dscnt 0xb01
	v_mul_f64_e32 v[4:5], v[112:113], v[10:11]
	v_mul_f64_e32 v[134:135], v[110:111], v[10:11]
	scratch_load_b128 v[10:13], off, off offset:304
	s_wait_loadcnt_dscnt 0xb00
	v_mul_f64_e32 v[136:137], v[118:119], v[76:77]
	v_mul_f64_e32 v[76:77], v[120:121], v[76:77]
	v_fma_f64 v[4:5], v[110:111], v[8:9], -v[4:5]
	v_fmac_f64_e32 v[134:135], v[112:113], v[8:9]
	ds_load_b128 v[110:113], v2 offset:640
	ds_load_b128 v[126:129], v2 offset:656
	scratch_load_b128 v[130:133], off, off offset:320
	v_fmac_f64_e32 v[136:137], v[120:121], v[74:75]
	v_fma_f64 v[118:119], v[118:119], v[74:75], -v[76:77]
	scratch_load_b128 v[74:77], off, off offset:336
	s_wait_loadcnt_dscnt 0xc01
	v_mul_f64_e32 v[8:9], v[110:111], v[80:81]
	v_mul_f64_e32 v[80:81], v[112:113], v[80:81]
	v_add_f64_e32 v[4:5], 0, v[4:5]
	v_add_f64_e32 v[120:121], 0, v[134:135]
	s_wait_loadcnt_dscnt 0xb00
	v_mul_f64_e32 v[134:135], v[126:127], v[84:85]
	v_mul_f64_e32 v[84:85], v[128:129], v[84:85]
	v_fmac_f64_e32 v[8:9], v[112:113], v[78:79]
	v_fma_f64 v[138:139], v[110:111], v[78:79], -v[80:81]
	ds_load_b128 v[78:81], v2 offset:672
	ds_load_b128 v[110:113], v2 offset:688
	v_add_f64_e32 v[4:5], v[4:5], v[118:119]
	v_add_f64_e32 v[136:137], v[120:121], v[136:137]
	scratch_load_b128 v[118:121], off, off offset:352
	v_fmac_f64_e32 v[134:135], v[128:129], v[82:83]
	v_fma_f64 v[126:127], v[126:127], v[82:83], -v[84:85]
	scratch_load_b128 v[82:85], off, off offset:368
	s_wait_loadcnt_dscnt 0xc01
	v_mul_f64_e32 v[140:141], v[78:79], v[88:89]
	v_mul_f64_e32 v[88:89], v[80:81], v[88:89]
	v_add_f64_e32 v[4:5], v[4:5], v[138:139]
	v_add_f64_e32 v[8:9], v[136:137], v[8:9]
	s_wait_loadcnt_dscnt 0xb00
	v_mul_f64_e32 v[136:137], v[110:111], v[92:93]
	v_mul_f64_e32 v[92:93], v[112:113], v[92:93]
	v_fmac_f64_e32 v[140:141], v[80:81], v[86:87]
	v_fma_f64 v[138:139], v[78:79], v[86:87], -v[88:89]
	ds_load_b128 v[78:81], v2 offset:704
	ds_load_b128 v[86:89], v2 offset:720
	v_add_f64_e32 v[4:5], v[4:5], v[126:127]
	v_add_f64_e32 v[8:9], v[8:9], v[134:135]
	scratch_load_b128 v[126:129], off, off offset:384
	s_wait_loadcnt_dscnt 0xb01
	v_mul_f64_e32 v[134:135], v[78:79], v[96:97]
	v_mul_f64_e32 v[96:97], v[80:81], v[96:97]
	v_fmac_f64_e32 v[136:137], v[112:113], v[90:91]
	v_fma_f64 v[110:111], v[110:111], v[90:91], -v[92:93]
	scratch_load_b128 v[90:93], off, off offset:400
	v_add_f64_e32 v[4:5], v[4:5], v[138:139]
	v_add_f64_e32 v[8:9], v[8:9], v[140:141]
	s_wait_loadcnt_dscnt 0xb00
	v_mul_f64_e32 v[138:139], v[86:87], v[100:101]
	v_mul_f64_e32 v[100:101], v[88:89], v[100:101]
	v_fmac_f64_e32 v[134:135], v[80:81], v[94:95]
	v_fma_f64 v[140:141], v[78:79], v[94:95], -v[96:97]
	ds_load_b128 v[78:81], v2 offset:736
	ds_load_b128 v[94:97], v2 offset:752
	v_add_f64_e32 v[4:5], v[4:5], v[110:111]
	v_add_f64_e32 v[8:9], v[8:9], v[136:137]
	scratch_load_b128 v[110:113], off, off offset:416
	s_wait_loadcnt_dscnt 0xb01
	v_mul_f64_e32 v[136:137], v[78:79], v[104:105]
	v_mul_f64_e32 v[104:105], v[80:81], v[104:105]
	v_fmac_f64_e32 v[138:139], v[88:89], v[98:99]
	v_fma_f64 v[98:99], v[86:87], v[98:99], -v[100:101]
	scratch_load_b128 v[86:89], off, off offset:432
	v_add_f64_e32 v[4:5], v[4:5], v[140:141]
	v_add_f64_e32 v[8:9], v[8:9], v[134:135]
	s_wait_loadcnt_dscnt 0xb00
	v_mul_f64_e32 v[134:135], v[94:95], v[108:109]
	v_mul_f64_e32 v[108:109], v[96:97], v[108:109]
	v_fmac_f64_e32 v[136:137], v[80:81], v[102:103]
	v_fma_f64 v[140:141], v[78:79], v[102:103], -v[104:105]
	v_add_f64_e32 v[4:5], v[4:5], v[98:99]
	v_add_f64_e32 v[8:9], v[8:9], v[138:139]
	ds_load_b128 v[78:81], v2 offset:768
	ds_load_b128 v[98:101], v2 offset:784
	scratch_load_b128 v[102:105], off, off offset:448
	v_fmac_f64_e32 v[134:135], v[96:97], v[106:107]
	v_fma_f64 v[106:107], v[94:95], v[106:107], -v[108:109]
	scratch_load_b128 v[94:97], off, off offset:464
	s_wait_loadcnt_dscnt 0xc01
	v_mul_f64_e32 v[138:139], v[78:79], v[116:117]
	v_mul_f64_e32 v[116:117], v[80:81], v[116:117]
	v_add_f64_e32 v[4:5], v[4:5], v[140:141]
	v_add_f64_e32 v[8:9], v[8:9], v[136:137]
	s_wait_loadcnt_dscnt 0xa00
	v_mul_f64_e32 v[136:137], v[98:99], v[12:13]
	v_mul_f64_e32 v[12:13], v[100:101], v[12:13]
	v_fmac_f64_e32 v[138:139], v[80:81], v[114:115]
	v_fma_f64 v[114:115], v[78:79], v[114:115], -v[116:117]
	v_add_f64_e32 v[4:5], v[4:5], v[106:107]
	v_add_f64_e32 v[8:9], v[8:9], v[134:135]
	ds_load_b128 v[78:81], v2 offset:800
	ds_load_b128 v[106:109], v2 offset:816
	v_fmac_f64_e32 v[136:137], v[100:101], v[10:11]
	v_fma_f64 v[10:11], v[98:99], v[10:11], -v[12:13]
	s_wait_loadcnt_dscnt 0x901
	v_mul_f64_e32 v[116:117], v[78:79], v[132:133]
	v_mul_f64_e32 v[132:133], v[80:81], v[132:133]
	s_wait_loadcnt_dscnt 0x800
	v_mul_f64_e32 v[12:13], v[106:107], v[76:77]
	v_mul_f64_e32 v[98:99], v[108:109], v[76:77]
	v_add_f64_e32 v[4:5], v[4:5], v[114:115]
	v_add_f64_e32 v[8:9], v[8:9], v[138:139]
	v_fmac_f64_e32 v[116:117], v[80:81], v[130:131]
	v_fma_f64 v[80:81], v[78:79], v[130:131], -v[132:133]
	v_fmac_f64_e32 v[12:13], v[108:109], v[74:75]
	v_fma_f64 v[74:75], v[106:107], v[74:75], -v[98:99]
	v_add_f64_e32 v[4:5], v[4:5], v[10:11]
	v_add_f64_e32 v[100:101], v[8:9], v[136:137]
	ds_load_b128 v[8:11], v2 offset:832
	ds_load_b128 v[76:79], v2 offset:848
	s_wait_loadcnt_dscnt 0x701
	v_mul_f64_e32 v[114:115], v[8:9], v[120:121]
	v_mul_f64_e32 v[120:121], v[10:11], v[120:121]
	s_wait_loadcnt_dscnt 0x600
	v_mul_f64_e32 v[106:107], v[76:77], v[84:85]
	v_mul_f64_e32 v[84:85], v[78:79], v[84:85]
	v_add_f64_e32 v[4:5], v[4:5], v[80:81]
	v_add_f64_e32 v[80:81], v[100:101], v[116:117]
	v_fmac_f64_e32 v[114:115], v[10:11], v[118:119]
	v_fma_f64 v[108:109], v[8:9], v[118:119], -v[120:121]
	ds_load_b128 v[8:11], v2 offset:864
	ds_load_b128 v[98:101], v2 offset:880
	v_fmac_f64_e32 v[106:107], v[78:79], v[82:83]
	v_fma_f64 v[76:77], v[76:77], v[82:83], -v[84:85]
	v_add_f64_e32 v[4:5], v[4:5], v[74:75]
	v_add_f64_e32 v[12:13], v[80:81], v[12:13]
	s_wait_loadcnt_dscnt 0x501
	v_mul_f64_e32 v[80:81], v[8:9], v[128:129]
	v_mul_f64_e32 v[74:75], v[10:11], v[128:129]
	s_wait_loadcnt_dscnt 0x400
	v_mul_f64_e32 v[78:79], v[98:99], v[92:93]
	v_mul_f64_e32 v[82:83], v[100:101], v[92:93]
	v_add_f64_e32 v[4:5], v[4:5], v[108:109]
	v_add_f64_e32 v[12:13], v[12:13], v[114:115]
	v_fmac_f64_e32 v[80:81], v[10:11], v[126:127]
	v_fma_f64 v[84:85], v[8:9], v[126:127], -v[74:75]
	v_fmac_f64_e32 v[78:79], v[100:101], v[90:91]
	v_fma_f64 v[82:83], v[98:99], v[90:91], -v[82:83]
	v_add_f64_e32 v[4:5], v[4:5], v[76:77]
	v_add_f64_e32 v[12:13], v[12:13], v[106:107]
	ds_load_b128 v[8:11], v2 offset:896
	ds_load_b128 v[74:77], v2 offset:912
	s_wait_loadcnt_dscnt 0x301
	v_mul_f64_e32 v[92:93], v[8:9], v[112:113]
	v_mul_f64_e32 v[106:107], v[10:11], v[112:113]
	v_add_f64_e32 v[4:5], v[4:5], v[84:85]
	v_add_f64_e32 v[12:13], v[12:13], v[80:81]
	s_wait_loadcnt_dscnt 0x200
	v_mul_f64_e32 v[80:81], v[74:75], v[88:89]
	v_mul_f64_e32 v[84:85], v[76:77], v[88:89]
	v_fmac_f64_e32 v[92:93], v[10:11], v[110:111]
	v_fma_f64 v[88:89], v[8:9], v[110:111], -v[106:107]
	v_add_f64_e32 v[82:83], v[4:5], v[82:83]
	v_add_f64_e32 v[12:13], v[12:13], v[78:79]
	ds_load_b128 v[8:11], v2 offset:928
	ds_load_b128 v[2:5], v2 offset:944
	v_fmac_f64_e32 v[80:81], v[76:77], v[86:87]
	v_fma_f64 v[74:75], v[74:75], v[86:87], -v[84:85]
	s_wait_loadcnt_dscnt 0x101
	v_mul_f64_e32 v[78:79], v[8:9], v[104:105]
	v_mul_f64_e32 v[90:91], v[10:11], v[104:105]
	s_wait_loadcnt_dscnt 0x0
	v_mul_f64_e32 v[84:85], v[4:5], v[96:97]
	v_add_f64_e32 v[76:77], v[82:83], v[88:89]
	v_add_f64_e32 v[12:13], v[12:13], v[92:93]
	v_mul_f64_e32 v[82:83], v[2:3], v[96:97]
	v_fmac_f64_e32 v[78:79], v[10:11], v[102:103]
	v_fma_f64 v[8:9], v[8:9], v[102:103], -v[90:91]
	v_fma_f64 v[2:3], v[2:3], v[94:95], -v[84:85]
	v_add_f64_e32 v[10:11], v[76:77], v[74:75]
	v_add_f64_e32 v[12:13], v[12:13], v[80:81]
	v_fmac_f64_e32 v[82:83], v[4:5], v[94:95]
	s_delay_alu instid0(VALU_DEP_3) | instskip(NEXT) | instid1(VALU_DEP_3)
	v_add_f64_e32 v[4:5], v[10:11], v[8:9]
	v_add_f64_e32 v[8:9], v[12:13], v[78:79]
	s_delay_alu instid0(VALU_DEP_2) | instskip(NEXT) | instid1(VALU_DEP_2)
	v_add_f64_e32 v[2:3], v[4:5], v[2:3]
	v_add_f64_e32 v[4:5], v[8:9], v[82:83]
	s_delay_alu instid0(VALU_DEP_2) | instskip(NEXT) | instid1(VALU_DEP_2)
	v_add_f64_e64 v[2:3], v[122:123], -v[2:3]
	v_add_f64_e64 v[4:5], v[124:125], -v[4:5]
	scratch_store_b128 off, v[2:5], off offset:112
	s_wait_xcnt 0x0
	v_cmpx_lt_u32_e32 6, v1
	s_cbranch_execz .LBB93_181
; %bb.180:
	scratch_load_b128 v[2:5], off, s40
	v_mov_b32_e32 v8, 0
	s_delay_alu instid0(VALU_DEP_1)
	v_dual_mov_b32 v9, v8 :: v_dual_mov_b32 v10, v8
	v_mov_b32_e32 v11, v8
	scratch_store_b128 off, v[8:11], off offset:96
	s_wait_loadcnt 0x0
	ds_store_b128 v6, v[2:5]
.LBB93_181:
	s_wait_xcnt 0x0
	s_or_b32 exec_lo, exec_lo, s2
	s_wait_storecnt_dscnt 0x0
	s_barrier_signal -1
	s_barrier_wait -1
	s_clause 0x9
	scratch_load_b128 v[8:11], off, off offset:112
	scratch_load_b128 v[74:77], off, off offset:128
	;; [unrolled: 1-line block ×10, first 2 shown]
	v_mov_b32_e32 v2, 0
	s_mov_b32 s2, exec_lo
	ds_load_b128 v[110:113], v2 offset:592
	s_clause 0x2
	scratch_load_b128 v[114:117], off, off offset:272
	scratch_load_b128 v[118:121], off, off offset:96
	;; [unrolled: 1-line block ×3, first 2 shown]
	s_wait_loadcnt_dscnt 0xc00
	v_mul_f64_e32 v[4:5], v[112:113], v[10:11]
	v_mul_f64_e32 v[134:135], v[110:111], v[10:11]
	ds_load_b128 v[122:125], v2 offset:608
	scratch_load_b128 v[10:13], off, off offset:288
	ds_load_b128 v[130:133], v2 offset:640
	v_fma_f64 v[4:5], v[110:111], v[8:9], -v[4:5]
	v_fmac_f64_e32 v[134:135], v[112:113], v[8:9]
	ds_load_b128 v[110:113], v2 offset:624
	s_wait_loadcnt_dscnt 0xc02
	v_mul_f64_e32 v[136:137], v[122:123], v[76:77]
	v_mul_f64_e32 v[76:77], v[124:125], v[76:77]
	s_wait_loadcnt_dscnt 0xb00
	v_mul_f64_e32 v[8:9], v[110:111], v[80:81]
	v_mul_f64_e32 v[80:81], v[112:113], v[80:81]
	v_add_f64_e32 v[4:5], 0, v[4:5]
	v_fmac_f64_e32 v[136:137], v[124:125], v[74:75]
	v_fma_f64 v[122:123], v[122:123], v[74:75], -v[76:77]
	v_add_f64_e32 v[124:125], 0, v[134:135]
	scratch_load_b128 v[74:77], off, off offset:320
	v_fmac_f64_e32 v[8:9], v[112:113], v[78:79]
	v_fma_f64 v[138:139], v[110:111], v[78:79], -v[80:81]
	ds_load_b128 v[78:81], v2 offset:656
	s_wait_loadcnt 0xb
	v_mul_f64_e32 v[134:135], v[130:131], v[84:85]
	v_mul_f64_e32 v[84:85], v[132:133], v[84:85]
	scratch_load_b128 v[110:113], off, off offset:336
	v_add_f64_e32 v[4:5], v[4:5], v[122:123]
	v_add_f64_e32 v[136:137], v[124:125], v[136:137]
	ds_load_b128 v[122:125], v2 offset:672
	s_wait_loadcnt_dscnt 0xb01
	v_mul_f64_e32 v[140:141], v[78:79], v[88:89]
	v_mul_f64_e32 v[88:89], v[80:81], v[88:89]
	v_fmac_f64_e32 v[134:135], v[132:133], v[82:83]
	v_fma_f64 v[130:131], v[130:131], v[82:83], -v[84:85]
	scratch_load_b128 v[82:85], off, off offset:352
	v_add_f64_e32 v[4:5], v[4:5], v[138:139]
	v_add_f64_e32 v[8:9], v[136:137], v[8:9]
	v_fmac_f64_e32 v[140:141], v[80:81], v[86:87]
	v_fma_f64 v[138:139], v[78:79], v[86:87], -v[88:89]
	ds_load_b128 v[78:81], v2 offset:688
	s_wait_loadcnt_dscnt 0xb01
	v_mul_f64_e32 v[136:137], v[122:123], v[92:93]
	v_mul_f64_e32 v[92:93], v[124:125], v[92:93]
	scratch_load_b128 v[86:89], off, off offset:368
	v_add_f64_e32 v[4:5], v[4:5], v[130:131]
	v_add_f64_e32 v[8:9], v[8:9], v[134:135]
	s_wait_loadcnt_dscnt 0xb00
	v_mul_f64_e32 v[134:135], v[78:79], v[96:97]
	v_mul_f64_e32 v[96:97], v[80:81], v[96:97]
	ds_load_b128 v[130:133], v2 offset:704
	v_fmac_f64_e32 v[136:137], v[124:125], v[90:91]
	v_fma_f64 v[122:123], v[122:123], v[90:91], -v[92:93]
	scratch_load_b128 v[90:93], off, off offset:384
	v_add_f64_e32 v[4:5], v[4:5], v[138:139]
	v_add_f64_e32 v[8:9], v[8:9], v[140:141]
	v_fmac_f64_e32 v[134:135], v[80:81], v[94:95]
	v_fma_f64 v[140:141], v[78:79], v[94:95], -v[96:97]
	ds_load_b128 v[78:81], v2 offset:720
	s_wait_loadcnt_dscnt 0xb01
	v_mul_f64_e32 v[138:139], v[130:131], v[100:101]
	v_mul_f64_e32 v[100:101], v[132:133], v[100:101]
	scratch_load_b128 v[94:97], off, off offset:400
	v_add_f64_e32 v[4:5], v[4:5], v[122:123]
	v_add_f64_e32 v[8:9], v[8:9], v[136:137]
	s_wait_loadcnt_dscnt 0xb00
	v_mul_f64_e32 v[136:137], v[78:79], v[104:105]
	v_mul_f64_e32 v[104:105], v[80:81], v[104:105]
	ds_load_b128 v[122:125], v2 offset:736
	;; [unrolled: 18-line block ×3, first 2 shown]
	v_fmac_f64_e32 v[134:135], v[124:125], v[106:107]
	v_fma_f64 v[122:123], v[122:123], v[106:107], -v[108:109]
	scratch_load_b128 v[106:109], off, off offset:448
	v_add_f64_e32 v[4:5], v[4:5], v[140:141]
	v_add_f64_e32 v[8:9], v[8:9], v[136:137]
	v_fmac_f64_e32 v[138:139], v[80:81], v[114:115]
	v_fma_f64 v[140:141], v[78:79], v[114:115], -v[116:117]
	ds_load_b128 v[78:81], v2 offset:784
	s_wait_loadcnt_dscnt 0x901
	v_mul_f64_e32 v[136:137], v[130:131], v[12:13]
	v_mul_f64_e32 v[12:13], v[132:133], v[12:13]
	scratch_load_b128 v[114:117], off, off offset:464
	v_add_f64_e32 v[4:5], v[4:5], v[122:123]
	v_add_f64_e32 v[8:9], v[8:9], v[134:135]
	s_wait_dscnt 0x0
	v_mul_f64_e32 v[134:135], v[78:79], v[128:129]
	v_mul_f64_e32 v[128:129], v[80:81], v[128:129]
	ds_load_b128 v[122:125], v2 offset:800
	v_fmac_f64_e32 v[136:137], v[132:133], v[10:11]
	v_fma_f64 v[10:11], v[130:131], v[10:11], -v[12:13]
	v_add_f64_e32 v[4:5], v[4:5], v[140:141]
	v_add_f64_e32 v[8:9], v[8:9], v[138:139]
	s_wait_loadcnt_dscnt 0x900
	v_mul_f64_e32 v[12:13], v[122:123], v[76:77]
	v_mul_f64_e32 v[130:131], v[124:125], v[76:77]
	v_fmac_f64_e32 v[134:135], v[80:81], v[126:127]
	v_fma_f64 v[80:81], v[78:79], v[126:127], -v[128:129]
	v_add_f64_e32 v[4:5], v[4:5], v[10:11]
	v_add_f64_e32 v[126:127], v[8:9], v[136:137]
	ds_load_b128 v[8:11], v2 offset:816
	ds_load_b128 v[76:79], v2 offset:832
	v_fmac_f64_e32 v[12:13], v[124:125], v[74:75]
	v_fma_f64 v[74:75], v[122:123], v[74:75], -v[130:131]
	s_wait_loadcnt_dscnt 0x801
	v_mul_f64_e32 v[128:129], v[8:9], v[112:113]
	v_mul_f64_e32 v[112:113], v[10:11], v[112:113]
	s_wait_loadcnt_dscnt 0x700
	v_mul_f64_e32 v[122:123], v[76:77], v[84:85]
	v_mul_f64_e32 v[84:85], v[78:79], v[84:85]
	v_add_f64_e32 v[4:5], v[4:5], v[80:81]
	v_add_f64_e32 v[80:81], v[126:127], v[134:135]
	v_fmac_f64_e32 v[128:129], v[10:11], v[110:111]
	v_fma_f64 v[124:125], v[8:9], v[110:111], -v[112:113]
	ds_load_b128 v[8:11], v2 offset:848
	ds_load_b128 v[110:113], v2 offset:864
	v_fmac_f64_e32 v[122:123], v[78:79], v[82:83]
	v_fma_f64 v[76:77], v[76:77], v[82:83], -v[84:85]
	v_add_f64_e32 v[4:5], v[4:5], v[74:75]
	v_add_f64_e32 v[12:13], v[80:81], v[12:13]
	s_wait_loadcnt_dscnt 0x601
	v_mul_f64_e32 v[80:81], v[8:9], v[88:89]
	v_mul_f64_e32 v[74:75], v[10:11], v[88:89]
	s_wait_loadcnt_dscnt 0x500
	v_mul_f64_e32 v[78:79], v[110:111], v[92:93]
	v_mul_f64_e32 v[82:83], v[112:113], v[92:93]
	v_add_f64_e32 v[4:5], v[4:5], v[124:125]
	v_add_f64_e32 v[12:13], v[12:13], v[128:129]
	v_fmac_f64_e32 v[80:81], v[10:11], v[86:87]
	v_fma_f64 v[84:85], v[8:9], v[86:87], -v[74:75]
	v_fmac_f64_e32 v[78:79], v[112:113], v[90:91]
	v_fma_f64 v[82:83], v[110:111], v[90:91], -v[82:83]
	v_add_f64_e32 v[4:5], v[4:5], v[76:77]
	v_add_f64_e32 v[12:13], v[12:13], v[122:123]
	ds_load_b128 v[8:11], v2 offset:880
	ds_load_b128 v[74:77], v2 offset:896
	s_wait_loadcnt_dscnt 0x401
	v_mul_f64_e32 v[86:87], v[8:9], v[96:97]
	v_mul_f64_e32 v[88:89], v[10:11], v[96:97]
	s_wait_loadcnt_dscnt 0x300
	v_mul_f64_e32 v[90:91], v[76:77], v[100:101]
	v_add_f64_e32 v[4:5], v[4:5], v[84:85]
	v_add_f64_e32 v[12:13], v[12:13], v[80:81]
	v_mul_f64_e32 v[84:85], v[74:75], v[100:101]
	v_fmac_f64_e32 v[86:87], v[10:11], v[94:95]
	v_fma_f64 v[88:89], v[8:9], v[94:95], -v[88:89]
	v_fma_f64 v[74:75], v[74:75], v[98:99], -v[90:91]
	v_add_f64_e32 v[4:5], v[4:5], v[82:83]
	v_add_f64_e32 v[12:13], v[12:13], v[78:79]
	ds_load_b128 v[8:11], v2 offset:912
	ds_load_b128 v[78:81], v2 offset:928
	v_fmac_f64_e32 v[84:85], v[76:77], v[98:99]
	s_wait_loadcnt_dscnt 0x201
	v_mul_f64_e32 v[82:83], v[8:9], v[104:105]
	v_mul_f64_e32 v[92:93], v[10:11], v[104:105]
	s_wait_loadcnt_dscnt 0x100
	v_mul_f64_e32 v[76:77], v[78:79], v[108:109]
	v_add_f64_e32 v[4:5], v[4:5], v[88:89]
	v_add_f64_e32 v[12:13], v[12:13], v[86:87]
	v_mul_f64_e32 v[86:87], v[80:81], v[108:109]
	v_fmac_f64_e32 v[82:83], v[10:11], v[102:103]
	v_fma_f64 v[88:89], v[8:9], v[102:103], -v[92:93]
	ds_load_b128 v[8:11], v2 offset:944
	v_fmac_f64_e32 v[76:77], v[80:81], v[106:107]
	v_add_f64_e32 v[4:5], v[4:5], v[74:75]
	v_add_f64_e32 v[12:13], v[12:13], v[84:85]
	v_fma_f64 v[78:79], v[78:79], v[106:107], -v[86:87]
	s_wait_loadcnt_dscnt 0x0
	v_mul_f64_e32 v[74:75], v[8:9], v[116:117]
	v_mul_f64_e32 v[84:85], v[10:11], v[116:117]
	v_add_f64_e32 v[4:5], v[4:5], v[88:89]
	v_add_f64_e32 v[12:13], v[12:13], v[82:83]
	s_delay_alu instid0(VALU_DEP_4) | instskip(NEXT) | instid1(VALU_DEP_4)
	v_fmac_f64_e32 v[74:75], v[10:11], v[114:115]
	v_fma_f64 v[8:9], v[8:9], v[114:115], -v[84:85]
	s_delay_alu instid0(VALU_DEP_4) | instskip(NEXT) | instid1(VALU_DEP_4)
	v_add_f64_e32 v[4:5], v[4:5], v[78:79]
	v_add_f64_e32 v[10:11], v[12:13], v[76:77]
	s_delay_alu instid0(VALU_DEP_2) | instskip(NEXT) | instid1(VALU_DEP_2)
	v_add_f64_e32 v[4:5], v[4:5], v[8:9]
	v_add_f64_e32 v[10:11], v[10:11], v[74:75]
	s_delay_alu instid0(VALU_DEP_2) | instskip(NEXT) | instid1(VALU_DEP_2)
	v_add_f64_e64 v[8:9], v[118:119], -v[4:5]
	v_add_f64_e64 v[10:11], v[120:121], -v[10:11]
	scratch_store_b128 off, v[8:11], off offset:96
	s_wait_xcnt 0x0
	v_cmpx_lt_u32_e32 5, v1
	s_cbranch_execz .LBB93_183
; %bb.182:
	scratch_load_b128 v[8:11], off, s41
	v_dual_mov_b32 v3, v2 :: v_dual_mov_b32 v4, v2
	v_mov_b32_e32 v5, v2
	scratch_store_b128 off, v[2:5], off offset:80
	s_wait_loadcnt 0x0
	ds_store_b128 v6, v[8:11]
.LBB93_183:
	s_wait_xcnt 0x0
	s_or_b32 exec_lo, exec_lo, s2
	s_wait_storecnt_dscnt 0x0
	s_barrier_signal -1
	s_barrier_wait -1
	s_clause 0x9
	scratch_load_b128 v[8:11], off, off offset:96
	scratch_load_b128 v[74:77], off, off offset:112
	;; [unrolled: 1-line block ×10, first 2 shown]
	ds_load_b128 v[110:113], v2 offset:576
	ds_load_b128 v[118:121], v2 offset:592
	s_clause 0x1
	scratch_load_b128 v[114:117], off, off offset:256
	scratch_load_b128 v[122:125], off, off offset:80
	s_mov_b32 s2, exec_lo
	s_wait_loadcnt_dscnt 0xb01
	v_mul_f64_e32 v[4:5], v[112:113], v[10:11]
	v_mul_f64_e32 v[134:135], v[110:111], v[10:11]
	scratch_load_b128 v[10:13], off, off offset:272
	s_wait_loadcnt_dscnt 0xb00
	v_mul_f64_e32 v[136:137], v[118:119], v[76:77]
	v_mul_f64_e32 v[76:77], v[120:121], v[76:77]
	v_fma_f64 v[4:5], v[110:111], v[8:9], -v[4:5]
	v_fmac_f64_e32 v[134:135], v[112:113], v[8:9]
	ds_load_b128 v[110:113], v2 offset:608
	ds_load_b128 v[126:129], v2 offset:624
	scratch_load_b128 v[130:133], off, off offset:288
	v_fmac_f64_e32 v[136:137], v[120:121], v[74:75]
	v_fma_f64 v[118:119], v[118:119], v[74:75], -v[76:77]
	scratch_load_b128 v[74:77], off, off offset:304
	s_wait_loadcnt_dscnt 0xc01
	v_mul_f64_e32 v[8:9], v[110:111], v[80:81]
	v_mul_f64_e32 v[80:81], v[112:113], v[80:81]
	v_add_f64_e32 v[4:5], 0, v[4:5]
	v_add_f64_e32 v[120:121], 0, v[134:135]
	s_wait_loadcnt_dscnt 0xb00
	v_mul_f64_e32 v[134:135], v[126:127], v[84:85]
	v_mul_f64_e32 v[84:85], v[128:129], v[84:85]
	v_fmac_f64_e32 v[8:9], v[112:113], v[78:79]
	v_fma_f64 v[138:139], v[110:111], v[78:79], -v[80:81]
	ds_load_b128 v[78:81], v2 offset:640
	ds_load_b128 v[110:113], v2 offset:656
	v_add_f64_e32 v[4:5], v[4:5], v[118:119]
	v_add_f64_e32 v[136:137], v[120:121], v[136:137]
	scratch_load_b128 v[118:121], off, off offset:320
	v_fmac_f64_e32 v[134:135], v[128:129], v[82:83]
	v_fma_f64 v[126:127], v[126:127], v[82:83], -v[84:85]
	scratch_load_b128 v[82:85], off, off offset:336
	s_wait_loadcnt_dscnt 0xc01
	v_mul_f64_e32 v[140:141], v[78:79], v[88:89]
	v_mul_f64_e32 v[88:89], v[80:81], v[88:89]
	v_add_f64_e32 v[4:5], v[4:5], v[138:139]
	v_add_f64_e32 v[8:9], v[136:137], v[8:9]
	s_wait_loadcnt_dscnt 0xb00
	v_mul_f64_e32 v[136:137], v[110:111], v[92:93]
	v_mul_f64_e32 v[92:93], v[112:113], v[92:93]
	v_fmac_f64_e32 v[140:141], v[80:81], v[86:87]
	v_fma_f64 v[138:139], v[78:79], v[86:87], -v[88:89]
	ds_load_b128 v[78:81], v2 offset:672
	ds_load_b128 v[86:89], v2 offset:688
	v_add_f64_e32 v[4:5], v[4:5], v[126:127]
	v_add_f64_e32 v[8:9], v[8:9], v[134:135]
	scratch_load_b128 v[126:129], off, off offset:352
	s_wait_loadcnt_dscnt 0xb01
	v_mul_f64_e32 v[134:135], v[78:79], v[96:97]
	v_mul_f64_e32 v[96:97], v[80:81], v[96:97]
	v_fmac_f64_e32 v[136:137], v[112:113], v[90:91]
	v_fma_f64 v[110:111], v[110:111], v[90:91], -v[92:93]
	scratch_load_b128 v[90:93], off, off offset:368
	v_add_f64_e32 v[4:5], v[4:5], v[138:139]
	v_add_f64_e32 v[8:9], v[8:9], v[140:141]
	s_wait_loadcnt_dscnt 0xb00
	v_mul_f64_e32 v[138:139], v[86:87], v[100:101]
	v_mul_f64_e32 v[100:101], v[88:89], v[100:101]
	v_fmac_f64_e32 v[134:135], v[80:81], v[94:95]
	v_fma_f64 v[140:141], v[78:79], v[94:95], -v[96:97]
	ds_load_b128 v[78:81], v2 offset:704
	ds_load_b128 v[94:97], v2 offset:720
	v_add_f64_e32 v[4:5], v[4:5], v[110:111]
	v_add_f64_e32 v[8:9], v[8:9], v[136:137]
	scratch_load_b128 v[110:113], off, off offset:384
	s_wait_loadcnt_dscnt 0xb01
	v_mul_f64_e32 v[136:137], v[78:79], v[104:105]
	v_mul_f64_e32 v[104:105], v[80:81], v[104:105]
	v_fmac_f64_e32 v[138:139], v[88:89], v[98:99]
	v_fma_f64 v[98:99], v[86:87], v[98:99], -v[100:101]
	scratch_load_b128 v[86:89], off, off offset:400
	v_add_f64_e32 v[4:5], v[4:5], v[140:141]
	v_add_f64_e32 v[8:9], v[8:9], v[134:135]
	s_wait_loadcnt_dscnt 0xb00
	v_mul_f64_e32 v[134:135], v[94:95], v[108:109]
	v_mul_f64_e32 v[108:109], v[96:97], v[108:109]
	v_fmac_f64_e32 v[136:137], v[80:81], v[102:103]
	v_fma_f64 v[140:141], v[78:79], v[102:103], -v[104:105]
	v_add_f64_e32 v[4:5], v[4:5], v[98:99]
	v_add_f64_e32 v[8:9], v[8:9], v[138:139]
	ds_load_b128 v[78:81], v2 offset:736
	ds_load_b128 v[98:101], v2 offset:752
	scratch_load_b128 v[102:105], off, off offset:416
	v_fmac_f64_e32 v[134:135], v[96:97], v[106:107]
	v_fma_f64 v[106:107], v[94:95], v[106:107], -v[108:109]
	scratch_load_b128 v[94:97], off, off offset:432
	s_wait_loadcnt_dscnt 0xc01
	v_mul_f64_e32 v[138:139], v[78:79], v[116:117]
	v_mul_f64_e32 v[116:117], v[80:81], v[116:117]
	v_add_f64_e32 v[4:5], v[4:5], v[140:141]
	v_add_f64_e32 v[8:9], v[8:9], v[136:137]
	s_wait_loadcnt_dscnt 0xa00
	v_mul_f64_e32 v[136:137], v[98:99], v[12:13]
	v_mul_f64_e32 v[12:13], v[100:101], v[12:13]
	v_fmac_f64_e32 v[138:139], v[80:81], v[114:115]
	v_fma_f64 v[140:141], v[78:79], v[114:115], -v[116:117]
	v_add_f64_e32 v[4:5], v[4:5], v[106:107]
	v_add_f64_e32 v[8:9], v[8:9], v[134:135]
	ds_load_b128 v[78:81], v2 offset:768
	ds_load_b128 v[106:109], v2 offset:784
	scratch_load_b128 v[114:117], off, off offset:448
	v_fmac_f64_e32 v[136:137], v[100:101], v[10:11]
	v_fma_f64 v[12:13], v[98:99], v[10:11], -v[12:13]
	s_wait_loadcnt_dscnt 0xa01
	v_mul_f64_e32 v[134:135], v[78:79], v[132:133]
	v_mul_f64_e32 v[132:133], v[80:81], v[132:133]
	v_add_f64_e32 v[4:5], v[4:5], v[140:141]
	v_add_f64_e32 v[98:99], v[8:9], v[138:139]
	scratch_load_b128 v[8:11], off, off offset:464
	s_wait_loadcnt_dscnt 0xa00
	v_mul_f64_e32 v[138:139], v[106:107], v[76:77]
	v_mul_f64_e32 v[140:141], v[108:109], v[76:77]
	v_fmac_f64_e32 v[134:135], v[80:81], v[130:131]
	v_fma_f64 v[80:81], v[78:79], v[130:131], -v[132:133]
	v_add_f64_e32 v[4:5], v[4:5], v[12:13]
	v_add_f64_e32 v[12:13], v[98:99], v[136:137]
	ds_load_b128 v[76:79], v2 offset:800
	ds_load_b128 v[98:101], v2 offset:816
	v_fmac_f64_e32 v[138:139], v[108:109], v[74:75]
	v_fma_f64 v[74:75], v[106:107], v[74:75], -v[140:141]
	s_wait_loadcnt_dscnt 0x901
	v_mul_f64_e32 v[130:131], v[76:77], v[120:121]
	v_mul_f64_e32 v[120:121], v[78:79], v[120:121]
	s_wait_loadcnt_dscnt 0x800
	v_mul_f64_e32 v[106:107], v[98:99], v[84:85]
	v_mul_f64_e32 v[84:85], v[100:101], v[84:85]
	v_add_f64_e32 v[4:5], v[4:5], v[80:81]
	v_add_f64_e32 v[12:13], v[12:13], v[134:135]
	v_fmac_f64_e32 v[130:131], v[78:79], v[118:119]
	v_fma_f64 v[108:109], v[76:77], v[118:119], -v[120:121]
	v_fmac_f64_e32 v[106:107], v[100:101], v[82:83]
	v_fma_f64 v[82:83], v[98:99], v[82:83], -v[84:85]
	v_add_f64_e32 v[4:5], v[4:5], v[74:75]
	v_add_f64_e32 v[12:13], v[12:13], v[138:139]
	ds_load_b128 v[74:77], v2 offset:832
	ds_load_b128 v[78:81], v2 offset:848
	s_wait_loadcnt_dscnt 0x701
	v_mul_f64_e32 v[118:119], v[74:75], v[128:129]
	v_mul_f64_e32 v[120:121], v[76:77], v[128:129]
	s_wait_loadcnt_dscnt 0x600
	v_mul_f64_e32 v[98:99], v[78:79], v[92:93]
	v_mul_f64_e32 v[92:93], v[80:81], v[92:93]
	v_add_f64_e32 v[4:5], v[4:5], v[108:109]
	v_add_f64_e32 v[12:13], v[12:13], v[130:131]
	v_fmac_f64_e32 v[118:119], v[76:77], v[126:127]
	v_fma_f64 v[100:101], v[74:75], v[126:127], -v[120:121]
	v_fmac_f64_e32 v[98:99], v[80:81], v[90:91]
	v_fma_f64 v[78:79], v[78:79], v[90:91], -v[92:93]
	v_add_f64_e32 v[4:5], v[4:5], v[82:83]
	v_add_f64_e32 v[12:13], v[12:13], v[106:107]
	ds_load_b128 v[74:77], v2 offset:864
	ds_load_b128 v[82:85], v2 offset:880
	;; [unrolled: 16-line block ×4, first 2 shown]
	s_wait_loadcnt_dscnt 0x101
	v_mul_f64_e32 v[90:91], v[74:75], v[116:117]
	v_mul_f64_e32 v[92:93], v[76:77], v[116:117]
	v_add_f64_e32 v[80:81], v[82:83], v[88:89]
	v_add_f64_e32 v[12:13], v[12:13], v[98:99]
	s_wait_loadcnt_dscnt 0x0
	v_mul_f64_e32 v[82:83], v[2:3], v[10:11]
	v_mul_f64_e32 v[10:11], v[4:5], v[10:11]
	v_fmac_f64_e32 v[90:91], v[76:77], v[114:115]
	v_fma_f64 v[74:75], v[74:75], v[114:115], -v[92:93]
	v_add_f64_e32 v[76:77], v[80:81], v[78:79]
	v_add_f64_e32 v[12:13], v[12:13], v[84:85]
	v_fmac_f64_e32 v[82:83], v[4:5], v[8:9]
	v_fma_f64 v[2:3], v[2:3], v[8:9], -v[10:11]
	s_delay_alu instid0(VALU_DEP_4) | instskip(NEXT) | instid1(VALU_DEP_4)
	v_add_f64_e32 v[4:5], v[76:77], v[74:75]
	v_add_f64_e32 v[8:9], v[12:13], v[90:91]
	s_delay_alu instid0(VALU_DEP_2) | instskip(NEXT) | instid1(VALU_DEP_2)
	v_add_f64_e32 v[2:3], v[4:5], v[2:3]
	v_add_f64_e32 v[4:5], v[8:9], v[82:83]
	s_delay_alu instid0(VALU_DEP_2) | instskip(NEXT) | instid1(VALU_DEP_2)
	v_add_f64_e64 v[2:3], v[122:123], -v[2:3]
	v_add_f64_e64 v[4:5], v[124:125], -v[4:5]
	scratch_store_b128 off, v[2:5], off offset:80
	s_wait_xcnt 0x0
	v_cmpx_lt_u32_e32 4, v1
	s_cbranch_execz .LBB93_185
; %bb.184:
	scratch_load_b128 v[2:5], off, s12
	v_mov_b32_e32 v8, 0
	s_delay_alu instid0(VALU_DEP_1)
	v_dual_mov_b32 v9, v8 :: v_dual_mov_b32 v10, v8
	v_mov_b32_e32 v11, v8
	scratch_store_b128 off, v[8:11], off offset:64
	s_wait_loadcnt 0x0
	ds_store_b128 v6, v[2:5]
.LBB93_185:
	s_wait_xcnt 0x0
	s_or_b32 exec_lo, exec_lo, s2
	s_wait_storecnt_dscnt 0x0
	s_barrier_signal -1
	s_barrier_wait -1
	s_clause 0x9
	scratch_load_b128 v[8:11], off, off offset:80
	scratch_load_b128 v[74:77], off, off offset:96
	scratch_load_b128 v[78:81], off, off offset:112
	scratch_load_b128 v[82:85], off, off offset:128
	scratch_load_b128 v[86:89], off, off offset:144
	scratch_load_b128 v[90:93], off, off offset:160
	scratch_load_b128 v[94:97], off, off offset:176
	scratch_load_b128 v[98:101], off, off offset:192
	scratch_load_b128 v[102:105], off, off offset:208
	scratch_load_b128 v[106:109], off, off offset:224
	v_mov_b32_e32 v2, 0
	s_mov_b32 s2, exec_lo
	ds_load_b128 v[110:113], v2 offset:560
	s_clause 0x2
	scratch_load_b128 v[114:117], off, off offset:240
	scratch_load_b128 v[118:121], off, off offset:64
	;; [unrolled: 1-line block ×3, first 2 shown]
	s_wait_loadcnt_dscnt 0xc00
	v_mul_f64_e32 v[4:5], v[112:113], v[10:11]
	v_mul_f64_e32 v[134:135], v[110:111], v[10:11]
	ds_load_b128 v[122:125], v2 offset:576
	scratch_load_b128 v[10:13], off, off offset:256
	ds_load_b128 v[130:133], v2 offset:608
	v_fma_f64 v[4:5], v[110:111], v[8:9], -v[4:5]
	v_fmac_f64_e32 v[134:135], v[112:113], v[8:9]
	ds_load_b128 v[110:113], v2 offset:592
	s_wait_loadcnt_dscnt 0xc02
	v_mul_f64_e32 v[136:137], v[122:123], v[76:77]
	v_mul_f64_e32 v[76:77], v[124:125], v[76:77]
	s_wait_loadcnt_dscnt 0xb00
	v_mul_f64_e32 v[8:9], v[110:111], v[80:81]
	v_mul_f64_e32 v[80:81], v[112:113], v[80:81]
	v_add_f64_e32 v[4:5], 0, v[4:5]
	v_fmac_f64_e32 v[136:137], v[124:125], v[74:75]
	v_fma_f64 v[122:123], v[122:123], v[74:75], -v[76:77]
	v_add_f64_e32 v[124:125], 0, v[134:135]
	scratch_load_b128 v[74:77], off, off offset:288
	v_fmac_f64_e32 v[8:9], v[112:113], v[78:79]
	v_fma_f64 v[138:139], v[110:111], v[78:79], -v[80:81]
	ds_load_b128 v[78:81], v2 offset:624
	s_wait_loadcnt 0xb
	v_mul_f64_e32 v[134:135], v[130:131], v[84:85]
	v_mul_f64_e32 v[84:85], v[132:133], v[84:85]
	scratch_load_b128 v[110:113], off, off offset:304
	v_add_f64_e32 v[4:5], v[4:5], v[122:123]
	v_add_f64_e32 v[136:137], v[124:125], v[136:137]
	ds_load_b128 v[122:125], v2 offset:640
	s_wait_loadcnt_dscnt 0xb01
	v_mul_f64_e32 v[140:141], v[78:79], v[88:89]
	v_mul_f64_e32 v[88:89], v[80:81], v[88:89]
	v_fmac_f64_e32 v[134:135], v[132:133], v[82:83]
	v_fma_f64 v[130:131], v[130:131], v[82:83], -v[84:85]
	scratch_load_b128 v[82:85], off, off offset:320
	v_add_f64_e32 v[4:5], v[4:5], v[138:139]
	v_add_f64_e32 v[8:9], v[136:137], v[8:9]
	v_fmac_f64_e32 v[140:141], v[80:81], v[86:87]
	v_fma_f64 v[138:139], v[78:79], v[86:87], -v[88:89]
	ds_load_b128 v[78:81], v2 offset:656
	s_wait_loadcnt_dscnt 0xb01
	v_mul_f64_e32 v[136:137], v[122:123], v[92:93]
	v_mul_f64_e32 v[92:93], v[124:125], v[92:93]
	scratch_load_b128 v[86:89], off, off offset:336
	v_add_f64_e32 v[4:5], v[4:5], v[130:131]
	v_add_f64_e32 v[8:9], v[8:9], v[134:135]
	s_wait_loadcnt_dscnt 0xb00
	v_mul_f64_e32 v[134:135], v[78:79], v[96:97]
	v_mul_f64_e32 v[96:97], v[80:81], v[96:97]
	ds_load_b128 v[130:133], v2 offset:672
	v_fmac_f64_e32 v[136:137], v[124:125], v[90:91]
	v_fma_f64 v[122:123], v[122:123], v[90:91], -v[92:93]
	scratch_load_b128 v[90:93], off, off offset:352
	v_add_f64_e32 v[4:5], v[4:5], v[138:139]
	v_add_f64_e32 v[8:9], v[8:9], v[140:141]
	v_fmac_f64_e32 v[134:135], v[80:81], v[94:95]
	v_fma_f64 v[140:141], v[78:79], v[94:95], -v[96:97]
	ds_load_b128 v[78:81], v2 offset:688
	s_wait_loadcnt_dscnt 0xb01
	v_mul_f64_e32 v[138:139], v[130:131], v[100:101]
	v_mul_f64_e32 v[100:101], v[132:133], v[100:101]
	scratch_load_b128 v[94:97], off, off offset:368
	v_add_f64_e32 v[4:5], v[4:5], v[122:123]
	v_add_f64_e32 v[8:9], v[8:9], v[136:137]
	s_wait_loadcnt_dscnt 0xb00
	v_mul_f64_e32 v[136:137], v[78:79], v[104:105]
	v_mul_f64_e32 v[104:105], v[80:81], v[104:105]
	ds_load_b128 v[122:125], v2 offset:704
	;; [unrolled: 18-line block ×3, first 2 shown]
	v_fmac_f64_e32 v[134:135], v[124:125], v[106:107]
	v_fma_f64 v[122:123], v[122:123], v[106:107], -v[108:109]
	scratch_load_b128 v[106:109], off, off offset:416
	v_add_f64_e32 v[4:5], v[4:5], v[140:141]
	v_add_f64_e32 v[8:9], v[8:9], v[136:137]
	v_fmac_f64_e32 v[138:139], v[80:81], v[114:115]
	v_fma_f64 v[140:141], v[78:79], v[114:115], -v[116:117]
	ds_load_b128 v[78:81], v2 offset:752
	s_wait_loadcnt_dscnt 0x901
	v_mul_f64_e32 v[136:137], v[130:131], v[12:13]
	v_mul_f64_e32 v[12:13], v[132:133], v[12:13]
	scratch_load_b128 v[114:117], off, off offset:432
	v_add_f64_e32 v[4:5], v[4:5], v[122:123]
	v_add_f64_e32 v[8:9], v[8:9], v[134:135]
	s_wait_dscnt 0x0
	v_mul_f64_e32 v[134:135], v[78:79], v[128:129]
	v_mul_f64_e32 v[128:129], v[80:81], v[128:129]
	ds_load_b128 v[122:125], v2 offset:768
	v_fmac_f64_e32 v[136:137], v[132:133], v[10:11]
	v_fma_f64 v[12:13], v[130:131], v[10:11], -v[12:13]
	v_add_f64_e32 v[4:5], v[4:5], v[140:141]
	v_add_f64_e32 v[130:131], v[8:9], v[138:139]
	scratch_load_b128 v[8:11], off, off offset:448
	v_fmac_f64_e32 v[134:135], v[80:81], v[126:127]
	v_fma_f64 v[80:81], v[78:79], v[126:127], -v[128:129]
	scratch_load_b128 v[126:129], off, off offset:464
	v_add_f64_e32 v[4:5], v[4:5], v[12:13]
	v_add_f64_e32 v[12:13], v[130:131], v[136:137]
	ds_load_b128 v[130:133], v2 offset:800
	s_wait_loadcnt_dscnt 0xb01
	v_mul_f64_e32 v[138:139], v[122:123], v[76:77]
	v_mul_f64_e32 v[140:141], v[124:125], v[76:77]
	ds_load_b128 v[76:79], v2 offset:784
	s_wait_loadcnt_dscnt 0xa00
	v_mul_f64_e32 v[136:137], v[76:77], v[112:113]
	v_mul_f64_e32 v[112:113], v[78:79], v[112:113]
	v_add_f64_e32 v[4:5], v[4:5], v[80:81]
	v_add_f64_e32 v[12:13], v[12:13], v[134:135]
	v_fmac_f64_e32 v[138:139], v[124:125], v[74:75]
	v_fma_f64 v[74:75], v[122:123], v[74:75], -v[140:141]
	s_wait_loadcnt 0x9
	v_mul_f64_e32 v[122:123], v[130:131], v[84:85]
	v_mul_f64_e32 v[84:85], v[132:133], v[84:85]
	v_fmac_f64_e32 v[136:137], v[78:79], v[110:111]
	v_fma_f64 v[110:111], v[76:77], v[110:111], -v[112:113]
	v_add_f64_e32 v[12:13], v[12:13], v[138:139]
	v_add_f64_e32 v[4:5], v[4:5], v[74:75]
	ds_load_b128 v[74:77], v2 offset:816
	ds_load_b128 v[78:81], v2 offset:832
	v_fmac_f64_e32 v[122:123], v[132:133], v[82:83]
	v_fma_f64 v[82:83], v[130:131], v[82:83], -v[84:85]
	s_wait_loadcnt_dscnt 0x801
	v_mul_f64_e32 v[112:113], v[74:75], v[88:89]
	v_mul_f64_e32 v[88:89], v[76:77], v[88:89]
	v_add_f64_e32 v[12:13], v[12:13], v[136:137]
	v_add_f64_e32 v[4:5], v[4:5], v[110:111]
	s_wait_loadcnt_dscnt 0x700
	v_mul_f64_e32 v[110:111], v[78:79], v[92:93]
	v_mul_f64_e32 v[92:93], v[80:81], v[92:93]
	v_fmac_f64_e32 v[112:113], v[76:77], v[86:87]
	v_fma_f64 v[86:87], v[74:75], v[86:87], -v[88:89]
	v_add_f64_e32 v[12:13], v[12:13], v[122:123]
	v_add_f64_e32 v[4:5], v[4:5], v[82:83]
	ds_load_b128 v[74:77], v2 offset:848
	ds_load_b128 v[82:85], v2 offset:864
	v_fmac_f64_e32 v[110:111], v[80:81], v[90:91]
	v_fma_f64 v[78:79], v[78:79], v[90:91], -v[92:93]
	s_wait_loadcnt_dscnt 0x601
	v_mul_f64_e32 v[88:89], v[74:75], v[96:97]
	v_mul_f64_e32 v[96:97], v[76:77], v[96:97]
	s_wait_loadcnt_dscnt 0x500
	v_mul_f64_e32 v[90:91], v[84:85], v[100:101]
	v_add_f64_e32 v[12:13], v[12:13], v[112:113]
	v_add_f64_e32 v[4:5], v[4:5], v[86:87]
	v_mul_f64_e32 v[86:87], v[82:83], v[100:101]
	v_fmac_f64_e32 v[88:89], v[76:77], v[94:95]
	v_fma_f64 v[92:93], v[74:75], v[94:95], -v[96:97]
	v_fma_f64 v[82:83], v[82:83], v[98:99], -v[90:91]
	v_add_f64_e32 v[12:13], v[12:13], v[110:111]
	v_add_f64_e32 v[4:5], v[4:5], v[78:79]
	ds_load_b128 v[74:77], v2 offset:880
	ds_load_b128 v[78:81], v2 offset:896
	v_fmac_f64_e32 v[86:87], v[84:85], v[98:99]
	s_wait_loadcnt_dscnt 0x401
	v_mul_f64_e32 v[94:95], v[74:75], v[104:105]
	v_mul_f64_e32 v[96:97], v[76:77], v[104:105]
	s_wait_loadcnt_dscnt 0x300
	v_mul_f64_e32 v[90:91], v[80:81], v[108:109]
	v_add_f64_e32 v[12:13], v[12:13], v[88:89]
	v_add_f64_e32 v[4:5], v[4:5], v[92:93]
	v_mul_f64_e32 v[88:89], v[78:79], v[108:109]
	v_fmac_f64_e32 v[94:95], v[76:77], v[102:103]
	v_fma_f64 v[92:93], v[74:75], v[102:103], -v[96:97]
	v_fma_f64 v[78:79], v[78:79], v[106:107], -v[90:91]
	v_add_f64_e32 v[12:13], v[12:13], v[86:87]
	v_add_f64_e32 v[4:5], v[4:5], v[82:83]
	ds_load_b128 v[74:77], v2 offset:912
	ds_load_b128 v[82:85], v2 offset:928
	v_fmac_f64_e32 v[88:89], v[80:81], v[106:107]
	s_wait_loadcnt_dscnt 0x201
	v_mul_f64_e32 v[86:87], v[74:75], v[116:117]
	v_mul_f64_e32 v[96:97], v[76:77], v[116:117]
	s_wait_loadcnt_dscnt 0x100
	v_mul_f64_e32 v[80:81], v[82:83], v[10:11]
	v_add_f64_e32 v[12:13], v[12:13], v[94:95]
	v_add_f64_e32 v[4:5], v[4:5], v[92:93]
	v_mul_f64_e32 v[90:91], v[84:85], v[10:11]
	v_fmac_f64_e32 v[86:87], v[76:77], v[114:115]
	v_fma_f64 v[74:75], v[74:75], v[114:115], -v[96:97]
	v_fmac_f64_e32 v[80:81], v[84:85], v[8:9]
	v_add_f64_e32 v[76:77], v[12:13], v[88:89]
	v_add_f64_e32 v[4:5], v[4:5], v[78:79]
	ds_load_b128 v[10:13], v2 offset:944
	v_fma_f64 v[8:9], v[82:83], v[8:9], -v[90:91]
	s_wait_loadcnt_dscnt 0x0
	v_mul_f64_e32 v[78:79], v[10:11], v[128:129]
	v_mul_f64_e32 v[88:89], v[12:13], v[128:129]
	v_add_f64_e32 v[4:5], v[4:5], v[74:75]
	v_add_f64_e32 v[74:75], v[76:77], v[86:87]
	s_delay_alu instid0(VALU_DEP_4) | instskip(NEXT) | instid1(VALU_DEP_4)
	v_fmac_f64_e32 v[78:79], v[12:13], v[126:127]
	v_fma_f64 v[10:11], v[10:11], v[126:127], -v[88:89]
	s_delay_alu instid0(VALU_DEP_4) | instskip(NEXT) | instid1(VALU_DEP_4)
	v_add_f64_e32 v[4:5], v[4:5], v[8:9]
	v_add_f64_e32 v[8:9], v[74:75], v[80:81]
	s_delay_alu instid0(VALU_DEP_2) | instskip(NEXT) | instid1(VALU_DEP_2)
	v_add_f64_e32 v[4:5], v[4:5], v[10:11]
	v_add_f64_e32 v[10:11], v[8:9], v[78:79]
	s_delay_alu instid0(VALU_DEP_2) | instskip(NEXT) | instid1(VALU_DEP_2)
	v_add_f64_e64 v[8:9], v[118:119], -v[4:5]
	v_add_f64_e64 v[10:11], v[120:121], -v[10:11]
	scratch_store_b128 off, v[8:11], off offset:64
	s_wait_xcnt 0x0
	v_cmpx_lt_u32_e32 3, v1
	s_cbranch_execz .LBB93_187
; %bb.186:
	scratch_load_b128 v[8:11], off, s14
	v_dual_mov_b32 v3, v2 :: v_dual_mov_b32 v4, v2
	v_mov_b32_e32 v5, v2
	scratch_store_b128 off, v[2:5], off offset:48
	s_wait_loadcnt 0x0
	ds_store_b128 v6, v[8:11]
.LBB93_187:
	s_wait_xcnt 0x0
	s_or_b32 exec_lo, exec_lo, s2
	s_wait_storecnt_dscnt 0x0
	s_barrier_signal -1
	s_barrier_wait -1
	s_clause 0x9
	scratch_load_b128 v[8:11], off, off offset:64
	scratch_load_b128 v[74:77], off, off offset:80
	;; [unrolled: 1-line block ×10, first 2 shown]
	ds_load_b128 v[110:113], v2 offset:544
	ds_load_b128 v[118:121], v2 offset:560
	s_clause 0x1
	scratch_load_b128 v[114:117], off, off offset:224
	scratch_load_b128 v[122:125], off, off offset:48
	s_mov_b32 s2, exec_lo
	s_wait_loadcnt_dscnt 0xb01
	v_mul_f64_e32 v[4:5], v[112:113], v[10:11]
	v_mul_f64_e32 v[134:135], v[110:111], v[10:11]
	scratch_load_b128 v[10:13], off, off offset:240
	s_wait_loadcnt_dscnt 0xb00
	v_mul_f64_e32 v[136:137], v[118:119], v[76:77]
	v_mul_f64_e32 v[76:77], v[120:121], v[76:77]
	v_fma_f64 v[4:5], v[110:111], v[8:9], -v[4:5]
	v_fmac_f64_e32 v[134:135], v[112:113], v[8:9]
	ds_load_b128 v[110:113], v2 offset:576
	ds_load_b128 v[126:129], v2 offset:592
	scratch_load_b128 v[130:133], off, off offset:256
	v_fmac_f64_e32 v[136:137], v[120:121], v[74:75]
	v_fma_f64 v[118:119], v[118:119], v[74:75], -v[76:77]
	scratch_load_b128 v[74:77], off, off offset:272
	s_wait_loadcnt_dscnt 0xc01
	v_mul_f64_e32 v[8:9], v[110:111], v[80:81]
	v_mul_f64_e32 v[80:81], v[112:113], v[80:81]
	v_add_f64_e32 v[4:5], 0, v[4:5]
	v_add_f64_e32 v[120:121], 0, v[134:135]
	s_wait_loadcnt_dscnt 0xb00
	v_mul_f64_e32 v[134:135], v[126:127], v[84:85]
	v_mul_f64_e32 v[84:85], v[128:129], v[84:85]
	v_fmac_f64_e32 v[8:9], v[112:113], v[78:79]
	v_fma_f64 v[138:139], v[110:111], v[78:79], -v[80:81]
	ds_load_b128 v[78:81], v2 offset:608
	ds_load_b128 v[110:113], v2 offset:624
	v_add_f64_e32 v[4:5], v[4:5], v[118:119]
	v_add_f64_e32 v[136:137], v[120:121], v[136:137]
	scratch_load_b128 v[118:121], off, off offset:288
	v_fmac_f64_e32 v[134:135], v[128:129], v[82:83]
	v_fma_f64 v[126:127], v[126:127], v[82:83], -v[84:85]
	scratch_load_b128 v[82:85], off, off offset:304
	s_wait_loadcnt_dscnt 0xc01
	v_mul_f64_e32 v[140:141], v[78:79], v[88:89]
	v_mul_f64_e32 v[88:89], v[80:81], v[88:89]
	v_add_f64_e32 v[4:5], v[4:5], v[138:139]
	v_add_f64_e32 v[8:9], v[136:137], v[8:9]
	s_wait_loadcnt_dscnt 0xb00
	v_mul_f64_e32 v[136:137], v[110:111], v[92:93]
	v_mul_f64_e32 v[92:93], v[112:113], v[92:93]
	v_fmac_f64_e32 v[140:141], v[80:81], v[86:87]
	v_fma_f64 v[138:139], v[78:79], v[86:87], -v[88:89]
	ds_load_b128 v[78:81], v2 offset:640
	ds_load_b128 v[86:89], v2 offset:656
	v_add_f64_e32 v[4:5], v[4:5], v[126:127]
	v_add_f64_e32 v[8:9], v[8:9], v[134:135]
	scratch_load_b128 v[126:129], off, off offset:320
	s_wait_loadcnt_dscnt 0xb01
	v_mul_f64_e32 v[134:135], v[78:79], v[96:97]
	v_mul_f64_e32 v[96:97], v[80:81], v[96:97]
	v_fmac_f64_e32 v[136:137], v[112:113], v[90:91]
	v_fma_f64 v[110:111], v[110:111], v[90:91], -v[92:93]
	scratch_load_b128 v[90:93], off, off offset:336
	v_add_f64_e32 v[4:5], v[4:5], v[138:139]
	v_add_f64_e32 v[8:9], v[8:9], v[140:141]
	s_wait_loadcnt_dscnt 0xb00
	v_mul_f64_e32 v[138:139], v[86:87], v[100:101]
	v_mul_f64_e32 v[100:101], v[88:89], v[100:101]
	v_fmac_f64_e32 v[134:135], v[80:81], v[94:95]
	v_fma_f64 v[140:141], v[78:79], v[94:95], -v[96:97]
	ds_load_b128 v[78:81], v2 offset:672
	ds_load_b128 v[94:97], v2 offset:688
	v_add_f64_e32 v[4:5], v[4:5], v[110:111]
	v_add_f64_e32 v[8:9], v[8:9], v[136:137]
	scratch_load_b128 v[110:113], off, off offset:352
	s_wait_loadcnt_dscnt 0xb01
	v_mul_f64_e32 v[136:137], v[78:79], v[104:105]
	v_mul_f64_e32 v[104:105], v[80:81], v[104:105]
	v_fmac_f64_e32 v[138:139], v[88:89], v[98:99]
	v_fma_f64 v[98:99], v[86:87], v[98:99], -v[100:101]
	scratch_load_b128 v[86:89], off, off offset:368
	v_add_f64_e32 v[4:5], v[4:5], v[140:141]
	v_add_f64_e32 v[8:9], v[8:9], v[134:135]
	s_wait_loadcnt_dscnt 0xb00
	v_mul_f64_e32 v[134:135], v[94:95], v[108:109]
	v_mul_f64_e32 v[108:109], v[96:97], v[108:109]
	v_fmac_f64_e32 v[136:137], v[80:81], v[102:103]
	v_fma_f64 v[140:141], v[78:79], v[102:103], -v[104:105]
	v_add_f64_e32 v[4:5], v[4:5], v[98:99]
	v_add_f64_e32 v[8:9], v[8:9], v[138:139]
	ds_load_b128 v[78:81], v2 offset:704
	ds_load_b128 v[98:101], v2 offset:720
	scratch_load_b128 v[102:105], off, off offset:384
	v_fmac_f64_e32 v[134:135], v[96:97], v[106:107]
	v_fma_f64 v[106:107], v[94:95], v[106:107], -v[108:109]
	scratch_load_b128 v[94:97], off, off offset:400
	s_wait_loadcnt_dscnt 0xc01
	v_mul_f64_e32 v[138:139], v[78:79], v[116:117]
	v_mul_f64_e32 v[116:117], v[80:81], v[116:117]
	v_add_f64_e32 v[4:5], v[4:5], v[140:141]
	v_add_f64_e32 v[8:9], v[8:9], v[136:137]
	s_wait_loadcnt_dscnt 0xa00
	v_mul_f64_e32 v[136:137], v[98:99], v[12:13]
	v_mul_f64_e32 v[12:13], v[100:101], v[12:13]
	v_fmac_f64_e32 v[138:139], v[80:81], v[114:115]
	v_fma_f64 v[140:141], v[78:79], v[114:115], -v[116:117]
	v_add_f64_e32 v[4:5], v[4:5], v[106:107]
	v_add_f64_e32 v[8:9], v[8:9], v[134:135]
	ds_load_b128 v[78:81], v2 offset:736
	ds_load_b128 v[106:109], v2 offset:752
	scratch_load_b128 v[114:117], off, off offset:416
	v_fmac_f64_e32 v[136:137], v[100:101], v[10:11]
	v_fma_f64 v[12:13], v[98:99], v[10:11], -v[12:13]
	s_wait_loadcnt_dscnt 0xa01
	v_mul_f64_e32 v[134:135], v[78:79], v[132:133]
	v_mul_f64_e32 v[132:133], v[80:81], v[132:133]
	v_add_f64_e32 v[4:5], v[4:5], v[140:141]
	v_add_f64_e32 v[98:99], v[8:9], v[138:139]
	scratch_load_b128 v[8:11], off, off offset:432
	s_wait_loadcnt_dscnt 0xa00
	v_mul_f64_e32 v[138:139], v[106:107], v[76:77]
	v_mul_f64_e32 v[140:141], v[108:109], v[76:77]
	v_fmac_f64_e32 v[134:135], v[80:81], v[130:131]
	v_fma_f64 v[80:81], v[78:79], v[130:131], -v[132:133]
	v_add_f64_e32 v[4:5], v[4:5], v[12:13]
	v_add_f64_e32 v[12:13], v[98:99], v[136:137]
	ds_load_b128 v[76:79], v2 offset:768
	ds_load_b128 v[98:101], v2 offset:784
	scratch_load_b128 v[130:133], off, off offset:448
	v_fmac_f64_e32 v[138:139], v[108:109], v[74:75]
	v_fma_f64 v[74:75], v[106:107], v[74:75], -v[140:141]
	scratch_load_b128 v[106:109], off, off offset:464
	s_wait_loadcnt_dscnt 0xb01
	v_mul_f64_e32 v[136:137], v[76:77], v[120:121]
	v_mul_f64_e32 v[120:121], v[78:79], v[120:121]
	v_add_f64_e32 v[4:5], v[4:5], v[80:81]
	v_add_f64_e32 v[12:13], v[12:13], v[134:135]
	s_wait_loadcnt_dscnt 0xa00
	v_mul_f64_e32 v[134:135], v[98:99], v[84:85]
	v_mul_f64_e32 v[84:85], v[100:101], v[84:85]
	v_fmac_f64_e32 v[136:137], v[78:79], v[118:119]
	v_fma_f64 v[118:119], v[76:77], v[118:119], -v[120:121]
	v_add_f64_e32 v[4:5], v[4:5], v[74:75]
	v_add_f64_e32 v[12:13], v[12:13], v[138:139]
	ds_load_b128 v[74:77], v2 offset:800
	ds_load_b128 v[78:81], v2 offset:816
	v_fmac_f64_e32 v[134:135], v[100:101], v[82:83]
	v_fma_f64 v[82:83], v[98:99], v[82:83], -v[84:85]
	s_wait_loadcnt_dscnt 0x901
	v_mul_f64_e32 v[120:121], v[74:75], v[128:129]
	v_mul_f64_e32 v[128:129], v[76:77], v[128:129]
	s_wait_loadcnt_dscnt 0x800
	v_mul_f64_e32 v[98:99], v[78:79], v[92:93]
	v_mul_f64_e32 v[92:93], v[80:81], v[92:93]
	v_add_f64_e32 v[4:5], v[4:5], v[118:119]
	v_add_f64_e32 v[12:13], v[12:13], v[136:137]
	v_fmac_f64_e32 v[120:121], v[76:77], v[126:127]
	v_fma_f64 v[100:101], v[74:75], v[126:127], -v[128:129]
	v_fmac_f64_e32 v[98:99], v[80:81], v[90:91]
	v_fma_f64 v[78:79], v[78:79], v[90:91], -v[92:93]
	v_add_f64_e32 v[4:5], v[4:5], v[82:83]
	v_add_f64_e32 v[12:13], v[12:13], v[134:135]
	ds_load_b128 v[74:77], v2 offset:832
	ds_load_b128 v[82:85], v2 offset:848
	s_wait_loadcnt_dscnt 0x701
	v_mul_f64_e32 v[118:119], v[74:75], v[112:113]
	v_mul_f64_e32 v[112:113], v[76:77], v[112:113]
	s_wait_loadcnt_dscnt 0x600
	v_mul_f64_e32 v[90:91], v[82:83], v[88:89]
	v_mul_f64_e32 v[88:89], v[84:85], v[88:89]
	v_add_f64_e32 v[4:5], v[4:5], v[100:101]
	v_add_f64_e32 v[12:13], v[12:13], v[120:121]
	v_fmac_f64_e32 v[118:119], v[76:77], v[110:111]
	v_fma_f64 v[92:93], v[74:75], v[110:111], -v[112:113]
	v_fmac_f64_e32 v[90:91], v[84:85], v[86:87]
	v_fma_f64 v[82:83], v[82:83], v[86:87], -v[88:89]
	v_add_f64_e32 v[4:5], v[4:5], v[78:79]
	v_add_f64_e32 v[12:13], v[12:13], v[98:99]
	ds_load_b128 v[74:77], v2 offset:864
	ds_load_b128 v[78:81], v2 offset:880
	s_wait_loadcnt_dscnt 0x501
	v_mul_f64_e32 v[98:99], v[74:75], v[104:105]
	v_mul_f64_e32 v[100:101], v[76:77], v[104:105]
	s_wait_loadcnt_dscnt 0x400
	v_mul_f64_e32 v[86:87], v[78:79], v[96:97]
	v_mul_f64_e32 v[88:89], v[80:81], v[96:97]
	v_add_f64_e32 v[4:5], v[4:5], v[92:93]
	v_add_f64_e32 v[12:13], v[12:13], v[118:119]
	v_fmac_f64_e32 v[98:99], v[76:77], v[102:103]
	v_fma_f64 v[92:93], v[74:75], v[102:103], -v[100:101]
	v_fmac_f64_e32 v[86:87], v[80:81], v[94:95]
	v_fma_f64 v[78:79], v[78:79], v[94:95], -v[88:89]
	v_add_f64_e32 v[4:5], v[4:5], v[82:83]
	v_add_f64_e32 v[12:13], v[12:13], v[90:91]
	ds_load_b128 v[74:77], v2 offset:896
	ds_load_b128 v[82:85], v2 offset:912
	s_wait_loadcnt_dscnt 0x301
	v_mul_f64_e32 v[90:91], v[74:75], v[116:117]
	v_mul_f64_e32 v[96:97], v[76:77], v[116:117]
	v_add_f64_e32 v[4:5], v[4:5], v[92:93]
	v_add_f64_e32 v[12:13], v[12:13], v[98:99]
	s_wait_loadcnt_dscnt 0x200
	v_mul_f64_e32 v[80:81], v[82:83], v[10:11]
	v_mul_f64_e32 v[88:89], v[84:85], v[10:11]
	v_fmac_f64_e32 v[90:91], v[76:77], v[114:115]
	v_fma_f64 v[74:75], v[74:75], v[114:115], -v[96:97]
	v_add_f64_e32 v[76:77], v[4:5], v[78:79]
	v_add_f64_e32 v[78:79], v[12:13], v[86:87]
	ds_load_b128 v[10:13], v2 offset:928
	ds_load_b128 v[2:5], v2 offset:944
	v_fmac_f64_e32 v[80:81], v[84:85], v[8:9]
	v_fma_f64 v[8:9], v[82:83], v[8:9], -v[88:89]
	s_wait_loadcnt_dscnt 0x101
	v_mul_f64_e32 v[86:87], v[10:11], v[132:133]
	v_mul_f64_e32 v[92:93], v[12:13], v[132:133]
	s_wait_loadcnt_dscnt 0x0
	v_mul_f64_e32 v[82:83], v[4:5], v[108:109]
	v_add_f64_e32 v[74:75], v[76:77], v[74:75]
	v_add_f64_e32 v[76:77], v[78:79], v[90:91]
	v_mul_f64_e32 v[78:79], v[2:3], v[108:109]
	v_fmac_f64_e32 v[86:87], v[12:13], v[130:131]
	v_fma_f64 v[10:11], v[10:11], v[130:131], -v[92:93]
	v_fma_f64 v[2:3], v[2:3], v[106:107], -v[82:83]
	v_add_f64_e32 v[8:9], v[74:75], v[8:9]
	v_add_f64_e32 v[12:13], v[76:77], v[80:81]
	v_fmac_f64_e32 v[78:79], v[4:5], v[106:107]
	s_delay_alu instid0(VALU_DEP_3) | instskip(NEXT) | instid1(VALU_DEP_3)
	v_add_f64_e32 v[4:5], v[8:9], v[10:11]
	v_add_f64_e32 v[8:9], v[12:13], v[86:87]
	s_delay_alu instid0(VALU_DEP_2) | instskip(NEXT) | instid1(VALU_DEP_2)
	v_add_f64_e32 v[2:3], v[4:5], v[2:3]
	v_add_f64_e32 v[4:5], v[8:9], v[78:79]
	s_delay_alu instid0(VALU_DEP_2) | instskip(NEXT) | instid1(VALU_DEP_2)
	v_add_f64_e64 v[2:3], v[122:123], -v[2:3]
	v_add_f64_e64 v[4:5], v[124:125], -v[4:5]
	scratch_store_b128 off, v[2:5], off offset:48
	s_wait_xcnt 0x0
	v_cmpx_lt_u32_e32 2, v1
	s_cbranch_execz .LBB93_189
; %bb.188:
	scratch_load_b128 v[2:5], off, s16
	v_mov_b32_e32 v8, 0
	s_delay_alu instid0(VALU_DEP_1)
	v_dual_mov_b32 v9, v8 :: v_dual_mov_b32 v10, v8
	v_mov_b32_e32 v11, v8
	scratch_store_b128 off, v[8:11], off offset:32
	s_wait_loadcnt 0x0
	ds_store_b128 v6, v[2:5]
.LBB93_189:
	s_wait_xcnt 0x0
	s_or_b32 exec_lo, exec_lo, s2
	s_wait_storecnt_dscnt 0x0
	s_barrier_signal -1
	s_barrier_wait -1
	s_clause 0x9
	scratch_load_b128 v[8:11], off, off offset:48
	scratch_load_b128 v[74:77], off, off offset:64
	;; [unrolled: 1-line block ×10, first 2 shown]
	v_mov_b32_e32 v2, 0
	s_mov_b32 s2, exec_lo
	v_dual_ashrrev_i32 v21, 31, v20 :: v_dual_ashrrev_i32 v19, 31, v18
	v_ashrrev_i32_e32 v23, 31, v22
	ds_load_b128 v[110:113], v2 offset:528
	s_clause 0x2
	scratch_load_b128 v[114:117], off, off offset:208
	scratch_load_b128 v[118:121], off, off offset:32
	;; [unrolled: 1-line block ×3, first 2 shown]
	v_ashrrev_i32_e32 v27, 31, v26
	v_ashrrev_i32_e32 v31, 31, v30
	v_dual_ashrrev_i32 v35, 31, v34 :: v_dual_ashrrev_i32 v25, 31, v24
	v_dual_ashrrev_i32 v29, 31, v28 :: v_dual_ashrrev_i32 v39, 31, v38
	v_dual_ashrrev_i32 v33, 31, v32 :: v_dual_ashrrev_i32 v43, 31, v42
	v_dual_ashrrev_i32 v47, 31, v46 :: v_dual_ashrrev_i32 v37, 31, v36
	v_ashrrev_i32_e32 v51, 31, v50
	v_ashrrev_i32_e32 v55, 31, v54
	v_dual_ashrrev_i32 v59, 31, v58 :: v_dual_ashrrev_i32 v41, 31, v40
	v_dual_ashrrev_i32 v45, 31, v44 :: v_dual_ashrrev_i32 v63, 31, v62
	;; [unrolled: 1-line block ×4, first 2 shown]
	v_ashrrev_i32_e32 v57, 31, v56
	v_ashrrev_i32_e32 v61, 31, v60
	;; [unrolled: 1-line block ×4, first 2 shown]
	s_wait_loadcnt_dscnt 0xc00
	v_dual_mul_f64 v[4:5], v[112:113], v[10:11] :: v_dual_ashrrev_i32 v73, 31, v72
	v_mul_f64_e32 v[134:135], v[110:111], v[10:11]
	ds_load_b128 v[122:125], v2 offset:544
	scratch_load_b128 v[10:13], off, off offset:224
	ds_load_b128 v[130:133], v2 offset:576
	v_fma_f64 v[4:5], v[110:111], v[8:9], -v[4:5]
	v_fmac_f64_e32 v[134:135], v[112:113], v[8:9]
	ds_load_b128 v[110:113], v2 offset:560
	s_wait_loadcnt_dscnt 0xc02
	v_mul_f64_e32 v[136:137], v[122:123], v[76:77]
	v_mul_f64_e32 v[76:77], v[124:125], v[76:77]
	s_wait_loadcnt_dscnt 0xb00
	v_mul_f64_e32 v[8:9], v[110:111], v[80:81]
	v_mul_f64_e32 v[80:81], v[112:113], v[80:81]
	v_add_f64_e32 v[4:5], 0, v[4:5]
	v_fmac_f64_e32 v[136:137], v[124:125], v[74:75]
	v_fma_f64 v[122:123], v[122:123], v[74:75], -v[76:77]
	v_add_f64_e32 v[124:125], 0, v[134:135]
	scratch_load_b128 v[74:77], off, off offset:256
	v_fmac_f64_e32 v[8:9], v[112:113], v[78:79]
	v_fma_f64 v[138:139], v[110:111], v[78:79], -v[80:81]
	ds_load_b128 v[78:81], v2 offset:592
	s_wait_loadcnt 0xb
	v_mul_f64_e32 v[134:135], v[130:131], v[84:85]
	v_mul_f64_e32 v[84:85], v[132:133], v[84:85]
	scratch_load_b128 v[110:113], off, off offset:272
	v_add_f64_e32 v[4:5], v[4:5], v[122:123]
	v_add_f64_e32 v[136:137], v[124:125], v[136:137]
	ds_load_b128 v[122:125], v2 offset:608
	s_wait_loadcnt_dscnt 0xb01
	v_mul_f64_e32 v[140:141], v[78:79], v[88:89]
	v_mul_f64_e32 v[88:89], v[80:81], v[88:89]
	v_fmac_f64_e32 v[134:135], v[132:133], v[82:83]
	v_fma_f64 v[130:131], v[130:131], v[82:83], -v[84:85]
	scratch_load_b128 v[82:85], off, off offset:288
	v_add_f64_e32 v[4:5], v[4:5], v[138:139]
	v_add_f64_e32 v[8:9], v[136:137], v[8:9]
	v_fmac_f64_e32 v[140:141], v[80:81], v[86:87]
	v_fma_f64 v[138:139], v[78:79], v[86:87], -v[88:89]
	ds_load_b128 v[78:81], v2 offset:624
	s_wait_loadcnt_dscnt 0xb01
	v_mul_f64_e32 v[136:137], v[122:123], v[92:93]
	v_mul_f64_e32 v[92:93], v[124:125], v[92:93]
	scratch_load_b128 v[86:89], off, off offset:304
	v_add_f64_e32 v[4:5], v[4:5], v[130:131]
	v_add_f64_e32 v[8:9], v[8:9], v[134:135]
	s_wait_loadcnt_dscnt 0xb00
	v_mul_f64_e32 v[134:135], v[78:79], v[96:97]
	v_mul_f64_e32 v[96:97], v[80:81], v[96:97]
	ds_load_b128 v[130:133], v2 offset:640
	v_fmac_f64_e32 v[136:137], v[124:125], v[90:91]
	v_fma_f64 v[122:123], v[122:123], v[90:91], -v[92:93]
	scratch_load_b128 v[90:93], off, off offset:320
	v_add_f64_e32 v[4:5], v[4:5], v[138:139]
	v_add_f64_e32 v[8:9], v[8:9], v[140:141]
	v_fmac_f64_e32 v[134:135], v[80:81], v[94:95]
	v_fma_f64 v[140:141], v[78:79], v[94:95], -v[96:97]
	ds_load_b128 v[78:81], v2 offset:656
	s_wait_loadcnt_dscnt 0xb01
	v_mul_f64_e32 v[138:139], v[130:131], v[100:101]
	v_mul_f64_e32 v[100:101], v[132:133], v[100:101]
	scratch_load_b128 v[94:97], off, off offset:336
	v_add_f64_e32 v[4:5], v[4:5], v[122:123]
	v_add_f64_e32 v[8:9], v[8:9], v[136:137]
	s_wait_loadcnt_dscnt 0xb00
	v_mul_f64_e32 v[136:137], v[78:79], v[104:105]
	v_mul_f64_e32 v[104:105], v[80:81], v[104:105]
	ds_load_b128 v[122:125], v2 offset:672
	;; [unrolled: 18-line block ×3, first 2 shown]
	v_fmac_f64_e32 v[134:135], v[124:125], v[106:107]
	v_fma_f64 v[122:123], v[122:123], v[106:107], -v[108:109]
	scratch_load_b128 v[106:109], off, off offset:384
	v_add_f64_e32 v[4:5], v[4:5], v[140:141]
	v_add_f64_e32 v[8:9], v[8:9], v[136:137]
	v_fmac_f64_e32 v[138:139], v[80:81], v[114:115]
	v_fma_f64 v[140:141], v[78:79], v[114:115], -v[116:117]
	ds_load_b128 v[78:81], v2 offset:720
	s_wait_loadcnt_dscnt 0x901
	v_mul_f64_e32 v[136:137], v[130:131], v[12:13]
	v_mul_f64_e32 v[12:13], v[132:133], v[12:13]
	scratch_load_b128 v[114:117], off, off offset:400
	v_add_f64_e32 v[4:5], v[4:5], v[122:123]
	v_add_f64_e32 v[8:9], v[8:9], v[134:135]
	s_wait_dscnt 0x0
	v_mul_f64_e32 v[134:135], v[78:79], v[128:129]
	v_mul_f64_e32 v[128:129], v[80:81], v[128:129]
	ds_load_b128 v[122:125], v2 offset:736
	v_fmac_f64_e32 v[136:137], v[132:133], v[10:11]
	v_fma_f64 v[12:13], v[130:131], v[10:11], -v[12:13]
	v_add_f64_e32 v[4:5], v[4:5], v[140:141]
	v_add_f64_e32 v[130:131], v[8:9], v[138:139]
	scratch_load_b128 v[8:11], off, off offset:416
	v_fmac_f64_e32 v[134:135], v[80:81], v[126:127]
	v_fma_f64 v[80:81], v[78:79], v[126:127], -v[128:129]
	scratch_load_b128 v[126:129], off, off offset:432
	v_add_f64_e32 v[4:5], v[4:5], v[12:13]
	v_add_f64_e32 v[12:13], v[130:131], v[136:137]
	ds_load_b128 v[130:133], v2 offset:768
	s_wait_loadcnt_dscnt 0xb01
	v_mul_f64_e32 v[138:139], v[122:123], v[76:77]
	v_mul_f64_e32 v[140:141], v[124:125], v[76:77]
	ds_load_b128 v[76:79], v2 offset:752
	s_wait_loadcnt_dscnt 0xa00
	v_mul_f64_e32 v[136:137], v[76:77], v[112:113]
	v_mul_f64_e32 v[112:113], v[78:79], v[112:113]
	v_add_f64_e32 v[4:5], v[4:5], v[80:81]
	v_add_f64_e32 v[12:13], v[12:13], v[134:135]
	s_wait_loadcnt 0x9
	v_mul_f64_e32 v[134:135], v[130:131], v[84:85]
	v_fmac_f64_e32 v[138:139], v[124:125], v[74:75]
	v_fma_f64 v[74:75], v[122:123], v[74:75], -v[140:141]
	scratch_load_b128 v[122:125], off, off offset:448
	v_mul_f64_e32 v[84:85], v[132:133], v[84:85]
	v_fmac_f64_e32 v[136:137], v[78:79], v[110:111]
	v_fma_f64 v[140:141], v[76:77], v[110:111], -v[112:113]
	scratch_load_b128 v[78:81], off, off offset:464
	ds_load_b128 v[110:113], v2 offset:800
	v_fmac_f64_e32 v[134:135], v[132:133], v[82:83]
	v_add_f64_e32 v[12:13], v[12:13], v[138:139]
	v_add_f64_e32 v[4:5], v[4:5], v[74:75]
	ds_load_b128 v[74:77], v2 offset:784
	v_fma_f64 v[82:83], v[130:131], v[82:83], -v[84:85]
	s_wait_loadcnt_dscnt 0xa00
	v_mul_f64_e32 v[138:139], v[74:75], v[88:89]
	v_mul_f64_e32 v[84:85], v[76:77], v[88:89]
	s_wait_loadcnt 0x9
	v_mul_f64_e32 v[88:89], v[110:111], v[92:93]
	v_mul_f64_e32 v[92:93], v[112:113], v[92:93]
	v_add_f64_e32 v[12:13], v[12:13], v[136:137]
	v_add_f64_e32 v[4:5], v[4:5], v[140:141]
	v_fmac_f64_e32 v[138:139], v[76:77], v[86:87]
	v_fma_f64 v[86:87], v[74:75], v[86:87], -v[84:85]
	v_fmac_f64_e32 v[88:89], v[112:113], v[90:91]
	v_fma_f64 v[90:91], v[110:111], v[90:91], -v[92:93]
	v_add_f64_e32 v[12:13], v[12:13], v[134:135]
	v_add_f64_e32 v[4:5], v[4:5], v[82:83]
	ds_load_b128 v[74:77], v2 offset:816
	ds_load_b128 v[82:85], v2 offset:832
	s_wait_loadcnt_dscnt 0x801
	v_mul_f64_e32 v[130:131], v[74:75], v[96:97]
	v_mul_f64_e32 v[96:97], v[76:77], v[96:97]
	s_wait_loadcnt_dscnt 0x700
	v_mul_f64_e32 v[92:93], v[82:83], v[100:101]
	v_mul_f64_e32 v[100:101], v[84:85], v[100:101]
	v_add_f64_e32 v[12:13], v[12:13], v[138:139]
	v_add_f64_e32 v[4:5], v[4:5], v[86:87]
	v_fmac_f64_e32 v[130:131], v[76:77], v[94:95]
	v_fma_f64 v[94:95], v[74:75], v[94:95], -v[96:97]
	v_fmac_f64_e32 v[92:93], v[84:85], v[98:99]
	v_fma_f64 v[82:83], v[82:83], v[98:99], -v[100:101]
	v_add_f64_e32 v[12:13], v[12:13], v[88:89]
	v_add_f64_e32 v[4:5], v[4:5], v[90:91]
	ds_load_b128 v[74:77], v2 offset:848
	ds_load_b128 v[86:89], v2 offset:864
	s_wait_loadcnt_dscnt 0x601
	v_mul_f64_e32 v[90:91], v[74:75], v[104:105]
	v_mul_f64_e32 v[96:97], v[76:77], v[104:105]
	s_wait_loadcnt_dscnt 0x500
	v_mul_f64_e32 v[98:99], v[88:89], v[108:109]
	v_add_f64_e32 v[12:13], v[12:13], v[130:131]
	v_add_f64_e32 v[4:5], v[4:5], v[94:95]
	v_mul_f64_e32 v[94:95], v[86:87], v[108:109]
	v_fmac_f64_e32 v[90:91], v[76:77], v[102:103]
	v_fma_f64 v[96:97], v[74:75], v[102:103], -v[96:97]
	v_fma_f64 v[86:87], v[86:87], v[106:107], -v[98:99]
	v_add_f64_e32 v[12:13], v[12:13], v[92:93]
	v_add_f64_e32 v[4:5], v[4:5], v[82:83]
	ds_load_b128 v[74:77], v2 offset:880
	ds_load_b128 v[82:85], v2 offset:896
	v_fmac_f64_e32 v[94:95], v[88:89], v[106:107]
	s_wait_loadcnt_dscnt 0x401
	v_mul_f64_e32 v[92:93], v[74:75], v[116:117]
	v_mul_f64_e32 v[100:101], v[76:77], v[116:117]
	s_wait_loadcnt_dscnt 0x300
	v_mul_f64_e32 v[88:89], v[82:83], v[10:11]
	v_add_f64_e32 v[12:13], v[12:13], v[90:91]
	v_add_f64_e32 v[4:5], v[4:5], v[96:97]
	v_mul_f64_e32 v[90:91], v[84:85], v[10:11]
	v_fmac_f64_e32 v[92:93], v[76:77], v[114:115]
	v_fma_f64 v[96:97], v[74:75], v[114:115], -v[100:101]
	v_fmac_f64_e32 v[88:89], v[84:85], v[8:9]
	v_add_f64_e32 v[4:5], v[4:5], v[86:87]
	v_add_f64_e32 v[86:87], v[12:13], v[94:95]
	ds_load_b128 v[10:13], v2 offset:912
	ds_load_b128 v[74:77], v2 offset:928
	v_fma_f64 v[8:9], v[82:83], v[8:9], -v[90:91]
	s_wait_loadcnt_dscnt 0x201
	v_mul_f64_e32 v[94:95], v[10:11], v[128:129]
	v_mul_f64_e32 v[98:99], v[12:13], v[128:129]
	v_add_f64_e32 v[4:5], v[4:5], v[96:97]
	v_add_f64_e32 v[82:83], v[86:87], v[92:93]
	s_wait_loadcnt_dscnt 0x100
	v_mul_f64_e32 v[84:85], v[74:75], v[124:125]
	v_mul_f64_e32 v[86:87], v[76:77], v[124:125]
	v_fmac_f64_e32 v[94:95], v[12:13], v[126:127]
	v_fma_f64 v[12:13], v[10:11], v[126:127], -v[98:99]
	v_add_f64_e32 v[4:5], v[4:5], v[8:9]
	v_add_f64_e32 v[82:83], v[82:83], v[88:89]
	ds_load_b128 v[8:11], v2 offset:944
	v_fmac_f64_e32 v[84:85], v[76:77], v[122:123]
	v_fma_f64 v[74:75], v[74:75], v[122:123], -v[86:87]
	s_wait_loadcnt_dscnt 0x0
	v_mul_f64_e32 v[88:89], v[8:9], v[80:81]
	v_mul_f64_e32 v[80:81], v[10:11], v[80:81]
	v_add_f64_e32 v[4:5], v[4:5], v[12:13]
	v_add_f64_e32 v[12:13], v[82:83], v[94:95]
	s_delay_alu instid0(VALU_DEP_4) | instskip(NEXT) | instid1(VALU_DEP_4)
	v_fmac_f64_e32 v[88:89], v[10:11], v[78:79]
	v_fma_f64 v[8:9], v[8:9], v[78:79], -v[80:81]
	s_delay_alu instid0(VALU_DEP_4) | instskip(NEXT) | instid1(VALU_DEP_4)
	v_add_f64_e32 v[4:5], v[4:5], v[74:75]
	v_add_f64_e32 v[10:11], v[12:13], v[84:85]
	s_delay_alu instid0(VALU_DEP_2) | instskip(NEXT) | instid1(VALU_DEP_2)
	v_add_f64_e32 v[4:5], v[4:5], v[8:9]
	v_add_f64_e32 v[10:11], v[10:11], v[88:89]
	s_delay_alu instid0(VALU_DEP_2) | instskip(NEXT) | instid1(VALU_DEP_2)
	v_add_f64_e64 v[8:9], v[118:119], -v[4:5]
	v_add_f64_e64 v[10:11], v[120:121], -v[10:11]
	scratch_store_b128 off, v[8:11], off offset:32
	s_wait_xcnt 0x0
	v_cmpx_lt_u32_e32 1, v1
	s_cbranch_execz .LBB93_191
; %bb.190:
	scratch_load_b128 v[8:11], off, s18
	v_dual_mov_b32 v3, v2 :: v_dual_mov_b32 v4, v2
	v_mov_b32_e32 v5, v2
	scratch_store_b128 off, v[2:5], off offset:16
	s_wait_loadcnt 0x0
	ds_store_b128 v6, v[8:11]
.LBB93_191:
	s_wait_xcnt 0x0
	s_or_b32 exec_lo, exec_lo, s2
	s_wait_storecnt_dscnt 0x0
	s_barrier_signal -1
	s_barrier_wait -1
	s_clause 0x9
	scratch_load_b128 v[8:11], off, off offset:32
	scratch_load_b128 v[74:77], off, off offset:48
	;; [unrolled: 1-line block ×10, first 2 shown]
	ds_load_b128 v[110:113], v2 offset:512
	s_clause 0x2
	scratch_load_b128 v[114:117], off, off offset:192
	scratch_load_b128 v[118:121], off, off offset:208
	;; [unrolled: 1-line block ×3, first 2 shown]
	s_mov_b32 s2, exec_lo
	s_wait_loadcnt_dscnt 0xc00
	v_mul_f64_e32 v[4:5], v[112:113], v[10:11]
	v_mul_f64_e32 v[126:127], v[110:111], v[10:11]
	ds_load_b128 v[10:13], v2 offset:528
	v_fma_f64 v[4:5], v[110:111], v[8:9], -v[4:5]
	v_fmac_f64_e32 v[126:127], v[112:113], v[8:9]
	ds_load_b128 v[110:113], v2 offset:544
	s_wait_loadcnt_dscnt 0xb01
	v_mul_f64_e32 v[128:129], v[10:11], v[76:77]
	v_mul_f64_e32 v[76:77], v[12:13], v[76:77]
	s_wait_loadcnt_dscnt 0xa00
	v_mul_f64_e32 v[130:131], v[110:111], v[80:81]
	v_mul_f64_e32 v[80:81], v[112:113], v[80:81]
	v_add_f64_e32 v[4:5], 0, v[4:5]
	v_add_f64_e32 v[126:127], 0, v[126:127]
	v_fmac_f64_e32 v[128:129], v[12:13], v[74:75]
	v_fma_f64 v[12:13], v[10:11], v[74:75], -v[76:77]
	ds_load_b128 v[8:11], v2 offset:560
	scratch_load_b128 v[74:77], off, off offset:240
	v_fmac_f64_e32 v[130:131], v[112:113], v[78:79]
	v_fma_f64 v[134:135], v[110:111], v[78:79], -v[80:81]
	ds_load_b128 v[78:81], v2 offset:576
	s_wait_loadcnt_dscnt 0xa01
	v_mul_f64_e32 v[132:133], v[8:9], v[84:85]
	v_mul_f64_e32 v[84:85], v[10:11], v[84:85]
	scratch_load_b128 v[110:113], off, off offset:256
	v_add_f64_e32 v[4:5], v[4:5], v[12:13]
	v_add_f64_e32 v[12:13], v[126:127], v[128:129]
	s_wait_loadcnt_dscnt 0xa00
	v_mul_f64_e32 v[126:127], v[78:79], v[88:89]
	v_mul_f64_e32 v[88:89], v[80:81], v[88:89]
	v_fmac_f64_e32 v[132:133], v[10:11], v[82:83]
	v_fma_f64 v[128:129], v[8:9], v[82:83], -v[84:85]
	ds_load_b128 v[8:11], v2 offset:592
	scratch_load_b128 v[82:85], off, off offset:272
	v_add_f64_e32 v[4:5], v[4:5], v[134:135]
	v_add_f64_e32 v[12:13], v[12:13], v[130:131]
	v_fmac_f64_e32 v[126:127], v[80:81], v[86:87]
	v_fma_f64 v[134:135], v[78:79], v[86:87], -v[88:89]
	ds_load_b128 v[78:81], v2 offset:608
	s_wait_loadcnt_dscnt 0xa01
	v_mul_f64_e32 v[130:131], v[8:9], v[92:93]
	v_mul_f64_e32 v[92:93], v[10:11], v[92:93]
	scratch_load_b128 v[86:89], off, off offset:288
	v_add_f64_e32 v[4:5], v[4:5], v[128:129]
	v_add_f64_e32 v[12:13], v[12:13], v[132:133]
	s_wait_loadcnt_dscnt 0xa00
	v_mul_f64_e32 v[128:129], v[78:79], v[96:97]
	v_mul_f64_e32 v[96:97], v[80:81], v[96:97]
	v_fmac_f64_e32 v[130:131], v[10:11], v[90:91]
	v_fma_f64 v[132:133], v[8:9], v[90:91], -v[92:93]
	ds_load_b128 v[8:11], v2 offset:624
	scratch_load_b128 v[90:93], off, off offset:304
	v_add_f64_e32 v[4:5], v[4:5], v[134:135]
	v_add_f64_e32 v[12:13], v[12:13], v[126:127]
	;; [unrolled: 18-line block ×5, first 2 shown]
	s_wait_loadcnt_dscnt 0xa00
	v_mul_f64_e32 v[134:135], v[8:9], v[76:77]
	v_mul_f64_e32 v[126:127], v[10:11], v[76:77]
	v_fmac_f64_e32 v[128:129], v[80:81], v[122:123]
	v_fma_f64 v[80:81], v[78:79], v[122:123], -v[124:125]
	ds_load_b128 v[76:79], v2 offset:736
	scratch_load_b128 v[122:125], off, off offset:416
	v_add_f64_e32 v[4:5], v[4:5], v[132:133]
	v_add_f64_e32 v[12:13], v[12:13], v[130:131]
	v_fmac_f64_e32 v[134:135], v[10:11], v[74:75]
	v_fma_f64 v[74:75], v[8:9], v[74:75], -v[126:127]
	ds_load_b128 v[8:11], v2 offset:752
	s_wait_loadcnt_dscnt 0xa01
	v_mul_f64_e32 v[130:131], v[76:77], v[112:113]
	v_mul_f64_e32 v[112:113], v[78:79], v[112:113]
	s_wait_loadcnt_dscnt 0x900
	v_mul_f64_e32 v[132:133], v[8:9], v[84:85]
	v_mul_f64_e32 v[84:85], v[10:11], v[84:85]
	v_add_f64_e32 v[4:5], v[4:5], v[80:81]
	v_add_f64_e32 v[12:13], v[12:13], v[128:129]
	scratch_load_b128 v[126:129], off, off offset:432
	v_fmac_f64_e32 v[130:131], v[78:79], v[110:111]
	v_fma_f64 v[110:111], v[76:77], v[110:111], -v[112:113]
	scratch_load_b128 v[78:81], off, off offset:448
	v_fmac_f64_e32 v[132:133], v[10:11], v[82:83]
	v_add_f64_e32 v[4:5], v[4:5], v[74:75]
	ds_load_b128 v[74:77], v2 offset:768
	v_add_f64_e32 v[12:13], v[12:13], v[134:135]
	v_fma_f64 v[134:135], v[8:9], v[82:83], -v[84:85]
	ds_load_b128 v[8:11], v2 offset:784
	scratch_load_b128 v[82:85], off, off offset:464
	s_wait_loadcnt_dscnt 0xb01
	v_mul_f64_e32 v[112:113], v[74:75], v[88:89]
	v_mul_f64_e32 v[88:89], v[76:77], v[88:89]
	v_add_f64_e32 v[4:5], v[4:5], v[110:111]
	v_add_f64_e32 v[12:13], v[12:13], v[130:131]
	s_delay_alu instid0(VALU_DEP_4) | instskip(NEXT) | instid1(VALU_DEP_4)
	v_fmac_f64_e32 v[112:113], v[76:77], v[86:87]
	v_fma_f64 v[86:87], v[74:75], v[86:87], -v[88:89]
	ds_load_b128 v[74:77], v2 offset:800
	v_add_f64_e32 v[4:5], v[4:5], v[134:135]
	v_add_f64_e32 v[12:13], v[12:13], v[132:133]
	s_wait_loadcnt_dscnt 0x900
	v_mul_f64_e32 v[130:131], v[74:75], v[96:97]
	v_mul_f64_e32 v[88:89], v[76:77], v[96:97]
	s_delay_alu instid0(VALU_DEP_4) | instskip(NEXT) | instid1(VALU_DEP_4)
	v_add_f64_e32 v[4:5], v[4:5], v[86:87]
	v_add_f64_e32 v[12:13], v[12:13], v[112:113]
	s_delay_alu instid0(VALU_DEP_4) | instskip(NEXT) | instid1(VALU_DEP_4)
	v_fmac_f64_e32 v[130:131], v[76:77], v[94:95]
	v_fma_f64 v[94:95], v[74:75], v[94:95], -v[88:89]
	scratch_load_b128 v[86:89], off, off offset:16
	v_mul_f64_e32 v[110:111], v[8:9], v[92:93]
	v_mul_f64_e32 v[92:93], v[10:11], v[92:93]
	ds_load_b128 v[74:77], v2 offset:832
	v_fmac_f64_e32 v[110:111], v[10:11], v[90:91]
	v_fma_f64 v[90:91], v[8:9], v[90:91], -v[92:93]
	ds_load_b128 v[8:11], v2 offset:816
	s_wait_loadcnt_dscnt 0x900
	v_mul_f64_e32 v[92:93], v[8:9], v[100:101]
	v_mul_f64_e32 v[96:97], v[10:11], v[100:101]
	s_wait_loadcnt 0x8
	v_mul_f64_e32 v[100:101], v[76:77], v[104:105]
	v_add_f64_e32 v[12:13], v[12:13], v[110:111]
	v_add_f64_e32 v[4:5], v[4:5], v[90:91]
	v_mul_f64_e32 v[90:91], v[74:75], v[104:105]
	v_fmac_f64_e32 v[92:93], v[10:11], v[98:99]
	v_fma_f64 v[96:97], v[8:9], v[98:99], -v[96:97]
	ds_load_b128 v[8:11], v2 offset:848
	v_fma_f64 v[100:101], v[74:75], v[102:103], -v[100:101]
	v_add_f64_e32 v[12:13], v[12:13], v[130:131]
	v_add_f64_e32 v[4:5], v[4:5], v[94:95]
	v_fmac_f64_e32 v[90:91], v[76:77], v[102:103]
	ds_load_b128 v[74:77], v2 offset:864
	s_wait_loadcnt_dscnt 0x701
	v_mul_f64_e32 v[94:95], v[8:9], v[108:109]
	v_mul_f64_e32 v[98:99], v[10:11], v[108:109]
	v_add_f64_e32 v[12:13], v[12:13], v[92:93]
	v_add_f64_e32 v[4:5], v[4:5], v[96:97]
	s_wait_loadcnt_dscnt 0x600
	v_mul_f64_e32 v[92:93], v[74:75], v[116:117]
	v_mul_f64_e32 v[96:97], v[76:77], v[116:117]
	v_fmac_f64_e32 v[94:95], v[10:11], v[106:107]
	v_fma_f64 v[98:99], v[8:9], v[106:107], -v[98:99]
	ds_load_b128 v[8:11], v2 offset:880
	v_add_f64_e32 v[12:13], v[12:13], v[90:91]
	v_add_f64_e32 v[4:5], v[4:5], v[100:101]
	v_fmac_f64_e32 v[92:93], v[76:77], v[114:115]
	v_fma_f64 v[96:97], v[74:75], v[114:115], -v[96:97]
	ds_load_b128 v[74:77], v2 offset:896
	s_wait_loadcnt_dscnt 0x501
	v_mul_f64_e32 v[90:91], v[8:9], v[120:121]
	v_mul_f64_e32 v[100:101], v[10:11], v[120:121]
	v_add_f64_e32 v[12:13], v[12:13], v[94:95]
	v_add_f64_e32 v[4:5], v[4:5], v[98:99]
	s_wait_loadcnt_dscnt 0x400
	v_mul_f64_e32 v[94:95], v[74:75], v[124:125]
	v_mul_f64_e32 v[98:99], v[76:77], v[124:125]
	v_fmac_f64_e32 v[90:91], v[10:11], v[118:119]
	v_fma_f64 v[100:101], v[8:9], v[118:119], -v[100:101]
	ds_load_b128 v[8:11], v2 offset:912
	v_add_f64_e32 v[12:13], v[12:13], v[92:93]
	v_add_f64_e32 v[4:5], v[4:5], v[96:97]
	v_fmac_f64_e32 v[94:95], v[76:77], v[122:123]
	v_fma_f64 v[98:99], v[74:75], v[122:123], -v[98:99]
	ds_load_b128 v[74:77], v2 offset:928
	s_wait_loadcnt_dscnt 0x301
	v_mul_f64_e32 v[92:93], v[8:9], v[128:129]
	v_mul_f64_e32 v[96:97], v[10:11], v[128:129]
	v_add_f64_e32 v[12:13], v[12:13], v[90:91]
	v_add_f64_e32 v[4:5], v[4:5], v[100:101]
	s_wait_loadcnt_dscnt 0x200
	v_mul_f64_e32 v[90:91], v[74:75], v[80:81]
	v_mul_f64_e32 v[80:81], v[76:77], v[80:81]
	v_fmac_f64_e32 v[92:93], v[10:11], v[126:127]
	v_fma_f64 v[8:9], v[8:9], v[126:127], -v[96:97]
	v_add_f64_e32 v[12:13], v[12:13], v[94:95]
	v_add_f64_e32 v[10:11], v[4:5], v[98:99]
	ds_load_b128 v[2:5], v2 offset:944
	v_fmac_f64_e32 v[90:91], v[76:77], v[78:79]
	v_fma_f64 v[74:75], v[74:75], v[78:79], -v[80:81]
	s_wait_loadcnt_dscnt 0x100
	v_mul_f64_e32 v[94:95], v[2:3], v[84:85]
	v_mul_f64_e32 v[84:85], v[4:5], v[84:85]
	v_add_f64_e32 v[8:9], v[10:11], v[8:9]
	v_add_f64_e32 v[10:11], v[12:13], v[92:93]
	s_delay_alu instid0(VALU_DEP_4) | instskip(NEXT) | instid1(VALU_DEP_4)
	v_fmac_f64_e32 v[94:95], v[4:5], v[82:83]
	v_fma_f64 v[2:3], v[2:3], v[82:83], -v[84:85]
	s_delay_alu instid0(VALU_DEP_4) | instskip(NEXT) | instid1(VALU_DEP_4)
	v_add_f64_e32 v[4:5], v[8:9], v[74:75]
	v_add_f64_e32 v[8:9], v[10:11], v[90:91]
	s_delay_alu instid0(VALU_DEP_2) | instskip(NEXT) | instid1(VALU_DEP_2)
	v_add_f64_e32 v[2:3], v[4:5], v[2:3]
	v_add_f64_e32 v[4:5], v[8:9], v[94:95]
	s_wait_loadcnt 0x0
	s_delay_alu instid0(VALU_DEP_2) | instskip(NEXT) | instid1(VALU_DEP_2)
	v_add_f64_e64 v[2:3], v[86:87], -v[2:3]
	v_add_f64_e64 v[4:5], v[88:89], -v[4:5]
	scratch_store_b128 off, v[2:5], off offset:16
	s_wait_xcnt 0x0
	v_cmpx_ne_u32_e32 0, v1
	s_cbranch_execz .LBB93_193
; %bb.192:
	scratch_load_b128 v[2:5], off, off
	v_mov_b32_e32 v8, 0
	s_delay_alu instid0(VALU_DEP_1)
	v_dual_mov_b32 v9, v8 :: v_dual_mov_b32 v10, v8
	v_mov_b32_e32 v11, v8
	scratch_store_b128 off, v[8:11], off
	s_wait_loadcnt 0x0
	ds_store_b128 v6, v[2:5]
.LBB93_193:
	s_wait_xcnt 0x0
	s_or_b32 exec_lo, exec_lo, s2
	s_wait_storecnt_dscnt 0x0
	s_barrier_signal -1
	s_barrier_wait -1
	s_clause 0x9
	scratch_load_b128 v[2:5], off, off offset:16
	scratch_load_b128 v[6:9], off, off offset:32
	;; [unrolled: 1-line block ×10, first 2 shown]
	v_mov_b32_e32 v96, 0
	s_and_b32 vcc_lo, exec_lo, s42
	ds_load_b128 v[106:109], v96 offset:496
	s_clause 0x2
	scratch_load_b128 v[110:113], off, off offset:176
	scratch_load_b128 v[114:117], off, off
	scratch_load_b128 v[122:125], off, off offset:192
	s_wait_loadcnt_dscnt 0xc00
	v_mul_f64_e32 v[94:95], v[108:109], v[4:5]
	v_mul_f64_e32 v[130:131], v[106:107], v[4:5]
	ds_load_b128 v[118:121], v96 offset:512
	ds_load_b128 v[126:129], v96 offset:544
	v_fma_f64 v[94:95], v[106:107], v[2:3], -v[94:95]
	v_fmac_f64_e32 v[130:131], v[108:109], v[2:3]
	ds_load_b128 v[2:5], v96 offset:528
	s_wait_loadcnt_dscnt 0xb02
	v_mul_f64_e32 v[132:133], v[118:119], v[8:9]
	v_mul_f64_e32 v[8:9], v[120:121], v[8:9]
	scratch_load_b128 v[106:109], off, off offset:208
	s_wait_loadcnt_dscnt 0xb00
	v_mul_f64_e32 v[134:135], v[2:3], v[12:13]
	v_mul_f64_e32 v[12:13], v[4:5], v[12:13]
	v_add_f64_e32 v[94:95], 0, v[94:95]
	v_fmac_f64_e32 v[132:133], v[120:121], v[6:7]
	v_fma_f64 v[118:119], v[118:119], v[6:7], -v[8:9]
	v_add_f64_e32 v[120:121], 0, v[130:131]
	scratch_load_b128 v[6:9], off, off offset:224
	v_fmac_f64_e32 v[134:135], v[4:5], v[10:11]
	v_fma_f64 v[136:137], v[2:3], v[10:11], -v[12:13]
	ds_load_b128 v[2:5], v96 offset:560
	s_wait_loadcnt 0xb
	v_mul_f64_e32 v[130:131], v[126:127], v[76:77]
	v_mul_f64_e32 v[76:77], v[128:129], v[76:77]
	scratch_load_b128 v[10:13], off, off offset:240
	v_add_f64_e32 v[94:95], v[94:95], v[118:119]
	v_add_f64_e32 v[132:133], v[120:121], v[132:133]
	ds_load_b128 v[118:121], v96 offset:576
	s_wait_loadcnt_dscnt 0xb01
	v_mul_f64_e32 v[138:139], v[2:3], v[80:81]
	v_mul_f64_e32 v[80:81], v[4:5], v[80:81]
	v_fmac_f64_e32 v[130:131], v[128:129], v[74:75]
	v_fma_f64 v[126:127], v[126:127], v[74:75], -v[76:77]
	scratch_load_b128 v[74:77], off, off offset:256
	v_add_f64_e32 v[94:95], v[94:95], v[136:137]
	v_add_f64_e32 v[128:129], v[132:133], v[134:135]
	v_fmac_f64_e32 v[138:139], v[4:5], v[78:79]
	v_fma_f64 v[134:135], v[2:3], v[78:79], -v[80:81]
	ds_load_b128 v[2:5], v96 offset:592
	s_wait_loadcnt_dscnt 0xb01
	v_mul_f64_e32 v[132:133], v[118:119], v[84:85]
	v_mul_f64_e32 v[84:85], v[120:121], v[84:85]
	scratch_load_b128 v[78:81], off, off offset:272
	s_wait_loadcnt_dscnt 0xb00
	v_mul_f64_e32 v[136:137], v[2:3], v[88:89]
	v_mul_f64_e32 v[88:89], v[4:5], v[88:89]
	v_add_f64_e32 v[94:95], v[94:95], v[126:127]
	v_add_f64_e32 v[130:131], v[128:129], v[130:131]
	ds_load_b128 v[126:129], v96 offset:608
	v_fmac_f64_e32 v[132:133], v[120:121], v[82:83]
	v_fma_f64 v[118:119], v[118:119], v[82:83], -v[84:85]
	scratch_load_b128 v[82:85], off, off offset:288
	v_fmac_f64_e32 v[136:137], v[4:5], v[86:87]
	v_add_f64_e32 v[94:95], v[94:95], v[134:135]
	v_add_f64_e32 v[120:121], v[130:131], v[138:139]
	v_fma_f64 v[138:139], v[2:3], v[86:87], -v[88:89]
	ds_load_b128 v[2:5], v96 offset:624
	s_wait_loadcnt_dscnt 0xb01
	v_mul_f64_e32 v[130:131], v[126:127], v[92:93]
	v_mul_f64_e32 v[134:135], v[128:129], v[92:93]
	scratch_load_b128 v[86:89], off, off offset:304
	v_add_f64_e32 v[118:119], v[94:95], v[118:119]
	v_add_f64_e32 v[120:121], v[120:121], v[132:133]
	s_wait_loadcnt_dscnt 0xb00
	v_mul_f64_e32 v[132:133], v[2:3], v[100:101]
	v_mul_f64_e32 v[100:101], v[4:5], v[100:101]
	v_fmac_f64_e32 v[130:131], v[128:129], v[90:91]
	v_fma_f64 v[90:91], v[126:127], v[90:91], -v[134:135]
	ds_load_b128 v[92:95], v96 offset:640
	v_add_f64_e32 v[126:127], v[118:119], v[138:139]
	v_add_f64_e32 v[128:129], v[120:121], v[136:137]
	scratch_load_b128 v[118:121], off, off offset:320
	v_fmac_f64_e32 v[132:133], v[4:5], v[98:99]
	v_fma_f64 v[136:137], v[2:3], v[98:99], -v[100:101]
	ds_load_b128 v[2:5], v96 offset:656
	s_wait_loadcnt_dscnt 0xb01
	v_mul_f64_e32 v[134:135], v[92:93], v[104:105]
	v_mul_f64_e32 v[104:105], v[94:95], v[104:105]
	scratch_load_b128 v[98:101], off, off offset:336
	s_wait_loadcnt_dscnt 0xb00
	v_mul_f64_e32 v[138:139], v[2:3], v[112:113]
	v_mul_f64_e32 v[112:113], v[4:5], v[112:113]
	v_add_f64_e32 v[90:91], v[126:127], v[90:91]
	v_add_f64_e32 v[130:131], v[128:129], v[130:131]
	ds_load_b128 v[126:129], v96 offset:672
	v_fmac_f64_e32 v[134:135], v[94:95], v[102:103]
	v_fma_f64 v[94:95], v[92:93], v[102:103], -v[104:105]
	v_fmac_f64_e32 v[138:139], v[4:5], v[110:111]
	v_add_f64_e32 v[102:103], v[90:91], v[136:137]
	v_add_f64_e32 v[104:105], v[130:131], v[132:133]
	scratch_load_b128 v[90:93], off, off offset:352
	v_fma_f64 v[132:133], v[2:3], v[110:111], -v[112:113]
	ds_load_b128 v[2:5], v96 offset:688
	s_wait_loadcnt_dscnt 0xa01
	v_mul_f64_e32 v[130:131], v[126:127], v[124:125]
	v_mul_f64_e32 v[124:125], v[128:129], v[124:125]
	ds_load_b128 v[110:113], v96 offset:704
	v_add_f64_e32 v[94:95], v[102:103], v[94:95]
	v_add_f64_e32 v[134:135], v[104:105], v[134:135]
	scratch_load_b128 v[102:105], off, off offset:368
	s_wait_loadcnt_dscnt 0xa01
	v_mul_f64_e32 v[136:137], v[2:3], v[108:109]
	v_mul_f64_e32 v[108:109], v[4:5], v[108:109]
	v_fmac_f64_e32 v[130:131], v[128:129], v[122:123]
	v_fma_f64 v[126:127], v[126:127], v[122:123], -v[124:125]
	scratch_load_b128 v[122:125], off, off offset:384
	v_add_f64_e32 v[94:95], v[94:95], v[132:133]
	v_add_f64_e32 v[128:129], v[134:135], v[138:139]
	v_fmac_f64_e32 v[136:137], v[4:5], v[106:107]
	v_fma_f64 v[134:135], v[2:3], v[106:107], -v[108:109]
	ds_load_b128 v[2:5], v96 offset:720
	s_wait_loadcnt_dscnt 0xa01
	v_mul_f64_e32 v[132:133], v[110:111], v[8:9]
	v_mul_f64_e32 v[8:9], v[112:113], v[8:9]
	scratch_load_b128 v[106:109], off, off offset:400
	s_wait_loadcnt_dscnt 0xa00
	v_mul_f64_e32 v[138:139], v[2:3], v[12:13]
	v_mul_f64_e32 v[12:13], v[4:5], v[12:13]
	v_add_f64_e32 v[94:95], v[94:95], v[126:127]
	v_add_f64_e32 v[130:131], v[128:129], v[130:131]
	ds_load_b128 v[126:129], v96 offset:736
	v_fmac_f64_e32 v[132:133], v[112:113], v[6:7]
	v_fma_f64 v[110:111], v[110:111], v[6:7], -v[8:9]
	scratch_load_b128 v[6:9], off, off offset:416
	v_fmac_f64_e32 v[138:139], v[4:5], v[10:11]
	v_add_f64_e32 v[94:95], v[94:95], v[134:135]
	v_add_f64_e32 v[112:113], v[130:131], v[136:137]
	v_fma_f64 v[134:135], v[2:3], v[10:11], -v[12:13]
	ds_load_b128 v[2:5], v96 offset:752
	s_wait_loadcnt_dscnt 0xa01
	v_mul_f64_e32 v[130:131], v[126:127], v[76:77]
	v_mul_f64_e32 v[76:77], v[128:129], v[76:77]
	scratch_load_b128 v[10:13], off, off offset:432
	s_wait_loadcnt_dscnt 0xa00
	v_mul_f64_e32 v[136:137], v[2:3], v[80:81]
	v_mul_f64_e32 v[80:81], v[4:5], v[80:81]
	v_add_f64_e32 v[94:95], v[94:95], v[110:111]
	v_add_f64_e32 v[132:133], v[112:113], v[132:133]
	ds_load_b128 v[110:113], v96 offset:768
	v_fmac_f64_e32 v[130:131], v[128:129], v[74:75]
	v_fma_f64 v[126:127], v[126:127], v[74:75], -v[76:77]
	scratch_load_b128 v[74:77], off, off offset:448
	v_fmac_f64_e32 v[136:137], v[4:5], v[78:79]
	v_add_f64_e32 v[94:95], v[94:95], v[134:135]
	v_add_f64_e32 v[128:129], v[132:133], v[138:139]
	v_fma_f64 v[134:135], v[2:3], v[78:79], -v[80:81]
	ds_load_b128 v[2:5], v96 offset:784
	s_wait_loadcnt_dscnt 0xa01
	v_mul_f64_e32 v[132:133], v[110:111], v[84:85]
	v_mul_f64_e32 v[84:85], v[112:113], v[84:85]
	scratch_load_b128 v[78:81], off, off offset:464
	s_wait_loadcnt_dscnt 0xa00
	v_mul_f64_e32 v[138:139], v[2:3], v[88:89]
	v_mul_f64_e32 v[88:89], v[4:5], v[88:89]
	v_add_f64_e32 v[94:95], v[94:95], v[126:127]
	v_add_f64_e32 v[130:131], v[128:129], v[130:131]
	ds_load_b128 v[126:129], v96 offset:800
	v_fmac_f64_e32 v[132:133], v[112:113], v[82:83]
	v_fma_f64 v[82:83], v[110:111], v[82:83], -v[84:85]
	v_fmac_f64_e32 v[138:139], v[4:5], v[86:87]
	v_fma_f64 v[86:87], v[2:3], v[86:87], -v[88:89]
	v_add_f64_e32 v[84:85], v[94:95], v[134:135]
	v_add_f64_e32 v[94:95], v[130:131], v[136:137]
	s_wait_loadcnt_dscnt 0x900
	v_mul_f64_e32 v[110:111], v[126:127], v[120:121]
	v_mul_f64_e32 v[112:113], v[128:129], v[120:121]
	s_delay_alu instid0(VALU_DEP_4) | instskip(NEXT) | instid1(VALU_DEP_4)
	v_add_f64_e32 v[88:89], v[84:85], v[82:83]
	v_add_f64_e32 v[94:95], v[94:95], v[132:133]
	ds_load_b128 v[2:5], v96 offset:816
	ds_load_b128 v[82:85], v96 offset:832
	v_fmac_f64_e32 v[110:111], v[128:129], v[118:119]
	v_fma_f64 v[112:113], v[126:127], v[118:119], -v[112:113]
	s_wait_loadcnt_dscnt 0x801
	v_mul_f64_e32 v[120:121], v[2:3], v[100:101]
	v_mul_f64_e32 v[100:101], v[4:5], v[100:101]
	v_add_f64_e32 v[86:87], v[88:89], v[86:87]
	v_add_f64_e32 v[88:89], v[94:95], v[138:139]
	s_wait_loadcnt_dscnt 0x700
	v_mul_f64_e32 v[94:95], v[82:83], v[92:93]
	v_mul_f64_e32 v[92:93], v[84:85], v[92:93]
	v_fmac_f64_e32 v[120:121], v[4:5], v[98:99]
	v_fma_f64 v[98:99], v[2:3], v[98:99], -v[100:101]
	v_add_f64_e32 v[100:101], v[86:87], v[112:113]
	v_add_f64_e32 v[110:111], v[88:89], v[110:111]
	ds_load_b128 v[2:5], v96 offset:848
	ds_load_b128 v[86:89], v96 offset:864
	v_fmac_f64_e32 v[94:95], v[84:85], v[90:91]
	v_fma_f64 v[82:83], v[82:83], v[90:91], -v[92:93]
	s_wait_loadcnt_dscnt 0x601
	v_mul_f64_e32 v[112:113], v[2:3], v[104:105]
	v_mul_f64_e32 v[104:105], v[4:5], v[104:105]
	s_wait_loadcnt_dscnt 0x500
	v_mul_f64_e32 v[92:93], v[86:87], v[124:125]
	v_add_f64_e32 v[84:85], v[100:101], v[98:99]
	v_add_f64_e32 v[90:91], v[110:111], v[120:121]
	v_mul_f64_e32 v[98:99], v[88:89], v[124:125]
	v_fmac_f64_e32 v[112:113], v[4:5], v[102:103]
	v_fma_f64 v[100:101], v[2:3], v[102:103], -v[104:105]
	v_fmac_f64_e32 v[92:93], v[88:89], v[122:123]
	v_add_f64_e32 v[102:103], v[84:85], v[82:83]
	v_add_f64_e32 v[90:91], v[90:91], v[94:95]
	ds_load_b128 v[2:5], v96 offset:880
	ds_load_b128 v[82:85], v96 offset:896
	v_fma_f64 v[86:87], v[86:87], v[122:123], -v[98:99]
	s_wait_loadcnt_dscnt 0x401
	v_mul_f64_e32 v[94:95], v[2:3], v[108:109]
	v_mul_f64_e32 v[104:105], v[4:5], v[108:109]
	s_wait_loadcnt_dscnt 0x300
	v_mul_f64_e32 v[98:99], v[82:83], v[8:9]
	v_mul_f64_e32 v[8:9], v[84:85], v[8:9]
	v_add_f64_e32 v[88:89], v[102:103], v[100:101]
	v_add_f64_e32 v[90:91], v[90:91], v[112:113]
	v_fmac_f64_e32 v[94:95], v[4:5], v[106:107]
	v_fma_f64 v[100:101], v[2:3], v[106:107], -v[104:105]
	v_fmac_f64_e32 v[98:99], v[84:85], v[6:7]
	v_fma_f64 v[6:7], v[82:83], v[6:7], -v[8:9]
	v_add_f64_e32 v[102:103], v[88:89], v[86:87]
	v_add_f64_e32 v[90:91], v[90:91], v[92:93]
	ds_load_b128 v[2:5], v96 offset:912
	ds_load_b128 v[86:89], v96 offset:928
	s_wait_loadcnt_dscnt 0x201
	v_mul_f64_e32 v[92:93], v[2:3], v[12:13]
	v_mul_f64_e32 v[12:13], v[4:5], v[12:13]
	s_wait_loadcnt_dscnt 0x100
	v_mul_f64_e32 v[84:85], v[86:87], v[76:77]
	v_mul_f64_e32 v[76:77], v[88:89], v[76:77]
	v_add_f64_e32 v[8:9], v[102:103], v[100:101]
	v_add_f64_e32 v[82:83], v[90:91], v[94:95]
	v_lshl_add_u64 v[94:95], v[18:19], 4, s[4:5]
	v_lshl_add_u64 v[90:91], v[22:23], 4, s[4:5]
	v_lshl_add_u64 v[22:23], v[56:57], 4, s[4:5]
	v_lshl_add_u64 v[18:19], v[60:61], 4, s[4:5]
	v_fmac_f64_e32 v[92:93], v[4:5], v[10:11]
	v_fma_f64 v[10:11], v[2:3], v[10:11], -v[12:13]
	ds_load_b128 v[2:5], v96 offset:944
	v_fmac_f64_e32 v[84:85], v[88:89], v[74:75]
	v_fma_f64 v[74:75], v[86:87], v[74:75], -v[76:77]
	v_lshl_add_u64 v[88:89], v[24:25], 4, s[4:5]
	v_lshl_add_u64 v[86:87], v[26:27], 4, s[4:5]
	;; [unrolled: 1-line block ×6, first 2 shown]
	v_add_f64_e32 v[6:7], v[8:9], v[6:7]
	v_add_f64_e32 v[8:9], v[82:83], v[98:99]
	v_lshl_add_u64 v[82:83], v[30:31], 4, s[4:5]
	v_lshl_add_u64 v[30:31], v[48:49], 4, s[4:5]
	s_wait_loadcnt_dscnt 0x0
	v_mul_f64_e32 v[12:13], v[2:3], v[80:81]
	v_mul_f64_e32 v[80:81], v[4:5], v[80:81]
	v_add_f64_e32 v[6:7], v[6:7], v[10:11]
	v_add_f64_e32 v[8:9], v[8:9], v[92:93]
	v_lshl_add_u64 v[92:93], v[20:21], 4, s[4:5]
	v_lshl_add_u64 v[20:21], v[58:59], 4, s[4:5]
	;; [unrolled: 1-line block ×3, first 2 shown]
	v_fmac_f64_e32 v[12:13], v[4:5], v[78:79]
	v_fma_f64 v[2:3], v[2:3], v[78:79], -v[80:81]
	v_lshl_add_u64 v[80:81], v[32:33], 4, s[4:5]
	v_lshl_add_u64 v[78:79], v[34:35], 4, s[4:5]
	;; [unrolled: 1-line block ×4, first 2 shown]
	v_add_f64_e32 v[4:5], v[6:7], v[74:75]
	v_add_f64_e32 v[6:7], v[8:9], v[84:85]
	v_lshl_add_u64 v[84:85], v[28:29], 4, s[4:5]
	v_lshl_add_u64 v[74:75], v[38:39], 4, s[4:5]
	;; [unrolled: 1-line block ×5, first 2 shown]
	v_add_f64_e32 v[2:3], v[4:5], v[2:3]
	v_add_f64_e32 v[4:5], v[6:7], v[12:13]
	v_lshl_add_u64 v[12:13], v[62:63], 4, s[4:5]
	v_lshl_add_u64 v[6:7], v[68:69], 4, s[4:5]
	s_delay_alu instid0(VALU_DEP_4) | instskip(NEXT) | instid1(VALU_DEP_4)
	v_add_f64_e64 v[98:99], v[114:115], -v[2:3]
	v_add_f64_e64 v[100:101], v[116:117], -v[4:5]
	v_lshl_add_u64 v[4:5], v[70:71], 4, s[4:5]
	v_lshl_add_u64 v[2:3], v[72:73], 4, s[4:5]
	scratch_store_b128 off, v[98:101], off
	s_cbranch_vccz .LBB93_252
; %bb.194:
	global_load_b32 v40, v96, s[8:9] offset:112
	s_load_b64 s[2:3], s[0:1], 0x4
	v_bfe_u32 v41, v0, 10, 10
	v_bfe_u32 v0, v0, 20, 10
	s_wait_kmcnt 0x0
	s_lshr_b32 s0, s2, 16
	s_delay_alu instid0(VALU_DEP_2) | instskip(SKIP_1) | instid1(SALU_CYCLE_1)
	v_mul_u32_u24_e32 v41, s3, v41
	s_mul_i32 s0, s0, s3
	v_mul_u32_u24_e32 v1, s0, v1
	s_delay_alu instid0(VALU_DEP_1) | instskip(NEXT) | instid1(VALU_DEP_1)
	v_add3_u32 v0, v1, v41, v0
	v_lshl_add_u32 v0, v0, 4, 0x3c8
	s_wait_loadcnt 0x0
	v_cmp_ne_u32_e32 vcc_lo, 29, v40
	s_cbranch_vccz .LBB93_196
; %bb.195:
	v_lshlrev_b32_e32 v1, 4, v40
	s_clause 0x1
	scratch_load_b128 v[40:43], off, s15
	scratch_load_b128 v[44:47], v1, off offset:-16
	s_wait_loadcnt 0x1
	ds_store_2addr_b64 v0, v[40:41], v[42:43] offset1:1
	s_wait_loadcnt 0x0
	s_clause 0x1
	scratch_store_b128 off, v[44:47], s15
	scratch_store_b128 v1, v[40:43], off offset:-16
.LBB93_196:
	s_wait_xcnt 0x0
	v_mov_b32_e32 v1, 0
	global_load_b32 v40, v1, s[8:9] offset:108
	s_wait_loadcnt 0x0
	v_cmp_eq_u32_e32 vcc_lo, 28, v40
	s_cbranch_vccnz .LBB93_198
; %bb.197:
	v_lshlrev_b32_e32 v40, 4, v40
	s_delay_alu instid0(VALU_DEP_1)
	v_mov_b32_e32 v48, v40
	s_clause 0x1
	scratch_load_b128 v[40:43], off, s17
	scratch_load_b128 v[44:47], v48, off offset:-16
	s_wait_loadcnt 0x1
	ds_store_2addr_b64 v0, v[40:41], v[42:43] offset1:1
	s_wait_loadcnt 0x0
	s_clause 0x1
	scratch_store_b128 off, v[44:47], s17
	scratch_store_b128 v48, v[40:43], off offset:-16
.LBB93_198:
	global_load_b32 v1, v1, s[8:9] offset:104
	s_wait_loadcnt 0x0
	v_cmp_eq_u32_e32 vcc_lo, 27, v1
	s_cbranch_vccnz .LBB93_200
; %bb.199:
	s_wait_xcnt 0x0
	v_lshlrev_b32_e32 v1, 4, v1
	s_clause 0x1
	scratch_load_b128 v[40:43], off, s19
	scratch_load_b128 v[44:47], v1, off offset:-16
	s_wait_loadcnt 0x1
	ds_store_2addr_b64 v0, v[40:41], v[42:43] offset1:1
	s_wait_loadcnt 0x0
	s_clause 0x1
	scratch_store_b128 off, v[44:47], s19
	scratch_store_b128 v1, v[40:43], off offset:-16
.LBB93_200:
	s_wait_xcnt 0x0
	v_mov_b32_e32 v1, 0
	global_load_b32 v40, v1, s[8:9] offset:100
	s_wait_loadcnt 0x0
	v_cmp_eq_u32_e32 vcc_lo, 26, v40
	s_cbranch_vccnz .LBB93_202
; %bb.201:
	v_lshlrev_b32_e32 v40, 4, v40
	s_delay_alu instid0(VALU_DEP_1)
	v_mov_b32_e32 v48, v40
	s_clause 0x1
	scratch_load_b128 v[40:43], off, s20
	scratch_load_b128 v[44:47], v48, off offset:-16
	s_wait_loadcnt 0x1
	ds_store_2addr_b64 v0, v[40:41], v[42:43] offset1:1
	s_wait_loadcnt 0x0
	s_clause 0x1
	scratch_store_b128 off, v[44:47], s20
	scratch_store_b128 v48, v[40:43], off offset:-16
.LBB93_202:
	global_load_b32 v1, v1, s[8:9] offset:96
	s_wait_loadcnt 0x0
	v_cmp_eq_u32_e32 vcc_lo, 25, v1
	s_cbranch_vccnz .LBB93_204
; %bb.203:
	s_wait_xcnt 0x0
	v_lshlrev_b32_e32 v1, 4, v1
	s_clause 0x1
	scratch_load_b128 v[40:43], off, s21
	scratch_load_b128 v[44:47], v1, off offset:-16
	s_wait_loadcnt 0x1
	ds_store_2addr_b64 v0, v[40:41], v[42:43] offset1:1
	s_wait_loadcnt 0x0
	s_clause 0x1
	scratch_store_b128 off, v[44:47], s21
	scratch_store_b128 v1, v[40:43], off offset:-16
.LBB93_204:
	;; [unrolled: 37-line block ×13, first 2 shown]
	s_wait_xcnt 0x0
	v_mov_b32_e32 v1, 0
	global_load_b32 v40, v1, s[8:9] offset:4
	s_wait_loadcnt 0x0
	v_cmp_eq_u32_e32 vcc_lo, 2, v40
	s_cbranch_vccnz .LBB93_250
; %bb.249:
	v_lshlrev_b32_e32 v40, 4, v40
	s_delay_alu instid0(VALU_DEP_1)
	v_mov_b32_e32 v48, v40
	s_clause 0x1
	scratch_load_b128 v[40:43], off, s18
	scratch_load_b128 v[44:47], v48, off offset:-16
	s_wait_loadcnt 0x1
	ds_store_2addr_b64 v0, v[40:41], v[42:43] offset1:1
	s_wait_loadcnt 0x0
	s_clause 0x1
	scratch_store_b128 off, v[44:47], s18
	scratch_store_b128 v48, v[40:43], off offset:-16
.LBB93_250:
	global_load_b32 v1, v1, s[8:9]
	s_wait_loadcnt 0x0
	v_cmp_eq_u32_e32 vcc_lo, 1, v1
	s_cbranch_vccnz .LBB93_252
; %bb.251:
	s_wait_xcnt 0x0
	v_lshlrev_b32_e32 v1, 4, v1
	scratch_load_b128 v[40:43], off, off
	scratch_load_b128 v[44:47], v1, off offset:-16
	s_wait_loadcnt 0x1
	ds_store_2addr_b64 v0, v[40:41], v[42:43] offset1:1
	s_wait_loadcnt 0x0
	scratch_store_b128 off, v[44:47], off
	scratch_store_b128 v1, v[40:43], off offset:-16
.LBB93_252:
	scratch_load_b128 v[40:43], off, off
	s_wait_loadcnt 0x0
	flat_store_b128 v[14:15], v[40:43]
	scratch_load_b128 v[40:43], off, s18
	s_wait_loadcnt 0x0
	flat_store_b128 v[16:17], v[40:43]
	scratch_load_b128 v[14:17], off, s16
	;; [unrolled: 3-line block ×29, first 2 shown]
	s_wait_loadcnt 0x0
	flat_store_b128 v[2:3], v[4:7]
	s_sendmsg sendmsg(MSG_DEALLOC_VGPRS)
	s_endpgm
	.section	.rodata,"a",@progbits
	.p2align	6, 0x0
	.amdhsa_kernel _ZN9rocsolver6v33100L18getri_kernel_smallILi30E19rocblas_complex_numIdEPKPS3_EEvT1_iilPiilS8_bb
		.amdhsa_group_segment_fixed_size 1992
		.amdhsa_private_segment_fixed_size 496
		.amdhsa_kernarg_size 60
		.amdhsa_user_sgpr_count 4
		.amdhsa_user_sgpr_dispatch_ptr 1
		.amdhsa_user_sgpr_queue_ptr 0
		.amdhsa_user_sgpr_kernarg_segment_ptr 1
		.amdhsa_user_sgpr_dispatch_id 0
		.amdhsa_user_sgpr_kernarg_preload_length 0
		.amdhsa_user_sgpr_kernarg_preload_offset 0
		.amdhsa_user_sgpr_private_segment_size 0
		.amdhsa_wavefront_size32 1
		.amdhsa_uses_dynamic_stack 0
		.amdhsa_enable_private_segment 1
		.amdhsa_system_sgpr_workgroup_id_x 1
		.amdhsa_system_sgpr_workgroup_id_y 0
		.amdhsa_system_sgpr_workgroup_id_z 0
		.amdhsa_system_sgpr_workgroup_info 0
		.amdhsa_system_vgpr_workitem_id 2
		.amdhsa_next_free_vgpr 142
		.amdhsa_next_free_sgpr 55
		.amdhsa_named_barrier_count 0
		.amdhsa_reserve_vcc 1
		.amdhsa_float_round_mode_32 0
		.amdhsa_float_round_mode_16_64 0
		.amdhsa_float_denorm_mode_32 3
		.amdhsa_float_denorm_mode_16_64 3
		.amdhsa_fp16_overflow 0
		.amdhsa_memory_ordered 1
		.amdhsa_forward_progress 1
		.amdhsa_inst_pref_size 255
		.amdhsa_round_robin_scheduling 0
		.amdhsa_exception_fp_ieee_invalid_op 0
		.amdhsa_exception_fp_denorm_src 0
		.amdhsa_exception_fp_ieee_div_zero 0
		.amdhsa_exception_fp_ieee_overflow 0
		.amdhsa_exception_fp_ieee_underflow 0
		.amdhsa_exception_fp_ieee_inexact 0
		.amdhsa_exception_int_div_zero 0
	.end_amdhsa_kernel
	.section	.text._ZN9rocsolver6v33100L18getri_kernel_smallILi30E19rocblas_complex_numIdEPKPS3_EEvT1_iilPiilS8_bb,"axG",@progbits,_ZN9rocsolver6v33100L18getri_kernel_smallILi30E19rocblas_complex_numIdEPKPS3_EEvT1_iilPiilS8_bb,comdat
.Lfunc_end93:
	.size	_ZN9rocsolver6v33100L18getri_kernel_smallILi30E19rocblas_complex_numIdEPKPS3_EEvT1_iilPiilS8_bb, .Lfunc_end93-_ZN9rocsolver6v33100L18getri_kernel_smallILi30E19rocblas_complex_numIdEPKPS3_EEvT1_iilPiilS8_bb
                                        ; -- End function
	.set _ZN9rocsolver6v33100L18getri_kernel_smallILi30E19rocblas_complex_numIdEPKPS3_EEvT1_iilPiilS8_bb.num_vgpr, 142
	.set _ZN9rocsolver6v33100L18getri_kernel_smallILi30E19rocblas_complex_numIdEPKPS3_EEvT1_iilPiilS8_bb.num_agpr, 0
	.set _ZN9rocsolver6v33100L18getri_kernel_smallILi30E19rocblas_complex_numIdEPKPS3_EEvT1_iilPiilS8_bb.numbered_sgpr, 55
	.set _ZN9rocsolver6v33100L18getri_kernel_smallILi30E19rocblas_complex_numIdEPKPS3_EEvT1_iilPiilS8_bb.num_named_barrier, 0
	.set _ZN9rocsolver6v33100L18getri_kernel_smallILi30E19rocblas_complex_numIdEPKPS3_EEvT1_iilPiilS8_bb.private_seg_size, 496
	.set _ZN9rocsolver6v33100L18getri_kernel_smallILi30E19rocblas_complex_numIdEPKPS3_EEvT1_iilPiilS8_bb.uses_vcc, 1
	.set _ZN9rocsolver6v33100L18getri_kernel_smallILi30E19rocblas_complex_numIdEPKPS3_EEvT1_iilPiilS8_bb.uses_flat_scratch, 1
	.set _ZN9rocsolver6v33100L18getri_kernel_smallILi30E19rocblas_complex_numIdEPKPS3_EEvT1_iilPiilS8_bb.has_dyn_sized_stack, 0
	.set _ZN9rocsolver6v33100L18getri_kernel_smallILi30E19rocblas_complex_numIdEPKPS3_EEvT1_iilPiilS8_bb.has_recursion, 0
	.set _ZN9rocsolver6v33100L18getri_kernel_smallILi30E19rocblas_complex_numIdEPKPS3_EEvT1_iilPiilS8_bb.has_indirect_call, 0
	.section	.AMDGPU.csdata,"",@progbits
; Kernel info:
; codeLenInByte = 41480
; TotalNumSgprs: 57
; NumVgprs: 142
; ScratchSize: 496
; MemoryBound: 0
; FloatMode: 240
; IeeeMode: 1
; LDSByteSize: 1992 bytes/workgroup (compile time only)
; SGPRBlocks: 0
; VGPRBlocks: 8
; NumSGPRsForWavesPerEU: 57
; NumVGPRsForWavesPerEU: 142
; NamedBarCnt: 0
; Occupancy: 7
; WaveLimiterHint : 1
; COMPUTE_PGM_RSRC2:SCRATCH_EN: 1
; COMPUTE_PGM_RSRC2:USER_SGPR: 4
; COMPUTE_PGM_RSRC2:TRAP_HANDLER: 0
; COMPUTE_PGM_RSRC2:TGID_X_EN: 1
; COMPUTE_PGM_RSRC2:TGID_Y_EN: 0
; COMPUTE_PGM_RSRC2:TGID_Z_EN: 0
; COMPUTE_PGM_RSRC2:TIDIG_COMP_CNT: 2
	.section	.text._ZN9rocsolver6v33100L18getri_kernel_smallILi31E19rocblas_complex_numIdEPKPS3_EEvT1_iilPiilS8_bb,"axG",@progbits,_ZN9rocsolver6v33100L18getri_kernel_smallILi31E19rocblas_complex_numIdEPKPS3_EEvT1_iilPiilS8_bb,comdat
	.globl	_ZN9rocsolver6v33100L18getri_kernel_smallILi31E19rocblas_complex_numIdEPKPS3_EEvT1_iilPiilS8_bb ; -- Begin function _ZN9rocsolver6v33100L18getri_kernel_smallILi31E19rocblas_complex_numIdEPKPS3_EEvT1_iilPiilS8_bb
	.p2align	8
	.type	_ZN9rocsolver6v33100L18getri_kernel_smallILi31E19rocblas_complex_numIdEPKPS3_EEvT1_iilPiilS8_bb,@function
_ZN9rocsolver6v33100L18getri_kernel_smallILi31E19rocblas_complex_numIdEPKPS3_EEvT1_iilPiilS8_bb: ; @_ZN9rocsolver6v33100L18getri_kernel_smallILi31E19rocblas_complex_numIdEPKPS3_EEvT1_iilPiilS8_bb
; %bb.0:
	v_and_b32_e32 v1, 0x3ff, v0
	s_mov_b32 s4, exec_lo
	s_delay_alu instid0(VALU_DEP_1)
	v_cmpx_gt_u32_e32 31, v1
	s_cbranch_execz .LBB94_138
; %bb.1:
	s_clause 0x1
	s_load_b32 s16, s[2:3], 0x38
	s_load_b64 s[8:9], s[2:3], 0x0
	s_getreg_b32 s6, hwreg(HW_REG_IB_STS2, 6, 4)
	s_wait_kmcnt 0x0
	s_bitcmp1_b32 s16, 8
	s_cselect_b32 s43, -1, 0
	s_bfe_u32 s4, ttmp6, 0x4000c
	s_and_b32 s5, ttmp6, 15
	s_add_co_i32 s4, s4, 1
	s_delay_alu instid0(SALU_CYCLE_1) | instskip(NEXT) | instid1(SALU_CYCLE_1)
	s_mul_i32 s4, ttmp9, s4
	s_add_co_i32 s5, s5, s4
	s_cmp_eq_u32 s6, 0
	s_cselect_b32 s10, ttmp9, s5
	s_load_b128 s[4:7], s[2:3], 0x28
	s_ashr_i32 s11, s10, 31
	s_delay_alu instid0(SALU_CYCLE_1) | instskip(NEXT) | instid1(SALU_CYCLE_1)
	s_lshl_b64 s[12:13], s[10:11], 3
	s_add_nc_u64 s[8:9], s[8:9], s[12:13]
	s_load_b64 s[14:15], s[8:9], 0x0
	s_wait_xcnt 0x0
	s_bfe_u32 s8, s16, 0x10008
	s_delay_alu instid0(SALU_CYCLE_1)
	s_cmp_eq_u32 s8, 0
                                        ; implicit-def: $sgpr8_sgpr9
	s_cbranch_scc1 .LBB94_3
; %bb.2:
	s_load_b96 s[16:18], s[2:3], 0x18
	s_wait_kmcnt 0x0
	s_mul_u64 s[4:5], s[4:5], s[10:11]
	s_delay_alu instid0(SALU_CYCLE_1) | instskip(SKIP_4) | instid1(SALU_CYCLE_1)
	s_lshl_b64 s[4:5], s[4:5], 2
	s_ashr_i32 s9, s18, 31
	s_mov_b32 s8, s18
	s_add_nc_u64 s[4:5], s[16:17], s[4:5]
	s_lshl_b64 s[8:9], s[8:9], 2
	s_add_nc_u64 s[8:9], s[4:5], s[8:9]
.LBB94_3:
	s_clause 0x1
	s_load_b64 s[12:13], s[2:3], 0x8
	s_load_b32 s44, s[2:3], 0x38
	v_dual_mov_b32 v77, 0 :: v_dual_lshlrev_b32 v76, 4, v1
	s_movk_i32 s45, 0x130
	s_movk_i32 s46, 0x140
	;; [unrolled: 1-line block ×12, first 2 shown]
	s_mov_b32 s18, 16
	s_mov_b32 s16, 32
	s_movk_i32 s42, 0x50
	s_movk_i32 s41, 0x60
	s_wait_kmcnt 0x0
	s_ashr_i32 s3, s12, 31
	s_mov_b32 s2, s12
	v_add3_u32 v18, s13, s13, v1
	s_lshl_b64 s[2:3], s[2:3], 4
	s_mov_b32 s12, 64
	s_add_nc_u64 s[4:5], s[14:15], s[2:3]
	s_ashr_i32 s3, s13, 31
	flat_load_b128 v[2:5], v1, s[4:5] scale_offset
	v_add_nc_u64_e32 v[14:15], s[4:5], v[76:77]
	s_mov_b32 s2, s13
	v_add_nc_u32_e32 v20, s13, v18
	s_mov_b32 s14, 48
	s_movk_i32 s40, 0x70
	s_movk_i32 s39, 0x80
	;; [unrolled: 1-line block ×3, first 2 shown]
	v_lshl_add_u64 v[16:17], s[2:3], 4, v[14:15]
	v_add_nc_u32_e32 v22, s13, v20
	s_movk_i32 s37, 0xa0
	s_movk_i32 s36, 0xb0
	;; [unrolled: 1-line block ×4, first 2 shown]
	v_add_nc_u32_e32 v24, s13, v22
	s_movk_i32 s33, 0xe0
	s_movk_i32 s31, 0xf0
	;; [unrolled: 1-line block ×4, first 2 shown]
	v_add_nc_u32_e32 v26, s13, v24
	s_movk_i32 s28, 0x120
	s_mov_b32 s27, s45
	s_mov_b32 s26, s46
	;; [unrolled: 1-line block ×3, first 2 shown]
	v_add_nc_u32_e32 v28, s13, v26
	s_mov_b32 s24, s48
	s_mov_b32 s23, s49
	;; [unrolled: 1-line block ×4, first 2 shown]
	v_add_nc_u32_e32 v30, s13, v28
	s_mov_b32 s20, s52
	s_mov_b32 s19, s53
	;; [unrolled: 1-line block ×4, first 2 shown]
	v_add_nc_u32_e32 v32, s13, v30
	s_bitcmp0_b32 s44, 0
	s_mov_b32 s3, -1
	s_delay_alu instid0(VALU_DEP_1) | instskip(NEXT) | instid1(VALU_DEP_1)
	v_add_nc_u32_e32 v34, s13, v32
	v_add_nc_u32_e32 v36, s13, v34
	s_delay_alu instid0(VALU_DEP_1) | instskip(NEXT) | instid1(VALU_DEP_1)
	v_add_nc_u32_e32 v38, s13, v36
	v_add_nc_u32_e32 v40, s13, v38
	;; [unrolled: 3-line block ×10, first 2 shown]
	s_delay_alu instid0(VALU_DEP_1)
	v_add_nc_u32_e32 v74, s13, v72
	s_mov_b32 s13, s56
	s_wait_loadcnt_dscnt 0x0
	scratch_store_b128 off, v[2:5], off
	flat_load_b128 v[2:5], v[16:17]
	s_wait_loadcnt_dscnt 0x0
	scratch_store_b128 off, v[2:5], off offset:16
	flat_load_b128 v[2:5], v18, s[4:5] scale_offset
	s_wait_loadcnt_dscnt 0x0
	scratch_store_b128 off, v[2:5], off offset:32
	flat_load_b128 v[2:5], v20, s[4:5] scale_offset
	s_wait_loadcnt_dscnt 0x0
	scratch_store_b128 off, v[2:5], off offset:48
	flat_load_b128 v[2:5], v22, s[4:5] scale_offset
	s_wait_loadcnt_dscnt 0x0
	scratch_store_b128 off, v[2:5], off offset:64
	flat_load_b128 v[2:5], v24, s[4:5] scale_offset
	s_wait_loadcnt_dscnt 0x0
	scratch_store_b128 off, v[2:5], off offset:80
	flat_load_b128 v[2:5], v26, s[4:5] scale_offset
	s_wait_loadcnt_dscnt 0x0
	scratch_store_b128 off, v[2:5], off offset:96
	flat_load_b128 v[2:5], v28, s[4:5] scale_offset
	s_wait_loadcnt_dscnt 0x0
	scratch_store_b128 off, v[2:5], off offset:112
	flat_load_b128 v[2:5], v30, s[4:5] scale_offset
	s_wait_loadcnt_dscnt 0x0
	scratch_store_b128 off, v[2:5], off offset:128
	flat_load_b128 v[2:5], v32, s[4:5] scale_offset
	s_wait_loadcnt_dscnt 0x0
	scratch_store_b128 off, v[2:5], off offset:144
	flat_load_b128 v[2:5], v34, s[4:5] scale_offset
	s_wait_loadcnt_dscnt 0x0
	scratch_store_b128 off, v[2:5], off offset:160
	flat_load_b128 v[2:5], v36, s[4:5] scale_offset
	s_wait_loadcnt_dscnt 0x0
	scratch_store_b128 off, v[2:5], off offset:176
	flat_load_b128 v[2:5], v38, s[4:5] scale_offset
	s_wait_loadcnt_dscnt 0x0
	scratch_store_b128 off, v[2:5], off offset:192
	flat_load_b128 v[2:5], v40, s[4:5] scale_offset
	s_wait_loadcnt_dscnt 0x0
	scratch_store_b128 off, v[2:5], off offset:208
	flat_load_b128 v[2:5], v42, s[4:5] scale_offset
	s_wait_loadcnt_dscnt 0x0
	scratch_store_b128 off, v[2:5], off offset:224
	flat_load_b128 v[2:5], v44, s[4:5] scale_offset
	s_wait_loadcnt_dscnt 0x0
	scratch_store_b128 off, v[2:5], off offset:240
	flat_load_b128 v[2:5], v46, s[4:5] scale_offset
	s_wait_loadcnt_dscnt 0x0
	scratch_store_b128 off, v[2:5], off offset:256
	flat_load_b128 v[2:5], v48, s[4:5] scale_offset
	s_wait_loadcnt_dscnt 0x0
	scratch_store_b128 off, v[2:5], off offset:272
	flat_load_b128 v[2:5], v50, s[4:5] scale_offset
	s_wait_loadcnt_dscnt 0x0
	scratch_store_b128 off, v[2:5], off offset:288
	flat_load_b128 v[2:5], v52, s[4:5] scale_offset
	s_wait_loadcnt_dscnt 0x0
	scratch_store_b128 off, v[2:5], off offset:304
	flat_load_b128 v[2:5], v54, s[4:5] scale_offset
	s_wait_loadcnt_dscnt 0x0
	scratch_store_b128 off, v[2:5], off offset:320
	flat_load_b128 v[2:5], v56, s[4:5] scale_offset
	s_wait_loadcnt_dscnt 0x0
	scratch_store_b128 off, v[2:5], off offset:336
	flat_load_b128 v[2:5], v58, s[4:5] scale_offset
	s_wait_loadcnt_dscnt 0x0
	scratch_store_b128 off, v[2:5], off offset:352
	flat_load_b128 v[2:5], v60, s[4:5] scale_offset
	s_wait_loadcnt_dscnt 0x0
	scratch_store_b128 off, v[2:5], off offset:368
	flat_load_b128 v[2:5], v62, s[4:5] scale_offset
	s_wait_loadcnt_dscnt 0x0
	scratch_store_b128 off, v[2:5], off offset:384
	flat_load_b128 v[2:5], v64, s[4:5] scale_offset
	s_wait_loadcnt_dscnt 0x0
	scratch_store_b128 off, v[2:5], off offset:400
	flat_load_b128 v[2:5], v66, s[4:5] scale_offset
	s_wait_loadcnt_dscnt 0x0
	scratch_store_b128 off, v[2:5], off offset:416
	flat_load_b128 v[2:5], v68, s[4:5] scale_offset
	s_wait_loadcnt_dscnt 0x0
	scratch_store_b128 off, v[2:5], off offset:432
	flat_load_b128 v[2:5], v70, s[4:5] scale_offset
	s_wait_loadcnt_dscnt 0x0
	scratch_store_b128 off, v[2:5], off offset:448
	flat_load_b128 v[2:5], v72, s[4:5] scale_offset
	s_wait_loadcnt_dscnt 0x0
	scratch_store_b128 off, v[2:5], off offset:464
	flat_load_b128 v[2:5], v74, s[4:5] scale_offset
	s_wait_loadcnt_dscnt 0x0
	scratch_store_b128 off, v[2:5], off offset:480
	s_cbranch_scc1 .LBB94_136
; %bb.4:
	v_cmp_eq_u32_e64 s2, 0, v1
	s_wait_xcnt 0x0
	s_and_saveexec_b32 s3, s2
; %bb.5:
	v_mov_b32_e32 v2, 0
	ds_store_b32 v2, v2 offset:992
; %bb.6:
	s_or_b32 exec_lo, exec_lo, s3
	s_wait_storecnt_dscnt 0x0
	s_barrier_signal -1
	s_barrier_wait -1
	scratch_load_b128 v[2:5], v1, off scale_offset
	s_wait_loadcnt 0x0
	v_cmp_eq_f64_e32 vcc_lo, 0, v[2:3]
	v_cmp_eq_f64_e64 s3, 0, v[4:5]
	s_and_b32 s3, vcc_lo, s3
	s_delay_alu instid0(SALU_CYCLE_1)
	s_and_saveexec_b32 s44, s3
	s_cbranch_execz .LBB94_10
; %bb.7:
	v_mov_b32_e32 v2, 0
	s_mov_b32 s45, 0
	ds_load_b32 v3, v2 offset:992
	s_wait_dscnt 0x0
	v_readfirstlane_b32 s3, v3
	v_add_nc_u32_e32 v3, 1, v1
	s_cmp_eq_u32 s3, 0
	s_delay_alu instid0(VALU_DEP_1) | instskip(SKIP_1) | instid1(SALU_CYCLE_1)
	v_cmp_gt_i32_e32 vcc_lo, s3, v3
	s_cselect_b32 s46, -1, 0
	s_or_b32 s46, s46, vcc_lo
	s_delay_alu instid0(SALU_CYCLE_1)
	s_and_b32 exec_lo, exec_lo, s46
	s_cbranch_execz .LBB94_10
; %bb.8:
	v_mov_b32_e32 v4, s3
.LBB94_9:                               ; =>This Inner Loop Header: Depth=1
	ds_cmpstore_rtn_b32 v4, v2, v3, v4 offset:992
	s_wait_dscnt 0x0
	v_cmp_ne_u32_e32 vcc_lo, 0, v4
	v_cmp_le_i32_e64 s3, v4, v3
	s_and_b32 s3, vcc_lo, s3
	s_delay_alu instid0(SALU_CYCLE_1) | instskip(NEXT) | instid1(SALU_CYCLE_1)
	s_and_b32 s3, exec_lo, s3
	s_or_b32 s45, s3, s45
	s_delay_alu instid0(SALU_CYCLE_1)
	s_and_not1_b32 exec_lo, exec_lo, s45
	s_cbranch_execnz .LBB94_9
.LBB94_10:
	s_or_b32 exec_lo, exec_lo, s44
	v_mov_b32_e32 v2, 0
	s_barrier_signal -1
	s_barrier_wait -1
	ds_load_b32 v3, v2 offset:992
	s_and_saveexec_b32 s3, s2
	s_cbranch_execz .LBB94_12
; %bb.11:
	s_lshl_b64 s[44:45], s[10:11], 2
	s_delay_alu instid0(SALU_CYCLE_1)
	s_add_nc_u64 s[44:45], s[6:7], s[44:45]
	s_wait_dscnt 0x0
	global_store_b32 v2, v3, s[44:45]
.LBB94_12:
	s_wait_xcnt 0x0
	s_or_b32 exec_lo, exec_lo, s3
	s_wait_dscnt 0x0
	v_cmp_ne_u32_e32 vcc_lo, 0, v3
	s_mov_b32 s3, 0
	s_cbranch_vccnz .LBB94_136
; %bb.13:
	v_lshl_add_u32 v19, v1, 4, 0
                                        ; implicit-def: $vgpr6_vgpr7
                                        ; implicit-def: $vgpr10_vgpr11
	scratch_load_b128 v[2:5], v19, off
	s_wait_loadcnt 0x0
	v_cmp_ngt_f64_e64 s3, |v[2:3]|, |v[4:5]|
	s_wait_xcnt 0x0
	s_and_saveexec_b32 s44, s3
	s_delay_alu instid0(SALU_CYCLE_1)
	s_xor_b32 s3, exec_lo, s44
	s_cbranch_execz .LBB94_15
; %bb.14:
	v_div_scale_f64 v[6:7], null, v[4:5], v[4:5], v[2:3]
	v_div_scale_f64 v[12:13], vcc_lo, v[2:3], v[4:5], v[2:3]
	s_delay_alu instid0(VALU_DEP_2) | instskip(SKIP_1) | instid1(TRANS32_DEP_1)
	v_rcp_f64_e32 v[8:9], v[6:7]
	v_nop
	v_fma_f64 v[10:11], -v[6:7], v[8:9], 1.0
	s_delay_alu instid0(VALU_DEP_1) | instskip(NEXT) | instid1(VALU_DEP_1)
	v_fmac_f64_e32 v[8:9], v[8:9], v[10:11]
	v_fma_f64 v[10:11], -v[6:7], v[8:9], 1.0
	s_delay_alu instid0(VALU_DEP_1) | instskip(NEXT) | instid1(VALU_DEP_1)
	v_fmac_f64_e32 v[8:9], v[8:9], v[10:11]
	v_mul_f64_e32 v[10:11], v[12:13], v[8:9]
	s_delay_alu instid0(VALU_DEP_1) | instskip(NEXT) | instid1(VALU_DEP_1)
	v_fma_f64 v[6:7], -v[6:7], v[10:11], v[12:13]
	v_div_fmas_f64 v[6:7], v[6:7], v[8:9], v[10:11]
	s_delay_alu instid0(VALU_DEP_1) | instskip(NEXT) | instid1(VALU_DEP_1)
	v_div_fixup_f64 v[6:7], v[6:7], v[4:5], v[2:3]
	v_fmac_f64_e32 v[4:5], v[2:3], v[6:7]
	s_delay_alu instid0(VALU_DEP_1) | instskip(SKIP_1) | instid1(VALU_DEP_2)
	v_div_scale_f64 v[2:3], null, v[4:5], v[4:5], 1.0
	v_div_scale_f64 v[12:13], vcc_lo, 1.0, v[4:5], 1.0
	v_rcp_f64_e32 v[8:9], v[2:3]
	v_nop
	s_delay_alu instid0(TRANS32_DEP_1) | instskip(NEXT) | instid1(VALU_DEP_1)
	v_fma_f64 v[10:11], -v[2:3], v[8:9], 1.0
	v_fmac_f64_e32 v[8:9], v[8:9], v[10:11]
	s_delay_alu instid0(VALU_DEP_1) | instskip(NEXT) | instid1(VALU_DEP_1)
	v_fma_f64 v[10:11], -v[2:3], v[8:9], 1.0
	v_fmac_f64_e32 v[8:9], v[8:9], v[10:11]
	s_delay_alu instid0(VALU_DEP_1) | instskip(NEXT) | instid1(VALU_DEP_1)
	v_mul_f64_e32 v[10:11], v[12:13], v[8:9]
	v_fma_f64 v[2:3], -v[2:3], v[10:11], v[12:13]
	s_delay_alu instid0(VALU_DEP_1) | instskip(NEXT) | instid1(VALU_DEP_1)
	v_div_fmas_f64 v[2:3], v[2:3], v[8:9], v[10:11]
	v_div_fixup_f64 v[8:9], v[2:3], v[4:5], 1.0
                                        ; implicit-def: $vgpr2_vgpr3
	s_delay_alu instid0(VALU_DEP_1) | instskip(SKIP_1) | instid1(VALU_DEP_2)
	v_mul_f64_e32 v[6:7], v[6:7], v[8:9]
	v_xor_b32_e32 v9, 0x80000000, v9
	v_xor_b32_e32 v11, 0x80000000, v7
	s_delay_alu instid0(VALU_DEP_3)
	v_mov_b32_e32 v10, v6
.LBB94_15:
	s_and_not1_saveexec_b32 s3, s3
	s_cbranch_execz .LBB94_17
; %bb.16:
	v_div_scale_f64 v[6:7], null, v[2:3], v[2:3], v[4:5]
	v_div_scale_f64 v[12:13], vcc_lo, v[4:5], v[2:3], v[4:5]
	s_delay_alu instid0(VALU_DEP_2) | instskip(SKIP_1) | instid1(TRANS32_DEP_1)
	v_rcp_f64_e32 v[8:9], v[6:7]
	v_nop
	v_fma_f64 v[10:11], -v[6:7], v[8:9], 1.0
	s_delay_alu instid0(VALU_DEP_1) | instskip(NEXT) | instid1(VALU_DEP_1)
	v_fmac_f64_e32 v[8:9], v[8:9], v[10:11]
	v_fma_f64 v[10:11], -v[6:7], v[8:9], 1.0
	s_delay_alu instid0(VALU_DEP_1) | instskip(NEXT) | instid1(VALU_DEP_1)
	v_fmac_f64_e32 v[8:9], v[8:9], v[10:11]
	v_mul_f64_e32 v[10:11], v[12:13], v[8:9]
	s_delay_alu instid0(VALU_DEP_1) | instskip(NEXT) | instid1(VALU_DEP_1)
	v_fma_f64 v[6:7], -v[6:7], v[10:11], v[12:13]
	v_div_fmas_f64 v[6:7], v[6:7], v[8:9], v[10:11]
	s_delay_alu instid0(VALU_DEP_1) | instskip(NEXT) | instid1(VALU_DEP_1)
	v_div_fixup_f64 v[8:9], v[6:7], v[2:3], v[4:5]
	v_fmac_f64_e32 v[2:3], v[4:5], v[8:9]
	s_delay_alu instid0(VALU_DEP_1) | instskip(NEXT) | instid1(VALU_DEP_1)
	v_div_scale_f64 v[4:5], null, v[2:3], v[2:3], 1.0
	v_rcp_f64_e32 v[6:7], v[4:5]
	v_nop
	s_delay_alu instid0(TRANS32_DEP_1) | instskip(NEXT) | instid1(VALU_DEP_1)
	v_fma_f64 v[10:11], -v[4:5], v[6:7], 1.0
	v_fmac_f64_e32 v[6:7], v[6:7], v[10:11]
	s_delay_alu instid0(VALU_DEP_1) | instskip(NEXT) | instid1(VALU_DEP_1)
	v_fma_f64 v[10:11], -v[4:5], v[6:7], 1.0
	v_fmac_f64_e32 v[6:7], v[6:7], v[10:11]
	v_div_scale_f64 v[10:11], vcc_lo, 1.0, v[2:3], 1.0
	s_delay_alu instid0(VALU_DEP_1) | instskip(NEXT) | instid1(VALU_DEP_1)
	v_mul_f64_e32 v[12:13], v[10:11], v[6:7]
	v_fma_f64 v[4:5], -v[4:5], v[12:13], v[10:11]
	s_delay_alu instid0(VALU_DEP_1) | instskip(NEXT) | instid1(VALU_DEP_1)
	v_div_fmas_f64 v[4:5], v[4:5], v[6:7], v[12:13]
	v_div_fixup_f64 v[6:7], v[4:5], v[2:3], 1.0
	s_delay_alu instid0(VALU_DEP_1)
	v_mul_f64_e64 v[8:9], v[8:9], -v[6:7]
	v_xor_b32_e32 v11, 0x80000000, v7
	v_mov_b32_e32 v10, v6
.LBB94_17:
	s_or_b32 exec_lo, exec_lo, s3
	s_clause 0x1
	scratch_store_b128 v19, v[6:9], off
	scratch_load_b128 v[2:5], off, s18
	v_xor_b32_e32 v13, 0x80000000, v9
	v_mov_b32_e32 v12, v8
	s_wait_xcnt 0x1
	v_add_nc_u32_e32 v6, 0x1f0, v76
	ds_store_b128 v76, v[10:13]
	s_wait_loadcnt 0x0
	ds_store_b128 v76, v[2:5] offset:496
	s_wait_storecnt_dscnt 0x0
	s_barrier_signal -1
	s_barrier_wait -1
	s_wait_xcnt 0x0
	s_and_saveexec_b32 s3, s2
	s_cbranch_execz .LBB94_19
; %bb.18:
	scratch_load_b128 v[2:5], v19, off
	ds_load_b128 v[8:11], v6
	v_mov_b32_e32 v7, 0
	ds_load_b128 v[78:81], v7 offset:16
	s_wait_loadcnt_dscnt 0x1
	v_mul_f64_e32 v[12:13], v[8:9], v[4:5]
	v_mul_f64_e32 v[4:5], v[10:11], v[4:5]
	s_delay_alu instid0(VALU_DEP_2) | instskip(NEXT) | instid1(VALU_DEP_2)
	v_fmac_f64_e32 v[12:13], v[10:11], v[2:3]
	v_fma_f64 v[2:3], v[8:9], v[2:3], -v[4:5]
	s_delay_alu instid0(VALU_DEP_2) | instskip(NEXT) | instid1(VALU_DEP_2)
	v_add_f64_e32 v[8:9], 0, v[12:13]
	v_add_f64_e32 v[2:3], 0, v[2:3]
	s_wait_dscnt 0x0
	s_delay_alu instid0(VALU_DEP_2) | instskip(NEXT) | instid1(VALU_DEP_2)
	v_mul_f64_e32 v[10:11], v[8:9], v[80:81]
	v_mul_f64_e32 v[4:5], v[2:3], v[80:81]
	s_delay_alu instid0(VALU_DEP_2) | instskip(NEXT) | instid1(VALU_DEP_2)
	v_fma_f64 v[2:3], v[2:3], v[78:79], -v[10:11]
	v_fmac_f64_e32 v[4:5], v[8:9], v[78:79]
	scratch_store_b128 off, v[2:5], off offset:16
.LBB94_19:
	s_wait_xcnt 0x0
	s_or_b32 exec_lo, exec_lo, s3
	s_wait_storecnt 0x0
	s_barrier_signal -1
	s_barrier_wait -1
	scratch_load_b128 v[2:5], off, s16
	s_mov_b32 s3, exec_lo
	s_wait_loadcnt 0x0
	ds_store_b128 v6, v[2:5]
	s_wait_dscnt 0x0
	s_barrier_signal -1
	s_barrier_wait -1
	v_cmpx_gt_u32_e32 2, v1
	s_cbranch_execz .LBB94_23
; %bb.20:
	scratch_load_b128 v[2:5], v19, off
	ds_load_b128 v[8:11], v6
	s_wait_loadcnt_dscnt 0x0
	v_mul_f64_e32 v[12:13], v[10:11], v[4:5]
	v_mul_f64_e32 v[78:79], v[8:9], v[4:5]
	s_delay_alu instid0(VALU_DEP_2) | instskip(NEXT) | instid1(VALU_DEP_2)
	v_fma_f64 v[4:5], v[8:9], v[2:3], -v[12:13]
	v_fmac_f64_e32 v[78:79], v[10:11], v[2:3]
	s_delay_alu instid0(VALU_DEP_2) | instskip(NEXT) | instid1(VALU_DEP_2)
	v_add_f64_e32 v[4:5], 0, v[4:5]
	v_add_f64_e32 v[2:3], 0, v[78:79]
	s_and_saveexec_b32 s44, s2
	s_cbranch_execz .LBB94_22
; %bb.21:
	scratch_load_b128 v[8:11], off, off offset:16
	v_mov_b32_e32 v7, 0
	ds_load_b128 v[78:81], v7 offset:512
	s_wait_loadcnt_dscnt 0x0
	v_mul_f64_e32 v[12:13], v[78:79], v[10:11]
	v_mul_f64_e32 v[10:11], v[80:81], v[10:11]
	s_delay_alu instid0(VALU_DEP_2) | instskip(NEXT) | instid1(VALU_DEP_2)
	v_fmac_f64_e32 v[12:13], v[80:81], v[8:9]
	v_fma_f64 v[8:9], v[78:79], v[8:9], -v[10:11]
	s_delay_alu instid0(VALU_DEP_2) | instskip(NEXT) | instid1(VALU_DEP_2)
	v_add_f64_e32 v[2:3], v[2:3], v[12:13]
	v_add_f64_e32 v[4:5], v[4:5], v[8:9]
.LBB94_22:
	s_or_b32 exec_lo, exec_lo, s44
	v_mov_b32_e32 v7, 0
	ds_load_b128 v[8:11], v7 offset:32
	s_wait_dscnt 0x0
	v_mul_f64_e32 v[78:79], v[2:3], v[10:11]
	v_mul_f64_e32 v[12:13], v[4:5], v[10:11]
	s_delay_alu instid0(VALU_DEP_2) | instskip(NEXT) | instid1(VALU_DEP_2)
	v_fma_f64 v[10:11], v[4:5], v[8:9], -v[78:79]
	v_fmac_f64_e32 v[12:13], v[2:3], v[8:9]
	scratch_store_b128 off, v[10:13], off offset:32
.LBB94_23:
	s_wait_xcnt 0x0
	s_or_b32 exec_lo, exec_lo, s3
	s_wait_storecnt 0x0
	s_barrier_signal -1
	s_barrier_wait -1
	scratch_load_b128 v[2:5], off, s14
	v_add_nc_u32_e32 v7, -1, v1
	s_mov_b32 s2, exec_lo
	s_wait_loadcnt 0x0
	ds_store_b128 v6, v[2:5]
	s_wait_dscnt 0x0
	s_barrier_signal -1
	s_barrier_wait -1
	v_cmpx_gt_u32_e32 3, v1
	s_cbranch_execz .LBB94_27
; %bb.24:
	v_dual_mov_b32 v10, v76 :: v_dual_add_nc_u32 v8, -1, v1
	v_mov_b64_e32 v[2:3], 0
	v_mov_b64_e32 v[4:5], 0
	v_add_nc_u32_e32 v9, 0x1f0, v76
	s_delay_alu instid0(VALU_DEP_4)
	v_or_b32_e32 v10, 8, v10
	s_mov_b32 s3, 0
.LBB94_25:                              ; =>This Inner Loop Header: Depth=1
	scratch_load_b128 v[78:81], v10, off offset:-8
	ds_load_b128 v[82:85], v9
	s_wait_xcnt 0x0
	v_dual_add_nc_u32 v9, 16, v9 :: v_dual_add_nc_u32 v10, 16, v10
	v_add_nc_u32_e32 v8, 1, v8
	s_delay_alu instid0(VALU_DEP_1) | instskip(SKIP_4) | instid1(VALU_DEP_2)
	v_cmp_lt_u32_e32 vcc_lo, 1, v8
	s_or_b32 s3, vcc_lo, s3
	s_wait_loadcnt_dscnt 0x0
	v_mul_f64_e32 v[12:13], v[84:85], v[80:81]
	v_mul_f64_e32 v[80:81], v[82:83], v[80:81]
	v_fma_f64 v[12:13], v[82:83], v[78:79], -v[12:13]
	s_delay_alu instid0(VALU_DEP_2) | instskip(NEXT) | instid1(VALU_DEP_2)
	v_fmac_f64_e32 v[80:81], v[84:85], v[78:79]
	v_add_f64_e32 v[4:5], v[4:5], v[12:13]
	s_delay_alu instid0(VALU_DEP_2)
	v_add_f64_e32 v[2:3], v[2:3], v[80:81]
	s_and_not1_b32 exec_lo, exec_lo, s3
	s_cbranch_execnz .LBB94_25
; %bb.26:
	s_or_b32 exec_lo, exec_lo, s3
	v_mov_b32_e32 v8, 0
	ds_load_b128 v[8:11], v8 offset:48
	s_wait_dscnt 0x0
	v_mul_f64_e32 v[78:79], v[2:3], v[10:11]
	v_mul_f64_e32 v[12:13], v[4:5], v[10:11]
	s_delay_alu instid0(VALU_DEP_2) | instskip(NEXT) | instid1(VALU_DEP_2)
	v_fma_f64 v[10:11], v[4:5], v[8:9], -v[78:79]
	v_fmac_f64_e32 v[12:13], v[2:3], v[8:9]
	scratch_store_b128 off, v[10:13], off offset:48
.LBB94_27:
	s_wait_xcnt 0x0
	s_or_b32 exec_lo, exec_lo, s2
	s_wait_storecnt 0x0
	s_barrier_signal -1
	s_barrier_wait -1
	scratch_load_b128 v[2:5], off, s12
	s_mov_b32 s2, exec_lo
	s_wait_loadcnt 0x0
	ds_store_b128 v6, v[2:5]
	s_wait_dscnt 0x0
	s_barrier_signal -1
	s_barrier_wait -1
	v_cmpx_gt_u32_e32 4, v1
	s_cbranch_execz .LBB94_31
; %bb.28:
	v_dual_mov_b32 v10, v76 :: v_dual_add_nc_u32 v8, -1, v1
	v_mov_b64_e32 v[2:3], 0
	v_mov_b64_e32 v[4:5], 0
	v_add_nc_u32_e32 v9, 0x1f0, v76
	s_delay_alu instid0(VALU_DEP_4)
	v_or_b32_e32 v10, 8, v10
	s_mov_b32 s3, 0
.LBB94_29:                              ; =>This Inner Loop Header: Depth=1
	scratch_load_b128 v[78:81], v10, off offset:-8
	ds_load_b128 v[82:85], v9
	s_wait_xcnt 0x0
	v_dual_add_nc_u32 v9, 16, v9 :: v_dual_add_nc_u32 v10, 16, v10
	v_add_nc_u32_e32 v8, 1, v8
	s_delay_alu instid0(VALU_DEP_1) | instskip(SKIP_4) | instid1(VALU_DEP_2)
	v_cmp_lt_u32_e32 vcc_lo, 2, v8
	s_or_b32 s3, vcc_lo, s3
	s_wait_loadcnt_dscnt 0x0
	v_mul_f64_e32 v[12:13], v[84:85], v[80:81]
	v_mul_f64_e32 v[80:81], v[82:83], v[80:81]
	v_fma_f64 v[12:13], v[82:83], v[78:79], -v[12:13]
	s_delay_alu instid0(VALU_DEP_2) | instskip(NEXT) | instid1(VALU_DEP_2)
	v_fmac_f64_e32 v[80:81], v[84:85], v[78:79]
	v_add_f64_e32 v[4:5], v[4:5], v[12:13]
	s_delay_alu instid0(VALU_DEP_2)
	v_add_f64_e32 v[2:3], v[2:3], v[80:81]
	s_and_not1_b32 exec_lo, exec_lo, s3
	s_cbranch_execnz .LBB94_29
; %bb.30:
	s_or_b32 exec_lo, exec_lo, s3
	v_mov_b32_e32 v8, 0
	ds_load_b128 v[8:11], v8 offset:64
	s_wait_dscnt 0x0
	v_mul_f64_e32 v[78:79], v[2:3], v[10:11]
	v_mul_f64_e32 v[12:13], v[4:5], v[10:11]
	s_delay_alu instid0(VALU_DEP_2) | instskip(NEXT) | instid1(VALU_DEP_2)
	v_fma_f64 v[10:11], v[4:5], v[8:9], -v[78:79]
	v_fmac_f64_e32 v[12:13], v[2:3], v[8:9]
	scratch_store_b128 off, v[10:13], off offset:64
.LBB94_31:
	s_wait_xcnt 0x0
	s_or_b32 exec_lo, exec_lo, s2
	s_wait_storecnt 0x0
	s_barrier_signal -1
	s_barrier_wait -1
	scratch_load_b128 v[2:5], off, s42
	;; [unrolled: 54-line block ×19, first 2 shown]
	s_mov_b32 s2, exec_lo
	s_wait_loadcnt 0x0
	ds_store_b128 v6, v[2:5]
	s_wait_dscnt 0x0
	s_barrier_signal -1
	s_barrier_wait -1
	v_cmpx_gt_u32_e32 22, v1
	s_cbranch_execz .LBB94_103
; %bb.100:
	v_dual_mov_b32 v10, v76 :: v_dual_add_nc_u32 v8, -1, v1
	v_mov_b64_e32 v[2:3], 0
	v_mov_b64_e32 v[4:5], 0
	v_add_nc_u32_e32 v9, 0x1f0, v76
	s_delay_alu instid0(VALU_DEP_4)
	v_or_b32_e32 v10, 8, v10
	s_mov_b32 s3, 0
.LBB94_101:                             ; =>This Inner Loop Header: Depth=1
	scratch_load_b128 v[78:81], v10, off offset:-8
	ds_load_b128 v[82:85], v9
	s_wait_xcnt 0x0
	v_dual_add_nc_u32 v9, 16, v9 :: v_dual_add_nc_u32 v10, 16, v10
	v_add_nc_u32_e32 v8, 1, v8
	s_delay_alu instid0(VALU_DEP_1) | instskip(SKIP_4) | instid1(VALU_DEP_2)
	v_cmp_lt_u32_e32 vcc_lo, 20, v8
	s_or_b32 s3, vcc_lo, s3
	s_wait_loadcnt_dscnt 0x0
	v_mul_f64_e32 v[12:13], v[84:85], v[80:81]
	v_mul_f64_e32 v[80:81], v[82:83], v[80:81]
	v_fma_f64 v[12:13], v[82:83], v[78:79], -v[12:13]
	s_delay_alu instid0(VALU_DEP_2) | instskip(NEXT) | instid1(VALU_DEP_2)
	v_fmac_f64_e32 v[80:81], v[84:85], v[78:79]
	v_add_f64_e32 v[4:5], v[4:5], v[12:13]
	s_delay_alu instid0(VALU_DEP_2)
	v_add_f64_e32 v[2:3], v[2:3], v[80:81]
	s_and_not1_b32 exec_lo, exec_lo, s3
	s_cbranch_execnz .LBB94_101
; %bb.102:
	s_or_b32 exec_lo, exec_lo, s3
	v_mov_b32_e32 v8, 0
	ds_load_b128 v[8:11], v8 offset:352
	s_wait_dscnt 0x0
	v_mul_f64_e32 v[78:79], v[2:3], v[10:11]
	v_mul_f64_e32 v[12:13], v[4:5], v[10:11]
	s_delay_alu instid0(VALU_DEP_2) | instskip(NEXT) | instid1(VALU_DEP_2)
	v_fma_f64 v[10:11], v[4:5], v[8:9], -v[78:79]
	v_fmac_f64_e32 v[12:13], v[2:3], v[8:9]
	scratch_store_b128 off, v[10:13], off offset:352
.LBB94_103:
	s_wait_xcnt 0x0
	s_or_b32 exec_lo, exec_lo, s2
	s_wait_storecnt 0x0
	s_barrier_signal -1
	s_barrier_wait -1
	scratch_load_b128 v[2:5], off, s23
	s_mov_b32 s2, exec_lo
	s_wait_loadcnt 0x0
	ds_store_b128 v6, v[2:5]
	s_wait_dscnt 0x0
	s_barrier_signal -1
	s_barrier_wait -1
	v_cmpx_gt_u32_e32 23, v1
	s_cbranch_execz .LBB94_107
; %bb.104:
	v_dual_mov_b32 v10, v76 :: v_dual_add_nc_u32 v8, -1, v1
	v_mov_b64_e32 v[2:3], 0
	v_mov_b64_e32 v[4:5], 0
	v_add_nc_u32_e32 v9, 0x1f0, v76
	s_delay_alu instid0(VALU_DEP_4)
	v_or_b32_e32 v10, 8, v10
	s_mov_b32 s3, 0
.LBB94_105:                             ; =>This Inner Loop Header: Depth=1
	scratch_load_b128 v[78:81], v10, off offset:-8
	ds_load_b128 v[82:85], v9
	s_wait_xcnt 0x0
	v_dual_add_nc_u32 v9, 16, v9 :: v_dual_add_nc_u32 v10, 16, v10
	v_add_nc_u32_e32 v8, 1, v8
	s_delay_alu instid0(VALU_DEP_1) | instskip(SKIP_4) | instid1(VALU_DEP_2)
	v_cmp_lt_u32_e32 vcc_lo, 21, v8
	s_or_b32 s3, vcc_lo, s3
	s_wait_loadcnt_dscnt 0x0
	v_mul_f64_e32 v[12:13], v[84:85], v[80:81]
	v_mul_f64_e32 v[80:81], v[82:83], v[80:81]
	v_fma_f64 v[12:13], v[82:83], v[78:79], -v[12:13]
	s_delay_alu instid0(VALU_DEP_2) | instskip(NEXT) | instid1(VALU_DEP_2)
	v_fmac_f64_e32 v[80:81], v[84:85], v[78:79]
	v_add_f64_e32 v[4:5], v[4:5], v[12:13]
	s_delay_alu instid0(VALU_DEP_2)
	v_add_f64_e32 v[2:3], v[2:3], v[80:81]
	s_and_not1_b32 exec_lo, exec_lo, s3
	s_cbranch_execnz .LBB94_105
; %bb.106:
	s_or_b32 exec_lo, exec_lo, s3
	v_mov_b32_e32 v8, 0
	ds_load_b128 v[8:11], v8 offset:368
	s_wait_dscnt 0x0
	v_mul_f64_e32 v[78:79], v[2:3], v[10:11]
	v_mul_f64_e32 v[12:13], v[4:5], v[10:11]
	s_delay_alu instid0(VALU_DEP_2) | instskip(NEXT) | instid1(VALU_DEP_2)
	v_fma_f64 v[10:11], v[4:5], v[8:9], -v[78:79]
	v_fmac_f64_e32 v[12:13], v[2:3], v[8:9]
	scratch_store_b128 off, v[10:13], off offset:368
.LBB94_107:
	s_wait_xcnt 0x0
	s_or_b32 exec_lo, exec_lo, s2
	s_wait_storecnt 0x0
	s_barrier_signal -1
	s_barrier_wait -1
	scratch_load_b128 v[2:5], off, s22
	;; [unrolled: 54-line block ×8, first 2 shown]
	s_mov_b32 s2, exec_lo
	s_wait_loadcnt 0x0
	ds_store_b128 v6, v[2:5]
	s_wait_dscnt 0x0
	s_barrier_signal -1
	s_barrier_wait -1
	v_cmpx_ne_u32_e32 30, v1
	s_cbranch_execz .LBB94_135
; %bb.132:
	v_mov_b32_e32 v8, v76
	v_mov_b64_e32 v[2:3], 0
	v_mov_b64_e32 v[4:5], 0
	s_mov_b32 s3, 0
	s_delay_alu instid0(VALU_DEP_3)
	v_or_b32_e32 v8, 8, v8
.LBB94_133:                             ; =>This Inner Loop Header: Depth=1
	scratch_load_b128 v[10:13], v8, off offset:-8
	ds_load_b128 v[76:79], v6
	v_dual_add_nc_u32 v7, 1, v7 :: v_dual_add_nc_u32 v6, 16, v6
	s_wait_xcnt 0x0
	v_add_nc_u32_e32 v8, 16, v8
	s_delay_alu instid0(VALU_DEP_2) | instskip(SKIP_4) | instid1(VALU_DEP_2)
	v_cmp_lt_u32_e32 vcc_lo, 28, v7
	s_or_b32 s3, vcc_lo, s3
	s_wait_loadcnt_dscnt 0x0
	v_mul_f64_e32 v[80:81], v[78:79], v[12:13]
	v_mul_f64_e32 v[12:13], v[76:77], v[12:13]
	v_fma_f64 v[76:77], v[76:77], v[10:11], -v[80:81]
	s_delay_alu instid0(VALU_DEP_2) | instskip(NEXT) | instid1(VALU_DEP_2)
	v_fmac_f64_e32 v[12:13], v[78:79], v[10:11]
	v_add_f64_e32 v[4:5], v[4:5], v[76:77]
	s_delay_alu instid0(VALU_DEP_2)
	v_add_f64_e32 v[2:3], v[2:3], v[12:13]
	s_and_not1_b32 exec_lo, exec_lo, s3
	s_cbranch_execnz .LBB94_133
; %bb.134:
	s_or_b32 exec_lo, exec_lo, s3
	v_mov_b32_e32 v6, 0
	ds_load_b128 v[6:9], v6 offset:480
	s_wait_dscnt 0x0
	v_mul_f64_e32 v[12:13], v[2:3], v[8:9]
	v_mul_f64_e32 v[10:11], v[4:5], v[8:9]
	s_delay_alu instid0(VALU_DEP_2) | instskip(NEXT) | instid1(VALU_DEP_2)
	v_fma_f64 v[8:9], v[4:5], v[6:7], -v[12:13]
	v_fmac_f64_e32 v[10:11], v[2:3], v[6:7]
	scratch_store_b128 off, v[8:11], off offset:480
.LBB94_135:
	s_wait_xcnt 0x0
	s_or_b32 exec_lo, exec_lo, s2
	s_mov_b32 s3, -1
	s_wait_storecnt 0x0
	s_barrier_signal -1
	s_barrier_wait -1
.LBB94_136:
	s_and_b32 vcc_lo, exec_lo, s3
	s_cbranch_vccz .LBB94_138
; %bb.137:
	s_wait_xcnt 0x0
	v_mov_b32_e32 v2, 0
	s_lshl_b64 s[2:3], s[10:11], 2
	s_delay_alu instid0(SALU_CYCLE_1)
	s_add_nc_u64 s[2:3], s[6:7], s[2:3]
	global_load_b32 v2, v2, s[2:3]
	s_wait_loadcnt 0x0
	v_cmp_ne_u32_e32 vcc_lo, 0, v2
	s_cbranch_vccz .LBB94_139
.LBB94_138:
	s_sendmsg sendmsg(MSG_DEALLOC_VGPRS)
	s_endpgm
.LBB94_139:
	v_lshl_add_u32 v6, v1, 4, 0x1f0
	s_wait_xcnt 0x0
	s_mov_b32 s2, exec_lo
	v_cmpx_eq_u32_e32 30, v1
	s_cbranch_execz .LBB94_141
; %bb.140:
	scratch_load_b128 v[2:5], off, s15
	v_mov_b32_e32 v8, 0
	s_delay_alu instid0(VALU_DEP_1)
	v_dual_mov_b32 v9, v8 :: v_dual_mov_b32 v10, v8
	v_mov_b32_e32 v11, v8
	scratch_store_b128 off, v[8:11], off offset:464
	s_wait_loadcnt 0x0
	ds_store_b128 v6, v[2:5]
.LBB94_141:
	s_wait_xcnt 0x0
	s_or_b32 exec_lo, exec_lo, s2
	s_wait_storecnt_dscnt 0x0
	s_barrier_signal -1
	s_barrier_wait -1
	s_clause 0x1
	scratch_load_b128 v[8:11], off, off offset:480
	scratch_load_b128 v[76:79], off, off offset:464
	v_mov_b32_e32 v2, 0
	s_mov_b32 s2, exec_lo
	ds_load_b128 v[80:83], v2 offset:976
	s_wait_loadcnt_dscnt 0x100
	v_mul_f64_e32 v[4:5], v[82:83], v[10:11]
	v_mul_f64_e32 v[10:11], v[80:81], v[10:11]
	s_delay_alu instid0(VALU_DEP_2) | instskip(NEXT) | instid1(VALU_DEP_2)
	v_fma_f64 v[4:5], v[80:81], v[8:9], -v[4:5]
	v_fmac_f64_e32 v[10:11], v[82:83], v[8:9]
	s_delay_alu instid0(VALU_DEP_2) | instskip(NEXT) | instid1(VALU_DEP_2)
	v_add_f64_e32 v[4:5], 0, v[4:5]
	v_add_f64_e32 v[10:11], 0, v[10:11]
	s_wait_loadcnt 0x0
	s_delay_alu instid0(VALU_DEP_2) | instskip(NEXT) | instid1(VALU_DEP_2)
	v_add_f64_e64 v[8:9], v[76:77], -v[4:5]
	v_add_f64_e64 v[10:11], v[78:79], -v[10:11]
	scratch_store_b128 off, v[8:11], off offset:464
	s_wait_xcnt 0x0
	v_cmpx_lt_u32_e32 28, v1
	s_cbranch_execz .LBB94_143
; %bb.142:
	scratch_load_b128 v[8:11], off, s17
	v_dual_mov_b32 v3, v2 :: v_dual_mov_b32 v4, v2
	v_mov_b32_e32 v5, v2
	scratch_store_b128 off, v[2:5], off offset:448
	s_wait_loadcnt 0x0
	ds_store_b128 v6, v[8:11]
.LBB94_143:
	s_wait_xcnt 0x0
	s_or_b32 exec_lo, exec_lo, s2
	s_wait_storecnt_dscnt 0x0
	s_barrier_signal -1
	s_barrier_wait -1
	s_clause 0x2
	scratch_load_b128 v[8:11], off, off offset:464
	scratch_load_b128 v[76:79], off, off offset:480
	;; [unrolled: 1-line block ×3, first 2 shown]
	ds_load_b128 v[84:87], v2 offset:960
	ds_load_b128 v[2:5], v2 offset:976
	s_mov_b32 s2, exec_lo
	s_wait_loadcnt_dscnt 0x201
	v_mul_f64_e32 v[12:13], v[86:87], v[10:11]
	v_mul_f64_e32 v[10:11], v[84:85], v[10:11]
	s_wait_loadcnt_dscnt 0x100
	v_mul_f64_e32 v[88:89], v[2:3], v[78:79]
	v_mul_f64_e32 v[78:79], v[4:5], v[78:79]
	s_delay_alu instid0(VALU_DEP_4) | instskip(NEXT) | instid1(VALU_DEP_4)
	v_fma_f64 v[12:13], v[84:85], v[8:9], -v[12:13]
	v_fmac_f64_e32 v[10:11], v[86:87], v[8:9]
	s_delay_alu instid0(VALU_DEP_4) | instskip(NEXT) | instid1(VALU_DEP_4)
	v_fmac_f64_e32 v[88:89], v[4:5], v[76:77]
	v_fma_f64 v[2:3], v[2:3], v[76:77], -v[78:79]
	s_delay_alu instid0(VALU_DEP_4) | instskip(NEXT) | instid1(VALU_DEP_4)
	v_add_f64_e32 v[4:5], 0, v[12:13]
	v_add_f64_e32 v[8:9], 0, v[10:11]
	s_delay_alu instid0(VALU_DEP_2) | instskip(NEXT) | instid1(VALU_DEP_2)
	v_add_f64_e32 v[2:3], v[4:5], v[2:3]
	v_add_f64_e32 v[4:5], v[8:9], v[88:89]
	s_wait_loadcnt 0x0
	s_delay_alu instid0(VALU_DEP_2) | instskip(NEXT) | instid1(VALU_DEP_2)
	v_add_f64_e64 v[2:3], v[80:81], -v[2:3]
	v_add_f64_e64 v[4:5], v[82:83], -v[4:5]
	scratch_store_b128 off, v[2:5], off offset:448
	s_wait_xcnt 0x0
	v_cmpx_lt_u32_e32 27, v1
	s_cbranch_execz .LBB94_145
; %bb.144:
	scratch_load_b128 v[2:5], off, s19
	v_mov_b32_e32 v8, 0
	s_delay_alu instid0(VALU_DEP_1)
	v_dual_mov_b32 v9, v8 :: v_dual_mov_b32 v10, v8
	v_mov_b32_e32 v11, v8
	scratch_store_b128 off, v[8:11], off offset:432
	s_wait_loadcnt 0x0
	ds_store_b128 v6, v[2:5]
.LBB94_145:
	s_wait_xcnt 0x0
	s_or_b32 exec_lo, exec_lo, s2
	s_wait_storecnt_dscnt 0x0
	s_barrier_signal -1
	s_barrier_wait -1
	s_clause 0x3
	scratch_load_b128 v[8:11], off, off offset:448
	scratch_load_b128 v[76:79], off, off offset:464
	;; [unrolled: 1-line block ×4, first 2 shown]
	v_mov_b32_e32 v2, 0
	ds_load_b128 v[88:91], v2 offset:944
	ds_load_b128 v[92:95], v2 offset:960
	s_mov_b32 s2, exec_lo
	s_wait_loadcnt_dscnt 0x301
	v_mul_f64_e32 v[4:5], v[90:91], v[10:11]
	v_mul_f64_e32 v[12:13], v[88:89], v[10:11]
	s_wait_loadcnt_dscnt 0x200
	v_mul_f64_e32 v[96:97], v[92:93], v[78:79]
	v_mul_f64_e32 v[78:79], v[94:95], v[78:79]
	s_delay_alu instid0(VALU_DEP_4) | instskip(NEXT) | instid1(VALU_DEP_4)
	v_fma_f64 v[4:5], v[88:89], v[8:9], -v[4:5]
	v_fmac_f64_e32 v[12:13], v[90:91], v[8:9]
	ds_load_b128 v[8:11], v2 offset:976
	v_fmac_f64_e32 v[96:97], v[94:95], v[76:77]
	v_fma_f64 v[76:77], v[92:93], v[76:77], -v[78:79]
	s_wait_loadcnt_dscnt 0x100
	v_mul_f64_e32 v[88:89], v[8:9], v[82:83]
	v_mul_f64_e32 v[82:83], v[10:11], v[82:83]
	v_add_f64_e32 v[4:5], 0, v[4:5]
	v_add_f64_e32 v[12:13], 0, v[12:13]
	s_delay_alu instid0(VALU_DEP_4) | instskip(NEXT) | instid1(VALU_DEP_4)
	v_fmac_f64_e32 v[88:89], v[10:11], v[80:81]
	v_fma_f64 v[8:9], v[8:9], v[80:81], -v[82:83]
	s_delay_alu instid0(VALU_DEP_4) | instskip(NEXT) | instid1(VALU_DEP_4)
	v_add_f64_e32 v[4:5], v[4:5], v[76:77]
	v_add_f64_e32 v[10:11], v[12:13], v[96:97]
	s_delay_alu instid0(VALU_DEP_2) | instskip(NEXT) | instid1(VALU_DEP_2)
	v_add_f64_e32 v[4:5], v[4:5], v[8:9]
	v_add_f64_e32 v[10:11], v[10:11], v[88:89]
	s_wait_loadcnt 0x0
	s_delay_alu instid0(VALU_DEP_2) | instskip(NEXT) | instid1(VALU_DEP_2)
	v_add_f64_e64 v[8:9], v[84:85], -v[4:5]
	v_add_f64_e64 v[10:11], v[86:87], -v[10:11]
	scratch_store_b128 off, v[8:11], off offset:432
	s_wait_xcnt 0x0
	v_cmpx_lt_u32_e32 26, v1
	s_cbranch_execz .LBB94_147
; %bb.146:
	scratch_load_b128 v[8:11], off, s20
	v_dual_mov_b32 v3, v2 :: v_dual_mov_b32 v4, v2
	v_mov_b32_e32 v5, v2
	scratch_store_b128 off, v[2:5], off offset:416
	s_wait_loadcnt 0x0
	ds_store_b128 v6, v[8:11]
.LBB94_147:
	s_wait_xcnt 0x0
	s_or_b32 exec_lo, exec_lo, s2
	s_wait_storecnt_dscnt 0x0
	s_barrier_signal -1
	s_barrier_wait -1
	s_clause 0x4
	scratch_load_b128 v[8:11], off, off offset:432
	scratch_load_b128 v[76:79], off, off offset:448
	;; [unrolled: 1-line block ×5, first 2 shown]
	ds_load_b128 v[92:95], v2 offset:928
	ds_load_b128 v[96:99], v2 offset:944
	s_mov_b32 s2, exec_lo
	s_wait_loadcnt_dscnt 0x401
	v_mul_f64_e32 v[4:5], v[94:95], v[10:11]
	v_mul_f64_e32 v[12:13], v[92:93], v[10:11]
	s_wait_loadcnt_dscnt 0x300
	v_mul_f64_e32 v[100:101], v[96:97], v[78:79]
	v_mul_f64_e32 v[78:79], v[98:99], v[78:79]
	s_delay_alu instid0(VALU_DEP_4) | instskip(NEXT) | instid1(VALU_DEP_4)
	v_fma_f64 v[92:93], v[92:93], v[8:9], -v[4:5]
	v_fmac_f64_e32 v[12:13], v[94:95], v[8:9]
	ds_load_b128 v[8:11], v2 offset:960
	ds_load_b128 v[2:5], v2 offset:976
	v_fmac_f64_e32 v[100:101], v[98:99], v[76:77]
	v_fma_f64 v[76:77], v[96:97], v[76:77], -v[78:79]
	s_wait_loadcnt_dscnt 0x201
	v_mul_f64_e32 v[94:95], v[8:9], v[82:83]
	v_mul_f64_e32 v[82:83], v[10:11], v[82:83]
	v_add_f64_e32 v[78:79], 0, v[92:93]
	v_add_f64_e32 v[12:13], 0, v[12:13]
	s_wait_loadcnt_dscnt 0x100
	v_mul_f64_e32 v[92:93], v[2:3], v[86:87]
	v_mul_f64_e32 v[86:87], v[4:5], v[86:87]
	v_fmac_f64_e32 v[94:95], v[10:11], v[80:81]
	v_fma_f64 v[8:9], v[8:9], v[80:81], -v[82:83]
	v_add_f64_e32 v[10:11], v[78:79], v[76:77]
	v_add_f64_e32 v[12:13], v[12:13], v[100:101]
	v_fmac_f64_e32 v[92:93], v[4:5], v[84:85]
	v_fma_f64 v[2:3], v[2:3], v[84:85], -v[86:87]
	s_delay_alu instid0(VALU_DEP_4) | instskip(NEXT) | instid1(VALU_DEP_4)
	v_add_f64_e32 v[4:5], v[10:11], v[8:9]
	v_add_f64_e32 v[8:9], v[12:13], v[94:95]
	s_delay_alu instid0(VALU_DEP_2) | instskip(NEXT) | instid1(VALU_DEP_2)
	v_add_f64_e32 v[2:3], v[4:5], v[2:3]
	v_add_f64_e32 v[4:5], v[8:9], v[92:93]
	s_wait_loadcnt 0x0
	s_delay_alu instid0(VALU_DEP_2) | instskip(NEXT) | instid1(VALU_DEP_2)
	v_add_f64_e64 v[2:3], v[88:89], -v[2:3]
	v_add_f64_e64 v[4:5], v[90:91], -v[4:5]
	scratch_store_b128 off, v[2:5], off offset:416
	s_wait_xcnt 0x0
	v_cmpx_lt_u32_e32 25, v1
	s_cbranch_execz .LBB94_149
; %bb.148:
	scratch_load_b128 v[2:5], off, s21
	v_mov_b32_e32 v8, 0
	s_delay_alu instid0(VALU_DEP_1)
	v_dual_mov_b32 v9, v8 :: v_dual_mov_b32 v10, v8
	v_mov_b32_e32 v11, v8
	scratch_store_b128 off, v[8:11], off offset:400
	s_wait_loadcnt 0x0
	ds_store_b128 v6, v[2:5]
.LBB94_149:
	s_wait_xcnt 0x0
	s_or_b32 exec_lo, exec_lo, s2
	s_wait_storecnt_dscnt 0x0
	s_barrier_signal -1
	s_barrier_wait -1
	s_clause 0x5
	scratch_load_b128 v[8:11], off, off offset:416
	scratch_load_b128 v[76:79], off, off offset:432
	;; [unrolled: 1-line block ×6, first 2 shown]
	v_mov_b32_e32 v2, 0
	ds_load_b128 v[96:99], v2 offset:912
	ds_load_b128 v[100:103], v2 offset:928
	s_mov_b32 s2, exec_lo
	s_wait_loadcnt_dscnt 0x501
	v_mul_f64_e32 v[4:5], v[98:99], v[10:11]
	v_mul_f64_e32 v[12:13], v[96:97], v[10:11]
	s_wait_loadcnt_dscnt 0x400
	v_mul_f64_e32 v[104:105], v[100:101], v[78:79]
	v_mul_f64_e32 v[78:79], v[102:103], v[78:79]
	s_delay_alu instid0(VALU_DEP_4) | instskip(NEXT) | instid1(VALU_DEP_4)
	v_fma_f64 v[4:5], v[96:97], v[8:9], -v[4:5]
	v_fmac_f64_e32 v[12:13], v[98:99], v[8:9]
	ds_load_b128 v[8:11], v2 offset:944
	ds_load_b128 v[96:99], v2 offset:960
	v_fmac_f64_e32 v[104:105], v[102:103], v[76:77]
	v_fma_f64 v[76:77], v[100:101], v[76:77], -v[78:79]
	s_wait_loadcnt_dscnt 0x301
	v_mul_f64_e32 v[106:107], v[8:9], v[82:83]
	v_mul_f64_e32 v[82:83], v[10:11], v[82:83]
	s_wait_loadcnt_dscnt 0x200
	v_mul_f64_e32 v[78:79], v[96:97], v[86:87]
	v_mul_f64_e32 v[86:87], v[98:99], v[86:87]
	v_add_f64_e32 v[4:5], 0, v[4:5]
	v_add_f64_e32 v[12:13], 0, v[12:13]
	v_fmac_f64_e32 v[106:107], v[10:11], v[80:81]
	v_fma_f64 v[80:81], v[8:9], v[80:81], -v[82:83]
	ds_load_b128 v[8:11], v2 offset:976
	v_fmac_f64_e32 v[78:79], v[98:99], v[84:85]
	v_fma_f64 v[84:85], v[96:97], v[84:85], -v[86:87]
	v_add_f64_e32 v[4:5], v[4:5], v[76:77]
	v_add_f64_e32 v[12:13], v[12:13], v[104:105]
	s_wait_loadcnt_dscnt 0x100
	v_mul_f64_e32 v[76:77], v[8:9], v[90:91]
	v_mul_f64_e32 v[82:83], v[10:11], v[90:91]
	s_delay_alu instid0(VALU_DEP_4) | instskip(NEXT) | instid1(VALU_DEP_4)
	v_add_f64_e32 v[4:5], v[4:5], v[80:81]
	v_add_f64_e32 v[12:13], v[12:13], v[106:107]
	s_delay_alu instid0(VALU_DEP_4) | instskip(NEXT) | instid1(VALU_DEP_4)
	v_fmac_f64_e32 v[76:77], v[10:11], v[88:89]
	v_fma_f64 v[8:9], v[8:9], v[88:89], -v[82:83]
	s_delay_alu instid0(VALU_DEP_4) | instskip(NEXT) | instid1(VALU_DEP_4)
	v_add_f64_e32 v[4:5], v[4:5], v[84:85]
	v_add_f64_e32 v[10:11], v[12:13], v[78:79]
	s_delay_alu instid0(VALU_DEP_2) | instskip(NEXT) | instid1(VALU_DEP_2)
	v_add_f64_e32 v[4:5], v[4:5], v[8:9]
	v_add_f64_e32 v[10:11], v[10:11], v[76:77]
	s_wait_loadcnt 0x0
	s_delay_alu instid0(VALU_DEP_2) | instskip(NEXT) | instid1(VALU_DEP_2)
	v_add_f64_e64 v[8:9], v[92:93], -v[4:5]
	v_add_f64_e64 v[10:11], v[94:95], -v[10:11]
	scratch_store_b128 off, v[8:11], off offset:400
	s_wait_xcnt 0x0
	v_cmpx_lt_u32_e32 24, v1
	s_cbranch_execz .LBB94_151
; %bb.150:
	scratch_load_b128 v[8:11], off, s22
	v_dual_mov_b32 v3, v2 :: v_dual_mov_b32 v4, v2
	v_mov_b32_e32 v5, v2
	scratch_store_b128 off, v[2:5], off offset:384
	s_wait_loadcnt 0x0
	ds_store_b128 v6, v[8:11]
.LBB94_151:
	s_wait_xcnt 0x0
	s_or_b32 exec_lo, exec_lo, s2
	s_wait_storecnt_dscnt 0x0
	s_barrier_signal -1
	s_barrier_wait -1
	s_clause 0x6
	scratch_load_b128 v[8:11], off, off offset:400
	scratch_load_b128 v[76:79], off, off offset:416
	;; [unrolled: 1-line block ×7, first 2 shown]
	ds_load_b128 v[100:103], v2 offset:896
	ds_load_b128 v[104:107], v2 offset:912
	s_mov_b32 s2, exec_lo
	s_wait_loadcnt_dscnt 0x601
	v_mul_f64_e32 v[4:5], v[102:103], v[10:11]
	v_mul_f64_e32 v[12:13], v[100:101], v[10:11]
	s_wait_loadcnt_dscnt 0x500
	v_mul_f64_e32 v[108:109], v[104:105], v[78:79]
	v_mul_f64_e32 v[78:79], v[106:107], v[78:79]
	s_delay_alu instid0(VALU_DEP_4) | instskip(NEXT) | instid1(VALU_DEP_4)
	v_fma_f64 v[4:5], v[100:101], v[8:9], -v[4:5]
	v_fmac_f64_e32 v[12:13], v[102:103], v[8:9]
	ds_load_b128 v[8:11], v2 offset:928
	ds_load_b128 v[100:103], v2 offset:944
	v_fmac_f64_e32 v[108:109], v[106:107], v[76:77]
	v_fma_f64 v[76:77], v[104:105], v[76:77], -v[78:79]
	s_wait_loadcnt_dscnt 0x401
	v_mul_f64_e32 v[110:111], v[8:9], v[82:83]
	v_mul_f64_e32 v[82:83], v[10:11], v[82:83]
	s_wait_loadcnt_dscnt 0x300
	v_mul_f64_e32 v[78:79], v[100:101], v[86:87]
	v_mul_f64_e32 v[86:87], v[102:103], v[86:87]
	v_add_f64_e32 v[4:5], 0, v[4:5]
	v_add_f64_e32 v[12:13], 0, v[12:13]
	v_fmac_f64_e32 v[110:111], v[10:11], v[80:81]
	v_fma_f64 v[80:81], v[8:9], v[80:81], -v[82:83]
	v_fmac_f64_e32 v[78:79], v[102:103], v[84:85]
	v_fma_f64 v[84:85], v[100:101], v[84:85], -v[86:87]
	v_add_f64_e32 v[76:77], v[4:5], v[76:77]
	v_add_f64_e32 v[12:13], v[12:13], v[108:109]
	ds_load_b128 v[8:11], v2 offset:960
	ds_load_b128 v[2:5], v2 offset:976
	s_wait_loadcnt_dscnt 0x201
	v_mul_f64_e32 v[82:83], v[8:9], v[90:91]
	v_mul_f64_e32 v[90:91], v[10:11], v[90:91]
	s_wait_loadcnt_dscnt 0x100
	v_mul_f64_e32 v[86:87], v[4:5], v[94:95]
	v_add_f64_e32 v[76:77], v[76:77], v[80:81]
	v_add_f64_e32 v[12:13], v[12:13], v[110:111]
	v_mul_f64_e32 v[80:81], v[2:3], v[94:95]
	v_fmac_f64_e32 v[82:83], v[10:11], v[88:89]
	v_fma_f64 v[8:9], v[8:9], v[88:89], -v[90:91]
	v_fma_f64 v[2:3], v[2:3], v[92:93], -v[86:87]
	v_add_f64_e32 v[10:11], v[76:77], v[84:85]
	v_add_f64_e32 v[12:13], v[12:13], v[78:79]
	v_fmac_f64_e32 v[80:81], v[4:5], v[92:93]
	s_delay_alu instid0(VALU_DEP_3) | instskip(NEXT) | instid1(VALU_DEP_3)
	v_add_f64_e32 v[4:5], v[10:11], v[8:9]
	v_add_f64_e32 v[8:9], v[12:13], v[82:83]
	s_delay_alu instid0(VALU_DEP_2) | instskip(NEXT) | instid1(VALU_DEP_2)
	v_add_f64_e32 v[2:3], v[4:5], v[2:3]
	v_add_f64_e32 v[4:5], v[8:9], v[80:81]
	s_wait_loadcnt 0x0
	s_delay_alu instid0(VALU_DEP_2) | instskip(NEXT) | instid1(VALU_DEP_2)
	v_add_f64_e64 v[2:3], v[96:97], -v[2:3]
	v_add_f64_e64 v[4:5], v[98:99], -v[4:5]
	scratch_store_b128 off, v[2:5], off offset:384
	s_wait_xcnt 0x0
	v_cmpx_lt_u32_e32 23, v1
	s_cbranch_execz .LBB94_153
; %bb.152:
	scratch_load_b128 v[2:5], off, s23
	v_mov_b32_e32 v8, 0
	s_delay_alu instid0(VALU_DEP_1)
	v_dual_mov_b32 v9, v8 :: v_dual_mov_b32 v10, v8
	v_mov_b32_e32 v11, v8
	scratch_store_b128 off, v[8:11], off offset:368
	s_wait_loadcnt 0x0
	ds_store_b128 v6, v[2:5]
.LBB94_153:
	s_wait_xcnt 0x0
	s_or_b32 exec_lo, exec_lo, s2
	s_wait_storecnt_dscnt 0x0
	s_barrier_signal -1
	s_barrier_wait -1
	s_clause 0x7
	scratch_load_b128 v[8:11], off, off offset:384
	scratch_load_b128 v[76:79], off, off offset:400
	;; [unrolled: 1-line block ×8, first 2 shown]
	v_mov_b32_e32 v2, 0
	ds_load_b128 v[104:107], v2 offset:880
	ds_load_b128 v[108:111], v2 offset:896
	s_mov_b32 s2, exec_lo
	s_wait_loadcnt_dscnt 0x701
	v_mul_f64_e32 v[4:5], v[106:107], v[10:11]
	v_mul_f64_e32 v[12:13], v[104:105], v[10:11]
	s_wait_loadcnt_dscnt 0x600
	v_mul_f64_e32 v[112:113], v[108:109], v[78:79]
	v_mul_f64_e32 v[78:79], v[110:111], v[78:79]
	s_delay_alu instid0(VALU_DEP_4) | instskip(NEXT) | instid1(VALU_DEP_4)
	v_fma_f64 v[4:5], v[104:105], v[8:9], -v[4:5]
	v_fmac_f64_e32 v[12:13], v[106:107], v[8:9]
	ds_load_b128 v[8:11], v2 offset:912
	ds_load_b128 v[104:107], v2 offset:928
	v_fmac_f64_e32 v[112:113], v[110:111], v[76:77]
	v_fma_f64 v[76:77], v[108:109], v[76:77], -v[78:79]
	s_wait_loadcnt_dscnt 0x501
	v_mul_f64_e32 v[114:115], v[8:9], v[82:83]
	v_mul_f64_e32 v[82:83], v[10:11], v[82:83]
	s_wait_loadcnt_dscnt 0x400
	v_mul_f64_e32 v[108:109], v[104:105], v[86:87]
	v_mul_f64_e32 v[86:87], v[106:107], v[86:87]
	v_add_f64_e32 v[4:5], 0, v[4:5]
	v_add_f64_e32 v[12:13], 0, v[12:13]
	v_fmac_f64_e32 v[114:115], v[10:11], v[80:81]
	v_fma_f64 v[80:81], v[8:9], v[80:81], -v[82:83]
	v_fmac_f64_e32 v[108:109], v[106:107], v[84:85]
	v_fma_f64 v[84:85], v[104:105], v[84:85], -v[86:87]
	v_add_f64_e32 v[4:5], v[4:5], v[76:77]
	v_add_f64_e32 v[12:13], v[12:13], v[112:113]
	ds_load_b128 v[8:11], v2 offset:944
	ds_load_b128 v[76:79], v2 offset:960
	s_wait_loadcnt_dscnt 0x301
	v_mul_f64_e32 v[82:83], v[8:9], v[90:91]
	v_mul_f64_e32 v[90:91], v[10:11], v[90:91]
	s_wait_loadcnt_dscnt 0x200
	v_mul_f64_e32 v[86:87], v[78:79], v[94:95]
	v_add_f64_e32 v[4:5], v[4:5], v[80:81]
	v_add_f64_e32 v[12:13], v[12:13], v[114:115]
	v_mul_f64_e32 v[80:81], v[76:77], v[94:95]
	v_fmac_f64_e32 v[82:83], v[10:11], v[88:89]
	v_fma_f64 v[88:89], v[8:9], v[88:89], -v[90:91]
	ds_load_b128 v[8:11], v2 offset:976
	v_fma_f64 v[76:77], v[76:77], v[92:93], -v[86:87]
	v_add_f64_e32 v[4:5], v[4:5], v[84:85]
	v_add_f64_e32 v[12:13], v[12:13], v[108:109]
	v_fmac_f64_e32 v[80:81], v[78:79], v[92:93]
	s_wait_loadcnt_dscnt 0x100
	v_mul_f64_e32 v[84:85], v[8:9], v[98:99]
	v_mul_f64_e32 v[90:91], v[10:11], v[98:99]
	v_add_f64_e32 v[4:5], v[4:5], v[88:89]
	v_add_f64_e32 v[12:13], v[12:13], v[82:83]
	s_delay_alu instid0(VALU_DEP_4) | instskip(NEXT) | instid1(VALU_DEP_4)
	v_fmac_f64_e32 v[84:85], v[10:11], v[96:97]
	v_fma_f64 v[8:9], v[8:9], v[96:97], -v[90:91]
	s_delay_alu instid0(VALU_DEP_4) | instskip(NEXT) | instid1(VALU_DEP_4)
	v_add_f64_e32 v[4:5], v[4:5], v[76:77]
	v_add_f64_e32 v[10:11], v[12:13], v[80:81]
	s_delay_alu instid0(VALU_DEP_2) | instskip(NEXT) | instid1(VALU_DEP_2)
	v_add_f64_e32 v[4:5], v[4:5], v[8:9]
	v_add_f64_e32 v[10:11], v[10:11], v[84:85]
	s_wait_loadcnt 0x0
	s_delay_alu instid0(VALU_DEP_2) | instskip(NEXT) | instid1(VALU_DEP_2)
	v_add_f64_e64 v[8:9], v[100:101], -v[4:5]
	v_add_f64_e64 v[10:11], v[102:103], -v[10:11]
	scratch_store_b128 off, v[8:11], off offset:368
	s_wait_xcnt 0x0
	v_cmpx_lt_u32_e32 22, v1
	s_cbranch_execz .LBB94_155
; %bb.154:
	scratch_load_b128 v[8:11], off, s24
	v_dual_mov_b32 v3, v2 :: v_dual_mov_b32 v4, v2
	v_mov_b32_e32 v5, v2
	scratch_store_b128 off, v[2:5], off offset:352
	s_wait_loadcnt 0x0
	ds_store_b128 v6, v[8:11]
.LBB94_155:
	s_wait_xcnt 0x0
	s_or_b32 exec_lo, exec_lo, s2
	s_wait_storecnt_dscnt 0x0
	s_barrier_signal -1
	s_barrier_wait -1
	s_clause 0x7
	scratch_load_b128 v[8:11], off, off offset:368
	scratch_load_b128 v[76:79], off, off offset:384
	;; [unrolled: 1-line block ×8, first 2 shown]
	ds_load_b128 v[104:107], v2 offset:864
	ds_load_b128 v[108:111], v2 offset:880
	scratch_load_b128 v[112:115], off, off offset:352
	s_mov_b32 s2, exec_lo
	s_wait_loadcnt_dscnt 0x801
	v_mul_f64_e32 v[4:5], v[106:107], v[10:11]
	v_mul_f64_e32 v[12:13], v[104:105], v[10:11]
	s_wait_loadcnt_dscnt 0x700
	v_mul_f64_e32 v[116:117], v[108:109], v[78:79]
	v_mul_f64_e32 v[78:79], v[110:111], v[78:79]
	s_delay_alu instid0(VALU_DEP_4) | instskip(NEXT) | instid1(VALU_DEP_4)
	v_fma_f64 v[4:5], v[104:105], v[8:9], -v[4:5]
	v_fmac_f64_e32 v[12:13], v[106:107], v[8:9]
	ds_load_b128 v[8:11], v2 offset:896
	ds_load_b128 v[104:107], v2 offset:912
	v_fmac_f64_e32 v[116:117], v[110:111], v[76:77]
	v_fma_f64 v[76:77], v[108:109], v[76:77], -v[78:79]
	s_wait_loadcnt_dscnt 0x601
	v_mul_f64_e32 v[118:119], v[8:9], v[82:83]
	v_mul_f64_e32 v[82:83], v[10:11], v[82:83]
	s_wait_loadcnt_dscnt 0x500
	v_mul_f64_e32 v[108:109], v[104:105], v[86:87]
	v_mul_f64_e32 v[86:87], v[106:107], v[86:87]
	v_add_f64_e32 v[4:5], 0, v[4:5]
	v_add_f64_e32 v[12:13], 0, v[12:13]
	v_fmac_f64_e32 v[118:119], v[10:11], v[80:81]
	v_fma_f64 v[80:81], v[8:9], v[80:81], -v[82:83]
	v_fmac_f64_e32 v[108:109], v[106:107], v[84:85]
	v_fma_f64 v[84:85], v[104:105], v[84:85], -v[86:87]
	v_add_f64_e32 v[4:5], v[4:5], v[76:77]
	v_add_f64_e32 v[12:13], v[12:13], v[116:117]
	ds_load_b128 v[8:11], v2 offset:928
	ds_load_b128 v[76:79], v2 offset:944
	s_wait_loadcnt_dscnt 0x401
	v_mul_f64_e32 v[82:83], v[8:9], v[90:91]
	v_mul_f64_e32 v[90:91], v[10:11], v[90:91]
	s_wait_loadcnt_dscnt 0x300
	v_mul_f64_e32 v[86:87], v[78:79], v[94:95]
	v_add_f64_e32 v[4:5], v[4:5], v[80:81]
	v_add_f64_e32 v[12:13], v[12:13], v[118:119]
	v_mul_f64_e32 v[80:81], v[76:77], v[94:95]
	v_fmac_f64_e32 v[82:83], v[10:11], v[88:89]
	v_fma_f64 v[88:89], v[8:9], v[88:89], -v[90:91]
	v_fma_f64 v[76:77], v[76:77], v[92:93], -v[86:87]
	v_add_f64_e32 v[84:85], v[4:5], v[84:85]
	v_add_f64_e32 v[12:13], v[12:13], v[108:109]
	ds_load_b128 v[8:11], v2 offset:960
	ds_load_b128 v[2:5], v2 offset:976
	v_fmac_f64_e32 v[80:81], v[78:79], v[92:93]
	s_wait_loadcnt_dscnt 0x201
	v_mul_f64_e32 v[90:91], v[8:9], v[98:99]
	v_mul_f64_e32 v[94:95], v[10:11], v[98:99]
	v_add_f64_e32 v[78:79], v[84:85], v[88:89]
	v_add_f64_e32 v[12:13], v[12:13], v[82:83]
	s_wait_loadcnt_dscnt 0x100
	v_mul_f64_e32 v[82:83], v[2:3], v[102:103]
	v_mul_f64_e32 v[84:85], v[4:5], v[102:103]
	v_fmac_f64_e32 v[90:91], v[10:11], v[96:97]
	v_fma_f64 v[8:9], v[8:9], v[96:97], -v[94:95]
	v_add_f64_e32 v[10:11], v[78:79], v[76:77]
	v_add_f64_e32 v[12:13], v[12:13], v[80:81]
	v_fmac_f64_e32 v[82:83], v[4:5], v[100:101]
	v_fma_f64 v[2:3], v[2:3], v[100:101], -v[84:85]
	s_delay_alu instid0(VALU_DEP_4) | instskip(NEXT) | instid1(VALU_DEP_4)
	v_add_f64_e32 v[4:5], v[10:11], v[8:9]
	v_add_f64_e32 v[8:9], v[12:13], v[90:91]
	s_delay_alu instid0(VALU_DEP_2) | instskip(NEXT) | instid1(VALU_DEP_2)
	v_add_f64_e32 v[2:3], v[4:5], v[2:3]
	v_add_f64_e32 v[4:5], v[8:9], v[82:83]
	s_wait_loadcnt 0x0
	s_delay_alu instid0(VALU_DEP_2) | instskip(NEXT) | instid1(VALU_DEP_2)
	v_add_f64_e64 v[2:3], v[112:113], -v[2:3]
	v_add_f64_e64 v[4:5], v[114:115], -v[4:5]
	scratch_store_b128 off, v[2:5], off offset:352
	s_wait_xcnt 0x0
	v_cmpx_lt_u32_e32 21, v1
	s_cbranch_execz .LBB94_157
; %bb.156:
	scratch_load_b128 v[2:5], off, s25
	v_mov_b32_e32 v8, 0
	s_delay_alu instid0(VALU_DEP_1)
	v_dual_mov_b32 v9, v8 :: v_dual_mov_b32 v10, v8
	v_mov_b32_e32 v11, v8
	scratch_store_b128 off, v[8:11], off offset:336
	s_wait_loadcnt 0x0
	ds_store_b128 v6, v[2:5]
.LBB94_157:
	s_wait_xcnt 0x0
	s_or_b32 exec_lo, exec_lo, s2
	s_wait_storecnt_dscnt 0x0
	s_barrier_signal -1
	s_barrier_wait -1
	s_clause 0x8
	scratch_load_b128 v[8:11], off, off offset:352
	scratch_load_b128 v[76:79], off, off offset:368
	;; [unrolled: 1-line block ×9, first 2 shown]
	v_mov_b32_e32 v2, 0
	scratch_load_b128 v[112:115], off, off offset:336
	s_mov_b32 s2, exec_lo
	ds_load_b128 v[108:111], v2 offset:848
	ds_load_b128 v[116:119], v2 offset:864
	s_wait_loadcnt_dscnt 0x901
	v_mul_f64_e32 v[4:5], v[110:111], v[10:11]
	v_mul_f64_e32 v[12:13], v[108:109], v[10:11]
	s_wait_loadcnt_dscnt 0x800
	v_mul_f64_e32 v[120:121], v[116:117], v[78:79]
	v_mul_f64_e32 v[78:79], v[118:119], v[78:79]
	s_delay_alu instid0(VALU_DEP_4) | instskip(NEXT) | instid1(VALU_DEP_4)
	v_fma_f64 v[4:5], v[108:109], v[8:9], -v[4:5]
	v_fmac_f64_e32 v[12:13], v[110:111], v[8:9]
	ds_load_b128 v[8:11], v2 offset:880
	ds_load_b128 v[108:111], v2 offset:896
	v_fmac_f64_e32 v[120:121], v[118:119], v[76:77]
	v_fma_f64 v[76:77], v[116:117], v[76:77], -v[78:79]
	s_wait_loadcnt_dscnt 0x701
	v_mul_f64_e32 v[122:123], v[8:9], v[82:83]
	v_mul_f64_e32 v[82:83], v[10:11], v[82:83]
	s_wait_loadcnt_dscnt 0x600
	v_mul_f64_e32 v[116:117], v[108:109], v[86:87]
	v_mul_f64_e32 v[86:87], v[110:111], v[86:87]
	v_add_f64_e32 v[4:5], 0, v[4:5]
	v_add_f64_e32 v[12:13], 0, v[12:13]
	v_fmac_f64_e32 v[122:123], v[10:11], v[80:81]
	v_fma_f64 v[80:81], v[8:9], v[80:81], -v[82:83]
	v_fmac_f64_e32 v[116:117], v[110:111], v[84:85]
	v_fma_f64 v[84:85], v[108:109], v[84:85], -v[86:87]
	v_add_f64_e32 v[4:5], v[4:5], v[76:77]
	v_add_f64_e32 v[12:13], v[12:13], v[120:121]
	ds_load_b128 v[8:11], v2 offset:912
	ds_load_b128 v[76:79], v2 offset:928
	s_wait_loadcnt_dscnt 0x501
	v_mul_f64_e32 v[118:119], v[8:9], v[90:91]
	v_mul_f64_e32 v[82:83], v[10:11], v[90:91]
	s_wait_loadcnt_dscnt 0x400
	v_mul_f64_e32 v[86:87], v[76:77], v[94:95]
	v_mul_f64_e32 v[90:91], v[78:79], v[94:95]
	v_add_f64_e32 v[4:5], v[4:5], v[80:81]
	v_add_f64_e32 v[12:13], v[12:13], v[122:123]
	v_fmac_f64_e32 v[118:119], v[10:11], v[88:89]
	v_fma_f64 v[88:89], v[8:9], v[88:89], -v[82:83]
	ds_load_b128 v[8:11], v2 offset:944
	ds_load_b128 v[80:83], v2 offset:960
	v_fmac_f64_e32 v[86:87], v[78:79], v[92:93]
	v_fma_f64 v[76:77], v[76:77], v[92:93], -v[90:91]
	v_add_f64_e32 v[4:5], v[4:5], v[84:85]
	v_add_f64_e32 v[12:13], v[12:13], v[116:117]
	s_wait_loadcnt_dscnt 0x301
	v_mul_f64_e32 v[84:85], v[8:9], v[98:99]
	v_mul_f64_e32 v[94:95], v[10:11], v[98:99]
	s_wait_loadcnt_dscnt 0x200
	v_mul_f64_e32 v[78:79], v[80:81], v[102:103]
	v_add_f64_e32 v[4:5], v[4:5], v[88:89]
	v_add_f64_e32 v[12:13], v[12:13], v[118:119]
	v_mul_f64_e32 v[88:89], v[82:83], v[102:103]
	v_fmac_f64_e32 v[84:85], v[10:11], v[96:97]
	v_fma_f64 v[90:91], v[8:9], v[96:97], -v[94:95]
	ds_load_b128 v[8:11], v2 offset:976
	v_fmac_f64_e32 v[78:79], v[82:83], v[100:101]
	v_add_f64_e32 v[4:5], v[4:5], v[76:77]
	v_add_f64_e32 v[12:13], v[12:13], v[86:87]
	s_wait_loadcnt_dscnt 0x100
	v_mul_f64_e32 v[76:77], v[8:9], v[106:107]
	v_mul_f64_e32 v[86:87], v[10:11], v[106:107]
	v_fma_f64 v[80:81], v[80:81], v[100:101], -v[88:89]
	v_add_f64_e32 v[4:5], v[4:5], v[90:91]
	v_add_f64_e32 v[12:13], v[12:13], v[84:85]
	v_fmac_f64_e32 v[76:77], v[10:11], v[104:105]
	v_fma_f64 v[8:9], v[8:9], v[104:105], -v[86:87]
	s_delay_alu instid0(VALU_DEP_4) | instskip(NEXT) | instid1(VALU_DEP_4)
	v_add_f64_e32 v[4:5], v[4:5], v[80:81]
	v_add_f64_e32 v[10:11], v[12:13], v[78:79]
	s_delay_alu instid0(VALU_DEP_2) | instskip(NEXT) | instid1(VALU_DEP_2)
	v_add_f64_e32 v[4:5], v[4:5], v[8:9]
	v_add_f64_e32 v[10:11], v[10:11], v[76:77]
	s_wait_loadcnt 0x0
	s_delay_alu instid0(VALU_DEP_2) | instskip(NEXT) | instid1(VALU_DEP_2)
	v_add_f64_e64 v[8:9], v[112:113], -v[4:5]
	v_add_f64_e64 v[10:11], v[114:115], -v[10:11]
	scratch_store_b128 off, v[8:11], off offset:336
	s_wait_xcnt 0x0
	v_cmpx_lt_u32_e32 20, v1
	s_cbranch_execz .LBB94_159
; %bb.158:
	scratch_load_b128 v[8:11], off, s26
	v_dual_mov_b32 v3, v2 :: v_dual_mov_b32 v4, v2
	v_mov_b32_e32 v5, v2
	scratch_store_b128 off, v[2:5], off offset:320
	s_wait_loadcnt 0x0
	ds_store_b128 v6, v[8:11]
.LBB94_159:
	s_wait_xcnt 0x0
	s_or_b32 exec_lo, exec_lo, s2
	s_wait_storecnt_dscnt 0x0
	s_barrier_signal -1
	s_barrier_wait -1
	s_clause 0x9
	scratch_load_b128 v[8:11], off, off offset:336
	scratch_load_b128 v[76:79], off, off offset:352
	;; [unrolled: 1-line block ×10, first 2 shown]
	ds_load_b128 v[112:115], v2 offset:832
	ds_load_b128 v[116:119], v2 offset:848
	scratch_load_b128 v[120:123], off, off offset:320
	s_mov_b32 s2, exec_lo
	s_wait_loadcnt_dscnt 0xa01
	v_mul_f64_e32 v[4:5], v[114:115], v[10:11]
	v_mul_f64_e32 v[12:13], v[112:113], v[10:11]
	s_wait_loadcnt_dscnt 0x900
	v_mul_f64_e32 v[124:125], v[116:117], v[78:79]
	v_mul_f64_e32 v[78:79], v[118:119], v[78:79]
	s_delay_alu instid0(VALU_DEP_4) | instskip(NEXT) | instid1(VALU_DEP_4)
	v_fma_f64 v[4:5], v[112:113], v[8:9], -v[4:5]
	v_fmac_f64_e32 v[12:13], v[114:115], v[8:9]
	ds_load_b128 v[8:11], v2 offset:864
	ds_load_b128 v[112:115], v2 offset:880
	v_fmac_f64_e32 v[124:125], v[118:119], v[76:77]
	v_fma_f64 v[76:77], v[116:117], v[76:77], -v[78:79]
	s_wait_loadcnt_dscnt 0x801
	v_mul_f64_e32 v[126:127], v[8:9], v[82:83]
	v_mul_f64_e32 v[82:83], v[10:11], v[82:83]
	s_wait_loadcnt_dscnt 0x700
	v_mul_f64_e32 v[116:117], v[112:113], v[86:87]
	v_mul_f64_e32 v[86:87], v[114:115], v[86:87]
	v_add_f64_e32 v[4:5], 0, v[4:5]
	v_add_f64_e32 v[12:13], 0, v[12:13]
	v_fmac_f64_e32 v[126:127], v[10:11], v[80:81]
	v_fma_f64 v[80:81], v[8:9], v[80:81], -v[82:83]
	v_fmac_f64_e32 v[116:117], v[114:115], v[84:85]
	v_fma_f64 v[84:85], v[112:113], v[84:85], -v[86:87]
	v_add_f64_e32 v[4:5], v[4:5], v[76:77]
	v_add_f64_e32 v[12:13], v[12:13], v[124:125]
	ds_load_b128 v[8:11], v2 offset:896
	ds_load_b128 v[76:79], v2 offset:912
	s_wait_loadcnt_dscnt 0x601
	v_mul_f64_e32 v[118:119], v[8:9], v[90:91]
	v_mul_f64_e32 v[82:83], v[10:11], v[90:91]
	s_wait_loadcnt_dscnt 0x500
	v_mul_f64_e32 v[86:87], v[76:77], v[94:95]
	v_mul_f64_e32 v[90:91], v[78:79], v[94:95]
	v_add_f64_e32 v[4:5], v[4:5], v[80:81]
	v_add_f64_e32 v[12:13], v[12:13], v[126:127]
	v_fmac_f64_e32 v[118:119], v[10:11], v[88:89]
	v_fma_f64 v[88:89], v[8:9], v[88:89], -v[82:83]
	ds_load_b128 v[8:11], v2 offset:928
	ds_load_b128 v[80:83], v2 offset:944
	v_fmac_f64_e32 v[86:87], v[78:79], v[92:93]
	v_fma_f64 v[76:77], v[76:77], v[92:93], -v[90:91]
	v_add_f64_e32 v[4:5], v[4:5], v[84:85]
	v_add_f64_e32 v[12:13], v[12:13], v[116:117]
	s_wait_loadcnt_dscnt 0x401
	v_mul_f64_e32 v[84:85], v[8:9], v[98:99]
	v_mul_f64_e32 v[94:95], v[10:11], v[98:99]
	s_wait_loadcnt_dscnt 0x300
	v_mul_f64_e32 v[78:79], v[80:81], v[102:103]
	v_add_f64_e32 v[4:5], v[4:5], v[88:89]
	v_add_f64_e32 v[12:13], v[12:13], v[118:119]
	v_mul_f64_e32 v[88:89], v[82:83], v[102:103]
	v_fmac_f64_e32 v[84:85], v[10:11], v[96:97]
	v_fma_f64 v[90:91], v[8:9], v[96:97], -v[94:95]
	v_fmac_f64_e32 v[78:79], v[82:83], v[100:101]
	v_add_f64_e32 v[76:77], v[4:5], v[76:77]
	v_add_f64_e32 v[12:13], v[12:13], v[86:87]
	ds_load_b128 v[8:11], v2 offset:960
	ds_load_b128 v[2:5], v2 offset:976
	v_fma_f64 v[80:81], v[80:81], v[100:101], -v[88:89]
	s_wait_loadcnt_dscnt 0x201
	v_mul_f64_e32 v[86:87], v[8:9], v[106:107]
	v_mul_f64_e32 v[92:93], v[10:11], v[106:107]
	s_wait_loadcnt_dscnt 0x100
	v_mul_f64_e32 v[82:83], v[2:3], v[110:111]
	v_add_f64_e32 v[76:77], v[76:77], v[90:91]
	v_add_f64_e32 v[12:13], v[12:13], v[84:85]
	v_mul_f64_e32 v[84:85], v[4:5], v[110:111]
	v_fmac_f64_e32 v[86:87], v[10:11], v[104:105]
	v_fma_f64 v[8:9], v[8:9], v[104:105], -v[92:93]
	v_fmac_f64_e32 v[82:83], v[4:5], v[108:109]
	v_add_f64_e32 v[10:11], v[76:77], v[80:81]
	v_add_f64_e32 v[12:13], v[12:13], v[78:79]
	v_fma_f64 v[2:3], v[2:3], v[108:109], -v[84:85]
	s_delay_alu instid0(VALU_DEP_3) | instskip(NEXT) | instid1(VALU_DEP_3)
	v_add_f64_e32 v[4:5], v[10:11], v[8:9]
	v_add_f64_e32 v[8:9], v[12:13], v[86:87]
	s_delay_alu instid0(VALU_DEP_2) | instskip(NEXT) | instid1(VALU_DEP_2)
	v_add_f64_e32 v[2:3], v[4:5], v[2:3]
	v_add_f64_e32 v[4:5], v[8:9], v[82:83]
	s_wait_loadcnt 0x0
	s_delay_alu instid0(VALU_DEP_2) | instskip(NEXT) | instid1(VALU_DEP_2)
	v_add_f64_e64 v[2:3], v[120:121], -v[2:3]
	v_add_f64_e64 v[4:5], v[122:123], -v[4:5]
	scratch_store_b128 off, v[2:5], off offset:320
	s_wait_xcnt 0x0
	v_cmpx_lt_u32_e32 19, v1
	s_cbranch_execz .LBB94_161
; %bb.160:
	scratch_load_b128 v[2:5], off, s27
	v_mov_b32_e32 v8, 0
	s_delay_alu instid0(VALU_DEP_1)
	v_dual_mov_b32 v9, v8 :: v_dual_mov_b32 v10, v8
	v_mov_b32_e32 v11, v8
	scratch_store_b128 off, v[8:11], off offset:304
	s_wait_loadcnt 0x0
	ds_store_b128 v6, v[2:5]
.LBB94_161:
	s_wait_xcnt 0x0
	s_or_b32 exec_lo, exec_lo, s2
	s_wait_storecnt_dscnt 0x0
	s_barrier_signal -1
	s_barrier_wait -1
	s_clause 0x9
	scratch_load_b128 v[8:11], off, off offset:320
	scratch_load_b128 v[76:79], off, off offset:336
	;; [unrolled: 1-line block ×10, first 2 shown]
	v_mov_b32_e32 v2, 0
	s_mov_b32 s2, exec_lo
	ds_load_b128 v[112:115], v2 offset:816
	s_clause 0x1
	scratch_load_b128 v[116:119], off, off offset:480
	scratch_load_b128 v[120:123], off, off offset:304
	s_wait_loadcnt_dscnt 0xb00
	v_mul_f64_e32 v[4:5], v[114:115], v[10:11]
	v_mul_f64_e32 v[12:13], v[112:113], v[10:11]
	ds_load_b128 v[124:127], v2 offset:832
	s_wait_loadcnt_dscnt 0xa00
	v_mul_f64_e32 v[128:129], v[124:125], v[78:79]
	v_mul_f64_e32 v[78:79], v[126:127], v[78:79]
	v_fma_f64 v[4:5], v[112:113], v[8:9], -v[4:5]
	v_fmac_f64_e32 v[12:13], v[114:115], v[8:9]
	ds_load_b128 v[8:11], v2 offset:848
	ds_load_b128 v[112:115], v2 offset:864
	s_wait_loadcnt_dscnt 0x901
	v_mul_f64_e32 v[130:131], v[8:9], v[82:83]
	v_mul_f64_e32 v[82:83], v[10:11], v[82:83]
	v_fmac_f64_e32 v[128:129], v[126:127], v[76:77]
	v_fma_f64 v[76:77], v[124:125], v[76:77], -v[78:79]
	s_wait_loadcnt_dscnt 0x800
	v_mul_f64_e32 v[124:125], v[112:113], v[86:87]
	v_mul_f64_e32 v[86:87], v[114:115], v[86:87]
	v_add_f64_e32 v[4:5], 0, v[4:5]
	v_add_f64_e32 v[12:13], 0, v[12:13]
	v_fmac_f64_e32 v[130:131], v[10:11], v[80:81]
	v_fma_f64 v[80:81], v[8:9], v[80:81], -v[82:83]
	v_fmac_f64_e32 v[124:125], v[114:115], v[84:85]
	v_fma_f64 v[84:85], v[112:113], v[84:85], -v[86:87]
	v_add_f64_e32 v[4:5], v[4:5], v[76:77]
	v_add_f64_e32 v[12:13], v[12:13], v[128:129]
	ds_load_b128 v[8:11], v2 offset:880
	ds_load_b128 v[76:79], v2 offset:896
	s_wait_loadcnt_dscnt 0x701
	v_mul_f64_e32 v[126:127], v[8:9], v[90:91]
	v_mul_f64_e32 v[82:83], v[10:11], v[90:91]
	s_wait_loadcnt_dscnt 0x600
	v_mul_f64_e32 v[86:87], v[76:77], v[94:95]
	v_mul_f64_e32 v[90:91], v[78:79], v[94:95]
	v_add_f64_e32 v[4:5], v[4:5], v[80:81]
	v_add_f64_e32 v[12:13], v[12:13], v[130:131]
	v_fmac_f64_e32 v[126:127], v[10:11], v[88:89]
	v_fma_f64 v[88:89], v[8:9], v[88:89], -v[82:83]
	ds_load_b128 v[8:11], v2 offset:912
	ds_load_b128 v[80:83], v2 offset:928
	v_fmac_f64_e32 v[86:87], v[78:79], v[92:93]
	v_fma_f64 v[76:77], v[76:77], v[92:93], -v[90:91]
	v_add_f64_e32 v[4:5], v[4:5], v[84:85]
	v_add_f64_e32 v[12:13], v[12:13], v[124:125]
	s_wait_loadcnt_dscnt 0x501
	v_mul_f64_e32 v[84:85], v[8:9], v[98:99]
	v_mul_f64_e32 v[94:95], v[10:11], v[98:99]
	s_wait_loadcnt_dscnt 0x400
	v_mul_f64_e32 v[90:91], v[82:83], v[102:103]
	v_add_f64_e32 v[4:5], v[4:5], v[88:89]
	v_add_f64_e32 v[12:13], v[12:13], v[126:127]
	v_mul_f64_e32 v[88:89], v[80:81], v[102:103]
	v_fmac_f64_e32 v[84:85], v[10:11], v[96:97]
	v_fma_f64 v[92:93], v[8:9], v[96:97], -v[94:95]
	v_fma_f64 v[80:81], v[80:81], v[100:101], -v[90:91]
	v_add_f64_e32 v[4:5], v[4:5], v[76:77]
	v_add_f64_e32 v[12:13], v[12:13], v[86:87]
	ds_load_b128 v[8:11], v2 offset:944
	ds_load_b128 v[76:79], v2 offset:960
	v_fmac_f64_e32 v[88:89], v[82:83], v[100:101]
	s_wait_loadcnt_dscnt 0x301
	v_mul_f64_e32 v[86:87], v[8:9], v[106:107]
	v_mul_f64_e32 v[94:95], v[10:11], v[106:107]
	s_wait_loadcnt_dscnt 0x200
	v_mul_f64_e32 v[82:83], v[76:77], v[110:111]
	v_add_f64_e32 v[4:5], v[4:5], v[92:93]
	v_add_f64_e32 v[12:13], v[12:13], v[84:85]
	v_mul_f64_e32 v[84:85], v[78:79], v[110:111]
	v_fmac_f64_e32 v[86:87], v[10:11], v[104:105]
	v_fma_f64 v[90:91], v[8:9], v[104:105], -v[94:95]
	ds_load_b128 v[8:11], v2 offset:976
	v_fmac_f64_e32 v[82:83], v[78:79], v[108:109]
	v_add_f64_e32 v[4:5], v[4:5], v[80:81]
	v_add_f64_e32 v[12:13], v[12:13], v[88:89]
	v_fma_f64 v[76:77], v[76:77], v[108:109], -v[84:85]
	s_wait_loadcnt_dscnt 0x100
	v_mul_f64_e32 v[80:81], v[8:9], v[118:119]
	v_mul_f64_e32 v[88:89], v[10:11], v[118:119]
	v_add_f64_e32 v[4:5], v[4:5], v[90:91]
	v_add_f64_e32 v[12:13], v[12:13], v[86:87]
	s_delay_alu instid0(VALU_DEP_4) | instskip(NEXT) | instid1(VALU_DEP_4)
	v_fmac_f64_e32 v[80:81], v[10:11], v[116:117]
	v_fma_f64 v[8:9], v[8:9], v[116:117], -v[88:89]
	s_delay_alu instid0(VALU_DEP_4) | instskip(NEXT) | instid1(VALU_DEP_4)
	v_add_f64_e32 v[4:5], v[4:5], v[76:77]
	v_add_f64_e32 v[10:11], v[12:13], v[82:83]
	s_delay_alu instid0(VALU_DEP_2) | instskip(NEXT) | instid1(VALU_DEP_2)
	v_add_f64_e32 v[4:5], v[4:5], v[8:9]
	v_add_f64_e32 v[10:11], v[10:11], v[80:81]
	s_wait_loadcnt 0x0
	s_delay_alu instid0(VALU_DEP_2) | instskip(NEXT) | instid1(VALU_DEP_2)
	v_add_f64_e64 v[8:9], v[120:121], -v[4:5]
	v_add_f64_e64 v[10:11], v[122:123], -v[10:11]
	scratch_store_b128 off, v[8:11], off offset:304
	s_wait_xcnt 0x0
	v_cmpx_lt_u32_e32 18, v1
	s_cbranch_execz .LBB94_163
; %bb.162:
	scratch_load_b128 v[8:11], off, s28
	v_dual_mov_b32 v3, v2 :: v_dual_mov_b32 v4, v2
	v_mov_b32_e32 v5, v2
	scratch_store_b128 off, v[2:5], off offset:288
	s_wait_loadcnt 0x0
	ds_store_b128 v6, v[8:11]
.LBB94_163:
	s_wait_xcnt 0x0
	s_or_b32 exec_lo, exec_lo, s2
	s_wait_storecnt_dscnt 0x0
	s_barrier_signal -1
	s_barrier_wait -1
	s_clause 0x9
	scratch_load_b128 v[8:11], off, off offset:304
	scratch_load_b128 v[76:79], off, off offset:320
	;; [unrolled: 1-line block ×10, first 2 shown]
	ds_load_b128 v[112:115], v2 offset:800
	ds_load_b128 v[120:123], v2 offset:816
	s_clause 0x1
	scratch_load_b128 v[116:119], off, off offset:464
	scratch_load_b128 v[124:127], off, off offset:288
	s_mov_b32 s2, exec_lo
	s_wait_loadcnt_dscnt 0xb01
	v_mul_f64_e32 v[4:5], v[114:115], v[10:11]
	v_mul_f64_e32 v[132:133], v[112:113], v[10:11]
	scratch_load_b128 v[10:13], off, off offset:480
	s_wait_loadcnt_dscnt 0xb00
	v_mul_f64_e32 v[134:135], v[120:121], v[78:79]
	v_mul_f64_e32 v[78:79], v[122:123], v[78:79]
	v_fma_f64 v[4:5], v[112:113], v[8:9], -v[4:5]
	v_fmac_f64_e32 v[132:133], v[114:115], v[8:9]
	ds_load_b128 v[112:115], v2 offset:832
	ds_load_b128 v[128:131], v2 offset:848
	v_fmac_f64_e32 v[134:135], v[122:123], v[76:77]
	v_fma_f64 v[76:77], v[120:121], v[76:77], -v[78:79]
	s_wait_loadcnt_dscnt 0xa01
	v_mul_f64_e32 v[8:9], v[112:113], v[82:83]
	v_mul_f64_e32 v[82:83], v[114:115], v[82:83]
	s_wait_loadcnt_dscnt 0x900
	v_mul_f64_e32 v[120:121], v[128:129], v[86:87]
	v_mul_f64_e32 v[86:87], v[130:131], v[86:87]
	v_add_f64_e32 v[4:5], 0, v[4:5]
	v_add_f64_e32 v[78:79], 0, v[132:133]
	v_fmac_f64_e32 v[8:9], v[114:115], v[80:81]
	v_fma_f64 v[112:113], v[112:113], v[80:81], -v[82:83]
	v_fmac_f64_e32 v[120:121], v[130:131], v[84:85]
	v_fma_f64 v[84:85], v[128:129], v[84:85], -v[86:87]
	v_add_f64_e32 v[4:5], v[4:5], v[76:77]
	v_add_f64_e32 v[114:115], v[78:79], v[134:135]
	ds_load_b128 v[76:79], v2 offset:864
	ds_load_b128 v[80:83], v2 offset:880
	s_wait_loadcnt_dscnt 0x801
	v_mul_f64_e32 v[122:123], v[76:77], v[90:91]
	v_mul_f64_e32 v[90:91], v[78:79], v[90:91]
	v_add_f64_e32 v[4:5], v[4:5], v[112:113]
	v_add_f64_e32 v[8:9], v[114:115], v[8:9]
	s_wait_loadcnt_dscnt 0x700
	v_mul_f64_e32 v[112:113], v[80:81], v[94:95]
	v_mul_f64_e32 v[94:95], v[82:83], v[94:95]
	v_fmac_f64_e32 v[122:123], v[78:79], v[88:89]
	v_fma_f64 v[88:89], v[76:77], v[88:89], -v[90:91]
	v_add_f64_e32 v[4:5], v[4:5], v[84:85]
	v_add_f64_e32 v[8:9], v[8:9], v[120:121]
	ds_load_b128 v[76:79], v2 offset:896
	ds_load_b128 v[84:87], v2 offset:912
	v_fmac_f64_e32 v[112:113], v[82:83], v[92:93]
	v_fma_f64 v[80:81], v[80:81], v[92:93], -v[94:95]
	s_wait_loadcnt_dscnt 0x601
	v_mul_f64_e32 v[90:91], v[76:77], v[98:99]
	v_mul_f64_e32 v[98:99], v[78:79], v[98:99]
	s_wait_loadcnt_dscnt 0x500
	v_mul_f64_e32 v[92:93], v[86:87], v[102:103]
	v_add_f64_e32 v[4:5], v[4:5], v[88:89]
	v_add_f64_e32 v[8:9], v[8:9], v[122:123]
	v_mul_f64_e32 v[88:89], v[84:85], v[102:103]
	v_fmac_f64_e32 v[90:91], v[78:79], v[96:97]
	v_fma_f64 v[94:95], v[76:77], v[96:97], -v[98:99]
	v_fma_f64 v[84:85], v[84:85], v[100:101], -v[92:93]
	v_add_f64_e32 v[4:5], v[4:5], v[80:81]
	v_add_f64_e32 v[8:9], v[8:9], v[112:113]
	ds_load_b128 v[76:79], v2 offset:928
	ds_load_b128 v[80:83], v2 offset:944
	v_fmac_f64_e32 v[88:89], v[86:87], v[100:101]
	s_wait_loadcnt_dscnt 0x401
	v_mul_f64_e32 v[96:97], v[76:77], v[106:107]
	v_mul_f64_e32 v[98:99], v[78:79], v[106:107]
	s_wait_loadcnt_dscnt 0x300
	v_mul_f64_e32 v[86:87], v[80:81], v[110:111]
	v_add_f64_e32 v[4:5], v[4:5], v[94:95]
	v_add_f64_e32 v[8:9], v[8:9], v[90:91]
	v_mul_f64_e32 v[90:91], v[82:83], v[110:111]
	v_fmac_f64_e32 v[96:97], v[78:79], v[104:105]
	v_fma_f64 v[92:93], v[76:77], v[104:105], -v[98:99]
	v_fmac_f64_e32 v[86:87], v[82:83], v[108:109]
	v_add_f64_e32 v[84:85], v[4:5], v[84:85]
	v_add_f64_e32 v[8:9], v[8:9], v[88:89]
	ds_load_b128 v[76:79], v2 offset:960
	ds_load_b128 v[2:5], v2 offset:976
	v_fma_f64 v[80:81], v[80:81], v[108:109], -v[90:91]
	s_wait_loadcnt_dscnt 0x201
	v_mul_f64_e32 v[88:89], v[76:77], v[118:119]
	v_mul_f64_e32 v[94:95], v[78:79], v[118:119]
	v_add_f64_e32 v[82:83], v[84:85], v[92:93]
	v_add_f64_e32 v[8:9], v[8:9], v[96:97]
	s_wait_loadcnt_dscnt 0x0
	v_mul_f64_e32 v[84:85], v[2:3], v[12:13]
	v_mul_f64_e32 v[12:13], v[4:5], v[12:13]
	v_fmac_f64_e32 v[88:89], v[78:79], v[116:117]
	v_fma_f64 v[76:77], v[76:77], v[116:117], -v[94:95]
	v_add_f64_e32 v[78:79], v[82:83], v[80:81]
	v_add_f64_e32 v[8:9], v[8:9], v[86:87]
	v_fmac_f64_e32 v[84:85], v[4:5], v[10:11]
	v_fma_f64 v[2:3], v[2:3], v[10:11], -v[12:13]
	s_delay_alu instid0(VALU_DEP_4) | instskip(NEXT) | instid1(VALU_DEP_4)
	v_add_f64_e32 v[4:5], v[78:79], v[76:77]
	v_add_f64_e32 v[8:9], v[8:9], v[88:89]
	s_delay_alu instid0(VALU_DEP_2) | instskip(NEXT) | instid1(VALU_DEP_2)
	v_add_f64_e32 v[2:3], v[4:5], v[2:3]
	v_add_f64_e32 v[4:5], v[8:9], v[84:85]
	s_delay_alu instid0(VALU_DEP_2) | instskip(NEXT) | instid1(VALU_DEP_2)
	v_add_f64_e64 v[2:3], v[124:125], -v[2:3]
	v_add_f64_e64 v[4:5], v[126:127], -v[4:5]
	scratch_store_b128 off, v[2:5], off offset:288
	s_wait_xcnt 0x0
	v_cmpx_lt_u32_e32 17, v1
	s_cbranch_execz .LBB94_165
; %bb.164:
	scratch_load_b128 v[2:5], off, s29
	v_mov_b32_e32 v8, 0
	s_delay_alu instid0(VALU_DEP_1)
	v_dual_mov_b32 v9, v8 :: v_dual_mov_b32 v10, v8
	v_mov_b32_e32 v11, v8
	scratch_store_b128 off, v[8:11], off offset:272
	s_wait_loadcnt 0x0
	ds_store_b128 v6, v[2:5]
.LBB94_165:
	s_wait_xcnt 0x0
	s_or_b32 exec_lo, exec_lo, s2
	s_wait_storecnt_dscnt 0x0
	s_barrier_signal -1
	s_barrier_wait -1
	s_clause 0x9
	scratch_load_b128 v[8:11], off, off offset:288
	scratch_load_b128 v[76:79], off, off offset:304
	;; [unrolled: 1-line block ×10, first 2 shown]
	v_mov_b32_e32 v2, 0
	s_mov_b32 s2, exec_lo
	ds_load_b128 v[112:115], v2 offset:784
	s_clause 0x2
	scratch_load_b128 v[116:119], off, off offset:448
	scratch_load_b128 v[120:123], off, off offset:272
	;; [unrolled: 1-line block ×3, first 2 shown]
	s_wait_loadcnt_dscnt 0xc00
	v_mul_f64_e32 v[4:5], v[114:115], v[10:11]
	v_mul_f64_e32 v[136:137], v[112:113], v[10:11]
	ds_load_b128 v[124:127], v2 offset:800
	scratch_load_b128 v[10:13], off, off offset:464
	ds_load_b128 v[132:135], v2 offset:832
	v_fma_f64 v[4:5], v[112:113], v[8:9], -v[4:5]
	v_fmac_f64_e32 v[136:137], v[114:115], v[8:9]
	ds_load_b128 v[112:115], v2 offset:816
	s_wait_loadcnt_dscnt 0xc02
	v_mul_f64_e32 v[138:139], v[124:125], v[78:79]
	v_mul_f64_e32 v[78:79], v[126:127], v[78:79]
	s_wait_loadcnt_dscnt 0xb00
	v_mul_f64_e32 v[8:9], v[112:113], v[82:83]
	v_mul_f64_e32 v[82:83], v[114:115], v[82:83]
	v_add_f64_e32 v[4:5], 0, v[4:5]
	v_fmac_f64_e32 v[138:139], v[126:127], v[76:77]
	v_fma_f64 v[76:77], v[124:125], v[76:77], -v[78:79]
	v_add_f64_e32 v[78:79], 0, v[136:137]
	s_wait_loadcnt 0xa
	v_mul_f64_e32 v[124:125], v[132:133], v[86:87]
	v_mul_f64_e32 v[86:87], v[134:135], v[86:87]
	v_fmac_f64_e32 v[8:9], v[114:115], v[80:81]
	v_fma_f64 v[112:113], v[112:113], v[80:81], -v[82:83]
	v_add_f64_e32 v[4:5], v[4:5], v[76:77]
	v_add_f64_e32 v[114:115], v[78:79], v[138:139]
	ds_load_b128 v[76:79], v2 offset:848
	ds_load_b128 v[80:83], v2 offset:864
	v_fmac_f64_e32 v[124:125], v[134:135], v[84:85]
	v_fma_f64 v[84:85], v[132:133], v[84:85], -v[86:87]
	s_wait_loadcnt_dscnt 0x901
	v_mul_f64_e32 v[126:127], v[76:77], v[90:91]
	v_mul_f64_e32 v[90:91], v[78:79], v[90:91]
	v_add_f64_e32 v[4:5], v[4:5], v[112:113]
	v_add_f64_e32 v[8:9], v[114:115], v[8:9]
	s_wait_loadcnt_dscnt 0x800
	v_mul_f64_e32 v[112:113], v[80:81], v[94:95]
	v_mul_f64_e32 v[94:95], v[82:83], v[94:95]
	v_fmac_f64_e32 v[126:127], v[78:79], v[88:89]
	v_fma_f64 v[88:89], v[76:77], v[88:89], -v[90:91]
	v_add_f64_e32 v[4:5], v[4:5], v[84:85]
	v_add_f64_e32 v[8:9], v[8:9], v[124:125]
	ds_load_b128 v[76:79], v2 offset:880
	ds_load_b128 v[84:87], v2 offset:896
	v_fmac_f64_e32 v[112:113], v[82:83], v[92:93]
	v_fma_f64 v[80:81], v[80:81], v[92:93], -v[94:95]
	s_wait_loadcnt_dscnt 0x701
	v_mul_f64_e32 v[90:91], v[76:77], v[98:99]
	v_mul_f64_e32 v[98:99], v[78:79], v[98:99]
	s_wait_loadcnt_dscnt 0x600
	v_mul_f64_e32 v[92:93], v[86:87], v[102:103]
	v_add_f64_e32 v[4:5], v[4:5], v[88:89]
	v_add_f64_e32 v[8:9], v[8:9], v[126:127]
	v_mul_f64_e32 v[88:89], v[84:85], v[102:103]
	v_fmac_f64_e32 v[90:91], v[78:79], v[96:97]
	v_fma_f64 v[94:95], v[76:77], v[96:97], -v[98:99]
	v_fma_f64 v[84:85], v[84:85], v[100:101], -v[92:93]
	v_add_f64_e32 v[4:5], v[4:5], v[80:81]
	v_add_f64_e32 v[8:9], v[8:9], v[112:113]
	ds_load_b128 v[76:79], v2 offset:912
	ds_load_b128 v[80:83], v2 offset:928
	v_fmac_f64_e32 v[88:89], v[86:87], v[100:101]
	s_wait_loadcnt_dscnt 0x501
	v_mul_f64_e32 v[96:97], v[76:77], v[106:107]
	v_mul_f64_e32 v[98:99], v[78:79], v[106:107]
	s_wait_loadcnt_dscnt 0x400
	v_mul_f64_e32 v[92:93], v[82:83], v[110:111]
	v_add_f64_e32 v[4:5], v[4:5], v[94:95]
	v_add_f64_e32 v[8:9], v[8:9], v[90:91]
	v_mul_f64_e32 v[90:91], v[80:81], v[110:111]
	v_fmac_f64_e32 v[96:97], v[78:79], v[104:105]
	v_fma_f64 v[94:95], v[76:77], v[104:105], -v[98:99]
	v_fma_f64 v[80:81], v[80:81], v[108:109], -v[92:93]
	v_add_f64_e32 v[4:5], v[4:5], v[84:85]
	v_add_f64_e32 v[8:9], v[8:9], v[88:89]
	ds_load_b128 v[76:79], v2 offset:944
	ds_load_b128 v[84:87], v2 offset:960
	v_fmac_f64_e32 v[90:91], v[82:83], v[108:109]
	s_wait_loadcnt_dscnt 0x301
	v_mul_f64_e32 v[88:89], v[76:77], v[118:119]
	v_mul_f64_e32 v[98:99], v[78:79], v[118:119]
	s_wait_loadcnt_dscnt 0x0
	v_mul_f64_e32 v[82:83], v[84:85], v[12:13]
	v_add_f64_e32 v[4:5], v[4:5], v[94:95]
	v_add_f64_e32 v[8:9], v[8:9], v[96:97]
	v_mul_f64_e32 v[12:13], v[86:87], v[12:13]
	v_fmac_f64_e32 v[88:89], v[78:79], v[116:117]
	v_fma_f64 v[92:93], v[76:77], v[116:117], -v[98:99]
	ds_load_b128 v[76:79], v2 offset:976
	v_fmac_f64_e32 v[82:83], v[86:87], v[10:11]
	v_add_f64_e32 v[4:5], v[4:5], v[80:81]
	v_add_f64_e32 v[8:9], v[8:9], v[90:91]
	v_fma_f64 v[10:11], v[84:85], v[10:11], -v[12:13]
	s_wait_dscnt 0x0
	v_mul_f64_e32 v[80:81], v[76:77], v[130:131]
	v_mul_f64_e32 v[90:91], v[78:79], v[130:131]
	v_add_f64_e32 v[4:5], v[4:5], v[92:93]
	v_add_f64_e32 v[8:9], v[8:9], v[88:89]
	s_delay_alu instid0(VALU_DEP_4) | instskip(NEXT) | instid1(VALU_DEP_4)
	v_fmac_f64_e32 v[80:81], v[78:79], v[128:129]
	v_fma_f64 v[12:13], v[76:77], v[128:129], -v[90:91]
	s_delay_alu instid0(VALU_DEP_4) | instskip(NEXT) | instid1(VALU_DEP_4)
	v_add_f64_e32 v[4:5], v[4:5], v[10:11]
	v_add_f64_e32 v[8:9], v[8:9], v[82:83]
	s_delay_alu instid0(VALU_DEP_2) | instskip(NEXT) | instid1(VALU_DEP_2)
	v_add_f64_e32 v[4:5], v[4:5], v[12:13]
	v_add_f64_e32 v[10:11], v[8:9], v[80:81]
	s_delay_alu instid0(VALU_DEP_2) | instskip(NEXT) | instid1(VALU_DEP_2)
	v_add_f64_e64 v[8:9], v[120:121], -v[4:5]
	v_add_f64_e64 v[10:11], v[122:123], -v[10:11]
	scratch_store_b128 off, v[8:11], off offset:272
	s_wait_xcnt 0x0
	v_cmpx_lt_u32_e32 16, v1
	s_cbranch_execz .LBB94_167
; %bb.166:
	scratch_load_b128 v[8:11], off, s30
	v_dual_mov_b32 v3, v2 :: v_dual_mov_b32 v4, v2
	v_mov_b32_e32 v5, v2
	scratch_store_b128 off, v[2:5], off offset:256
	s_wait_loadcnt 0x0
	ds_store_b128 v6, v[8:11]
.LBB94_167:
	s_wait_xcnt 0x0
	s_or_b32 exec_lo, exec_lo, s2
	s_wait_storecnt_dscnt 0x0
	s_barrier_signal -1
	s_barrier_wait -1
	s_clause 0x9
	scratch_load_b128 v[8:11], off, off offset:272
	scratch_load_b128 v[76:79], off, off offset:288
	;; [unrolled: 1-line block ×10, first 2 shown]
	ds_load_b128 v[112:115], v2 offset:768
	ds_load_b128 v[120:123], v2 offset:784
	s_clause 0x1
	scratch_load_b128 v[116:119], off, off offset:432
	scratch_load_b128 v[124:127], off, off offset:256
	s_mov_b32 s2, exec_lo
	s_wait_loadcnt_dscnt 0xb01
	v_mul_f64_e32 v[4:5], v[114:115], v[10:11]
	v_mul_f64_e32 v[136:137], v[112:113], v[10:11]
	scratch_load_b128 v[10:13], off, off offset:448
	s_wait_loadcnt_dscnt 0xb00
	v_mul_f64_e32 v[138:139], v[120:121], v[78:79]
	v_mul_f64_e32 v[78:79], v[122:123], v[78:79]
	v_fma_f64 v[4:5], v[112:113], v[8:9], -v[4:5]
	v_fmac_f64_e32 v[136:137], v[114:115], v[8:9]
	ds_load_b128 v[112:115], v2 offset:800
	ds_load_b128 v[128:131], v2 offset:816
	scratch_load_b128 v[132:135], off, off offset:464
	v_fmac_f64_e32 v[138:139], v[122:123], v[76:77]
	v_fma_f64 v[120:121], v[120:121], v[76:77], -v[78:79]
	scratch_load_b128 v[76:79], off, off offset:480
	s_wait_loadcnt_dscnt 0xc01
	v_mul_f64_e32 v[8:9], v[112:113], v[82:83]
	v_mul_f64_e32 v[82:83], v[114:115], v[82:83]
	v_add_f64_e32 v[4:5], 0, v[4:5]
	v_add_f64_e32 v[122:123], 0, v[136:137]
	s_wait_loadcnt_dscnt 0xb00
	v_mul_f64_e32 v[136:137], v[128:129], v[86:87]
	v_mul_f64_e32 v[86:87], v[130:131], v[86:87]
	v_fmac_f64_e32 v[8:9], v[114:115], v[80:81]
	v_fma_f64 v[140:141], v[112:113], v[80:81], -v[82:83]
	ds_load_b128 v[80:83], v2 offset:832
	ds_load_b128 v[112:115], v2 offset:848
	v_add_f64_e32 v[4:5], v[4:5], v[120:121]
	v_add_f64_e32 v[120:121], v[122:123], v[138:139]
	v_fmac_f64_e32 v[136:137], v[130:131], v[84:85]
	v_fma_f64 v[84:85], v[128:129], v[84:85], -v[86:87]
	s_wait_loadcnt_dscnt 0xa01
	v_mul_f64_e32 v[122:123], v[80:81], v[90:91]
	v_mul_f64_e32 v[90:91], v[82:83], v[90:91]
	v_add_f64_e32 v[4:5], v[4:5], v[140:141]
	v_add_f64_e32 v[8:9], v[120:121], v[8:9]
	s_wait_loadcnt_dscnt 0x900
	v_mul_f64_e32 v[120:121], v[112:113], v[94:95]
	v_mul_f64_e32 v[94:95], v[114:115], v[94:95]
	v_fmac_f64_e32 v[122:123], v[82:83], v[88:89]
	v_fma_f64 v[88:89], v[80:81], v[88:89], -v[90:91]
	v_add_f64_e32 v[4:5], v[4:5], v[84:85]
	v_add_f64_e32 v[8:9], v[8:9], v[136:137]
	ds_load_b128 v[80:83], v2 offset:864
	ds_load_b128 v[84:87], v2 offset:880
	v_fmac_f64_e32 v[120:121], v[114:115], v[92:93]
	v_fma_f64 v[92:93], v[112:113], v[92:93], -v[94:95]
	s_wait_loadcnt_dscnt 0x801
	v_mul_f64_e32 v[128:129], v[80:81], v[98:99]
	v_mul_f64_e32 v[90:91], v[82:83], v[98:99]
	s_wait_loadcnt_dscnt 0x700
	v_mul_f64_e32 v[94:95], v[84:85], v[102:103]
	v_mul_f64_e32 v[98:99], v[86:87], v[102:103]
	v_add_f64_e32 v[4:5], v[4:5], v[88:89]
	v_add_f64_e32 v[8:9], v[8:9], v[122:123]
	v_fmac_f64_e32 v[128:129], v[82:83], v[96:97]
	v_fma_f64 v[96:97], v[80:81], v[96:97], -v[90:91]
	ds_load_b128 v[80:83], v2 offset:896
	ds_load_b128 v[88:91], v2 offset:912
	v_fmac_f64_e32 v[94:95], v[86:87], v[100:101]
	v_fma_f64 v[84:85], v[84:85], v[100:101], -v[98:99]
	v_add_f64_e32 v[4:5], v[4:5], v[92:93]
	v_add_f64_e32 v[8:9], v[8:9], v[120:121]
	s_wait_loadcnt_dscnt 0x601
	v_mul_f64_e32 v[92:93], v[80:81], v[106:107]
	v_mul_f64_e32 v[102:103], v[82:83], v[106:107]
	s_wait_loadcnt_dscnt 0x500
	v_mul_f64_e32 v[98:99], v[90:91], v[110:111]
	v_add_f64_e32 v[4:5], v[4:5], v[96:97]
	v_add_f64_e32 v[8:9], v[8:9], v[128:129]
	v_mul_f64_e32 v[96:97], v[88:89], v[110:111]
	v_fmac_f64_e32 v[92:93], v[82:83], v[104:105]
	v_fma_f64 v[100:101], v[80:81], v[104:105], -v[102:103]
	v_fma_f64 v[88:89], v[88:89], v[108:109], -v[98:99]
	v_add_f64_e32 v[4:5], v[4:5], v[84:85]
	v_add_f64_e32 v[8:9], v[8:9], v[94:95]
	ds_load_b128 v[80:83], v2 offset:928
	ds_load_b128 v[84:87], v2 offset:944
	v_fmac_f64_e32 v[96:97], v[90:91], v[108:109]
	s_wait_loadcnt_dscnt 0x401
	v_mul_f64_e32 v[94:95], v[80:81], v[118:119]
	v_mul_f64_e32 v[102:103], v[82:83], v[118:119]
	v_add_f64_e32 v[4:5], v[4:5], v[100:101]
	v_add_f64_e32 v[8:9], v[8:9], v[92:93]
	s_wait_loadcnt_dscnt 0x200
	v_mul_f64_e32 v[90:91], v[84:85], v[12:13]
	v_mul_f64_e32 v[12:13], v[86:87], v[12:13]
	v_fmac_f64_e32 v[94:95], v[82:83], v[116:117]
	v_fma_f64 v[92:93], v[80:81], v[116:117], -v[102:103]
	v_add_f64_e32 v[88:89], v[4:5], v[88:89]
	v_add_f64_e32 v[8:9], v[8:9], v[96:97]
	ds_load_b128 v[80:83], v2 offset:960
	ds_load_b128 v[2:5], v2 offset:976
	v_fmac_f64_e32 v[90:91], v[86:87], v[10:11]
	v_fma_f64 v[10:11], v[84:85], v[10:11], -v[12:13]
	s_wait_loadcnt_dscnt 0x101
	v_mul_f64_e32 v[96:97], v[80:81], v[134:135]
	v_mul_f64_e32 v[98:99], v[82:83], v[134:135]
	s_wait_loadcnt_dscnt 0x0
	v_mul_f64_e32 v[84:85], v[2:3], v[78:79]
	v_mul_f64_e32 v[78:79], v[4:5], v[78:79]
	v_add_f64_e32 v[12:13], v[88:89], v[92:93]
	v_add_f64_e32 v[8:9], v[8:9], v[94:95]
	v_fmac_f64_e32 v[96:97], v[82:83], v[132:133]
	v_fma_f64 v[80:81], v[80:81], v[132:133], -v[98:99]
	v_fmac_f64_e32 v[84:85], v[4:5], v[76:77]
	v_fma_f64 v[2:3], v[2:3], v[76:77], -v[78:79]
	v_add_f64_e32 v[10:11], v[12:13], v[10:11]
	v_add_f64_e32 v[8:9], v[8:9], v[90:91]
	s_delay_alu instid0(VALU_DEP_2) | instskip(NEXT) | instid1(VALU_DEP_2)
	v_add_f64_e32 v[4:5], v[10:11], v[80:81]
	v_add_f64_e32 v[8:9], v[8:9], v[96:97]
	s_delay_alu instid0(VALU_DEP_2) | instskip(NEXT) | instid1(VALU_DEP_2)
	v_add_f64_e32 v[2:3], v[4:5], v[2:3]
	v_add_f64_e32 v[4:5], v[8:9], v[84:85]
	s_delay_alu instid0(VALU_DEP_2) | instskip(NEXT) | instid1(VALU_DEP_2)
	v_add_f64_e64 v[2:3], v[124:125], -v[2:3]
	v_add_f64_e64 v[4:5], v[126:127], -v[4:5]
	scratch_store_b128 off, v[2:5], off offset:256
	s_wait_xcnt 0x0
	v_cmpx_lt_u32_e32 15, v1
	s_cbranch_execz .LBB94_169
; %bb.168:
	scratch_load_b128 v[2:5], off, s31
	v_mov_b32_e32 v8, 0
	s_delay_alu instid0(VALU_DEP_1)
	v_dual_mov_b32 v9, v8 :: v_dual_mov_b32 v10, v8
	v_mov_b32_e32 v11, v8
	scratch_store_b128 off, v[8:11], off offset:240
	s_wait_loadcnt 0x0
	ds_store_b128 v6, v[2:5]
.LBB94_169:
	s_wait_xcnt 0x0
	s_or_b32 exec_lo, exec_lo, s2
	s_wait_storecnt_dscnt 0x0
	s_barrier_signal -1
	s_barrier_wait -1
	s_clause 0x9
	scratch_load_b128 v[8:11], off, off offset:256
	scratch_load_b128 v[76:79], off, off offset:272
	;; [unrolled: 1-line block ×10, first 2 shown]
	v_mov_b32_e32 v2, 0
	s_mov_b32 s2, exec_lo
	ds_load_b128 v[112:115], v2 offset:752
	s_clause 0x2
	scratch_load_b128 v[116:119], off, off offset:416
	scratch_load_b128 v[120:123], off, off offset:240
	;; [unrolled: 1-line block ×3, first 2 shown]
	s_wait_loadcnt_dscnt 0xc00
	v_mul_f64_e32 v[4:5], v[114:115], v[10:11]
	v_mul_f64_e32 v[136:137], v[112:113], v[10:11]
	ds_load_b128 v[124:127], v2 offset:768
	scratch_load_b128 v[10:13], off, off offset:432
	ds_load_b128 v[132:135], v2 offset:800
	v_fma_f64 v[4:5], v[112:113], v[8:9], -v[4:5]
	v_fmac_f64_e32 v[136:137], v[114:115], v[8:9]
	ds_load_b128 v[112:115], v2 offset:784
	s_wait_loadcnt_dscnt 0xc02
	v_mul_f64_e32 v[138:139], v[124:125], v[78:79]
	v_mul_f64_e32 v[78:79], v[126:127], v[78:79]
	s_wait_loadcnt_dscnt 0xb00
	v_mul_f64_e32 v[8:9], v[112:113], v[82:83]
	v_mul_f64_e32 v[82:83], v[114:115], v[82:83]
	v_add_f64_e32 v[4:5], 0, v[4:5]
	v_fmac_f64_e32 v[138:139], v[126:127], v[76:77]
	v_fma_f64 v[124:125], v[124:125], v[76:77], -v[78:79]
	v_add_f64_e32 v[126:127], 0, v[136:137]
	scratch_load_b128 v[76:79], off, off offset:464
	v_fmac_f64_e32 v[8:9], v[114:115], v[80:81]
	v_fma_f64 v[140:141], v[112:113], v[80:81], -v[82:83]
	ds_load_b128 v[80:83], v2 offset:816
	s_wait_loadcnt 0xb
	v_mul_f64_e32 v[136:137], v[132:133], v[86:87]
	v_mul_f64_e32 v[86:87], v[134:135], v[86:87]
	scratch_load_b128 v[112:115], off, off offset:480
	v_add_f64_e32 v[4:5], v[4:5], v[124:125]
	v_add_f64_e32 v[138:139], v[126:127], v[138:139]
	ds_load_b128 v[124:127], v2 offset:832
	s_wait_loadcnt_dscnt 0xb01
	v_mul_f64_e32 v[142:143], v[80:81], v[90:91]
	v_mul_f64_e32 v[90:91], v[82:83], v[90:91]
	v_fmac_f64_e32 v[136:137], v[134:135], v[84:85]
	v_fma_f64 v[84:85], v[132:133], v[84:85], -v[86:87]
	s_wait_loadcnt_dscnt 0xa00
	v_mul_f64_e32 v[132:133], v[124:125], v[94:95]
	v_mul_f64_e32 v[94:95], v[126:127], v[94:95]
	v_add_f64_e32 v[4:5], v[4:5], v[140:141]
	v_add_f64_e32 v[8:9], v[138:139], v[8:9]
	v_fmac_f64_e32 v[142:143], v[82:83], v[88:89]
	v_fma_f64 v[88:89], v[80:81], v[88:89], -v[90:91]
	v_fmac_f64_e32 v[132:133], v[126:127], v[92:93]
	v_fma_f64 v[92:93], v[124:125], v[92:93], -v[94:95]
	v_add_f64_e32 v[4:5], v[4:5], v[84:85]
	v_add_f64_e32 v[8:9], v[8:9], v[136:137]
	ds_load_b128 v[80:83], v2 offset:848
	ds_load_b128 v[84:87], v2 offset:864
	s_wait_loadcnt_dscnt 0x901
	v_mul_f64_e32 v[134:135], v[80:81], v[98:99]
	v_mul_f64_e32 v[90:91], v[82:83], v[98:99]
	s_wait_loadcnt_dscnt 0x800
	v_mul_f64_e32 v[94:95], v[84:85], v[102:103]
	v_mul_f64_e32 v[98:99], v[86:87], v[102:103]
	v_add_f64_e32 v[4:5], v[4:5], v[88:89]
	v_add_f64_e32 v[8:9], v[8:9], v[142:143]
	v_fmac_f64_e32 v[134:135], v[82:83], v[96:97]
	v_fma_f64 v[96:97], v[80:81], v[96:97], -v[90:91]
	ds_load_b128 v[80:83], v2 offset:880
	ds_load_b128 v[88:91], v2 offset:896
	v_fmac_f64_e32 v[94:95], v[86:87], v[100:101]
	v_fma_f64 v[84:85], v[84:85], v[100:101], -v[98:99]
	v_add_f64_e32 v[4:5], v[4:5], v[92:93]
	v_add_f64_e32 v[8:9], v[8:9], v[132:133]
	s_wait_loadcnt_dscnt 0x701
	v_mul_f64_e32 v[92:93], v[80:81], v[106:107]
	v_mul_f64_e32 v[102:103], v[82:83], v[106:107]
	s_wait_loadcnt_dscnt 0x600
	v_mul_f64_e32 v[98:99], v[90:91], v[110:111]
	v_add_f64_e32 v[4:5], v[4:5], v[96:97]
	v_add_f64_e32 v[8:9], v[8:9], v[134:135]
	v_mul_f64_e32 v[96:97], v[88:89], v[110:111]
	v_fmac_f64_e32 v[92:93], v[82:83], v[104:105]
	v_fma_f64 v[100:101], v[80:81], v[104:105], -v[102:103]
	v_fma_f64 v[88:89], v[88:89], v[108:109], -v[98:99]
	v_add_f64_e32 v[4:5], v[4:5], v[84:85]
	v_add_f64_e32 v[8:9], v[8:9], v[94:95]
	ds_load_b128 v[80:83], v2 offset:912
	ds_load_b128 v[84:87], v2 offset:928
	v_fmac_f64_e32 v[96:97], v[90:91], v[108:109]
	s_wait_loadcnt_dscnt 0x501
	v_mul_f64_e32 v[94:95], v[80:81], v[118:119]
	v_mul_f64_e32 v[102:103], v[82:83], v[118:119]
	v_add_f64_e32 v[4:5], v[4:5], v[100:101]
	v_add_f64_e32 v[8:9], v[8:9], v[92:93]
	s_wait_loadcnt_dscnt 0x200
	v_mul_f64_e32 v[92:93], v[84:85], v[12:13]
	v_mul_f64_e32 v[12:13], v[86:87], v[12:13]
	v_fmac_f64_e32 v[94:95], v[82:83], v[116:117]
	v_fma_f64 v[98:99], v[80:81], v[116:117], -v[102:103]
	v_add_f64_e32 v[4:5], v[4:5], v[88:89]
	v_add_f64_e32 v[8:9], v[8:9], v[96:97]
	ds_load_b128 v[80:83], v2 offset:944
	ds_load_b128 v[88:91], v2 offset:960
	v_fmac_f64_e32 v[92:93], v[86:87], v[10:11]
	v_fma_f64 v[10:11], v[84:85], v[10:11], -v[12:13]
	s_wait_dscnt 0x1
	v_mul_f64_e32 v[96:97], v[80:81], v[130:131]
	v_mul_f64_e32 v[100:101], v[82:83], v[130:131]
	v_add_f64_e32 v[4:5], v[4:5], v[98:99]
	v_add_f64_e32 v[8:9], v[8:9], v[94:95]
	s_wait_loadcnt_dscnt 0x100
	v_mul_f64_e32 v[12:13], v[88:89], v[78:79]
	v_mul_f64_e32 v[78:79], v[90:91], v[78:79]
	v_fmac_f64_e32 v[96:97], v[82:83], v[128:129]
	v_fma_f64 v[80:81], v[80:81], v[128:129], -v[100:101]
	v_add_f64_e32 v[4:5], v[4:5], v[10:11]
	v_add_f64_e32 v[82:83], v[8:9], v[92:93]
	ds_load_b128 v[8:11], v2 offset:976
	v_fmac_f64_e32 v[12:13], v[90:91], v[76:77]
	v_fma_f64 v[76:77], v[88:89], v[76:77], -v[78:79]
	s_wait_loadcnt_dscnt 0x0
	v_mul_f64_e32 v[84:85], v[8:9], v[114:115]
	v_mul_f64_e32 v[86:87], v[10:11], v[114:115]
	v_add_f64_e32 v[4:5], v[4:5], v[80:81]
	v_add_f64_e32 v[78:79], v[82:83], v[96:97]
	s_delay_alu instid0(VALU_DEP_4) | instskip(NEXT) | instid1(VALU_DEP_4)
	v_fmac_f64_e32 v[84:85], v[10:11], v[112:113]
	v_fma_f64 v[8:9], v[8:9], v[112:113], -v[86:87]
	s_delay_alu instid0(VALU_DEP_4) | instskip(NEXT) | instid1(VALU_DEP_4)
	v_add_f64_e32 v[4:5], v[4:5], v[76:77]
	v_add_f64_e32 v[10:11], v[78:79], v[12:13]
	s_delay_alu instid0(VALU_DEP_2) | instskip(NEXT) | instid1(VALU_DEP_2)
	v_add_f64_e32 v[4:5], v[4:5], v[8:9]
	v_add_f64_e32 v[10:11], v[10:11], v[84:85]
	s_delay_alu instid0(VALU_DEP_2) | instskip(NEXT) | instid1(VALU_DEP_2)
	v_add_f64_e64 v[8:9], v[120:121], -v[4:5]
	v_add_f64_e64 v[10:11], v[122:123], -v[10:11]
	scratch_store_b128 off, v[8:11], off offset:240
	s_wait_xcnt 0x0
	v_cmpx_lt_u32_e32 14, v1
	s_cbranch_execz .LBB94_171
; %bb.170:
	scratch_load_b128 v[8:11], off, s33
	v_dual_mov_b32 v3, v2 :: v_dual_mov_b32 v4, v2
	v_mov_b32_e32 v5, v2
	scratch_store_b128 off, v[2:5], off offset:224
	s_wait_loadcnt 0x0
	ds_store_b128 v6, v[8:11]
.LBB94_171:
	s_wait_xcnt 0x0
	s_or_b32 exec_lo, exec_lo, s2
	s_wait_storecnt_dscnt 0x0
	s_barrier_signal -1
	s_barrier_wait -1
	s_clause 0x9
	scratch_load_b128 v[8:11], off, off offset:240
	scratch_load_b128 v[76:79], off, off offset:256
	;; [unrolled: 1-line block ×10, first 2 shown]
	ds_load_b128 v[112:115], v2 offset:736
	ds_load_b128 v[120:123], v2 offset:752
	s_clause 0x1
	scratch_load_b128 v[116:119], off, off offset:400
	scratch_load_b128 v[124:127], off, off offset:224
	s_mov_b32 s2, exec_lo
	s_wait_loadcnt_dscnt 0xb01
	v_mul_f64_e32 v[4:5], v[114:115], v[10:11]
	v_mul_f64_e32 v[136:137], v[112:113], v[10:11]
	scratch_load_b128 v[10:13], off, off offset:416
	s_wait_loadcnt_dscnt 0xb00
	v_mul_f64_e32 v[138:139], v[120:121], v[78:79]
	v_mul_f64_e32 v[78:79], v[122:123], v[78:79]
	v_fma_f64 v[4:5], v[112:113], v[8:9], -v[4:5]
	v_fmac_f64_e32 v[136:137], v[114:115], v[8:9]
	ds_load_b128 v[112:115], v2 offset:768
	ds_load_b128 v[128:131], v2 offset:784
	scratch_load_b128 v[132:135], off, off offset:432
	v_fmac_f64_e32 v[138:139], v[122:123], v[76:77]
	v_fma_f64 v[120:121], v[120:121], v[76:77], -v[78:79]
	scratch_load_b128 v[76:79], off, off offset:448
	s_wait_loadcnt_dscnt 0xc01
	v_mul_f64_e32 v[8:9], v[112:113], v[82:83]
	v_mul_f64_e32 v[82:83], v[114:115], v[82:83]
	v_add_f64_e32 v[4:5], 0, v[4:5]
	v_add_f64_e32 v[122:123], 0, v[136:137]
	s_wait_loadcnt_dscnt 0xb00
	v_mul_f64_e32 v[136:137], v[128:129], v[86:87]
	v_mul_f64_e32 v[86:87], v[130:131], v[86:87]
	v_fmac_f64_e32 v[8:9], v[114:115], v[80:81]
	v_fma_f64 v[140:141], v[112:113], v[80:81], -v[82:83]
	ds_load_b128 v[80:83], v2 offset:800
	ds_load_b128 v[112:115], v2 offset:816
	v_add_f64_e32 v[4:5], v[4:5], v[120:121]
	v_add_f64_e32 v[138:139], v[122:123], v[138:139]
	scratch_load_b128 v[120:123], off, off offset:464
	v_fmac_f64_e32 v[136:137], v[130:131], v[84:85]
	v_fma_f64 v[128:129], v[128:129], v[84:85], -v[86:87]
	scratch_load_b128 v[84:87], off, off offset:480
	s_wait_loadcnt_dscnt 0xc01
	v_mul_f64_e32 v[142:143], v[80:81], v[90:91]
	v_mul_f64_e32 v[90:91], v[82:83], v[90:91]
	s_wait_loadcnt_dscnt 0xb00
	v_mul_f64_e32 v[130:131], v[112:113], v[94:95]
	v_mul_f64_e32 v[94:95], v[114:115], v[94:95]
	v_add_f64_e32 v[4:5], v[4:5], v[140:141]
	v_add_f64_e32 v[8:9], v[138:139], v[8:9]
	v_fmac_f64_e32 v[142:143], v[82:83], v[88:89]
	v_fma_f64 v[138:139], v[80:81], v[88:89], -v[90:91]
	ds_load_b128 v[80:83], v2 offset:832
	ds_load_b128 v[88:91], v2 offset:848
	v_fmac_f64_e32 v[130:131], v[114:115], v[92:93]
	v_fma_f64 v[92:93], v[112:113], v[92:93], -v[94:95]
	s_wait_loadcnt_dscnt 0x900
	v_mul_f64_e32 v[112:113], v[88:89], v[102:103]
	v_add_f64_e32 v[4:5], v[4:5], v[128:129]
	v_add_f64_e32 v[8:9], v[8:9], v[136:137]
	v_mul_f64_e32 v[128:129], v[80:81], v[98:99]
	v_mul_f64_e32 v[98:99], v[82:83], v[98:99]
	v_mul_f64_e32 v[102:103], v[90:91], v[102:103]
	v_fmac_f64_e32 v[112:113], v[90:91], v[100:101]
	v_add_f64_e32 v[4:5], v[4:5], v[138:139]
	v_add_f64_e32 v[8:9], v[8:9], v[142:143]
	v_fmac_f64_e32 v[128:129], v[82:83], v[96:97]
	v_fma_f64 v[96:97], v[80:81], v[96:97], -v[98:99]
	v_fma_f64 v[88:89], v[88:89], v[100:101], -v[102:103]
	v_add_f64_e32 v[4:5], v[4:5], v[92:93]
	v_add_f64_e32 v[8:9], v[8:9], v[130:131]
	ds_load_b128 v[80:83], v2 offset:864
	ds_load_b128 v[92:95], v2 offset:880
	s_wait_loadcnt_dscnt 0x801
	v_mul_f64_e32 v[98:99], v[80:81], v[106:107]
	v_mul_f64_e32 v[106:107], v[82:83], v[106:107]
	s_wait_loadcnt_dscnt 0x700
	v_mul_f64_e32 v[100:101], v[94:95], v[110:111]
	v_add_f64_e32 v[4:5], v[4:5], v[96:97]
	v_add_f64_e32 v[8:9], v[8:9], v[128:129]
	v_mul_f64_e32 v[96:97], v[92:93], v[110:111]
	v_fmac_f64_e32 v[98:99], v[82:83], v[104:105]
	v_fma_f64 v[102:103], v[80:81], v[104:105], -v[106:107]
	v_fma_f64 v[92:93], v[92:93], v[108:109], -v[100:101]
	v_add_f64_e32 v[4:5], v[4:5], v[88:89]
	v_add_f64_e32 v[8:9], v[8:9], v[112:113]
	ds_load_b128 v[80:83], v2 offset:896
	ds_load_b128 v[88:91], v2 offset:912
	v_fmac_f64_e32 v[96:97], v[94:95], v[108:109]
	s_wait_loadcnt_dscnt 0x601
	v_mul_f64_e32 v[104:105], v[80:81], v[118:119]
	v_mul_f64_e32 v[106:107], v[82:83], v[118:119]
	v_add_f64_e32 v[4:5], v[4:5], v[102:103]
	v_add_f64_e32 v[8:9], v[8:9], v[98:99]
	s_wait_loadcnt_dscnt 0x400
	v_mul_f64_e32 v[98:99], v[88:89], v[12:13]
	v_mul_f64_e32 v[12:13], v[90:91], v[12:13]
	v_fmac_f64_e32 v[104:105], v[82:83], v[116:117]
	v_fma_f64 v[100:101], v[80:81], v[116:117], -v[106:107]
	v_add_f64_e32 v[4:5], v[4:5], v[92:93]
	v_add_f64_e32 v[8:9], v[8:9], v[96:97]
	ds_load_b128 v[80:83], v2 offset:928
	ds_load_b128 v[92:95], v2 offset:944
	v_fmac_f64_e32 v[98:99], v[90:91], v[10:11]
	v_fma_f64 v[10:11], v[88:89], v[10:11], -v[12:13]
	s_wait_loadcnt_dscnt 0x301
	v_mul_f64_e32 v[96:97], v[80:81], v[134:135]
	v_mul_f64_e32 v[102:103], v[82:83], v[134:135]
	s_wait_loadcnt_dscnt 0x200
	v_mul_f64_e32 v[12:13], v[92:93], v[78:79]
	v_mul_f64_e32 v[78:79], v[94:95], v[78:79]
	v_add_f64_e32 v[4:5], v[4:5], v[100:101]
	v_add_f64_e32 v[8:9], v[8:9], v[104:105]
	v_fmac_f64_e32 v[96:97], v[82:83], v[132:133]
	v_fma_f64 v[80:81], v[80:81], v[132:133], -v[102:103]
	v_fmac_f64_e32 v[12:13], v[94:95], v[76:77]
	v_fma_f64 v[76:77], v[92:93], v[76:77], -v[78:79]
	v_add_f64_e32 v[82:83], v[4:5], v[10:11]
	v_add_f64_e32 v[88:89], v[8:9], v[98:99]
	ds_load_b128 v[8:11], v2 offset:960
	ds_load_b128 v[2:5], v2 offset:976
	s_wait_loadcnt_dscnt 0x101
	v_mul_f64_e32 v[90:91], v[8:9], v[122:123]
	v_mul_f64_e32 v[98:99], v[10:11], v[122:123]
	v_add_f64_e32 v[78:79], v[82:83], v[80:81]
	v_add_f64_e32 v[80:81], v[88:89], v[96:97]
	s_wait_loadcnt_dscnt 0x0
	v_mul_f64_e32 v[82:83], v[2:3], v[86:87]
	v_mul_f64_e32 v[86:87], v[4:5], v[86:87]
	v_fmac_f64_e32 v[90:91], v[10:11], v[120:121]
	v_fma_f64 v[8:9], v[8:9], v[120:121], -v[98:99]
	v_add_f64_e32 v[10:11], v[78:79], v[76:77]
	v_add_f64_e32 v[12:13], v[80:81], v[12:13]
	v_fmac_f64_e32 v[82:83], v[4:5], v[84:85]
	v_fma_f64 v[2:3], v[2:3], v[84:85], -v[86:87]
	s_delay_alu instid0(VALU_DEP_4) | instskip(NEXT) | instid1(VALU_DEP_4)
	v_add_f64_e32 v[4:5], v[10:11], v[8:9]
	v_add_f64_e32 v[8:9], v[12:13], v[90:91]
	s_delay_alu instid0(VALU_DEP_2) | instskip(NEXT) | instid1(VALU_DEP_2)
	v_add_f64_e32 v[2:3], v[4:5], v[2:3]
	v_add_f64_e32 v[4:5], v[8:9], v[82:83]
	s_delay_alu instid0(VALU_DEP_2) | instskip(NEXT) | instid1(VALU_DEP_2)
	v_add_f64_e64 v[2:3], v[124:125], -v[2:3]
	v_add_f64_e64 v[4:5], v[126:127], -v[4:5]
	scratch_store_b128 off, v[2:5], off offset:224
	s_wait_xcnt 0x0
	v_cmpx_lt_u32_e32 13, v1
	s_cbranch_execz .LBB94_173
; %bb.172:
	scratch_load_b128 v[2:5], off, s34
	v_mov_b32_e32 v8, 0
	s_delay_alu instid0(VALU_DEP_1)
	v_dual_mov_b32 v9, v8 :: v_dual_mov_b32 v10, v8
	v_mov_b32_e32 v11, v8
	scratch_store_b128 off, v[8:11], off offset:208
	s_wait_loadcnt 0x0
	ds_store_b128 v6, v[2:5]
.LBB94_173:
	s_wait_xcnt 0x0
	s_or_b32 exec_lo, exec_lo, s2
	s_wait_storecnt_dscnt 0x0
	s_barrier_signal -1
	s_barrier_wait -1
	s_clause 0x9
	scratch_load_b128 v[8:11], off, off offset:224
	scratch_load_b128 v[76:79], off, off offset:240
	scratch_load_b128 v[80:83], off, off offset:256
	scratch_load_b128 v[84:87], off, off offset:272
	scratch_load_b128 v[88:91], off, off offset:288
	scratch_load_b128 v[92:95], off, off offset:304
	scratch_load_b128 v[96:99], off, off offset:320
	scratch_load_b128 v[100:103], off, off offset:336
	scratch_load_b128 v[104:107], off, off offset:352
	scratch_load_b128 v[108:111], off, off offset:368
	v_mov_b32_e32 v2, 0
	s_mov_b32 s2, exec_lo
	ds_load_b128 v[112:115], v2 offset:720
	s_clause 0x2
	scratch_load_b128 v[116:119], off, off offset:384
	scratch_load_b128 v[120:123], off, off offset:208
	;; [unrolled: 1-line block ×3, first 2 shown]
	s_wait_loadcnt_dscnt 0xc00
	v_mul_f64_e32 v[4:5], v[114:115], v[10:11]
	v_mul_f64_e32 v[136:137], v[112:113], v[10:11]
	ds_load_b128 v[124:127], v2 offset:736
	scratch_load_b128 v[10:13], off, off offset:400
	ds_load_b128 v[132:135], v2 offset:768
	v_fma_f64 v[4:5], v[112:113], v[8:9], -v[4:5]
	v_fmac_f64_e32 v[136:137], v[114:115], v[8:9]
	ds_load_b128 v[112:115], v2 offset:752
	s_wait_loadcnt_dscnt 0xc02
	v_mul_f64_e32 v[138:139], v[124:125], v[78:79]
	v_mul_f64_e32 v[78:79], v[126:127], v[78:79]
	s_wait_loadcnt_dscnt 0xb00
	v_mul_f64_e32 v[8:9], v[112:113], v[82:83]
	v_mul_f64_e32 v[82:83], v[114:115], v[82:83]
	v_add_f64_e32 v[4:5], 0, v[4:5]
	v_fmac_f64_e32 v[138:139], v[126:127], v[76:77]
	v_fma_f64 v[124:125], v[124:125], v[76:77], -v[78:79]
	v_add_f64_e32 v[126:127], 0, v[136:137]
	scratch_load_b128 v[76:79], off, off offset:432
	v_fmac_f64_e32 v[8:9], v[114:115], v[80:81]
	v_fma_f64 v[140:141], v[112:113], v[80:81], -v[82:83]
	ds_load_b128 v[80:83], v2 offset:784
	s_wait_loadcnt 0xb
	v_mul_f64_e32 v[136:137], v[132:133], v[86:87]
	v_mul_f64_e32 v[86:87], v[134:135], v[86:87]
	scratch_load_b128 v[112:115], off, off offset:448
	v_add_f64_e32 v[4:5], v[4:5], v[124:125]
	v_add_f64_e32 v[138:139], v[126:127], v[138:139]
	ds_load_b128 v[124:127], v2 offset:800
	s_wait_loadcnt_dscnt 0xb01
	v_mul_f64_e32 v[142:143], v[80:81], v[90:91]
	v_mul_f64_e32 v[90:91], v[82:83], v[90:91]
	v_fmac_f64_e32 v[136:137], v[134:135], v[84:85]
	v_fma_f64 v[132:133], v[132:133], v[84:85], -v[86:87]
	scratch_load_b128 v[84:87], off, off offset:464
	v_add_f64_e32 v[4:5], v[4:5], v[140:141]
	v_add_f64_e32 v[8:9], v[138:139], v[8:9]
	v_fmac_f64_e32 v[142:143], v[82:83], v[88:89]
	v_fma_f64 v[140:141], v[80:81], v[88:89], -v[90:91]
	ds_load_b128 v[80:83], v2 offset:816
	s_wait_loadcnt_dscnt 0xb01
	v_mul_f64_e32 v[138:139], v[124:125], v[94:95]
	v_mul_f64_e32 v[94:95], v[126:127], v[94:95]
	scratch_load_b128 v[88:91], off, off offset:480
	v_add_f64_e32 v[4:5], v[4:5], v[132:133]
	v_add_f64_e32 v[8:9], v[8:9], v[136:137]
	s_wait_loadcnt_dscnt 0xb00
	v_mul_f64_e32 v[136:137], v[80:81], v[98:99]
	v_mul_f64_e32 v[98:99], v[82:83], v[98:99]
	ds_load_b128 v[132:135], v2 offset:832
	v_fmac_f64_e32 v[138:139], v[126:127], v[92:93]
	v_fma_f64 v[92:93], v[124:125], v[92:93], -v[94:95]
	s_wait_loadcnt_dscnt 0xa00
	v_mul_f64_e32 v[124:125], v[132:133], v[102:103]
	v_mul_f64_e32 v[102:103], v[134:135], v[102:103]
	v_add_f64_e32 v[4:5], v[4:5], v[140:141]
	v_add_f64_e32 v[8:9], v[8:9], v[142:143]
	v_fmac_f64_e32 v[136:137], v[82:83], v[96:97]
	v_fma_f64 v[96:97], v[80:81], v[96:97], -v[98:99]
	v_fmac_f64_e32 v[124:125], v[134:135], v[100:101]
	v_fma_f64 v[100:101], v[132:133], v[100:101], -v[102:103]
	v_add_f64_e32 v[4:5], v[4:5], v[92:93]
	v_add_f64_e32 v[8:9], v[8:9], v[138:139]
	ds_load_b128 v[80:83], v2 offset:848
	ds_load_b128 v[92:95], v2 offset:864
	s_wait_loadcnt_dscnt 0x901
	v_mul_f64_e32 v[126:127], v[80:81], v[106:107]
	v_mul_f64_e32 v[98:99], v[82:83], v[106:107]
	s_wait_loadcnt_dscnt 0x800
	v_mul_f64_e32 v[102:103], v[92:93], v[110:111]
	v_mul_f64_e32 v[106:107], v[94:95], v[110:111]
	v_add_f64_e32 v[4:5], v[4:5], v[96:97]
	v_add_f64_e32 v[8:9], v[8:9], v[136:137]
	v_fmac_f64_e32 v[126:127], v[82:83], v[104:105]
	v_fma_f64 v[104:105], v[80:81], v[104:105], -v[98:99]
	ds_load_b128 v[80:83], v2 offset:880
	ds_load_b128 v[96:99], v2 offset:896
	v_fmac_f64_e32 v[102:103], v[94:95], v[108:109]
	v_fma_f64 v[92:93], v[92:93], v[108:109], -v[106:107]
	v_add_f64_e32 v[4:5], v[4:5], v[100:101]
	v_add_f64_e32 v[8:9], v[8:9], v[124:125]
	s_wait_loadcnt_dscnt 0x701
	v_mul_f64_e32 v[100:101], v[80:81], v[118:119]
	v_mul_f64_e32 v[110:111], v[82:83], v[118:119]
	s_delay_alu instid0(VALU_DEP_4) | instskip(NEXT) | instid1(VALU_DEP_4)
	v_add_f64_e32 v[4:5], v[4:5], v[104:105]
	v_add_f64_e32 v[8:9], v[8:9], v[126:127]
	s_wait_loadcnt_dscnt 0x400
	v_mul_f64_e32 v[104:105], v[96:97], v[12:13]
	v_mul_f64_e32 v[12:13], v[98:99], v[12:13]
	v_fmac_f64_e32 v[100:101], v[82:83], v[116:117]
	v_fma_f64 v[106:107], v[80:81], v[116:117], -v[110:111]
	v_add_f64_e32 v[4:5], v[4:5], v[92:93]
	v_add_f64_e32 v[8:9], v[8:9], v[102:103]
	ds_load_b128 v[80:83], v2 offset:912
	ds_load_b128 v[92:95], v2 offset:928
	v_fmac_f64_e32 v[104:105], v[98:99], v[10:11]
	v_fma_f64 v[10:11], v[96:97], v[10:11], -v[12:13]
	s_wait_dscnt 0x1
	v_mul_f64_e32 v[102:103], v[80:81], v[130:131]
	v_mul_f64_e32 v[108:109], v[82:83], v[130:131]
	v_add_f64_e32 v[4:5], v[4:5], v[106:107]
	v_add_f64_e32 v[8:9], v[8:9], v[100:101]
	s_wait_loadcnt_dscnt 0x300
	v_mul_f64_e32 v[12:13], v[92:93], v[78:79]
	v_mul_f64_e32 v[96:97], v[94:95], v[78:79]
	v_fmac_f64_e32 v[102:103], v[82:83], v[128:129]
	v_fma_f64 v[82:83], v[80:81], v[128:129], -v[108:109]
	v_add_f64_e32 v[4:5], v[4:5], v[10:11]
	v_add_f64_e32 v[98:99], v[8:9], v[104:105]
	ds_load_b128 v[8:11], v2 offset:944
	ds_load_b128 v[78:81], v2 offset:960
	v_fmac_f64_e32 v[12:13], v[94:95], v[76:77]
	v_fma_f64 v[76:77], v[92:93], v[76:77], -v[96:97]
	s_wait_loadcnt_dscnt 0x201
	v_mul_f64_e32 v[100:101], v[8:9], v[114:115]
	v_mul_f64_e32 v[104:105], v[10:11], v[114:115]
	s_wait_loadcnt_dscnt 0x100
	v_mul_f64_e32 v[92:93], v[78:79], v[86:87]
	v_mul_f64_e32 v[86:87], v[80:81], v[86:87]
	v_add_f64_e32 v[4:5], v[4:5], v[82:83]
	v_add_f64_e32 v[82:83], v[98:99], v[102:103]
	v_fmac_f64_e32 v[100:101], v[10:11], v[112:113]
	v_fma_f64 v[94:95], v[8:9], v[112:113], -v[104:105]
	ds_load_b128 v[8:11], v2 offset:976
	v_fmac_f64_e32 v[92:93], v[80:81], v[84:85]
	v_fma_f64 v[78:79], v[78:79], v[84:85], -v[86:87]
	v_add_f64_e32 v[4:5], v[4:5], v[76:77]
	v_add_f64_e32 v[12:13], v[82:83], v[12:13]
	s_wait_loadcnt_dscnt 0x0
	v_mul_f64_e32 v[76:77], v[8:9], v[90:91]
	v_mul_f64_e32 v[82:83], v[10:11], v[90:91]
	s_delay_alu instid0(VALU_DEP_4) | instskip(NEXT) | instid1(VALU_DEP_4)
	v_add_f64_e32 v[4:5], v[4:5], v[94:95]
	v_add_f64_e32 v[12:13], v[12:13], v[100:101]
	s_delay_alu instid0(VALU_DEP_4) | instskip(NEXT) | instid1(VALU_DEP_4)
	v_fmac_f64_e32 v[76:77], v[10:11], v[88:89]
	v_fma_f64 v[8:9], v[8:9], v[88:89], -v[82:83]
	s_delay_alu instid0(VALU_DEP_4) | instskip(NEXT) | instid1(VALU_DEP_4)
	v_add_f64_e32 v[4:5], v[4:5], v[78:79]
	v_add_f64_e32 v[10:11], v[12:13], v[92:93]
	s_delay_alu instid0(VALU_DEP_2) | instskip(NEXT) | instid1(VALU_DEP_2)
	v_add_f64_e32 v[4:5], v[4:5], v[8:9]
	v_add_f64_e32 v[10:11], v[10:11], v[76:77]
	s_delay_alu instid0(VALU_DEP_2) | instskip(NEXT) | instid1(VALU_DEP_2)
	v_add_f64_e64 v[8:9], v[120:121], -v[4:5]
	v_add_f64_e64 v[10:11], v[122:123], -v[10:11]
	scratch_store_b128 off, v[8:11], off offset:208
	s_wait_xcnt 0x0
	v_cmpx_lt_u32_e32 12, v1
	s_cbranch_execz .LBB94_175
; %bb.174:
	scratch_load_b128 v[8:11], off, s35
	v_dual_mov_b32 v3, v2 :: v_dual_mov_b32 v4, v2
	v_mov_b32_e32 v5, v2
	scratch_store_b128 off, v[2:5], off offset:192
	s_wait_loadcnt 0x0
	ds_store_b128 v6, v[8:11]
.LBB94_175:
	s_wait_xcnt 0x0
	s_or_b32 exec_lo, exec_lo, s2
	s_wait_storecnt_dscnt 0x0
	s_barrier_signal -1
	s_barrier_wait -1
	s_clause 0x9
	scratch_load_b128 v[8:11], off, off offset:208
	scratch_load_b128 v[76:79], off, off offset:224
	;; [unrolled: 1-line block ×10, first 2 shown]
	ds_load_b128 v[112:115], v2 offset:704
	ds_load_b128 v[120:123], v2 offset:720
	s_clause 0x1
	scratch_load_b128 v[116:119], off, off offset:368
	scratch_load_b128 v[124:127], off, off offset:192
	s_mov_b32 s2, exec_lo
	s_wait_loadcnt_dscnt 0xb01
	v_mul_f64_e32 v[4:5], v[114:115], v[10:11]
	v_mul_f64_e32 v[136:137], v[112:113], v[10:11]
	scratch_load_b128 v[10:13], off, off offset:384
	s_wait_loadcnt_dscnt 0xb00
	v_mul_f64_e32 v[138:139], v[120:121], v[78:79]
	v_mul_f64_e32 v[78:79], v[122:123], v[78:79]
	v_fma_f64 v[4:5], v[112:113], v[8:9], -v[4:5]
	v_fmac_f64_e32 v[136:137], v[114:115], v[8:9]
	ds_load_b128 v[112:115], v2 offset:736
	ds_load_b128 v[128:131], v2 offset:752
	scratch_load_b128 v[132:135], off, off offset:400
	v_fmac_f64_e32 v[138:139], v[122:123], v[76:77]
	v_fma_f64 v[120:121], v[120:121], v[76:77], -v[78:79]
	scratch_load_b128 v[76:79], off, off offset:416
	s_wait_loadcnt_dscnt 0xc01
	v_mul_f64_e32 v[8:9], v[112:113], v[82:83]
	v_mul_f64_e32 v[82:83], v[114:115], v[82:83]
	v_add_f64_e32 v[4:5], 0, v[4:5]
	v_add_f64_e32 v[122:123], 0, v[136:137]
	s_wait_loadcnt_dscnt 0xb00
	v_mul_f64_e32 v[136:137], v[128:129], v[86:87]
	v_mul_f64_e32 v[86:87], v[130:131], v[86:87]
	v_fmac_f64_e32 v[8:9], v[114:115], v[80:81]
	v_fma_f64 v[140:141], v[112:113], v[80:81], -v[82:83]
	ds_load_b128 v[80:83], v2 offset:768
	ds_load_b128 v[112:115], v2 offset:784
	v_add_f64_e32 v[4:5], v[4:5], v[120:121]
	v_add_f64_e32 v[138:139], v[122:123], v[138:139]
	scratch_load_b128 v[120:123], off, off offset:432
	v_fmac_f64_e32 v[136:137], v[130:131], v[84:85]
	v_fma_f64 v[128:129], v[128:129], v[84:85], -v[86:87]
	scratch_load_b128 v[84:87], off, off offset:448
	s_wait_loadcnt_dscnt 0xc01
	v_mul_f64_e32 v[142:143], v[80:81], v[90:91]
	v_mul_f64_e32 v[90:91], v[82:83], v[90:91]
	v_add_f64_e32 v[4:5], v[4:5], v[140:141]
	v_add_f64_e32 v[8:9], v[138:139], v[8:9]
	s_wait_loadcnt_dscnt 0xb00
	v_mul_f64_e32 v[138:139], v[112:113], v[94:95]
	v_mul_f64_e32 v[94:95], v[114:115], v[94:95]
	v_fmac_f64_e32 v[142:143], v[82:83], v[88:89]
	v_fma_f64 v[140:141], v[80:81], v[88:89], -v[90:91]
	ds_load_b128 v[80:83], v2 offset:800
	ds_load_b128 v[88:91], v2 offset:816
	v_add_f64_e32 v[4:5], v[4:5], v[128:129]
	v_add_f64_e32 v[8:9], v[8:9], v[136:137]
	scratch_load_b128 v[128:131], off, off offset:464
	s_wait_loadcnt_dscnt 0xb01
	v_mul_f64_e32 v[136:137], v[80:81], v[98:99]
	v_mul_f64_e32 v[98:99], v[82:83], v[98:99]
	v_fmac_f64_e32 v[138:139], v[114:115], v[92:93]
	v_fma_f64 v[112:113], v[112:113], v[92:93], -v[94:95]
	scratch_load_b128 v[92:95], off, off offset:480
	s_wait_loadcnt_dscnt 0xb00
	v_mul_f64_e32 v[114:115], v[88:89], v[102:103]
	v_mul_f64_e32 v[102:103], v[90:91], v[102:103]
	v_add_f64_e32 v[4:5], v[4:5], v[140:141]
	v_add_f64_e32 v[8:9], v[8:9], v[142:143]
	v_fmac_f64_e32 v[136:137], v[82:83], v[96:97]
	v_fma_f64 v[140:141], v[80:81], v[96:97], -v[98:99]
	ds_load_b128 v[80:83], v2 offset:832
	ds_load_b128 v[96:99], v2 offset:848
	v_fmac_f64_e32 v[114:115], v[90:91], v[100:101]
	v_fma_f64 v[88:89], v[88:89], v[100:101], -v[102:103]
	s_wait_loadcnt_dscnt 0x900
	v_mul_f64_e32 v[100:101], v[96:97], v[110:111]
	v_mul_f64_e32 v[102:103], v[98:99], v[110:111]
	v_add_f64_e32 v[4:5], v[4:5], v[112:113]
	v_add_f64_e32 v[8:9], v[8:9], v[138:139]
	v_mul_f64_e32 v[112:113], v[80:81], v[106:107]
	v_mul_f64_e32 v[106:107], v[82:83], v[106:107]
	v_fmac_f64_e32 v[100:101], v[98:99], v[108:109]
	v_fma_f64 v[96:97], v[96:97], v[108:109], -v[102:103]
	v_add_f64_e32 v[4:5], v[4:5], v[140:141]
	v_add_f64_e32 v[8:9], v[8:9], v[136:137]
	v_fmac_f64_e32 v[112:113], v[82:83], v[104:105]
	v_fma_f64 v[104:105], v[80:81], v[104:105], -v[106:107]
	s_delay_alu instid0(VALU_DEP_4) | instskip(NEXT) | instid1(VALU_DEP_4)
	v_add_f64_e32 v[4:5], v[4:5], v[88:89]
	v_add_f64_e32 v[8:9], v[8:9], v[114:115]
	ds_load_b128 v[80:83], v2 offset:864
	ds_load_b128 v[88:91], v2 offset:880
	s_wait_loadcnt_dscnt 0x801
	v_mul_f64_e32 v[106:107], v[80:81], v[118:119]
	v_mul_f64_e32 v[110:111], v[82:83], v[118:119]
	v_add_f64_e32 v[4:5], v[4:5], v[104:105]
	v_add_f64_e32 v[8:9], v[8:9], v[112:113]
	s_wait_loadcnt_dscnt 0x600
	v_mul_f64_e32 v[102:103], v[88:89], v[12:13]
	v_mul_f64_e32 v[12:13], v[90:91], v[12:13]
	v_fmac_f64_e32 v[106:107], v[82:83], v[116:117]
	v_fma_f64 v[104:105], v[80:81], v[116:117], -v[110:111]
	v_add_f64_e32 v[4:5], v[4:5], v[96:97]
	v_add_f64_e32 v[8:9], v[8:9], v[100:101]
	ds_load_b128 v[80:83], v2 offset:896
	ds_load_b128 v[96:99], v2 offset:912
	v_fmac_f64_e32 v[102:103], v[90:91], v[10:11]
	v_fma_f64 v[10:11], v[88:89], v[10:11], -v[12:13]
	s_wait_loadcnt_dscnt 0x501
	v_mul_f64_e32 v[100:101], v[80:81], v[134:135]
	v_mul_f64_e32 v[108:109], v[82:83], v[134:135]
	s_wait_loadcnt_dscnt 0x400
	v_mul_f64_e32 v[12:13], v[96:97], v[78:79]
	v_mul_f64_e32 v[88:89], v[98:99], v[78:79]
	v_add_f64_e32 v[4:5], v[4:5], v[104:105]
	v_add_f64_e32 v[8:9], v[8:9], v[106:107]
	v_fmac_f64_e32 v[100:101], v[82:83], v[132:133]
	v_fma_f64 v[82:83], v[80:81], v[132:133], -v[108:109]
	v_fmac_f64_e32 v[12:13], v[98:99], v[76:77]
	v_fma_f64 v[76:77], v[96:97], v[76:77], -v[88:89]
	v_add_f64_e32 v[4:5], v[4:5], v[10:11]
	v_add_f64_e32 v[90:91], v[8:9], v[102:103]
	ds_load_b128 v[8:11], v2 offset:928
	ds_load_b128 v[78:81], v2 offset:944
	s_wait_loadcnt_dscnt 0x301
	v_mul_f64_e32 v[102:103], v[8:9], v[122:123]
	v_mul_f64_e32 v[104:105], v[10:11], v[122:123]
	s_wait_loadcnt_dscnt 0x200
	v_mul_f64_e32 v[88:89], v[78:79], v[86:87]
	v_mul_f64_e32 v[86:87], v[80:81], v[86:87]
	v_add_f64_e32 v[4:5], v[4:5], v[82:83]
	v_add_f64_e32 v[82:83], v[90:91], v[100:101]
	v_fmac_f64_e32 v[102:103], v[10:11], v[120:121]
	v_fma_f64 v[90:91], v[8:9], v[120:121], -v[104:105]
	v_fmac_f64_e32 v[88:89], v[80:81], v[84:85]
	v_fma_f64 v[78:79], v[78:79], v[84:85], -v[86:87]
	v_add_f64_e32 v[76:77], v[4:5], v[76:77]
	v_add_f64_e32 v[12:13], v[82:83], v[12:13]
	ds_load_b128 v[8:11], v2 offset:960
	ds_load_b128 v[2:5], v2 offset:976
	s_wait_loadcnt_dscnt 0x101
	v_mul_f64_e32 v[82:83], v[8:9], v[130:131]
	v_mul_f64_e32 v[96:97], v[10:11], v[130:131]
	s_wait_loadcnt_dscnt 0x0
	v_mul_f64_e32 v[80:81], v[2:3], v[94:95]
	v_mul_f64_e32 v[84:85], v[4:5], v[94:95]
	v_add_f64_e32 v[76:77], v[76:77], v[90:91]
	v_add_f64_e32 v[12:13], v[12:13], v[102:103]
	v_fmac_f64_e32 v[82:83], v[10:11], v[128:129]
	v_fma_f64 v[8:9], v[8:9], v[128:129], -v[96:97]
	v_fmac_f64_e32 v[80:81], v[4:5], v[92:93]
	v_fma_f64 v[2:3], v[2:3], v[92:93], -v[84:85]
	v_add_f64_e32 v[10:11], v[76:77], v[78:79]
	v_add_f64_e32 v[12:13], v[12:13], v[88:89]
	s_delay_alu instid0(VALU_DEP_2) | instskip(NEXT) | instid1(VALU_DEP_2)
	v_add_f64_e32 v[4:5], v[10:11], v[8:9]
	v_add_f64_e32 v[8:9], v[12:13], v[82:83]
	s_delay_alu instid0(VALU_DEP_2) | instskip(NEXT) | instid1(VALU_DEP_2)
	v_add_f64_e32 v[2:3], v[4:5], v[2:3]
	v_add_f64_e32 v[4:5], v[8:9], v[80:81]
	s_delay_alu instid0(VALU_DEP_2) | instskip(NEXT) | instid1(VALU_DEP_2)
	v_add_f64_e64 v[2:3], v[124:125], -v[2:3]
	v_add_f64_e64 v[4:5], v[126:127], -v[4:5]
	scratch_store_b128 off, v[2:5], off offset:192
	s_wait_xcnt 0x0
	v_cmpx_lt_u32_e32 11, v1
	s_cbranch_execz .LBB94_177
; %bb.176:
	scratch_load_b128 v[2:5], off, s36
	v_mov_b32_e32 v8, 0
	s_delay_alu instid0(VALU_DEP_1)
	v_dual_mov_b32 v9, v8 :: v_dual_mov_b32 v10, v8
	v_mov_b32_e32 v11, v8
	scratch_store_b128 off, v[8:11], off offset:176
	s_wait_loadcnt 0x0
	ds_store_b128 v6, v[2:5]
.LBB94_177:
	s_wait_xcnt 0x0
	s_or_b32 exec_lo, exec_lo, s2
	s_wait_storecnt_dscnt 0x0
	s_barrier_signal -1
	s_barrier_wait -1
	s_clause 0x9
	scratch_load_b128 v[8:11], off, off offset:192
	scratch_load_b128 v[76:79], off, off offset:208
	;; [unrolled: 1-line block ×10, first 2 shown]
	v_mov_b32_e32 v2, 0
	s_mov_b32 s2, exec_lo
	ds_load_b128 v[112:115], v2 offset:688
	s_clause 0x2
	scratch_load_b128 v[116:119], off, off offset:352
	scratch_load_b128 v[120:123], off, off offset:176
	;; [unrolled: 1-line block ×3, first 2 shown]
	s_wait_loadcnt_dscnt 0xc00
	v_mul_f64_e32 v[4:5], v[114:115], v[10:11]
	v_mul_f64_e32 v[136:137], v[112:113], v[10:11]
	ds_load_b128 v[124:127], v2 offset:704
	scratch_load_b128 v[10:13], off, off offset:368
	ds_load_b128 v[132:135], v2 offset:736
	v_fma_f64 v[4:5], v[112:113], v[8:9], -v[4:5]
	v_fmac_f64_e32 v[136:137], v[114:115], v[8:9]
	ds_load_b128 v[112:115], v2 offset:720
	s_wait_loadcnt_dscnt 0xc02
	v_mul_f64_e32 v[138:139], v[124:125], v[78:79]
	v_mul_f64_e32 v[78:79], v[126:127], v[78:79]
	s_wait_loadcnt_dscnt 0xb00
	v_mul_f64_e32 v[8:9], v[112:113], v[82:83]
	v_mul_f64_e32 v[82:83], v[114:115], v[82:83]
	v_add_f64_e32 v[4:5], 0, v[4:5]
	v_fmac_f64_e32 v[138:139], v[126:127], v[76:77]
	v_fma_f64 v[124:125], v[124:125], v[76:77], -v[78:79]
	v_add_f64_e32 v[126:127], 0, v[136:137]
	scratch_load_b128 v[76:79], off, off offset:400
	v_fmac_f64_e32 v[8:9], v[114:115], v[80:81]
	v_fma_f64 v[140:141], v[112:113], v[80:81], -v[82:83]
	ds_load_b128 v[80:83], v2 offset:752
	s_wait_loadcnt 0xb
	v_mul_f64_e32 v[136:137], v[132:133], v[86:87]
	v_mul_f64_e32 v[86:87], v[134:135], v[86:87]
	scratch_load_b128 v[112:115], off, off offset:416
	v_add_f64_e32 v[4:5], v[4:5], v[124:125]
	v_add_f64_e32 v[138:139], v[126:127], v[138:139]
	ds_load_b128 v[124:127], v2 offset:768
	s_wait_loadcnt_dscnt 0xb01
	v_mul_f64_e32 v[142:143], v[80:81], v[90:91]
	v_mul_f64_e32 v[90:91], v[82:83], v[90:91]
	v_fmac_f64_e32 v[136:137], v[134:135], v[84:85]
	v_fma_f64 v[132:133], v[132:133], v[84:85], -v[86:87]
	scratch_load_b128 v[84:87], off, off offset:432
	v_add_f64_e32 v[4:5], v[4:5], v[140:141]
	v_add_f64_e32 v[8:9], v[138:139], v[8:9]
	v_fmac_f64_e32 v[142:143], v[82:83], v[88:89]
	v_fma_f64 v[140:141], v[80:81], v[88:89], -v[90:91]
	ds_load_b128 v[80:83], v2 offset:784
	s_wait_loadcnt_dscnt 0xb01
	v_mul_f64_e32 v[138:139], v[124:125], v[94:95]
	v_mul_f64_e32 v[94:95], v[126:127], v[94:95]
	scratch_load_b128 v[88:91], off, off offset:448
	v_add_f64_e32 v[4:5], v[4:5], v[132:133]
	v_add_f64_e32 v[8:9], v[8:9], v[136:137]
	s_wait_loadcnt_dscnt 0xb00
	v_mul_f64_e32 v[136:137], v[80:81], v[98:99]
	v_mul_f64_e32 v[98:99], v[82:83], v[98:99]
	ds_load_b128 v[132:135], v2 offset:800
	v_fmac_f64_e32 v[138:139], v[126:127], v[92:93]
	v_fma_f64 v[124:125], v[124:125], v[92:93], -v[94:95]
	scratch_load_b128 v[92:95], off, off offset:464
	v_add_f64_e32 v[4:5], v[4:5], v[140:141]
	v_add_f64_e32 v[8:9], v[8:9], v[142:143]
	v_fmac_f64_e32 v[136:137], v[82:83], v[96:97]
	v_fma_f64 v[142:143], v[80:81], v[96:97], -v[98:99]
	ds_load_b128 v[80:83], v2 offset:816
	s_wait_loadcnt_dscnt 0xb01
	v_mul_f64_e32 v[140:141], v[132:133], v[102:103]
	v_mul_f64_e32 v[102:103], v[134:135], v[102:103]
	scratch_load_b128 v[96:99], off, off offset:480
	v_add_f64_e32 v[4:5], v[4:5], v[124:125]
	v_add_f64_e32 v[8:9], v[8:9], v[138:139]
	s_wait_loadcnt_dscnt 0xb00
	v_mul_f64_e32 v[138:139], v[80:81], v[106:107]
	v_mul_f64_e32 v[106:107], v[82:83], v[106:107]
	ds_load_b128 v[124:127], v2 offset:832
	v_fmac_f64_e32 v[140:141], v[134:135], v[100:101]
	v_fma_f64 v[100:101], v[132:133], v[100:101], -v[102:103]
	s_wait_loadcnt_dscnt 0xa00
	v_mul_f64_e32 v[132:133], v[124:125], v[110:111]
	v_mul_f64_e32 v[110:111], v[126:127], v[110:111]
	v_add_f64_e32 v[4:5], v[4:5], v[142:143]
	v_add_f64_e32 v[8:9], v[8:9], v[136:137]
	v_fmac_f64_e32 v[138:139], v[82:83], v[104:105]
	v_fma_f64 v[104:105], v[80:81], v[104:105], -v[106:107]
	v_fmac_f64_e32 v[132:133], v[126:127], v[108:109]
	v_fma_f64 v[108:109], v[124:125], v[108:109], -v[110:111]
	v_add_f64_e32 v[4:5], v[4:5], v[100:101]
	v_add_f64_e32 v[8:9], v[8:9], v[140:141]
	ds_load_b128 v[80:83], v2 offset:848
	ds_load_b128 v[100:103], v2 offset:864
	s_wait_loadcnt_dscnt 0x901
	v_mul_f64_e32 v[134:135], v[80:81], v[118:119]
	v_mul_f64_e32 v[106:107], v[82:83], v[118:119]
	s_wait_loadcnt_dscnt 0x600
	v_mul_f64_e32 v[110:111], v[100:101], v[12:13]
	v_add_f64_e32 v[4:5], v[4:5], v[104:105]
	v_add_f64_e32 v[8:9], v[8:9], v[138:139]
	v_mul_f64_e32 v[12:13], v[102:103], v[12:13]
	v_fmac_f64_e32 v[134:135], v[82:83], v[116:117]
	v_fma_f64 v[116:117], v[80:81], v[116:117], -v[106:107]
	ds_load_b128 v[80:83], v2 offset:880
	ds_load_b128 v[104:107], v2 offset:896
	v_fmac_f64_e32 v[110:111], v[102:103], v[10:11]
	v_add_f64_e32 v[4:5], v[4:5], v[108:109]
	v_add_f64_e32 v[8:9], v[8:9], v[132:133]
	v_fma_f64 v[10:11], v[100:101], v[10:11], -v[12:13]
	s_wait_dscnt 0x1
	v_mul_f64_e32 v[108:109], v[80:81], v[130:131]
	v_mul_f64_e32 v[118:119], v[82:83], v[130:131]
	v_add_f64_e32 v[4:5], v[4:5], v[116:117]
	v_add_f64_e32 v[8:9], v[8:9], v[134:135]
	s_wait_loadcnt_dscnt 0x500
	v_mul_f64_e32 v[12:13], v[104:105], v[78:79]
	v_mul_f64_e32 v[100:101], v[106:107], v[78:79]
	v_fmac_f64_e32 v[108:109], v[82:83], v[128:129]
	v_fma_f64 v[82:83], v[80:81], v[128:129], -v[118:119]
	v_add_f64_e32 v[4:5], v[4:5], v[10:11]
	v_add_f64_e32 v[102:103], v[8:9], v[110:111]
	ds_load_b128 v[8:11], v2 offset:912
	ds_load_b128 v[78:81], v2 offset:928
	v_fmac_f64_e32 v[12:13], v[106:107], v[76:77]
	v_fma_f64 v[76:77], v[104:105], v[76:77], -v[100:101]
	s_wait_loadcnt_dscnt 0x401
	v_mul_f64_e32 v[110:111], v[8:9], v[114:115]
	v_mul_f64_e32 v[114:115], v[10:11], v[114:115]
	s_wait_loadcnt_dscnt 0x300
	v_mul_f64_e32 v[104:105], v[78:79], v[86:87]
	v_mul_f64_e32 v[86:87], v[80:81], v[86:87]
	v_add_f64_e32 v[4:5], v[4:5], v[82:83]
	v_add_f64_e32 v[82:83], v[102:103], v[108:109]
	v_fmac_f64_e32 v[110:111], v[10:11], v[112:113]
	v_fma_f64 v[106:107], v[8:9], v[112:113], -v[114:115]
	ds_load_b128 v[8:11], v2 offset:944
	ds_load_b128 v[100:103], v2 offset:960
	v_fmac_f64_e32 v[104:105], v[80:81], v[84:85]
	v_fma_f64 v[78:79], v[78:79], v[84:85], -v[86:87]
	v_add_f64_e32 v[4:5], v[4:5], v[76:77]
	v_add_f64_e32 v[12:13], v[82:83], v[12:13]
	s_wait_loadcnt_dscnt 0x201
	v_mul_f64_e32 v[76:77], v[8:9], v[90:91]
	v_mul_f64_e32 v[82:83], v[10:11], v[90:91]
	s_wait_loadcnt_dscnt 0x100
	v_mul_f64_e32 v[80:81], v[100:101], v[94:95]
	v_mul_f64_e32 v[84:85], v[102:103], v[94:95]
	v_add_f64_e32 v[4:5], v[4:5], v[106:107]
	v_add_f64_e32 v[12:13], v[12:13], v[110:111]
	v_fmac_f64_e32 v[76:77], v[10:11], v[88:89]
	v_fma_f64 v[82:83], v[8:9], v[88:89], -v[82:83]
	ds_load_b128 v[8:11], v2 offset:976
	v_fmac_f64_e32 v[80:81], v[102:103], v[92:93]
	v_fma_f64 v[84:85], v[100:101], v[92:93], -v[84:85]
	s_wait_loadcnt_dscnt 0x0
	v_mul_f64_e32 v[86:87], v[10:11], v[98:99]
	v_add_f64_e32 v[4:5], v[4:5], v[78:79]
	v_add_f64_e32 v[12:13], v[12:13], v[104:105]
	v_mul_f64_e32 v[78:79], v[8:9], v[98:99]
	s_delay_alu instid0(VALU_DEP_4) | instskip(NEXT) | instid1(VALU_DEP_4)
	v_fma_f64 v[8:9], v[8:9], v[96:97], -v[86:87]
	v_add_f64_e32 v[4:5], v[4:5], v[82:83]
	s_delay_alu instid0(VALU_DEP_4) | instskip(NEXT) | instid1(VALU_DEP_4)
	v_add_f64_e32 v[12:13], v[12:13], v[76:77]
	v_fmac_f64_e32 v[78:79], v[10:11], v[96:97]
	s_delay_alu instid0(VALU_DEP_3) | instskip(NEXT) | instid1(VALU_DEP_3)
	v_add_f64_e32 v[4:5], v[4:5], v[84:85]
	v_add_f64_e32 v[10:11], v[12:13], v[80:81]
	s_delay_alu instid0(VALU_DEP_2) | instskip(NEXT) | instid1(VALU_DEP_2)
	v_add_f64_e32 v[4:5], v[4:5], v[8:9]
	v_add_f64_e32 v[10:11], v[10:11], v[78:79]
	s_delay_alu instid0(VALU_DEP_2) | instskip(NEXT) | instid1(VALU_DEP_2)
	v_add_f64_e64 v[8:9], v[120:121], -v[4:5]
	v_add_f64_e64 v[10:11], v[122:123], -v[10:11]
	scratch_store_b128 off, v[8:11], off offset:176
	s_wait_xcnt 0x0
	v_cmpx_lt_u32_e32 10, v1
	s_cbranch_execz .LBB94_179
; %bb.178:
	scratch_load_b128 v[8:11], off, s37
	v_dual_mov_b32 v3, v2 :: v_dual_mov_b32 v4, v2
	v_mov_b32_e32 v5, v2
	scratch_store_b128 off, v[2:5], off offset:160
	s_wait_loadcnt 0x0
	ds_store_b128 v6, v[8:11]
.LBB94_179:
	s_wait_xcnt 0x0
	s_or_b32 exec_lo, exec_lo, s2
	s_wait_storecnt_dscnt 0x0
	s_barrier_signal -1
	s_barrier_wait -1
	s_clause 0x9
	scratch_load_b128 v[8:11], off, off offset:176
	scratch_load_b128 v[76:79], off, off offset:192
	;; [unrolled: 1-line block ×10, first 2 shown]
	ds_load_b128 v[112:115], v2 offset:672
	ds_load_b128 v[120:123], v2 offset:688
	s_clause 0x1
	scratch_load_b128 v[116:119], off, off offset:336
	scratch_load_b128 v[124:127], off, off offset:160
	s_mov_b32 s2, exec_lo
	s_wait_loadcnt_dscnt 0xb01
	v_mul_f64_e32 v[4:5], v[114:115], v[10:11]
	v_mul_f64_e32 v[136:137], v[112:113], v[10:11]
	scratch_load_b128 v[10:13], off, off offset:352
	s_wait_loadcnt_dscnt 0xb00
	v_mul_f64_e32 v[138:139], v[120:121], v[78:79]
	v_mul_f64_e32 v[78:79], v[122:123], v[78:79]
	v_fma_f64 v[4:5], v[112:113], v[8:9], -v[4:5]
	v_fmac_f64_e32 v[136:137], v[114:115], v[8:9]
	ds_load_b128 v[112:115], v2 offset:704
	ds_load_b128 v[128:131], v2 offset:720
	scratch_load_b128 v[132:135], off, off offset:368
	v_fmac_f64_e32 v[138:139], v[122:123], v[76:77]
	v_fma_f64 v[120:121], v[120:121], v[76:77], -v[78:79]
	scratch_load_b128 v[76:79], off, off offset:384
	s_wait_loadcnt_dscnt 0xc01
	v_mul_f64_e32 v[8:9], v[112:113], v[82:83]
	v_mul_f64_e32 v[82:83], v[114:115], v[82:83]
	v_add_f64_e32 v[4:5], 0, v[4:5]
	v_add_f64_e32 v[122:123], 0, v[136:137]
	s_wait_loadcnt_dscnt 0xb00
	v_mul_f64_e32 v[136:137], v[128:129], v[86:87]
	v_mul_f64_e32 v[86:87], v[130:131], v[86:87]
	v_fmac_f64_e32 v[8:9], v[114:115], v[80:81]
	v_fma_f64 v[140:141], v[112:113], v[80:81], -v[82:83]
	ds_load_b128 v[80:83], v2 offset:736
	ds_load_b128 v[112:115], v2 offset:752
	v_add_f64_e32 v[4:5], v[4:5], v[120:121]
	v_add_f64_e32 v[138:139], v[122:123], v[138:139]
	scratch_load_b128 v[120:123], off, off offset:400
	v_fmac_f64_e32 v[136:137], v[130:131], v[84:85]
	v_fma_f64 v[128:129], v[128:129], v[84:85], -v[86:87]
	scratch_load_b128 v[84:87], off, off offset:416
	s_wait_loadcnt_dscnt 0xc01
	v_mul_f64_e32 v[142:143], v[80:81], v[90:91]
	v_mul_f64_e32 v[90:91], v[82:83], v[90:91]
	v_add_f64_e32 v[4:5], v[4:5], v[140:141]
	v_add_f64_e32 v[8:9], v[138:139], v[8:9]
	s_wait_loadcnt_dscnt 0xb00
	v_mul_f64_e32 v[138:139], v[112:113], v[94:95]
	v_mul_f64_e32 v[94:95], v[114:115], v[94:95]
	v_fmac_f64_e32 v[142:143], v[82:83], v[88:89]
	v_fma_f64 v[140:141], v[80:81], v[88:89], -v[90:91]
	ds_load_b128 v[80:83], v2 offset:768
	ds_load_b128 v[88:91], v2 offset:784
	v_add_f64_e32 v[4:5], v[4:5], v[128:129]
	v_add_f64_e32 v[8:9], v[8:9], v[136:137]
	scratch_load_b128 v[128:131], off, off offset:432
	s_wait_loadcnt_dscnt 0xb01
	v_mul_f64_e32 v[136:137], v[80:81], v[98:99]
	v_mul_f64_e32 v[98:99], v[82:83], v[98:99]
	v_fmac_f64_e32 v[138:139], v[114:115], v[92:93]
	v_fma_f64 v[112:113], v[112:113], v[92:93], -v[94:95]
	scratch_load_b128 v[92:95], off, off offset:448
	v_add_f64_e32 v[4:5], v[4:5], v[140:141]
	v_add_f64_e32 v[8:9], v[8:9], v[142:143]
	s_wait_loadcnt_dscnt 0xb00
	v_mul_f64_e32 v[140:141], v[88:89], v[102:103]
	v_mul_f64_e32 v[102:103], v[90:91], v[102:103]
	v_fmac_f64_e32 v[136:137], v[82:83], v[96:97]
	v_fma_f64 v[142:143], v[80:81], v[96:97], -v[98:99]
	ds_load_b128 v[80:83], v2 offset:800
	ds_load_b128 v[96:99], v2 offset:816
	v_add_f64_e32 v[4:5], v[4:5], v[112:113]
	v_add_f64_e32 v[8:9], v[8:9], v[138:139]
	scratch_load_b128 v[112:115], off, off offset:464
	s_wait_loadcnt_dscnt 0xb01
	v_mul_f64_e32 v[138:139], v[80:81], v[106:107]
	v_mul_f64_e32 v[106:107], v[82:83], v[106:107]
	v_fmac_f64_e32 v[140:141], v[90:91], v[100:101]
	v_fma_f64 v[100:101], v[88:89], v[100:101], -v[102:103]
	scratch_load_b128 v[88:91], off, off offset:480
	v_add_f64_e32 v[4:5], v[4:5], v[142:143]
	v_add_f64_e32 v[8:9], v[8:9], v[136:137]
	s_wait_loadcnt_dscnt 0xb00
	v_mul_f64_e32 v[136:137], v[96:97], v[110:111]
	v_mul_f64_e32 v[110:111], v[98:99], v[110:111]
	v_fmac_f64_e32 v[138:139], v[82:83], v[104:105]
	v_fma_f64 v[104:105], v[80:81], v[104:105], -v[106:107]
	v_add_f64_e32 v[4:5], v[4:5], v[100:101]
	v_add_f64_e32 v[8:9], v[8:9], v[140:141]
	ds_load_b128 v[80:83], v2 offset:832
	ds_load_b128 v[100:103], v2 offset:848
	v_fmac_f64_e32 v[136:137], v[98:99], v[108:109]
	v_fma_f64 v[96:97], v[96:97], v[108:109], -v[110:111]
	s_wait_loadcnt_dscnt 0xa01
	v_mul_f64_e32 v[106:107], v[80:81], v[118:119]
	v_mul_f64_e32 v[118:119], v[82:83], v[118:119]
	v_add_f64_e32 v[4:5], v[4:5], v[104:105]
	v_add_f64_e32 v[8:9], v[8:9], v[138:139]
	s_wait_loadcnt_dscnt 0x800
	v_mul_f64_e32 v[104:105], v[100:101], v[12:13]
	v_mul_f64_e32 v[12:13], v[102:103], v[12:13]
	v_fmac_f64_e32 v[106:107], v[82:83], v[116:117]
	v_fma_f64 v[108:109], v[80:81], v[116:117], -v[118:119]
	v_add_f64_e32 v[4:5], v[4:5], v[96:97]
	v_add_f64_e32 v[8:9], v[8:9], v[136:137]
	ds_load_b128 v[80:83], v2 offset:864
	ds_load_b128 v[96:99], v2 offset:880
	v_fmac_f64_e32 v[104:105], v[102:103], v[10:11]
	v_fma_f64 v[10:11], v[100:101], v[10:11], -v[12:13]
	s_wait_loadcnt_dscnt 0x701
	v_mul_f64_e32 v[110:111], v[80:81], v[134:135]
	v_mul_f64_e32 v[116:117], v[82:83], v[134:135]
	s_wait_loadcnt_dscnt 0x600
	v_mul_f64_e32 v[12:13], v[96:97], v[78:79]
	v_mul_f64_e32 v[100:101], v[98:99], v[78:79]
	v_add_f64_e32 v[4:5], v[4:5], v[108:109]
	v_add_f64_e32 v[8:9], v[8:9], v[106:107]
	v_fmac_f64_e32 v[110:111], v[82:83], v[132:133]
	v_fma_f64 v[82:83], v[80:81], v[132:133], -v[116:117]
	v_fmac_f64_e32 v[12:13], v[98:99], v[76:77]
	v_fma_f64 v[76:77], v[96:97], v[76:77], -v[100:101]
	v_add_f64_e32 v[4:5], v[4:5], v[10:11]
	v_add_f64_e32 v[102:103], v[8:9], v[104:105]
	ds_load_b128 v[8:11], v2 offset:896
	ds_load_b128 v[78:81], v2 offset:912
	s_wait_loadcnt_dscnt 0x501
	v_mul_f64_e32 v[104:105], v[8:9], v[122:123]
	v_mul_f64_e32 v[106:107], v[10:11], v[122:123]
	s_wait_loadcnt_dscnt 0x400
	v_mul_f64_e32 v[100:101], v[78:79], v[86:87]
	v_mul_f64_e32 v[86:87], v[80:81], v[86:87]
	v_add_f64_e32 v[4:5], v[4:5], v[82:83]
	v_add_f64_e32 v[82:83], v[102:103], v[110:111]
	v_fmac_f64_e32 v[104:105], v[10:11], v[120:121]
	v_fma_f64 v[102:103], v[8:9], v[120:121], -v[106:107]
	ds_load_b128 v[8:11], v2 offset:928
	ds_load_b128 v[96:99], v2 offset:944
	v_fmac_f64_e32 v[100:101], v[80:81], v[84:85]
	v_fma_f64 v[78:79], v[78:79], v[84:85], -v[86:87]
	v_add_f64_e32 v[4:5], v[4:5], v[76:77]
	v_add_f64_e32 v[12:13], v[82:83], v[12:13]
	s_wait_loadcnt_dscnt 0x301
	v_mul_f64_e32 v[76:77], v[8:9], v[130:131]
	v_mul_f64_e32 v[82:83], v[10:11], v[130:131]
	s_wait_loadcnt_dscnt 0x200
	v_mul_f64_e32 v[80:81], v[96:97], v[94:95]
	v_mul_f64_e32 v[84:85], v[98:99], v[94:95]
	v_add_f64_e32 v[4:5], v[4:5], v[102:103]
	v_add_f64_e32 v[12:13], v[12:13], v[104:105]
	v_fmac_f64_e32 v[76:77], v[10:11], v[128:129]
	v_fma_f64 v[82:83], v[8:9], v[128:129], -v[82:83]
	v_fmac_f64_e32 v[80:81], v[98:99], v[92:93]
	v_fma_f64 v[84:85], v[96:97], v[92:93], -v[84:85]
	v_add_f64_e32 v[78:79], v[4:5], v[78:79]
	v_add_f64_e32 v[12:13], v[12:13], v[100:101]
	ds_load_b128 v[8:11], v2 offset:960
	ds_load_b128 v[2:5], v2 offset:976
	s_wait_loadcnt_dscnt 0x101
	v_mul_f64_e32 v[86:87], v[8:9], v[114:115]
	v_mul_f64_e32 v[94:95], v[10:11], v[114:115]
	v_add_f64_e32 v[78:79], v[78:79], v[82:83]
	v_add_f64_e32 v[12:13], v[12:13], v[76:77]
	s_wait_loadcnt_dscnt 0x0
	v_mul_f64_e32 v[76:77], v[2:3], v[90:91]
	v_mul_f64_e32 v[82:83], v[4:5], v[90:91]
	v_fmac_f64_e32 v[86:87], v[10:11], v[112:113]
	v_fma_f64 v[8:9], v[8:9], v[112:113], -v[94:95]
	v_add_f64_e32 v[10:11], v[78:79], v[84:85]
	v_add_f64_e32 v[12:13], v[12:13], v[80:81]
	v_fmac_f64_e32 v[76:77], v[4:5], v[88:89]
	v_fma_f64 v[2:3], v[2:3], v[88:89], -v[82:83]
	s_delay_alu instid0(VALU_DEP_4) | instskip(NEXT) | instid1(VALU_DEP_4)
	v_add_f64_e32 v[4:5], v[10:11], v[8:9]
	v_add_f64_e32 v[8:9], v[12:13], v[86:87]
	s_delay_alu instid0(VALU_DEP_2) | instskip(NEXT) | instid1(VALU_DEP_2)
	v_add_f64_e32 v[2:3], v[4:5], v[2:3]
	v_add_f64_e32 v[4:5], v[8:9], v[76:77]
	s_delay_alu instid0(VALU_DEP_2) | instskip(NEXT) | instid1(VALU_DEP_2)
	v_add_f64_e64 v[2:3], v[124:125], -v[2:3]
	v_add_f64_e64 v[4:5], v[126:127], -v[4:5]
	scratch_store_b128 off, v[2:5], off offset:160
	s_wait_xcnt 0x0
	v_cmpx_lt_u32_e32 9, v1
	s_cbranch_execz .LBB94_181
; %bb.180:
	scratch_load_b128 v[2:5], off, s38
	v_mov_b32_e32 v8, 0
	s_delay_alu instid0(VALU_DEP_1)
	v_dual_mov_b32 v9, v8 :: v_dual_mov_b32 v10, v8
	v_mov_b32_e32 v11, v8
	scratch_store_b128 off, v[8:11], off offset:144
	s_wait_loadcnt 0x0
	ds_store_b128 v6, v[2:5]
.LBB94_181:
	s_wait_xcnt 0x0
	s_or_b32 exec_lo, exec_lo, s2
	s_wait_storecnt_dscnt 0x0
	s_barrier_signal -1
	s_barrier_wait -1
	s_clause 0x9
	scratch_load_b128 v[8:11], off, off offset:160
	scratch_load_b128 v[76:79], off, off offset:176
	;; [unrolled: 1-line block ×10, first 2 shown]
	v_mov_b32_e32 v2, 0
	s_mov_b32 s2, exec_lo
	ds_load_b128 v[112:115], v2 offset:656
	s_clause 0x2
	scratch_load_b128 v[116:119], off, off offset:320
	scratch_load_b128 v[120:123], off, off offset:144
	;; [unrolled: 1-line block ×3, first 2 shown]
	s_wait_loadcnt_dscnt 0xc00
	v_mul_f64_e32 v[4:5], v[114:115], v[10:11]
	v_mul_f64_e32 v[136:137], v[112:113], v[10:11]
	ds_load_b128 v[124:127], v2 offset:672
	scratch_load_b128 v[10:13], off, off offset:336
	ds_load_b128 v[132:135], v2 offset:704
	v_fma_f64 v[4:5], v[112:113], v[8:9], -v[4:5]
	v_fmac_f64_e32 v[136:137], v[114:115], v[8:9]
	ds_load_b128 v[112:115], v2 offset:688
	s_wait_loadcnt_dscnt 0xc02
	v_mul_f64_e32 v[138:139], v[124:125], v[78:79]
	v_mul_f64_e32 v[78:79], v[126:127], v[78:79]
	s_wait_loadcnt_dscnt 0xb00
	v_mul_f64_e32 v[8:9], v[112:113], v[82:83]
	v_mul_f64_e32 v[82:83], v[114:115], v[82:83]
	v_add_f64_e32 v[4:5], 0, v[4:5]
	v_fmac_f64_e32 v[138:139], v[126:127], v[76:77]
	v_fma_f64 v[124:125], v[124:125], v[76:77], -v[78:79]
	v_add_f64_e32 v[126:127], 0, v[136:137]
	scratch_load_b128 v[76:79], off, off offset:368
	v_fmac_f64_e32 v[8:9], v[114:115], v[80:81]
	v_fma_f64 v[140:141], v[112:113], v[80:81], -v[82:83]
	ds_load_b128 v[80:83], v2 offset:720
	s_wait_loadcnt 0xb
	v_mul_f64_e32 v[136:137], v[132:133], v[86:87]
	v_mul_f64_e32 v[86:87], v[134:135], v[86:87]
	scratch_load_b128 v[112:115], off, off offset:384
	v_add_f64_e32 v[4:5], v[4:5], v[124:125]
	v_add_f64_e32 v[138:139], v[126:127], v[138:139]
	ds_load_b128 v[124:127], v2 offset:736
	s_wait_loadcnt_dscnt 0xb01
	v_mul_f64_e32 v[142:143], v[80:81], v[90:91]
	v_mul_f64_e32 v[90:91], v[82:83], v[90:91]
	v_fmac_f64_e32 v[136:137], v[134:135], v[84:85]
	v_fma_f64 v[132:133], v[132:133], v[84:85], -v[86:87]
	scratch_load_b128 v[84:87], off, off offset:400
	v_add_f64_e32 v[4:5], v[4:5], v[140:141]
	v_add_f64_e32 v[8:9], v[138:139], v[8:9]
	v_fmac_f64_e32 v[142:143], v[82:83], v[88:89]
	v_fma_f64 v[140:141], v[80:81], v[88:89], -v[90:91]
	ds_load_b128 v[80:83], v2 offset:752
	s_wait_loadcnt_dscnt 0xb01
	v_mul_f64_e32 v[138:139], v[124:125], v[94:95]
	v_mul_f64_e32 v[94:95], v[126:127], v[94:95]
	scratch_load_b128 v[88:91], off, off offset:416
	v_add_f64_e32 v[4:5], v[4:5], v[132:133]
	v_add_f64_e32 v[8:9], v[8:9], v[136:137]
	s_wait_loadcnt_dscnt 0xb00
	v_mul_f64_e32 v[136:137], v[80:81], v[98:99]
	v_mul_f64_e32 v[98:99], v[82:83], v[98:99]
	ds_load_b128 v[132:135], v2 offset:768
	v_fmac_f64_e32 v[138:139], v[126:127], v[92:93]
	v_fma_f64 v[124:125], v[124:125], v[92:93], -v[94:95]
	scratch_load_b128 v[92:95], off, off offset:432
	v_add_f64_e32 v[4:5], v[4:5], v[140:141]
	v_add_f64_e32 v[8:9], v[8:9], v[142:143]
	v_fmac_f64_e32 v[136:137], v[82:83], v[96:97]
	v_fma_f64 v[142:143], v[80:81], v[96:97], -v[98:99]
	ds_load_b128 v[80:83], v2 offset:784
	s_wait_loadcnt_dscnt 0xb01
	v_mul_f64_e32 v[140:141], v[132:133], v[102:103]
	v_mul_f64_e32 v[102:103], v[134:135], v[102:103]
	scratch_load_b128 v[96:99], off, off offset:448
	v_add_f64_e32 v[4:5], v[4:5], v[124:125]
	v_add_f64_e32 v[8:9], v[8:9], v[138:139]
	s_wait_loadcnt_dscnt 0xb00
	v_mul_f64_e32 v[138:139], v[80:81], v[106:107]
	v_mul_f64_e32 v[106:107], v[82:83], v[106:107]
	ds_load_b128 v[124:127], v2 offset:800
	;; [unrolled: 18-line block ×3, first 2 shown]
	v_fmac_f64_e32 v[136:137], v[126:127], v[108:109]
	v_fma_f64 v[108:109], v[124:125], v[108:109], -v[110:111]
	s_wait_loadcnt_dscnt 0x800
	v_mul_f64_e32 v[124:125], v[132:133], v[12:13]
	v_add_f64_e32 v[4:5], v[4:5], v[142:143]
	v_add_f64_e32 v[8:9], v[8:9], v[138:139]
	v_mul_f64_e32 v[12:13], v[134:135], v[12:13]
	v_fmac_f64_e32 v[140:141], v[82:83], v[116:117]
	v_fma_f64 v[116:117], v[80:81], v[116:117], -v[118:119]
	v_fmac_f64_e32 v[124:125], v[134:135], v[10:11]
	v_add_f64_e32 v[4:5], v[4:5], v[108:109]
	v_add_f64_e32 v[8:9], v[8:9], v[136:137]
	ds_load_b128 v[80:83], v2 offset:848
	ds_load_b128 v[108:111], v2 offset:864
	v_fma_f64 v[10:11], v[132:133], v[10:11], -v[12:13]
	s_wait_dscnt 0x1
	v_mul_f64_e32 v[118:119], v[80:81], v[130:131]
	v_mul_f64_e32 v[126:127], v[82:83], v[130:131]
	v_add_f64_e32 v[4:5], v[4:5], v[116:117]
	v_add_f64_e32 v[8:9], v[8:9], v[140:141]
	s_wait_loadcnt_dscnt 0x700
	v_mul_f64_e32 v[12:13], v[108:109], v[78:79]
	v_mul_f64_e32 v[116:117], v[110:111], v[78:79]
	v_fmac_f64_e32 v[118:119], v[82:83], v[128:129]
	v_fma_f64 v[82:83], v[80:81], v[128:129], -v[126:127]
	v_add_f64_e32 v[4:5], v[4:5], v[10:11]
	v_add_f64_e32 v[124:125], v[8:9], v[124:125]
	ds_load_b128 v[8:11], v2 offset:880
	ds_load_b128 v[78:81], v2 offset:896
	v_fmac_f64_e32 v[12:13], v[110:111], v[76:77]
	v_fma_f64 v[76:77], v[108:109], v[76:77], -v[116:117]
	s_wait_loadcnt_dscnt 0x601
	v_mul_f64_e32 v[126:127], v[8:9], v[114:115]
	v_mul_f64_e32 v[114:115], v[10:11], v[114:115]
	s_wait_loadcnt_dscnt 0x500
	v_mul_f64_e32 v[116:117], v[78:79], v[86:87]
	v_mul_f64_e32 v[86:87], v[80:81], v[86:87]
	v_add_f64_e32 v[4:5], v[4:5], v[82:83]
	v_add_f64_e32 v[82:83], v[124:125], v[118:119]
	v_fmac_f64_e32 v[126:127], v[10:11], v[112:113]
	v_fma_f64 v[112:113], v[8:9], v[112:113], -v[114:115]
	ds_load_b128 v[8:11], v2 offset:912
	ds_load_b128 v[108:111], v2 offset:928
	v_fmac_f64_e32 v[116:117], v[80:81], v[84:85]
	v_fma_f64 v[78:79], v[78:79], v[84:85], -v[86:87]
	v_add_f64_e32 v[4:5], v[4:5], v[76:77]
	v_add_f64_e32 v[12:13], v[82:83], v[12:13]
	s_wait_loadcnt_dscnt 0x401
	v_mul_f64_e32 v[82:83], v[8:9], v[90:91]
	v_mul_f64_e32 v[76:77], v[10:11], v[90:91]
	s_wait_loadcnt_dscnt 0x300
	v_mul_f64_e32 v[80:81], v[108:109], v[94:95]
	v_mul_f64_e32 v[84:85], v[110:111], v[94:95]
	v_add_f64_e32 v[4:5], v[4:5], v[112:113]
	v_add_f64_e32 v[12:13], v[12:13], v[126:127]
	v_fmac_f64_e32 v[82:83], v[10:11], v[88:89]
	v_fma_f64 v[86:87], v[8:9], v[88:89], -v[76:77]
	v_fmac_f64_e32 v[80:81], v[110:111], v[92:93]
	v_fma_f64 v[84:85], v[108:109], v[92:93], -v[84:85]
	v_add_f64_e32 v[4:5], v[4:5], v[78:79]
	v_add_f64_e32 v[12:13], v[12:13], v[116:117]
	ds_load_b128 v[8:11], v2 offset:944
	ds_load_b128 v[76:79], v2 offset:960
	s_wait_loadcnt_dscnt 0x201
	v_mul_f64_e32 v[88:89], v[8:9], v[98:99]
	v_mul_f64_e32 v[90:91], v[10:11], v[98:99]
	v_add_f64_e32 v[4:5], v[4:5], v[86:87]
	v_add_f64_e32 v[12:13], v[12:13], v[82:83]
	s_wait_loadcnt_dscnt 0x100
	v_mul_f64_e32 v[82:83], v[76:77], v[102:103]
	v_mul_f64_e32 v[86:87], v[78:79], v[102:103]
	v_fmac_f64_e32 v[88:89], v[10:11], v[96:97]
	v_fma_f64 v[90:91], v[8:9], v[96:97], -v[90:91]
	ds_load_b128 v[8:11], v2 offset:976
	v_add_f64_e32 v[4:5], v[4:5], v[84:85]
	v_add_f64_e32 v[12:13], v[12:13], v[80:81]
	v_fmac_f64_e32 v[82:83], v[78:79], v[100:101]
	v_fma_f64 v[76:77], v[76:77], v[100:101], -v[86:87]
	s_wait_loadcnt_dscnt 0x0
	v_mul_f64_e32 v[80:81], v[8:9], v[106:107]
	v_mul_f64_e32 v[84:85], v[10:11], v[106:107]
	v_add_f64_e32 v[4:5], v[4:5], v[90:91]
	v_add_f64_e32 v[12:13], v[12:13], v[88:89]
	s_delay_alu instid0(VALU_DEP_4) | instskip(NEXT) | instid1(VALU_DEP_4)
	v_fmac_f64_e32 v[80:81], v[10:11], v[104:105]
	v_fma_f64 v[8:9], v[8:9], v[104:105], -v[84:85]
	s_delay_alu instid0(VALU_DEP_4) | instskip(NEXT) | instid1(VALU_DEP_4)
	v_add_f64_e32 v[4:5], v[4:5], v[76:77]
	v_add_f64_e32 v[10:11], v[12:13], v[82:83]
	s_delay_alu instid0(VALU_DEP_2) | instskip(NEXT) | instid1(VALU_DEP_2)
	v_add_f64_e32 v[4:5], v[4:5], v[8:9]
	v_add_f64_e32 v[10:11], v[10:11], v[80:81]
	s_delay_alu instid0(VALU_DEP_2) | instskip(NEXT) | instid1(VALU_DEP_2)
	v_add_f64_e64 v[8:9], v[120:121], -v[4:5]
	v_add_f64_e64 v[10:11], v[122:123], -v[10:11]
	scratch_store_b128 off, v[8:11], off offset:144
	s_wait_xcnt 0x0
	v_cmpx_lt_u32_e32 8, v1
	s_cbranch_execz .LBB94_183
; %bb.182:
	scratch_load_b128 v[8:11], off, s39
	v_dual_mov_b32 v3, v2 :: v_dual_mov_b32 v4, v2
	v_mov_b32_e32 v5, v2
	scratch_store_b128 off, v[2:5], off offset:128
	s_wait_loadcnt 0x0
	ds_store_b128 v6, v[8:11]
.LBB94_183:
	s_wait_xcnt 0x0
	s_or_b32 exec_lo, exec_lo, s2
	s_wait_storecnt_dscnt 0x0
	s_barrier_signal -1
	s_barrier_wait -1
	s_clause 0x9
	scratch_load_b128 v[8:11], off, off offset:144
	scratch_load_b128 v[76:79], off, off offset:160
	;; [unrolled: 1-line block ×10, first 2 shown]
	ds_load_b128 v[112:115], v2 offset:640
	ds_load_b128 v[120:123], v2 offset:656
	s_clause 0x1
	scratch_load_b128 v[116:119], off, off offset:304
	scratch_load_b128 v[124:127], off, off offset:128
	s_mov_b32 s2, exec_lo
	s_wait_loadcnt_dscnt 0xb01
	v_mul_f64_e32 v[4:5], v[114:115], v[10:11]
	v_mul_f64_e32 v[136:137], v[112:113], v[10:11]
	scratch_load_b128 v[10:13], off, off offset:320
	s_wait_loadcnt_dscnt 0xb00
	v_mul_f64_e32 v[138:139], v[120:121], v[78:79]
	v_mul_f64_e32 v[78:79], v[122:123], v[78:79]
	v_fma_f64 v[4:5], v[112:113], v[8:9], -v[4:5]
	v_fmac_f64_e32 v[136:137], v[114:115], v[8:9]
	ds_load_b128 v[112:115], v2 offset:672
	ds_load_b128 v[128:131], v2 offset:688
	scratch_load_b128 v[132:135], off, off offset:336
	v_fmac_f64_e32 v[138:139], v[122:123], v[76:77]
	v_fma_f64 v[120:121], v[120:121], v[76:77], -v[78:79]
	scratch_load_b128 v[76:79], off, off offset:352
	s_wait_loadcnt_dscnt 0xc01
	v_mul_f64_e32 v[8:9], v[112:113], v[82:83]
	v_mul_f64_e32 v[82:83], v[114:115], v[82:83]
	v_add_f64_e32 v[4:5], 0, v[4:5]
	v_add_f64_e32 v[122:123], 0, v[136:137]
	s_wait_loadcnt_dscnt 0xb00
	v_mul_f64_e32 v[136:137], v[128:129], v[86:87]
	v_mul_f64_e32 v[86:87], v[130:131], v[86:87]
	v_fmac_f64_e32 v[8:9], v[114:115], v[80:81]
	v_fma_f64 v[140:141], v[112:113], v[80:81], -v[82:83]
	ds_load_b128 v[80:83], v2 offset:704
	ds_load_b128 v[112:115], v2 offset:720
	v_add_f64_e32 v[4:5], v[4:5], v[120:121]
	v_add_f64_e32 v[138:139], v[122:123], v[138:139]
	scratch_load_b128 v[120:123], off, off offset:368
	v_fmac_f64_e32 v[136:137], v[130:131], v[84:85]
	v_fma_f64 v[128:129], v[128:129], v[84:85], -v[86:87]
	scratch_load_b128 v[84:87], off, off offset:384
	s_wait_loadcnt_dscnt 0xc01
	v_mul_f64_e32 v[142:143], v[80:81], v[90:91]
	v_mul_f64_e32 v[90:91], v[82:83], v[90:91]
	v_add_f64_e32 v[4:5], v[4:5], v[140:141]
	v_add_f64_e32 v[8:9], v[138:139], v[8:9]
	s_wait_loadcnt_dscnt 0xb00
	v_mul_f64_e32 v[138:139], v[112:113], v[94:95]
	v_mul_f64_e32 v[94:95], v[114:115], v[94:95]
	v_fmac_f64_e32 v[142:143], v[82:83], v[88:89]
	v_fma_f64 v[140:141], v[80:81], v[88:89], -v[90:91]
	ds_load_b128 v[80:83], v2 offset:736
	ds_load_b128 v[88:91], v2 offset:752
	v_add_f64_e32 v[4:5], v[4:5], v[128:129]
	v_add_f64_e32 v[8:9], v[8:9], v[136:137]
	scratch_load_b128 v[128:131], off, off offset:400
	s_wait_loadcnt_dscnt 0xb01
	v_mul_f64_e32 v[136:137], v[80:81], v[98:99]
	v_mul_f64_e32 v[98:99], v[82:83], v[98:99]
	v_fmac_f64_e32 v[138:139], v[114:115], v[92:93]
	v_fma_f64 v[112:113], v[112:113], v[92:93], -v[94:95]
	scratch_load_b128 v[92:95], off, off offset:416
	v_add_f64_e32 v[4:5], v[4:5], v[140:141]
	v_add_f64_e32 v[8:9], v[8:9], v[142:143]
	s_wait_loadcnt_dscnt 0xb00
	v_mul_f64_e32 v[140:141], v[88:89], v[102:103]
	v_mul_f64_e32 v[102:103], v[90:91], v[102:103]
	v_fmac_f64_e32 v[136:137], v[82:83], v[96:97]
	v_fma_f64 v[142:143], v[80:81], v[96:97], -v[98:99]
	ds_load_b128 v[80:83], v2 offset:768
	ds_load_b128 v[96:99], v2 offset:784
	v_add_f64_e32 v[4:5], v[4:5], v[112:113]
	v_add_f64_e32 v[8:9], v[8:9], v[138:139]
	scratch_load_b128 v[112:115], off, off offset:432
	s_wait_loadcnt_dscnt 0xb01
	v_mul_f64_e32 v[138:139], v[80:81], v[106:107]
	v_mul_f64_e32 v[106:107], v[82:83], v[106:107]
	v_fmac_f64_e32 v[140:141], v[90:91], v[100:101]
	v_fma_f64 v[100:101], v[88:89], v[100:101], -v[102:103]
	scratch_load_b128 v[88:91], off, off offset:448
	v_add_f64_e32 v[4:5], v[4:5], v[142:143]
	v_add_f64_e32 v[8:9], v[8:9], v[136:137]
	s_wait_loadcnt_dscnt 0xb00
	v_mul_f64_e32 v[136:137], v[96:97], v[110:111]
	v_mul_f64_e32 v[110:111], v[98:99], v[110:111]
	v_fmac_f64_e32 v[138:139], v[82:83], v[104:105]
	v_fma_f64 v[142:143], v[80:81], v[104:105], -v[106:107]
	v_add_f64_e32 v[4:5], v[4:5], v[100:101]
	v_add_f64_e32 v[8:9], v[8:9], v[140:141]
	ds_load_b128 v[80:83], v2 offset:800
	ds_load_b128 v[100:103], v2 offset:816
	scratch_load_b128 v[104:107], off, off offset:464
	v_fmac_f64_e32 v[136:137], v[98:99], v[108:109]
	v_fma_f64 v[108:109], v[96:97], v[108:109], -v[110:111]
	scratch_load_b128 v[96:99], off, off offset:480
	s_wait_loadcnt_dscnt 0xc01
	v_mul_f64_e32 v[140:141], v[80:81], v[118:119]
	v_mul_f64_e32 v[118:119], v[82:83], v[118:119]
	v_add_f64_e32 v[4:5], v[4:5], v[142:143]
	v_add_f64_e32 v[8:9], v[8:9], v[138:139]
	s_wait_loadcnt_dscnt 0xa00
	v_mul_f64_e32 v[138:139], v[100:101], v[12:13]
	v_mul_f64_e32 v[12:13], v[102:103], v[12:13]
	v_fmac_f64_e32 v[140:141], v[82:83], v[116:117]
	v_fma_f64 v[116:117], v[80:81], v[116:117], -v[118:119]
	v_add_f64_e32 v[4:5], v[4:5], v[108:109]
	v_add_f64_e32 v[8:9], v[8:9], v[136:137]
	ds_load_b128 v[80:83], v2 offset:832
	ds_load_b128 v[108:111], v2 offset:848
	v_fmac_f64_e32 v[138:139], v[102:103], v[10:11]
	v_fma_f64 v[10:11], v[100:101], v[10:11], -v[12:13]
	s_wait_loadcnt_dscnt 0x901
	v_mul_f64_e32 v[118:119], v[80:81], v[134:135]
	v_mul_f64_e32 v[134:135], v[82:83], v[134:135]
	s_wait_loadcnt_dscnt 0x800
	v_mul_f64_e32 v[12:13], v[108:109], v[78:79]
	v_mul_f64_e32 v[100:101], v[110:111], v[78:79]
	v_add_f64_e32 v[4:5], v[4:5], v[116:117]
	v_add_f64_e32 v[8:9], v[8:9], v[140:141]
	v_fmac_f64_e32 v[118:119], v[82:83], v[132:133]
	v_fma_f64 v[82:83], v[80:81], v[132:133], -v[134:135]
	v_fmac_f64_e32 v[12:13], v[110:111], v[76:77]
	v_fma_f64 v[76:77], v[108:109], v[76:77], -v[100:101]
	v_add_f64_e32 v[4:5], v[4:5], v[10:11]
	v_add_f64_e32 v[102:103], v[8:9], v[138:139]
	ds_load_b128 v[8:11], v2 offset:864
	ds_load_b128 v[78:81], v2 offset:880
	s_wait_loadcnt_dscnt 0x701
	v_mul_f64_e32 v[116:117], v[8:9], v[122:123]
	v_mul_f64_e32 v[122:123], v[10:11], v[122:123]
	s_wait_loadcnt_dscnt 0x600
	v_mul_f64_e32 v[108:109], v[78:79], v[86:87]
	v_mul_f64_e32 v[86:87], v[80:81], v[86:87]
	v_add_f64_e32 v[4:5], v[4:5], v[82:83]
	v_add_f64_e32 v[82:83], v[102:103], v[118:119]
	v_fmac_f64_e32 v[116:117], v[10:11], v[120:121]
	v_fma_f64 v[110:111], v[8:9], v[120:121], -v[122:123]
	ds_load_b128 v[8:11], v2 offset:896
	ds_load_b128 v[100:103], v2 offset:912
	v_fmac_f64_e32 v[108:109], v[80:81], v[84:85]
	v_fma_f64 v[78:79], v[78:79], v[84:85], -v[86:87]
	v_add_f64_e32 v[4:5], v[4:5], v[76:77]
	v_add_f64_e32 v[12:13], v[82:83], v[12:13]
	s_wait_loadcnt_dscnt 0x501
	v_mul_f64_e32 v[82:83], v[8:9], v[130:131]
	v_mul_f64_e32 v[76:77], v[10:11], v[130:131]
	s_wait_loadcnt_dscnt 0x400
	v_mul_f64_e32 v[80:81], v[100:101], v[94:95]
	v_mul_f64_e32 v[84:85], v[102:103], v[94:95]
	v_add_f64_e32 v[4:5], v[4:5], v[110:111]
	v_add_f64_e32 v[12:13], v[12:13], v[116:117]
	v_fmac_f64_e32 v[82:83], v[10:11], v[128:129]
	v_fma_f64 v[86:87], v[8:9], v[128:129], -v[76:77]
	v_fmac_f64_e32 v[80:81], v[102:103], v[92:93]
	v_fma_f64 v[84:85], v[100:101], v[92:93], -v[84:85]
	v_add_f64_e32 v[4:5], v[4:5], v[78:79]
	v_add_f64_e32 v[12:13], v[12:13], v[108:109]
	ds_load_b128 v[8:11], v2 offset:928
	ds_load_b128 v[76:79], v2 offset:944
	s_wait_loadcnt_dscnt 0x301
	v_mul_f64_e32 v[94:95], v[8:9], v[114:115]
	v_mul_f64_e32 v[108:109], v[10:11], v[114:115]
	v_add_f64_e32 v[4:5], v[4:5], v[86:87]
	v_add_f64_e32 v[12:13], v[12:13], v[82:83]
	s_wait_loadcnt_dscnt 0x200
	v_mul_f64_e32 v[82:83], v[76:77], v[90:91]
	v_mul_f64_e32 v[86:87], v[78:79], v[90:91]
	v_fmac_f64_e32 v[94:95], v[10:11], v[112:113]
	v_fma_f64 v[90:91], v[8:9], v[112:113], -v[108:109]
	v_add_f64_e32 v[84:85], v[4:5], v[84:85]
	v_add_f64_e32 v[12:13], v[12:13], v[80:81]
	ds_load_b128 v[8:11], v2 offset:960
	ds_load_b128 v[2:5], v2 offset:976
	v_fmac_f64_e32 v[82:83], v[78:79], v[88:89]
	v_fma_f64 v[76:77], v[76:77], v[88:89], -v[86:87]
	s_wait_loadcnt_dscnt 0x101
	v_mul_f64_e32 v[80:81], v[8:9], v[106:107]
	v_mul_f64_e32 v[92:93], v[10:11], v[106:107]
	s_wait_loadcnt_dscnt 0x0
	v_mul_f64_e32 v[86:87], v[4:5], v[98:99]
	v_add_f64_e32 v[78:79], v[84:85], v[90:91]
	v_add_f64_e32 v[12:13], v[12:13], v[94:95]
	v_mul_f64_e32 v[84:85], v[2:3], v[98:99]
	v_fmac_f64_e32 v[80:81], v[10:11], v[104:105]
	v_fma_f64 v[8:9], v[8:9], v[104:105], -v[92:93]
	v_fma_f64 v[2:3], v[2:3], v[96:97], -v[86:87]
	v_add_f64_e32 v[10:11], v[78:79], v[76:77]
	v_add_f64_e32 v[12:13], v[12:13], v[82:83]
	v_fmac_f64_e32 v[84:85], v[4:5], v[96:97]
	s_delay_alu instid0(VALU_DEP_3) | instskip(NEXT) | instid1(VALU_DEP_3)
	v_add_f64_e32 v[4:5], v[10:11], v[8:9]
	v_add_f64_e32 v[8:9], v[12:13], v[80:81]
	s_delay_alu instid0(VALU_DEP_2) | instskip(NEXT) | instid1(VALU_DEP_2)
	v_add_f64_e32 v[2:3], v[4:5], v[2:3]
	v_add_f64_e32 v[4:5], v[8:9], v[84:85]
	s_delay_alu instid0(VALU_DEP_2) | instskip(NEXT) | instid1(VALU_DEP_2)
	v_add_f64_e64 v[2:3], v[124:125], -v[2:3]
	v_add_f64_e64 v[4:5], v[126:127], -v[4:5]
	scratch_store_b128 off, v[2:5], off offset:128
	s_wait_xcnt 0x0
	v_cmpx_lt_u32_e32 7, v1
	s_cbranch_execz .LBB94_185
; %bb.184:
	scratch_load_b128 v[2:5], off, s40
	v_mov_b32_e32 v8, 0
	s_delay_alu instid0(VALU_DEP_1)
	v_dual_mov_b32 v9, v8 :: v_dual_mov_b32 v10, v8
	v_mov_b32_e32 v11, v8
	scratch_store_b128 off, v[8:11], off offset:112
	s_wait_loadcnt 0x0
	ds_store_b128 v6, v[2:5]
.LBB94_185:
	s_wait_xcnt 0x0
	s_or_b32 exec_lo, exec_lo, s2
	s_wait_storecnt_dscnt 0x0
	s_barrier_signal -1
	s_barrier_wait -1
	s_clause 0x9
	scratch_load_b128 v[8:11], off, off offset:128
	scratch_load_b128 v[76:79], off, off offset:144
	;; [unrolled: 1-line block ×10, first 2 shown]
	v_mov_b32_e32 v2, 0
	s_mov_b32 s2, exec_lo
	ds_load_b128 v[112:115], v2 offset:624
	s_clause 0x2
	scratch_load_b128 v[116:119], off, off offset:288
	scratch_load_b128 v[120:123], off, off offset:112
	;; [unrolled: 1-line block ×3, first 2 shown]
	s_wait_loadcnt_dscnt 0xc00
	v_mul_f64_e32 v[4:5], v[114:115], v[10:11]
	v_mul_f64_e32 v[136:137], v[112:113], v[10:11]
	ds_load_b128 v[124:127], v2 offset:640
	scratch_load_b128 v[10:13], off, off offset:304
	ds_load_b128 v[132:135], v2 offset:672
	v_fma_f64 v[4:5], v[112:113], v[8:9], -v[4:5]
	v_fmac_f64_e32 v[136:137], v[114:115], v[8:9]
	ds_load_b128 v[112:115], v2 offset:656
	s_wait_loadcnt_dscnt 0xc02
	v_mul_f64_e32 v[138:139], v[124:125], v[78:79]
	v_mul_f64_e32 v[78:79], v[126:127], v[78:79]
	s_wait_loadcnt_dscnt 0xb00
	v_mul_f64_e32 v[8:9], v[112:113], v[82:83]
	v_mul_f64_e32 v[82:83], v[114:115], v[82:83]
	v_add_f64_e32 v[4:5], 0, v[4:5]
	v_fmac_f64_e32 v[138:139], v[126:127], v[76:77]
	v_fma_f64 v[124:125], v[124:125], v[76:77], -v[78:79]
	v_add_f64_e32 v[126:127], 0, v[136:137]
	scratch_load_b128 v[76:79], off, off offset:336
	v_fmac_f64_e32 v[8:9], v[114:115], v[80:81]
	v_fma_f64 v[140:141], v[112:113], v[80:81], -v[82:83]
	ds_load_b128 v[80:83], v2 offset:688
	s_wait_loadcnt 0xb
	v_mul_f64_e32 v[136:137], v[132:133], v[86:87]
	v_mul_f64_e32 v[86:87], v[134:135], v[86:87]
	scratch_load_b128 v[112:115], off, off offset:352
	v_add_f64_e32 v[4:5], v[4:5], v[124:125]
	v_add_f64_e32 v[138:139], v[126:127], v[138:139]
	ds_load_b128 v[124:127], v2 offset:704
	s_wait_loadcnt_dscnt 0xb01
	v_mul_f64_e32 v[142:143], v[80:81], v[90:91]
	v_mul_f64_e32 v[90:91], v[82:83], v[90:91]
	v_fmac_f64_e32 v[136:137], v[134:135], v[84:85]
	v_fma_f64 v[132:133], v[132:133], v[84:85], -v[86:87]
	scratch_load_b128 v[84:87], off, off offset:368
	v_add_f64_e32 v[4:5], v[4:5], v[140:141]
	v_add_f64_e32 v[8:9], v[138:139], v[8:9]
	v_fmac_f64_e32 v[142:143], v[82:83], v[88:89]
	v_fma_f64 v[140:141], v[80:81], v[88:89], -v[90:91]
	ds_load_b128 v[80:83], v2 offset:720
	s_wait_loadcnt_dscnt 0xb01
	v_mul_f64_e32 v[138:139], v[124:125], v[94:95]
	v_mul_f64_e32 v[94:95], v[126:127], v[94:95]
	scratch_load_b128 v[88:91], off, off offset:384
	v_add_f64_e32 v[4:5], v[4:5], v[132:133]
	v_add_f64_e32 v[8:9], v[8:9], v[136:137]
	s_wait_loadcnt_dscnt 0xb00
	v_mul_f64_e32 v[136:137], v[80:81], v[98:99]
	v_mul_f64_e32 v[98:99], v[82:83], v[98:99]
	ds_load_b128 v[132:135], v2 offset:736
	v_fmac_f64_e32 v[138:139], v[126:127], v[92:93]
	v_fma_f64 v[124:125], v[124:125], v[92:93], -v[94:95]
	scratch_load_b128 v[92:95], off, off offset:400
	v_add_f64_e32 v[4:5], v[4:5], v[140:141]
	v_add_f64_e32 v[8:9], v[8:9], v[142:143]
	v_fmac_f64_e32 v[136:137], v[82:83], v[96:97]
	v_fma_f64 v[142:143], v[80:81], v[96:97], -v[98:99]
	ds_load_b128 v[80:83], v2 offset:752
	s_wait_loadcnt_dscnt 0xb01
	v_mul_f64_e32 v[140:141], v[132:133], v[102:103]
	v_mul_f64_e32 v[102:103], v[134:135], v[102:103]
	scratch_load_b128 v[96:99], off, off offset:416
	v_add_f64_e32 v[4:5], v[4:5], v[124:125]
	v_add_f64_e32 v[8:9], v[8:9], v[138:139]
	s_wait_loadcnt_dscnt 0xb00
	v_mul_f64_e32 v[138:139], v[80:81], v[106:107]
	v_mul_f64_e32 v[106:107], v[82:83], v[106:107]
	ds_load_b128 v[124:127], v2 offset:768
	;; [unrolled: 18-line block ×3, first 2 shown]
	v_fmac_f64_e32 v[136:137], v[126:127], v[108:109]
	v_fma_f64 v[124:125], v[124:125], v[108:109], -v[110:111]
	scratch_load_b128 v[108:111], off, off offset:464
	v_add_f64_e32 v[4:5], v[4:5], v[142:143]
	v_add_f64_e32 v[8:9], v[8:9], v[138:139]
	v_fmac_f64_e32 v[140:141], v[82:83], v[116:117]
	v_fma_f64 v[142:143], v[80:81], v[116:117], -v[118:119]
	ds_load_b128 v[80:83], v2 offset:816
	s_wait_loadcnt_dscnt 0x901
	v_mul_f64_e32 v[138:139], v[132:133], v[12:13]
	v_mul_f64_e32 v[12:13], v[134:135], v[12:13]
	scratch_load_b128 v[116:119], off, off offset:480
	v_add_f64_e32 v[4:5], v[4:5], v[124:125]
	v_add_f64_e32 v[8:9], v[8:9], v[136:137]
	s_wait_dscnt 0x0
	v_mul_f64_e32 v[136:137], v[80:81], v[130:131]
	v_mul_f64_e32 v[130:131], v[82:83], v[130:131]
	ds_load_b128 v[124:127], v2 offset:832
	v_fmac_f64_e32 v[138:139], v[134:135], v[10:11]
	v_fma_f64 v[10:11], v[132:133], v[10:11], -v[12:13]
	v_add_f64_e32 v[4:5], v[4:5], v[142:143]
	v_add_f64_e32 v[8:9], v[8:9], v[140:141]
	s_wait_loadcnt_dscnt 0x900
	v_mul_f64_e32 v[12:13], v[124:125], v[78:79]
	v_mul_f64_e32 v[132:133], v[126:127], v[78:79]
	v_fmac_f64_e32 v[136:137], v[82:83], v[128:129]
	v_fma_f64 v[82:83], v[80:81], v[128:129], -v[130:131]
	v_add_f64_e32 v[4:5], v[4:5], v[10:11]
	v_add_f64_e32 v[128:129], v[8:9], v[138:139]
	ds_load_b128 v[8:11], v2 offset:848
	ds_load_b128 v[78:81], v2 offset:864
	v_fmac_f64_e32 v[12:13], v[126:127], v[76:77]
	v_fma_f64 v[76:77], v[124:125], v[76:77], -v[132:133]
	s_wait_loadcnt_dscnt 0x801
	v_mul_f64_e32 v[130:131], v[8:9], v[114:115]
	v_mul_f64_e32 v[114:115], v[10:11], v[114:115]
	s_wait_loadcnt_dscnt 0x700
	v_mul_f64_e32 v[124:125], v[78:79], v[86:87]
	v_mul_f64_e32 v[86:87], v[80:81], v[86:87]
	v_add_f64_e32 v[4:5], v[4:5], v[82:83]
	v_add_f64_e32 v[82:83], v[128:129], v[136:137]
	v_fmac_f64_e32 v[130:131], v[10:11], v[112:113]
	v_fma_f64 v[126:127], v[8:9], v[112:113], -v[114:115]
	ds_load_b128 v[8:11], v2 offset:880
	ds_load_b128 v[112:115], v2 offset:896
	v_fmac_f64_e32 v[124:125], v[80:81], v[84:85]
	v_fma_f64 v[78:79], v[78:79], v[84:85], -v[86:87]
	v_add_f64_e32 v[4:5], v[4:5], v[76:77]
	v_add_f64_e32 v[12:13], v[82:83], v[12:13]
	s_wait_loadcnt_dscnt 0x601
	v_mul_f64_e32 v[82:83], v[8:9], v[90:91]
	v_mul_f64_e32 v[76:77], v[10:11], v[90:91]
	s_wait_loadcnt_dscnt 0x500
	v_mul_f64_e32 v[80:81], v[112:113], v[94:95]
	v_mul_f64_e32 v[84:85], v[114:115], v[94:95]
	v_add_f64_e32 v[4:5], v[4:5], v[126:127]
	v_add_f64_e32 v[12:13], v[12:13], v[130:131]
	v_fmac_f64_e32 v[82:83], v[10:11], v[88:89]
	v_fma_f64 v[86:87], v[8:9], v[88:89], -v[76:77]
	v_fmac_f64_e32 v[80:81], v[114:115], v[92:93]
	v_fma_f64 v[84:85], v[112:113], v[92:93], -v[84:85]
	v_add_f64_e32 v[4:5], v[4:5], v[78:79]
	v_add_f64_e32 v[12:13], v[12:13], v[124:125]
	ds_load_b128 v[8:11], v2 offset:912
	ds_load_b128 v[76:79], v2 offset:928
	s_wait_loadcnt_dscnt 0x401
	v_mul_f64_e32 v[88:89], v[8:9], v[98:99]
	v_mul_f64_e32 v[90:91], v[10:11], v[98:99]
	s_wait_loadcnt_dscnt 0x300
	v_mul_f64_e32 v[92:93], v[78:79], v[102:103]
	v_add_f64_e32 v[4:5], v[4:5], v[86:87]
	v_add_f64_e32 v[12:13], v[12:13], v[82:83]
	v_mul_f64_e32 v[86:87], v[76:77], v[102:103]
	v_fmac_f64_e32 v[88:89], v[10:11], v[96:97]
	v_fma_f64 v[90:91], v[8:9], v[96:97], -v[90:91]
	v_fma_f64 v[76:77], v[76:77], v[100:101], -v[92:93]
	v_add_f64_e32 v[4:5], v[4:5], v[84:85]
	v_add_f64_e32 v[12:13], v[12:13], v[80:81]
	ds_load_b128 v[8:11], v2 offset:944
	ds_load_b128 v[80:83], v2 offset:960
	v_fmac_f64_e32 v[86:87], v[78:79], v[100:101]
	s_wait_loadcnt_dscnt 0x201
	v_mul_f64_e32 v[84:85], v[8:9], v[106:107]
	v_mul_f64_e32 v[94:95], v[10:11], v[106:107]
	s_wait_loadcnt_dscnt 0x100
	v_mul_f64_e32 v[78:79], v[80:81], v[110:111]
	v_add_f64_e32 v[4:5], v[4:5], v[90:91]
	v_add_f64_e32 v[12:13], v[12:13], v[88:89]
	v_mul_f64_e32 v[88:89], v[82:83], v[110:111]
	v_fmac_f64_e32 v[84:85], v[10:11], v[104:105]
	v_fma_f64 v[90:91], v[8:9], v[104:105], -v[94:95]
	ds_load_b128 v[8:11], v2 offset:976
	v_fmac_f64_e32 v[78:79], v[82:83], v[108:109]
	v_add_f64_e32 v[4:5], v[4:5], v[76:77]
	v_add_f64_e32 v[12:13], v[12:13], v[86:87]
	v_fma_f64 v[80:81], v[80:81], v[108:109], -v[88:89]
	s_wait_loadcnt_dscnt 0x0
	v_mul_f64_e32 v[76:77], v[8:9], v[118:119]
	v_mul_f64_e32 v[86:87], v[10:11], v[118:119]
	v_add_f64_e32 v[4:5], v[4:5], v[90:91]
	v_add_f64_e32 v[12:13], v[12:13], v[84:85]
	s_delay_alu instid0(VALU_DEP_4) | instskip(NEXT) | instid1(VALU_DEP_4)
	v_fmac_f64_e32 v[76:77], v[10:11], v[116:117]
	v_fma_f64 v[8:9], v[8:9], v[116:117], -v[86:87]
	s_delay_alu instid0(VALU_DEP_4) | instskip(NEXT) | instid1(VALU_DEP_4)
	v_add_f64_e32 v[4:5], v[4:5], v[80:81]
	v_add_f64_e32 v[10:11], v[12:13], v[78:79]
	s_delay_alu instid0(VALU_DEP_2) | instskip(NEXT) | instid1(VALU_DEP_2)
	v_add_f64_e32 v[4:5], v[4:5], v[8:9]
	v_add_f64_e32 v[10:11], v[10:11], v[76:77]
	s_delay_alu instid0(VALU_DEP_2) | instskip(NEXT) | instid1(VALU_DEP_2)
	v_add_f64_e64 v[8:9], v[120:121], -v[4:5]
	v_add_f64_e64 v[10:11], v[122:123], -v[10:11]
	scratch_store_b128 off, v[8:11], off offset:112
	s_wait_xcnt 0x0
	v_cmpx_lt_u32_e32 6, v1
	s_cbranch_execz .LBB94_187
; %bb.186:
	scratch_load_b128 v[8:11], off, s41
	v_dual_mov_b32 v3, v2 :: v_dual_mov_b32 v4, v2
	v_mov_b32_e32 v5, v2
	scratch_store_b128 off, v[2:5], off offset:96
	s_wait_loadcnt 0x0
	ds_store_b128 v6, v[8:11]
.LBB94_187:
	s_wait_xcnt 0x0
	s_or_b32 exec_lo, exec_lo, s2
	s_wait_storecnt_dscnt 0x0
	s_barrier_signal -1
	s_barrier_wait -1
	s_clause 0x9
	scratch_load_b128 v[8:11], off, off offset:112
	scratch_load_b128 v[76:79], off, off offset:128
	;; [unrolled: 1-line block ×10, first 2 shown]
	ds_load_b128 v[112:115], v2 offset:608
	ds_load_b128 v[120:123], v2 offset:624
	s_clause 0x1
	scratch_load_b128 v[116:119], off, off offset:272
	scratch_load_b128 v[124:127], off, off offset:96
	s_mov_b32 s2, exec_lo
	s_wait_loadcnt_dscnt 0xb01
	v_mul_f64_e32 v[4:5], v[114:115], v[10:11]
	v_mul_f64_e32 v[136:137], v[112:113], v[10:11]
	scratch_load_b128 v[10:13], off, off offset:288
	s_wait_loadcnt_dscnt 0xb00
	v_mul_f64_e32 v[138:139], v[120:121], v[78:79]
	v_mul_f64_e32 v[78:79], v[122:123], v[78:79]
	v_fma_f64 v[4:5], v[112:113], v[8:9], -v[4:5]
	v_fmac_f64_e32 v[136:137], v[114:115], v[8:9]
	ds_load_b128 v[112:115], v2 offset:640
	ds_load_b128 v[128:131], v2 offset:656
	scratch_load_b128 v[132:135], off, off offset:304
	v_fmac_f64_e32 v[138:139], v[122:123], v[76:77]
	v_fma_f64 v[120:121], v[120:121], v[76:77], -v[78:79]
	scratch_load_b128 v[76:79], off, off offset:320
	s_wait_loadcnt_dscnt 0xc01
	v_mul_f64_e32 v[8:9], v[112:113], v[82:83]
	v_mul_f64_e32 v[82:83], v[114:115], v[82:83]
	v_add_f64_e32 v[4:5], 0, v[4:5]
	v_add_f64_e32 v[122:123], 0, v[136:137]
	s_wait_loadcnt_dscnt 0xb00
	v_mul_f64_e32 v[136:137], v[128:129], v[86:87]
	v_mul_f64_e32 v[86:87], v[130:131], v[86:87]
	v_fmac_f64_e32 v[8:9], v[114:115], v[80:81]
	v_fma_f64 v[140:141], v[112:113], v[80:81], -v[82:83]
	ds_load_b128 v[80:83], v2 offset:672
	ds_load_b128 v[112:115], v2 offset:688
	v_add_f64_e32 v[4:5], v[4:5], v[120:121]
	v_add_f64_e32 v[138:139], v[122:123], v[138:139]
	scratch_load_b128 v[120:123], off, off offset:336
	v_fmac_f64_e32 v[136:137], v[130:131], v[84:85]
	v_fma_f64 v[128:129], v[128:129], v[84:85], -v[86:87]
	scratch_load_b128 v[84:87], off, off offset:352
	s_wait_loadcnt_dscnt 0xc01
	v_mul_f64_e32 v[142:143], v[80:81], v[90:91]
	v_mul_f64_e32 v[90:91], v[82:83], v[90:91]
	v_add_f64_e32 v[4:5], v[4:5], v[140:141]
	v_add_f64_e32 v[8:9], v[138:139], v[8:9]
	s_wait_loadcnt_dscnt 0xb00
	v_mul_f64_e32 v[138:139], v[112:113], v[94:95]
	v_mul_f64_e32 v[94:95], v[114:115], v[94:95]
	v_fmac_f64_e32 v[142:143], v[82:83], v[88:89]
	v_fma_f64 v[140:141], v[80:81], v[88:89], -v[90:91]
	ds_load_b128 v[80:83], v2 offset:704
	ds_load_b128 v[88:91], v2 offset:720
	v_add_f64_e32 v[4:5], v[4:5], v[128:129]
	v_add_f64_e32 v[8:9], v[8:9], v[136:137]
	scratch_load_b128 v[128:131], off, off offset:368
	s_wait_loadcnt_dscnt 0xb01
	v_mul_f64_e32 v[136:137], v[80:81], v[98:99]
	v_mul_f64_e32 v[98:99], v[82:83], v[98:99]
	v_fmac_f64_e32 v[138:139], v[114:115], v[92:93]
	v_fma_f64 v[112:113], v[112:113], v[92:93], -v[94:95]
	scratch_load_b128 v[92:95], off, off offset:384
	v_add_f64_e32 v[4:5], v[4:5], v[140:141]
	v_add_f64_e32 v[8:9], v[8:9], v[142:143]
	s_wait_loadcnt_dscnt 0xb00
	v_mul_f64_e32 v[140:141], v[88:89], v[102:103]
	v_mul_f64_e32 v[102:103], v[90:91], v[102:103]
	v_fmac_f64_e32 v[136:137], v[82:83], v[96:97]
	v_fma_f64 v[142:143], v[80:81], v[96:97], -v[98:99]
	ds_load_b128 v[80:83], v2 offset:736
	ds_load_b128 v[96:99], v2 offset:752
	v_add_f64_e32 v[4:5], v[4:5], v[112:113]
	v_add_f64_e32 v[8:9], v[8:9], v[138:139]
	scratch_load_b128 v[112:115], off, off offset:400
	s_wait_loadcnt_dscnt 0xb01
	v_mul_f64_e32 v[138:139], v[80:81], v[106:107]
	v_mul_f64_e32 v[106:107], v[82:83], v[106:107]
	v_fmac_f64_e32 v[140:141], v[90:91], v[100:101]
	v_fma_f64 v[100:101], v[88:89], v[100:101], -v[102:103]
	scratch_load_b128 v[88:91], off, off offset:416
	v_add_f64_e32 v[4:5], v[4:5], v[142:143]
	v_add_f64_e32 v[8:9], v[8:9], v[136:137]
	s_wait_loadcnt_dscnt 0xb00
	v_mul_f64_e32 v[136:137], v[96:97], v[110:111]
	v_mul_f64_e32 v[110:111], v[98:99], v[110:111]
	v_fmac_f64_e32 v[138:139], v[82:83], v[104:105]
	v_fma_f64 v[142:143], v[80:81], v[104:105], -v[106:107]
	v_add_f64_e32 v[4:5], v[4:5], v[100:101]
	v_add_f64_e32 v[8:9], v[8:9], v[140:141]
	ds_load_b128 v[80:83], v2 offset:768
	ds_load_b128 v[100:103], v2 offset:784
	scratch_load_b128 v[104:107], off, off offset:432
	v_fmac_f64_e32 v[136:137], v[98:99], v[108:109]
	v_fma_f64 v[108:109], v[96:97], v[108:109], -v[110:111]
	scratch_load_b128 v[96:99], off, off offset:448
	s_wait_loadcnt_dscnt 0xc01
	v_mul_f64_e32 v[140:141], v[80:81], v[118:119]
	v_mul_f64_e32 v[118:119], v[82:83], v[118:119]
	v_add_f64_e32 v[4:5], v[4:5], v[142:143]
	v_add_f64_e32 v[8:9], v[8:9], v[138:139]
	s_wait_loadcnt_dscnt 0xa00
	v_mul_f64_e32 v[138:139], v[100:101], v[12:13]
	v_mul_f64_e32 v[12:13], v[102:103], v[12:13]
	v_fmac_f64_e32 v[140:141], v[82:83], v[116:117]
	v_fma_f64 v[142:143], v[80:81], v[116:117], -v[118:119]
	v_add_f64_e32 v[4:5], v[4:5], v[108:109]
	v_add_f64_e32 v[8:9], v[8:9], v[136:137]
	ds_load_b128 v[80:83], v2 offset:800
	ds_load_b128 v[108:111], v2 offset:816
	scratch_load_b128 v[116:119], off, off offset:464
	v_fmac_f64_e32 v[138:139], v[102:103], v[10:11]
	v_fma_f64 v[12:13], v[100:101], v[10:11], -v[12:13]
	s_wait_loadcnt_dscnt 0xa01
	v_mul_f64_e32 v[136:137], v[80:81], v[134:135]
	v_mul_f64_e32 v[134:135], v[82:83], v[134:135]
	v_add_f64_e32 v[4:5], v[4:5], v[142:143]
	v_add_f64_e32 v[100:101], v[8:9], v[140:141]
	scratch_load_b128 v[8:11], off, off offset:480
	s_wait_loadcnt_dscnt 0xa00
	v_mul_f64_e32 v[140:141], v[108:109], v[78:79]
	v_mul_f64_e32 v[142:143], v[110:111], v[78:79]
	v_fmac_f64_e32 v[136:137], v[82:83], v[132:133]
	v_fma_f64 v[82:83], v[80:81], v[132:133], -v[134:135]
	v_add_f64_e32 v[4:5], v[4:5], v[12:13]
	v_add_f64_e32 v[12:13], v[100:101], v[138:139]
	ds_load_b128 v[78:81], v2 offset:832
	ds_load_b128 v[100:103], v2 offset:848
	v_fmac_f64_e32 v[140:141], v[110:111], v[76:77]
	v_fma_f64 v[76:77], v[108:109], v[76:77], -v[142:143]
	s_wait_loadcnt_dscnt 0x901
	v_mul_f64_e32 v[132:133], v[78:79], v[122:123]
	v_mul_f64_e32 v[122:123], v[80:81], v[122:123]
	s_wait_loadcnt_dscnt 0x800
	v_mul_f64_e32 v[108:109], v[100:101], v[86:87]
	v_mul_f64_e32 v[86:87], v[102:103], v[86:87]
	v_add_f64_e32 v[4:5], v[4:5], v[82:83]
	v_add_f64_e32 v[12:13], v[12:13], v[136:137]
	v_fmac_f64_e32 v[132:133], v[80:81], v[120:121]
	v_fma_f64 v[110:111], v[78:79], v[120:121], -v[122:123]
	v_fmac_f64_e32 v[108:109], v[102:103], v[84:85]
	v_fma_f64 v[84:85], v[100:101], v[84:85], -v[86:87]
	v_add_f64_e32 v[4:5], v[4:5], v[76:77]
	v_add_f64_e32 v[12:13], v[12:13], v[140:141]
	ds_load_b128 v[76:79], v2 offset:864
	ds_load_b128 v[80:83], v2 offset:880
	s_wait_loadcnt_dscnt 0x701
	v_mul_f64_e32 v[120:121], v[76:77], v[130:131]
	v_mul_f64_e32 v[122:123], v[78:79], v[130:131]
	s_wait_loadcnt_dscnt 0x600
	v_mul_f64_e32 v[100:101], v[80:81], v[94:95]
	v_mul_f64_e32 v[94:95], v[82:83], v[94:95]
	v_add_f64_e32 v[4:5], v[4:5], v[110:111]
	v_add_f64_e32 v[12:13], v[12:13], v[132:133]
	v_fmac_f64_e32 v[120:121], v[78:79], v[128:129]
	v_fma_f64 v[102:103], v[76:77], v[128:129], -v[122:123]
	v_fmac_f64_e32 v[100:101], v[82:83], v[92:93]
	v_fma_f64 v[80:81], v[80:81], v[92:93], -v[94:95]
	v_add_f64_e32 v[4:5], v[4:5], v[84:85]
	v_add_f64_e32 v[12:13], v[12:13], v[108:109]
	ds_load_b128 v[76:79], v2 offset:896
	ds_load_b128 v[84:87], v2 offset:912
	;; [unrolled: 16-line block ×4, first 2 shown]
	s_wait_loadcnt_dscnt 0x101
	v_mul_f64_e32 v[92:93], v[76:77], v[118:119]
	v_mul_f64_e32 v[94:95], v[78:79], v[118:119]
	v_add_f64_e32 v[82:83], v[84:85], v[90:91]
	v_add_f64_e32 v[12:13], v[12:13], v[100:101]
	s_wait_loadcnt_dscnt 0x0
	v_mul_f64_e32 v[84:85], v[2:3], v[10:11]
	v_mul_f64_e32 v[10:11], v[4:5], v[10:11]
	v_fmac_f64_e32 v[92:93], v[78:79], v[116:117]
	v_fma_f64 v[76:77], v[76:77], v[116:117], -v[94:95]
	v_add_f64_e32 v[78:79], v[82:83], v[80:81]
	v_add_f64_e32 v[12:13], v[12:13], v[86:87]
	v_fmac_f64_e32 v[84:85], v[4:5], v[8:9]
	v_fma_f64 v[2:3], v[2:3], v[8:9], -v[10:11]
	s_delay_alu instid0(VALU_DEP_4) | instskip(NEXT) | instid1(VALU_DEP_4)
	v_add_f64_e32 v[4:5], v[78:79], v[76:77]
	v_add_f64_e32 v[8:9], v[12:13], v[92:93]
	s_delay_alu instid0(VALU_DEP_2) | instskip(NEXT) | instid1(VALU_DEP_2)
	v_add_f64_e32 v[2:3], v[4:5], v[2:3]
	v_add_f64_e32 v[4:5], v[8:9], v[84:85]
	s_delay_alu instid0(VALU_DEP_2) | instskip(NEXT) | instid1(VALU_DEP_2)
	v_add_f64_e64 v[2:3], v[124:125], -v[2:3]
	v_add_f64_e64 v[4:5], v[126:127], -v[4:5]
	scratch_store_b128 off, v[2:5], off offset:96
	s_wait_xcnt 0x0
	v_cmpx_lt_u32_e32 5, v1
	s_cbranch_execz .LBB94_189
; %bb.188:
	scratch_load_b128 v[2:5], off, s42
	v_mov_b32_e32 v8, 0
	s_delay_alu instid0(VALU_DEP_1)
	v_dual_mov_b32 v9, v8 :: v_dual_mov_b32 v10, v8
	v_mov_b32_e32 v11, v8
	scratch_store_b128 off, v[8:11], off offset:80
	s_wait_loadcnt 0x0
	ds_store_b128 v6, v[2:5]
.LBB94_189:
	s_wait_xcnt 0x0
	s_or_b32 exec_lo, exec_lo, s2
	s_wait_storecnt_dscnt 0x0
	s_barrier_signal -1
	s_barrier_wait -1
	s_clause 0x9
	scratch_load_b128 v[8:11], off, off offset:96
	scratch_load_b128 v[76:79], off, off offset:112
	;; [unrolled: 1-line block ×10, first 2 shown]
	v_mov_b32_e32 v2, 0
	s_mov_b32 s2, exec_lo
	ds_load_b128 v[112:115], v2 offset:592
	s_clause 0x2
	scratch_load_b128 v[116:119], off, off offset:256
	scratch_load_b128 v[120:123], off, off offset:80
	;; [unrolled: 1-line block ×3, first 2 shown]
	s_wait_loadcnt_dscnt 0xc00
	v_mul_f64_e32 v[4:5], v[114:115], v[10:11]
	v_mul_f64_e32 v[136:137], v[112:113], v[10:11]
	ds_load_b128 v[124:127], v2 offset:608
	scratch_load_b128 v[10:13], off, off offset:272
	ds_load_b128 v[132:135], v2 offset:640
	v_fma_f64 v[4:5], v[112:113], v[8:9], -v[4:5]
	v_fmac_f64_e32 v[136:137], v[114:115], v[8:9]
	ds_load_b128 v[112:115], v2 offset:624
	s_wait_loadcnt_dscnt 0xc02
	v_mul_f64_e32 v[138:139], v[124:125], v[78:79]
	v_mul_f64_e32 v[78:79], v[126:127], v[78:79]
	s_wait_loadcnt_dscnt 0xb00
	v_mul_f64_e32 v[8:9], v[112:113], v[82:83]
	v_mul_f64_e32 v[82:83], v[114:115], v[82:83]
	v_add_f64_e32 v[4:5], 0, v[4:5]
	v_fmac_f64_e32 v[138:139], v[126:127], v[76:77]
	v_fma_f64 v[124:125], v[124:125], v[76:77], -v[78:79]
	v_add_f64_e32 v[126:127], 0, v[136:137]
	scratch_load_b128 v[76:79], off, off offset:304
	v_fmac_f64_e32 v[8:9], v[114:115], v[80:81]
	v_fma_f64 v[140:141], v[112:113], v[80:81], -v[82:83]
	ds_load_b128 v[80:83], v2 offset:656
	s_wait_loadcnt 0xb
	v_mul_f64_e32 v[136:137], v[132:133], v[86:87]
	v_mul_f64_e32 v[86:87], v[134:135], v[86:87]
	scratch_load_b128 v[112:115], off, off offset:320
	v_add_f64_e32 v[4:5], v[4:5], v[124:125]
	v_add_f64_e32 v[138:139], v[126:127], v[138:139]
	ds_load_b128 v[124:127], v2 offset:672
	s_wait_loadcnt_dscnt 0xb01
	v_mul_f64_e32 v[142:143], v[80:81], v[90:91]
	v_mul_f64_e32 v[90:91], v[82:83], v[90:91]
	v_fmac_f64_e32 v[136:137], v[134:135], v[84:85]
	v_fma_f64 v[132:133], v[132:133], v[84:85], -v[86:87]
	scratch_load_b128 v[84:87], off, off offset:336
	v_add_f64_e32 v[4:5], v[4:5], v[140:141]
	v_add_f64_e32 v[8:9], v[138:139], v[8:9]
	v_fmac_f64_e32 v[142:143], v[82:83], v[88:89]
	v_fma_f64 v[140:141], v[80:81], v[88:89], -v[90:91]
	ds_load_b128 v[80:83], v2 offset:688
	s_wait_loadcnt_dscnt 0xb01
	v_mul_f64_e32 v[138:139], v[124:125], v[94:95]
	v_mul_f64_e32 v[94:95], v[126:127], v[94:95]
	scratch_load_b128 v[88:91], off, off offset:352
	v_add_f64_e32 v[4:5], v[4:5], v[132:133]
	v_add_f64_e32 v[8:9], v[8:9], v[136:137]
	s_wait_loadcnt_dscnt 0xb00
	v_mul_f64_e32 v[136:137], v[80:81], v[98:99]
	v_mul_f64_e32 v[98:99], v[82:83], v[98:99]
	ds_load_b128 v[132:135], v2 offset:704
	v_fmac_f64_e32 v[138:139], v[126:127], v[92:93]
	v_fma_f64 v[124:125], v[124:125], v[92:93], -v[94:95]
	scratch_load_b128 v[92:95], off, off offset:368
	v_add_f64_e32 v[4:5], v[4:5], v[140:141]
	v_add_f64_e32 v[8:9], v[8:9], v[142:143]
	v_fmac_f64_e32 v[136:137], v[82:83], v[96:97]
	v_fma_f64 v[142:143], v[80:81], v[96:97], -v[98:99]
	ds_load_b128 v[80:83], v2 offset:720
	s_wait_loadcnt_dscnt 0xb01
	v_mul_f64_e32 v[140:141], v[132:133], v[102:103]
	v_mul_f64_e32 v[102:103], v[134:135], v[102:103]
	scratch_load_b128 v[96:99], off, off offset:384
	v_add_f64_e32 v[4:5], v[4:5], v[124:125]
	v_add_f64_e32 v[8:9], v[8:9], v[138:139]
	s_wait_loadcnt_dscnt 0xb00
	v_mul_f64_e32 v[138:139], v[80:81], v[106:107]
	v_mul_f64_e32 v[106:107], v[82:83], v[106:107]
	ds_load_b128 v[124:127], v2 offset:736
	;; [unrolled: 18-line block ×3, first 2 shown]
	v_fmac_f64_e32 v[136:137], v[126:127], v[108:109]
	v_fma_f64 v[124:125], v[124:125], v[108:109], -v[110:111]
	scratch_load_b128 v[108:111], off, off offset:432
	v_add_f64_e32 v[4:5], v[4:5], v[142:143]
	v_add_f64_e32 v[8:9], v[8:9], v[138:139]
	v_fmac_f64_e32 v[140:141], v[82:83], v[116:117]
	v_fma_f64 v[142:143], v[80:81], v[116:117], -v[118:119]
	ds_load_b128 v[80:83], v2 offset:784
	s_wait_loadcnt_dscnt 0x901
	v_mul_f64_e32 v[138:139], v[132:133], v[12:13]
	v_mul_f64_e32 v[12:13], v[134:135], v[12:13]
	scratch_load_b128 v[116:119], off, off offset:448
	v_add_f64_e32 v[4:5], v[4:5], v[124:125]
	v_add_f64_e32 v[8:9], v[8:9], v[136:137]
	s_wait_dscnt 0x0
	v_mul_f64_e32 v[136:137], v[80:81], v[130:131]
	v_mul_f64_e32 v[130:131], v[82:83], v[130:131]
	ds_load_b128 v[124:127], v2 offset:800
	v_fmac_f64_e32 v[138:139], v[134:135], v[10:11]
	v_fma_f64 v[12:13], v[132:133], v[10:11], -v[12:13]
	v_add_f64_e32 v[4:5], v[4:5], v[142:143]
	v_add_f64_e32 v[132:133], v[8:9], v[140:141]
	scratch_load_b128 v[8:11], off, off offset:464
	v_fmac_f64_e32 v[136:137], v[82:83], v[128:129]
	v_fma_f64 v[82:83], v[80:81], v[128:129], -v[130:131]
	scratch_load_b128 v[128:131], off, off offset:480
	v_add_f64_e32 v[4:5], v[4:5], v[12:13]
	v_add_f64_e32 v[12:13], v[132:133], v[138:139]
	ds_load_b128 v[132:135], v2 offset:832
	s_wait_loadcnt_dscnt 0xb01
	v_mul_f64_e32 v[140:141], v[124:125], v[78:79]
	v_mul_f64_e32 v[142:143], v[126:127], v[78:79]
	ds_load_b128 v[78:81], v2 offset:816
	s_wait_loadcnt_dscnt 0xa00
	v_mul_f64_e32 v[138:139], v[78:79], v[114:115]
	v_mul_f64_e32 v[114:115], v[80:81], v[114:115]
	v_add_f64_e32 v[4:5], v[4:5], v[82:83]
	v_add_f64_e32 v[12:13], v[12:13], v[136:137]
	v_fmac_f64_e32 v[140:141], v[126:127], v[76:77]
	v_fma_f64 v[76:77], v[124:125], v[76:77], -v[142:143]
	s_wait_loadcnt 0x9
	v_mul_f64_e32 v[124:125], v[132:133], v[86:87]
	v_mul_f64_e32 v[86:87], v[134:135], v[86:87]
	v_fmac_f64_e32 v[138:139], v[80:81], v[112:113]
	v_fma_f64 v[112:113], v[78:79], v[112:113], -v[114:115]
	v_add_f64_e32 v[12:13], v[12:13], v[140:141]
	v_add_f64_e32 v[4:5], v[4:5], v[76:77]
	ds_load_b128 v[76:79], v2 offset:848
	ds_load_b128 v[80:83], v2 offset:864
	v_fmac_f64_e32 v[124:125], v[134:135], v[84:85]
	v_fma_f64 v[84:85], v[132:133], v[84:85], -v[86:87]
	s_wait_loadcnt_dscnt 0x801
	v_mul_f64_e32 v[114:115], v[76:77], v[90:91]
	v_mul_f64_e32 v[90:91], v[78:79], v[90:91]
	v_add_f64_e32 v[12:13], v[12:13], v[138:139]
	v_add_f64_e32 v[4:5], v[4:5], v[112:113]
	s_wait_loadcnt_dscnt 0x700
	v_mul_f64_e32 v[112:113], v[80:81], v[94:95]
	v_mul_f64_e32 v[94:95], v[82:83], v[94:95]
	v_fmac_f64_e32 v[114:115], v[78:79], v[88:89]
	v_fma_f64 v[88:89], v[76:77], v[88:89], -v[90:91]
	v_add_f64_e32 v[12:13], v[12:13], v[124:125]
	v_add_f64_e32 v[4:5], v[4:5], v[84:85]
	ds_load_b128 v[76:79], v2 offset:880
	ds_load_b128 v[84:87], v2 offset:896
	v_fmac_f64_e32 v[112:113], v[82:83], v[92:93]
	v_fma_f64 v[80:81], v[80:81], v[92:93], -v[94:95]
	s_wait_loadcnt_dscnt 0x601
	v_mul_f64_e32 v[90:91], v[76:77], v[98:99]
	v_mul_f64_e32 v[98:99], v[78:79], v[98:99]
	s_wait_loadcnt_dscnt 0x500
	v_mul_f64_e32 v[92:93], v[86:87], v[102:103]
	v_add_f64_e32 v[12:13], v[12:13], v[114:115]
	v_add_f64_e32 v[4:5], v[4:5], v[88:89]
	v_mul_f64_e32 v[88:89], v[84:85], v[102:103]
	v_fmac_f64_e32 v[90:91], v[78:79], v[96:97]
	v_fma_f64 v[94:95], v[76:77], v[96:97], -v[98:99]
	v_fma_f64 v[84:85], v[84:85], v[100:101], -v[92:93]
	v_add_f64_e32 v[12:13], v[12:13], v[112:113]
	v_add_f64_e32 v[4:5], v[4:5], v[80:81]
	ds_load_b128 v[76:79], v2 offset:912
	ds_load_b128 v[80:83], v2 offset:928
	v_fmac_f64_e32 v[88:89], v[86:87], v[100:101]
	s_wait_loadcnt_dscnt 0x401
	v_mul_f64_e32 v[96:97], v[76:77], v[106:107]
	v_mul_f64_e32 v[98:99], v[78:79], v[106:107]
	s_wait_loadcnt_dscnt 0x300
	v_mul_f64_e32 v[92:93], v[82:83], v[110:111]
	v_add_f64_e32 v[12:13], v[12:13], v[90:91]
	v_add_f64_e32 v[4:5], v[4:5], v[94:95]
	v_mul_f64_e32 v[90:91], v[80:81], v[110:111]
	v_fmac_f64_e32 v[96:97], v[78:79], v[104:105]
	v_fma_f64 v[94:95], v[76:77], v[104:105], -v[98:99]
	v_fma_f64 v[80:81], v[80:81], v[108:109], -v[92:93]
	v_add_f64_e32 v[12:13], v[12:13], v[88:89]
	v_add_f64_e32 v[4:5], v[4:5], v[84:85]
	ds_load_b128 v[76:79], v2 offset:944
	ds_load_b128 v[84:87], v2 offset:960
	v_fmac_f64_e32 v[90:91], v[82:83], v[108:109]
	s_wait_loadcnt_dscnt 0x201
	v_mul_f64_e32 v[88:89], v[76:77], v[118:119]
	v_mul_f64_e32 v[98:99], v[78:79], v[118:119]
	s_wait_loadcnt_dscnt 0x100
	v_mul_f64_e32 v[82:83], v[84:85], v[10:11]
	v_add_f64_e32 v[12:13], v[12:13], v[96:97]
	v_add_f64_e32 v[4:5], v[4:5], v[94:95]
	v_mul_f64_e32 v[92:93], v[86:87], v[10:11]
	v_fmac_f64_e32 v[88:89], v[78:79], v[116:117]
	v_fma_f64 v[76:77], v[76:77], v[116:117], -v[98:99]
	v_fmac_f64_e32 v[82:83], v[86:87], v[8:9]
	v_add_f64_e32 v[78:79], v[12:13], v[90:91]
	v_add_f64_e32 v[4:5], v[4:5], v[80:81]
	ds_load_b128 v[10:13], v2 offset:976
	v_fma_f64 v[8:9], v[84:85], v[8:9], -v[92:93]
	s_wait_loadcnt_dscnt 0x0
	v_mul_f64_e32 v[80:81], v[10:11], v[130:131]
	v_mul_f64_e32 v[90:91], v[12:13], v[130:131]
	v_add_f64_e32 v[4:5], v[4:5], v[76:77]
	v_add_f64_e32 v[76:77], v[78:79], v[88:89]
	s_delay_alu instid0(VALU_DEP_4) | instskip(NEXT) | instid1(VALU_DEP_4)
	v_fmac_f64_e32 v[80:81], v[12:13], v[128:129]
	v_fma_f64 v[10:11], v[10:11], v[128:129], -v[90:91]
	s_delay_alu instid0(VALU_DEP_4) | instskip(NEXT) | instid1(VALU_DEP_4)
	v_add_f64_e32 v[4:5], v[4:5], v[8:9]
	v_add_f64_e32 v[8:9], v[76:77], v[82:83]
	s_delay_alu instid0(VALU_DEP_2) | instskip(NEXT) | instid1(VALU_DEP_2)
	v_add_f64_e32 v[4:5], v[4:5], v[10:11]
	v_add_f64_e32 v[10:11], v[8:9], v[80:81]
	s_delay_alu instid0(VALU_DEP_2) | instskip(NEXT) | instid1(VALU_DEP_2)
	v_add_f64_e64 v[8:9], v[120:121], -v[4:5]
	v_add_f64_e64 v[10:11], v[122:123], -v[10:11]
	scratch_store_b128 off, v[8:11], off offset:80
	s_wait_xcnt 0x0
	v_cmpx_lt_u32_e32 4, v1
	s_cbranch_execz .LBB94_191
; %bb.190:
	scratch_load_b128 v[8:11], off, s12
	v_dual_mov_b32 v3, v2 :: v_dual_mov_b32 v4, v2
	v_mov_b32_e32 v5, v2
	scratch_store_b128 off, v[2:5], off offset:64
	s_wait_loadcnt 0x0
	ds_store_b128 v6, v[8:11]
.LBB94_191:
	s_wait_xcnt 0x0
	s_or_b32 exec_lo, exec_lo, s2
	s_wait_storecnt_dscnt 0x0
	s_barrier_signal -1
	s_barrier_wait -1
	s_clause 0x9
	scratch_load_b128 v[8:11], off, off offset:80
	scratch_load_b128 v[76:79], off, off offset:96
	;; [unrolled: 1-line block ×10, first 2 shown]
	ds_load_b128 v[112:115], v2 offset:576
	ds_load_b128 v[120:123], v2 offset:592
	s_clause 0x1
	scratch_load_b128 v[116:119], off, off offset:240
	scratch_load_b128 v[124:127], off, off offset:64
	s_mov_b32 s2, exec_lo
	s_wait_loadcnt_dscnt 0xb01
	v_mul_f64_e32 v[4:5], v[114:115], v[10:11]
	v_mul_f64_e32 v[136:137], v[112:113], v[10:11]
	scratch_load_b128 v[10:13], off, off offset:256
	s_wait_loadcnt_dscnt 0xb00
	v_mul_f64_e32 v[138:139], v[120:121], v[78:79]
	v_mul_f64_e32 v[78:79], v[122:123], v[78:79]
	v_fma_f64 v[4:5], v[112:113], v[8:9], -v[4:5]
	v_fmac_f64_e32 v[136:137], v[114:115], v[8:9]
	ds_load_b128 v[112:115], v2 offset:608
	ds_load_b128 v[128:131], v2 offset:624
	scratch_load_b128 v[132:135], off, off offset:272
	v_fmac_f64_e32 v[138:139], v[122:123], v[76:77]
	v_fma_f64 v[120:121], v[120:121], v[76:77], -v[78:79]
	scratch_load_b128 v[76:79], off, off offset:288
	s_wait_loadcnt_dscnt 0xc01
	v_mul_f64_e32 v[8:9], v[112:113], v[82:83]
	v_mul_f64_e32 v[82:83], v[114:115], v[82:83]
	v_add_f64_e32 v[4:5], 0, v[4:5]
	v_add_f64_e32 v[122:123], 0, v[136:137]
	s_wait_loadcnt_dscnt 0xb00
	v_mul_f64_e32 v[136:137], v[128:129], v[86:87]
	v_mul_f64_e32 v[86:87], v[130:131], v[86:87]
	v_fmac_f64_e32 v[8:9], v[114:115], v[80:81]
	v_fma_f64 v[140:141], v[112:113], v[80:81], -v[82:83]
	ds_load_b128 v[80:83], v2 offset:640
	ds_load_b128 v[112:115], v2 offset:656
	v_add_f64_e32 v[4:5], v[4:5], v[120:121]
	v_add_f64_e32 v[138:139], v[122:123], v[138:139]
	scratch_load_b128 v[120:123], off, off offset:304
	v_fmac_f64_e32 v[136:137], v[130:131], v[84:85]
	v_fma_f64 v[128:129], v[128:129], v[84:85], -v[86:87]
	scratch_load_b128 v[84:87], off, off offset:320
	s_wait_loadcnt_dscnt 0xc01
	v_mul_f64_e32 v[142:143], v[80:81], v[90:91]
	v_mul_f64_e32 v[90:91], v[82:83], v[90:91]
	v_add_f64_e32 v[4:5], v[4:5], v[140:141]
	v_add_f64_e32 v[8:9], v[138:139], v[8:9]
	s_wait_loadcnt_dscnt 0xb00
	v_mul_f64_e32 v[138:139], v[112:113], v[94:95]
	v_mul_f64_e32 v[94:95], v[114:115], v[94:95]
	v_fmac_f64_e32 v[142:143], v[82:83], v[88:89]
	v_fma_f64 v[140:141], v[80:81], v[88:89], -v[90:91]
	ds_load_b128 v[80:83], v2 offset:672
	ds_load_b128 v[88:91], v2 offset:688
	v_add_f64_e32 v[4:5], v[4:5], v[128:129]
	v_add_f64_e32 v[8:9], v[8:9], v[136:137]
	scratch_load_b128 v[128:131], off, off offset:336
	s_wait_loadcnt_dscnt 0xb01
	v_mul_f64_e32 v[136:137], v[80:81], v[98:99]
	v_mul_f64_e32 v[98:99], v[82:83], v[98:99]
	v_fmac_f64_e32 v[138:139], v[114:115], v[92:93]
	v_fma_f64 v[112:113], v[112:113], v[92:93], -v[94:95]
	scratch_load_b128 v[92:95], off, off offset:352
	v_add_f64_e32 v[4:5], v[4:5], v[140:141]
	v_add_f64_e32 v[8:9], v[8:9], v[142:143]
	s_wait_loadcnt_dscnt 0xb00
	v_mul_f64_e32 v[140:141], v[88:89], v[102:103]
	v_mul_f64_e32 v[102:103], v[90:91], v[102:103]
	v_fmac_f64_e32 v[136:137], v[82:83], v[96:97]
	v_fma_f64 v[142:143], v[80:81], v[96:97], -v[98:99]
	ds_load_b128 v[80:83], v2 offset:704
	ds_load_b128 v[96:99], v2 offset:720
	v_add_f64_e32 v[4:5], v[4:5], v[112:113]
	v_add_f64_e32 v[8:9], v[8:9], v[138:139]
	scratch_load_b128 v[112:115], off, off offset:368
	s_wait_loadcnt_dscnt 0xb01
	v_mul_f64_e32 v[138:139], v[80:81], v[106:107]
	v_mul_f64_e32 v[106:107], v[82:83], v[106:107]
	v_fmac_f64_e32 v[140:141], v[90:91], v[100:101]
	v_fma_f64 v[100:101], v[88:89], v[100:101], -v[102:103]
	scratch_load_b128 v[88:91], off, off offset:384
	v_add_f64_e32 v[4:5], v[4:5], v[142:143]
	v_add_f64_e32 v[8:9], v[8:9], v[136:137]
	s_wait_loadcnt_dscnt 0xb00
	v_mul_f64_e32 v[136:137], v[96:97], v[110:111]
	v_mul_f64_e32 v[110:111], v[98:99], v[110:111]
	v_fmac_f64_e32 v[138:139], v[82:83], v[104:105]
	v_fma_f64 v[142:143], v[80:81], v[104:105], -v[106:107]
	v_add_f64_e32 v[4:5], v[4:5], v[100:101]
	v_add_f64_e32 v[8:9], v[8:9], v[140:141]
	ds_load_b128 v[80:83], v2 offset:736
	ds_load_b128 v[100:103], v2 offset:752
	scratch_load_b128 v[104:107], off, off offset:400
	v_fmac_f64_e32 v[136:137], v[98:99], v[108:109]
	v_fma_f64 v[108:109], v[96:97], v[108:109], -v[110:111]
	scratch_load_b128 v[96:99], off, off offset:416
	s_wait_loadcnt_dscnt 0xc01
	v_mul_f64_e32 v[140:141], v[80:81], v[118:119]
	v_mul_f64_e32 v[118:119], v[82:83], v[118:119]
	v_add_f64_e32 v[4:5], v[4:5], v[142:143]
	v_add_f64_e32 v[8:9], v[8:9], v[138:139]
	s_wait_loadcnt_dscnt 0xa00
	v_mul_f64_e32 v[138:139], v[100:101], v[12:13]
	v_mul_f64_e32 v[12:13], v[102:103], v[12:13]
	v_fmac_f64_e32 v[140:141], v[82:83], v[116:117]
	v_fma_f64 v[142:143], v[80:81], v[116:117], -v[118:119]
	v_add_f64_e32 v[4:5], v[4:5], v[108:109]
	v_add_f64_e32 v[8:9], v[8:9], v[136:137]
	ds_load_b128 v[80:83], v2 offset:768
	ds_load_b128 v[108:111], v2 offset:784
	scratch_load_b128 v[116:119], off, off offset:432
	v_fmac_f64_e32 v[138:139], v[102:103], v[10:11]
	v_fma_f64 v[12:13], v[100:101], v[10:11], -v[12:13]
	s_wait_loadcnt_dscnt 0xa01
	v_mul_f64_e32 v[136:137], v[80:81], v[134:135]
	v_mul_f64_e32 v[134:135], v[82:83], v[134:135]
	v_add_f64_e32 v[4:5], v[4:5], v[142:143]
	v_add_f64_e32 v[100:101], v[8:9], v[140:141]
	scratch_load_b128 v[8:11], off, off offset:448
	s_wait_loadcnt_dscnt 0xa00
	v_mul_f64_e32 v[140:141], v[108:109], v[78:79]
	v_mul_f64_e32 v[142:143], v[110:111], v[78:79]
	v_fmac_f64_e32 v[136:137], v[82:83], v[132:133]
	v_fma_f64 v[82:83], v[80:81], v[132:133], -v[134:135]
	v_add_f64_e32 v[4:5], v[4:5], v[12:13]
	v_add_f64_e32 v[12:13], v[100:101], v[138:139]
	ds_load_b128 v[78:81], v2 offset:800
	ds_load_b128 v[100:103], v2 offset:816
	scratch_load_b128 v[132:135], off, off offset:464
	v_fmac_f64_e32 v[140:141], v[110:111], v[76:77]
	v_fma_f64 v[76:77], v[108:109], v[76:77], -v[142:143]
	scratch_load_b128 v[108:111], off, off offset:480
	s_wait_loadcnt_dscnt 0xb01
	v_mul_f64_e32 v[138:139], v[78:79], v[122:123]
	v_mul_f64_e32 v[122:123], v[80:81], v[122:123]
	v_add_f64_e32 v[4:5], v[4:5], v[82:83]
	v_add_f64_e32 v[12:13], v[12:13], v[136:137]
	s_wait_loadcnt_dscnt 0xa00
	v_mul_f64_e32 v[136:137], v[100:101], v[86:87]
	v_mul_f64_e32 v[86:87], v[102:103], v[86:87]
	v_fmac_f64_e32 v[138:139], v[80:81], v[120:121]
	v_fma_f64 v[120:121], v[78:79], v[120:121], -v[122:123]
	v_add_f64_e32 v[4:5], v[4:5], v[76:77]
	v_add_f64_e32 v[12:13], v[12:13], v[140:141]
	ds_load_b128 v[76:79], v2 offset:832
	ds_load_b128 v[80:83], v2 offset:848
	v_fmac_f64_e32 v[136:137], v[102:103], v[84:85]
	v_fma_f64 v[84:85], v[100:101], v[84:85], -v[86:87]
	s_wait_loadcnt_dscnt 0x901
	v_mul_f64_e32 v[122:123], v[76:77], v[130:131]
	v_mul_f64_e32 v[130:131], v[78:79], v[130:131]
	s_wait_loadcnt_dscnt 0x800
	v_mul_f64_e32 v[100:101], v[80:81], v[94:95]
	v_mul_f64_e32 v[94:95], v[82:83], v[94:95]
	v_add_f64_e32 v[4:5], v[4:5], v[120:121]
	v_add_f64_e32 v[12:13], v[12:13], v[138:139]
	v_fmac_f64_e32 v[122:123], v[78:79], v[128:129]
	v_fma_f64 v[102:103], v[76:77], v[128:129], -v[130:131]
	v_fmac_f64_e32 v[100:101], v[82:83], v[92:93]
	v_fma_f64 v[80:81], v[80:81], v[92:93], -v[94:95]
	v_add_f64_e32 v[4:5], v[4:5], v[84:85]
	v_add_f64_e32 v[12:13], v[12:13], v[136:137]
	ds_load_b128 v[76:79], v2 offset:864
	ds_load_b128 v[84:87], v2 offset:880
	s_wait_loadcnt_dscnt 0x701
	v_mul_f64_e32 v[120:121], v[76:77], v[114:115]
	v_mul_f64_e32 v[114:115], v[78:79], v[114:115]
	s_wait_loadcnt_dscnt 0x600
	v_mul_f64_e32 v[92:93], v[84:85], v[90:91]
	v_mul_f64_e32 v[90:91], v[86:87], v[90:91]
	v_add_f64_e32 v[4:5], v[4:5], v[102:103]
	v_add_f64_e32 v[12:13], v[12:13], v[122:123]
	v_fmac_f64_e32 v[120:121], v[78:79], v[112:113]
	v_fma_f64 v[94:95], v[76:77], v[112:113], -v[114:115]
	v_fmac_f64_e32 v[92:93], v[86:87], v[88:89]
	v_fma_f64 v[84:85], v[84:85], v[88:89], -v[90:91]
	v_add_f64_e32 v[4:5], v[4:5], v[80:81]
	v_add_f64_e32 v[12:13], v[12:13], v[100:101]
	ds_load_b128 v[76:79], v2 offset:896
	ds_load_b128 v[80:83], v2 offset:912
	;; [unrolled: 16-line block ×3, first 2 shown]
	s_wait_loadcnt_dscnt 0x301
	v_mul_f64_e32 v[92:93], v[76:77], v[118:119]
	v_mul_f64_e32 v[98:99], v[78:79], v[118:119]
	v_add_f64_e32 v[4:5], v[4:5], v[94:95]
	v_add_f64_e32 v[12:13], v[12:13], v[100:101]
	s_wait_loadcnt_dscnt 0x200
	v_mul_f64_e32 v[82:83], v[84:85], v[10:11]
	v_mul_f64_e32 v[90:91], v[86:87], v[10:11]
	v_fmac_f64_e32 v[92:93], v[78:79], v[116:117]
	v_fma_f64 v[76:77], v[76:77], v[116:117], -v[98:99]
	v_add_f64_e32 v[78:79], v[4:5], v[80:81]
	v_add_f64_e32 v[80:81], v[12:13], v[88:89]
	ds_load_b128 v[10:13], v2 offset:960
	ds_load_b128 v[2:5], v2 offset:976
	v_fmac_f64_e32 v[82:83], v[86:87], v[8:9]
	v_fma_f64 v[8:9], v[84:85], v[8:9], -v[90:91]
	s_wait_loadcnt_dscnt 0x101
	v_mul_f64_e32 v[88:89], v[10:11], v[134:135]
	v_mul_f64_e32 v[94:95], v[12:13], v[134:135]
	s_wait_loadcnt_dscnt 0x0
	v_mul_f64_e32 v[84:85], v[4:5], v[110:111]
	v_add_f64_e32 v[76:77], v[78:79], v[76:77]
	v_add_f64_e32 v[78:79], v[80:81], v[92:93]
	v_mul_f64_e32 v[80:81], v[2:3], v[110:111]
	v_fmac_f64_e32 v[88:89], v[12:13], v[132:133]
	v_fma_f64 v[10:11], v[10:11], v[132:133], -v[94:95]
	v_fma_f64 v[2:3], v[2:3], v[108:109], -v[84:85]
	v_add_f64_e32 v[8:9], v[76:77], v[8:9]
	v_add_f64_e32 v[12:13], v[78:79], v[82:83]
	v_fmac_f64_e32 v[80:81], v[4:5], v[108:109]
	s_delay_alu instid0(VALU_DEP_3) | instskip(NEXT) | instid1(VALU_DEP_3)
	v_add_f64_e32 v[4:5], v[8:9], v[10:11]
	v_add_f64_e32 v[8:9], v[12:13], v[88:89]
	s_delay_alu instid0(VALU_DEP_2) | instskip(NEXT) | instid1(VALU_DEP_2)
	v_add_f64_e32 v[2:3], v[4:5], v[2:3]
	v_add_f64_e32 v[4:5], v[8:9], v[80:81]
	s_delay_alu instid0(VALU_DEP_2) | instskip(NEXT) | instid1(VALU_DEP_2)
	v_add_f64_e64 v[2:3], v[124:125], -v[2:3]
	v_add_f64_e64 v[4:5], v[126:127], -v[4:5]
	scratch_store_b128 off, v[2:5], off offset:64
	s_wait_xcnt 0x0
	v_cmpx_lt_u32_e32 3, v1
	s_cbranch_execz .LBB94_193
; %bb.192:
	scratch_load_b128 v[2:5], off, s14
	v_mov_b32_e32 v8, 0
	s_delay_alu instid0(VALU_DEP_1)
	v_dual_mov_b32 v9, v8 :: v_dual_mov_b32 v10, v8
	v_mov_b32_e32 v11, v8
	scratch_store_b128 off, v[8:11], off offset:48
	s_wait_loadcnt 0x0
	ds_store_b128 v6, v[2:5]
.LBB94_193:
	s_wait_xcnt 0x0
	s_or_b32 exec_lo, exec_lo, s2
	s_wait_storecnt_dscnt 0x0
	s_barrier_signal -1
	s_barrier_wait -1
	s_clause 0x9
	scratch_load_b128 v[8:11], off, off offset:64
	scratch_load_b128 v[76:79], off, off offset:80
	;; [unrolled: 1-line block ×10, first 2 shown]
	v_mov_b32_e32 v2, 0
	s_mov_b32 s2, exec_lo
	ds_load_b128 v[112:115], v2 offset:560
	s_clause 0x2
	scratch_load_b128 v[116:119], off, off offset:224
	scratch_load_b128 v[120:123], off, off offset:48
	;; [unrolled: 1-line block ×3, first 2 shown]
	s_wait_loadcnt_dscnt 0xc00
	v_mul_f64_e32 v[4:5], v[114:115], v[10:11]
	v_mul_f64_e32 v[136:137], v[112:113], v[10:11]
	ds_load_b128 v[124:127], v2 offset:576
	scratch_load_b128 v[10:13], off, off offset:240
	ds_load_b128 v[132:135], v2 offset:608
	v_fma_f64 v[4:5], v[112:113], v[8:9], -v[4:5]
	v_fmac_f64_e32 v[136:137], v[114:115], v[8:9]
	ds_load_b128 v[112:115], v2 offset:592
	s_wait_loadcnt_dscnt 0xc02
	v_mul_f64_e32 v[138:139], v[124:125], v[78:79]
	v_mul_f64_e32 v[78:79], v[126:127], v[78:79]
	s_wait_loadcnt_dscnt 0xb00
	v_mul_f64_e32 v[8:9], v[112:113], v[82:83]
	v_mul_f64_e32 v[82:83], v[114:115], v[82:83]
	v_add_f64_e32 v[4:5], 0, v[4:5]
	v_fmac_f64_e32 v[138:139], v[126:127], v[76:77]
	v_fma_f64 v[124:125], v[124:125], v[76:77], -v[78:79]
	v_add_f64_e32 v[126:127], 0, v[136:137]
	scratch_load_b128 v[76:79], off, off offset:272
	v_fmac_f64_e32 v[8:9], v[114:115], v[80:81]
	v_fma_f64 v[140:141], v[112:113], v[80:81], -v[82:83]
	ds_load_b128 v[80:83], v2 offset:624
	s_wait_loadcnt 0xb
	v_mul_f64_e32 v[136:137], v[132:133], v[86:87]
	v_mul_f64_e32 v[86:87], v[134:135], v[86:87]
	scratch_load_b128 v[112:115], off, off offset:288
	v_add_f64_e32 v[4:5], v[4:5], v[124:125]
	v_add_f64_e32 v[138:139], v[126:127], v[138:139]
	ds_load_b128 v[124:127], v2 offset:640
	s_wait_loadcnt_dscnt 0xb01
	v_mul_f64_e32 v[142:143], v[80:81], v[90:91]
	v_mul_f64_e32 v[90:91], v[82:83], v[90:91]
	v_fmac_f64_e32 v[136:137], v[134:135], v[84:85]
	v_fma_f64 v[132:133], v[132:133], v[84:85], -v[86:87]
	scratch_load_b128 v[84:87], off, off offset:304
	v_add_f64_e32 v[4:5], v[4:5], v[140:141]
	v_add_f64_e32 v[8:9], v[138:139], v[8:9]
	v_fmac_f64_e32 v[142:143], v[82:83], v[88:89]
	v_fma_f64 v[140:141], v[80:81], v[88:89], -v[90:91]
	ds_load_b128 v[80:83], v2 offset:656
	s_wait_loadcnt_dscnt 0xb01
	v_mul_f64_e32 v[138:139], v[124:125], v[94:95]
	v_mul_f64_e32 v[94:95], v[126:127], v[94:95]
	scratch_load_b128 v[88:91], off, off offset:320
	v_add_f64_e32 v[4:5], v[4:5], v[132:133]
	v_add_f64_e32 v[8:9], v[8:9], v[136:137]
	s_wait_loadcnt_dscnt 0xb00
	v_mul_f64_e32 v[136:137], v[80:81], v[98:99]
	v_mul_f64_e32 v[98:99], v[82:83], v[98:99]
	ds_load_b128 v[132:135], v2 offset:672
	v_fmac_f64_e32 v[138:139], v[126:127], v[92:93]
	v_fma_f64 v[124:125], v[124:125], v[92:93], -v[94:95]
	scratch_load_b128 v[92:95], off, off offset:336
	v_add_f64_e32 v[4:5], v[4:5], v[140:141]
	v_add_f64_e32 v[8:9], v[8:9], v[142:143]
	v_fmac_f64_e32 v[136:137], v[82:83], v[96:97]
	v_fma_f64 v[142:143], v[80:81], v[96:97], -v[98:99]
	ds_load_b128 v[80:83], v2 offset:688
	s_wait_loadcnt_dscnt 0xb01
	v_mul_f64_e32 v[140:141], v[132:133], v[102:103]
	v_mul_f64_e32 v[102:103], v[134:135], v[102:103]
	scratch_load_b128 v[96:99], off, off offset:352
	v_add_f64_e32 v[4:5], v[4:5], v[124:125]
	v_add_f64_e32 v[8:9], v[8:9], v[138:139]
	s_wait_loadcnt_dscnt 0xb00
	v_mul_f64_e32 v[138:139], v[80:81], v[106:107]
	v_mul_f64_e32 v[106:107], v[82:83], v[106:107]
	ds_load_b128 v[124:127], v2 offset:704
	v_fmac_f64_e32 v[140:141], v[134:135], v[100:101]
	v_fma_f64 v[132:133], v[132:133], v[100:101], -v[102:103]
	scratch_load_b128 v[100:103], off, off offset:368
	v_add_f64_e32 v[4:5], v[4:5], v[142:143]
	v_add_f64_e32 v[8:9], v[8:9], v[136:137]
	v_fmac_f64_e32 v[138:139], v[82:83], v[104:105]
	v_fma_f64 v[142:143], v[80:81], v[104:105], -v[106:107]
	ds_load_b128 v[80:83], v2 offset:720
	s_wait_loadcnt_dscnt 0xb01
	v_mul_f64_e32 v[136:137], v[124:125], v[110:111]
	v_mul_f64_e32 v[110:111], v[126:127], v[110:111]
	scratch_load_b128 v[104:107], off, off offset:384
	v_add_f64_e32 v[4:5], v[4:5], v[132:133]
	v_add_f64_e32 v[8:9], v[8:9], v[140:141]
	s_wait_loadcnt_dscnt 0xb00
	v_mul_f64_e32 v[140:141], v[80:81], v[118:119]
	v_mul_f64_e32 v[118:119], v[82:83], v[118:119]
	ds_load_b128 v[132:135], v2 offset:736
	v_fmac_f64_e32 v[136:137], v[126:127], v[108:109]
	v_fma_f64 v[124:125], v[124:125], v[108:109], -v[110:111]
	scratch_load_b128 v[108:111], off, off offset:400
	v_add_f64_e32 v[4:5], v[4:5], v[142:143]
	v_add_f64_e32 v[8:9], v[8:9], v[138:139]
	v_fmac_f64_e32 v[140:141], v[82:83], v[116:117]
	v_fma_f64 v[142:143], v[80:81], v[116:117], -v[118:119]
	ds_load_b128 v[80:83], v2 offset:752
	s_wait_loadcnt_dscnt 0x901
	v_mul_f64_e32 v[138:139], v[132:133], v[12:13]
	v_mul_f64_e32 v[12:13], v[134:135], v[12:13]
	scratch_load_b128 v[116:119], off, off offset:416
	v_add_f64_e32 v[4:5], v[4:5], v[124:125]
	v_add_f64_e32 v[8:9], v[8:9], v[136:137]
	s_wait_dscnt 0x0
	v_mul_f64_e32 v[136:137], v[80:81], v[130:131]
	v_mul_f64_e32 v[130:131], v[82:83], v[130:131]
	ds_load_b128 v[124:127], v2 offset:768
	v_fmac_f64_e32 v[138:139], v[134:135], v[10:11]
	v_fma_f64 v[12:13], v[132:133], v[10:11], -v[12:13]
	v_add_f64_e32 v[4:5], v[4:5], v[142:143]
	v_add_f64_e32 v[132:133], v[8:9], v[140:141]
	scratch_load_b128 v[8:11], off, off offset:432
	v_fmac_f64_e32 v[136:137], v[82:83], v[128:129]
	v_fma_f64 v[82:83], v[80:81], v[128:129], -v[130:131]
	scratch_load_b128 v[128:131], off, off offset:448
	v_add_f64_e32 v[4:5], v[4:5], v[12:13]
	v_add_f64_e32 v[12:13], v[132:133], v[138:139]
	ds_load_b128 v[132:135], v2 offset:800
	s_wait_loadcnt_dscnt 0xb01
	v_mul_f64_e32 v[140:141], v[124:125], v[78:79]
	v_mul_f64_e32 v[142:143], v[126:127], v[78:79]
	ds_load_b128 v[78:81], v2 offset:784
	s_wait_loadcnt_dscnt 0xa00
	v_mul_f64_e32 v[138:139], v[78:79], v[114:115]
	v_mul_f64_e32 v[114:115], v[80:81], v[114:115]
	v_add_f64_e32 v[4:5], v[4:5], v[82:83]
	v_add_f64_e32 v[12:13], v[12:13], v[136:137]
	s_wait_loadcnt 0x9
	v_mul_f64_e32 v[136:137], v[132:133], v[86:87]
	v_fmac_f64_e32 v[140:141], v[126:127], v[76:77]
	v_fma_f64 v[76:77], v[124:125], v[76:77], -v[142:143]
	scratch_load_b128 v[124:127], off, off offset:464
	v_mul_f64_e32 v[86:87], v[134:135], v[86:87]
	v_fmac_f64_e32 v[138:139], v[80:81], v[112:113]
	v_fma_f64 v[142:143], v[78:79], v[112:113], -v[114:115]
	scratch_load_b128 v[80:83], off, off offset:480
	ds_load_b128 v[112:115], v2 offset:832
	v_fmac_f64_e32 v[136:137], v[134:135], v[84:85]
	v_add_f64_e32 v[12:13], v[12:13], v[140:141]
	v_add_f64_e32 v[4:5], v[4:5], v[76:77]
	ds_load_b128 v[76:79], v2 offset:816
	v_fma_f64 v[84:85], v[132:133], v[84:85], -v[86:87]
	s_wait_loadcnt_dscnt 0x901
	v_mul_f64_e32 v[132:133], v[112:113], v[94:95]
	v_mul_f64_e32 v[94:95], v[114:115], v[94:95]
	s_wait_dscnt 0x0
	v_mul_f64_e32 v[140:141], v[76:77], v[90:91]
	v_mul_f64_e32 v[90:91], v[78:79], v[90:91]
	v_add_f64_e32 v[12:13], v[12:13], v[138:139]
	v_add_f64_e32 v[4:5], v[4:5], v[142:143]
	v_fmac_f64_e32 v[132:133], v[114:115], v[92:93]
	v_fma_f64 v[92:93], v[112:113], v[92:93], -v[94:95]
	v_fmac_f64_e32 v[140:141], v[78:79], v[88:89]
	v_fma_f64 v[88:89], v[76:77], v[88:89], -v[90:91]
	v_add_f64_e32 v[12:13], v[12:13], v[136:137]
	v_add_f64_e32 v[4:5], v[4:5], v[84:85]
	ds_load_b128 v[76:79], v2 offset:848
	ds_load_b128 v[84:87], v2 offset:864
	s_wait_loadcnt_dscnt 0x801
	v_mul_f64_e32 v[134:135], v[76:77], v[98:99]
	v_mul_f64_e32 v[90:91], v[78:79], v[98:99]
	s_wait_loadcnt_dscnt 0x700
	v_mul_f64_e32 v[94:95], v[84:85], v[102:103]
	v_mul_f64_e32 v[98:99], v[86:87], v[102:103]
	v_add_f64_e32 v[12:13], v[12:13], v[140:141]
	v_add_f64_e32 v[4:5], v[4:5], v[88:89]
	v_fmac_f64_e32 v[134:135], v[78:79], v[96:97]
	v_fma_f64 v[96:97], v[76:77], v[96:97], -v[90:91]
	ds_load_b128 v[76:79], v2 offset:880
	ds_load_b128 v[88:91], v2 offset:896
	v_fmac_f64_e32 v[94:95], v[86:87], v[100:101]
	v_fma_f64 v[84:85], v[84:85], v[100:101], -v[98:99]
	v_add_f64_e32 v[12:13], v[12:13], v[132:133]
	v_add_f64_e32 v[4:5], v[4:5], v[92:93]
	s_wait_loadcnt_dscnt 0x601
	v_mul_f64_e32 v[92:93], v[76:77], v[106:107]
	v_mul_f64_e32 v[102:103], v[78:79], v[106:107]
	s_wait_loadcnt_dscnt 0x500
	v_mul_f64_e32 v[98:99], v[90:91], v[110:111]
	v_add_f64_e32 v[12:13], v[12:13], v[134:135]
	v_add_f64_e32 v[4:5], v[4:5], v[96:97]
	v_mul_f64_e32 v[96:97], v[88:89], v[110:111]
	v_fmac_f64_e32 v[92:93], v[78:79], v[104:105]
	v_fma_f64 v[100:101], v[76:77], v[104:105], -v[102:103]
	v_fma_f64 v[88:89], v[88:89], v[108:109], -v[98:99]
	v_add_f64_e32 v[12:13], v[12:13], v[94:95]
	v_add_f64_e32 v[4:5], v[4:5], v[84:85]
	ds_load_b128 v[76:79], v2 offset:912
	ds_load_b128 v[84:87], v2 offset:928
	v_fmac_f64_e32 v[96:97], v[90:91], v[108:109]
	s_wait_loadcnt_dscnt 0x401
	v_mul_f64_e32 v[94:95], v[76:77], v[118:119]
	v_mul_f64_e32 v[102:103], v[78:79], v[118:119]
	s_wait_loadcnt_dscnt 0x300
	v_mul_f64_e32 v[90:91], v[84:85], v[10:11]
	v_add_f64_e32 v[12:13], v[12:13], v[92:93]
	v_add_f64_e32 v[4:5], v[4:5], v[100:101]
	v_mul_f64_e32 v[92:93], v[86:87], v[10:11]
	v_fmac_f64_e32 v[94:95], v[78:79], v[116:117]
	v_fma_f64 v[98:99], v[76:77], v[116:117], -v[102:103]
	v_fmac_f64_e32 v[90:91], v[86:87], v[8:9]
	v_add_f64_e32 v[4:5], v[4:5], v[88:89]
	v_add_f64_e32 v[88:89], v[12:13], v[96:97]
	ds_load_b128 v[10:13], v2 offset:944
	ds_load_b128 v[76:79], v2 offset:960
	v_fma_f64 v[8:9], v[84:85], v[8:9], -v[92:93]
	s_wait_loadcnt_dscnt 0x201
	v_mul_f64_e32 v[96:97], v[10:11], v[130:131]
	v_mul_f64_e32 v[100:101], v[12:13], v[130:131]
	v_add_f64_e32 v[4:5], v[4:5], v[98:99]
	v_add_f64_e32 v[84:85], v[88:89], v[94:95]
	s_wait_loadcnt_dscnt 0x100
	v_mul_f64_e32 v[86:87], v[76:77], v[126:127]
	v_mul_f64_e32 v[88:89], v[78:79], v[126:127]
	v_fmac_f64_e32 v[96:97], v[12:13], v[128:129]
	v_fma_f64 v[12:13], v[10:11], v[128:129], -v[100:101]
	v_add_f64_e32 v[4:5], v[4:5], v[8:9]
	v_add_f64_e32 v[84:85], v[84:85], v[90:91]
	ds_load_b128 v[8:11], v2 offset:976
	v_fmac_f64_e32 v[86:87], v[78:79], v[124:125]
	v_fma_f64 v[76:77], v[76:77], v[124:125], -v[88:89]
	s_wait_loadcnt_dscnt 0x0
	v_mul_f64_e32 v[90:91], v[8:9], v[82:83]
	v_mul_f64_e32 v[82:83], v[10:11], v[82:83]
	v_add_f64_e32 v[4:5], v[4:5], v[12:13]
	v_add_f64_e32 v[12:13], v[84:85], v[96:97]
	s_delay_alu instid0(VALU_DEP_4) | instskip(NEXT) | instid1(VALU_DEP_4)
	v_fmac_f64_e32 v[90:91], v[10:11], v[80:81]
	v_fma_f64 v[8:9], v[8:9], v[80:81], -v[82:83]
	s_delay_alu instid0(VALU_DEP_4) | instskip(NEXT) | instid1(VALU_DEP_4)
	v_add_f64_e32 v[4:5], v[4:5], v[76:77]
	v_add_f64_e32 v[10:11], v[12:13], v[86:87]
	s_delay_alu instid0(VALU_DEP_2) | instskip(NEXT) | instid1(VALU_DEP_2)
	v_add_f64_e32 v[4:5], v[4:5], v[8:9]
	v_add_f64_e32 v[10:11], v[10:11], v[90:91]
	s_delay_alu instid0(VALU_DEP_2) | instskip(NEXT) | instid1(VALU_DEP_2)
	v_add_f64_e64 v[8:9], v[120:121], -v[4:5]
	v_add_f64_e64 v[10:11], v[122:123], -v[10:11]
	scratch_store_b128 off, v[8:11], off offset:48
	s_wait_xcnt 0x0
	v_cmpx_lt_u32_e32 2, v1
	s_cbranch_execz .LBB94_195
; %bb.194:
	scratch_load_b128 v[8:11], off, s16
	v_dual_mov_b32 v3, v2 :: v_dual_mov_b32 v4, v2
	v_mov_b32_e32 v5, v2
	scratch_store_b128 off, v[2:5], off offset:32
	s_wait_loadcnt 0x0
	ds_store_b128 v6, v[8:11]
.LBB94_195:
	s_wait_xcnt 0x0
	s_or_b32 exec_lo, exec_lo, s2
	s_wait_storecnt_dscnt 0x0
	s_barrier_signal -1
	s_barrier_wait -1
	s_clause 0x9
	scratch_load_b128 v[8:11], off, off offset:48
	scratch_load_b128 v[76:79], off, off offset:64
	;; [unrolled: 1-line block ×10, first 2 shown]
	ds_load_b128 v[112:115], v2 offset:544
	ds_load_b128 v[116:119], v2 offset:560
	s_clause 0x1
	scratch_load_b128 v[120:123], off, off offset:208
	scratch_load_b128 v[124:127], off, off offset:32
	s_mov_b32 s2, exec_lo
	v_ashrrev_i32_e32 v21, 31, v20
	v_ashrrev_i32_e32 v25, 31, v24
	;; [unrolled: 1-line block ×3, first 2 shown]
	v_dual_ashrrev_i32 v33, 31, v32 :: v_dual_ashrrev_i32 v19, 31, v18
	v_dual_ashrrev_i32 v23, 31, v22 :: v_dual_ashrrev_i32 v37, 31, v36
	;; [unrolled: 1-line block ×10, first 2 shown]
	v_ashrrev_i32_e32 v59, 31, v58
	v_ashrrev_i32_e32 v63, 31, v62
	v_dual_ashrrev_i32 v67, 31, v66 :: v_dual_ashrrev_i32 v73, 31, v72
	v_ashrrev_i32_e32 v71, 31, v70
	v_ashrrev_i32_e32 v75, 31, v74
	s_wait_loadcnt_dscnt 0xb01
	v_mul_f64_e32 v[4:5], v[114:115], v[10:11]
	v_mul_f64_e32 v[136:137], v[112:113], v[10:11]
	scratch_load_b128 v[10:13], off, off offset:224
	s_wait_loadcnt_dscnt 0xb00
	v_mul_f64_e32 v[138:139], v[116:117], v[78:79]
	v_mul_f64_e32 v[78:79], v[118:119], v[78:79]
	v_fma_f64 v[4:5], v[112:113], v[8:9], -v[4:5]
	v_fmac_f64_e32 v[136:137], v[114:115], v[8:9]
	ds_load_b128 v[112:115], v2 offset:576
	ds_load_b128 v[128:131], v2 offset:592
	scratch_load_b128 v[132:135], off, off offset:240
	v_fmac_f64_e32 v[138:139], v[118:119], v[76:77]
	v_fma_f64 v[116:117], v[116:117], v[76:77], -v[78:79]
	scratch_load_b128 v[76:79], off, off offset:256
	s_wait_loadcnt_dscnt 0xc01
	v_mul_f64_e32 v[8:9], v[112:113], v[82:83]
	v_mul_f64_e32 v[82:83], v[114:115], v[82:83]
	v_add_f64_e32 v[4:5], 0, v[4:5]
	v_add_f64_e32 v[118:119], 0, v[136:137]
	s_wait_loadcnt_dscnt 0xb00
	v_mul_f64_e32 v[136:137], v[128:129], v[86:87]
	v_mul_f64_e32 v[86:87], v[130:131], v[86:87]
	v_fmac_f64_e32 v[8:9], v[114:115], v[80:81]
	v_fma_f64 v[140:141], v[112:113], v[80:81], -v[82:83]
	ds_load_b128 v[80:83], v2 offset:608
	ds_load_b128 v[112:115], v2 offset:624
	v_add_f64_e32 v[4:5], v[4:5], v[116:117]
	v_add_f64_e32 v[138:139], v[118:119], v[138:139]
	scratch_load_b128 v[116:119], off, off offset:272
	v_fmac_f64_e32 v[136:137], v[130:131], v[84:85]
	v_fma_f64 v[128:129], v[128:129], v[84:85], -v[86:87]
	scratch_load_b128 v[84:87], off, off offset:288
	s_wait_loadcnt_dscnt 0xc01
	v_mul_f64_e32 v[142:143], v[80:81], v[90:91]
	v_mul_f64_e32 v[90:91], v[82:83], v[90:91]
	v_add_f64_e32 v[4:5], v[4:5], v[140:141]
	v_add_f64_e32 v[8:9], v[138:139], v[8:9]
	s_wait_loadcnt_dscnt 0xb00
	v_mul_f64_e32 v[138:139], v[112:113], v[94:95]
	v_mul_f64_e32 v[94:95], v[114:115], v[94:95]
	v_fmac_f64_e32 v[142:143], v[82:83], v[88:89]
	v_fma_f64 v[140:141], v[80:81], v[88:89], -v[90:91]
	ds_load_b128 v[80:83], v2 offset:640
	ds_load_b128 v[88:91], v2 offset:656
	v_add_f64_e32 v[4:5], v[4:5], v[128:129]
	v_add_f64_e32 v[8:9], v[8:9], v[136:137]
	scratch_load_b128 v[128:131], off, off offset:304
	v_fmac_f64_e32 v[138:139], v[114:115], v[92:93]
	v_fma_f64 v[112:113], v[112:113], v[92:93], -v[94:95]
	s_wait_loadcnt_dscnt 0xb01
	v_mul_f64_e32 v[136:137], v[80:81], v[98:99]
	v_mul_f64_e32 v[98:99], v[82:83], v[98:99]
	scratch_load_b128 v[92:95], off, off offset:320
	v_add_f64_e32 v[4:5], v[4:5], v[140:141]
	v_add_f64_e32 v[8:9], v[8:9], v[142:143]
	s_wait_loadcnt_dscnt 0xb00
	v_mul_f64_e32 v[140:141], v[88:89], v[102:103]
	v_mul_f64_e32 v[102:103], v[90:91], v[102:103]
	v_fmac_f64_e32 v[136:137], v[82:83], v[96:97]
	v_fma_f64 v[142:143], v[80:81], v[96:97], -v[98:99]
	ds_load_b128 v[80:83], v2 offset:672
	ds_load_b128 v[96:99], v2 offset:688
	v_add_f64_e32 v[4:5], v[4:5], v[112:113]
	v_add_f64_e32 v[8:9], v[8:9], v[138:139]
	scratch_load_b128 v[112:115], off, off offset:336
	v_fmac_f64_e32 v[140:141], v[90:91], v[100:101]
	v_fma_f64 v[100:101], v[88:89], v[100:101], -v[102:103]
	s_wait_loadcnt_dscnt 0xb01
	v_mul_f64_e32 v[138:139], v[80:81], v[106:107]
	v_mul_f64_e32 v[102:103], v[82:83], v[106:107]
	scratch_load_b128 v[88:91], off, off offset:352
	v_add_f64_e32 v[4:5], v[4:5], v[142:143]
	v_add_f64_e32 v[8:9], v[8:9], v[136:137]
	s_wait_loadcnt_dscnt 0xb00
	v_mul_f64_e32 v[136:137], v[96:97], v[110:111]
	v_mul_f64_e32 v[110:111], v[98:99], v[110:111]
	v_fmac_f64_e32 v[138:139], v[82:83], v[104:105]
	v_fma_f64 v[142:143], v[80:81], v[104:105], -v[102:103]
	v_add_f64_e32 v[4:5], v[4:5], v[100:101]
	v_add_f64_e32 v[8:9], v[8:9], v[140:141]
	ds_load_b128 v[80:83], v2 offset:704
	ds_load_b128 v[100:103], v2 offset:720
	scratch_load_b128 v[104:107], off, off offset:368
	v_fmac_f64_e32 v[136:137], v[98:99], v[108:109]
	v_fma_f64 v[108:109], v[96:97], v[108:109], -v[110:111]
	scratch_load_b128 v[96:99], off, off offset:384
	s_wait_loadcnt_dscnt 0xc01
	v_mul_f64_e32 v[140:141], v[80:81], v[122:123]
	v_mul_f64_e32 v[110:111], v[82:83], v[122:123]
	v_add_f64_e32 v[4:5], v[4:5], v[142:143]
	v_add_f64_e32 v[8:9], v[8:9], v[138:139]
	s_wait_loadcnt_dscnt 0xa00
	v_mul_f64_e32 v[138:139], v[100:101], v[12:13]
	v_mul_f64_e32 v[12:13], v[102:103], v[12:13]
	v_fmac_f64_e32 v[140:141], v[82:83], v[120:121]
	v_fma_f64 v[142:143], v[80:81], v[120:121], -v[110:111]
	v_add_f64_e32 v[4:5], v[4:5], v[108:109]
	v_add_f64_e32 v[8:9], v[8:9], v[136:137]
	ds_load_b128 v[80:83], v2 offset:736
	ds_load_b128 v[108:111], v2 offset:752
	scratch_load_b128 v[120:123], off, off offset:400
	v_fmac_f64_e32 v[138:139], v[102:103], v[10:11]
	v_fma_f64 v[12:13], v[100:101], v[10:11], -v[12:13]
	s_wait_loadcnt_dscnt 0xa01
	v_mul_f64_e32 v[136:137], v[80:81], v[134:135]
	v_mul_f64_e32 v[100:101], v[82:83], v[134:135]
	v_add_f64_e32 v[4:5], v[4:5], v[142:143]
	v_add_f64_e32 v[102:103], v[8:9], v[140:141]
	scratch_load_b128 v[8:11], off, off offset:416
	s_wait_loadcnt_dscnt 0xa00
	v_mul_f64_e32 v[140:141], v[108:109], v[78:79]
	v_mul_f64_e32 v[142:143], v[110:111], v[78:79]
	v_fmac_f64_e32 v[136:137], v[82:83], v[132:133]
	v_fma_f64 v[82:83], v[80:81], v[132:133], -v[100:101]
	v_add_f64_e32 v[4:5], v[4:5], v[12:13]
	v_add_f64_e32 v[12:13], v[102:103], v[138:139]
	ds_load_b128 v[78:81], v2 offset:768
	ds_load_b128 v[100:103], v2 offset:784
	scratch_load_b128 v[132:135], off, off offset:432
	v_fmac_f64_e32 v[140:141], v[110:111], v[76:77]
	v_fma_f64 v[76:77], v[108:109], v[76:77], -v[142:143]
	scratch_load_b128 v[108:111], off, off offset:448
	s_wait_loadcnt_dscnt 0xb01
	v_mul_f64_e32 v[138:139], v[78:79], v[118:119]
	v_mul_f64_e32 v[118:119], v[80:81], v[118:119]
	v_add_f64_e32 v[4:5], v[4:5], v[82:83]
	v_add_f64_e32 v[12:13], v[12:13], v[136:137]
	s_wait_loadcnt_dscnt 0xa00
	v_mul_f64_e32 v[136:137], v[100:101], v[86:87]
	v_mul_f64_e32 v[86:87], v[102:103], v[86:87]
	v_fmac_f64_e32 v[138:139], v[80:81], v[116:117]
	v_fma_f64 v[142:143], v[78:79], v[116:117], -v[118:119]
	v_add_f64_e32 v[4:5], v[4:5], v[76:77]
	v_add_f64_e32 v[12:13], v[12:13], v[140:141]
	ds_load_b128 v[76:79], v2 offset:800
	ds_load_b128 v[80:83], v2 offset:816
	scratch_load_b128 v[116:119], off, off offset:464
	v_fmac_f64_e32 v[136:137], v[102:103], v[84:85]
	v_fma_f64 v[100:101], v[100:101], v[84:85], -v[86:87]
	scratch_load_b128 v[84:87], off, off offset:480
	s_wait_loadcnt_dscnt 0xb01
	v_mul_f64_e32 v[140:141], v[76:77], v[130:131]
	v_mul_f64_e32 v[102:103], v[78:79], v[130:131]
	s_wait_loadcnt_dscnt 0xa00
	v_mul_f64_e32 v[130:131], v[80:81], v[94:95]
	v_mul_f64_e32 v[94:95], v[82:83], v[94:95]
	v_add_f64_e32 v[4:5], v[4:5], v[142:143]
	v_add_f64_e32 v[12:13], v[12:13], v[138:139]
	v_fmac_f64_e32 v[140:141], v[78:79], v[128:129]
	v_fma_f64 v[128:129], v[76:77], v[128:129], -v[102:103]
	v_fmac_f64_e32 v[130:131], v[82:83], v[92:93]
	v_fma_f64 v[80:81], v[80:81], v[92:93], -v[94:95]
	v_add_f64_e32 v[4:5], v[4:5], v[100:101]
	v_add_f64_e32 v[12:13], v[12:13], v[136:137]
	ds_load_b128 v[76:79], v2 offset:832
	ds_load_b128 v[100:103], v2 offset:848
	s_wait_loadcnt_dscnt 0x901
	v_mul_f64_e32 v[136:137], v[76:77], v[114:115]
	v_mul_f64_e32 v[114:115], v[78:79], v[114:115]
	s_wait_loadcnt_dscnt 0x800
	v_mul_f64_e32 v[92:93], v[100:101], v[90:91]
	v_mul_f64_e32 v[90:91], v[102:103], v[90:91]
	v_add_f64_e32 v[4:5], v[4:5], v[128:129]
	v_add_f64_e32 v[12:13], v[12:13], v[140:141]
	v_fmac_f64_e32 v[136:137], v[78:79], v[112:113]
	v_fma_f64 v[94:95], v[76:77], v[112:113], -v[114:115]
	v_fmac_f64_e32 v[92:93], v[102:103], v[88:89]
	v_fma_f64 v[88:89], v[100:101], v[88:89], -v[90:91]
	v_add_f64_e32 v[4:5], v[4:5], v[80:81]
	v_add_f64_e32 v[12:13], v[12:13], v[130:131]
	ds_load_b128 v[76:79], v2 offset:864
	ds_load_b128 v[80:83], v2 offset:880
	s_wait_loadcnt_dscnt 0x701
	v_mul_f64_e32 v[112:113], v[76:77], v[106:107]
	v_mul_f64_e32 v[106:107], v[78:79], v[106:107]
	v_add_f64_e32 v[4:5], v[4:5], v[94:95]
	v_add_f64_e32 v[12:13], v[12:13], v[136:137]
	s_wait_loadcnt_dscnt 0x600
	v_mul_f64_e32 v[94:95], v[80:81], v[98:99]
	v_mul_f64_e32 v[98:99], v[82:83], v[98:99]
	v_fmac_f64_e32 v[112:113], v[78:79], v[104:105]
	v_fma_f64 v[100:101], v[76:77], v[104:105], -v[106:107]
	v_add_f64_e32 v[4:5], v[4:5], v[88:89]
	v_add_f64_e32 v[12:13], v[12:13], v[92:93]
	ds_load_b128 v[76:79], v2 offset:896
	ds_load_b128 v[88:91], v2 offset:912
	v_fmac_f64_e32 v[94:95], v[82:83], v[96:97]
	v_fma_f64 v[80:81], v[80:81], v[96:97], -v[98:99]
	s_wait_loadcnt_dscnt 0x501
	v_mul_f64_e32 v[92:93], v[76:77], v[122:123]
	v_mul_f64_e32 v[102:103], v[78:79], v[122:123]
	v_add_f64_e32 v[4:5], v[4:5], v[100:101]
	v_add_f64_e32 v[12:13], v[12:13], v[112:113]
	s_wait_loadcnt_dscnt 0x400
	v_mul_f64_e32 v[82:83], v[88:89], v[10:11]
	v_mul_f64_e32 v[96:97], v[90:91], v[10:11]
	v_fmac_f64_e32 v[92:93], v[78:79], v[120:121]
	v_fma_f64 v[98:99], v[76:77], v[120:121], -v[102:103]
	v_add_f64_e32 v[4:5], v[4:5], v[80:81]
	v_add_f64_e32 v[80:81], v[12:13], v[94:95]
	ds_load_b128 v[10:13], v2 offset:928
	ds_load_b128 v[76:79], v2 offset:944
	v_fmac_f64_e32 v[82:83], v[90:91], v[8:9]
	v_fma_f64 v[8:9], v[88:89], v[8:9], -v[96:97]
	s_wait_loadcnt_dscnt 0x301
	v_mul_f64_e32 v[94:95], v[10:11], v[134:135]
	v_mul_f64_e32 v[100:101], v[12:13], v[134:135]
	s_wait_loadcnt_dscnt 0x200
	v_mul_f64_e32 v[88:89], v[76:77], v[110:111]
	v_mul_f64_e32 v[90:91], v[78:79], v[110:111]
	v_add_f64_e32 v[4:5], v[4:5], v[98:99]
	v_add_f64_e32 v[80:81], v[80:81], v[92:93]
	v_fmac_f64_e32 v[94:95], v[12:13], v[132:133]
	v_fma_f64 v[12:13], v[10:11], v[132:133], -v[100:101]
	v_fmac_f64_e32 v[88:89], v[78:79], v[108:109]
	v_fma_f64 v[76:77], v[76:77], v[108:109], -v[90:91]
	v_add_f64_e32 v[92:93], v[4:5], v[8:9]
	v_add_f64_e32 v[80:81], v[80:81], v[82:83]
	ds_load_b128 v[8:11], v2 offset:960
	ds_load_b128 v[2:5], v2 offset:976
	s_wait_loadcnt_dscnt 0x101
	v_mul_f64_e32 v[82:83], v[8:9], v[118:119]
	v_mul_f64_e32 v[96:97], v[10:11], v[118:119]
	v_add_f64_e32 v[12:13], v[92:93], v[12:13]
	v_add_f64_e32 v[78:79], v[80:81], v[94:95]
	s_wait_loadcnt_dscnt 0x0
	v_mul_f64_e32 v[80:81], v[2:3], v[86:87]
	v_mul_f64_e32 v[86:87], v[4:5], v[86:87]
	v_fmac_f64_e32 v[82:83], v[10:11], v[116:117]
	v_fma_f64 v[8:9], v[8:9], v[116:117], -v[96:97]
	v_add_f64_e32 v[10:11], v[12:13], v[76:77]
	v_add_f64_e32 v[12:13], v[78:79], v[88:89]
	v_fmac_f64_e32 v[80:81], v[4:5], v[84:85]
	v_fma_f64 v[2:3], v[2:3], v[84:85], -v[86:87]
	s_delay_alu instid0(VALU_DEP_4) | instskip(NEXT) | instid1(VALU_DEP_4)
	v_add_f64_e32 v[4:5], v[10:11], v[8:9]
	v_add_f64_e32 v[8:9], v[12:13], v[82:83]
	s_delay_alu instid0(VALU_DEP_2) | instskip(NEXT) | instid1(VALU_DEP_2)
	v_add_f64_e32 v[2:3], v[4:5], v[2:3]
	v_add_f64_e32 v[4:5], v[8:9], v[80:81]
	s_delay_alu instid0(VALU_DEP_2) | instskip(NEXT) | instid1(VALU_DEP_2)
	v_add_f64_e64 v[2:3], v[124:125], -v[2:3]
	v_add_f64_e64 v[4:5], v[126:127], -v[4:5]
	scratch_store_b128 off, v[2:5], off offset:32
	s_wait_xcnt 0x0
	v_cmpx_lt_u32_e32 1, v1
	s_cbranch_execz .LBB94_197
; %bb.196:
	scratch_load_b128 v[2:5], off, s18
	v_mov_b32_e32 v8, 0
	s_delay_alu instid0(VALU_DEP_1)
	v_dual_mov_b32 v9, v8 :: v_dual_mov_b32 v10, v8
	v_mov_b32_e32 v11, v8
	scratch_store_b128 off, v[8:11], off offset:16
	s_wait_loadcnt 0x0
	ds_store_b128 v6, v[2:5]
.LBB94_197:
	s_wait_xcnt 0x0
	s_or_b32 exec_lo, exec_lo, s2
	s_wait_storecnt_dscnt 0x0
	s_barrier_signal -1
	s_barrier_wait -1
	s_clause 0x9
	scratch_load_b128 v[8:11], off, off offset:32
	scratch_load_b128 v[76:79], off, off offset:48
	;; [unrolled: 1-line block ×10, first 2 shown]
	v_mov_b32_e32 v2, 0
	s_clause 0x2
	scratch_load_b128 v[116:119], off, off offset:192
	scratch_load_b128 v[120:123], off, off offset:208
	;; [unrolled: 1-line block ×3, first 2 shown]
	s_mov_b32 s2, exec_lo
	ds_load_b128 v[112:115], v2 offset:528
	s_wait_loadcnt_dscnt 0xc00
	v_mul_f64_e32 v[4:5], v[114:115], v[10:11]
	v_mul_f64_e32 v[128:129], v[112:113], v[10:11]
	ds_load_b128 v[10:13], v2 offset:544
	v_fma_f64 v[4:5], v[112:113], v[8:9], -v[4:5]
	v_fmac_f64_e32 v[128:129], v[114:115], v[8:9]
	ds_load_b128 v[112:115], v2 offset:560
	s_wait_loadcnt_dscnt 0xb01
	v_mul_f64_e32 v[130:131], v[10:11], v[78:79]
	v_mul_f64_e32 v[78:79], v[12:13], v[78:79]
	s_wait_loadcnt_dscnt 0xa00
	v_mul_f64_e32 v[132:133], v[112:113], v[82:83]
	v_mul_f64_e32 v[82:83], v[114:115], v[82:83]
	v_add_f64_e32 v[4:5], 0, v[4:5]
	v_add_f64_e32 v[128:129], 0, v[128:129]
	v_fmac_f64_e32 v[130:131], v[12:13], v[76:77]
	v_fma_f64 v[12:13], v[10:11], v[76:77], -v[78:79]
	ds_load_b128 v[8:11], v2 offset:576
	scratch_load_b128 v[76:79], off, off offset:240
	v_fmac_f64_e32 v[132:133], v[114:115], v[80:81]
	v_fma_f64 v[136:137], v[112:113], v[80:81], -v[82:83]
	ds_load_b128 v[80:83], v2 offset:592
	s_wait_loadcnt_dscnt 0xa01
	v_mul_f64_e32 v[134:135], v[8:9], v[86:87]
	v_mul_f64_e32 v[86:87], v[10:11], v[86:87]
	scratch_load_b128 v[112:115], off, off offset:256
	v_add_f64_e32 v[4:5], v[4:5], v[12:13]
	v_add_f64_e32 v[12:13], v[128:129], v[130:131]
	s_wait_loadcnt_dscnt 0xa00
	v_mul_f64_e32 v[128:129], v[80:81], v[90:91]
	v_mul_f64_e32 v[90:91], v[82:83], v[90:91]
	v_fmac_f64_e32 v[134:135], v[10:11], v[84:85]
	v_fma_f64 v[130:131], v[8:9], v[84:85], -v[86:87]
	ds_load_b128 v[8:11], v2 offset:608
	scratch_load_b128 v[84:87], off, off offset:272
	v_add_f64_e32 v[4:5], v[4:5], v[136:137]
	v_add_f64_e32 v[12:13], v[12:13], v[132:133]
	v_fmac_f64_e32 v[128:129], v[82:83], v[88:89]
	v_fma_f64 v[136:137], v[80:81], v[88:89], -v[90:91]
	ds_load_b128 v[80:83], v2 offset:624
	s_wait_loadcnt_dscnt 0xa01
	v_mul_f64_e32 v[132:133], v[8:9], v[94:95]
	v_mul_f64_e32 v[94:95], v[10:11], v[94:95]
	scratch_load_b128 v[88:91], off, off offset:288
	v_add_f64_e32 v[4:5], v[4:5], v[130:131]
	v_add_f64_e32 v[12:13], v[12:13], v[134:135]
	s_wait_loadcnt_dscnt 0xa00
	v_mul_f64_e32 v[130:131], v[80:81], v[98:99]
	v_mul_f64_e32 v[98:99], v[82:83], v[98:99]
	v_fmac_f64_e32 v[132:133], v[10:11], v[92:93]
	v_fma_f64 v[134:135], v[8:9], v[92:93], -v[94:95]
	ds_load_b128 v[8:11], v2 offset:640
	scratch_load_b128 v[92:95], off, off offset:304
	v_add_f64_e32 v[4:5], v[4:5], v[136:137]
	v_add_f64_e32 v[12:13], v[12:13], v[128:129]
	v_fmac_f64_e32 v[130:131], v[82:83], v[96:97]
	v_fma_f64 v[136:137], v[80:81], v[96:97], -v[98:99]
	ds_load_b128 v[80:83], v2 offset:656
	s_wait_loadcnt_dscnt 0xa01
	v_mul_f64_e32 v[128:129], v[8:9], v[102:103]
	v_mul_f64_e32 v[102:103], v[10:11], v[102:103]
	scratch_load_b128 v[96:99], off, off offset:320
	v_add_f64_e32 v[4:5], v[4:5], v[134:135]
	v_add_f64_e32 v[12:13], v[12:13], v[132:133]
	s_wait_loadcnt_dscnt 0xa00
	v_mul_f64_e32 v[132:133], v[80:81], v[106:107]
	v_mul_f64_e32 v[106:107], v[82:83], v[106:107]
	v_fmac_f64_e32 v[128:129], v[10:11], v[100:101]
	v_fma_f64 v[134:135], v[8:9], v[100:101], -v[102:103]
	scratch_load_b128 v[100:103], off, off offset:336
	ds_load_b128 v[8:11], v2 offset:672
	v_add_f64_e32 v[4:5], v[4:5], v[136:137]
	v_add_f64_e32 v[12:13], v[12:13], v[130:131]
	v_fmac_f64_e32 v[132:133], v[82:83], v[104:105]
	v_fma_f64 v[136:137], v[80:81], v[104:105], -v[106:107]
	ds_load_b128 v[80:83], v2 offset:688
	s_wait_loadcnt_dscnt 0xa01
	v_mul_f64_e32 v[130:131], v[8:9], v[110:111]
	v_mul_f64_e32 v[110:111], v[10:11], v[110:111]
	scratch_load_b128 v[104:107], off, off offset:352
	v_add_f64_e32 v[4:5], v[4:5], v[134:135]
	v_add_f64_e32 v[12:13], v[12:13], v[128:129]
	s_wait_loadcnt_dscnt 0xa00
	v_mul_f64_e32 v[128:129], v[80:81], v[118:119]
	v_mul_f64_e32 v[118:119], v[82:83], v[118:119]
	v_fmac_f64_e32 v[130:131], v[10:11], v[108:109]
	v_fma_f64 v[134:135], v[8:9], v[108:109], -v[110:111]
	ds_load_b128 v[8:11], v2 offset:704
	scratch_load_b128 v[108:111], off, off offset:368
	v_add_f64_e32 v[4:5], v[4:5], v[136:137]
	v_add_f64_e32 v[12:13], v[12:13], v[132:133]
	v_fmac_f64_e32 v[128:129], v[82:83], v[116:117]
	v_fma_f64 v[136:137], v[80:81], v[116:117], -v[118:119]
	ds_load_b128 v[80:83], v2 offset:720
	s_wait_loadcnt_dscnt 0xa01
	v_mul_f64_e32 v[132:133], v[8:9], v[122:123]
	v_mul_f64_e32 v[122:123], v[10:11], v[122:123]
	scratch_load_b128 v[116:119], off, off offset:384
	v_add_f64_e32 v[4:5], v[4:5], v[134:135]
	v_add_f64_e32 v[12:13], v[12:13], v[130:131]
	s_wait_loadcnt_dscnt 0xa00
	v_mul_f64_e32 v[130:131], v[80:81], v[126:127]
	v_mul_f64_e32 v[126:127], v[82:83], v[126:127]
	v_fmac_f64_e32 v[132:133], v[10:11], v[120:121]
	v_fma_f64 v[134:135], v[8:9], v[120:121], -v[122:123]
	ds_load_b128 v[8:11], v2 offset:736
	scratch_load_b128 v[120:123], off, off offset:400
	v_add_f64_e32 v[4:5], v[4:5], v[136:137]
	v_add_f64_e32 v[12:13], v[12:13], v[128:129]
	s_wait_loadcnt_dscnt 0xa00
	v_mul_f64_e32 v[136:137], v[8:9], v[78:79]
	v_mul_f64_e32 v[128:129], v[10:11], v[78:79]
	v_fmac_f64_e32 v[130:131], v[82:83], v[124:125]
	v_fma_f64 v[82:83], v[80:81], v[124:125], -v[126:127]
	ds_load_b128 v[78:81], v2 offset:752
	scratch_load_b128 v[124:127], off, off offset:416
	v_add_f64_e32 v[4:5], v[4:5], v[134:135]
	v_add_f64_e32 v[12:13], v[12:13], v[132:133]
	v_fmac_f64_e32 v[136:137], v[10:11], v[76:77]
	v_fma_f64 v[76:77], v[8:9], v[76:77], -v[128:129]
	ds_load_b128 v[8:11], v2 offset:768
	s_wait_loadcnt_dscnt 0xa01
	v_mul_f64_e32 v[132:133], v[78:79], v[114:115]
	v_mul_f64_e32 v[114:115], v[80:81], v[114:115]
	s_wait_loadcnt_dscnt 0x900
	v_mul_f64_e32 v[134:135], v[8:9], v[86:87]
	v_mul_f64_e32 v[86:87], v[10:11], v[86:87]
	v_add_f64_e32 v[4:5], v[4:5], v[82:83]
	v_add_f64_e32 v[12:13], v[12:13], v[130:131]
	scratch_load_b128 v[128:131], off, off offset:432
	v_fmac_f64_e32 v[132:133], v[80:81], v[112:113]
	v_fma_f64 v[112:113], v[78:79], v[112:113], -v[114:115]
	scratch_load_b128 v[80:83], off, off offset:448
	v_fmac_f64_e32 v[134:135], v[10:11], v[84:85]
	v_add_f64_e32 v[4:5], v[4:5], v[76:77]
	v_add_f64_e32 v[12:13], v[12:13], v[136:137]
	ds_load_b128 v[76:79], v2 offset:784
	v_fma_f64 v[136:137], v[8:9], v[84:85], -v[86:87]
	ds_load_b128 v[8:11], v2 offset:800
	scratch_load_b128 v[84:87], off, off offset:464
	s_wait_loadcnt_dscnt 0xb01
	v_mul_f64_e32 v[114:115], v[76:77], v[90:91]
	v_mul_f64_e32 v[90:91], v[78:79], v[90:91]
	v_add_f64_e32 v[4:5], v[4:5], v[112:113]
	v_add_f64_e32 v[12:13], v[12:13], v[132:133]
	s_wait_loadcnt_dscnt 0xa00
	v_mul_f64_e32 v[112:113], v[8:9], v[94:95]
	v_mul_f64_e32 v[94:95], v[10:11], v[94:95]
	v_fmac_f64_e32 v[114:115], v[78:79], v[88:89]
	v_fma_f64 v[132:133], v[76:77], v[88:89], -v[90:91]
	ds_load_b128 v[76:79], v2 offset:816
	scratch_load_b128 v[88:91], off, off offset:480
	v_add_f64_e32 v[4:5], v[4:5], v[136:137]
	v_add_f64_e32 v[12:13], v[12:13], v[134:135]
	v_fmac_f64_e32 v[112:113], v[10:11], v[92:93]
	v_fma_f64 v[92:93], v[8:9], v[92:93], -v[94:95]
	ds_load_b128 v[8:11], v2 offset:832
	s_wait_loadcnt_dscnt 0x900
	v_mul_f64_e32 v[94:95], v[10:11], v[102:103]
	v_add_f64_e32 v[4:5], v[4:5], v[132:133]
	v_add_f64_e32 v[12:13], v[12:13], v[114:115]
	v_mul_f64_e32 v[114:115], v[8:9], v[102:103]
	s_delay_alu instid0(VALU_DEP_3) | instskip(NEXT) | instid1(VALU_DEP_3)
	v_add_f64_e32 v[4:5], v[4:5], v[92:93]
	v_add_f64_e32 v[12:13], v[12:13], v[112:113]
	s_delay_alu instid0(VALU_DEP_3)
	v_fmac_f64_e32 v[114:115], v[10:11], v[100:101]
	v_fma_f64 v[100:101], v[8:9], v[100:101], -v[94:95]
	scratch_load_b128 v[92:95], off, off offset:16
	v_mul_f64_e32 v[134:135], v[76:77], v[98:99]
	v_mul_f64_e32 v[98:99], v[78:79], v[98:99]
	ds_load_b128 v[8:11], v2 offset:864
	v_fmac_f64_e32 v[134:135], v[78:79], v[96:97]
	v_fma_f64 v[96:97], v[76:77], v[96:97], -v[98:99]
	ds_load_b128 v[76:79], v2 offset:848
	s_wait_loadcnt_dscnt 0x900
	v_mul_f64_e32 v[98:99], v[76:77], v[106:107]
	v_mul_f64_e32 v[102:103], v[78:79], v[106:107]
	s_wait_loadcnt 0x8
	v_mul_f64_e32 v[106:107], v[10:11], v[110:111]
	v_add_f64_e32 v[12:13], v[12:13], v[134:135]
	v_add_f64_e32 v[4:5], v[4:5], v[96:97]
	v_mul_f64_e32 v[96:97], v[8:9], v[110:111]
	v_fmac_f64_e32 v[98:99], v[78:79], v[104:105]
	v_fma_f64 v[102:103], v[76:77], v[104:105], -v[102:103]
	ds_load_b128 v[76:79], v2 offset:880
	v_fma_f64 v[106:107], v[8:9], v[108:109], -v[106:107]
	v_add_f64_e32 v[12:13], v[12:13], v[114:115]
	v_add_f64_e32 v[4:5], v[4:5], v[100:101]
	v_fmac_f64_e32 v[96:97], v[10:11], v[108:109]
	ds_load_b128 v[8:11], v2 offset:896
	s_wait_loadcnt_dscnt 0x701
	v_mul_f64_e32 v[100:101], v[76:77], v[118:119]
	v_mul_f64_e32 v[104:105], v[78:79], v[118:119]
	v_add_f64_e32 v[12:13], v[12:13], v[98:99]
	v_add_f64_e32 v[4:5], v[4:5], v[102:103]
	s_wait_loadcnt_dscnt 0x600
	v_mul_f64_e32 v[98:99], v[8:9], v[122:123]
	v_mul_f64_e32 v[102:103], v[10:11], v[122:123]
	v_fmac_f64_e32 v[100:101], v[78:79], v[116:117]
	v_fma_f64 v[104:105], v[76:77], v[116:117], -v[104:105]
	ds_load_b128 v[76:79], v2 offset:912
	v_add_f64_e32 v[12:13], v[12:13], v[96:97]
	v_add_f64_e32 v[4:5], v[4:5], v[106:107]
	v_fmac_f64_e32 v[98:99], v[10:11], v[120:121]
	v_fma_f64 v[102:103], v[8:9], v[120:121], -v[102:103]
	ds_load_b128 v[8:11], v2 offset:928
	s_wait_loadcnt_dscnt 0x501
	v_mul_f64_e32 v[96:97], v[76:77], v[126:127]
	v_mul_f64_e32 v[106:107], v[78:79], v[126:127]
	v_add_f64_e32 v[12:13], v[12:13], v[100:101]
	v_add_f64_e32 v[4:5], v[4:5], v[104:105]
	s_wait_loadcnt_dscnt 0x400
	v_mul_f64_e32 v[100:101], v[8:9], v[130:131]
	v_mul_f64_e32 v[104:105], v[10:11], v[130:131]
	v_fmac_f64_e32 v[96:97], v[78:79], v[124:125]
	v_fma_f64 v[106:107], v[76:77], v[124:125], -v[106:107]
	ds_load_b128 v[76:79], v2 offset:944
	v_add_f64_e32 v[12:13], v[12:13], v[98:99]
	v_add_f64_e32 v[4:5], v[4:5], v[102:103]
	v_fmac_f64_e32 v[100:101], v[10:11], v[128:129]
	v_fma_f64 v[102:103], v[8:9], v[128:129], -v[104:105]
	ds_load_b128 v[8:11], v2 offset:960
	s_wait_loadcnt_dscnt 0x301
	v_mul_f64_e32 v[98:99], v[76:77], v[82:83]
	v_mul_f64_e32 v[82:83], v[78:79], v[82:83]
	v_add_f64_e32 v[12:13], v[12:13], v[96:97]
	v_add_f64_e32 v[4:5], v[4:5], v[106:107]
	s_wait_loadcnt_dscnt 0x200
	v_mul_f64_e32 v[96:97], v[8:9], v[86:87]
	v_mul_f64_e32 v[86:87], v[10:11], v[86:87]
	v_fmac_f64_e32 v[98:99], v[78:79], v[80:81]
	v_fma_f64 v[80:81], v[76:77], v[80:81], -v[82:83]
	ds_load_b128 v[76:79], v2 offset:976
	s_wait_loadcnt_dscnt 0x100
	v_mul_f64_e32 v[82:83], v[76:77], v[90:91]
	v_mul_f64_e32 v[90:91], v[78:79], v[90:91]
	v_add_f64_e32 v[12:13], v[12:13], v[100:101]
	v_add_f64_e32 v[4:5], v[4:5], v[102:103]
	v_fmac_f64_e32 v[96:97], v[10:11], v[84:85]
	v_fma_f64 v[8:9], v[8:9], v[84:85], -v[86:87]
	v_fmac_f64_e32 v[82:83], v[78:79], v[88:89]
	v_add_f64_e32 v[10:11], v[12:13], v[98:99]
	v_add_f64_e32 v[4:5], v[4:5], v[80:81]
	v_fma_f64 v[12:13], v[76:77], v[88:89], -v[90:91]
	s_delay_alu instid0(VALU_DEP_2) | instskip(NEXT) | instid1(VALU_DEP_4)
	v_add_f64_e32 v[4:5], v[4:5], v[8:9]
	v_add_f64_e32 v[8:9], v[10:11], v[96:97]
	s_delay_alu instid0(VALU_DEP_2) | instskip(NEXT) | instid1(VALU_DEP_2)
	v_add_f64_e32 v[4:5], v[4:5], v[12:13]
	v_add_f64_e32 v[10:11], v[8:9], v[82:83]
	s_wait_loadcnt 0x0
	s_delay_alu instid0(VALU_DEP_2) | instskip(NEXT) | instid1(VALU_DEP_2)
	v_add_f64_e64 v[8:9], v[92:93], -v[4:5]
	v_add_f64_e64 v[10:11], v[94:95], -v[10:11]
	scratch_store_b128 off, v[8:11], off offset:16
	s_wait_xcnt 0x0
	v_cmpx_ne_u32_e32 0, v1
	s_cbranch_execz .LBB94_199
; %bb.198:
	scratch_load_b128 v[8:11], off, off
	v_dual_mov_b32 v3, v2 :: v_dual_mov_b32 v4, v2
	v_mov_b32_e32 v5, v2
	scratch_store_b128 off, v[2:5], off
	s_wait_loadcnt 0x0
	ds_store_b128 v6, v[8:11]
.LBB94_199:
	s_wait_xcnt 0x0
	s_or_b32 exec_lo, exec_lo, s2
	s_wait_storecnt_dscnt 0x0
	s_barrier_signal -1
	s_barrier_wait -1
	s_clause 0x9
	scratch_load_b128 v[4:7], off, off offset:16
	scratch_load_b128 v[8:11], off, off offset:32
	;; [unrolled: 1-line block ×10, first 2 shown]
	ds_load_b128 v[108:111], v2 offset:512
	ds_load_b128 v[116:119], v2 offset:528
	s_clause 0x2
	scratch_load_b128 v[112:115], off, off offset:176
	scratch_load_b128 v[120:123], off, off
	scratch_load_b128 v[124:127], off, off offset:192
	v_lshl_add_u64 v[40:41], v[40:41], 4, s[4:5]
	s_and_b32 vcc_lo, exec_lo, s43
	s_wait_loadcnt_dscnt 0xc01
	v_mul_f64_e32 v[12:13], v[110:111], v[6:7]
	v_mul_f64_e32 v[128:129], v[108:109], v[6:7]
	s_wait_loadcnt_dscnt 0xb00
	v_mul_f64_e32 v[130:131], v[116:117], v[10:11]
	v_mul_f64_e32 v[132:133], v[118:119], v[10:11]
	s_delay_alu instid0(VALU_DEP_4) | instskip(NEXT) | instid1(VALU_DEP_4)
	v_fma_f64 v[134:135], v[108:109], v[4:5], -v[12:13]
	v_fmac_f64_e32 v[128:129], v[110:111], v[4:5]
	ds_load_b128 v[4:7], v2 offset:544
	ds_load_b128 v[10:13], v2 offset:560
	scratch_load_b128 v[108:111], off, off offset:208
	v_fmac_f64_e32 v[130:131], v[118:119], v[8:9]
	v_fma_f64 v[8:9], v[116:117], v[8:9], -v[132:133]
	scratch_load_b128 v[116:119], off, off offset:224
	s_wait_loadcnt_dscnt 0xc01
	v_mul_f64_e32 v[136:137], v[4:5], v[78:79]
	v_mul_f64_e32 v[78:79], v[6:7], v[78:79]
	v_add_f64_e32 v[132:133], 0, v[134:135]
	v_add_f64_e32 v[128:129], 0, v[128:129]
	s_wait_loadcnt_dscnt 0xb00
	v_mul_f64_e32 v[134:135], v[10:11], v[82:83]
	v_mul_f64_e32 v[82:83], v[12:13], v[82:83]
	v_fmac_f64_e32 v[136:137], v[6:7], v[76:77]
	v_fma_f64 v[138:139], v[4:5], v[76:77], -v[78:79]
	ds_load_b128 v[4:7], v2 offset:576
	ds_load_b128 v[76:79], v2 offset:592
	v_add_f64_e32 v[8:9], v[132:133], v[8:9]
	v_add_f64_e32 v[132:133], v[128:129], v[130:131]
	scratch_load_b128 v[128:131], off, off offset:240
	v_fmac_f64_e32 v[134:135], v[12:13], v[80:81]
	v_fma_f64 v[12:13], v[10:11], v[80:81], -v[82:83]
	s_wait_loadcnt_dscnt 0xb01
	v_mul_f64_e32 v[140:141], v[4:5], v[86:87]
	v_mul_f64_e32 v[80:81], v[6:7], v[86:87]
	v_add_f64_e32 v[82:83], v[8:9], v[138:139]
	v_add_f64_e32 v[86:87], v[132:133], v[136:137]
	scratch_load_b128 v[8:11], off, off offset:256
	s_wait_loadcnt_dscnt 0xb00
	v_mul_f64_e32 v[132:133], v[76:77], v[90:91]
	v_mul_f64_e32 v[90:91], v[78:79], v[90:91]
	v_fmac_f64_e32 v[140:141], v[6:7], v[84:85]
	v_fma_f64 v[136:137], v[4:5], v[84:85], -v[80:81]
	v_add_f64_e32 v[12:13], v[82:83], v[12:13]
	v_add_f64_e32 v[134:135], v[86:87], v[134:135]
	ds_load_b128 v[4:7], v2 offset:608
	ds_load_b128 v[80:83], v2 offset:624
	scratch_load_b128 v[84:87], off, off offset:272
	v_fmac_f64_e32 v[132:133], v[78:79], v[88:89]
	v_fma_f64 v[88:89], v[76:77], v[88:89], -v[90:91]
	scratch_load_b128 v[76:79], off, off offset:288
	s_wait_loadcnt_dscnt 0xc01
	v_mul_f64_e32 v[138:139], v[4:5], v[94:95]
	v_mul_f64_e32 v[90:91], v[6:7], v[94:95]
	v_add_f64_e32 v[12:13], v[12:13], v[136:137]
	v_add_f64_e32 v[94:95], v[134:135], v[140:141]
	s_wait_loadcnt_dscnt 0xb00
	v_mul_f64_e32 v[134:135], v[80:81], v[98:99]
	v_mul_f64_e32 v[98:99], v[82:83], v[98:99]
	v_fmac_f64_e32 v[138:139], v[6:7], v[92:93]
	v_fma_f64 v[136:137], v[4:5], v[92:93], -v[90:91]
	v_add_f64_e32 v[12:13], v[12:13], v[88:89]
	v_add_f64_e32 v[132:133], v[94:95], v[132:133]
	ds_load_b128 v[4:7], v2 offset:640
	ds_load_b128 v[88:91], v2 offset:656
	scratch_load_b128 v[92:95], off, off offset:304
	v_fmac_f64_e32 v[134:135], v[82:83], v[96:97]
	v_fma_f64 v[96:97], v[80:81], v[96:97], -v[98:99]
	scratch_load_b128 v[80:83], off, off offset:320
	s_wait_loadcnt_dscnt 0xc01
	v_mul_f64_e32 v[140:141], v[4:5], v[102:103]
	v_mul_f64_e32 v[98:99], v[6:7], v[102:103]
	v_add_f64_e32 v[12:13], v[12:13], v[136:137]
	v_add_f64_e32 v[102:103], v[132:133], v[138:139]
	;; [unrolled: 18-line block ×4, first 2 shown]
	s_wait_loadcnt_dscnt 0xa00
	v_mul_f64_e32 v[132:133], v[104:105], v[118:119]
	v_mul_f64_e32 v[118:119], v[106:107], v[118:119]
	v_fmac_f64_e32 v[140:141], v[6:7], v[108:109]
	v_fma_f64 v[136:137], v[4:5], v[108:109], -v[110:111]
	ds_load_b128 v[4:7], v2 offset:736
	ds_load_b128 v[108:111], v2 offset:752
	v_add_f64_e32 v[12:13], v[12:13], v[124:125]
	v_add_f64_e32 v[134:135], v[126:127], v[134:135]
	scratch_load_b128 v[124:127], off, off offset:400
	v_fmac_f64_e32 v[132:133], v[106:107], v[116:117]
	v_fma_f64 v[116:117], v[104:105], v[116:117], -v[118:119]
	scratch_load_b128 v[104:107], off, off offset:416
	s_wait_loadcnt_dscnt 0xb01
	v_mul_f64_e32 v[138:139], v[4:5], v[130:131]
	v_mul_f64_e32 v[118:119], v[6:7], v[130:131]
	v_add_f64_e32 v[12:13], v[12:13], v[136:137]
	v_add_f64_e32 v[130:131], v[134:135], v[140:141]
	s_wait_loadcnt_dscnt 0xa00
	v_mul_f64_e32 v[134:135], v[108:109], v[10:11]
	v_mul_f64_e32 v[136:137], v[110:111], v[10:11]
	v_fmac_f64_e32 v[138:139], v[6:7], v[128:129]
	v_fma_f64 v[128:129], v[4:5], v[128:129], -v[118:119]
	v_add_f64_e32 v[140:141], v[12:13], v[116:117]
	v_add_f64_e32 v[130:131], v[130:131], v[132:133]
	ds_load_b128 v[4:7], v2 offset:768
	ds_load_b128 v[10:13], v2 offset:784
	scratch_load_b128 v[116:119], off, off offset:432
	v_fmac_f64_e32 v[134:135], v[110:111], v[8:9]
	v_fma_f64 v[8:9], v[108:109], v[8:9], -v[136:137]
	scratch_load_b128 v[108:111], off, off offset:448
	s_wait_loadcnt_dscnt 0xb01
	v_mul_f64_e32 v[132:133], v[4:5], v[86:87]
	v_mul_f64_e32 v[86:87], v[6:7], v[86:87]
	s_wait_loadcnt_dscnt 0xa00
	v_mul_f64_e32 v[136:137], v[10:11], v[78:79]
	v_mul_f64_e32 v[78:79], v[12:13], v[78:79]
	v_add_f64_e32 v[128:129], v[140:141], v[128:129]
	v_add_f64_e32 v[130:131], v[130:131], v[138:139]
	v_fmac_f64_e32 v[132:133], v[6:7], v[84:85]
	v_fma_f64 v[138:139], v[4:5], v[84:85], -v[86:87]
	ds_load_b128 v[4:7], v2 offset:800
	ds_load_b128 v[84:87], v2 offset:816
	v_fmac_f64_e32 v[136:137], v[12:13], v[76:77]
	v_fma_f64 v[12:13], v[10:11], v[76:77], -v[78:79]
	v_add_f64_e32 v[8:9], v[128:129], v[8:9]
	v_add_f64_e32 v[134:135], v[130:131], v[134:135]
	scratch_load_b128 v[128:131], off, off offset:464
	s_wait_loadcnt_dscnt 0xa01
	v_mul_f64_e32 v[140:141], v[4:5], v[94:95]
	v_mul_f64_e32 v[76:77], v[6:7], v[94:95]
	v_add_f64_e32 v[78:79], v[8:9], v[138:139]
	v_add_f64_e32 v[94:95], v[134:135], v[132:133]
	scratch_load_b128 v[8:11], off, off offset:480
	s_wait_loadcnt_dscnt 0xa00
	v_mul_f64_e32 v[132:133], v[84:85], v[82:83]
	v_mul_f64_e32 v[82:83], v[86:87], v[82:83]
	v_fmac_f64_e32 v[140:141], v[6:7], v[92:93]
	v_fma_f64 v[92:93], v[4:5], v[92:93], -v[76:77]
	v_add_f64_e32 v[12:13], v[78:79], v[12:13]
	v_add_f64_e32 v[94:95], v[94:95], v[136:137]
	ds_load_b128 v[4:7], v2 offset:832
	ds_load_b128 v[76:79], v2 offset:848
	v_fmac_f64_e32 v[132:133], v[86:87], v[80:81]
	v_fma_f64 v[80:81], v[84:85], v[80:81], -v[82:83]
	s_wait_loadcnt_dscnt 0x901
	v_mul_f64_e32 v[134:135], v[4:5], v[102:103]
	v_mul_f64_e32 v[102:103], v[6:7], v[102:103]
	s_wait_loadcnt_dscnt 0x800
	v_mul_f64_e32 v[84:85], v[76:77], v[90:91]
	v_mul_f64_e32 v[86:87], v[78:79], v[90:91]
	v_add_f64_e32 v[12:13], v[12:13], v[92:93]
	v_add_f64_e32 v[82:83], v[94:95], v[140:141]
	v_fmac_f64_e32 v[134:135], v[6:7], v[100:101]
	v_fma_f64 v[90:91], v[4:5], v[100:101], -v[102:103]
	v_fmac_f64_e32 v[84:85], v[78:79], v[88:89]
	v_fma_f64 v[76:77], v[76:77], v[88:89], -v[86:87]
	v_add_f64_e32 v[12:13], v[12:13], v[80:81]
	v_add_f64_e32 v[92:93], v[82:83], v[132:133]
	ds_load_b128 v[4:7], v2 offset:864
	ds_load_b128 v[80:83], v2 offset:880
	s_wait_loadcnt_dscnt 0x701
	v_mul_f64_e32 v[94:95], v[4:5], v[114:115]
	v_mul_f64_e32 v[100:101], v[6:7], v[114:115]
	s_wait_loadcnt_dscnt 0x600
	v_mul_f64_e32 v[86:87], v[80:81], v[98:99]
	v_mul_f64_e32 v[88:89], v[82:83], v[98:99]
	v_add_f64_e32 v[12:13], v[12:13], v[90:91]
	v_add_f64_e32 v[78:79], v[92:93], v[134:135]
	v_fmac_f64_e32 v[94:95], v[6:7], v[112:113]
	v_fma_f64 v[90:91], v[4:5], v[112:113], -v[100:101]
	v_fmac_f64_e32 v[86:87], v[82:83], v[96:97]
	v_fma_f64 v[80:81], v[80:81], v[96:97], -v[88:89]
	v_add_f64_e32 v[12:13], v[12:13], v[76:77]
	v_add_f64_e32 v[84:85], v[78:79], v[84:85]
	ds_load_b128 v[4:7], v2 offset:896
	ds_load_b128 v[76:79], v2 offset:912
	s_wait_loadcnt_dscnt 0x501
	v_mul_f64_e32 v[92:93], v[4:5], v[126:127]
	v_mul_f64_e32 v[98:99], v[6:7], v[126:127]
	s_wait_loadcnt_dscnt 0x400
	v_mul_f64_e32 v[88:89], v[78:79], v[106:107]
	v_add_f64_e32 v[12:13], v[12:13], v[90:91]
	v_add_f64_e32 v[82:83], v[84:85], v[94:95]
	v_mul_f64_e32 v[84:85], v[76:77], v[106:107]
	v_fmac_f64_e32 v[92:93], v[6:7], v[124:125]
	v_fma_f64 v[90:91], v[4:5], v[124:125], -v[98:99]
	v_fma_f64 v[76:77], v[76:77], v[104:105], -v[88:89]
	v_add_f64_e32 v[12:13], v[12:13], v[80:81]
	v_add_f64_e32 v[86:87], v[82:83], v[86:87]
	ds_load_b128 v[4:7], v2 offset:928
	ds_load_b128 v[80:83], v2 offset:944
	v_fmac_f64_e32 v[84:85], v[78:79], v[104:105]
	s_wait_loadcnt_dscnt 0x301
	v_mul_f64_e32 v[94:95], v[4:5], v[118:119]
	v_mul_f64_e32 v[96:97], v[6:7], v[118:119]
	s_wait_loadcnt_dscnt 0x200
	v_mul_f64_e32 v[88:89], v[82:83], v[110:111]
	v_add_f64_e32 v[12:13], v[12:13], v[90:91]
	v_add_f64_e32 v[78:79], v[86:87], v[92:93]
	v_mul_f64_e32 v[86:87], v[80:81], v[110:111]
	v_fmac_f64_e32 v[94:95], v[6:7], v[116:117]
	v_fma_f64 v[90:91], v[4:5], v[116:117], -v[96:97]
	v_fma_f64 v[80:81], v[80:81], v[108:109], -v[88:89]
	v_lshl_add_u64 v[96:97], v[18:19], 4, s[4:5]
	v_lshl_add_u64 v[88:89], v[26:27], 4, s[4:5]
	;; [unrolled: 1-line block ×4, first 2 shown]
	v_add_f64_e32 v[12:13], v[12:13], v[76:77]
	v_add_f64_e32 v[84:85], v[78:79], v[84:85]
	ds_load_b128 v[4:7], v2 offset:960
	ds_load_b128 v[76:79], v2 offset:976
	v_fmac_f64_e32 v[86:87], v[82:83], v[108:109]
	s_wait_loadcnt_dscnt 0x101
	v_mul_f64_e32 v[2:3], v[4:5], v[130:131]
	v_mul_f64_e32 v[92:93], v[6:7], v[130:131]
	v_add_f64_e32 v[12:13], v[12:13], v[90:91]
	v_add_f64_e32 v[82:83], v[84:85], v[94:95]
	s_wait_loadcnt_dscnt 0x0
	v_mul_f64_e32 v[84:85], v[76:77], v[10:11]
	v_mul_f64_e32 v[10:11], v[78:79], v[10:11]
	v_lshl_add_u64 v[94:95], v[20:21], 4, s[4:5]
	v_lshl_add_u64 v[90:91], v[24:25], 4, s[4:5]
	;; [unrolled: 1-line block ×4, first 2 shown]
	v_fmac_f64_e32 v[2:3], v[6:7], v[128:129]
	v_fma_f64 v[4:5], v[4:5], v[128:129], -v[92:93]
	v_lshl_add_u64 v[92:93], v[22:23], 4, s[4:5]
	v_lshl_add_u64 v[22:23], v[58:59], 4, s[4:5]
	v_add_f64_e32 v[6:7], v[12:13], v[80:81]
	v_add_f64_e32 v[12:13], v[82:83], v[86:87]
	v_fmac_f64_e32 v[84:85], v[78:79], v[8:9]
	v_fma_f64 v[8:9], v[76:77], v[8:9], -v[10:11]
	v_lshl_add_u64 v[86:87], v[28:29], 4, s[4:5]
	v_lshl_add_u64 v[82:83], v[32:33], 4, s[4:5]
	;; [unrolled: 1-line block ×11, first 2 shown]
	v_add_f64_e32 v[4:5], v[6:7], v[4:5]
	v_add_f64_e32 v[2:3], v[12:13], v[2:3]
	v_lshl_add_u64 v[12:13], v[64:65], 4, s[4:5]
	v_lshl_add_u64 v[6:7], v[70:71], 4, s[4:5]
	s_delay_alu instid0(VALU_DEP_4) | instskip(NEXT) | instid1(VALU_DEP_4)
	v_add_f64_e32 v[4:5], v[4:5], v[8:9]
	v_add_f64_e32 v[2:3], v[2:3], v[84:85]
	v_lshl_add_u64 v[84:85], v[30:31], 4, s[4:5]
	v_lshl_add_u64 v[30:31], v[50:51], 4, s[4:5]
	;; [unrolled: 1-line block ×3, first 2 shown]
	v_add_f64_e64 v[98:99], v[120:121], -v[4:5]
	v_add_f64_e64 v[100:101], v[122:123], -v[2:3]
	v_lshl_add_u64 v[4:5], v[72:73], 4, s[4:5]
	v_lshl_add_u64 v[2:3], v[74:75], 4, s[4:5]
	scratch_store_b128 off, v[98:101], off
	s_cbranch_vccz .LBB94_260
; %bb.200:
	v_mov_b32_e32 v42, 0
	s_load_b64 s[2:3], s[0:1], 0x4
	v_bfe_u32 v44, v0, 10, 10
	v_bfe_u32 v0, v0, 20, 10
	global_load_b32 v43, v42, s[8:9] offset:116
	s_wait_kmcnt 0x0
	s_lshr_b32 s0, s2, 16
	v_mul_u32_u24_e32 v44, s3, v44
	s_mul_i32 s0, s0, s3
	s_delay_alu instid0(SALU_CYCLE_1) | instskip(NEXT) | instid1(VALU_DEP_1)
	v_mul_u32_u24_e32 v1, s0, v1
	v_add3_u32 v0, v1, v44, v0
	s_delay_alu instid0(VALU_DEP_1)
	v_lshl_add_u32 v0, v0, 4, 0x3e8
	s_wait_loadcnt 0x0
	v_cmp_ne_u32_e32 vcc_lo, 30, v43
	s_cbranch_vccz .LBB94_202
; %bb.201:
	v_lshlrev_b32_e32 v1, 4, v43
	s_clause 0x1
	scratch_load_b128 v[44:47], off, s15
	scratch_load_b128 v[48:51], v1, off offset:-16
	s_wait_loadcnt 0x1
	ds_store_2addr_b64 v0, v[44:45], v[46:47] offset1:1
	s_wait_loadcnt 0x0
	s_clause 0x1
	scratch_store_b128 off, v[48:51], s15
	scratch_store_b128 v1, v[44:47], off offset:-16
.LBB94_202:
	global_load_b32 v1, v42, s[8:9] offset:112
	s_wait_loadcnt 0x0
	v_cmp_eq_u32_e32 vcc_lo, 29, v1
	s_cbranch_vccnz .LBB94_204
; %bb.203:
	v_lshlrev_b32_e32 v1, 4, v1
	s_clause 0x1
	scratch_load_b128 v[42:45], off, s17
	scratch_load_b128 v[46:49], v1, off offset:-16
	s_wait_loadcnt 0x1
	ds_store_2addr_b64 v0, v[42:43], v[44:45] offset1:1
	s_wait_loadcnt 0x0
	s_clause 0x1
	scratch_store_b128 off, v[46:49], s17
	scratch_store_b128 v1, v[42:45], off offset:-16
.LBB94_204:
	s_wait_xcnt 0x0
	v_mov_b32_e32 v1, 0
	global_load_b32 v42, v1, s[8:9] offset:108
	s_wait_loadcnt 0x0
	v_cmp_eq_u32_e32 vcc_lo, 28, v42
	s_cbranch_vccnz .LBB94_206
; %bb.205:
	v_lshlrev_b32_e32 v42, 4, v42
	s_delay_alu instid0(VALU_DEP_1)
	v_mov_b32_e32 v50, v42
	s_clause 0x1
	scratch_load_b128 v[42:45], off, s19
	scratch_load_b128 v[46:49], v50, off offset:-16
	s_wait_loadcnt 0x1
	ds_store_2addr_b64 v0, v[42:43], v[44:45] offset1:1
	s_wait_loadcnt 0x0
	s_clause 0x1
	scratch_store_b128 off, v[46:49], s19
	scratch_store_b128 v50, v[42:45], off offset:-16
.LBB94_206:
	global_load_b32 v1, v1, s[8:9] offset:104
	s_wait_loadcnt 0x0
	v_cmp_eq_u32_e32 vcc_lo, 27, v1
	s_cbranch_vccnz .LBB94_208
; %bb.207:
	s_wait_xcnt 0x0
	v_lshlrev_b32_e32 v1, 4, v1
	s_clause 0x1
	scratch_load_b128 v[42:45], off, s20
	scratch_load_b128 v[46:49], v1, off offset:-16
	s_wait_loadcnt 0x1
	ds_store_2addr_b64 v0, v[42:43], v[44:45] offset1:1
	s_wait_loadcnt 0x0
	s_clause 0x1
	scratch_store_b128 off, v[46:49], s20
	scratch_store_b128 v1, v[42:45], off offset:-16
.LBB94_208:
	s_wait_xcnt 0x0
	v_mov_b32_e32 v1, 0
	global_load_b32 v42, v1, s[8:9] offset:100
	s_wait_loadcnt 0x0
	v_cmp_eq_u32_e32 vcc_lo, 26, v42
	s_cbranch_vccnz .LBB94_210
; %bb.209:
	v_lshlrev_b32_e32 v42, 4, v42
	s_delay_alu instid0(VALU_DEP_1)
	v_mov_b32_e32 v50, v42
	s_clause 0x1
	scratch_load_b128 v[42:45], off, s21
	scratch_load_b128 v[46:49], v50, off offset:-16
	s_wait_loadcnt 0x1
	ds_store_2addr_b64 v0, v[42:43], v[44:45] offset1:1
	s_wait_loadcnt 0x0
	s_clause 0x1
	scratch_store_b128 off, v[46:49], s21
	scratch_store_b128 v50, v[42:45], off offset:-16
.LBB94_210:
	global_load_b32 v1, v1, s[8:9] offset:96
	s_wait_loadcnt 0x0
	v_cmp_eq_u32_e32 vcc_lo, 25, v1
	s_cbranch_vccnz .LBB94_212
; %bb.211:
	s_wait_xcnt 0x0
	v_lshlrev_b32_e32 v1, 4, v1
	s_clause 0x1
	scratch_load_b128 v[42:45], off, s22
	scratch_load_b128 v[46:49], v1, off offset:-16
	s_wait_loadcnt 0x1
	ds_store_2addr_b64 v0, v[42:43], v[44:45] offset1:1
	s_wait_loadcnt 0x0
	s_clause 0x1
	scratch_store_b128 off, v[46:49], s22
	scratch_store_b128 v1, v[42:45], off offset:-16
.LBB94_212:
	;; [unrolled: 37-line block ×13, first 2 shown]
	s_wait_xcnt 0x0
	v_mov_b32_e32 v1, 0
	global_load_b32 v42, v1, s[8:9] offset:4
	s_wait_loadcnt 0x0
	v_cmp_eq_u32_e32 vcc_lo, 2, v42
	s_cbranch_vccnz .LBB94_258
; %bb.257:
	v_lshlrev_b32_e32 v42, 4, v42
	s_delay_alu instid0(VALU_DEP_1)
	v_mov_b32_e32 v50, v42
	s_clause 0x1
	scratch_load_b128 v[42:45], off, s18
	scratch_load_b128 v[46:49], v50, off offset:-16
	s_wait_loadcnt 0x1
	ds_store_2addr_b64 v0, v[42:43], v[44:45] offset1:1
	s_wait_loadcnt 0x0
	s_clause 0x1
	scratch_store_b128 off, v[46:49], s18
	scratch_store_b128 v50, v[42:45], off offset:-16
.LBB94_258:
	global_load_b32 v1, v1, s[8:9]
	s_wait_loadcnt 0x0
	v_cmp_eq_u32_e32 vcc_lo, 1, v1
	s_cbranch_vccnz .LBB94_260
; %bb.259:
	s_wait_xcnt 0x0
	v_lshlrev_b32_e32 v1, 4, v1
	scratch_load_b128 v[42:45], off, off
	scratch_load_b128 v[46:49], v1, off offset:-16
	s_wait_loadcnt 0x1
	ds_store_2addr_b64 v0, v[42:43], v[44:45] offset1:1
	s_wait_loadcnt 0x0
	scratch_store_b128 off, v[46:49], off
	scratch_store_b128 v1, v[42:45], off offset:-16
.LBB94_260:
	scratch_load_b128 v[42:45], off, off
	s_wait_loadcnt 0x0
	flat_store_b128 v[14:15], v[42:45]
	scratch_load_b128 v[42:45], off, s18
	s_wait_loadcnt 0x0
	flat_store_b128 v[16:17], v[42:45]
	scratch_load_b128 v[14:17], off, s16
	;; [unrolled: 3-line block ×30, first 2 shown]
	s_wait_loadcnt 0x0
	flat_store_b128 v[2:3], v[4:7]
	s_sendmsg sendmsg(MSG_DEALLOC_VGPRS)
	s_endpgm
	.section	.rodata,"a",@progbits
	.p2align	6, 0x0
	.amdhsa_kernel _ZN9rocsolver6v33100L18getri_kernel_smallILi31E19rocblas_complex_numIdEPKPS3_EEvT1_iilPiilS8_bb
		.amdhsa_group_segment_fixed_size 2024
		.amdhsa_private_segment_fixed_size 512
		.amdhsa_kernarg_size 60
		.amdhsa_user_sgpr_count 4
		.amdhsa_user_sgpr_dispatch_ptr 1
		.amdhsa_user_sgpr_queue_ptr 0
		.amdhsa_user_sgpr_kernarg_segment_ptr 1
		.amdhsa_user_sgpr_dispatch_id 0
		.amdhsa_user_sgpr_kernarg_preload_length 0
		.amdhsa_user_sgpr_kernarg_preload_offset 0
		.amdhsa_user_sgpr_private_segment_size 0
		.amdhsa_wavefront_size32 1
		.amdhsa_uses_dynamic_stack 0
		.amdhsa_enable_private_segment 1
		.amdhsa_system_sgpr_workgroup_id_x 1
		.amdhsa_system_sgpr_workgroup_id_y 0
		.amdhsa_system_sgpr_workgroup_id_z 0
		.amdhsa_system_sgpr_workgroup_info 0
		.amdhsa_system_vgpr_workitem_id 2
		.amdhsa_next_free_vgpr 144
		.amdhsa_next_free_sgpr 57
		.amdhsa_named_barrier_count 0
		.amdhsa_reserve_vcc 1
		.amdhsa_float_round_mode_32 0
		.amdhsa_float_round_mode_16_64 0
		.amdhsa_float_denorm_mode_32 3
		.amdhsa_float_denorm_mode_16_64 3
		.amdhsa_fp16_overflow 0
		.amdhsa_memory_ordered 1
		.amdhsa_forward_progress 1
		.amdhsa_inst_pref_size 255
		.amdhsa_round_robin_scheduling 0
		.amdhsa_exception_fp_ieee_invalid_op 0
		.amdhsa_exception_fp_denorm_src 0
		.amdhsa_exception_fp_ieee_div_zero 0
		.amdhsa_exception_fp_ieee_overflow 0
		.amdhsa_exception_fp_ieee_underflow 0
		.amdhsa_exception_fp_ieee_inexact 0
		.amdhsa_exception_int_div_zero 0
	.end_amdhsa_kernel
	.section	.text._ZN9rocsolver6v33100L18getri_kernel_smallILi31E19rocblas_complex_numIdEPKPS3_EEvT1_iilPiilS8_bb,"axG",@progbits,_ZN9rocsolver6v33100L18getri_kernel_smallILi31E19rocblas_complex_numIdEPKPS3_EEvT1_iilPiilS8_bb,comdat
.Lfunc_end94:
	.size	_ZN9rocsolver6v33100L18getri_kernel_smallILi31E19rocblas_complex_numIdEPKPS3_EEvT1_iilPiilS8_bb, .Lfunc_end94-_ZN9rocsolver6v33100L18getri_kernel_smallILi31E19rocblas_complex_numIdEPKPS3_EEvT1_iilPiilS8_bb
                                        ; -- End function
	.set _ZN9rocsolver6v33100L18getri_kernel_smallILi31E19rocblas_complex_numIdEPKPS3_EEvT1_iilPiilS8_bb.num_vgpr, 144
	.set _ZN9rocsolver6v33100L18getri_kernel_smallILi31E19rocblas_complex_numIdEPKPS3_EEvT1_iilPiilS8_bb.num_agpr, 0
	.set _ZN9rocsolver6v33100L18getri_kernel_smallILi31E19rocblas_complex_numIdEPKPS3_EEvT1_iilPiilS8_bb.numbered_sgpr, 57
	.set _ZN9rocsolver6v33100L18getri_kernel_smallILi31E19rocblas_complex_numIdEPKPS3_EEvT1_iilPiilS8_bb.num_named_barrier, 0
	.set _ZN9rocsolver6v33100L18getri_kernel_smallILi31E19rocblas_complex_numIdEPKPS3_EEvT1_iilPiilS8_bb.private_seg_size, 512
	.set _ZN9rocsolver6v33100L18getri_kernel_smallILi31E19rocblas_complex_numIdEPKPS3_EEvT1_iilPiilS8_bb.uses_vcc, 1
	.set _ZN9rocsolver6v33100L18getri_kernel_smallILi31E19rocblas_complex_numIdEPKPS3_EEvT1_iilPiilS8_bb.uses_flat_scratch, 1
	.set _ZN9rocsolver6v33100L18getri_kernel_smallILi31E19rocblas_complex_numIdEPKPS3_EEvT1_iilPiilS8_bb.has_dyn_sized_stack, 0
	.set _ZN9rocsolver6v33100L18getri_kernel_smallILi31E19rocblas_complex_numIdEPKPS3_EEvT1_iilPiilS8_bb.has_recursion, 0
	.set _ZN9rocsolver6v33100L18getri_kernel_smallILi31E19rocblas_complex_numIdEPKPS3_EEvT1_iilPiilS8_bb.has_indirect_call, 0
	.section	.AMDGPU.csdata,"",@progbits
; Kernel info:
; codeLenInByte = 43632
; TotalNumSgprs: 59
; NumVgprs: 144
; ScratchSize: 512
; MemoryBound: 0
; FloatMode: 240
; IeeeMode: 1
; LDSByteSize: 2024 bytes/workgroup (compile time only)
; SGPRBlocks: 0
; VGPRBlocks: 8
; NumSGPRsForWavesPerEU: 59
; NumVGPRsForWavesPerEU: 144
; NamedBarCnt: 0
; Occupancy: 7
; WaveLimiterHint : 1
; COMPUTE_PGM_RSRC2:SCRATCH_EN: 1
; COMPUTE_PGM_RSRC2:USER_SGPR: 4
; COMPUTE_PGM_RSRC2:TRAP_HANDLER: 0
; COMPUTE_PGM_RSRC2:TGID_X_EN: 1
; COMPUTE_PGM_RSRC2:TGID_Y_EN: 0
; COMPUTE_PGM_RSRC2:TGID_Z_EN: 0
; COMPUTE_PGM_RSRC2:TIDIG_COMP_CNT: 2
	.section	.text._ZN9rocsolver6v33100L18getri_kernel_smallILi32E19rocblas_complex_numIdEPKPS3_EEvT1_iilPiilS8_bb,"axG",@progbits,_ZN9rocsolver6v33100L18getri_kernel_smallILi32E19rocblas_complex_numIdEPKPS3_EEvT1_iilPiilS8_bb,comdat
	.globl	_ZN9rocsolver6v33100L18getri_kernel_smallILi32E19rocblas_complex_numIdEPKPS3_EEvT1_iilPiilS8_bb ; -- Begin function _ZN9rocsolver6v33100L18getri_kernel_smallILi32E19rocblas_complex_numIdEPKPS3_EEvT1_iilPiilS8_bb
	.p2align	8
	.type	_ZN9rocsolver6v33100L18getri_kernel_smallILi32E19rocblas_complex_numIdEPKPS3_EEvT1_iilPiilS8_bb,@function
_ZN9rocsolver6v33100L18getri_kernel_smallILi32E19rocblas_complex_numIdEPKPS3_EEvT1_iilPiilS8_bb: ; @_ZN9rocsolver6v33100L18getri_kernel_smallILi32E19rocblas_complex_numIdEPKPS3_EEvT1_iilPiilS8_bb
; %bb.0:
	v_and_b32_e32 v1, 0x3ff, v0
	s_mov_b32 s4, exec_lo
	s_delay_alu instid0(VALU_DEP_1)
	v_cmpx_gt_u32_e32 32, v1
	s_cbranch_execz .LBB95_142
; %bb.1:
	s_clause 0x1
	s_load_b32 s16, s[2:3], 0x38
	s_load_b64 s[8:9], s[2:3], 0x0
	s_getreg_b32 s6, hwreg(HW_REG_IB_STS2, 6, 4)
	s_wait_kmcnt 0x0
	s_bitcmp1_b32 s16, 8
	s_cselect_b32 s44, -1, 0
	s_bfe_u32 s4, ttmp6, 0x4000c
	s_and_b32 s5, ttmp6, 15
	s_add_co_i32 s4, s4, 1
	s_delay_alu instid0(SALU_CYCLE_1) | instskip(NEXT) | instid1(SALU_CYCLE_1)
	s_mul_i32 s4, ttmp9, s4
	s_add_co_i32 s5, s5, s4
	s_cmp_eq_u32 s6, 0
	s_cselect_b32 s10, ttmp9, s5
	s_load_b128 s[4:7], s[2:3], 0x28
	s_ashr_i32 s11, s10, 31
	s_delay_alu instid0(SALU_CYCLE_1) | instskip(NEXT) | instid1(SALU_CYCLE_1)
	s_lshl_b64 s[12:13], s[10:11], 3
	s_add_nc_u64 s[8:9], s[8:9], s[12:13]
	s_load_b64 s[14:15], s[8:9], 0x0
	s_wait_xcnt 0x0
	s_bfe_u32 s8, s16, 0x10008
	s_delay_alu instid0(SALU_CYCLE_1)
	s_cmp_eq_u32 s8, 0
                                        ; implicit-def: $sgpr8_sgpr9
	s_cbranch_scc1 .LBB95_3
; %bb.2:
	s_load_b96 s[16:18], s[2:3], 0x18
	s_wait_kmcnt 0x0
	s_mul_u64 s[4:5], s[4:5], s[10:11]
	s_delay_alu instid0(SALU_CYCLE_1) | instskip(SKIP_4) | instid1(SALU_CYCLE_1)
	s_lshl_b64 s[4:5], s[4:5], 2
	s_ashr_i32 s9, s18, 31
	s_mov_b32 s8, s18
	s_add_nc_u64 s[4:5], s[16:17], s[4:5]
	s_lshl_b64 s[8:9], s[8:9], 2
	s_add_nc_u64 s[8:9], s[4:5], s[8:9]
.LBB95_3:
	s_clause 0x1
	s_load_b64 s[12:13], s[2:3], 0x8
	s_load_b32 s45, s[2:3], 0x38
	v_dual_mov_b32 v79, 0 :: v_dual_lshlrev_b32 v78, 4, v1
	s_movk_i32 s46, 0x140
	s_movk_i32 s47, 0x150
	;; [unrolled: 1-line block ×12, first 2 shown]
	s_mov_b32 s18, 16
	s_mov_b32 s16, 32
	s_movk_i32 s43, 0x50
	s_movk_i32 s42, 0x60
	s_wait_kmcnt 0x0
	s_ashr_i32 s3, s12, 31
	s_mov_b32 s2, s12
	v_add3_u32 v18, s13, s13, v1
	s_lshl_b64 s[2:3], s[2:3], 4
	s_mov_b32 s12, 64
	s_add_nc_u64 s[4:5], s[14:15], s[2:3]
	s_ashr_i32 s3, s13, 31
	flat_load_b128 v[2:5], v1, s[4:5] scale_offset
	v_add_nc_u64_e32 v[14:15], s[4:5], v[78:79]
	s_mov_b32 s2, s13
	v_add_nc_u32_e32 v20, s13, v18
	s_mov_b32 s14, 48
	s_movk_i32 s41, 0x70
	s_movk_i32 s40, 0x80
	;; [unrolled: 1-line block ×3, first 2 shown]
	v_lshl_add_u64 v[16:17], s[2:3], 4, v[14:15]
	v_add_nc_u32_e32 v22, s13, v20
	s_movk_i32 s38, 0xa0
	s_movk_i32 s37, 0xb0
	;; [unrolled: 1-line block ×4, first 2 shown]
	v_add_nc_u32_e32 v24, s13, v22
	s_movk_i32 s34, 0xe0
	s_movk_i32 s33, 0xf0
	;; [unrolled: 1-line block ×4, first 2 shown]
	v_add_nc_u32_e32 v26, s13, v24
	s_movk_i32 s29, 0x120
	s_movk_i32 s28, 0x130
	s_mov_b32 s27, s46
	s_mov_b32 s26, s47
	v_add_nc_u32_e32 v28, s13, v26
	s_mov_b32 s25, s48
	s_mov_b32 s24, s49
	;; [unrolled: 1-line block ×4, first 2 shown]
	v_add_nc_u32_e32 v30, s13, v28
	s_mov_b32 s21, s52
	s_mov_b32 s20, s53
	;; [unrolled: 1-line block ×4, first 2 shown]
	v_add_nc_u32_e32 v32, s13, v30
	s_mov_b32 s15, s56
	s_bitcmp0_b32 s45, 0
	s_mov_b32 s3, -1
	s_delay_alu instid0(VALU_DEP_1) | instskip(NEXT) | instid1(VALU_DEP_1)
	v_add_nc_u32_e32 v34, s13, v32
	v_add_nc_u32_e32 v36, s13, v34
	s_delay_alu instid0(VALU_DEP_1) | instskip(NEXT) | instid1(VALU_DEP_1)
	v_add_nc_u32_e32 v38, s13, v36
	v_add_nc_u32_e32 v40, s13, v38
	;; [unrolled: 3-line block ×11, first 2 shown]
	s_mov_b32 s13, s57
	s_wait_loadcnt_dscnt 0x0
	scratch_store_b128 off, v[2:5], off
	flat_load_b128 v[2:5], v[16:17]
	s_wait_loadcnt_dscnt 0x0
	scratch_store_b128 off, v[2:5], off offset:16
	flat_load_b128 v[2:5], v18, s[4:5] scale_offset
	s_wait_loadcnt_dscnt 0x0
	scratch_store_b128 off, v[2:5], off offset:32
	flat_load_b128 v[2:5], v20, s[4:5] scale_offset
	;; [unrolled: 3-line block ×30, first 2 shown]
	s_wait_loadcnt_dscnt 0x0
	scratch_store_b128 off, v[2:5], off offset:496
	s_cbranch_scc1 .LBB95_140
; %bb.4:
	v_cmp_eq_u32_e64 s2, 0, v1
	s_wait_xcnt 0x0
	s_and_saveexec_b32 s3, s2
; %bb.5:
	v_mov_b32_e32 v2, 0
	ds_store_b32 v2, v2 offset:1024
; %bb.6:
	s_or_b32 exec_lo, exec_lo, s3
	s_wait_storecnt_dscnt 0x0
	s_barrier_signal -1
	s_barrier_wait -1
	scratch_load_b128 v[2:5], v1, off scale_offset
	s_wait_loadcnt 0x0
	v_cmp_eq_f64_e32 vcc_lo, 0, v[2:3]
	v_cmp_eq_f64_e64 s3, 0, v[4:5]
	s_and_b32 s3, vcc_lo, s3
	s_delay_alu instid0(SALU_CYCLE_1)
	s_and_saveexec_b32 s45, s3
	s_cbranch_execz .LBB95_10
; %bb.7:
	v_mov_b32_e32 v2, 0
	s_mov_b32 s46, 0
	ds_load_b32 v3, v2 offset:1024
	s_wait_dscnt 0x0
	v_readfirstlane_b32 s3, v3
	v_add_nc_u32_e32 v3, 1, v1
	s_cmp_eq_u32 s3, 0
	s_delay_alu instid0(VALU_DEP_1) | instskip(SKIP_1) | instid1(SALU_CYCLE_1)
	v_cmp_gt_i32_e32 vcc_lo, s3, v3
	s_cselect_b32 s47, -1, 0
	s_or_b32 s47, s47, vcc_lo
	s_delay_alu instid0(SALU_CYCLE_1)
	s_and_b32 exec_lo, exec_lo, s47
	s_cbranch_execz .LBB95_10
; %bb.8:
	v_mov_b32_e32 v4, s3
.LBB95_9:                               ; =>This Inner Loop Header: Depth=1
	ds_cmpstore_rtn_b32 v4, v2, v3, v4 offset:1024
	s_wait_dscnt 0x0
	v_cmp_ne_u32_e32 vcc_lo, 0, v4
	v_cmp_le_i32_e64 s3, v4, v3
	s_and_b32 s3, vcc_lo, s3
	s_delay_alu instid0(SALU_CYCLE_1) | instskip(NEXT) | instid1(SALU_CYCLE_1)
	s_and_b32 s3, exec_lo, s3
	s_or_b32 s46, s3, s46
	s_delay_alu instid0(SALU_CYCLE_1)
	s_and_not1_b32 exec_lo, exec_lo, s46
	s_cbranch_execnz .LBB95_9
.LBB95_10:
	s_or_b32 exec_lo, exec_lo, s45
	v_mov_b32_e32 v2, 0
	s_barrier_signal -1
	s_barrier_wait -1
	ds_load_b32 v3, v2 offset:1024
	s_and_saveexec_b32 s3, s2
	s_cbranch_execz .LBB95_12
; %bb.11:
	s_lshl_b64 s[46:47], s[10:11], 2
	s_delay_alu instid0(SALU_CYCLE_1)
	s_add_nc_u64 s[46:47], s[6:7], s[46:47]
	s_wait_dscnt 0x0
	global_store_b32 v2, v3, s[46:47]
.LBB95_12:
	s_wait_xcnt 0x0
	s_or_b32 exec_lo, exec_lo, s3
	s_wait_dscnt 0x0
	v_cmp_ne_u32_e32 vcc_lo, 0, v3
	s_mov_b32 s3, 0
	s_cbranch_vccnz .LBB95_140
; %bb.13:
	v_lshl_add_u32 v19, v1, 4, 0
                                        ; implicit-def: $vgpr6_vgpr7
                                        ; implicit-def: $vgpr10_vgpr11
	scratch_load_b128 v[2:5], v19, off
	s_wait_loadcnt 0x0
	v_cmp_ngt_f64_e64 s3, |v[2:3]|, |v[4:5]|
	s_wait_xcnt 0x0
	s_and_saveexec_b32 s45, s3
	s_delay_alu instid0(SALU_CYCLE_1)
	s_xor_b32 s3, exec_lo, s45
	s_cbranch_execz .LBB95_15
; %bb.14:
	v_div_scale_f64 v[6:7], null, v[4:5], v[4:5], v[2:3]
	v_div_scale_f64 v[12:13], vcc_lo, v[2:3], v[4:5], v[2:3]
	s_delay_alu instid0(VALU_DEP_2) | instskip(SKIP_1) | instid1(TRANS32_DEP_1)
	v_rcp_f64_e32 v[8:9], v[6:7]
	v_nop
	v_fma_f64 v[10:11], -v[6:7], v[8:9], 1.0
	s_delay_alu instid0(VALU_DEP_1) | instskip(NEXT) | instid1(VALU_DEP_1)
	v_fmac_f64_e32 v[8:9], v[8:9], v[10:11]
	v_fma_f64 v[10:11], -v[6:7], v[8:9], 1.0
	s_delay_alu instid0(VALU_DEP_1) | instskip(NEXT) | instid1(VALU_DEP_1)
	v_fmac_f64_e32 v[8:9], v[8:9], v[10:11]
	v_mul_f64_e32 v[10:11], v[12:13], v[8:9]
	s_delay_alu instid0(VALU_DEP_1) | instskip(NEXT) | instid1(VALU_DEP_1)
	v_fma_f64 v[6:7], -v[6:7], v[10:11], v[12:13]
	v_div_fmas_f64 v[6:7], v[6:7], v[8:9], v[10:11]
	s_delay_alu instid0(VALU_DEP_1) | instskip(NEXT) | instid1(VALU_DEP_1)
	v_div_fixup_f64 v[6:7], v[6:7], v[4:5], v[2:3]
	v_fmac_f64_e32 v[4:5], v[2:3], v[6:7]
	s_delay_alu instid0(VALU_DEP_1) | instskip(SKIP_1) | instid1(VALU_DEP_2)
	v_div_scale_f64 v[2:3], null, v[4:5], v[4:5], 1.0
	v_div_scale_f64 v[12:13], vcc_lo, 1.0, v[4:5], 1.0
	v_rcp_f64_e32 v[8:9], v[2:3]
	v_nop
	s_delay_alu instid0(TRANS32_DEP_1) | instskip(NEXT) | instid1(VALU_DEP_1)
	v_fma_f64 v[10:11], -v[2:3], v[8:9], 1.0
	v_fmac_f64_e32 v[8:9], v[8:9], v[10:11]
	s_delay_alu instid0(VALU_DEP_1) | instskip(NEXT) | instid1(VALU_DEP_1)
	v_fma_f64 v[10:11], -v[2:3], v[8:9], 1.0
	v_fmac_f64_e32 v[8:9], v[8:9], v[10:11]
	s_delay_alu instid0(VALU_DEP_1) | instskip(NEXT) | instid1(VALU_DEP_1)
	v_mul_f64_e32 v[10:11], v[12:13], v[8:9]
	v_fma_f64 v[2:3], -v[2:3], v[10:11], v[12:13]
	s_delay_alu instid0(VALU_DEP_1) | instskip(NEXT) | instid1(VALU_DEP_1)
	v_div_fmas_f64 v[2:3], v[2:3], v[8:9], v[10:11]
	v_div_fixup_f64 v[8:9], v[2:3], v[4:5], 1.0
                                        ; implicit-def: $vgpr2_vgpr3
	s_delay_alu instid0(VALU_DEP_1) | instskip(SKIP_1) | instid1(VALU_DEP_2)
	v_mul_f64_e32 v[6:7], v[6:7], v[8:9]
	v_xor_b32_e32 v9, 0x80000000, v9
	v_xor_b32_e32 v11, 0x80000000, v7
	s_delay_alu instid0(VALU_DEP_3)
	v_mov_b32_e32 v10, v6
.LBB95_15:
	s_and_not1_saveexec_b32 s3, s3
	s_cbranch_execz .LBB95_17
; %bb.16:
	v_div_scale_f64 v[6:7], null, v[2:3], v[2:3], v[4:5]
	v_div_scale_f64 v[12:13], vcc_lo, v[4:5], v[2:3], v[4:5]
	s_delay_alu instid0(VALU_DEP_2) | instskip(SKIP_1) | instid1(TRANS32_DEP_1)
	v_rcp_f64_e32 v[8:9], v[6:7]
	v_nop
	v_fma_f64 v[10:11], -v[6:7], v[8:9], 1.0
	s_delay_alu instid0(VALU_DEP_1) | instskip(NEXT) | instid1(VALU_DEP_1)
	v_fmac_f64_e32 v[8:9], v[8:9], v[10:11]
	v_fma_f64 v[10:11], -v[6:7], v[8:9], 1.0
	s_delay_alu instid0(VALU_DEP_1) | instskip(NEXT) | instid1(VALU_DEP_1)
	v_fmac_f64_e32 v[8:9], v[8:9], v[10:11]
	v_mul_f64_e32 v[10:11], v[12:13], v[8:9]
	s_delay_alu instid0(VALU_DEP_1) | instskip(NEXT) | instid1(VALU_DEP_1)
	v_fma_f64 v[6:7], -v[6:7], v[10:11], v[12:13]
	v_div_fmas_f64 v[6:7], v[6:7], v[8:9], v[10:11]
	s_delay_alu instid0(VALU_DEP_1) | instskip(NEXT) | instid1(VALU_DEP_1)
	v_div_fixup_f64 v[8:9], v[6:7], v[2:3], v[4:5]
	v_fmac_f64_e32 v[2:3], v[4:5], v[8:9]
	s_delay_alu instid0(VALU_DEP_1) | instskip(NEXT) | instid1(VALU_DEP_1)
	v_div_scale_f64 v[4:5], null, v[2:3], v[2:3], 1.0
	v_rcp_f64_e32 v[6:7], v[4:5]
	v_nop
	s_delay_alu instid0(TRANS32_DEP_1) | instskip(NEXT) | instid1(VALU_DEP_1)
	v_fma_f64 v[10:11], -v[4:5], v[6:7], 1.0
	v_fmac_f64_e32 v[6:7], v[6:7], v[10:11]
	s_delay_alu instid0(VALU_DEP_1) | instskip(NEXT) | instid1(VALU_DEP_1)
	v_fma_f64 v[10:11], -v[4:5], v[6:7], 1.0
	v_fmac_f64_e32 v[6:7], v[6:7], v[10:11]
	v_div_scale_f64 v[10:11], vcc_lo, 1.0, v[2:3], 1.0
	s_delay_alu instid0(VALU_DEP_1) | instskip(NEXT) | instid1(VALU_DEP_1)
	v_mul_f64_e32 v[12:13], v[10:11], v[6:7]
	v_fma_f64 v[4:5], -v[4:5], v[12:13], v[10:11]
	s_delay_alu instid0(VALU_DEP_1) | instskip(NEXT) | instid1(VALU_DEP_1)
	v_div_fmas_f64 v[4:5], v[4:5], v[6:7], v[12:13]
	v_div_fixup_f64 v[6:7], v[4:5], v[2:3], 1.0
	s_delay_alu instid0(VALU_DEP_1)
	v_mul_f64_e64 v[8:9], v[8:9], -v[6:7]
	v_xor_b32_e32 v11, 0x80000000, v7
	v_mov_b32_e32 v10, v6
.LBB95_17:
	s_or_b32 exec_lo, exec_lo, s3
	s_clause 0x1
	scratch_store_b128 v19, v[6:9], off
	scratch_load_b128 v[2:5], off, s18
	v_xor_b32_e32 v13, 0x80000000, v9
	v_mov_b32_e32 v12, v8
	s_wait_xcnt 0x1
	v_add_nc_u32_e32 v6, 0x200, v78
	ds_store_b128 v78, v[10:13]
	s_wait_loadcnt 0x0
	ds_store_b128 v78, v[2:5] offset:512
	s_wait_storecnt_dscnt 0x0
	s_barrier_signal -1
	s_barrier_wait -1
	s_wait_xcnt 0x0
	s_and_saveexec_b32 s3, s2
	s_cbranch_execz .LBB95_19
; %bb.18:
	scratch_load_b128 v[2:5], v19, off
	ds_load_b128 v[8:11], v6
	v_mov_b32_e32 v7, 0
	ds_load_b128 v[80:83], v7 offset:16
	s_wait_loadcnt_dscnt 0x1
	v_mul_f64_e32 v[12:13], v[8:9], v[4:5]
	v_mul_f64_e32 v[4:5], v[10:11], v[4:5]
	s_delay_alu instid0(VALU_DEP_2) | instskip(NEXT) | instid1(VALU_DEP_2)
	v_fmac_f64_e32 v[12:13], v[10:11], v[2:3]
	v_fma_f64 v[2:3], v[8:9], v[2:3], -v[4:5]
	s_delay_alu instid0(VALU_DEP_2) | instskip(NEXT) | instid1(VALU_DEP_2)
	v_add_f64_e32 v[8:9], 0, v[12:13]
	v_add_f64_e32 v[2:3], 0, v[2:3]
	s_wait_dscnt 0x0
	s_delay_alu instid0(VALU_DEP_2) | instskip(NEXT) | instid1(VALU_DEP_2)
	v_mul_f64_e32 v[10:11], v[8:9], v[82:83]
	v_mul_f64_e32 v[4:5], v[2:3], v[82:83]
	s_delay_alu instid0(VALU_DEP_2) | instskip(NEXT) | instid1(VALU_DEP_2)
	v_fma_f64 v[2:3], v[2:3], v[80:81], -v[10:11]
	v_fmac_f64_e32 v[4:5], v[8:9], v[80:81]
	scratch_store_b128 off, v[2:5], off offset:16
.LBB95_19:
	s_wait_xcnt 0x0
	s_or_b32 exec_lo, exec_lo, s3
	s_wait_storecnt 0x0
	s_barrier_signal -1
	s_barrier_wait -1
	scratch_load_b128 v[2:5], off, s16
	s_mov_b32 s3, exec_lo
	s_wait_loadcnt 0x0
	ds_store_b128 v6, v[2:5]
	s_wait_dscnt 0x0
	s_barrier_signal -1
	s_barrier_wait -1
	v_cmpx_gt_u32_e32 2, v1
	s_cbranch_execz .LBB95_23
; %bb.20:
	scratch_load_b128 v[2:5], v19, off
	ds_load_b128 v[8:11], v6
	s_wait_loadcnt_dscnt 0x0
	v_mul_f64_e32 v[12:13], v[10:11], v[4:5]
	v_mul_f64_e32 v[80:81], v[8:9], v[4:5]
	s_delay_alu instid0(VALU_DEP_2) | instskip(NEXT) | instid1(VALU_DEP_2)
	v_fma_f64 v[4:5], v[8:9], v[2:3], -v[12:13]
	v_fmac_f64_e32 v[80:81], v[10:11], v[2:3]
	s_delay_alu instid0(VALU_DEP_2) | instskip(NEXT) | instid1(VALU_DEP_2)
	v_add_f64_e32 v[4:5], 0, v[4:5]
	v_add_f64_e32 v[2:3], 0, v[80:81]
	s_and_saveexec_b32 s45, s2
	s_cbranch_execz .LBB95_22
; %bb.21:
	scratch_load_b128 v[8:11], off, off offset:16
	v_mov_b32_e32 v7, 0
	ds_load_b128 v[80:83], v7 offset:528
	s_wait_loadcnt_dscnt 0x0
	v_mul_f64_e32 v[12:13], v[80:81], v[10:11]
	v_mul_f64_e32 v[10:11], v[82:83], v[10:11]
	s_delay_alu instid0(VALU_DEP_2) | instskip(NEXT) | instid1(VALU_DEP_2)
	v_fmac_f64_e32 v[12:13], v[82:83], v[8:9]
	v_fma_f64 v[8:9], v[80:81], v[8:9], -v[10:11]
	s_delay_alu instid0(VALU_DEP_2) | instskip(NEXT) | instid1(VALU_DEP_2)
	v_add_f64_e32 v[2:3], v[2:3], v[12:13]
	v_add_f64_e32 v[4:5], v[4:5], v[8:9]
.LBB95_22:
	s_or_b32 exec_lo, exec_lo, s45
	v_mov_b32_e32 v7, 0
	ds_load_b128 v[8:11], v7 offset:32
	s_wait_dscnt 0x0
	v_mul_f64_e32 v[80:81], v[2:3], v[10:11]
	v_mul_f64_e32 v[12:13], v[4:5], v[10:11]
	s_delay_alu instid0(VALU_DEP_2) | instskip(NEXT) | instid1(VALU_DEP_2)
	v_fma_f64 v[10:11], v[4:5], v[8:9], -v[80:81]
	v_fmac_f64_e32 v[12:13], v[2:3], v[8:9]
	scratch_store_b128 off, v[10:13], off offset:32
.LBB95_23:
	s_wait_xcnt 0x0
	s_or_b32 exec_lo, exec_lo, s3
	s_wait_storecnt 0x0
	s_barrier_signal -1
	s_barrier_wait -1
	scratch_load_b128 v[2:5], off, s14
	v_add_nc_u32_e32 v7, -1, v1
	s_mov_b32 s2, exec_lo
	s_wait_loadcnt 0x0
	ds_store_b128 v6, v[2:5]
	s_wait_dscnt 0x0
	s_barrier_signal -1
	s_barrier_wait -1
	v_cmpx_gt_u32_e32 3, v1
	s_cbranch_execz .LBB95_27
; %bb.24:
	v_dual_mov_b32 v10, v78 :: v_dual_add_nc_u32 v8, -1, v1
	v_mov_b64_e32 v[2:3], 0
	v_mov_b64_e32 v[4:5], 0
	v_add_nc_u32_e32 v9, 0x200, v78
	s_delay_alu instid0(VALU_DEP_4)
	v_or_b32_e32 v10, 8, v10
	s_mov_b32 s3, 0
.LBB95_25:                              ; =>This Inner Loop Header: Depth=1
	scratch_load_b128 v[80:83], v10, off offset:-8
	ds_load_b128 v[84:87], v9
	v_dual_add_nc_u32 v8, 1, v8 :: v_dual_add_nc_u32 v9, 16, v9
	s_wait_xcnt 0x0
	v_add_nc_u32_e32 v10, 16, v10
	s_delay_alu instid0(VALU_DEP_2) | instskip(SKIP_4) | instid1(VALU_DEP_2)
	v_cmp_lt_u32_e32 vcc_lo, 1, v8
	s_or_b32 s3, vcc_lo, s3
	s_wait_loadcnt_dscnt 0x0
	v_mul_f64_e32 v[12:13], v[86:87], v[82:83]
	v_mul_f64_e32 v[82:83], v[84:85], v[82:83]
	v_fma_f64 v[12:13], v[84:85], v[80:81], -v[12:13]
	s_delay_alu instid0(VALU_DEP_2) | instskip(NEXT) | instid1(VALU_DEP_2)
	v_fmac_f64_e32 v[82:83], v[86:87], v[80:81]
	v_add_f64_e32 v[4:5], v[4:5], v[12:13]
	s_delay_alu instid0(VALU_DEP_2)
	v_add_f64_e32 v[2:3], v[2:3], v[82:83]
	s_and_not1_b32 exec_lo, exec_lo, s3
	s_cbranch_execnz .LBB95_25
; %bb.26:
	s_or_b32 exec_lo, exec_lo, s3
	v_mov_b32_e32 v8, 0
	ds_load_b128 v[8:11], v8 offset:48
	s_wait_dscnt 0x0
	v_mul_f64_e32 v[80:81], v[2:3], v[10:11]
	v_mul_f64_e32 v[12:13], v[4:5], v[10:11]
	s_delay_alu instid0(VALU_DEP_2) | instskip(NEXT) | instid1(VALU_DEP_2)
	v_fma_f64 v[10:11], v[4:5], v[8:9], -v[80:81]
	v_fmac_f64_e32 v[12:13], v[2:3], v[8:9]
	scratch_store_b128 off, v[10:13], off offset:48
.LBB95_27:
	s_wait_xcnt 0x0
	s_or_b32 exec_lo, exec_lo, s2
	s_wait_storecnt 0x0
	s_barrier_signal -1
	s_barrier_wait -1
	scratch_load_b128 v[2:5], off, s12
	s_mov_b32 s2, exec_lo
	s_wait_loadcnt 0x0
	ds_store_b128 v6, v[2:5]
	s_wait_dscnt 0x0
	s_barrier_signal -1
	s_barrier_wait -1
	v_cmpx_gt_u32_e32 4, v1
	s_cbranch_execz .LBB95_31
; %bb.28:
	v_dual_mov_b32 v10, v78 :: v_dual_add_nc_u32 v8, -1, v1
	v_mov_b64_e32 v[2:3], 0
	v_mov_b64_e32 v[4:5], 0
	v_add_nc_u32_e32 v9, 0x200, v78
	s_delay_alu instid0(VALU_DEP_4)
	v_or_b32_e32 v10, 8, v10
	s_mov_b32 s3, 0
.LBB95_29:                              ; =>This Inner Loop Header: Depth=1
	scratch_load_b128 v[80:83], v10, off offset:-8
	ds_load_b128 v[84:87], v9
	v_dual_add_nc_u32 v8, 1, v8 :: v_dual_add_nc_u32 v9, 16, v9
	s_wait_xcnt 0x0
	v_add_nc_u32_e32 v10, 16, v10
	s_delay_alu instid0(VALU_DEP_2) | instskip(SKIP_4) | instid1(VALU_DEP_2)
	v_cmp_lt_u32_e32 vcc_lo, 2, v8
	s_or_b32 s3, vcc_lo, s3
	s_wait_loadcnt_dscnt 0x0
	v_mul_f64_e32 v[12:13], v[86:87], v[82:83]
	v_mul_f64_e32 v[82:83], v[84:85], v[82:83]
	v_fma_f64 v[12:13], v[84:85], v[80:81], -v[12:13]
	s_delay_alu instid0(VALU_DEP_2) | instskip(NEXT) | instid1(VALU_DEP_2)
	v_fmac_f64_e32 v[82:83], v[86:87], v[80:81]
	v_add_f64_e32 v[4:5], v[4:5], v[12:13]
	s_delay_alu instid0(VALU_DEP_2)
	v_add_f64_e32 v[2:3], v[2:3], v[82:83]
	s_and_not1_b32 exec_lo, exec_lo, s3
	s_cbranch_execnz .LBB95_29
; %bb.30:
	s_or_b32 exec_lo, exec_lo, s3
	v_mov_b32_e32 v8, 0
	ds_load_b128 v[8:11], v8 offset:64
	s_wait_dscnt 0x0
	v_mul_f64_e32 v[80:81], v[2:3], v[10:11]
	v_mul_f64_e32 v[12:13], v[4:5], v[10:11]
	s_delay_alu instid0(VALU_DEP_2) | instskip(NEXT) | instid1(VALU_DEP_2)
	v_fma_f64 v[10:11], v[4:5], v[8:9], -v[80:81]
	v_fmac_f64_e32 v[12:13], v[2:3], v[8:9]
	scratch_store_b128 off, v[10:13], off offset:64
.LBB95_31:
	s_wait_xcnt 0x0
	s_or_b32 exec_lo, exec_lo, s2
	s_wait_storecnt 0x0
	s_barrier_signal -1
	s_barrier_wait -1
	scratch_load_b128 v[2:5], off, s43
	;; [unrolled: 54-line block ×19, first 2 shown]
	s_mov_b32 s2, exec_lo
	s_wait_loadcnt 0x0
	ds_store_b128 v6, v[2:5]
	s_wait_dscnt 0x0
	s_barrier_signal -1
	s_barrier_wait -1
	v_cmpx_gt_u32_e32 22, v1
	s_cbranch_execz .LBB95_103
; %bb.100:
	v_dual_mov_b32 v10, v78 :: v_dual_add_nc_u32 v8, -1, v1
	v_mov_b64_e32 v[2:3], 0
	v_mov_b64_e32 v[4:5], 0
	v_add_nc_u32_e32 v9, 0x200, v78
	s_delay_alu instid0(VALU_DEP_4)
	v_or_b32_e32 v10, 8, v10
	s_mov_b32 s3, 0
.LBB95_101:                             ; =>This Inner Loop Header: Depth=1
	scratch_load_b128 v[80:83], v10, off offset:-8
	ds_load_b128 v[84:87], v9
	v_dual_add_nc_u32 v8, 1, v8 :: v_dual_add_nc_u32 v9, 16, v9
	s_wait_xcnt 0x0
	v_add_nc_u32_e32 v10, 16, v10
	s_delay_alu instid0(VALU_DEP_2) | instskip(SKIP_4) | instid1(VALU_DEP_2)
	v_cmp_lt_u32_e32 vcc_lo, 20, v8
	s_or_b32 s3, vcc_lo, s3
	s_wait_loadcnt_dscnt 0x0
	v_mul_f64_e32 v[12:13], v[86:87], v[82:83]
	v_mul_f64_e32 v[82:83], v[84:85], v[82:83]
	v_fma_f64 v[12:13], v[84:85], v[80:81], -v[12:13]
	s_delay_alu instid0(VALU_DEP_2) | instskip(NEXT) | instid1(VALU_DEP_2)
	v_fmac_f64_e32 v[82:83], v[86:87], v[80:81]
	v_add_f64_e32 v[4:5], v[4:5], v[12:13]
	s_delay_alu instid0(VALU_DEP_2)
	v_add_f64_e32 v[2:3], v[2:3], v[82:83]
	s_and_not1_b32 exec_lo, exec_lo, s3
	s_cbranch_execnz .LBB95_101
; %bb.102:
	s_or_b32 exec_lo, exec_lo, s3
	v_mov_b32_e32 v8, 0
	ds_load_b128 v[8:11], v8 offset:352
	s_wait_dscnt 0x0
	v_mul_f64_e32 v[80:81], v[2:3], v[10:11]
	v_mul_f64_e32 v[12:13], v[4:5], v[10:11]
	s_delay_alu instid0(VALU_DEP_2) | instskip(NEXT) | instid1(VALU_DEP_2)
	v_fma_f64 v[10:11], v[4:5], v[8:9], -v[80:81]
	v_fmac_f64_e32 v[12:13], v[2:3], v[8:9]
	scratch_store_b128 off, v[10:13], off offset:352
.LBB95_103:
	s_wait_xcnt 0x0
	s_or_b32 exec_lo, exec_lo, s2
	s_wait_storecnt 0x0
	s_barrier_signal -1
	s_barrier_wait -1
	scratch_load_b128 v[2:5], off, s24
	s_mov_b32 s2, exec_lo
	s_wait_loadcnt 0x0
	ds_store_b128 v6, v[2:5]
	s_wait_dscnt 0x0
	s_barrier_signal -1
	s_barrier_wait -1
	v_cmpx_gt_u32_e32 23, v1
	s_cbranch_execz .LBB95_107
; %bb.104:
	v_dual_mov_b32 v10, v78 :: v_dual_add_nc_u32 v8, -1, v1
	v_mov_b64_e32 v[2:3], 0
	v_mov_b64_e32 v[4:5], 0
	v_add_nc_u32_e32 v9, 0x200, v78
	s_delay_alu instid0(VALU_DEP_4)
	v_or_b32_e32 v10, 8, v10
	s_mov_b32 s3, 0
.LBB95_105:                             ; =>This Inner Loop Header: Depth=1
	scratch_load_b128 v[80:83], v10, off offset:-8
	ds_load_b128 v[84:87], v9
	v_dual_add_nc_u32 v8, 1, v8 :: v_dual_add_nc_u32 v9, 16, v9
	s_wait_xcnt 0x0
	v_add_nc_u32_e32 v10, 16, v10
	s_delay_alu instid0(VALU_DEP_2) | instskip(SKIP_4) | instid1(VALU_DEP_2)
	v_cmp_lt_u32_e32 vcc_lo, 21, v8
	s_or_b32 s3, vcc_lo, s3
	s_wait_loadcnt_dscnt 0x0
	v_mul_f64_e32 v[12:13], v[86:87], v[82:83]
	v_mul_f64_e32 v[82:83], v[84:85], v[82:83]
	v_fma_f64 v[12:13], v[84:85], v[80:81], -v[12:13]
	s_delay_alu instid0(VALU_DEP_2) | instskip(NEXT) | instid1(VALU_DEP_2)
	v_fmac_f64_e32 v[82:83], v[86:87], v[80:81]
	v_add_f64_e32 v[4:5], v[4:5], v[12:13]
	s_delay_alu instid0(VALU_DEP_2)
	v_add_f64_e32 v[2:3], v[2:3], v[82:83]
	s_and_not1_b32 exec_lo, exec_lo, s3
	s_cbranch_execnz .LBB95_105
; %bb.106:
	s_or_b32 exec_lo, exec_lo, s3
	v_mov_b32_e32 v8, 0
	ds_load_b128 v[8:11], v8 offset:368
	s_wait_dscnt 0x0
	v_mul_f64_e32 v[80:81], v[2:3], v[10:11]
	v_mul_f64_e32 v[12:13], v[4:5], v[10:11]
	s_delay_alu instid0(VALU_DEP_2) | instskip(NEXT) | instid1(VALU_DEP_2)
	v_fma_f64 v[10:11], v[4:5], v[8:9], -v[80:81]
	v_fmac_f64_e32 v[12:13], v[2:3], v[8:9]
	scratch_store_b128 off, v[10:13], off offset:368
.LBB95_107:
	s_wait_xcnt 0x0
	s_or_b32 exec_lo, exec_lo, s2
	s_wait_storecnt 0x0
	s_barrier_signal -1
	s_barrier_wait -1
	scratch_load_b128 v[2:5], off, s23
	s_mov_b32 s2, exec_lo
	s_wait_loadcnt 0x0
	ds_store_b128 v6, v[2:5]
	s_wait_dscnt 0x0
	s_barrier_signal -1
	s_barrier_wait -1
	v_cmpx_gt_u32_e32 24, v1
	s_cbranch_execz .LBB95_111
; %bb.108:
	v_dual_mov_b32 v10, v78 :: v_dual_add_nc_u32 v8, -1, v1
	v_mov_b64_e32 v[2:3], 0
	v_mov_b64_e32 v[4:5], 0
	v_add_nc_u32_e32 v9, 0x200, v78
	s_delay_alu instid0(VALU_DEP_4)
	v_or_b32_e32 v10, 8, v10
	s_mov_b32 s3, 0
.LBB95_109:                             ; =>This Inner Loop Header: Depth=1
	scratch_load_b128 v[80:83], v10, off offset:-8
	ds_load_b128 v[84:87], v9
	v_dual_add_nc_u32 v8, 1, v8 :: v_dual_add_nc_u32 v9, 16, v9
	s_wait_xcnt 0x0
	v_add_nc_u32_e32 v10, 16, v10
	s_delay_alu instid0(VALU_DEP_2) | instskip(SKIP_4) | instid1(VALU_DEP_2)
	v_cmp_lt_u32_e32 vcc_lo, 22, v8
	s_or_b32 s3, vcc_lo, s3
	s_wait_loadcnt_dscnt 0x0
	v_mul_f64_e32 v[12:13], v[86:87], v[82:83]
	v_mul_f64_e32 v[82:83], v[84:85], v[82:83]
	v_fma_f64 v[12:13], v[84:85], v[80:81], -v[12:13]
	s_delay_alu instid0(VALU_DEP_2) | instskip(NEXT) | instid1(VALU_DEP_2)
	v_fmac_f64_e32 v[82:83], v[86:87], v[80:81]
	v_add_f64_e32 v[4:5], v[4:5], v[12:13]
	s_delay_alu instid0(VALU_DEP_2)
	v_add_f64_e32 v[2:3], v[2:3], v[82:83]
	s_and_not1_b32 exec_lo, exec_lo, s3
	s_cbranch_execnz .LBB95_109
; %bb.110:
	s_or_b32 exec_lo, exec_lo, s3
	v_mov_b32_e32 v8, 0
	ds_load_b128 v[8:11], v8 offset:384
	s_wait_dscnt 0x0
	v_mul_f64_e32 v[80:81], v[2:3], v[10:11]
	v_mul_f64_e32 v[12:13], v[4:5], v[10:11]
	s_delay_alu instid0(VALU_DEP_2) | instskip(NEXT) | instid1(VALU_DEP_2)
	v_fma_f64 v[10:11], v[4:5], v[8:9], -v[80:81]
	v_fmac_f64_e32 v[12:13], v[2:3], v[8:9]
	scratch_store_b128 off, v[10:13], off offset:384
.LBB95_111:
	s_wait_xcnt 0x0
	s_or_b32 exec_lo, exec_lo, s2
	s_wait_storecnt 0x0
	s_barrier_signal -1
	s_barrier_wait -1
	scratch_load_b128 v[2:5], off, s22
	s_mov_b32 s2, exec_lo
	s_wait_loadcnt 0x0
	ds_store_b128 v6, v[2:5]
	s_wait_dscnt 0x0
	s_barrier_signal -1
	s_barrier_wait -1
	v_cmpx_gt_u32_e32 25, v1
	s_cbranch_execz .LBB95_115
; %bb.112:
	v_dual_mov_b32 v10, v78 :: v_dual_add_nc_u32 v8, -1, v1
	v_mov_b64_e32 v[2:3], 0
	v_mov_b64_e32 v[4:5], 0
	v_add_nc_u32_e32 v9, 0x200, v78
	s_delay_alu instid0(VALU_DEP_4)
	v_or_b32_e32 v10, 8, v10
	s_mov_b32 s3, 0
.LBB95_113:                             ; =>This Inner Loop Header: Depth=1
	scratch_load_b128 v[80:83], v10, off offset:-8
	ds_load_b128 v[84:87], v9
	v_dual_add_nc_u32 v8, 1, v8 :: v_dual_add_nc_u32 v9, 16, v9
	s_wait_xcnt 0x0
	v_add_nc_u32_e32 v10, 16, v10
	s_delay_alu instid0(VALU_DEP_2) | instskip(SKIP_4) | instid1(VALU_DEP_2)
	v_cmp_lt_u32_e32 vcc_lo, 23, v8
	s_or_b32 s3, vcc_lo, s3
	s_wait_loadcnt_dscnt 0x0
	v_mul_f64_e32 v[12:13], v[86:87], v[82:83]
	v_mul_f64_e32 v[82:83], v[84:85], v[82:83]
	v_fma_f64 v[12:13], v[84:85], v[80:81], -v[12:13]
	s_delay_alu instid0(VALU_DEP_2) | instskip(NEXT) | instid1(VALU_DEP_2)
	v_fmac_f64_e32 v[82:83], v[86:87], v[80:81]
	v_add_f64_e32 v[4:5], v[4:5], v[12:13]
	s_delay_alu instid0(VALU_DEP_2)
	v_add_f64_e32 v[2:3], v[2:3], v[82:83]
	s_and_not1_b32 exec_lo, exec_lo, s3
	s_cbranch_execnz .LBB95_113
; %bb.114:
	s_or_b32 exec_lo, exec_lo, s3
	v_mov_b32_e32 v8, 0
	ds_load_b128 v[8:11], v8 offset:400
	s_wait_dscnt 0x0
	v_mul_f64_e32 v[80:81], v[2:3], v[10:11]
	v_mul_f64_e32 v[12:13], v[4:5], v[10:11]
	s_delay_alu instid0(VALU_DEP_2) | instskip(NEXT) | instid1(VALU_DEP_2)
	v_fma_f64 v[10:11], v[4:5], v[8:9], -v[80:81]
	v_fmac_f64_e32 v[12:13], v[2:3], v[8:9]
	scratch_store_b128 off, v[10:13], off offset:400
.LBB95_115:
	s_wait_xcnt 0x0
	s_or_b32 exec_lo, exec_lo, s2
	s_wait_storecnt 0x0
	s_barrier_signal -1
	s_barrier_wait -1
	scratch_load_b128 v[2:5], off, s21
	s_mov_b32 s2, exec_lo
	s_wait_loadcnt 0x0
	ds_store_b128 v6, v[2:5]
	s_wait_dscnt 0x0
	s_barrier_signal -1
	s_barrier_wait -1
	v_cmpx_gt_u32_e32 26, v1
	s_cbranch_execz .LBB95_119
; %bb.116:
	v_dual_mov_b32 v10, v78 :: v_dual_add_nc_u32 v8, -1, v1
	v_mov_b64_e32 v[2:3], 0
	v_mov_b64_e32 v[4:5], 0
	v_add_nc_u32_e32 v9, 0x200, v78
	s_delay_alu instid0(VALU_DEP_4)
	v_or_b32_e32 v10, 8, v10
	s_mov_b32 s3, 0
.LBB95_117:                             ; =>This Inner Loop Header: Depth=1
	scratch_load_b128 v[80:83], v10, off offset:-8
	ds_load_b128 v[84:87], v9
	v_dual_add_nc_u32 v8, 1, v8 :: v_dual_add_nc_u32 v9, 16, v9
	s_wait_xcnt 0x0
	v_add_nc_u32_e32 v10, 16, v10
	s_delay_alu instid0(VALU_DEP_2) | instskip(SKIP_4) | instid1(VALU_DEP_2)
	v_cmp_lt_u32_e32 vcc_lo, 24, v8
	s_or_b32 s3, vcc_lo, s3
	s_wait_loadcnt_dscnt 0x0
	v_mul_f64_e32 v[12:13], v[86:87], v[82:83]
	v_mul_f64_e32 v[82:83], v[84:85], v[82:83]
	v_fma_f64 v[12:13], v[84:85], v[80:81], -v[12:13]
	s_delay_alu instid0(VALU_DEP_2) | instskip(NEXT) | instid1(VALU_DEP_2)
	v_fmac_f64_e32 v[82:83], v[86:87], v[80:81]
	v_add_f64_e32 v[4:5], v[4:5], v[12:13]
	s_delay_alu instid0(VALU_DEP_2)
	v_add_f64_e32 v[2:3], v[2:3], v[82:83]
	s_and_not1_b32 exec_lo, exec_lo, s3
	s_cbranch_execnz .LBB95_117
; %bb.118:
	s_or_b32 exec_lo, exec_lo, s3
	v_mov_b32_e32 v8, 0
	ds_load_b128 v[8:11], v8 offset:416
	s_wait_dscnt 0x0
	v_mul_f64_e32 v[80:81], v[2:3], v[10:11]
	v_mul_f64_e32 v[12:13], v[4:5], v[10:11]
	s_delay_alu instid0(VALU_DEP_2) | instskip(NEXT) | instid1(VALU_DEP_2)
	v_fma_f64 v[10:11], v[4:5], v[8:9], -v[80:81]
	v_fmac_f64_e32 v[12:13], v[2:3], v[8:9]
	scratch_store_b128 off, v[10:13], off offset:416
.LBB95_119:
	s_wait_xcnt 0x0
	s_or_b32 exec_lo, exec_lo, s2
	s_wait_storecnt 0x0
	s_barrier_signal -1
	s_barrier_wait -1
	scratch_load_b128 v[2:5], off, s20
	s_mov_b32 s2, exec_lo
	s_wait_loadcnt 0x0
	ds_store_b128 v6, v[2:5]
	s_wait_dscnt 0x0
	s_barrier_signal -1
	s_barrier_wait -1
	v_cmpx_gt_u32_e32 27, v1
	s_cbranch_execz .LBB95_123
; %bb.120:
	v_dual_mov_b32 v10, v78 :: v_dual_add_nc_u32 v8, -1, v1
	v_mov_b64_e32 v[2:3], 0
	v_mov_b64_e32 v[4:5], 0
	v_add_nc_u32_e32 v9, 0x200, v78
	s_delay_alu instid0(VALU_DEP_4)
	v_or_b32_e32 v10, 8, v10
	s_mov_b32 s3, 0
.LBB95_121:                             ; =>This Inner Loop Header: Depth=1
	scratch_load_b128 v[80:83], v10, off offset:-8
	ds_load_b128 v[84:87], v9
	v_dual_add_nc_u32 v8, 1, v8 :: v_dual_add_nc_u32 v9, 16, v9
	s_wait_xcnt 0x0
	v_add_nc_u32_e32 v10, 16, v10
	s_delay_alu instid0(VALU_DEP_2) | instskip(SKIP_4) | instid1(VALU_DEP_2)
	v_cmp_lt_u32_e32 vcc_lo, 25, v8
	s_or_b32 s3, vcc_lo, s3
	s_wait_loadcnt_dscnt 0x0
	v_mul_f64_e32 v[12:13], v[86:87], v[82:83]
	v_mul_f64_e32 v[82:83], v[84:85], v[82:83]
	v_fma_f64 v[12:13], v[84:85], v[80:81], -v[12:13]
	s_delay_alu instid0(VALU_DEP_2) | instskip(NEXT) | instid1(VALU_DEP_2)
	v_fmac_f64_e32 v[82:83], v[86:87], v[80:81]
	v_add_f64_e32 v[4:5], v[4:5], v[12:13]
	s_delay_alu instid0(VALU_DEP_2)
	v_add_f64_e32 v[2:3], v[2:3], v[82:83]
	s_and_not1_b32 exec_lo, exec_lo, s3
	s_cbranch_execnz .LBB95_121
; %bb.122:
	s_or_b32 exec_lo, exec_lo, s3
	v_mov_b32_e32 v8, 0
	ds_load_b128 v[8:11], v8 offset:432
	s_wait_dscnt 0x0
	v_mul_f64_e32 v[80:81], v[2:3], v[10:11]
	v_mul_f64_e32 v[12:13], v[4:5], v[10:11]
	s_delay_alu instid0(VALU_DEP_2) | instskip(NEXT) | instid1(VALU_DEP_2)
	v_fma_f64 v[10:11], v[4:5], v[8:9], -v[80:81]
	v_fmac_f64_e32 v[12:13], v[2:3], v[8:9]
	scratch_store_b128 off, v[10:13], off offset:432
.LBB95_123:
	s_wait_xcnt 0x0
	s_or_b32 exec_lo, exec_lo, s2
	s_wait_storecnt 0x0
	s_barrier_signal -1
	s_barrier_wait -1
	scratch_load_b128 v[2:5], off, s19
	s_mov_b32 s2, exec_lo
	s_wait_loadcnt 0x0
	ds_store_b128 v6, v[2:5]
	s_wait_dscnt 0x0
	s_barrier_signal -1
	s_barrier_wait -1
	v_cmpx_gt_u32_e32 28, v1
	s_cbranch_execz .LBB95_127
; %bb.124:
	v_dual_mov_b32 v10, v78 :: v_dual_add_nc_u32 v8, -1, v1
	v_mov_b64_e32 v[2:3], 0
	v_mov_b64_e32 v[4:5], 0
	v_add_nc_u32_e32 v9, 0x200, v78
	s_delay_alu instid0(VALU_DEP_4)
	v_or_b32_e32 v10, 8, v10
	s_mov_b32 s3, 0
.LBB95_125:                             ; =>This Inner Loop Header: Depth=1
	scratch_load_b128 v[80:83], v10, off offset:-8
	ds_load_b128 v[84:87], v9
	v_dual_add_nc_u32 v8, 1, v8 :: v_dual_add_nc_u32 v9, 16, v9
	s_wait_xcnt 0x0
	v_add_nc_u32_e32 v10, 16, v10
	s_delay_alu instid0(VALU_DEP_2) | instskip(SKIP_4) | instid1(VALU_DEP_2)
	v_cmp_lt_u32_e32 vcc_lo, 26, v8
	s_or_b32 s3, vcc_lo, s3
	s_wait_loadcnt_dscnt 0x0
	v_mul_f64_e32 v[12:13], v[86:87], v[82:83]
	v_mul_f64_e32 v[82:83], v[84:85], v[82:83]
	v_fma_f64 v[12:13], v[84:85], v[80:81], -v[12:13]
	s_delay_alu instid0(VALU_DEP_2) | instskip(NEXT) | instid1(VALU_DEP_2)
	v_fmac_f64_e32 v[82:83], v[86:87], v[80:81]
	v_add_f64_e32 v[4:5], v[4:5], v[12:13]
	s_delay_alu instid0(VALU_DEP_2)
	v_add_f64_e32 v[2:3], v[2:3], v[82:83]
	s_and_not1_b32 exec_lo, exec_lo, s3
	s_cbranch_execnz .LBB95_125
; %bb.126:
	s_or_b32 exec_lo, exec_lo, s3
	v_mov_b32_e32 v8, 0
	ds_load_b128 v[8:11], v8 offset:448
	s_wait_dscnt 0x0
	v_mul_f64_e32 v[80:81], v[2:3], v[10:11]
	v_mul_f64_e32 v[12:13], v[4:5], v[10:11]
	s_delay_alu instid0(VALU_DEP_2) | instskip(NEXT) | instid1(VALU_DEP_2)
	v_fma_f64 v[10:11], v[4:5], v[8:9], -v[80:81]
	v_fmac_f64_e32 v[12:13], v[2:3], v[8:9]
	scratch_store_b128 off, v[10:13], off offset:448
.LBB95_127:
	s_wait_xcnt 0x0
	s_or_b32 exec_lo, exec_lo, s2
	s_wait_storecnt 0x0
	s_barrier_signal -1
	s_barrier_wait -1
	scratch_load_b128 v[2:5], off, s17
	s_mov_b32 s2, exec_lo
	s_wait_loadcnt 0x0
	ds_store_b128 v6, v[2:5]
	s_wait_dscnt 0x0
	s_barrier_signal -1
	s_barrier_wait -1
	v_cmpx_gt_u32_e32 29, v1
	s_cbranch_execz .LBB95_131
; %bb.128:
	v_dual_mov_b32 v10, v78 :: v_dual_add_nc_u32 v8, -1, v1
	v_mov_b64_e32 v[2:3], 0
	v_mov_b64_e32 v[4:5], 0
	v_add_nc_u32_e32 v9, 0x200, v78
	s_delay_alu instid0(VALU_DEP_4)
	v_or_b32_e32 v10, 8, v10
	s_mov_b32 s3, 0
.LBB95_129:                             ; =>This Inner Loop Header: Depth=1
	scratch_load_b128 v[80:83], v10, off offset:-8
	ds_load_b128 v[84:87], v9
	v_dual_add_nc_u32 v8, 1, v8 :: v_dual_add_nc_u32 v9, 16, v9
	s_wait_xcnt 0x0
	v_add_nc_u32_e32 v10, 16, v10
	s_delay_alu instid0(VALU_DEP_2) | instskip(SKIP_4) | instid1(VALU_DEP_2)
	v_cmp_lt_u32_e32 vcc_lo, 27, v8
	s_or_b32 s3, vcc_lo, s3
	s_wait_loadcnt_dscnt 0x0
	v_mul_f64_e32 v[12:13], v[86:87], v[82:83]
	v_mul_f64_e32 v[82:83], v[84:85], v[82:83]
	v_fma_f64 v[12:13], v[84:85], v[80:81], -v[12:13]
	s_delay_alu instid0(VALU_DEP_2) | instskip(NEXT) | instid1(VALU_DEP_2)
	v_fmac_f64_e32 v[82:83], v[86:87], v[80:81]
	v_add_f64_e32 v[4:5], v[4:5], v[12:13]
	s_delay_alu instid0(VALU_DEP_2)
	v_add_f64_e32 v[2:3], v[2:3], v[82:83]
	s_and_not1_b32 exec_lo, exec_lo, s3
	s_cbranch_execnz .LBB95_129
; %bb.130:
	s_or_b32 exec_lo, exec_lo, s3
	v_mov_b32_e32 v8, 0
	ds_load_b128 v[8:11], v8 offset:464
	s_wait_dscnt 0x0
	v_mul_f64_e32 v[80:81], v[2:3], v[10:11]
	v_mul_f64_e32 v[12:13], v[4:5], v[10:11]
	s_delay_alu instid0(VALU_DEP_2) | instskip(NEXT) | instid1(VALU_DEP_2)
	v_fma_f64 v[10:11], v[4:5], v[8:9], -v[80:81]
	v_fmac_f64_e32 v[12:13], v[2:3], v[8:9]
	scratch_store_b128 off, v[10:13], off offset:464
.LBB95_131:
	s_wait_xcnt 0x0
	s_or_b32 exec_lo, exec_lo, s2
	s_wait_storecnt 0x0
	s_barrier_signal -1
	s_barrier_wait -1
	scratch_load_b128 v[2:5], off, s15
	s_mov_b32 s2, exec_lo
	s_wait_loadcnt 0x0
	ds_store_b128 v6, v[2:5]
	s_wait_dscnt 0x0
	s_barrier_signal -1
	s_barrier_wait -1
	v_cmpx_gt_u32_e32 30, v1
	s_cbranch_execz .LBB95_135
; %bb.132:
	v_dual_mov_b32 v10, v78 :: v_dual_add_nc_u32 v8, -1, v1
	v_mov_b64_e32 v[2:3], 0
	v_mov_b64_e32 v[4:5], 0
	v_add_nc_u32_e32 v9, 0x200, v78
	s_delay_alu instid0(VALU_DEP_4)
	v_or_b32_e32 v10, 8, v10
	s_mov_b32 s3, 0
.LBB95_133:                             ; =>This Inner Loop Header: Depth=1
	scratch_load_b128 v[80:83], v10, off offset:-8
	ds_load_b128 v[84:87], v9
	v_dual_add_nc_u32 v8, 1, v8 :: v_dual_add_nc_u32 v9, 16, v9
	s_wait_xcnt 0x0
	v_add_nc_u32_e32 v10, 16, v10
	s_delay_alu instid0(VALU_DEP_2) | instskip(SKIP_4) | instid1(VALU_DEP_2)
	v_cmp_lt_u32_e32 vcc_lo, 28, v8
	s_or_b32 s3, vcc_lo, s3
	s_wait_loadcnt_dscnt 0x0
	v_mul_f64_e32 v[12:13], v[86:87], v[82:83]
	v_mul_f64_e32 v[82:83], v[84:85], v[82:83]
	v_fma_f64 v[12:13], v[84:85], v[80:81], -v[12:13]
	s_delay_alu instid0(VALU_DEP_2) | instskip(NEXT) | instid1(VALU_DEP_2)
	v_fmac_f64_e32 v[82:83], v[86:87], v[80:81]
	v_add_f64_e32 v[4:5], v[4:5], v[12:13]
	s_delay_alu instid0(VALU_DEP_2)
	v_add_f64_e32 v[2:3], v[2:3], v[82:83]
	s_and_not1_b32 exec_lo, exec_lo, s3
	s_cbranch_execnz .LBB95_133
; %bb.134:
	s_or_b32 exec_lo, exec_lo, s3
	v_mov_b32_e32 v8, 0
	ds_load_b128 v[8:11], v8 offset:480
	s_wait_dscnt 0x0
	v_mul_f64_e32 v[80:81], v[2:3], v[10:11]
	v_mul_f64_e32 v[12:13], v[4:5], v[10:11]
	s_delay_alu instid0(VALU_DEP_2) | instskip(NEXT) | instid1(VALU_DEP_2)
	v_fma_f64 v[10:11], v[4:5], v[8:9], -v[80:81]
	v_fmac_f64_e32 v[12:13], v[2:3], v[8:9]
	scratch_store_b128 off, v[10:13], off offset:480
.LBB95_135:
	s_wait_xcnt 0x0
	s_or_b32 exec_lo, exec_lo, s2
	s_wait_storecnt 0x0
	s_barrier_signal -1
	s_barrier_wait -1
	scratch_load_b128 v[2:5], off, s13
	s_mov_b32 s2, exec_lo
	s_wait_loadcnt 0x0
	ds_store_b128 v6, v[2:5]
	s_wait_dscnt 0x0
	s_barrier_signal -1
	s_barrier_wait -1
	v_cmpx_ne_u32_e32 31, v1
	s_cbranch_execz .LBB95_139
; %bb.136:
	v_mov_b32_e32 v8, v78
	v_mov_b64_e32 v[2:3], 0
	v_mov_b64_e32 v[4:5], 0
	s_mov_b32 s3, 0
	s_delay_alu instid0(VALU_DEP_3)
	v_or_b32_e32 v8, 8, v8
.LBB95_137:                             ; =>This Inner Loop Header: Depth=1
	scratch_load_b128 v[10:13], v8, off offset:-8
	ds_load_b128 v[78:81], v6
	v_dual_add_nc_u32 v7, 1, v7 :: v_dual_add_nc_u32 v6, 16, v6
	s_wait_xcnt 0x0
	v_add_nc_u32_e32 v8, 16, v8
	s_delay_alu instid0(VALU_DEP_2) | instskip(SKIP_4) | instid1(VALU_DEP_2)
	v_cmp_lt_u32_e32 vcc_lo, 29, v7
	s_or_b32 s3, vcc_lo, s3
	s_wait_loadcnt_dscnt 0x0
	v_mul_f64_e32 v[82:83], v[80:81], v[12:13]
	v_mul_f64_e32 v[12:13], v[78:79], v[12:13]
	v_fma_f64 v[78:79], v[78:79], v[10:11], -v[82:83]
	s_delay_alu instid0(VALU_DEP_2) | instskip(NEXT) | instid1(VALU_DEP_2)
	v_fmac_f64_e32 v[12:13], v[80:81], v[10:11]
	v_add_f64_e32 v[4:5], v[4:5], v[78:79]
	s_delay_alu instid0(VALU_DEP_2)
	v_add_f64_e32 v[2:3], v[2:3], v[12:13]
	s_and_not1_b32 exec_lo, exec_lo, s3
	s_cbranch_execnz .LBB95_137
; %bb.138:
	s_or_b32 exec_lo, exec_lo, s3
	v_mov_b32_e32 v6, 0
	ds_load_b128 v[6:9], v6 offset:496
	s_wait_dscnt 0x0
	v_mul_f64_e32 v[12:13], v[2:3], v[8:9]
	v_mul_f64_e32 v[10:11], v[4:5], v[8:9]
	s_delay_alu instid0(VALU_DEP_2) | instskip(NEXT) | instid1(VALU_DEP_2)
	v_fma_f64 v[8:9], v[4:5], v[6:7], -v[12:13]
	v_fmac_f64_e32 v[10:11], v[2:3], v[6:7]
	scratch_store_b128 off, v[8:11], off offset:496
.LBB95_139:
	s_wait_xcnt 0x0
	s_or_b32 exec_lo, exec_lo, s2
	s_mov_b32 s3, -1
	s_wait_storecnt 0x0
	s_barrier_signal -1
	s_barrier_wait -1
.LBB95_140:
	s_and_b32 vcc_lo, exec_lo, s3
	s_cbranch_vccz .LBB95_142
; %bb.141:
	s_wait_xcnt 0x0
	v_mov_b32_e32 v2, 0
	s_lshl_b64 s[2:3], s[10:11], 2
	s_delay_alu instid0(SALU_CYCLE_1)
	s_add_nc_u64 s[2:3], s[6:7], s[2:3]
	global_load_b32 v2, v2, s[2:3]
	s_wait_loadcnt 0x0
	v_cmp_ne_u32_e32 vcc_lo, 0, v2
	s_cbranch_vccz .LBB95_143
.LBB95_142:
	s_sendmsg sendmsg(MSG_DEALLOC_VGPRS)
	s_endpgm
.LBB95_143:
	v_lshl_add_u32 v6, v1, 4, 0x200
	s_wait_xcnt 0x0
	s_mov_b32 s2, exec_lo
	v_cmpx_eq_u32_e32 31, v1
	s_cbranch_execz .LBB95_145
; %bb.144:
	scratch_load_b128 v[2:5], off, s15
	v_mov_b32_e32 v8, 0
	s_delay_alu instid0(VALU_DEP_1)
	v_dual_mov_b32 v9, v8 :: v_dual_mov_b32 v10, v8
	v_mov_b32_e32 v11, v8
	scratch_store_b128 off, v[8:11], off offset:480
	s_wait_loadcnt 0x0
	ds_store_b128 v6, v[2:5]
.LBB95_145:
	s_wait_xcnt 0x0
	s_or_b32 exec_lo, exec_lo, s2
	s_wait_storecnt_dscnt 0x0
	s_barrier_signal -1
	s_barrier_wait -1
	s_clause 0x1
	scratch_load_b128 v[8:11], off, off offset:496
	scratch_load_b128 v[78:81], off, off offset:480
	v_mov_b32_e32 v2, 0
	s_mov_b32 s2, exec_lo
	ds_load_b128 v[82:85], v2 offset:1008
	s_wait_loadcnt_dscnt 0x100
	v_mul_f64_e32 v[4:5], v[84:85], v[10:11]
	v_mul_f64_e32 v[10:11], v[82:83], v[10:11]
	s_delay_alu instid0(VALU_DEP_2) | instskip(NEXT) | instid1(VALU_DEP_2)
	v_fma_f64 v[4:5], v[82:83], v[8:9], -v[4:5]
	v_fmac_f64_e32 v[10:11], v[84:85], v[8:9]
	s_delay_alu instid0(VALU_DEP_2) | instskip(NEXT) | instid1(VALU_DEP_2)
	v_add_f64_e32 v[4:5], 0, v[4:5]
	v_add_f64_e32 v[10:11], 0, v[10:11]
	s_wait_loadcnt 0x0
	s_delay_alu instid0(VALU_DEP_2) | instskip(NEXT) | instid1(VALU_DEP_2)
	v_add_f64_e64 v[8:9], v[78:79], -v[4:5]
	v_add_f64_e64 v[10:11], v[80:81], -v[10:11]
	scratch_store_b128 off, v[8:11], off offset:480
	s_wait_xcnt 0x0
	v_cmpx_lt_u32_e32 29, v1
	s_cbranch_execz .LBB95_147
; %bb.146:
	scratch_load_b128 v[8:11], off, s17
	v_dual_mov_b32 v3, v2 :: v_dual_mov_b32 v4, v2
	v_mov_b32_e32 v5, v2
	scratch_store_b128 off, v[2:5], off offset:464
	s_wait_loadcnt 0x0
	ds_store_b128 v6, v[8:11]
.LBB95_147:
	s_wait_xcnt 0x0
	s_or_b32 exec_lo, exec_lo, s2
	s_wait_storecnt_dscnt 0x0
	s_barrier_signal -1
	s_barrier_wait -1
	s_clause 0x2
	scratch_load_b128 v[8:11], off, off offset:480
	scratch_load_b128 v[78:81], off, off offset:496
	;; [unrolled: 1-line block ×3, first 2 shown]
	ds_load_b128 v[86:89], v2 offset:992
	ds_load_b128 v[2:5], v2 offset:1008
	s_mov_b32 s2, exec_lo
	s_wait_loadcnt_dscnt 0x201
	v_mul_f64_e32 v[12:13], v[88:89], v[10:11]
	v_mul_f64_e32 v[10:11], v[86:87], v[10:11]
	s_wait_loadcnt_dscnt 0x100
	v_mul_f64_e32 v[90:91], v[2:3], v[80:81]
	v_mul_f64_e32 v[80:81], v[4:5], v[80:81]
	s_delay_alu instid0(VALU_DEP_4) | instskip(NEXT) | instid1(VALU_DEP_4)
	v_fma_f64 v[12:13], v[86:87], v[8:9], -v[12:13]
	v_fmac_f64_e32 v[10:11], v[88:89], v[8:9]
	s_delay_alu instid0(VALU_DEP_4) | instskip(NEXT) | instid1(VALU_DEP_4)
	v_fmac_f64_e32 v[90:91], v[4:5], v[78:79]
	v_fma_f64 v[2:3], v[2:3], v[78:79], -v[80:81]
	s_delay_alu instid0(VALU_DEP_4) | instskip(NEXT) | instid1(VALU_DEP_4)
	v_add_f64_e32 v[4:5], 0, v[12:13]
	v_add_f64_e32 v[8:9], 0, v[10:11]
	s_delay_alu instid0(VALU_DEP_2) | instskip(NEXT) | instid1(VALU_DEP_2)
	v_add_f64_e32 v[2:3], v[4:5], v[2:3]
	v_add_f64_e32 v[4:5], v[8:9], v[90:91]
	s_wait_loadcnt 0x0
	s_delay_alu instid0(VALU_DEP_2) | instskip(NEXT) | instid1(VALU_DEP_2)
	v_add_f64_e64 v[2:3], v[82:83], -v[2:3]
	v_add_f64_e64 v[4:5], v[84:85], -v[4:5]
	scratch_store_b128 off, v[2:5], off offset:464
	s_wait_xcnt 0x0
	v_cmpx_lt_u32_e32 28, v1
	s_cbranch_execz .LBB95_149
; %bb.148:
	scratch_load_b128 v[2:5], off, s19
	v_mov_b32_e32 v8, 0
	s_delay_alu instid0(VALU_DEP_1)
	v_dual_mov_b32 v9, v8 :: v_dual_mov_b32 v10, v8
	v_mov_b32_e32 v11, v8
	scratch_store_b128 off, v[8:11], off offset:448
	s_wait_loadcnt 0x0
	ds_store_b128 v6, v[2:5]
.LBB95_149:
	s_wait_xcnt 0x0
	s_or_b32 exec_lo, exec_lo, s2
	s_wait_storecnt_dscnt 0x0
	s_barrier_signal -1
	s_barrier_wait -1
	s_clause 0x3
	scratch_load_b128 v[8:11], off, off offset:464
	scratch_load_b128 v[78:81], off, off offset:480
	;; [unrolled: 1-line block ×4, first 2 shown]
	v_mov_b32_e32 v2, 0
	ds_load_b128 v[90:93], v2 offset:976
	ds_load_b128 v[94:97], v2 offset:992
	s_mov_b32 s2, exec_lo
	s_wait_loadcnt_dscnt 0x301
	v_mul_f64_e32 v[4:5], v[92:93], v[10:11]
	v_mul_f64_e32 v[12:13], v[90:91], v[10:11]
	s_wait_loadcnt_dscnt 0x200
	v_mul_f64_e32 v[98:99], v[94:95], v[80:81]
	v_mul_f64_e32 v[80:81], v[96:97], v[80:81]
	s_delay_alu instid0(VALU_DEP_4) | instskip(NEXT) | instid1(VALU_DEP_4)
	v_fma_f64 v[4:5], v[90:91], v[8:9], -v[4:5]
	v_fmac_f64_e32 v[12:13], v[92:93], v[8:9]
	ds_load_b128 v[8:11], v2 offset:1008
	v_fmac_f64_e32 v[98:99], v[96:97], v[78:79]
	v_fma_f64 v[78:79], v[94:95], v[78:79], -v[80:81]
	s_wait_loadcnt_dscnt 0x100
	v_mul_f64_e32 v[90:91], v[8:9], v[84:85]
	v_mul_f64_e32 v[84:85], v[10:11], v[84:85]
	v_add_f64_e32 v[4:5], 0, v[4:5]
	v_add_f64_e32 v[12:13], 0, v[12:13]
	s_delay_alu instid0(VALU_DEP_4) | instskip(NEXT) | instid1(VALU_DEP_4)
	v_fmac_f64_e32 v[90:91], v[10:11], v[82:83]
	v_fma_f64 v[8:9], v[8:9], v[82:83], -v[84:85]
	s_delay_alu instid0(VALU_DEP_4) | instskip(NEXT) | instid1(VALU_DEP_4)
	v_add_f64_e32 v[4:5], v[4:5], v[78:79]
	v_add_f64_e32 v[10:11], v[12:13], v[98:99]
	s_delay_alu instid0(VALU_DEP_2) | instskip(NEXT) | instid1(VALU_DEP_2)
	v_add_f64_e32 v[4:5], v[4:5], v[8:9]
	v_add_f64_e32 v[10:11], v[10:11], v[90:91]
	s_wait_loadcnt 0x0
	s_delay_alu instid0(VALU_DEP_2) | instskip(NEXT) | instid1(VALU_DEP_2)
	v_add_f64_e64 v[8:9], v[86:87], -v[4:5]
	v_add_f64_e64 v[10:11], v[88:89], -v[10:11]
	scratch_store_b128 off, v[8:11], off offset:448
	s_wait_xcnt 0x0
	v_cmpx_lt_u32_e32 27, v1
	s_cbranch_execz .LBB95_151
; %bb.150:
	scratch_load_b128 v[8:11], off, s20
	v_dual_mov_b32 v3, v2 :: v_dual_mov_b32 v4, v2
	v_mov_b32_e32 v5, v2
	scratch_store_b128 off, v[2:5], off offset:432
	s_wait_loadcnt 0x0
	ds_store_b128 v6, v[8:11]
.LBB95_151:
	s_wait_xcnt 0x0
	s_or_b32 exec_lo, exec_lo, s2
	s_wait_storecnt_dscnt 0x0
	s_barrier_signal -1
	s_barrier_wait -1
	s_clause 0x4
	scratch_load_b128 v[8:11], off, off offset:448
	scratch_load_b128 v[78:81], off, off offset:464
	scratch_load_b128 v[82:85], off, off offset:480
	scratch_load_b128 v[86:89], off, off offset:496
	scratch_load_b128 v[90:93], off, off offset:432
	ds_load_b128 v[94:97], v2 offset:960
	ds_load_b128 v[98:101], v2 offset:976
	s_mov_b32 s2, exec_lo
	s_wait_loadcnt_dscnt 0x401
	v_mul_f64_e32 v[4:5], v[96:97], v[10:11]
	v_mul_f64_e32 v[12:13], v[94:95], v[10:11]
	s_wait_loadcnt_dscnt 0x300
	v_mul_f64_e32 v[102:103], v[98:99], v[80:81]
	v_mul_f64_e32 v[80:81], v[100:101], v[80:81]
	s_delay_alu instid0(VALU_DEP_4) | instskip(NEXT) | instid1(VALU_DEP_4)
	v_fma_f64 v[94:95], v[94:95], v[8:9], -v[4:5]
	v_fmac_f64_e32 v[12:13], v[96:97], v[8:9]
	ds_load_b128 v[8:11], v2 offset:992
	ds_load_b128 v[2:5], v2 offset:1008
	v_fmac_f64_e32 v[102:103], v[100:101], v[78:79]
	v_fma_f64 v[78:79], v[98:99], v[78:79], -v[80:81]
	s_wait_loadcnt_dscnt 0x201
	v_mul_f64_e32 v[96:97], v[8:9], v[84:85]
	v_mul_f64_e32 v[84:85], v[10:11], v[84:85]
	v_add_f64_e32 v[80:81], 0, v[94:95]
	v_add_f64_e32 v[12:13], 0, v[12:13]
	s_wait_loadcnt_dscnt 0x100
	v_mul_f64_e32 v[94:95], v[2:3], v[88:89]
	v_mul_f64_e32 v[88:89], v[4:5], v[88:89]
	v_fmac_f64_e32 v[96:97], v[10:11], v[82:83]
	v_fma_f64 v[8:9], v[8:9], v[82:83], -v[84:85]
	v_add_f64_e32 v[10:11], v[80:81], v[78:79]
	v_add_f64_e32 v[12:13], v[12:13], v[102:103]
	v_fmac_f64_e32 v[94:95], v[4:5], v[86:87]
	v_fma_f64 v[2:3], v[2:3], v[86:87], -v[88:89]
	s_delay_alu instid0(VALU_DEP_4) | instskip(NEXT) | instid1(VALU_DEP_4)
	v_add_f64_e32 v[4:5], v[10:11], v[8:9]
	v_add_f64_e32 v[8:9], v[12:13], v[96:97]
	s_delay_alu instid0(VALU_DEP_2) | instskip(NEXT) | instid1(VALU_DEP_2)
	v_add_f64_e32 v[2:3], v[4:5], v[2:3]
	v_add_f64_e32 v[4:5], v[8:9], v[94:95]
	s_wait_loadcnt 0x0
	s_delay_alu instid0(VALU_DEP_2) | instskip(NEXT) | instid1(VALU_DEP_2)
	v_add_f64_e64 v[2:3], v[90:91], -v[2:3]
	v_add_f64_e64 v[4:5], v[92:93], -v[4:5]
	scratch_store_b128 off, v[2:5], off offset:432
	s_wait_xcnt 0x0
	v_cmpx_lt_u32_e32 26, v1
	s_cbranch_execz .LBB95_153
; %bb.152:
	scratch_load_b128 v[2:5], off, s21
	v_mov_b32_e32 v8, 0
	s_delay_alu instid0(VALU_DEP_1)
	v_dual_mov_b32 v9, v8 :: v_dual_mov_b32 v10, v8
	v_mov_b32_e32 v11, v8
	scratch_store_b128 off, v[8:11], off offset:416
	s_wait_loadcnt 0x0
	ds_store_b128 v6, v[2:5]
.LBB95_153:
	s_wait_xcnt 0x0
	s_or_b32 exec_lo, exec_lo, s2
	s_wait_storecnt_dscnt 0x0
	s_barrier_signal -1
	s_barrier_wait -1
	s_clause 0x5
	scratch_load_b128 v[8:11], off, off offset:432
	scratch_load_b128 v[78:81], off, off offset:448
	;; [unrolled: 1-line block ×6, first 2 shown]
	v_mov_b32_e32 v2, 0
	ds_load_b128 v[98:101], v2 offset:944
	ds_load_b128 v[102:105], v2 offset:960
	s_mov_b32 s2, exec_lo
	s_wait_loadcnt_dscnt 0x501
	v_mul_f64_e32 v[4:5], v[100:101], v[10:11]
	v_mul_f64_e32 v[12:13], v[98:99], v[10:11]
	s_wait_loadcnt_dscnt 0x400
	v_mul_f64_e32 v[106:107], v[102:103], v[80:81]
	v_mul_f64_e32 v[80:81], v[104:105], v[80:81]
	s_delay_alu instid0(VALU_DEP_4) | instskip(NEXT) | instid1(VALU_DEP_4)
	v_fma_f64 v[4:5], v[98:99], v[8:9], -v[4:5]
	v_fmac_f64_e32 v[12:13], v[100:101], v[8:9]
	ds_load_b128 v[8:11], v2 offset:976
	ds_load_b128 v[98:101], v2 offset:992
	v_fmac_f64_e32 v[106:107], v[104:105], v[78:79]
	v_fma_f64 v[78:79], v[102:103], v[78:79], -v[80:81]
	s_wait_loadcnt_dscnt 0x301
	v_mul_f64_e32 v[108:109], v[8:9], v[84:85]
	v_mul_f64_e32 v[84:85], v[10:11], v[84:85]
	s_wait_loadcnt_dscnt 0x200
	v_mul_f64_e32 v[80:81], v[98:99], v[88:89]
	v_mul_f64_e32 v[88:89], v[100:101], v[88:89]
	v_add_f64_e32 v[4:5], 0, v[4:5]
	v_add_f64_e32 v[12:13], 0, v[12:13]
	v_fmac_f64_e32 v[108:109], v[10:11], v[82:83]
	v_fma_f64 v[82:83], v[8:9], v[82:83], -v[84:85]
	ds_load_b128 v[8:11], v2 offset:1008
	v_fmac_f64_e32 v[80:81], v[100:101], v[86:87]
	v_fma_f64 v[86:87], v[98:99], v[86:87], -v[88:89]
	v_add_f64_e32 v[4:5], v[4:5], v[78:79]
	v_add_f64_e32 v[12:13], v[12:13], v[106:107]
	s_wait_loadcnt_dscnt 0x100
	v_mul_f64_e32 v[78:79], v[8:9], v[92:93]
	v_mul_f64_e32 v[84:85], v[10:11], v[92:93]
	s_delay_alu instid0(VALU_DEP_4) | instskip(NEXT) | instid1(VALU_DEP_4)
	v_add_f64_e32 v[4:5], v[4:5], v[82:83]
	v_add_f64_e32 v[12:13], v[12:13], v[108:109]
	s_delay_alu instid0(VALU_DEP_4) | instskip(NEXT) | instid1(VALU_DEP_4)
	v_fmac_f64_e32 v[78:79], v[10:11], v[90:91]
	v_fma_f64 v[8:9], v[8:9], v[90:91], -v[84:85]
	s_delay_alu instid0(VALU_DEP_4) | instskip(NEXT) | instid1(VALU_DEP_4)
	v_add_f64_e32 v[4:5], v[4:5], v[86:87]
	v_add_f64_e32 v[10:11], v[12:13], v[80:81]
	s_delay_alu instid0(VALU_DEP_2) | instskip(NEXT) | instid1(VALU_DEP_2)
	v_add_f64_e32 v[4:5], v[4:5], v[8:9]
	v_add_f64_e32 v[10:11], v[10:11], v[78:79]
	s_wait_loadcnt 0x0
	s_delay_alu instid0(VALU_DEP_2) | instskip(NEXT) | instid1(VALU_DEP_2)
	v_add_f64_e64 v[8:9], v[94:95], -v[4:5]
	v_add_f64_e64 v[10:11], v[96:97], -v[10:11]
	scratch_store_b128 off, v[8:11], off offset:416
	s_wait_xcnt 0x0
	v_cmpx_lt_u32_e32 25, v1
	s_cbranch_execz .LBB95_155
; %bb.154:
	scratch_load_b128 v[8:11], off, s22
	v_dual_mov_b32 v3, v2 :: v_dual_mov_b32 v4, v2
	v_mov_b32_e32 v5, v2
	scratch_store_b128 off, v[2:5], off offset:400
	s_wait_loadcnt 0x0
	ds_store_b128 v6, v[8:11]
.LBB95_155:
	s_wait_xcnt 0x0
	s_or_b32 exec_lo, exec_lo, s2
	s_wait_storecnt_dscnt 0x0
	s_barrier_signal -1
	s_barrier_wait -1
	s_clause 0x6
	scratch_load_b128 v[8:11], off, off offset:416
	scratch_load_b128 v[78:81], off, off offset:432
	;; [unrolled: 1-line block ×7, first 2 shown]
	ds_load_b128 v[102:105], v2 offset:928
	ds_load_b128 v[106:109], v2 offset:944
	s_mov_b32 s2, exec_lo
	s_wait_loadcnt_dscnt 0x601
	v_mul_f64_e32 v[4:5], v[104:105], v[10:11]
	v_mul_f64_e32 v[12:13], v[102:103], v[10:11]
	s_wait_loadcnt_dscnt 0x500
	v_mul_f64_e32 v[110:111], v[106:107], v[80:81]
	v_mul_f64_e32 v[80:81], v[108:109], v[80:81]
	s_delay_alu instid0(VALU_DEP_4) | instskip(NEXT) | instid1(VALU_DEP_4)
	v_fma_f64 v[4:5], v[102:103], v[8:9], -v[4:5]
	v_fmac_f64_e32 v[12:13], v[104:105], v[8:9]
	ds_load_b128 v[8:11], v2 offset:960
	ds_load_b128 v[102:105], v2 offset:976
	v_fmac_f64_e32 v[110:111], v[108:109], v[78:79]
	v_fma_f64 v[78:79], v[106:107], v[78:79], -v[80:81]
	s_wait_loadcnt_dscnt 0x401
	v_mul_f64_e32 v[112:113], v[8:9], v[84:85]
	v_mul_f64_e32 v[84:85], v[10:11], v[84:85]
	s_wait_loadcnt_dscnt 0x300
	v_mul_f64_e32 v[80:81], v[102:103], v[88:89]
	v_mul_f64_e32 v[88:89], v[104:105], v[88:89]
	v_add_f64_e32 v[4:5], 0, v[4:5]
	v_add_f64_e32 v[12:13], 0, v[12:13]
	v_fmac_f64_e32 v[112:113], v[10:11], v[82:83]
	v_fma_f64 v[82:83], v[8:9], v[82:83], -v[84:85]
	v_fmac_f64_e32 v[80:81], v[104:105], v[86:87]
	v_fma_f64 v[86:87], v[102:103], v[86:87], -v[88:89]
	v_add_f64_e32 v[78:79], v[4:5], v[78:79]
	v_add_f64_e32 v[12:13], v[12:13], v[110:111]
	ds_load_b128 v[8:11], v2 offset:992
	ds_load_b128 v[2:5], v2 offset:1008
	s_wait_loadcnt_dscnt 0x201
	v_mul_f64_e32 v[84:85], v[8:9], v[92:93]
	v_mul_f64_e32 v[92:93], v[10:11], v[92:93]
	s_wait_loadcnt_dscnt 0x100
	v_mul_f64_e32 v[88:89], v[4:5], v[96:97]
	v_add_f64_e32 v[78:79], v[78:79], v[82:83]
	v_add_f64_e32 v[12:13], v[12:13], v[112:113]
	v_mul_f64_e32 v[82:83], v[2:3], v[96:97]
	v_fmac_f64_e32 v[84:85], v[10:11], v[90:91]
	v_fma_f64 v[8:9], v[8:9], v[90:91], -v[92:93]
	v_fma_f64 v[2:3], v[2:3], v[94:95], -v[88:89]
	v_add_f64_e32 v[10:11], v[78:79], v[86:87]
	v_add_f64_e32 v[12:13], v[12:13], v[80:81]
	v_fmac_f64_e32 v[82:83], v[4:5], v[94:95]
	s_delay_alu instid0(VALU_DEP_3) | instskip(NEXT) | instid1(VALU_DEP_3)
	v_add_f64_e32 v[4:5], v[10:11], v[8:9]
	v_add_f64_e32 v[8:9], v[12:13], v[84:85]
	s_delay_alu instid0(VALU_DEP_2) | instskip(NEXT) | instid1(VALU_DEP_2)
	v_add_f64_e32 v[2:3], v[4:5], v[2:3]
	v_add_f64_e32 v[4:5], v[8:9], v[82:83]
	s_wait_loadcnt 0x0
	s_delay_alu instid0(VALU_DEP_2) | instskip(NEXT) | instid1(VALU_DEP_2)
	v_add_f64_e64 v[2:3], v[98:99], -v[2:3]
	v_add_f64_e64 v[4:5], v[100:101], -v[4:5]
	scratch_store_b128 off, v[2:5], off offset:400
	s_wait_xcnt 0x0
	v_cmpx_lt_u32_e32 24, v1
	s_cbranch_execz .LBB95_157
; %bb.156:
	scratch_load_b128 v[2:5], off, s23
	v_mov_b32_e32 v8, 0
	s_delay_alu instid0(VALU_DEP_1)
	v_dual_mov_b32 v9, v8 :: v_dual_mov_b32 v10, v8
	v_mov_b32_e32 v11, v8
	scratch_store_b128 off, v[8:11], off offset:384
	s_wait_loadcnt 0x0
	ds_store_b128 v6, v[2:5]
.LBB95_157:
	s_wait_xcnt 0x0
	s_or_b32 exec_lo, exec_lo, s2
	s_wait_storecnt_dscnt 0x0
	s_barrier_signal -1
	s_barrier_wait -1
	s_clause 0x7
	scratch_load_b128 v[8:11], off, off offset:400
	scratch_load_b128 v[78:81], off, off offset:416
	;; [unrolled: 1-line block ×8, first 2 shown]
	v_mov_b32_e32 v2, 0
	ds_load_b128 v[106:109], v2 offset:912
	ds_load_b128 v[110:113], v2 offset:928
	s_mov_b32 s2, exec_lo
	s_wait_loadcnt_dscnt 0x701
	v_mul_f64_e32 v[4:5], v[108:109], v[10:11]
	v_mul_f64_e32 v[12:13], v[106:107], v[10:11]
	s_wait_loadcnt_dscnt 0x600
	v_mul_f64_e32 v[114:115], v[110:111], v[80:81]
	v_mul_f64_e32 v[80:81], v[112:113], v[80:81]
	s_delay_alu instid0(VALU_DEP_4) | instskip(NEXT) | instid1(VALU_DEP_4)
	v_fma_f64 v[4:5], v[106:107], v[8:9], -v[4:5]
	v_fmac_f64_e32 v[12:13], v[108:109], v[8:9]
	ds_load_b128 v[8:11], v2 offset:944
	ds_load_b128 v[106:109], v2 offset:960
	v_fmac_f64_e32 v[114:115], v[112:113], v[78:79]
	v_fma_f64 v[78:79], v[110:111], v[78:79], -v[80:81]
	s_wait_loadcnt_dscnt 0x501
	v_mul_f64_e32 v[116:117], v[8:9], v[84:85]
	v_mul_f64_e32 v[84:85], v[10:11], v[84:85]
	s_wait_loadcnt_dscnt 0x400
	v_mul_f64_e32 v[110:111], v[106:107], v[88:89]
	v_mul_f64_e32 v[88:89], v[108:109], v[88:89]
	v_add_f64_e32 v[4:5], 0, v[4:5]
	v_add_f64_e32 v[12:13], 0, v[12:13]
	v_fmac_f64_e32 v[116:117], v[10:11], v[82:83]
	v_fma_f64 v[82:83], v[8:9], v[82:83], -v[84:85]
	v_fmac_f64_e32 v[110:111], v[108:109], v[86:87]
	v_fma_f64 v[86:87], v[106:107], v[86:87], -v[88:89]
	v_add_f64_e32 v[4:5], v[4:5], v[78:79]
	v_add_f64_e32 v[12:13], v[12:13], v[114:115]
	ds_load_b128 v[8:11], v2 offset:976
	ds_load_b128 v[78:81], v2 offset:992
	s_wait_loadcnt_dscnt 0x301
	v_mul_f64_e32 v[84:85], v[8:9], v[92:93]
	v_mul_f64_e32 v[92:93], v[10:11], v[92:93]
	s_wait_loadcnt_dscnt 0x200
	v_mul_f64_e32 v[88:89], v[80:81], v[96:97]
	v_add_f64_e32 v[4:5], v[4:5], v[82:83]
	v_add_f64_e32 v[12:13], v[12:13], v[116:117]
	v_mul_f64_e32 v[82:83], v[78:79], v[96:97]
	v_fmac_f64_e32 v[84:85], v[10:11], v[90:91]
	v_fma_f64 v[90:91], v[8:9], v[90:91], -v[92:93]
	ds_load_b128 v[8:11], v2 offset:1008
	v_fma_f64 v[78:79], v[78:79], v[94:95], -v[88:89]
	v_add_f64_e32 v[4:5], v[4:5], v[86:87]
	v_add_f64_e32 v[12:13], v[12:13], v[110:111]
	v_fmac_f64_e32 v[82:83], v[80:81], v[94:95]
	s_wait_loadcnt_dscnt 0x100
	v_mul_f64_e32 v[86:87], v[8:9], v[100:101]
	v_mul_f64_e32 v[92:93], v[10:11], v[100:101]
	v_add_f64_e32 v[4:5], v[4:5], v[90:91]
	v_add_f64_e32 v[12:13], v[12:13], v[84:85]
	s_delay_alu instid0(VALU_DEP_4) | instskip(NEXT) | instid1(VALU_DEP_4)
	v_fmac_f64_e32 v[86:87], v[10:11], v[98:99]
	v_fma_f64 v[8:9], v[8:9], v[98:99], -v[92:93]
	s_delay_alu instid0(VALU_DEP_4) | instskip(NEXT) | instid1(VALU_DEP_4)
	v_add_f64_e32 v[4:5], v[4:5], v[78:79]
	v_add_f64_e32 v[10:11], v[12:13], v[82:83]
	s_delay_alu instid0(VALU_DEP_2) | instskip(NEXT) | instid1(VALU_DEP_2)
	v_add_f64_e32 v[4:5], v[4:5], v[8:9]
	v_add_f64_e32 v[10:11], v[10:11], v[86:87]
	s_wait_loadcnt 0x0
	s_delay_alu instid0(VALU_DEP_2) | instskip(NEXT) | instid1(VALU_DEP_2)
	v_add_f64_e64 v[8:9], v[102:103], -v[4:5]
	v_add_f64_e64 v[10:11], v[104:105], -v[10:11]
	scratch_store_b128 off, v[8:11], off offset:384
	s_wait_xcnt 0x0
	v_cmpx_lt_u32_e32 23, v1
	s_cbranch_execz .LBB95_159
; %bb.158:
	scratch_load_b128 v[8:11], off, s24
	v_dual_mov_b32 v3, v2 :: v_dual_mov_b32 v4, v2
	v_mov_b32_e32 v5, v2
	scratch_store_b128 off, v[2:5], off offset:368
	s_wait_loadcnt 0x0
	ds_store_b128 v6, v[8:11]
.LBB95_159:
	s_wait_xcnt 0x0
	s_or_b32 exec_lo, exec_lo, s2
	s_wait_storecnt_dscnt 0x0
	s_barrier_signal -1
	s_barrier_wait -1
	s_clause 0x7
	scratch_load_b128 v[8:11], off, off offset:384
	scratch_load_b128 v[78:81], off, off offset:400
	;; [unrolled: 1-line block ×8, first 2 shown]
	ds_load_b128 v[106:109], v2 offset:896
	ds_load_b128 v[110:113], v2 offset:912
	scratch_load_b128 v[114:117], off, off offset:368
	s_mov_b32 s2, exec_lo
	s_wait_loadcnt_dscnt 0x801
	v_mul_f64_e32 v[4:5], v[108:109], v[10:11]
	v_mul_f64_e32 v[12:13], v[106:107], v[10:11]
	s_wait_loadcnt_dscnt 0x700
	v_mul_f64_e32 v[118:119], v[110:111], v[80:81]
	v_mul_f64_e32 v[80:81], v[112:113], v[80:81]
	s_delay_alu instid0(VALU_DEP_4) | instskip(NEXT) | instid1(VALU_DEP_4)
	v_fma_f64 v[4:5], v[106:107], v[8:9], -v[4:5]
	v_fmac_f64_e32 v[12:13], v[108:109], v[8:9]
	ds_load_b128 v[8:11], v2 offset:928
	ds_load_b128 v[106:109], v2 offset:944
	v_fmac_f64_e32 v[118:119], v[112:113], v[78:79]
	v_fma_f64 v[78:79], v[110:111], v[78:79], -v[80:81]
	s_wait_loadcnt_dscnt 0x601
	v_mul_f64_e32 v[120:121], v[8:9], v[84:85]
	v_mul_f64_e32 v[84:85], v[10:11], v[84:85]
	s_wait_loadcnt_dscnt 0x500
	v_mul_f64_e32 v[110:111], v[106:107], v[88:89]
	v_mul_f64_e32 v[88:89], v[108:109], v[88:89]
	v_add_f64_e32 v[4:5], 0, v[4:5]
	v_add_f64_e32 v[12:13], 0, v[12:13]
	v_fmac_f64_e32 v[120:121], v[10:11], v[82:83]
	v_fma_f64 v[82:83], v[8:9], v[82:83], -v[84:85]
	v_fmac_f64_e32 v[110:111], v[108:109], v[86:87]
	v_fma_f64 v[86:87], v[106:107], v[86:87], -v[88:89]
	v_add_f64_e32 v[4:5], v[4:5], v[78:79]
	v_add_f64_e32 v[12:13], v[12:13], v[118:119]
	ds_load_b128 v[8:11], v2 offset:960
	ds_load_b128 v[78:81], v2 offset:976
	s_wait_loadcnt_dscnt 0x401
	v_mul_f64_e32 v[84:85], v[8:9], v[92:93]
	v_mul_f64_e32 v[92:93], v[10:11], v[92:93]
	s_wait_loadcnt_dscnt 0x300
	v_mul_f64_e32 v[88:89], v[80:81], v[96:97]
	v_add_f64_e32 v[4:5], v[4:5], v[82:83]
	v_add_f64_e32 v[12:13], v[12:13], v[120:121]
	v_mul_f64_e32 v[82:83], v[78:79], v[96:97]
	v_fmac_f64_e32 v[84:85], v[10:11], v[90:91]
	v_fma_f64 v[90:91], v[8:9], v[90:91], -v[92:93]
	v_fma_f64 v[78:79], v[78:79], v[94:95], -v[88:89]
	v_add_f64_e32 v[86:87], v[4:5], v[86:87]
	v_add_f64_e32 v[12:13], v[12:13], v[110:111]
	ds_load_b128 v[8:11], v2 offset:992
	ds_load_b128 v[2:5], v2 offset:1008
	v_fmac_f64_e32 v[82:83], v[80:81], v[94:95]
	s_wait_loadcnt_dscnt 0x201
	v_mul_f64_e32 v[92:93], v[8:9], v[100:101]
	v_mul_f64_e32 v[96:97], v[10:11], v[100:101]
	v_add_f64_e32 v[80:81], v[86:87], v[90:91]
	v_add_f64_e32 v[12:13], v[12:13], v[84:85]
	s_wait_loadcnt_dscnt 0x100
	v_mul_f64_e32 v[84:85], v[2:3], v[104:105]
	v_mul_f64_e32 v[86:87], v[4:5], v[104:105]
	v_fmac_f64_e32 v[92:93], v[10:11], v[98:99]
	v_fma_f64 v[8:9], v[8:9], v[98:99], -v[96:97]
	v_add_f64_e32 v[10:11], v[80:81], v[78:79]
	v_add_f64_e32 v[12:13], v[12:13], v[82:83]
	v_fmac_f64_e32 v[84:85], v[4:5], v[102:103]
	v_fma_f64 v[2:3], v[2:3], v[102:103], -v[86:87]
	s_delay_alu instid0(VALU_DEP_4) | instskip(NEXT) | instid1(VALU_DEP_4)
	v_add_f64_e32 v[4:5], v[10:11], v[8:9]
	v_add_f64_e32 v[8:9], v[12:13], v[92:93]
	s_delay_alu instid0(VALU_DEP_2) | instskip(NEXT) | instid1(VALU_DEP_2)
	v_add_f64_e32 v[2:3], v[4:5], v[2:3]
	v_add_f64_e32 v[4:5], v[8:9], v[84:85]
	s_wait_loadcnt 0x0
	s_delay_alu instid0(VALU_DEP_2) | instskip(NEXT) | instid1(VALU_DEP_2)
	v_add_f64_e64 v[2:3], v[114:115], -v[2:3]
	v_add_f64_e64 v[4:5], v[116:117], -v[4:5]
	scratch_store_b128 off, v[2:5], off offset:368
	s_wait_xcnt 0x0
	v_cmpx_lt_u32_e32 22, v1
	s_cbranch_execz .LBB95_161
; %bb.160:
	scratch_load_b128 v[2:5], off, s25
	v_mov_b32_e32 v8, 0
	s_delay_alu instid0(VALU_DEP_1)
	v_dual_mov_b32 v9, v8 :: v_dual_mov_b32 v10, v8
	v_mov_b32_e32 v11, v8
	scratch_store_b128 off, v[8:11], off offset:352
	s_wait_loadcnt 0x0
	ds_store_b128 v6, v[2:5]
.LBB95_161:
	s_wait_xcnt 0x0
	s_or_b32 exec_lo, exec_lo, s2
	s_wait_storecnt_dscnt 0x0
	s_barrier_signal -1
	s_barrier_wait -1
	s_clause 0x8
	scratch_load_b128 v[8:11], off, off offset:368
	scratch_load_b128 v[78:81], off, off offset:384
	scratch_load_b128 v[82:85], off, off offset:400
	scratch_load_b128 v[86:89], off, off offset:416
	scratch_load_b128 v[90:93], off, off offset:432
	scratch_load_b128 v[94:97], off, off offset:448
	scratch_load_b128 v[98:101], off, off offset:464
	scratch_load_b128 v[102:105], off, off offset:480
	scratch_load_b128 v[106:109], off, off offset:496
	v_mov_b32_e32 v2, 0
	scratch_load_b128 v[114:117], off, off offset:352
	s_mov_b32 s2, exec_lo
	ds_load_b128 v[110:113], v2 offset:880
	ds_load_b128 v[118:121], v2 offset:896
	s_wait_loadcnt_dscnt 0x901
	v_mul_f64_e32 v[4:5], v[112:113], v[10:11]
	v_mul_f64_e32 v[12:13], v[110:111], v[10:11]
	s_wait_loadcnt_dscnt 0x800
	v_mul_f64_e32 v[122:123], v[118:119], v[80:81]
	v_mul_f64_e32 v[80:81], v[120:121], v[80:81]
	s_delay_alu instid0(VALU_DEP_4) | instskip(NEXT) | instid1(VALU_DEP_4)
	v_fma_f64 v[4:5], v[110:111], v[8:9], -v[4:5]
	v_fmac_f64_e32 v[12:13], v[112:113], v[8:9]
	ds_load_b128 v[8:11], v2 offset:912
	ds_load_b128 v[110:113], v2 offset:928
	v_fmac_f64_e32 v[122:123], v[120:121], v[78:79]
	v_fma_f64 v[78:79], v[118:119], v[78:79], -v[80:81]
	s_wait_loadcnt_dscnt 0x701
	v_mul_f64_e32 v[124:125], v[8:9], v[84:85]
	v_mul_f64_e32 v[84:85], v[10:11], v[84:85]
	s_wait_loadcnt_dscnt 0x600
	v_mul_f64_e32 v[118:119], v[110:111], v[88:89]
	v_mul_f64_e32 v[88:89], v[112:113], v[88:89]
	v_add_f64_e32 v[4:5], 0, v[4:5]
	v_add_f64_e32 v[12:13], 0, v[12:13]
	v_fmac_f64_e32 v[124:125], v[10:11], v[82:83]
	v_fma_f64 v[82:83], v[8:9], v[82:83], -v[84:85]
	v_fmac_f64_e32 v[118:119], v[112:113], v[86:87]
	v_fma_f64 v[86:87], v[110:111], v[86:87], -v[88:89]
	v_add_f64_e32 v[4:5], v[4:5], v[78:79]
	v_add_f64_e32 v[12:13], v[12:13], v[122:123]
	ds_load_b128 v[8:11], v2 offset:944
	ds_load_b128 v[78:81], v2 offset:960
	s_wait_loadcnt_dscnt 0x501
	v_mul_f64_e32 v[120:121], v[8:9], v[92:93]
	v_mul_f64_e32 v[84:85], v[10:11], v[92:93]
	s_wait_loadcnt_dscnt 0x400
	v_mul_f64_e32 v[88:89], v[78:79], v[96:97]
	v_mul_f64_e32 v[92:93], v[80:81], v[96:97]
	v_add_f64_e32 v[4:5], v[4:5], v[82:83]
	v_add_f64_e32 v[12:13], v[12:13], v[124:125]
	v_fmac_f64_e32 v[120:121], v[10:11], v[90:91]
	v_fma_f64 v[90:91], v[8:9], v[90:91], -v[84:85]
	ds_load_b128 v[8:11], v2 offset:976
	ds_load_b128 v[82:85], v2 offset:992
	v_fmac_f64_e32 v[88:89], v[80:81], v[94:95]
	v_fma_f64 v[78:79], v[78:79], v[94:95], -v[92:93]
	v_add_f64_e32 v[4:5], v[4:5], v[86:87]
	v_add_f64_e32 v[12:13], v[12:13], v[118:119]
	s_wait_loadcnt_dscnt 0x301
	v_mul_f64_e32 v[86:87], v[8:9], v[100:101]
	v_mul_f64_e32 v[96:97], v[10:11], v[100:101]
	s_wait_loadcnt_dscnt 0x200
	v_mul_f64_e32 v[80:81], v[82:83], v[104:105]
	v_add_f64_e32 v[4:5], v[4:5], v[90:91]
	v_add_f64_e32 v[12:13], v[12:13], v[120:121]
	v_mul_f64_e32 v[90:91], v[84:85], v[104:105]
	v_fmac_f64_e32 v[86:87], v[10:11], v[98:99]
	v_fma_f64 v[92:93], v[8:9], v[98:99], -v[96:97]
	ds_load_b128 v[8:11], v2 offset:1008
	v_fmac_f64_e32 v[80:81], v[84:85], v[102:103]
	v_add_f64_e32 v[4:5], v[4:5], v[78:79]
	v_add_f64_e32 v[12:13], v[12:13], v[88:89]
	s_wait_loadcnt_dscnt 0x100
	v_mul_f64_e32 v[78:79], v[8:9], v[108:109]
	v_mul_f64_e32 v[88:89], v[10:11], v[108:109]
	v_fma_f64 v[82:83], v[82:83], v[102:103], -v[90:91]
	v_add_f64_e32 v[4:5], v[4:5], v[92:93]
	v_add_f64_e32 v[12:13], v[12:13], v[86:87]
	v_fmac_f64_e32 v[78:79], v[10:11], v[106:107]
	v_fma_f64 v[8:9], v[8:9], v[106:107], -v[88:89]
	s_delay_alu instid0(VALU_DEP_4) | instskip(NEXT) | instid1(VALU_DEP_4)
	v_add_f64_e32 v[4:5], v[4:5], v[82:83]
	v_add_f64_e32 v[10:11], v[12:13], v[80:81]
	s_delay_alu instid0(VALU_DEP_2) | instskip(NEXT) | instid1(VALU_DEP_2)
	v_add_f64_e32 v[4:5], v[4:5], v[8:9]
	v_add_f64_e32 v[10:11], v[10:11], v[78:79]
	s_wait_loadcnt 0x0
	s_delay_alu instid0(VALU_DEP_2) | instskip(NEXT) | instid1(VALU_DEP_2)
	v_add_f64_e64 v[8:9], v[114:115], -v[4:5]
	v_add_f64_e64 v[10:11], v[116:117], -v[10:11]
	scratch_store_b128 off, v[8:11], off offset:352
	s_wait_xcnt 0x0
	v_cmpx_lt_u32_e32 21, v1
	s_cbranch_execz .LBB95_163
; %bb.162:
	scratch_load_b128 v[8:11], off, s26
	v_dual_mov_b32 v3, v2 :: v_dual_mov_b32 v4, v2
	v_mov_b32_e32 v5, v2
	scratch_store_b128 off, v[2:5], off offset:336
	s_wait_loadcnt 0x0
	ds_store_b128 v6, v[8:11]
.LBB95_163:
	s_wait_xcnt 0x0
	s_or_b32 exec_lo, exec_lo, s2
	s_wait_storecnt_dscnt 0x0
	s_barrier_signal -1
	s_barrier_wait -1
	s_clause 0x9
	scratch_load_b128 v[8:11], off, off offset:352
	scratch_load_b128 v[78:81], off, off offset:368
	;; [unrolled: 1-line block ×10, first 2 shown]
	ds_load_b128 v[114:117], v2 offset:864
	ds_load_b128 v[118:121], v2 offset:880
	scratch_load_b128 v[122:125], off, off offset:336
	s_mov_b32 s2, exec_lo
	s_wait_loadcnt_dscnt 0xa01
	v_mul_f64_e32 v[4:5], v[116:117], v[10:11]
	v_mul_f64_e32 v[12:13], v[114:115], v[10:11]
	s_wait_loadcnt_dscnt 0x900
	v_mul_f64_e32 v[126:127], v[118:119], v[80:81]
	v_mul_f64_e32 v[80:81], v[120:121], v[80:81]
	s_delay_alu instid0(VALU_DEP_4) | instskip(NEXT) | instid1(VALU_DEP_4)
	v_fma_f64 v[4:5], v[114:115], v[8:9], -v[4:5]
	v_fmac_f64_e32 v[12:13], v[116:117], v[8:9]
	ds_load_b128 v[8:11], v2 offset:896
	ds_load_b128 v[114:117], v2 offset:912
	v_fmac_f64_e32 v[126:127], v[120:121], v[78:79]
	v_fma_f64 v[78:79], v[118:119], v[78:79], -v[80:81]
	s_wait_loadcnt_dscnt 0x801
	v_mul_f64_e32 v[128:129], v[8:9], v[84:85]
	v_mul_f64_e32 v[84:85], v[10:11], v[84:85]
	s_wait_loadcnt_dscnt 0x700
	v_mul_f64_e32 v[118:119], v[114:115], v[88:89]
	v_mul_f64_e32 v[88:89], v[116:117], v[88:89]
	v_add_f64_e32 v[4:5], 0, v[4:5]
	v_add_f64_e32 v[12:13], 0, v[12:13]
	v_fmac_f64_e32 v[128:129], v[10:11], v[82:83]
	v_fma_f64 v[82:83], v[8:9], v[82:83], -v[84:85]
	v_fmac_f64_e32 v[118:119], v[116:117], v[86:87]
	v_fma_f64 v[86:87], v[114:115], v[86:87], -v[88:89]
	v_add_f64_e32 v[4:5], v[4:5], v[78:79]
	v_add_f64_e32 v[12:13], v[12:13], v[126:127]
	ds_load_b128 v[8:11], v2 offset:928
	ds_load_b128 v[78:81], v2 offset:944
	s_wait_loadcnt_dscnt 0x601
	v_mul_f64_e32 v[120:121], v[8:9], v[92:93]
	v_mul_f64_e32 v[84:85], v[10:11], v[92:93]
	s_wait_loadcnt_dscnt 0x500
	v_mul_f64_e32 v[88:89], v[78:79], v[96:97]
	v_mul_f64_e32 v[92:93], v[80:81], v[96:97]
	v_add_f64_e32 v[4:5], v[4:5], v[82:83]
	v_add_f64_e32 v[12:13], v[12:13], v[128:129]
	v_fmac_f64_e32 v[120:121], v[10:11], v[90:91]
	v_fma_f64 v[90:91], v[8:9], v[90:91], -v[84:85]
	ds_load_b128 v[8:11], v2 offset:960
	ds_load_b128 v[82:85], v2 offset:976
	v_fmac_f64_e32 v[88:89], v[80:81], v[94:95]
	v_fma_f64 v[78:79], v[78:79], v[94:95], -v[92:93]
	v_add_f64_e32 v[4:5], v[4:5], v[86:87]
	v_add_f64_e32 v[12:13], v[12:13], v[118:119]
	s_wait_loadcnt_dscnt 0x401
	v_mul_f64_e32 v[86:87], v[8:9], v[100:101]
	v_mul_f64_e32 v[96:97], v[10:11], v[100:101]
	s_wait_loadcnt_dscnt 0x300
	v_mul_f64_e32 v[80:81], v[82:83], v[104:105]
	v_add_f64_e32 v[4:5], v[4:5], v[90:91]
	v_add_f64_e32 v[12:13], v[12:13], v[120:121]
	v_mul_f64_e32 v[90:91], v[84:85], v[104:105]
	v_fmac_f64_e32 v[86:87], v[10:11], v[98:99]
	v_fma_f64 v[92:93], v[8:9], v[98:99], -v[96:97]
	v_fmac_f64_e32 v[80:81], v[84:85], v[102:103]
	v_add_f64_e32 v[78:79], v[4:5], v[78:79]
	v_add_f64_e32 v[12:13], v[12:13], v[88:89]
	ds_load_b128 v[8:11], v2 offset:992
	ds_load_b128 v[2:5], v2 offset:1008
	v_fma_f64 v[82:83], v[82:83], v[102:103], -v[90:91]
	s_wait_loadcnt_dscnt 0x201
	v_mul_f64_e32 v[88:89], v[8:9], v[108:109]
	v_mul_f64_e32 v[94:95], v[10:11], v[108:109]
	s_wait_loadcnt_dscnt 0x100
	v_mul_f64_e32 v[84:85], v[2:3], v[112:113]
	v_add_f64_e32 v[78:79], v[78:79], v[92:93]
	v_add_f64_e32 v[12:13], v[12:13], v[86:87]
	v_mul_f64_e32 v[86:87], v[4:5], v[112:113]
	v_fmac_f64_e32 v[88:89], v[10:11], v[106:107]
	v_fma_f64 v[8:9], v[8:9], v[106:107], -v[94:95]
	v_fmac_f64_e32 v[84:85], v[4:5], v[110:111]
	v_add_f64_e32 v[10:11], v[78:79], v[82:83]
	v_add_f64_e32 v[12:13], v[12:13], v[80:81]
	v_fma_f64 v[2:3], v[2:3], v[110:111], -v[86:87]
	s_delay_alu instid0(VALU_DEP_3) | instskip(NEXT) | instid1(VALU_DEP_3)
	v_add_f64_e32 v[4:5], v[10:11], v[8:9]
	v_add_f64_e32 v[8:9], v[12:13], v[88:89]
	s_delay_alu instid0(VALU_DEP_2) | instskip(NEXT) | instid1(VALU_DEP_2)
	v_add_f64_e32 v[2:3], v[4:5], v[2:3]
	v_add_f64_e32 v[4:5], v[8:9], v[84:85]
	s_wait_loadcnt 0x0
	s_delay_alu instid0(VALU_DEP_2) | instskip(NEXT) | instid1(VALU_DEP_2)
	v_add_f64_e64 v[2:3], v[122:123], -v[2:3]
	v_add_f64_e64 v[4:5], v[124:125], -v[4:5]
	scratch_store_b128 off, v[2:5], off offset:336
	s_wait_xcnt 0x0
	v_cmpx_lt_u32_e32 20, v1
	s_cbranch_execz .LBB95_165
; %bb.164:
	scratch_load_b128 v[2:5], off, s27
	v_mov_b32_e32 v8, 0
	s_delay_alu instid0(VALU_DEP_1)
	v_dual_mov_b32 v9, v8 :: v_dual_mov_b32 v10, v8
	v_mov_b32_e32 v11, v8
	scratch_store_b128 off, v[8:11], off offset:320
	s_wait_loadcnt 0x0
	ds_store_b128 v6, v[2:5]
.LBB95_165:
	s_wait_xcnt 0x0
	s_or_b32 exec_lo, exec_lo, s2
	s_wait_storecnt_dscnt 0x0
	s_barrier_signal -1
	s_barrier_wait -1
	s_clause 0x9
	scratch_load_b128 v[8:11], off, off offset:336
	scratch_load_b128 v[78:81], off, off offset:352
	;; [unrolled: 1-line block ×10, first 2 shown]
	v_mov_b32_e32 v2, 0
	s_mov_b32 s2, exec_lo
	ds_load_b128 v[114:117], v2 offset:848
	s_clause 0x1
	scratch_load_b128 v[118:121], off, off offset:496
	scratch_load_b128 v[122:125], off, off offset:320
	s_wait_loadcnt_dscnt 0xb00
	v_mul_f64_e32 v[4:5], v[116:117], v[10:11]
	v_mul_f64_e32 v[12:13], v[114:115], v[10:11]
	ds_load_b128 v[126:129], v2 offset:864
	s_wait_loadcnt_dscnt 0xa00
	v_mul_f64_e32 v[130:131], v[126:127], v[80:81]
	v_mul_f64_e32 v[80:81], v[128:129], v[80:81]
	v_fma_f64 v[4:5], v[114:115], v[8:9], -v[4:5]
	v_fmac_f64_e32 v[12:13], v[116:117], v[8:9]
	ds_load_b128 v[8:11], v2 offset:880
	ds_load_b128 v[114:117], v2 offset:896
	s_wait_loadcnt_dscnt 0x901
	v_mul_f64_e32 v[132:133], v[8:9], v[84:85]
	v_mul_f64_e32 v[84:85], v[10:11], v[84:85]
	v_fmac_f64_e32 v[130:131], v[128:129], v[78:79]
	v_fma_f64 v[78:79], v[126:127], v[78:79], -v[80:81]
	s_wait_loadcnt_dscnt 0x800
	v_mul_f64_e32 v[126:127], v[114:115], v[88:89]
	v_mul_f64_e32 v[88:89], v[116:117], v[88:89]
	v_add_f64_e32 v[4:5], 0, v[4:5]
	v_add_f64_e32 v[12:13], 0, v[12:13]
	v_fmac_f64_e32 v[132:133], v[10:11], v[82:83]
	v_fma_f64 v[82:83], v[8:9], v[82:83], -v[84:85]
	v_fmac_f64_e32 v[126:127], v[116:117], v[86:87]
	v_fma_f64 v[86:87], v[114:115], v[86:87], -v[88:89]
	v_add_f64_e32 v[4:5], v[4:5], v[78:79]
	v_add_f64_e32 v[12:13], v[12:13], v[130:131]
	ds_load_b128 v[8:11], v2 offset:912
	ds_load_b128 v[78:81], v2 offset:928
	s_wait_loadcnt_dscnt 0x701
	v_mul_f64_e32 v[128:129], v[8:9], v[92:93]
	v_mul_f64_e32 v[84:85], v[10:11], v[92:93]
	s_wait_loadcnt_dscnt 0x600
	v_mul_f64_e32 v[88:89], v[78:79], v[96:97]
	v_mul_f64_e32 v[92:93], v[80:81], v[96:97]
	v_add_f64_e32 v[4:5], v[4:5], v[82:83]
	v_add_f64_e32 v[12:13], v[12:13], v[132:133]
	v_fmac_f64_e32 v[128:129], v[10:11], v[90:91]
	v_fma_f64 v[90:91], v[8:9], v[90:91], -v[84:85]
	ds_load_b128 v[8:11], v2 offset:944
	ds_load_b128 v[82:85], v2 offset:960
	v_fmac_f64_e32 v[88:89], v[80:81], v[94:95]
	v_fma_f64 v[78:79], v[78:79], v[94:95], -v[92:93]
	v_add_f64_e32 v[4:5], v[4:5], v[86:87]
	v_add_f64_e32 v[12:13], v[12:13], v[126:127]
	s_wait_loadcnt_dscnt 0x501
	v_mul_f64_e32 v[86:87], v[8:9], v[100:101]
	v_mul_f64_e32 v[96:97], v[10:11], v[100:101]
	s_wait_loadcnt_dscnt 0x400
	v_mul_f64_e32 v[92:93], v[84:85], v[104:105]
	v_add_f64_e32 v[4:5], v[4:5], v[90:91]
	v_add_f64_e32 v[12:13], v[12:13], v[128:129]
	v_mul_f64_e32 v[90:91], v[82:83], v[104:105]
	v_fmac_f64_e32 v[86:87], v[10:11], v[98:99]
	v_fma_f64 v[94:95], v[8:9], v[98:99], -v[96:97]
	v_fma_f64 v[82:83], v[82:83], v[102:103], -v[92:93]
	v_add_f64_e32 v[4:5], v[4:5], v[78:79]
	v_add_f64_e32 v[12:13], v[12:13], v[88:89]
	ds_load_b128 v[8:11], v2 offset:976
	ds_load_b128 v[78:81], v2 offset:992
	v_fmac_f64_e32 v[90:91], v[84:85], v[102:103]
	s_wait_loadcnt_dscnt 0x301
	v_mul_f64_e32 v[88:89], v[8:9], v[108:109]
	v_mul_f64_e32 v[96:97], v[10:11], v[108:109]
	s_wait_loadcnt_dscnt 0x200
	v_mul_f64_e32 v[84:85], v[78:79], v[112:113]
	v_add_f64_e32 v[4:5], v[4:5], v[94:95]
	v_add_f64_e32 v[12:13], v[12:13], v[86:87]
	v_mul_f64_e32 v[86:87], v[80:81], v[112:113]
	v_fmac_f64_e32 v[88:89], v[10:11], v[106:107]
	v_fma_f64 v[92:93], v[8:9], v[106:107], -v[96:97]
	ds_load_b128 v[8:11], v2 offset:1008
	v_fmac_f64_e32 v[84:85], v[80:81], v[110:111]
	v_add_f64_e32 v[4:5], v[4:5], v[82:83]
	v_add_f64_e32 v[12:13], v[12:13], v[90:91]
	v_fma_f64 v[78:79], v[78:79], v[110:111], -v[86:87]
	s_wait_loadcnt_dscnt 0x100
	v_mul_f64_e32 v[82:83], v[8:9], v[120:121]
	v_mul_f64_e32 v[90:91], v[10:11], v[120:121]
	v_add_f64_e32 v[4:5], v[4:5], v[92:93]
	v_add_f64_e32 v[12:13], v[12:13], v[88:89]
	s_delay_alu instid0(VALU_DEP_4) | instskip(NEXT) | instid1(VALU_DEP_4)
	v_fmac_f64_e32 v[82:83], v[10:11], v[118:119]
	v_fma_f64 v[8:9], v[8:9], v[118:119], -v[90:91]
	s_delay_alu instid0(VALU_DEP_4) | instskip(NEXT) | instid1(VALU_DEP_4)
	v_add_f64_e32 v[4:5], v[4:5], v[78:79]
	v_add_f64_e32 v[10:11], v[12:13], v[84:85]
	s_delay_alu instid0(VALU_DEP_2) | instskip(NEXT) | instid1(VALU_DEP_2)
	v_add_f64_e32 v[4:5], v[4:5], v[8:9]
	v_add_f64_e32 v[10:11], v[10:11], v[82:83]
	s_wait_loadcnt 0x0
	s_delay_alu instid0(VALU_DEP_2) | instskip(NEXT) | instid1(VALU_DEP_2)
	v_add_f64_e64 v[8:9], v[122:123], -v[4:5]
	v_add_f64_e64 v[10:11], v[124:125], -v[10:11]
	scratch_store_b128 off, v[8:11], off offset:320
	s_wait_xcnt 0x0
	v_cmpx_lt_u32_e32 19, v1
	s_cbranch_execz .LBB95_167
; %bb.166:
	scratch_load_b128 v[8:11], off, s28
	v_dual_mov_b32 v3, v2 :: v_dual_mov_b32 v4, v2
	v_mov_b32_e32 v5, v2
	scratch_store_b128 off, v[2:5], off offset:304
	s_wait_loadcnt 0x0
	ds_store_b128 v6, v[8:11]
.LBB95_167:
	s_wait_xcnt 0x0
	s_or_b32 exec_lo, exec_lo, s2
	s_wait_storecnt_dscnt 0x0
	s_barrier_signal -1
	s_barrier_wait -1
	s_clause 0x9
	scratch_load_b128 v[8:11], off, off offset:320
	scratch_load_b128 v[78:81], off, off offset:336
	;; [unrolled: 1-line block ×10, first 2 shown]
	ds_load_b128 v[114:117], v2 offset:832
	ds_load_b128 v[122:125], v2 offset:848
	s_clause 0x1
	scratch_load_b128 v[118:121], off, off offset:480
	scratch_load_b128 v[126:129], off, off offset:304
	s_mov_b32 s2, exec_lo
	s_wait_loadcnt_dscnt 0xb01
	v_mul_f64_e32 v[4:5], v[116:117], v[10:11]
	v_mul_f64_e32 v[134:135], v[114:115], v[10:11]
	scratch_load_b128 v[10:13], off, off offset:496
	s_wait_loadcnt_dscnt 0xb00
	v_mul_f64_e32 v[136:137], v[122:123], v[80:81]
	v_mul_f64_e32 v[80:81], v[124:125], v[80:81]
	v_fma_f64 v[4:5], v[114:115], v[8:9], -v[4:5]
	v_fmac_f64_e32 v[134:135], v[116:117], v[8:9]
	ds_load_b128 v[114:117], v2 offset:864
	ds_load_b128 v[130:133], v2 offset:880
	v_fmac_f64_e32 v[136:137], v[124:125], v[78:79]
	v_fma_f64 v[78:79], v[122:123], v[78:79], -v[80:81]
	s_wait_loadcnt_dscnt 0xa01
	v_mul_f64_e32 v[8:9], v[114:115], v[84:85]
	v_mul_f64_e32 v[84:85], v[116:117], v[84:85]
	s_wait_loadcnt_dscnt 0x900
	v_mul_f64_e32 v[122:123], v[130:131], v[88:89]
	v_mul_f64_e32 v[88:89], v[132:133], v[88:89]
	v_add_f64_e32 v[4:5], 0, v[4:5]
	v_add_f64_e32 v[80:81], 0, v[134:135]
	v_fmac_f64_e32 v[8:9], v[116:117], v[82:83]
	v_fma_f64 v[114:115], v[114:115], v[82:83], -v[84:85]
	v_fmac_f64_e32 v[122:123], v[132:133], v[86:87]
	v_fma_f64 v[86:87], v[130:131], v[86:87], -v[88:89]
	v_add_f64_e32 v[4:5], v[4:5], v[78:79]
	v_add_f64_e32 v[116:117], v[80:81], v[136:137]
	ds_load_b128 v[78:81], v2 offset:896
	ds_load_b128 v[82:85], v2 offset:912
	s_wait_loadcnt_dscnt 0x801
	v_mul_f64_e32 v[124:125], v[78:79], v[92:93]
	v_mul_f64_e32 v[92:93], v[80:81], v[92:93]
	v_add_f64_e32 v[4:5], v[4:5], v[114:115]
	v_add_f64_e32 v[8:9], v[116:117], v[8:9]
	s_wait_loadcnt_dscnt 0x700
	v_mul_f64_e32 v[114:115], v[82:83], v[96:97]
	v_mul_f64_e32 v[96:97], v[84:85], v[96:97]
	v_fmac_f64_e32 v[124:125], v[80:81], v[90:91]
	v_fma_f64 v[90:91], v[78:79], v[90:91], -v[92:93]
	v_add_f64_e32 v[4:5], v[4:5], v[86:87]
	v_add_f64_e32 v[8:9], v[8:9], v[122:123]
	ds_load_b128 v[78:81], v2 offset:928
	ds_load_b128 v[86:89], v2 offset:944
	v_fmac_f64_e32 v[114:115], v[84:85], v[94:95]
	v_fma_f64 v[82:83], v[82:83], v[94:95], -v[96:97]
	s_wait_loadcnt_dscnt 0x601
	v_mul_f64_e32 v[92:93], v[78:79], v[100:101]
	v_mul_f64_e32 v[100:101], v[80:81], v[100:101]
	s_wait_loadcnt_dscnt 0x500
	v_mul_f64_e32 v[94:95], v[88:89], v[104:105]
	v_add_f64_e32 v[4:5], v[4:5], v[90:91]
	v_add_f64_e32 v[8:9], v[8:9], v[124:125]
	v_mul_f64_e32 v[90:91], v[86:87], v[104:105]
	v_fmac_f64_e32 v[92:93], v[80:81], v[98:99]
	v_fma_f64 v[96:97], v[78:79], v[98:99], -v[100:101]
	v_fma_f64 v[86:87], v[86:87], v[102:103], -v[94:95]
	v_add_f64_e32 v[4:5], v[4:5], v[82:83]
	v_add_f64_e32 v[8:9], v[8:9], v[114:115]
	ds_load_b128 v[78:81], v2 offset:960
	ds_load_b128 v[82:85], v2 offset:976
	v_fmac_f64_e32 v[90:91], v[88:89], v[102:103]
	s_wait_loadcnt_dscnt 0x401
	v_mul_f64_e32 v[98:99], v[78:79], v[108:109]
	v_mul_f64_e32 v[100:101], v[80:81], v[108:109]
	s_wait_loadcnt_dscnt 0x300
	v_mul_f64_e32 v[88:89], v[82:83], v[112:113]
	v_add_f64_e32 v[4:5], v[4:5], v[96:97]
	v_add_f64_e32 v[8:9], v[8:9], v[92:93]
	v_mul_f64_e32 v[92:93], v[84:85], v[112:113]
	v_fmac_f64_e32 v[98:99], v[80:81], v[106:107]
	v_fma_f64 v[94:95], v[78:79], v[106:107], -v[100:101]
	v_fmac_f64_e32 v[88:89], v[84:85], v[110:111]
	v_add_f64_e32 v[86:87], v[4:5], v[86:87]
	v_add_f64_e32 v[8:9], v[8:9], v[90:91]
	ds_load_b128 v[78:81], v2 offset:992
	ds_load_b128 v[2:5], v2 offset:1008
	v_fma_f64 v[82:83], v[82:83], v[110:111], -v[92:93]
	s_wait_loadcnt_dscnt 0x201
	v_mul_f64_e32 v[90:91], v[78:79], v[120:121]
	v_mul_f64_e32 v[96:97], v[80:81], v[120:121]
	v_add_f64_e32 v[84:85], v[86:87], v[94:95]
	v_add_f64_e32 v[8:9], v[8:9], v[98:99]
	s_wait_loadcnt_dscnt 0x0
	v_mul_f64_e32 v[86:87], v[2:3], v[12:13]
	v_mul_f64_e32 v[12:13], v[4:5], v[12:13]
	v_fmac_f64_e32 v[90:91], v[80:81], v[118:119]
	v_fma_f64 v[78:79], v[78:79], v[118:119], -v[96:97]
	v_add_f64_e32 v[80:81], v[84:85], v[82:83]
	v_add_f64_e32 v[8:9], v[8:9], v[88:89]
	v_fmac_f64_e32 v[86:87], v[4:5], v[10:11]
	v_fma_f64 v[2:3], v[2:3], v[10:11], -v[12:13]
	s_delay_alu instid0(VALU_DEP_4) | instskip(NEXT) | instid1(VALU_DEP_4)
	v_add_f64_e32 v[4:5], v[80:81], v[78:79]
	v_add_f64_e32 v[8:9], v[8:9], v[90:91]
	s_delay_alu instid0(VALU_DEP_2) | instskip(NEXT) | instid1(VALU_DEP_2)
	v_add_f64_e32 v[2:3], v[4:5], v[2:3]
	v_add_f64_e32 v[4:5], v[8:9], v[86:87]
	s_delay_alu instid0(VALU_DEP_2) | instskip(NEXT) | instid1(VALU_DEP_2)
	v_add_f64_e64 v[2:3], v[126:127], -v[2:3]
	v_add_f64_e64 v[4:5], v[128:129], -v[4:5]
	scratch_store_b128 off, v[2:5], off offset:304
	s_wait_xcnt 0x0
	v_cmpx_lt_u32_e32 18, v1
	s_cbranch_execz .LBB95_169
; %bb.168:
	scratch_load_b128 v[2:5], off, s29
	v_mov_b32_e32 v8, 0
	s_delay_alu instid0(VALU_DEP_1)
	v_dual_mov_b32 v9, v8 :: v_dual_mov_b32 v10, v8
	v_mov_b32_e32 v11, v8
	scratch_store_b128 off, v[8:11], off offset:288
	s_wait_loadcnt 0x0
	ds_store_b128 v6, v[2:5]
.LBB95_169:
	s_wait_xcnt 0x0
	s_or_b32 exec_lo, exec_lo, s2
	s_wait_storecnt_dscnt 0x0
	s_barrier_signal -1
	s_barrier_wait -1
	s_clause 0x9
	scratch_load_b128 v[8:11], off, off offset:304
	scratch_load_b128 v[78:81], off, off offset:320
	;; [unrolled: 1-line block ×10, first 2 shown]
	v_mov_b32_e32 v2, 0
	s_mov_b32 s2, exec_lo
	ds_load_b128 v[114:117], v2 offset:816
	s_clause 0x2
	scratch_load_b128 v[118:121], off, off offset:464
	scratch_load_b128 v[122:125], off, off offset:288
	;; [unrolled: 1-line block ×3, first 2 shown]
	s_wait_loadcnt_dscnt 0xc00
	v_mul_f64_e32 v[4:5], v[116:117], v[10:11]
	v_mul_f64_e32 v[138:139], v[114:115], v[10:11]
	ds_load_b128 v[126:129], v2 offset:832
	scratch_load_b128 v[10:13], off, off offset:480
	ds_load_b128 v[134:137], v2 offset:864
	v_fma_f64 v[4:5], v[114:115], v[8:9], -v[4:5]
	v_fmac_f64_e32 v[138:139], v[116:117], v[8:9]
	ds_load_b128 v[114:117], v2 offset:848
	s_wait_loadcnt_dscnt 0xc02
	v_mul_f64_e32 v[140:141], v[126:127], v[80:81]
	v_mul_f64_e32 v[80:81], v[128:129], v[80:81]
	s_wait_loadcnt_dscnt 0xb00
	v_mul_f64_e32 v[8:9], v[114:115], v[84:85]
	v_mul_f64_e32 v[84:85], v[116:117], v[84:85]
	v_add_f64_e32 v[4:5], 0, v[4:5]
	v_fmac_f64_e32 v[140:141], v[128:129], v[78:79]
	v_fma_f64 v[78:79], v[126:127], v[78:79], -v[80:81]
	v_add_f64_e32 v[80:81], 0, v[138:139]
	s_wait_loadcnt 0xa
	v_mul_f64_e32 v[126:127], v[134:135], v[88:89]
	v_mul_f64_e32 v[88:89], v[136:137], v[88:89]
	v_fmac_f64_e32 v[8:9], v[116:117], v[82:83]
	v_fma_f64 v[114:115], v[114:115], v[82:83], -v[84:85]
	v_add_f64_e32 v[4:5], v[4:5], v[78:79]
	v_add_f64_e32 v[116:117], v[80:81], v[140:141]
	ds_load_b128 v[78:81], v2 offset:880
	ds_load_b128 v[82:85], v2 offset:896
	v_fmac_f64_e32 v[126:127], v[136:137], v[86:87]
	v_fma_f64 v[86:87], v[134:135], v[86:87], -v[88:89]
	s_wait_loadcnt_dscnt 0x901
	v_mul_f64_e32 v[128:129], v[78:79], v[92:93]
	v_mul_f64_e32 v[92:93], v[80:81], v[92:93]
	v_add_f64_e32 v[4:5], v[4:5], v[114:115]
	v_add_f64_e32 v[8:9], v[116:117], v[8:9]
	s_wait_loadcnt_dscnt 0x800
	v_mul_f64_e32 v[114:115], v[82:83], v[96:97]
	v_mul_f64_e32 v[96:97], v[84:85], v[96:97]
	v_fmac_f64_e32 v[128:129], v[80:81], v[90:91]
	v_fma_f64 v[90:91], v[78:79], v[90:91], -v[92:93]
	v_add_f64_e32 v[4:5], v[4:5], v[86:87]
	v_add_f64_e32 v[8:9], v[8:9], v[126:127]
	ds_load_b128 v[78:81], v2 offset:912
	ds_load_b128 v[86:89], v2 offset:928
	v_fmac_f64_e32 v[114:115], v[84:85], v[94:95]
	v_fma_f64 v[82:83], v[82:83], v[94:95], -v[96:97]
	s_wait_loadcnt_dscnt 0x701
	v_mul_f64_e32 v[92:93], v[78:79], v[100:101]
	v_mul_f64_e32 v[100:101], v[80:81], v[100:101]
	s_wait_loadcnt_dscnt 0x600
	v_mul_f64_e32 v[94:95], v[88:89], v[104:105]
	v_add_f64_e32 v[4:5], v[4:5], v[90:91]
	v_add_f64_e32 v[8:9], v[8:9], v[128:129]
	v_mul_f64_e32 v[90:91], v[86:87], v[104:105]
	v_fmac_f64_e32 v[92:93], v[80:81], v[98:99]
	v_fma_f64 v[96:97], v[78:79], v[98:99], -v[100:101]
	v_fma_f64 v[86:87], v[86:87], v[102:103], -v[94:95]
	v_add_f64_e32 v[4:5], v[4:5], v[82:83]
	v_add_f64_e32 v[8:9], v[8:9], v[114:115]
	ds_load_b128 v[78:81], v2 offset:944
	ds_load_b128 v[82:85], v2 offset:960
	v_fmac_f64_e32 v[90:91], v[88:89], v[102:103]
	s_wait_loadcnt_dscnt 0x501
	v_mul_f64_e32 v[98:99], v[78:79], v[108:109]
	v_mul_f64_e32 v[100:101], v[80:81], v[108:109]
	s_wait_loadcnt_dscnt 0x400
	v_mul_f64_e32 v[94:95], v[84:85], v[112:113]
	v_add_f64_e32 v[4:5], v[4:5], v[96:97]
	v_add_f64_e32 v[8:9], v[8:9], v[92:93]
	v_mul_f64_e32 v[92:93], v[82:83], v[112:113]
	v_fmac_f64_e32 v[98:99], v[80:81], v[106:107]
	v_fma_f64 v[96:97], v[78:79], v[106:107], -v[100:101]
	v_fma_f64 v[82:83], v[82:83], v[110:111], -v[94:95]
	v_add_f64_e32 v[4:5], v[4:5], v[86:87]
	v_add_f64_e32 v[8:9], v[8:9], v[90:91]
	ds_load_b128 v[78:81], v2 offset:976
	ds_load_b128 v[86:89], v2 offset:992
	v_fmac_f64_e32 v[92:93], v[84:85], v[110:111]
	s_wait_loadcnt_dscnt 0x301
	v_mul_f64_e32 v[90:91], v[78:79], v[120:121]
	v_mul_f64_e32 v[100:101], v[80:81], v[120:121]
	s_wait_loadcnt_dscnt 0x0
	v_mul_f64_e32 v[84:85], v[86:87], v[12:13]
	v_add_f64_e32 v[4:5], v[4:5], v[96:97]
	v_add_f64_e32 v[8:9], v[8:9], v[98:99]
	v_mul_f64_e32 v[12:13], v[88:89], v[12:13]
	v_fmac_f64_e32 v[90:91], v[80:81], v[118:119]
	v_fma_f64 v[94:95], v[78:79], v[118:119], -v[100:101]
	ds_load_b128 v[78:81], v2 offset:1008
	v_fmac_f64_e32 v[84:85], v[88:89], v[10:11]
	v_add_f64_e32 v[4:5], v[4:5], v[82:83]
	v_add_f64_e32 v[8:9], v[8:9], v[92:93]
	v_fma_f64 v[10:11], v[86:87], v[10:11], -v[12:13]
	s_wait_dscnt 0x0
	v_mul_f64_e32 v[82:83], v[78:79], v[132:133]
	v_mul_f64_e32 v[92:93], v[80:81], v[132:133]
	v_add_f64_e32 v[4:5], v[4:5], v[94:95]
	v_add_f64_e32 v[8:9], v[8:9], v[90:91]
	s_delay_alu instid0(VALU_DEP_4) | instskip(NEXT) | instid1(VALU_DEP_4)
	v_fmac_f64_e32 v[82:83], v[80:81], v[130:131]
	v_fma_f64 v[12:13], v[78:79], v[130:131], -v[92:93]
	s_delay_alu instid0(VALU_DEP_4) | instskip(NEXT) | instid1(VALU_DEP_4)
	v_add_f64_e32 v[4:5], v[4:5], v[10:11]
	v_add_f64_e32 v[8:9], v[8:9], v[84:85]
	s_delay_alu instid0(VALU_DEP_2) | instskip(NEXT) | instid1(VALU_DEP_2)
	v_add_f64_e32 v[4:5], v[4:5], v[12:13]
	v_add_f64_e32 v[10:11], v[8:9], v[82:83]
	s_delay_alu instid0(VALU_DEP_2) | instskip(NEXT) | instid1(VALU_DEP_2)
	v_add_f64_e64 v[8:9], v[122:123], -v[4:5]
	v_add_f64_e64 v[10:11], v[124:125], -v[10:11]
	scratch_store_b128 off, v[8:11], off offset:288
	s_wait_xcnt 0x0
	v_cmpx_lt_u32_e32 17, v1
	s_cbranch_execz .LBB95_171
; %bb.170:
	scratch_load_b128 v[8:11], off, s30
	v_dual_mov_b32 v3, v2 :: v_dual_mov_b32 v4, v2
	v_mov_b32_e32 v5, v2
	scratch_store_b128 off, v[2:5], off offset:272
	s_wait_loadcnt 0x0
	ds_store_b128 v6, v[8:11]
.LBB95_171:
	s_wait_xcnt 0x0
	s_or_b32 exec_lo, exec_lo, s2
	s_wait_storecnt_dscnt 0x0
	s_barrier_signal -1
	s_barrier_wait -1
	s_clause 0x9
	scratch_load_b128 v[8:11], off, off offset:288
	scratch_load_b128 v[78:81], off, off offset:304
	;; [unrolled: 1-line block ×10, first 2 shown]
	ds_load_b128 v[114:117], v2 offset:800
	ds_load_b128 v[122:125], v2 offset:816
	s_clause 0x1
	scratch_load_b128 v[118:121], off, off offset:448
	scratch_load_b128 v[126:129], off, off offset:272
	s_mov_b32 s2, exec_lo
	s_wait_loadcnt_dscnt 0xb01
	v_mul_f64_e32 v[4:5], v[116:117], v[10:11]
	v_mul_f64_e32 v[138:139], v[114:115], v[10:11]
	scratch_load_b128 v[10:13], off, off offset:464
	s_wait_loadcnt_dscnt 0xb00
	v_mul_f64_e32 v[140:141], v[122:123], v[80:81]
	v_mul_f64_e32 v[80:81], v[124:125], v[80:81]
	v_fma_f64 v[4:5], v[114:115], v[8:9], -v[4:5]
	v_fmac_f64_e32 v[138:139], v[116:117], v[8:9]
	ds_load_b128 v[114:117], v2 offset:832
	ds_load_b128 v[130:133], v2 offset:848
	scratch_load_b128 v[134:137], off, off offset:480
	v_fmac_f64_e32 v[140:141], v[124:125], v[78:79]
	v_fma_f64 v[122:123], v[122:123], v[78:79], -v[80:81]
	scratch_load_b128 v[78:81], off, off offset:496
	s_wait_loadcnt_dscnt 0xc01
	v_mul_f64_e32 v[8:9], v[114:115], v[84:85]
	v_mul_f64_e32 v[84:85], v[116:117], v[84:85]
	v_add_f64_e32 v[4:5], 0, v[4:5]
	v_add_f64_e32 v[124:125], 0, v[138:139]
	s_wait_loadcnt_dscnt 0xb00
	v_mul_f64_e32 v[138:139], v[130:131], v[88:89]
	v_mul_f64_e32 v[88:89], v[132:133], v[88:89]
	v_fmac_f64_e32 v[8:9], v[116:117], v[82:83]
	v_fma_f64 v[142:143], v[114:115], v[82:83], -v[84:85]
	ds_load_b128 v[82:85], v2 offset:864
	ds_load_b128 v[114:117], v2 offset:880
	v_add_f64_e32 v[4:5], v[4:5], v[122:123]
	v_add_f64_e32 v[122:123], v[124:125], v[140:141]
	v_fmac_f64_e32 v[138:139], v[132:133], v[86:87]
	v_fma_f64 v[86:87], v[130:131], v[86:87], -v[88:89]
	s_wait_loadcnt_dscnt 0xa01
	v_mul_f64_e32 v[124:125], v[82:83], v[92:93]
	v_mul_f64_e32 v[92:93], v[84:85], v[92:93]
	v_add_f64_e32 v[4:5], v[4:5], v[142:143]
	v_add_f64_e32 v[8:9], v[122:123], v[8:9]
	s_wait_loadcnt_dscnt 0x900
	v_mul_f64_e32 v[122:123], v[114:115], v[96:97]
	v_mul_f64_e32 v[96:97], v[116:117], v[96:97]
	v_fmac_f64_e32 v[124:125], v[84:85], v[90:91]
	v_fma_f64 v[90:91], v[82:83], v[90:91], -v[92:93]
	v_add_f64_e32 v[4:5], v[4:5], v[86:87]
	v_add_f64_e32 v[8:9], v[8:9], v[138:139]
	ds_load_b128 v[82:85], v2 offset:896
	ds_load_b128 v[86:89], v2 offset:912
	v_fmac_f64_e32 v[122:123], v[116:117], v[94:95]
	v_fma_f64 v[94:95], v[114:115], v[94:95], -v[96:97]
	s_wait_loadcnt_dscnt 0x801
	v_mul_f64_e32 v[130:131], v[82:83], v[100:101]
	v_mul_f64_e32 v[92:93], v[84:85], v[100:101]
	s_wait_loadcnt_dscnt 0x700
	v_mul_f64_e32 v[96:97], v[86:87], v[104:105]
	v_mul_f64_e32 v[100:101], v[88:89], v[104:105]
	v_add_f64_e32 v[4:5], v[4:5], v[90:91]
	v_add_f64_e32 v[8:9], v[8:9], v[124:125]
	v_fmac_f64_e32 v[130:131], v[84:85], v[98:99]
	v_fma_f64 v[98:99], v[82:83], v[98:99], -v[92:93]
	ds_load_b128 v[82:85], v2 offset:928
	ds_load_b128 v[90:93], v2 offset:944
	v_fmac_f64_e32 v[96:97], v[88:89], v[102:103]
	v_fma_f64 v[86:87], v[86:87], v[102:103], -v[100:101]
	v_add_f64_e32 v[4:5], v[4:5], v[94:95]
	v_add_f64_e32 v[8:9], v[8:9], v[122:123]
	s_wait_loadcnt_dscnt 0x601
	v_mul_f64_e32 v[94:95], v[82:83], v[108:109]
	v_mul_f64_e32 v[104:105], v[84:85], v[108:109]
	s_wait_loadcnt_dscnt 0x500
	v_mul_f64_e32 v[100:101], v[92:93], v[112:113]
	v_add_f64_e32 v[4:5], v[4:5], v[98:99]
	v_add_f64_e32 v[8:9], v[8:9], v[130:131]
	v_mul_f64_e32 v[98:99], v[90:91], v[112:113]
	v_fmac_f64_e32 v[94:95], v[84:85], v[106:107]
	v_fma_f64 v[102:103], v[82:83], v[106:107], -v[104:105]
	v_fma_f64 v[90:91], v[90:91], v[110:111], -v[100:101]
	v_add_f64_e32 v[4:5], v[4:5], v[86:87]
	v_add_f64_e32 v[8:9], v[8:9], v[96:97]
	ds_load_b128 v[82:85], v2 offset:960
	ds_load_b128 v[86:89], v2 offset:976
	v_fmac_f64_e32 v[98:99], v[92:93], v[110:111]
	s_wait_loadcnt_dscnt 0x401
	v_mul_f64_e32 v[96:97], v[82:83], v[120:121]
	v_mul_f64_e32 v[104:105], v[84:85], v[120:121]
	v_add_f64_e32 v[4:5], v[4:5], v[102:103]
	v_add_f64_e32 v[8:9], v[8:9], v[94:95]
	s_wait_loadcnt_dscnt 0x200
	v_mul_f64_e32 v[92:93], v[86:87], v[12:13]
	v_mul_f64_e32 v[12:13], v[88:89], v[12:13]
	v_fmac_f64_e32 v[96:97], v[84:85], v[118:119]
	v_fma_f64 v[94:95], v[82:83], v[118:119], -v[104:105]
	v_add_f64_e32 v[90:91], v[4:5], v[90:91]
	v_add_f64_e32 v[8:9], v[8:9], v[98:99]
	ds_load_b128 v[82:85], v2 offset:992
	ds_load_b128 v[2:5], v2 offset:1008
	v_fmac_f64_e32 v[92:93], v[88:89], v[10:11]
	v_fma_f64 v[10:11], v[86:87], v[10:11], -v[12:13]
	s_wait_loadcnt_dscnt 0x101
	v_mul_f64_e32 v[98:99], v[82:83], v[136:137]
	v_mul_f64_e32 v[100:101], v[84:85], v[136:137]
	s_wait_loadcnt_dscnt 0x0
	v_mul_f64_e32 v[86:87], v[2:3], v[80:81]
	v_mul_f64_e32 v[80:81], v[4:5], v[80:81]
	v_add_f64_e32 v[12:13], v[90:91], v[94:95]
	v_add_f64_e32 v[8:9], v[8:9], v[96:97]
	v_fmac_f64_e32 v[98:99], v[84:85], v[134:135]
	v_fma_f64 v[82:83], v[82:83], v[134:135], -v[100:101]
	v_fmac_f64_e32 v[86:87], v[4:5], v[78:79]
	v_fma_f64 v[2:3], v[2:3], v[78:79], -v[80:81]
	v_add_f64_e32 v[10:11], v[12:13], v[10:11]
	v_add_f64_e32 v[8:9], v[8:9], v[92:93]
	s_delay_alu instid0(VALU_DEP_2) | instskip(NEXT) | instid1(VALU_DEP_2)
	v_add_f64_e32 v[4:5], v[10:11], v[82:83]
	v_add_f64_e32 v[8:9], v[8:9], v[98:99]
	s_delay_alu instid0(VALU_DEP_2) | instskip(NEXT) | instid1(VALU_DEP_2)
	v_add_f64_e32 v[2:3], v[4:5], v[2:3]
	v_add_f64_e32 v[4:5], v[8:9], v[86:87]
	s_delay_alu instid0(VALU_DEP_2) | instskip(NEXT) | instid1(VALU_DEP_2)
	v_add_f64_e64 v[2:3], v[126:127], -v[2:3]
	v_add_f64_e64 v[4:5], v[128:129], -v[4:5]
	scratch_store_b128 off, v[2:5], off offset:272
	s_wait_xcnt 0x0
	v_cmpx_lt_u32_e32 16, v1
	s_cbranch_execz .LBB95_173
; %bb.172:
	scratch_load_b128 v[2:5], off, s31
	v_mov_b32_e32 v8, 0
	s_delay_alu instid0(VALU_DEP_1)
	v_dual_mov_b32 v9, v8 :: v_dual_mov_b32 v10, v8
	v_mov_b32_e32 v11, v8
	scratch_store_b128 off, v[8:11], off offset:256
	s_wait_loadcnt 0x0
	ds_store_b128 v6, v[2:5]
.LBB95_173:
	s_wait_xcnt 0x0
	s_or_b32 exec_lo, exec_lo, s2
	s_wait_storecnt_dscnt 0x0
	s_barrier_signal -1
	s_barrier_wait -1
	s_clause 0x9
	scratch_load_b128 v[8:11], off, off offset:272
	scratch_load_b128 v[78:81], off, off offset:288
	;; [unrolled: 1-line block ×10, first 2 shown]
	v_mov_b32_e32 v2, 0
	s_mov_b32 s2, exec_lo
	ds_load_b128 v[114:117], v2 offset:784
	s_clause 0x2
	scratch_load_b128 v[118:121], off, off offset:432
	scratch_load_b128 v[122:125], off, off offset:256
	;; [unrolled: 1-line block ×3, first 2 shown]
	s_wait_loadcnt_dscnt 0xc00
	v_mul_f64_e32 v[4:5], v[116:117], v[10:11]
	v_mul_f64_e32 v[138:139], v[114:115], v[10:11]
	ds_load_b128 v[126:129], v2 offset:800
	scratch_load_b128 v[10:13], off, off offset:448
	ds_load_b128 v[134:137], v2 offset:832
	v_fma_f64 v[4:5], v[114:115], v[8:9], -v[4:5]
	v_fmac_f64_e32 v[138:139], v[116:117], v[8:9]
	ds_load_b128 v[114:117], v2 offset:816
	s_wait_loadcnt_dscnt 0xc02
	v_mul_f64_e32 v[140:141], v[126:127], v[80:81]
	v_mul_f64_e32 v[80:81], v[128:129], v[80:81]
	s_wait_loadcnt_dscnt 0xb00
	v_mul_f64_e32 v[8:9], v[114:115], v[84:85]
	v_mul_f64_e32 v[84:85], v[116:117], v[84:85]
	v_add_f64_e32 v[4:5], 0, v[4:5]
	v_fmac_f64_e32 v[140:141], v[128:129], v[78:79]
	v_fma_f64 v[126:127], v[126:127], v[78:79], -v[80:81]
	v_add_f64_e32 v[128:129], 0, v[138:139]
	scratch_load_b128 v[78:81], off, off offset:480
	v_fmac_f64_e32 v[8:9], v[116:117], v[82:83]
	v_fma_f64 v[142:143], v[114:115], v[82:83], -v[84:85]
	ds_load_b128 v[82:85], v2 offset:848
	s_wait_loadcnt 0xb
	v_mul_f64_e32 v[138:139], v[134:135], v[88:89]
	v_mul_f64_e32 v[88:89], v[136:137], v[88:89]
	scratch_load_b128 v[114:117], off, off offset:496
	v_add_f64_e32 v[4:5], v[4:5], v[126:127]
	v_add_f64_e32 v[140:141], v[128:129], v[140:141]
	ds_load_b128 v[126:129], v2 offset:864
	s_wait_loadcnt_dscnt 0xb01
	v_mul_f64_e32 v[144:145], v[82:83], v[92:93]
	v_mul_f64_e32 v[92:93], v[84:85], v[92:93]
	v_fmac_f64_e32 v[138:139], v[136:137], v[86:87]
	v_fma_f64 v[86:87], v[134:135], v[86:87], -v[88:89]
	s_wait_loadcnt_dscnt 0xa00
	v_mul_f64_e32 v[134:135], v[126:127], v[96:97]
	v_mul_f64_e32 v[96:97], v[128:129], v[96:97]
	v_add_f64_e32 v[4:5], v[4:5], v[142:143]
	v_add_f64_e32 v[8:9], v[140:141], v[8:9]
	v_fmac_f64_e32 v[144:145], v[84:85], v[90:91]
	v_fma_f64 v[90:91], v[82:83], v[90:91], -v[92:93]
	v_fmac_f64_e32 v[134:135], v[128:129], v[94:95]
	v_fma_f64 v[94:95], v[126:127], v[94:95], -v[96:97]
	v_add_f64_e32 v[4:5], v[4:5], v[86:87]
	v_add_f64_e32 v[8:9], v[8:9], v[138:139]
	ds_load_b128 v[82:85], v2 offset:880
	ds_load_b128 v[86:89], v2 offset:896
	s_wait_loadcnt_dscnt 0x901
	v_mul_f64_e32 v[136:137], v[82:83], v[100:101]
	v_mul_f64_e32 v[92:93], v[84:85], v[100:101]
	s_wait_loadcnt_dscnt 0x800
	v_mul_f64_e32 v[96:97], v[86:87], v[104:105]
	v_mul_f64_e32 v[100:101], v[88:89], v[104:105]
	v_add_f64_e32 v[4:5], v[4:5], v[90:91]
	v_add_f64_e32 v[8:9], v[8:9], v[144:145]
	v_fmac_f64_e32 v[136:137], v[84:85], v[98:99]
	v_fma_f64 v[98:99], v[82:83], v[98:99], -v[92:93]
	ds_load_b128 v[82:85], v2 offset:912
	ds_load_b128 v[90:93], v2 offset:928
	v_fmac_f64_e32 v[96:97], v[88:89], v[102:103]
	v_fma_f64 v[86:87], v[86:87], v[102:103], -v[100:101]
	v_add_f64_e32 v[4:5], v[4:5], v[94:95]
	v_add_f64_e32 v[8:9], v[8:9], v[134:135]
	s_wait_loadcnt_dscnt 0x701
	v_mul_f64_e32 v[94:95], v[82:83], v[108:109]
	v_mul_f64_e32 v[104:105], v[84:85], v[108:109]
	s_wait_loadcnt_dscnt 0x600
	v_mul_f64_e32 v[100:101], v[92:93], v[112:113]
	v_add_f64_e32 v[4:5], v[4:5], v[98:99]
	v_add_f64_e32 v[8:9], v[8:9], v[136:137]
	v_mul_f64_e32 v[98:99], v[90:91], v[112:113]
	v_fmac_f64_e32 v[94:95], v[84:85], v[106:107]
	v_fma_f64 v[102:103], v[82:83], v[106:107], -v[104:105]
	v_fma_f64 v[90:91], v[90:91], v[110:111], -v[100:101]
	v_add_f64_e32 v[4:5], v[4:5], v[86:87]
	v_add_f64_e32 v[8:9], v[8:9], v[96:97]
	ds_load_b128 v[82:85], v2 offset:944
	ds_load_b128 v[86:89], v2 offset:960
	v_fmac_f64_e32 v[98:99], v[92:93], v[110:111]
	s_wait_loadcnt_dscnt 0x501
	v_mul_f64_e32 v[96:97], v[82:83], v[120:121]
	v_mul_f64_e32 v[104:105], v[84:85], v[120:121]
	v_add_f64_e32 v[4:5], v[4:5], v[102:103]
	v_add_f64_e32 v[8:9], v[8:9], v[94:95]
	s_wait_loadcnt_dscnt 0x200
	v_mul_f64_e32 v[94:95], v[86:87], v[12:13]
	v_mul_f64_e32 v[12:13], v[88:89], v[12:13]
	v_fmac_f64_e32 v[96:97], v[84:85], v[118:119]
	v_fma_f64 v[100:101], v[82:83], v[118:119], -v[104:105]
	v_add_f64_e32 v[4:5], v[4:5], v[90:91]
	v_add_f64_e32 v[8:9], v[8:9], v[98:99]
	ds_load_b128 v[82:85], v2 offset:976
	ds_load_b128 v[90:93], v2 offset:992
	v_fmac_f64_e32 v[94:95], v[88:89], v[10:11]
	v_fma_f64 v[10:11], v[86:87], v[10:11], -v[12:13]
	s_wait_dscnt 0x1
	v_mul_f64_e32 v[98:99], v[82:83], v[132:133]
	v_mul_f64_e32 v[102:103], v[84:85], v[132:133]
	v_add_f64_e32 v[4:5], v[4:5], v[100:101]
	v_add_f64_e32 v[8:9], v[8:9], v[96:97]
	s_wait_loadcnt_dscnt 0x100
	v_mul_f64_e32 v[12:13], v[90:91], v[80:81]
	v_mul_f64_e32 v[80:81], v[92:93], v[80:81]
	v_fmac_f64_e32 v[98:99], v[84:85], v[130:131]
	v_fma_f64 v[82:83], v[82:83], v[130:131], -v[102:103]
	v_add_f64_e32 v[4:5], v[4:5], v[10:11]
	v_add_f64_e32 v[84:85], v[8:9], v[94:95]
	ds_load_b128 v[8:11], v2 offset:1008
	v_fmac_f64_e32 v[12:13], v[92:93], v[78:79]
	v_fma_f64 v[78:79], v[90:91], v[78:79], -v[80:81]
	s_wait_loadcnt_dscnt 0x0
	v_mul_f64_e32 v[86:87], v[8:9], v[116:117]
	v_mul_f64_e32 v[88:89], v[10:11], v[116:117]
	v_add_f64_e32 v[4:5], v[4:5], v[82:83]
	v_add_f64_e32 v[80:81], v[84:85], v[98:99]
	s_delay_alu instid0(VALU_DEP_4) | instskip(NEXT) | instid1(VALU_DEP_4)
	v_fmac_f64_e32 v[86:87], v[10:11], v[114:115]
	v_fma_f64 v[8:9], v[8:9], v[114:115], -v[88:89]
	s_delay_alu instid0(VALU_DEP_4) | instskip(NEXT) | instid1(VALU_DEP_4)
	v_add_f64_e32 v[4:5], v[4:5], v[78:79]
	v_add_f64_e32 v[10:11], v[80:81], v[12:13]
	s_delay_alu instid0(VALU_DEP_2) | instskip(NEXT) | instid1(VALU_DEP_2)
	v_add_f64_e32 v[4:5], v[4:5], v[8:9]
	v_add_f64_e32 v[10:11], v[10:11], v[86:87]
	s_delay_alu instid0(VALU_DEP_2) | instskip(NEXT) | instid1(VALU_DEP_2)
	v_add_f64_e64 v[8:9], v[122:123], -v[4:5]
	v_add_f64_e64 v[10:11], v[124:125], -v[10:11]
	scratch_store_b128 off, v[8:11], off offset:256
	s_wait_xcnt 0x0
	v_cmpx_lt_u32_e32 15, v1
	s_cbranch_execz .LBB95_175
; %bb.174:
	scratch_load_b128 v[8:11], off, s33
	v_dual_mov_b32 v3, v2 :: v_dual_mov_b32 v4, v2
	v_mov_b32_e32 v5, v2
	scratch_store_b128 off, v[2:5], off offset:240
	s_wait_loadcnt 0x0
	ds_store_b128 v6, v[8:11]
.LBB95_175:
	s_wait_xcnt 0x0
	s_or_b32 exec_lo, exec_lo, s2
	s_wait_storecnt_dscnt 0x0
	s_barrier_signal -1
	s_barrier_wait -1
	s_clause 0x9
	scratch_load_b128 v[8:11], off, off offset:256
	scratch_load_b128 v[78:81], off, off offset:272
	;; [unrolled: 1-line block ×10, first 2 shown]
	ds_load_b128 v[114:117], v2 offset:768
	ds_load_b128 v[122:125], v2 offset:784
	s_clause 0x1
	scratch_load_b128 v[118:121], off, off offset:416
	scratch_load_b128 v[126:129], off, off offset:240
	s_mov_b32 s2, exec_lo
	s_wait_loadcnt_dscnt 0xb01
	v_mul_f64_e32 v[4:5], v[116:117], v[10:11]
	v_mul_f64_e32 v[138:139], v[114:115], v[10:11]
	scratch_load_b128 v[10:13], off, off offset:432
	s_wait_loadcnt_dscnt 0xb00
	v_mul_f64_e32 v[140:141], v[122:123], v[80:81]
	v_mul_f64_e32 v[80:81], v[124:125], v[80:81]
	v_fma_f64 v[4:5], v[114:115], v[8:9], -v[4:5]
	v_fmac_f64_e32 v[138:139], v[116:117], v[8:9]
	ds_load_b128 v[114:117], v2 offset:800
	ds_load_b128 v[130:133], v2 offset:816
	scratch_load_b128 v[134:137], off, off offset:448
	v_fmac_f64_e32 v[140:141], v[124:125], v[78:79]
	v_fma_f64 v[122:123], v[122:123], v[78:79], -v[80:81]
	scratch_load_b128 v[78:81], off, off offset:464
	s_wait_loadcnt_dscnt 0xc01
	v_mul_f64_e32 v[8:9], v[114:115], v[84:85]
	v_mul_f64_e32 v[84:85], v[116:117], v[84:85]
	v_add_f64_e32 v[4:5], 0, v[4:5]
	v_add_f64_e32 v[124:125], 0, v[138:139]
	s_wait_loadcnt_dscnt 0xb00
	v_mul_f64_e32 v[138:139], v[130:131], v[88:89]
	v_mul_f64_e32 v[88:89], v[132:133], v[88:89]
	v_fmac_f64_e32 v[8:9], v[116:117], v[82:83]
	v_fma_f64 v[142:143], v[114:115], v[82:83], -v[84:85]
	ds_load_b128 v[82:85], v2 offset:832
	ds_load_b128 v[114:117], v2 offset:848
	v_add_f64_e32 v[4:5], v[4:5], v[122:123]
	v_add_f64_e32 v[140:141], v[124:125], v[140:141]
	scratch_load_b128 v[122:125], off, off offset:480
	v_fmac_f64_e32 v[138:139], v[132:133], v[86:87]
	v_fma_f64 v[130:131], v[130:131], v[86:87], -v[88:89]
	scratch_load_b128 v[86:89], off, off offset:496
	s_wait_loadcnt_dscnt 0xc01
	v_mul_f64_e32 v[144:145], v[82:83], v[92:93]
	v_mul_f64_e32 v[92:93], v[84:85], v[92:93]
	s_wait_loadcnt_dscnt 0xb00
	v_mul_f64_e32 v[132:133], v[114:115], v[96:97]
	v_mul_f64_e32 v[96:97], v[116:117], v[96:97]
	v_add_f64_e32 v[4:5], v[4:5], v[142:143]
	v_add_f64_e32 v[8:9], v[140:141], v[8:9]
	v_fmac_f64_e32 v[144:145], v[84:85], v[90:91]
	v_fma_f64 v[140:141], v[82:83], v[90:91], -v[92:93]
	ds_load_b128 v[82:85], v2 offset:864
	ds_load_b128 v[90:93], v2 offset:880
	v_fmac_f64_e32 v[132:133], v[116:117], v[94:95]
	v_fma_f64 v[94:95], v[114:115], v[94:95], -v[96:97]
	s_wait_loadcnt_dscnt 0x900
	v_mul_f64_e32 v[114:115], v[90:91], v[104:105]
	v_add_f64_e32 v[4:5], v[4:5], v[130:131]
	v_add_f64_e32 v[8:9], v[8:9], v[138:139]
	v_mul_f64_e32 v[130:131], v[82:83], v[100:101]
	v_mul_f64_e32 v[100:101], v[84:85], v[100:101]
	;; [unrolled: 1-line block ×3, first 2 shown]
	v_fmac_f64_e32 v[114:115], v[92:93], v[102:103]
	v_add_f64_e32 v[4:5], v[4:5], v[140:141]
	v_add_f64_e32 v[8:9], v[8:9], v[144:145]
	v_fmac_f64_e32 v[130:131], v[84:85], v[98:99]
	v_fma_f64 v[98:99], v[82:83], v[98:99], -v[100:101]
	v_fma_f64 v[90:91], v[90:91], v[102:103], -v[104:105]
	v_add_f64_e32 v[4:5], v[4:5], v[94:95]
	v_add_f64_e32 v[8:9], v[8:9], v[132:133]
	ds_load_b128 v[82:85], v2 offset:896
	ds_load_b128 v[94:97], v2 offset:912
	s_wait_loadcnt_dscnt 0x801
	v_mul_f64_e32 v[100:101], v[82:83], v[108:109]
	v_mul_f64_e32 v[108:109], v[84:85], v[108:109]
	s_wait_loadcnt_dscnt 0x700
	v_mul_f64_e32 v[102:103], v[96:97], v[112:113]
	v_add_f64_e32 v[4:5], v[4:5], v[98:99]
	v_add_f64_e32 v[8:9], v[8:9], v[130:131]
	v_mul_f64_e32 v[98:99], v[94:95], v[112:113]
	v_fmac_f64_e32 v[100:101], v[84:85], v[106:107]
	v_fma_f64 v[104:105], v[82:83], v[106:107], -v[108:109]
	v_fma_f64 v[94:95], v[94:95], v[110:111], -v[102:103]
	v_add_f64_e32 v[4:5], v[4:5], v[90:91]
	v_add_f64_e32 v[8:9], v[8:9], v[114:115]
	ds_load_b128 v[82:85], v2 offset:928
	ds_load_b128 v[90:93], v2 offset:944
	v_fmac_f64_e32 v[98:99], v[96:97], v[110:111]
	s_wait_loadcnt_dscnt 0x601
	v_mul_f64_e32 v[106:107], v[82:83], v[120:121]
	v_mul_f64_e32 v[108:109], v[84:85], v[120:121]
	v_add_f64_e32 v[4:5], v[4:5], v[104:105]
	v_add_f64_e32 v[8:9], v[8:9], v[100:101]
	s_wait_loadcnt_dscnt 0x400
	v_mul_f64_e32 v[100:101], v[90:91], v[12:13]
	v_mul_f64_e32 v[12:13], v[92:93], v[12:13]
	v_fmac_f64_e32 v[106:107], v[84:85], v[118:119]
	v_fma_f64 v[102:103], v[82:83], v[118:119], -v[108:109]
	v_add_f64_e32 v[4:5], v[4:5], v[94:95]
	v_add_f64_e32 v[8:9], v[8:9], v[98:99]
	ds_load_b128 v[82:85], v2 offset:960
	ds_load_b128 v[94:97], v2 offset:976
	v_fmac_f64_e32 v[100:101], v[92:93], v[10:11]
	v_fma_f64 v[10:11], v[90:91], v[10:11], -v[12:13]
	s_wait_loadcnt_dscnt 0x301
	v_mul_f64_e32 v[98:99], v[82:83], v[136:137]
	v_mul_f64_e32 v[104:105], v[84:85], v[136:137]
	s_wait_loadcnt_dscnt 0x200
	v_mul_f64_e32 v[12:13], v[94:95], v[80:81]
	v_mul_f64_e32 v[80:81], v[96:97], v[80:81]
	v_add_f64_e32 v[4:5], v[4:5], v[102:103]
	v_add_f64_e32 v[8:9], v[8:9], v[106:107]
	v_fmac_f64_e32 v[98:99], v[84:85], v[134:135]
	v_fma_f64 v[82:83], v[82:83], v[134:135], -v[104:105]
	v_fmac_f64_e32 v[12:13], v[96:97], v[78:79]
	v_fma_f64 v[78:79], v[94:95], v[78:79], -v[80:81]
	v_add_f64_e32 v[84:85], v[4:5], v[10:11]
	v_add_f64_e32 v[90:91], v[8:9], v[100:101]
	ds_load_b128 v[8:11], v2 offset:992
	ds_load_b128 v[2:5], v2 offset:1008
	s_wait_loadcnt_dscnt 0x101
	v_mul_f64_e32 v[92:93], v[8:9], v[124:125]
	v_mul_f64_e32 v[100:101], v[10:11], v[124:125]
	v_add_f64_e32 v[80:81], v[84:85], v[82:83]
	v_add_f64_e32 v[82:83], v[90:91], v[98:99]
	s_wait_loadcnt_dscnt 0x0
	v_mul_f64_e32 v[84:85], v[2:3], v[88:89]
	v_mul_f64_e32 v[88:89], v[4:5], v[88:89]
	v_fmac_f64_e32 v[92:93], v[10:11], v[122:123]
	v_fma_f64 v[8:9], v[8:9], v[122:123], -v[100:101]
	v_add_f64_e32 v[10:11], v[80:81], v[78:79]
	v_add_f64_e32 v[12:13], v[82:83], v[12:13]
	v_fmac_f64_e32 v[84:85], v[4:5], v[86:87]
	v_fma_f64 v[2:3], v[2:3], v[86:87], -v[88:89]
	s_delay_alu instid0(VALU_DEP_4) | instskip(NEXT) | instid1(VALU_DEP_4)
	v_add_f64_e32 v[4:5], v[10:11], v[8:9]
	v_add_f64_e32 v[8:9], v[12:13], v[92:93]
	s_delay_alu instid0(VALU_DEP_2) | instskip(NEXT) | instid1(VALU_DEP_2)
	v_add_f64_e32 v[2:3], v[4:5], v[2:3]
	v_add_f64_e32 v[4:5], v[8:9], v[84:85]
	s_delay_alu instid0(VALU_DEP_2) | instskip(NEXT) | instid1(VALU_DEP_2)
	v_add_f64_e64 v[2:3], v[126:127], -v[2:3]
	v_add_f64_e64 v[4:5], v[128:129], -v[4:5]
	scratch_store_b128 off, v[2:5], off offset:240
	s_wait_xcnt 0x0
	v_cmpx_lt_u32_e32 14, v1
	s_cbranch_execz .LBB95_177
; %bb.176:
	scratch_load_b128 v[2:5], off, s34
	v_mov_b32_e32 v8, 0
	s_delay_alu instid0(VALU_DEP_1)
	v_dual_mov_b32 v9, v8 :: v_dual_mov_b32 v10, v8
	v_mov_b32_e32 v11, v8
	scratch_store_b128 off, v[8:11], off offset:224
	s_wait_loadcnt 0x0
	ds_store_b128 v6, v[2:5]
.LBB95_177:
	s_wait_xcnt 0x0
	s_or_b32 exec_lo, exec_lo, s2
	s_wait_storecnt_dscnt 0x0
	s_barrier_signal -1
	s_barrier_wait -1
	s_clause 0x9
	scratch_load_b128 v[8:11], off, off offset:240
	scratch_load_b128 v[78:81], off, off offset:256
	;; [unrolled: 1-line block ×10, first 2 shown]
	v_mov_b32_e32 v2, 0
	s_mov_b32 s2, exec_lo
	ds_load_b128 v[114:117], v2 offset:752
	s_clause 0x2
	scratch_load_b128 v[118:121], off, off offset:400
	scratch_load_b128 v[122:125], off, off offset:224
	;; [unrolled: 1-line block ×3, first 2 shown]
	s_wait_loadcnt_dscnt 0xc00
	v_mul_f64_e32 v[4:5], v[116:117], v[10:11]
	v_mul_f64_e32 v[138:139], v[114:115], v[10:11]
	ds_load_b128 v[126:129], v2 offset:768
	scratch_load_b128 v[10:13], off, off offset:416
	ds_load_b128 v[134:137], v2 offset:800
	v_fma_f64 v[4:5], v[114:115], v[8:9], -v[4:5]
	v_fmac_f64_e32 v[138:139], v[116:117], v[8:9]
	ds_load_b128 v[114:117], v2 offset:784
	s_wait_loadcnt_dscnt 0xc02
	v_mul_f64_e32 v[140:141], v[126:127], v[80:81]
	v_mul_f64_e32 v[80:81], v[128:129], v[80:81]
	s_wait_loadcnt_dscnt 0xb00
	v_mul_f64_e32 v[8:9], v[114:115], v[84:85]
	v_mul_f64_e32 v[84:85], v[116:117], v[84:85]
	v_add_f64_e32 v[4:5], 0, v[4:5]
	v_fmac_f64_e32 v[140:141], v[128:129], v[78:79]
	v_fma_f64 v[126:127], v[126:127], v[78:79], -v[80:81]
	v_add_f64_e32 v[128:129], 0, v[138:139]
	scratch_load_b128 v[78:81], off, off offset:448
	v_fmac_f64_e32 v[8:9], v[116:117], v[82:83]
	v_fma_f64 v[142:143], v[114:115], v[82:83], -v[84:85]
	ds_load_b128 v[82:85], v2 offset:816
	s_wait_loadcnt 0xb
	v_mul_f64_e32 v[138:139], v[134:135], v[88:89]
	v_mul_f64_e32 v[88:89], v[136:137], v[88:89]
	scratch_load_b128 v[114:117], off, off offset:464
	v_add_f64_e32 v[4:5], v[4:5], v[126:127]
	v_add_f64_e32 v[140:141], v[128:129], v[140:141]
	ds_load_b128 v[126:129], v2 offset:832
	s_wait_loadcnt_dscnt 0xb01
	v_mul_f64_e32 v[144:145], v[82:83], v[92:93]
	v_mul_f64_e32 v[92:93], v[84:85], v[92:93]
	v_fmac_f64_e32 v[138:139], v[136:137], v[86:87]
	v_fma_f64 v[134:135], v[134:135], v[86:87], -v[88:89]
	scratch_load_b128 v[86:89], off, off offset:480
	v_add_f64_e32 v[4:5], v[4:5], v[142:143]
	v_add_f64_e32 v[8:9], v[140:141], v[8:9]
	v_fmac_f64_e32 v[144:145], v[84:85], v[90:91]
	v_fma_f64 v[142:143], v[82:83], v[90:91], -v[92:93]
	ds_load_b128 v[82:85], v2 offset:848
	s_wait_loadcnt_dscnt 0xb01
	v_mul_f64_e32 v[140:141], v[126:127], v[96:97]
	v_mul_f64_e32 v[96:97], v[128:129], v[96:97]
	scratch_load_b128 v[90:93], off, off offset:496
	v_add_f64_e32 v[4:5], v[4:5], v[134:135]
	v_add_f64_e32 v[8:9], v[8:9], v[138:139]
	s_wait_loadcnt_dscnt 0xb00
	v_mul_f64_e32 v[138:139], v[82:83], v[100:101]
	v_mul_f64_e32 v[100:101], v[84:85], v[100:101]
	ds_load_b128 v[134:137], v2 offset:864
	v_fmac_f64_e32 v[140:141], v[128:129], v[94:95]
	v_fma_f64 v[94:95], v[126:127], v[94:95], -v[96:97]
	s_wait_loadcnt_dscnt 0xa00
	v_mul_f64_e32 v[126:127], v[134:135], v[104:105]
	v_mul_f64_e32 v[104:105], v[136:137], v[104:105]
	v_add_f64_e32 v[4:5], v[4:5], v[142:143]
	v_add_f64_e32 v[8:9], v[8:9], v[144:145]
	v_fmac_f64_e32 v[138:139], v[84:85], v[98:99]
	v_fma_f64 v[98:99], v[82:83], v[98:99], -v[100:101]
	v_fmac_f64_e32 v[126:127], v[136:137], v[102:103]
	v_fma_f64 v[102:103], v[134:135], v[102:103], -v[104:105]
	v_add_f64_e32 v[4:5], v[4:5], v[94:95]
	v_add_f64_e32 v[8:9], v[8:9], v[140:141]
	ds_load_b128 v[82:85], v2 offset:880
	ds_load_b128 v[94:97], v2 offset:896
	s_wait_loadcnt_dscnt 0x901
	v_mul_f64_e32 v[128:129], v[82:83], v[108:109]
	v_mul_f64_e32 v[100:101], v[84:85], v[108:109]
	s_wait_loadcnt_dscnt 0x800
	v_mul_f64_e32 v[104:105], v[94:95], v[112:113]
	v_mul_f64_e32 v[108:109], v[96:97], v[112:113]
	v_add_f64_e32 v[4:5], v[4:5], v[98:99]
	v_add_f64_e32 v[8:9], v[8:9], v[138:139]
	v_fmac_f64_e32 v[128:129], v[84:85], v[106:107]
	v_fma_f64 v[106:107], v[82:83], v[106:107], -v[100:101]
	ds_load_b128 v[82:85], v2 offset:912
	ds_load_b128 v[98:101], v2 offset:928
	v_fmac_f64_e32 v[104:105], v[96:97], v[110:111]
	v_fma_f64 v[94:95], v[94:95], v[110:111], -v[108:109]
	v_add_f64_e32 v[4:5], v[4:5], v[102:103]
	v_add_f64_e32 v[8:9], v[8:9], v[126:127]
	s_wait_loadcnt_dscnt 0x701
	v_mul_f64_e32 v[102:103], v[82:83], v[120:121]
	v_mul_f64_e32 v[112:113], v[84:85], v[120:121]
	s_delay_alu instid0(VALU_DEP_4) | instskip(NEXT) | instid1(VALU_DEP_4)
	v_add_f64_e32 v[4:5], v[4:5], v[106:107]
	v_add_f64_e32 v[8:9], v[8:9], v[128:129]
	s_wait_loadcnt_dscnt 0x400
	v_mul_f64_e32 v[106:107], v[98:99], v[12:13]
	v_mul_f64_e32 v[12:13], v[100:101], v[12:13]
	v_fmac_f64_e32 v[102:103], v[84:85], v[118:119]
	v_fma_f64 v[108:109], v[82:83], v[118:119], -v[112:113]
	v_add_f64_e32 v[4:5], v[4:5], v[94:95]
	v_add_f64_e32 v[8:9], v[8:9], v[104:105]
	ds_load_b128 v[82:85], v2 offset:944
	ds_load_b128 v[94:97], v2 offset:960
	v_fmac_f64_e32 v[106:107], v[100:101], v[10:11]
	v_fma_f64 v[10:11], v[98:99], v[10:11], -v[12:13]
	s_wait_dscnt 0x1
	v_mul_f64_e32 v[104:105], v[82:83], v[132:133]
	v_mul_f64_e32 v[110:111], v[84:85], v[132:133]
	v_add_f64_e32 v[4:5], v[4:5], v[108:109]
	v_add_f64_e32 v[8:9], v[8:9], v[102:103]
	s_wait_loadcnt_dscnt 0x300
	v_mul_f64_e32 v[12:13], v[94:95], v[80:81]
	v_mul_f64_e32 v[98:99], v[96:97], v[80:81]
	v_fmac_f64_e32 v[104:105], v[84:85], v[130:131]
	v_fma_f64 v[84:85], v[82:83], v[130:131], -v[110:111]
	v_add_f64_e32 v[4:5], v[4:5], v[10:11]
	v_add_f64_e32 v[100:101], v[8:9], v[106:107]
	ds_load_b128 v[8:11], v2 offset:976
	ds_load_b128 v[80:83], v2 offset:992
	v_fmac_f64_e32 v[12:13], v[96:97], v[78:79]
	v_fma_f64 v[78:79], v[94:95], v[78:79], -v[98:99]
	s_wait_loadcnt_dscnt 0x201
	v_mul_f64_e32 v[102:103], v[8:9], v[116:117]
	v_mul_f64_e32 v[106:107], v[10:11], v[116:117]
	s_wait_loadcnt_dscnt 0x100
	v_mul_f64_e32 v[94:95], v[80:81], v[88:89]
	v_mul_f64_e32 v[88:89], v[82:83], v[88:89]
	v_add_f64_e32 v[4:5], v[4:5], v[84:85]
	v_add_f64_e32 v[84:85], v[100:101], v[104:105]
	v_fmac_f64_e32 v[102:103], v[10:11], v[114:115]
	v_fma_f64 v[96:97], v[8:9], v[114:115], -v[106:107]
	ds_load_b128 v[8:11], v2 offset:1008
	v_fmac_f64_e32 v[94:95], v[82:83], v[86:87]
	v_fma_f64 v[80:81], v[80:81], v[86:87], -v[88:89]
	v_add_f64_e32 v[4:5], v[4:5], v[78:79]
	v_add_f64_e32 v[12:13], v[84:85], v[12:13]
	s_wait_loadcnt_dscnt 0x0
	v_mul_f64_e32 v[78:79], v[8:9], v[92:93]
	v_mul_f64_e32 v[84:85], v[10:11], v[92:93]
	s_delay_alu instid0(VALU_DEP_4) | instskip(NEXT) | instid1(VALU_DEP_4)
	v_add_f64_e32 v[4:5], v[4:5], v[96:97]
	v_add_f64_e32 v[12:13], v[12:13], v[102:103]
	s_delay_alu instid0(VALU_DEP_4) | instskip(NEXT) | instid1(VALU_DEP_4)
	v_fmac_f64_e32 v[78:79], v[10:11], v[90:91]
	v_fma_f64 v[8:9], v[8:9], v[90:91], -v[84:85]
	s_delay_alu instid0(VALU_DEP_4) | instskip(NEXT) | instid1(VALU_DEP_4)
	v_add_f64_e32 v[4:5], v[4:5], v[80:81]
	v_add_f64_e32 v[10:11], v[12:13], v[94:95]
	s_delay_alu instid0(VALU_DEP_2) | instskip(NEXT) | instid1(VALU_DEP_2)
	v_add_f64_e32 v[4:5], v[4:5], v[8:9]
	v_add_f64_e32 v[10:11], v[10:11], v[78:79]
	s_delay_alu instid0(VALU_DEP_2) | instskip(NEXT) | instid1(VALU_DEP_2)
	v_add_f64_e64 v[8:9], v[122:123], -v[4:5]
	v_add_f64_e64 v[10:11], v[124:125], -v[10:11]
	scratch_store_b128 off, v[8:11], off offset:224
	s_wait_xcnt 0x0
	v_cmpx_lt_u32_e32 13, v1
	s_cbranch_execz .LBB95_179
; %bb.178:
	scratch_load_b128 v[8:11], off, s35
	v_dual_mov_b32 v3, v2 :: v_dual_mov_b32 v4, v2
	v_mov_b32_e32 v5, v2
	scratch_store_b128 off, v[2:5], off offset:208
	s_wait_loadcnt 0x0
	ds_store_b128 v6, v[8:11]
.LBB95_179:
	s_wait_xcnt 0x0
	s_or_b32 exec_lo, exec_lo, s2
	s_wait_storecnt_dscnt 0x0
	s_barrier_signal -1
	s_barrier_wait -1
	s_clause 0x9
	scratch_load_b128 v[8:11], off, off offset:224
	scratch_load_b128 v[78:81], off, off offset:240
	;; [unrolled: 1-line block ×10, first 2 shown]
	ds_load_b128 v[114:117], v2 offset:736
	ds_load_b128 v[122:125], v2 offset:752
	s_clause 0x1
	scratch_load_b128 v[118:121], off, off offset:384
	scratch_load_b128 v[126:129], off, off offset:208
	s_mov_b32 s2, exec_lo
	s_wait_loadcnt_dscnt 0xb01
	v_mul_f64_e32 v[4:5], v[116:117], v[10:11]
	v_mul_f64_e32 v[138:139], v[114:115], v[10:11]
	scratch_load_b128 v[10:13], off, off offset:400
	s_wait_loadcnt_dscnt 0xb00
	v_mul_f64_e32 v[140:141], v[122:123], v[80:81]
	v_mul_f64_e32 v[80:81], v[124:125], v[80:81]
	v_fma_f64 v[4:5], v[114:115], v[8:9], -v[4:5]
	v_fmac_f64_e32 v[138:139], v[116:117], v[8:9]
	ds_load_b128 v[114:117], v2 offset:768
	ds_load_b128 v[130:133], v2 offset:784
	scratch_load_b128 v[134:137], off, off offset:416
	v_fmac_f64_e32 v[140:141], v[124:125], v[78:79]
	v_fma_f64 v[122:123], v[122:123], v[78:79], -v[80:81]
	scratch_load_b128 v[78:81], off, off offset:432
	s_wait_loadcnt_dscnt 0xc01
	v_mul_f64_e32 v[8:9], v[114:115], v[84:85]
	v_mul_f64_e32 v[84:85], v[116:117], v[84:85]
	v_add_f64_e32 v[4:5], 0, v[4:5]
	v_add_f64_e32 v[124:125], 0, v[138:139]
	s_wait_loadcnt_dscnt 0xb00
	v_mul_f64_e32 v[138:139], v[130:131], v[88:89]
	v_mul_f64_e32 v[88:89], v[132:133], v[88:89]
	v_fmac_f64_e32 v[8:9], v[116:117], v[82:83]
	v_fma_f64 v[142:143], v[114:115], v[82:83], -v[84:85]
	ds_load_b128 v[82:85], v2 offset:800
	ds_load_b128 v[114:117], v2 offset:816
	v_add_f64_e32 v[4:5], v[4:5], v[122:123]
	v_add_f64_e32 v[140:141], v[124:125], v[140:141]
	scratch_load_b128 v[122:125], off, off offset:448
	v_fmac_f64_e32 v[138:139], v[132:133], v[86:87]
	v_fma_f64 v[130:131], v[130:131], v[86:87], -v[88:89]
	scratch_load_b128 v[86:89], off, off offset:464
	s_wait_loadcnt_dscnt 0xc01
	v_mul_f64_e32 v[144:145], v[82:83], v[92:93]
	v_mul_f64_e32 v[92:93], v[84:85], v[92:93]
	v_add_f64_e32 v[4:5], v[4:5], v[142:143]
	v_add_f64_e32 v[8:9], v[140:141], v[8:9]
	s_wait_loadcnt_dscnt 0xb00
	v_mul_f64_e32 v[140:141], v[114:115], v[96:97]
	v_mul_f64_e32 v[96:97], v[116:117], v[96:97]
	v_fmac_f64_e32 v[144:145], v[84:85], v[90:91]
	v_fma_f64 v[142:143], v[82:83], v[90:91], -v[92:93]
	ds_load_b128 v[82:85], v2 offset:832
	ds_load_b128 v[90:93], v2 offset:848
	v_add_f64_e32 v[4:5], v[4:5], v[130:131]
	v_add_f64_e32 v[8:9], v[8:9], v[138:139]
	scratch_load_b128 v[130:133], off, off offset:480
	s_wait_loadcnt_dscnt 0xb01
	v_mul_f64_e32 v[138:139], v[82:83], v[100:101]
	v_mul_f64_e32 v[100:101], v[84:85], v[100:101]
	v_fmac_f64_e32 v[140:141], v[116:117], v[94:95]
	v_fma_f64 v[114:115], v[114:115], v[94:95], -v[96:97]
	scratch_load_b128 v[94:97], off, off offset:496
	s_wait_loadcnt_dscnt 0xb00
	v_mul_f64_e32 v[116:117], v[90:91], v[104:105]
	v_mul_f64_e32 v[104:105], v[92:93], v[104:105]
	v_add_f64_e32 v[4:5], v[4:5], v[142:143]
	v_add_f64_e32 v[8:9], v[8:9], v[144:145]
	v_fmac_f64_e32 v[138:139], v[84:85], v[98:99]
	v_fma_f64 v[142:143], v[82:83], v[98:99], -v[100:101]
	ds_load_b128 v[82:85], v2 offset:864
	ds_load_b128 v[98:101], v2 offset:880
	v_fmac_f64_e32 v[116:117], v[92:93], v[102:103]
	v_fma_f64 v[90:91], v[90:91], v[102:103], -v[104:105]
	s_wait_loadcnt_dscnt 0x900
	v_mul_f64_e32 v[102:103], v[98:99], v[112:113]
	v_mul_f64_e32 v[104:105], v[100:101], v[112:113]
	v_add_f64_e32 v[4:5], v[4:5], v[114:115]
	v_add_f64_e32 v[8:9], v[8:9], v[140:141]
	v_mul_f64_e32 v[114:115], v[82:83], v[108:109]
	v_mul_f64_e32 v[108:109], v[84:85], v[108:109]
	v_fmac_f64_e32 v[102:103], v[100:101], v[110:111]
	v_fma_f64 v[98:99], v[98:99], v[110:111], -v[104:105]
	v_add_f64_e32 v[4:5], v[4:5], v[142:143]
	v_add_f64_e32 v[8:9], v[8:9], v[138:139]
	v_fmac_f64_e32 v[114:115], v[84:85], v[106:107]
	v_fma_f64 v[106:107], v[82:83], v[106:107], -v[108:109]
	s_delay_alu instid0(VALU_DEP_4) | instskip(NEXT) | instid1(VALU_DEP_4)
	v_add_f64_e32 v[4:5], v[4:5], v[90:91]
	v_add_f64_e32 v[8:9], v[8:9], v[116:117]
	ds_load_b128 v[82:85], v2 offset:896
	ds_load_b128 v[90:93], v2 offset:912
	s_wait_loadcnt_dscnt 0x801
	v_mul_f64_e32 v[108:109], v[82:83], v[120:121]
	v_mul_f64_e32 v[112:113], v[84:85], v[120:121]
	v_add_f64_e32 v[4:5], v[4:5], v[106:107]
	v_add_f64_e32 v[8:9], v[8:9], v[114:115]
	s_wait_loadcnt_dscnt 0x600
	v_mul_f64_e32 v[104:105], v[90:91], v[12:13]
	v_mul_f64_e32 v[12:13], v[92:93], v[12:13]
	v_fmac_f64_e32 v[108:109], v[84:85], v[118:119]
	v_fma_f64 v[106:107], v[82:83], v[118:119], -v[112:113]
	v_add_f64_e32 v[4:5], v[4:5], v[98:99]
	v_add_f64_e32 v[8:9], v[8:9], v[102:103]
	ds_load_b128 v[82:85], v2 offset:928
	ds_load_b128 v[98:101], v2 offset:944
	v_fmac_f64_e32 v[104:105], v[92:93], v[10:11]
	v_fma_f64 v[10:11], v[90:91], v[10:11], -v[12:13]
	s_wait_loadcnt_dscnt 0x501
	v_mul_f64_e32 v[102:103], v[82:83], v[136:137]
	v_mul_f64_e32 v[110:111], v[84:85], v[136:137]
	s_wait_loadcnt_dscnt 0x400
	v_mul_f64_e32 v[12:13], v[98:99], v[80:81]
	v_mul_f64_e32 v[90:91], v[100:101], v[80:81]
	v_add_f64_e32 v[4:5], v[4:5], v[106:107]
	v_add_f64_e32 v[8:9], v[8:9], v[108:109]
	v_fmac_f64_e32 v[102:103], v[84:85], v[134:135]
	v_fma_f64 v[84:85], v[82:83], v[134:135], -v[110:111]
	v_fmac_f64_e32 v[12:13], v[100:101], v[78:79]
	v_fma_f64 v[78:79], v[98:99], v[78:79], -v[90:91]
	v_add_f64_e32 v[4:5], v[4:5], v[10:11]
	v_add_f64_e32 v[92:93], v[8:9], v[104:105]
	ds_load_b128 v[8:11], v2 offset:960
	ds_load_b128 v[80:83], v2 offset:976
	s_wait_loadcnt_dscnt 0x301
	v_mul_f64_e32 v[104:105], v[8:9], v[124:125]
	v_mul_f64_e32 v[106:107], v[10:11], v[124:125]
	s_wait_loadcnt_dscnt 0x200
	v_mul_f64_e32 v[90:91], v[80:81], v[88:89]
	v_mul_f64_e32 v[88:89], v[82:83], v[88:89]
	v_add_f64_e32 v[4:5], v[4:5], v[84:85]
	v_add_f64_e32 v[84:85], v[92:93], v[102:103]
	v_fmac_f64_e32 v[104:105], v[10:11], v[122:123]
	v_fma_f64 v[92:93], v[8:9], v[122:123], -v[106:107]
	v_fmac_f64_e32 v[90:91], v[82:83], v[86:87]
	v_fma_f64 v[80:81], v[80:81], v[86:87], -v[88:89]
	v_add_f64_e32 v[78:79], v[4:5], v[78:79]
	v_add_f64_e32 v[12:13], v[84:85], v[12:13]
	ds_load_b128 v[8:11], v2 offset:992
	ds_load_b128 v[2:5], v2 offset:1008
	s_wait_loadcnt_dscnt 0x101
	v_mul_f64_e32 v[84:85], v[8:9], v[132:133]
	v_mul_f64_e32 v[98:99], v[10:11], v[132:133]
	s_wait_loadcnt_dscnt 0x0
	v_mul_f64_e32 v[82:83], v[2:3], v[96:97]
	v_mul_f64_e32 v[86:87], v[4:5], v[96:97]
	v_add_f64_e32 v[78:79], v[78:79], v[92:93]
	v_add_f64_e32 v[12:13], v[12:13], v[104:105]
	v_fmac_f64_e32 v[84:85], v[10:11], v[130:131]
	v_fma_f64 v[8:9], v[8:9], v[130:131], -v[98:99]
	v_fmac_f64_e32 v[82:83], v[4:5], v[94:95]
	v_fma_f64 v[2:3], v[2:3], v[94:95], -v[86:87]
	v_add_f64_e32 v[10:11], v[78:79], v[80:81]
	v_add_f64_e32 v[12:13], v[12:13], v[90:91]
	s_delay_alu instid0(VALU_DEP_2) | instskip(NEXT) | instid1(VALU_DEP_2)
	v_add_f64_e32 v[4:5], v[10:11], v[8:9]
	v_add_f64_e32 v[8:9], v[12:13], v[84:85]
	s_delay_alu instid0(VALU_DEP_2) | instskip(NEXT) | instid1(VALU_DEP_2)
	v_add_f64_e32 v[2:3], v[4:5], v[2:3]
	v_add_f64_e32 v[4:5], v[8:9], v[82:83]
	s_delay_alu instid0(VALU_DEP_2) | instskip(NEXT) | instid1(VALU_DEP_2)
	v_add_f64_e64 v[2:3], v[126:127], -v[2:3]
	v_add_f64_e64 v[4:5], v[128:129], -v[4:5]
	scratch_store_b128 off, v[2:5], off offset:208
	s_wait_xcnt 0x0
	v_cmpx_lt_u32_e32 12, v1
	s_cbranch_execz .LBB95_181
; %bb.180:
	scratch_load_b128 v[2:5], off, s36
	v_mov_b32_e32 v8, 0
	s_delay_alu instid0(VALU_DEP_1)
	v_dual_mov_b32 v9, v8 :: v_dual_mov_b32 v10, v8
	v_mov_b32_e32 v11, v8
	scratch_store_b128 off, v[8:11], off offset:192
	s_wait_loadcnt 0x0
	ds_store_b128 v6, v[2:5]
.LBB95_181:
	s_wait_xcnt 0x0
	s_or_b32 exec_lo, exec_lo, s2
	s_wait_storecnt_dscnt 0x0
	s_barrier_signal -1
	s_barrier_wait -1
	s_clause 0x9
	scratch_load_b128 v[8:11], off, off offset:208
	scratch_load_b128 v[78:81], off, off offset:224
	;; [unrolled: 1-line block ×10, first 2 shown]
	v_mov_b32_e32 v2, 0
	s_mov_b32 s2, exec_lo
	ds_load_b128 v[114:117], v2 offset:720
	s_clause 0x2
	scratch_load_b128 v[118:121], off, off offset:368
	scratch_load_b128 v[122:125], off, off offset:192
	;; [unrolled: 1-line block ×3, first 2 shown]
	s_wait_loadcnt_dscnt 0xc00
	v_mul_f64_e32 v[4:5], v[116:117], v[10:11]
	v_mul_f64_e32 v[138:139], v[114:115], v[10:11]
	ds_load_b128 v[126:129], v2 offset:736
	scratch_load_b128 v[10:13], off, off offset:384
	ds_load_b128 v[134:137], v2 offset:768
	v_fma_f64 v[4:5], v[114:115], v[8:9], -v[4:5]
	v_fmac_f64_e32 v[138:139], v[116:117], v[8:9]
	ds_load_b128 v[114:117], v2 offset:752
	s_wait_loadcnt_dscnt 0xc02
	v_mul_f64_e32 v[140:141], v[126:127], v[80:81]
	v_mul_f64_e32 v[80:81], v[128:129], v[80:81]
	s_wait_loadcnt_dscnt 0xb00
	v_mul_f64_e32 v[8:9], v[114:115], v[84:85]
	v_mul_f64_e32 v[84:85], v[116:117], v[84:85]
	v_add_f64_e32 v[4:5], 0, v[4:5]
	v_fmac_f64_e32 v[140:141], v[128:129], v[78:79]
	v_fma_f64 v[126:127], v[126:127], v[78:79], -v[80:81]
	v_add_f64_e32 v[128:129], 0, v[138:139]
	scratch_load_b128 v[78:81], off, off offset:416
	v_fmac_f64_e32 v[8:9], v[116:117], v[82:83]
	v_fma_f64 v[142:143], v[114:115], v[82:83], -v[84:85]
	ds_load_b128 v[82:85], v2 offset:784
	s_wait_loadcnt 0xb
	v_mul_f64_e32 v[138:139], v[134:135], v[88:89]
	v_mul_f64_e32 v[88:89], v[136:137], v[88:89]
	scratch_load_b128 v[114:117], off, off offset:432
	v_add_f64_e32 v[4:5], v[4:5], v[126:127]
	v_add_f64_e32 v[140:141], v[128:129], v[140:141]
	ds_load_b128 v[126:129], v2 offset:800
	s_wait_loadcnt_dscnt 0xb01
	v_mul_f64_e32 v[144:145], v[82:83], v[92:93]
	v_mul_f64_e32 v[92:93], v[84:85], v[92:93]
	v_fmac_f64_e32 v[138:139], v[136:137], v[86:87]
	v_fma_f64 v[134:135], v[134:135], v[86:87], -v[88:89]
	scratch_load_b128 v[86:89], off, off offset:448
	v_add_f64_e32 v[4:5], v[4:5], v[142:143]
	v_add_f64_e32 v[8:9], v[140:141], v[8:9]
	v_fmac_f64_e32 v[144:145], v[84:85], v[90:91]
	v_fma_f64 v[142:143], v[82:83], v[90:91], -v[92:93]
	ds_load_b128 v[82:85], v2 offset:816
	s_wait_loadcnt_dscnt 0xb01
	v_mul_f64_e32 v[140:141], v[126:127], v[96:97]
	v_mul_f64_e32 v[96:97], v[128:129], v[96:97]
	scratch_load_b128 v[90:93], off, off offset:464
	v_add_f64_e32 v[4:5], v[4:5], v[134:135]
	v_add_f64_e32 v[8:9], v[8:9], v[138:139]
	s_wait_loadcnt_dscnt 0xb00
	v_mul_f64_e32 v[138:139], v[82:83], v[100:101]
	v_mul_f64_e32 v[100:101], v[84:85], v[100:101]
	ds_load_b128 v[134:137], v2 offset:832
	v_fmac_f64_e32 v[140:141], v[128:129], v[94:95]
	v_fma_f64 v[126:127], v[126:127], v[94:95], -v[96:97]
	scratch_load_b128 v[94:97], off, off offset:480
	v_add_f64_e32 v[4:5], v[4:5], v[142:143]
	v_add_f64_e32 v[8:9], v[8:9], v[144:145]
	v_fmac_f64_e32 v[138:139], v[84:85], v[98:99]
	v_fma_f64 v[144:145], v[82:83], v[98:99], -v[100:101]
	ds_load_b128 v[82:85], v2 offset:848
	s_wait_loadcnt_dscnt 0xb01
	v_mul_f64_e32 v[142:143], v[134:135], v[104:105]
	v_mul_f64_e32 v[104:105], v[136:137], v[104:105]
	scratch_load_b128 v[98:101], off, off offset:496
	v_add_f64_e32 v[4:5], v[4:5], v[126:127]
	v_add_f64_e32 v[8:9], v[8:9], v[140:141]
	s_wait_loadcnt_dscnt 0xb00
	v_mul_f64_e32 v[140:141], v[82:83], v[108:109]
	v_mul_f64_e32 v[108:109], v[84:85], v[108:109]
	ds_load_b128 v[126:129], v2 offset:864
	v_fmac_f64_e32 v[142:143], v[136:137], v[102:103]
	v_fma_f64 v[102:103], v[134:135], v[102:103], -v[104:105]
	s_wait_loadcnt_dscnt 0xa00
	v_mul_f64_e32 v[134:135], v[126:127], v[112:113]
	v_mul_f64_e32 v[112:113], v[128:129], v[112:113]
	v_add_f64_e32 v[4:5], v[4:5], v[144:145]
	v_add_f64_e32 v[8:9], v[8:9], v[138:139]
	v_fmac_f64_e32 v[140:141], v[84:85], v[106:107]
	v_fma_f64 v[106:107], v[82:83], v[106:107], -v[108:109]
	v_fmac_f64_e32 v[134:135], v[128:129], v[110:111]
	v_fma_f64 v[110:111], v[126:127], v[110:111], -v[112:113]
	v_add_f64_e32 v[4:5], v[4:5], v[102:103]
	v_add_f64_e32 v[8:9], v[8:9], v[142:143]
	ds_load_b128 v[82:85], v2 offset:880
	ds_load_b128 v[102:105], v2 offset:896
	s_wait_loadcnt_dscnt 0x901
	v_mul_f64_e32 v[136:137], v[82:83], v[120:121]
	v_mul_f64_e32 v[108:109], v[84:85], v[120:121]
	s_wait_loadcnt_dscnt 0x600
	v_mul_f64_e32 v[112:113], v[102:103], v[12:13]
	v_add_f64_e32 v[4:5], v[4:5], v[106:107]
	v_add_f64_e32 v[8:9], v[8:9], v[140:141]
	v_mul_f64_e32 v[12:13], v[104:105], v[12:13]
	v_fmac_f64_e32 v[136:137], v[84:85], v[118:119]
	v_fma_f64 v[118:119], v[82:83], v[118:119], -v[108:109]
	ds_load_b128 v[82:85], v2 offset:912
	ds_load_b128 v[106:109], v2 offset:928
	v_fmac_f64_e32 v[112:113], v[104:105], v[10:11]
	v_add_f64_e32 v[4:5], v[4:5], v[110:111]
	v_add_f64_e32 v[8:9], v[8:9], v[134:135]
	v_fma_f64 v[10:11], v[102:103], v[10:11], -v[12:13]
	s_wait_dscnt 0x1
	v_mul_f64_e32 v[110:111], v[82:83], v[132:133]
	v_mul_f64_e32 v[120:121], v[84:85], v[132:133]
	v_add_f64_e32 v[4:5], v[4:5], v[118:119]
	v_add_f64_e32 v[8:9], v[8:9], v[136:137]
	s_wait_loadcnt_dscnt 0x500
	v_mul_f64_e32 v[12:13], v[106:107], v[80:81]
	v_mul_f64_e32 v[102:103], v[108:109], v[80:81]
	v_fmac_f64_e32 v[110:111], v[84:85], v[130:131]
	v_fma_f64 v[84:85], v[82:83], v[130:131], -v[120:121]
	v_add_f64_e32 v[4:5], v[4:5], v[10:11]
	v_add_f64_e32 v[104:105], v[8:9], v[112:113]
	ds_load_b128 v[8:11], v2 offset:944
	ds_load_b128 v[80:83], v2 offset:960
	v_fmac_f64_e32 v[12:13], v[108:109], v[78:79]
	v_fma_f64 v[78:79], v[106:107], v[78:79], -v[102:103]
	s_wait_loadcnt_dscnt 0x401
	v_mul_f64_e32 v[112:113], v[8:9], v[116:117]
	v_mul_f64_e32 v[116:117], v[10:11], v[116:117]
	s_wait_loadcnt_dscnt 0x300
	v_mul_f64_e32 v[106:107], v[80:81], v[88:89]
	v_mul_f64_e32 v[88:89], v[82:83], v[88:89]
	v_add_f64_e32 v[4:5], v[4:5], v[84:85]
	v_add_f64_e32 v[84:85], v[104:105], v[110:111]
	v_fmac_f64_e32 v[112:113], v[10:11], v[114:115]
	v_fma_f64 v[108:109], v[8:9], v[114:115], -v[116:117]
	ds_load_b128 v[8:11], v2 offset:976
	ds_load_b128 v[102:105], v2 offset:992
	v_fmac_f64_e32 v[106:107], v[82:83], v[86:87]
	v_fma_f64 v[80:81], v[80:81], v[86:87], -v[88:89]
	v_add_f64_e32 v[4:5], v[4:5], v[78:79]
	v_add_f64_e32 v[12:13], v[84:85], v[12:13]
	s_wait_loadcnt_dscnt 0x201
	v_mul_f64_e32 v[78:79], v[8:9], v[92:93]
	v_mul_f64_e32 v[84:85], v[10:11], v[92:93]
	s_wait_loadcnt_dscnt 0x100
	v_mul_f64_e32 v[82:83], v[102:103], v[96:97]
	v_mul_f64_e32 v[86:87], v[104:105], v[96:97]
	v_add_f64_e32 v[4:5], v[4:5], v[108:109]
	v_add_f64_e32 v[12:13], v[12:13], v[112:113]
	v_fmac_f64_e32 v[78:79], v[10:11], v[90:91]
	v_fma_f64 v[84:85], v[8:9], v[90:91], -v[84:85]
	ds_load_b128 v[8:11], v2 offset:1008
	v_fmac_f64_e32 v[82:83], v[104:105], v[94:95]
	v_fma_f64 v[86:87], v[102:103], v[94:95], -v[86:87]
	s_wait_loadcnt_dscnt 0x0
	v_mul_f64_e32 v[88:89], v[10:11], v[100:101]
	v_add_f64_e32 v[4:5], v[4:5], v[80:81]
	v_add_f64_e32 v[12:13], v[12:13], v[106:107]
	v_mul_f64_e32 v[80:81], v[8:9], v[100:101]
	s_delay_alu instid0(VALU_DEP_4) | instskip(NEXT) | instid1(VALU_DEP_4)
	v_fma_f64 v[8:9], v[8:9], v[98:99], -v[88:89]
	v_add_f64_e32 v[4:5], v[4:5], v[84:85]
	s_delay_alu instid0(VALU_DEP_4) | instskip(NEXT) | instid1(VALU_DEP_4)
	v_add_f64_e32 v[12:13], v[12:13], v[78:79]
	v_fmac_f64_e32 v[80:81], v[10:11], v[98:99]
	s_delay_alu instid0(VALU_DEP_3) | instskip(NEXT) | instid1(VALU_DEP_3)
	v_add_f64_e32 v[4:5], v[4:5], v[86:87]
	v_add_f64_e32 v[10:11], v[12:13], v[82:83]
	s_delay_alu instid0(VALU_DEP_2) | instskip(NEXT) | instid1(VALU_DEP_2)
	v_add_f64_e32 v[4:5], v[4:5], v[8:9]
	v_add_f64_e32 v[10:11], v[10:11], v[80:81]
	s_delay_alu instid0(VALU_DEP_2) | instskip(NEXT) | instid1(VALU_DEP_2)
	v_add_f64_e64 v[8:9], v[122:123], -v[4:5]
	v_add_f64_e64 v[10:11], v[124:125], -v[10:11]
	scratch_store_b128 off, v[8:11], off offset:192
	s_wait_xcnt 0x0
	v_cmpx_lt_u32_e32 11, v1
	s_cbranch_execz .LBB95_183
; %bb.182:
	scratch_load_b128 v[8:11], off, s37
	v_dual_mov_b32 v3, v2 :: v_dual_mov_b32 v4, v2
	v_mov_b32_e32 v5, v2
	scratch_store_b128 off, v[2:5], off offset:176
	s_wait_loadcnt 0x0
	ds_store_b128 v6, v[8:11]
.LBB95_183:
	s_wait_xcnt 0x0
	s_or_b32 exec_lo, exec_lo, s2
	s_wait_storecnt_dscnt 0x0
	s_barrier_signal -1
	s_barrier_wait -1
	s_clause 0x9
	scratch_load_b128 v[8:11], off, off offset:192
	scratch_load_b128 v[78:81], off, off offset:208
	;; [unrolled: 1-line block ×10, first 2 shown]
	ds_load_b128 v[114:117], v2 offset:704
	ds_load_b128 v[122:125], v2 offset:720
	s_clause 0x1
	scratch_load_b128 v[118:121], off, off offset:352
	scratch_load_b128 v[126:129], off, off offset:176
	s_mov_b32 s2, exec_lo
	s_wait_loadcnt_dscnt 0xb01
	v_mul_f64_e32 v[4:5], v[116:117], v[10:11]
	v_mul_f64_e32 v[138:139], v[114:115], v[10:11]
	scratch_load_b128 v[10:13], off, off offset:368
	s_wait_loadcnt_dscnt 0xb00
	v_mul_f64_e32 v[140:141], v[122:123], v[80:81]
	v_mul_f64_e32 v[80:81], v[124:125], v[80:81]
	v_fma_f64 v[4:5], v[114:115], v[8:9], -v[4:5]
	v_fmac_f64_e32 v[138:139], v[116:117], v[8:9]
	ds_load_b128 v[114:117], v2 offset:736
	ds_load_b128 v[130:133], v2 offset:752
	scratch_load_b128 v[134:137], off, off offset:384
	v_fmac_f64_e32 v[140:141], v[124:125], v[78:79]
	v_fma_f64 v[122:123], v[122:123], v[78:79], -v[80:81]
	scratch_load_b128 v[78:81], off, off offset:400
	s_wait_loadcnt_dscnt 0xc01
	v_mul_f64_e32 v[8:9], v[114:115], v[84:85]
	v_mul_f64_e32 v[84:85], v[116:117], v[84:85]
	v_add_f64_e32 v[4:5], 0, v[4:5]
	v_add_f64_e32 v[124:125], 0, v[138:139]
	s_wait_loadcnt_dscnt 0xb00
	v_mul_f64_e32 v[138:139], v[130:131], v[88:89]
	v_mul_f64_e32 v[88:89], v[132:133], v[88:89]
	v_fmac_f64_e32 v[8:9], v[116:117], v[82:83]
	v_fma_f64 v[142:143], v[114:115], v[82:83], -v[84:85]
	ds_load_b128 v[82:85], v2 offset:768
	ds_load_b128 v[114:117], v2 offset:784
	v_add_f64_e32 v[4:5], v[4:5], v[122:123]
	v_add_f64_e32 v[140:141], v[124:125], v[140:141]
	scratch_load_b128 v[122:125], off, off offset:416
	v_fmac_f64_e32 v[138:139], v[132:133], v[86:87]
	v_fma_f64 v[130:131], v[130:131], v[86:87], -v[88:89]
	scratch_load_b128 v[86:89], off, off offset:432
	s_wait_loadcnt_dscnt 0xc01
	v_mul_f64_e32 v[144:145], v[82:83], v[92:93]
	v_mul_f64_e32 v[92:93], v[84:85], v[92:93]
	v_add_f64_e32 v[4:5], v[4:5], v[142:143]
	v_add_f64_e32 v[8:9], v[140:141], v[8:9]
	s_wait_loadcnt_dscnt 0xb00
	v_mul_f64_e32 v[140:141], v[114:115], v[96:97]
	v_mul_f64_e32 v[96:97], v[116:117], v[96:97]
	v_fmac_f64_e32 v[144:145], v[84:85], v[90:91]
	v_fma_f64 v[142:143], v[82:83], v[90:91], -v[92:93]
	ds_load_b128 v[82:85], v2 offset:800
	ds_load_b128 v[90:93], v2 offset:816
	v_add_f64_e32 v[4:5], v[4:5], v[130:131]
	v_add_f64_e32 v[8:9], v[8:9], v[138:139]
	scratch_load_b128 v[130:133], off, off offset:448
	s_wait_loadcnt_dscnt 0xb01
	v_mul_f64_e32 v[138:139], v[82:83], v[100:101]
	v_mul_f64_e32 v[100:101], v[84:85], v[100:101]
	v_fmac_f64_e32 v[140:141], v[116:117], v[94:95]
	v_fma_f64 v[114:115], v[114:115], v[94:95], -v[96:97]
	scratch_load_b128 v[94:97], off, off offset:464
	v_add_f64_e32 v[4:5], v[4:5], v[142:143]
	v_add_f64_e32 v[8:9], v[8:9], v[144:145]
	s_wait_loadcnt_dscnt 0xb00
	v_mul_f64_e32 v[142:143], v[90:91], v[104:105]
	v_mul_f64_e32 v[104:105], v[92:93], v[104:105]
	v_fmac_f64_e32 v[138:139], v[84:85], v[98:99]
	v_fma_f64 v[144:145], v[82:83], v[98:99], -v[100:101]
	ds_load_b128 v[82:85], v2 offset:832
	ds_load_b128 v[98:101], v2 offset:848
	v_add_f64_e32 v[4:5], v[4:5], v[114:115]
	v_add_f64_e32 v[8:9], v[8:9], v[140:141]
	scratch_load_b128 v[114:117], off, off offset:480
	s_wait_loadcnt_dscnt 0xb01
	v_mul_f64_e32 v[140:141], v[82:83], v[108:109]
	v_mul_f64_e32 v[108:109], v[84:85], v[108:109]
	v_fmac_f64_e32 v[142:143], v[92:93], v[102:103]
	v_fma_f64 v[102:103], v[90:91], v[102:103], -v[104:105]
	scratch_load_b128 v[90:93], off, off offset:496
	v_add_f64_e32 v[4:5], v[4:5], v[144:145]
	v_add_f64_e32 v[8:9], v[8:9], v[138:139]
	s_wait_loadcnt_dscnt 0xb00
	v_mul_f64_e32 v[138:139], v[98:99], v[112:113]
	v_mul_f64_e32 v[112:113], v[100:101], v[112:113]
	v_fmac_f64_e32 v[140:141], v[84:85], v[106:107]
	v_fma_f64 v[106:107], v[82:83], v[106:107], -v[108:109]
	v_add_f64_e32 v[4:5], v[4:5], v[102:103]
	v_add_f64_e32 v[8:9], v[8:9], v[142:143]
	ds_load_b128 v[82:85], v2 offset:864
	ds_load_b128 v[102:105], v2 offset:880
	v_fmac_f64_e32 v[138:139], v[100:101], v[110:111]
	v_fma_f64 v[98:99], v[98:99], v[110:111], -v[112:113]
	s_wait_loadcnt_dscnt 0xa01
	v_mul_f64_e32 v[108:109], v[82:83], v[120:121]
	v_mul_f64_e32 v[120:121], v[84:85], v[120:121]
	v_add_f64_e32 v[4:5], v[4:5], v[106:107]
	v_add_f64_e32 v[8:9], v[8:9], v[140:141]
	s_wait_loadcnt_dscnt 0x800
	v_mul_f64_e32 v[106:107], v[102:103], v[12:13]
	v_mul_f64_e32 v[12:13], v[104:105], v[12:13]
	v_fmac_f64_e32 v[108:109], v[84:85], v[118:119]
	v_fma_f64 v[110:111], v[82:83], v[118:119], -v[120:121]
	v_add_f64_e32 v[4:5], v[4:5], v[98:99]
	v_add_f64_e32 v[8:9], v[8:9], v[138:139]
	ds_load_b128 v[82:85], v2 offset:896
	ds_load_b128 v[98:101], v2 offset:912
	v_fmac_f64_e32 v[106:107], v[104:105], v[10:11]
	v_fma_f64 v[10:11], v[102:103], v[10:11], -v[12:13]
	s_wait_loadcnt_dscnt 0x701
	v_mul_f64_e32 v[112:113], v[82:83], v[136:137]
	v_mul_f64_e32 v[118:119], v[84:85], v[136:137]
	s_wait_loadcnt_dscnt 0x600
	v_mul_f64_e32 v[12:13], v[98:99], v[80:81]
	v_mul_f64_e32 v[102:103], v[100:101], v[80:81]
	v_add_f64_e32 v[4:5], v[4:5], v[110:111]
	v_add_f64_e32 v[8:9], v[8:9], v[108:109]
	v_fmac_f64_e32 v[112:113], v[84:85], v[134:135]
	v_fma_f64 v[84:85], v[82:83], v[134:135], -v[118:119]
	v_fmac_f64_e32 v[12:13], v[100:101], v[78:79]
	v_fma_f64 v[78:79], v[98:99], v[78:79], -v[102:103]
	v_add_f64_e32 v[4:5], v[4:5], v[10:11]
	v_add_f64_e32 v[104:105], v[8:9], v[106:107]
	ds_load_b128 v[8:11], v2 offset:928
	ds_load_b128 v[80:83], v2 offset:944
	s_wait_loadcnt_dscnt 0x501
	v_mul_f64_e32 v[106:107], v[8:9], v[124:125]
	v_mul_f64_e32 v[108:109], v[10:11], v[124:125]
	s_wait_loadcnt_dscnt 0x400
	v_mul_f64_e32 v[102:103], v[80:81], v[88:89]
	v_mul_f64_e32 v[88:89], v[82:83], v[88:89]
	v_add_f64_e32 v[4:5], v[4:5], v[84:85]
	v_add_f64_e32 v[84:85], v[104:105], v[112:113]
	v_fmac_f64_e32 v[106:107], v[10:11], v[122:123]
	v_fma_f64 v[104:105], v[8:9], v[122:123], -v[108:109]
	ds_load_b128 v[8:11], v2 offset:960
	ds_load_b128 v[98:101], v2 offset:976
	v_fmac_f64_e32 v[102:103], v[82:83], v[86:87]
	v_fma_f64 v[80:81], v[80:81], v[86:87], -v[88:89]
	v_add_f64_e32 v[4:5], v[4:5], v[78:79]
	v_add_f64_e32 v[12:13], v[84:85], v[12:13]
	s_wait_loadcnt_dscnt 0x301
	v_mul_f64_e32 v[78:79], v[8:9], v[132:133]
	v_mul_f64_e32 v[84:85], v[10:11], v[132:133]
	s_wait_loadcnt_dscnt 0x200
	v_mul_f64_e32 v[82:83], v[98:99], v[96:97]
	v_mul_f64_e32 v[86:87], v[100:101], v[96:97]
	v_add_f64_e32 v[4:5], v[4:5], v[104:105]
	v_add_f64_e32 v[12:13], v[12:13], v[106:107]
	v_fmac_f64_e32 v[78:79], v[10:11], v[130:131]
	v_fma_f64 v[84:85], v[8:9], v[130:131], -v[84:85]
	v_fmac_f64_e32 v[82:83], v[100:101], v[94:95]
	v_fma_f64 v[86:87], v[98:99], v[94:95], -v[86:87]
	v_add_f64_e32 v[80:81], v[4:5], v[80:81]
	v_add_f64_e32 v[12:13], v[12:13], v[102:103]
	ds_load_b128 v[8:11], v2 offset:992
	ds_load_b128 v[2:5], v2 offset:1008
	s_wait_loadcnt_dscnt 0x101
	v_mul_f64_e32 v[88:89], v[8:9], v[116:117]
	v_mul_f64_e32 v[96:97], v[10:11], v[116:117]
	v_add_f64_e32 v[80:81], v[80:81], v[84:85]
	v_add_f64_e32 v[12:13], v[12:13], v[78:79]
	s_wait_loadcnt_dscnt 0x0
	v_mul_f64_e32 v[78:79], v[2:3], v[92:93]
	v_mul_f64_e32 v[84:85], v[4:5], v[92:93]
	v_fmac_f64_e32 v[88:89], v[10:11], v[114:115]
	v_fma_f64 v[8:9], v[8:9], v[114:115], -v[96:97]
	v_add_f64_e32 v[10:11], v[80:81], v[86:87]
	v_add_f64_e32 v[12:13], v[12:13], v[82:83]
	v_fmac_f64_e32 v[78:79], v[4:5], v[90:91]
	v_fma_f64 v[2:3], v[2:3], v[90:91], -v[84:85]
	s_delay_alu instid0(VALU_DEP_4) | instskip(NEXT) | instid1(VALU_DEP_4)
	v_add_f64_e32 v[4:5], v[10:11], v[8:9]
	v_add_f64_e32 v[8:9], v[12:13], v[88:89]
	s_delay_alu instid0(VALU_DEP_2) | instskip(NEXT) | instid1(VALU_DEP_2)
	v_add_f64_e32 v[2:3], v[4:5], v[2:3]
	v_add_f64_e32 v[4:5], v[8:9], v[78:79]
	s_delay_alu instid0(VALU_DEP_2) | instskip(NEXT) | instid1(VALU_DEP_2)
	v_add_f64_e64 v[2:3], v[126:127], -v[2:3]
	v_add_f64_e64 v[4:5], v[128:129], -v[4:5]
	scratch_store_b128 off, v[2:5], off offset:176
	s_wait_xcnt 0x0
	v_cmpx_lt_u32_e32 10, v1
	s_cbranch_execz .LBB95_185
; %bb.184:
	scratch_load_b128 v[2:5], off, s38
	v_mov_b32_e32 v8, 0
	s_delay_alu instid0(VALU_DEP_1)
	v_dual_mov_b32 v9, v8 :: v_dual_mov_b32 v10, v8
	v_mov_b32_e32 v11, v8
	scratch_store_b128 off, v[8:11], off offset:160
	s_wait_loadcnt 0x0
	ds_store_b128 v6, v[2:5]
.LBB95_185:
	s_wait_xcnt 0x0
	s_or_b32 exec_lo, exec_lo, s2
	s_wait_storecnt_dscnt 0x0
	s_barrier_signal -1
	s_barrier_wait -1
	s_clause 0x9
	scratch_load_b128 v[8:11], off, off offset:176
	scratch_load_b128 v[78:81], off, off offset:192
	;; [unrolled: 1-line block ×10, first 2 shown]
	v_mov_b32_e32 v2, 0
	s_mov_b32 s2, exec_lo
	ds_load_b128 v[114:117], v2 offset:688
	s_clause 0x2
	scratch_load_b128 v[118:121], off, off offset:336
	scratch_load_b128 v[122:125], off, off offset:160
	;; [unrolled: 1-line block ×3, first 2 shown]
	s_wait_loadcnt_dscnt 0xc00
	v_mul_f64_e32 v[4:5], v[116:117], v[10:11]
	v_mul_f64_e32 v[138:139], v[114:115], v[10:11]
	ds_load_b128 v[126:129], v2 offset:704
	scratch_load_b128 v[10:13], off, off offset:352
	ds_load_b128 v[134:137], v2 offset:736
	v_fma_f64 v[4:5], v[114:115], v[8:9], -v[4:5]
	v_fmac_f64_e32 v[138:139], v[116:117], v[8:9]
	ds_load_b128 v[114:117], v2 offset:720
	s_wait_loadcnt_dscnt 0xc02
	v_mul_f64_e32 v[140:141], v[126:127], v[80:81]
	v_mul_f64_e32 v[80:81], v[128:129], v[80:81]
	s_wait_loadcnt_dscnt 0xb00
	v_mul_f64_e32 v[8:9], v[114:115], v[84:85]
	v_mul_f64_e32 v[84:85], v[116:117], v[84:85]
	v_add_f64_e32 v[4:5], 0, v[4:5]
	v_fmac_f64_e32 v[140:141], v[128:129], v[78:79]
	v_fma_f64 v[126:127], v[126:127], v[78:79], -v[80:81]
	v_add_f64_e32 v[128:129], 0, v[138:139]
	scratch_load_b128 v[78:81], off, off offset:384
	v_fmac_f64_e32 v[8:9], v[116:117], v[82:83]
	v_fma_f64 v[142:143], v[114:115], v[82:83], -v[84:85]
	ds_load_b128 v[82:85], v2 offset:752
	s_wait_loadcnt 0xb
	v_mul_f64_e32 v[138:139], v[134:135], v[88:89]
	v_mul_f64_e32 v[88:89], v[136:137], v[88:89]
	scratch_load_b128 v[114:117], off, off offset:400
	v_add_f64_e32 v[4:5], v[4:5], v[126:127]
	v_add_f64_e32 v[140:141], v[128:129], v[140:141]
	ds_load_b128 v[126:129], v2 offset:768
	s_wait_loadcnt_dscnt 0xb01
	v_mul_f64_e32 v[144:145], v[82:83], v[92:93]
	v_mul_f64_e32 v[92:93], v[84:85], v[92:93]
	v_fmac_f64_e32 v[138:139], v[136:137], v[86:87]
	v_fma_f64 v[134:135], v[134:135], v[86:87], -v[88:89]
	scratch_load_b128 v[86:89], off, off offset:416
	v_add_f64_e32 v[4:5], v[4:5], v[142:143]
	v_add_f64_e32 v[8:9], v[140:141], v[8:9]
	v_fmac_f64_e32 v[144:145], v[84:85], v[90:91]
	v_fma_f64 v[142:143], v[82:83], v[90:91], -v[92:93]
	ds_load_b128 v[82:85], v2 offset:784
	s_wait_loadcnt_dscnt 0xb01
	v_mul_f64_e32 v[140:141], v[126:127], v[96:97]
	v_mul_f64_e32 v[96:97], v[128:129], v[96:97]
	scratch_load_b128 v[90:93], off, off offset:432
	v_add_f64_e32 v[4:5], v[4:5], v[134:135]
	v_add_f64_e32 v[8:9], v[8:9], v[138:139]
	s_wait_loadcnt_dscnt 0xb00
	v_mul_f64_e32 v[138:139], v[82:83], v[100:101]
	v_mul_f64_e32 v[100:101], v[84:85], v[100:101]
	ds_load_b128 v[134:137], v2 offset:800
	v_fmac_f64_e32 v[140:141], v[128:129], v[94:95]
	v_fma_f64 v[126:127], v[126:127], v[94:95], -v[96:97]
	scratch_load_b128 v[94:97], off, off offset:448
	v_add_f64_e32 v[4:5], v[4:5], v[142:143]
	v_add_f64_e32 v[8:9], v[8:9], v[144:145]
	v_fmac_f64_e32 v[138:139], v[84:85], v[98:99]
	v_fma_f64 v[144:145], v[82:83], v[98:99], -v[100:101]
	ds_load_b128 v[82:85], v2 offset:816
	s_wait_loadcnt_dscnt 0xb01
	v_mul_f64_e32 v[142:143], v[134:135], v[104:105]
	v_mul_f64_e32 v[104:105], v[136:137], v[104:105]
	scratch_load_b128 v[98:101], off, off offset:464
	v_add_f64_e32 v[4:5], v[4:5], v[126:127]
	v_add_f64_e32 v[8:9], v[8:9], v[140:141]
	s_wait_loadcnt_dscnt 0xb00
	v_mul_f64_e32 v[140:141], v[82:83], v[108:109]
	v_mul_f64_e32 v[108:109], v[84:85], v[108:109]
	ds_load_b128 v[126:129], v2 offset:832
	;; [unrolled: 18-line block ×3, first 2 shown]
	v_fmac_f64_e32 v[138:139], v[128:129], v[110:111]
	v_fma_f64 v[110:111], v[126:127], v[110:111], -v[112:113]
	s_wait_loadcnt_dscnt 0x800
	v_mul_f64_e32 v[126:127], v[134:135], v[12:13]
	v_add_f64_e32 v[4:5], v[4:5], v[144:145]
	v_add_f64_e32 v[8:9], v[8:9], v[140:141]
	v_mul_f64_e32 v[12:13], v[136:137], v[12:13]
	v_fmac_f64_e32 v[142:143], v[84:85], v[118:119]
	v_fma_f64 v[118:119], v[82:83], v[118:119], -v[120:121]
	v_fmac_f64_e32 v[126:127], v[136:137], v[10:11]
	v_add_f64_e32 v[4:5], v[4:5], v[110:111]
	v_add_f64_e32 v[8:9], v[8:9], v[138:139]
	ds_load_b128 v[82:85], v2 offset:880
	ds_load_b128 v[110:113], v2 offset:896
	v_fma_f64 v[10:11], v[134:135], v[10:11], -v[12:13]
	s_wait_dscnt 0x1
	v_mul_f64_e32 v[120:121], v[82:83], v[132:133]
	v_mul_f64_e32 v[128:129], v[84:85], v[132:133]
	v_add_f64_e32 v[4:5], v[4:5], v[118:119]
	v_add_f64_e32 v[8:9], v[8:9], v[142:143]
	s_wait_loadcnt_dscnt 0x700
	v_mul_f64_e32 v[12:13], v[110:111], v[80:81]
	v_mul_f64_e32 v[118:119], v[112:113], v[80:81]
	v_fmac_f64_e32 v[120:121], v[84:85], v[130:131]
	v_fma_f64 v[84:85], v[82:83], v[130:131], -v[128:129]
	v_add_f64_e32 v[4:5], v[4:5], v[10:11]
	v_add_f64_e32 v[126:127], v[8:9], v[126:127]
	ds_load_b128 v[8:11], v2 offset:912
	ds_load_b128 v[80:83], v2 offset:928
	v_fmac_f64_e32 v[12:13], v[112:113], v[78:79]
	v_fma_f64 v[78:79], v[110:111], v[78:79], -v[118:119]
	s_wait_loadcnt_dscnt 0x601
	v_mul_f64_e32 v[128:129], v[8:9], v[116:117]
	v_mul_f64_e32 v[116:117], v[10:11], v[116:117]
	s_wait_loadcnt_dscnt 0x500
	v_mul_f64_e32 v[118:119], v[80:81], v[88:89]
	v_mul_f64_e32 v[88:89], v[82:83], v[88:89]
	v_add_f64_e32 v[4:5], v[4:5], v[84:85]
	v_add_f64_e32 v[84:85], v[126:127], v[120:121]
	v_fmac_f64_e32 v[128:129], v[10:11], v[114:115]
	v_fma_f64 v[114:115], v[8:9], v[114:115], -v[116:117]
	ds_load_b128 v[8:11], v2 offset:944
	ds_load_b128 v[110:113], v2 offset:960
	v_fmac_f64_e32 v[118:119], v[82:83], v[86:87]
	v_fma_f64 v[80:81], v[80:81], v[86:87], -v[88:89]
	v_add_f64_e32 v[4:5], v[4:5], v[78:79]
	v_add_f64_e32 v[12:13], v[84:85], v[12:13]
	s_wait_loadcnt_dscnt 0x401
	v_mul_f64_e32 v[84:85], v[8:9], v[92:93]
	v_mul_f64_e32 v[78:79], v[10:11], v[92:93]
	s_wait_loadcnt_dscnt 0x300
	v_mul_f64_e32 v[82:83], v[110:111], v[96:97]
	v_mul_f64_e32 v[86:87], v[112:113], v[96:97]
	v_add_f64_e32 v[4:5], v[4:5], v[114:115]
	v_add_f64_e32 v[12:13], v[12:13], v[128:129]
	v_fmac_f64_e32 v[84:85], v[10:11], v[90:91]
	v_fma_f64 v[88:89], v[8:9], v[90:91], -v[78:79]
	v_fmac_f64_e32 v[82:83], v[112:113], v[94:95]
	v_fma_f64 v[86:87], v[110:111], v[94:95], -v[86:87]
	v_add_f64_e32 v[4:5], v[4:5], v[80:81]
	v_add_f64_e32 v[12:13], v[12:13], v[118:119]
	ds_load_b128 v[8:11], v2 offset:976
	ds_load_b128 v[78:81], v2 offset:992
	s_wait_loadcnt_dscnt 0x201
	v_mul_f64_e32 v[90:91], v[8:9], v[100:101]
	v_mul_f64_e32 v[92:93], v[10:11], v[100:101]
	v_add_f64_e32 v[4:5], v[4:5], v[88:89]
	v_add_f64_e32 v[12:13], v[12:13], v[84:85]
	s_wait_loadcnt_dscnt 0x100
	v_mul_f64_e32 v[84:85], v[78:79], v[104:105]
	v_mul_f64_e32 v[88:89], v[80:81], v[104:105]
	v_fmac_f64_e32 v[90:91], v[10:11], v[98:99]
	v_fma_f64 v[92:93], v[8:9], v[98:99], -v[92:93]
	ds_load_b128 v[8:11], v2 offset:1008
	v_add_f64_e32 v[4:5], v[4:5], v[86:87]
	v_add_f64_e32 v[12:13], v[12:13], v[82:83]
	v_fmac_f64_e32 v[84:85], v[80:81], v[102:103]
	v_fma_f64 v[78:79], v[78:79], v[102:103], -v[88:89]
	s_wait_loadcnt_dscnt 0x0
	v_mul_f64_e32 v[82:83], v[8:9], v[108:109]
	v_mul_f64_e32 v[86:87], v[10:11], v[108:109]
	v_add_f64_e32 v[4:5], v[4:5], v[92:93]
	v_add_f64_e32 v[12:13], v[12:13], v[90:91]
	s_delay_alu instid0(VALU_DEP_4) | instskip(NEXT) | instid1(VALU_DEP_4)
	v_fmac_f64_e32 v[82:83], v[10:11], v[106:107]
	v_fma_f64 v[8:9], v[8:9], v[106:107], -v[86:87]
	s_delay_alu instid0(VALU_DEP_4) | instskip(NEXT) | instid1(VALU_DEP_4)
	v_add_f64_e32 v[4:5], v[4:5], v[78:79]
	v_add_f64_e32 v[10:11], v[12:13], v[84:85]
	s_delay_alu instid0(VALU_DEP_2) | instskip(NEXT) | instid1(VALU_DEP_2)
	v_add_f64_e32 v[4:5], v[4:5], v[8:9]
	v_add_f64_e32 v[10:11], v[10:11], v[82:83]
	s_delay_alu instid0(VALU_DEP_2) | instskip(NEXT) | instid1(VALU_DEP_2)
	v_add_f64_e64 v[8:9], v[122:123], -v[4:5]
	v_add_f64_e64 v[10:11], v[124:125], -v[10:11]
	scratch_store_b128 off, v[8:11], off offset:160
	s_wait_xcnt 0x0
	v_cmpx_lt_u32_e32 9, v1
	s_cbranch_execz .LBB95_187
; %bb.186:
	scratch_load_b128 v[8:11], off, s39
	v_dual_mov_b32 v3, v2 :: v_dual_mov_b32 v4, v2
	v_mov_b32_e32 v5, v2
	scratch_store_b128 off, v[2:5], off offset:144
	s_wait_loadcnt 0x0
	ds_store_b128 v6, v[8:11]
.LBB95_187:
	s_wait_xcnt 0x0
	s_or_b32 exec_lo, exec_lo, s2
	s_wait_storecnt_dscnt 0x0
	s_barrier_signal -1
	s_barrier_wait -1
	s_clause 0x9
	scratch_load_b128 v[8:11], off, off offset:160
	scratch_load_b128 v[78:81], off, off offset:176
	scratch_load_b128 v[82:85], off, off offset:192
	scratch_load_b128 v[86:89], off, off offset:208
	scratch_load_b128 v[90:93], off, off offset:224
	scratch_load_b128 v[94:97], off, off offset:240
	scratch_load_b128 v[98:101], off, off offset:256
	scratch_load_b128 v[102:105], off, off offset:272
	scratch_load_b128 v[106:109], off, off offset:288
	scratch_load_b128 v[110:113], off, off offset:304
	ds_load_b128 v[114:117], v2 offset:672
	ds_load_b128 v[122:125], v2 offset:688
	s_clause 0x1
	scratch_load_b128 v[118:121], off, off offset:320
	scratch_load_b128 v[126:129], off, off offset:144
	s_mov_b32 s2, exec_lo
	s_wait_loadcnt_dscnt 0xb01
	v_mul_f64_e32 v[4:5], v[116:117], v[10:11]
	v_mul_f64_e32 v[138:139], v[114:115], v[10:11]
	scratch_load_b128 v[10:13], off, off offset:336
	s_wait_loadcnt_dscnt 0xb00
	v_mul_f64_e32 v[140:141], v[122:123], v[80:81]
	v_mul_f64_e32 v[80:81], v[124:125], v[80:81]
	v_fma_f64 v[4:5], v[114:115], v[8:9], -v[4:5]
	v_fmac_f64_e32 v[138:139], v[116:117], v[8:9]
	ds_load_b128 v[114:117], v2 offset:704
	ds_load_b128 v[130:133], v2 offset:720
	scratch_load_b128 v[134:137], off, off offset:352
	v_fmac_f64_e32 v[140:141], v[124:125], v[78:79]
	v_fma_f64 v[122:123], v[122:123], v[78:79], -v[80:81]
	scratch_load_b128 v[78:81], off, off offset:368
	s_wait_loadcnt_dscnt 0xc01
	v_mul_f64_e32 v[8:9], v[114:115], v[84:85]
	v_mul_f64_e32 v[84:85], v[116:117], v[84:85]
	v_add_f64_e32 v[4:5], 0, v[4:5]
	v_add_f64_e32 v[124:125], 0, v[138:139]
	s_wait_loadcnt_dscnt 0xb00
	v_mul_f64_e32 v[138:139], v[130:131], v[88:89]
	v_mul_f64_e32 v[88:89], v[132:133], v[88:89]
	v_fmac_f64_e32 v[8:9], v[116:117], v[82:83]
	v_fma_f64 v[142:143], v[114:115], v[82:83], -v[84:85]
	ds_load_b128 v[82:85], v2 offset:736
	ds_load_b128 v[114:117], v2 offset:752
	v_add_f64_e32 v[4:5], v[4:5], v[122:123]
	v_add_f64_e32 v[140:141], v[124:125], v[140:141]
	scratch_load_b128 v[122:125], off, off offset:384
	v_fmac_f64_e32 v[138:139], v[132:133], v[86:87]
	v_fma_f64 v[130:131], v[130:131], v[86:87], -v[88:89]
	scratch_load_b128 v[86:89], off, off offset:400
	s_wait_loadcnt_dscnt 0xc01
	v_mul_f64_e32 v[144:145], v[82:83], v[92:93]
	v_mul_f64_e32 v[92:93], v[84:85], v[92:93]
	v_add_f64_e32 v[4:5], v[4:5], v[142:143]
	v_add_f64_e32 v[8:9], v[140:141], v[8:9]
	s_wait_loadcnt_dscnt 0xb00
	v_mul_f64_e32 v[140:141], v[114:115], v[96:97]
	v_mul_f64_e32 v[96:97], v[116:117], v[96:97]
	v_fmac_f64_e32 v[144:145], v[84:85], v[90:91]
	v_fma_f64 v[142:143], v[82:83], v[90:91], -v[92:93]
	ds_load_b128 v[82:85], v2 offset:768
	ds_load_b128 v[90:93], v2 offset:784
	v_add_f64_e32 v[4:5], v[4:5], v[130:131]
	v_add_f64_e32 v[8:9], v[8:9], v[138:139]
	scratch_load_b128 v[130:133], off, off offset:416
	s_wait_loadcnt_dscnt 0xb01
	v_mul_f64_e32 v[138:139], v[82:83], v[100:101]
	v_mul_f64_e32 v[100:101], v[84:85], v[100:101]
	v_fmac_f64_e32 v[140:141], v[116:117], v[94:95]
	v_fma_f64 v[114:115], v[114:115], v[94:95], -v[96:97]
	scratch_load_b128 v[94:97], off, off offset:432
	v_add_f64_e32 v[4:5], v[4:5], v[142:143]
	v_add_f64_e32 v[8:9], v[8:9], v[144:145]
	s_wait_loadcnt_dscnt 0xb00
	v_mul_f64_e32 v[142:143], v[90:91], v[104:105]
	v_mul_f64_e32 v[104:105], v[92:93], v[104:105]
	v_fmac_f64_e32 v[138:139], v[84:85], v[98:99]
	v_fma_f64 v[144:145], v[82:83], v[98:99], -v[100:101]
	ds_load_b128 v[82:85], v2 offset:800
	ds_load_b128 v[98:101], v2 offset:816
	v_add_f64_e32 v[4:5], v[4:5], v[114:115]
	v_add_f64_e32 v[8:9], v[8:9], v[140:141]
	scratch_load_b128 v[114:117], off, off offset:448
	s_wait_loadcnt_dscnt 0xb01
	v_mul_f64_e32 v[140:141], v[82:83], v[108:109]
	v_mul_f64_e32 v[108:109], v[84:85], v[108:109]
	v_fmac_f64_e32 v[142:143], v[92:93], v[102:103]
	v_fma_f64 v[102:103], v[90:91], v[102:103], -v[104:105]
	scratch_load_b128 v[90:93], off, off offset:464
	v_add_f64_e32 v[4:5], v[4:5], v[144:145]
	v_add_f64_e32 v[8:9], v[8:9], v[138:139]
	s_wait_loadcnt_dscnt 0xb00
	v_mul_f64_e32 v[138:139], v[98:99], v[112:113]
	v_mul_f64_e32 v[112:113], v[100:101], v[112:113]
	v_fmac_f64_e32 v[140:141], v[84:85], v[106:107]
	v_fma_f64 v[144:145], v[82:83], v[106:107], -v[108:109]
	v_add_f64_e32 v[4:5], v[4:5], v[102:103]
	v_add_f64_e32 v[8:9], v[8:9], v[142:143]
	ds_load_b128 v[82:85], v2 offset:832
	ds_load_b128 v[102:105], v2 offset:848
	scratch_load_b128 v[106:109], off, off offset:480
	v_fmac_f64_e32 v[138:139], v[100:101], v[110:111]
	v_fma_f64 v[110:111], v[98:99], v[110:111], -v[112:113]
	scratch_load_b128 v[98:101], off, off offset:496
	s_wait_loadcnt_dscnt 0xc01
	v_mul_f64_e32 v[142:143], v[82:83], v[120:121]
	v_mul_f64_e32 v[120:121], v[84:85], v[120:121]
	v_add_f64_e32 v[4:5], v[4:5], v[144:145]
	v_add_f64_e32 v[8:9], v[8:9], v[140:141]
	s_wait_loadcnt_dscnt 0xa00
	v_mul_f64_e32 v[140:141], v[102:103], v[12:13]
	v_mul_f64_e32 v[12:13], v[104:105], v[12:13]
	v_fmac_f64_e32 v[142:143], v[84:85], v[118:119]
	v_fma_f64 v[118:119], v[82:83], v[118:119], -v[120:121]
	v_add_f64_e32 v[4:5], v[4:5], v[110:111]
	v_add_f64_e32 v[8:9], v[8:9], v[138:139]
	ds_load_b128 v[82:85], v2 offset:864
	ds_load_b128 v[110:113], v2 offset:880
	v_fmac_f64_e32 v[140:141], v[104:105], v[10:11]
	v_fma_f64 v[10:11], v[102:103], v[10:11], -v[12:13]
	s_wait_loadcnt_dscnt 0x901
	v_mul_f64_e32 v[120:121], v[82:83], v[136:137]
	v_mul_f64_e32 v[136:137], v[84:85], v[136:137]
	s_wait_loadcnt_dscnt 0x800
	v_mul_f64_e32 v[12:13], v[110:111], v[80:81]
	v_mul_f64_e32 v[102:103], v[112:113], v[80:81]
	v_add_f64_e32 v[4:5], v[4:5], v[118:119]
	v_add_f64_e32 v[8:9], v[8:9], v[142:143]
	v_fmac_f64_e32 v[120:121], v[84:85], v[134:135]
	v_fma_f64 v[84:85], v[82:83], v[134:135], -v[136:137]
	v_fmac_f64_e32 v[12:13], v[112:113], v[78:79]
	v_fma_f64 v[78:79], v[110:111], v[78:79], -v[102:103]
	v_add_f64_e32 v[4:5], v[4:5], v[10:11]
	v_add_f64_e32 v[104:105], v[8:9], v[140:141]
	ds_load_b128 v[8:11], v2 offset:896
	ds_load_b128 v[80:83], v2 offset:912
	s_wait_loadcnt_dscnt 0x701
	v_mul_f64_e32 v[118:119], v[8:9], v[124:125]
	v_mul_f64_e32 v[124:125], v[10:11], v[124:125]
	s_wait_loadcnt_dscnt 0x600
	v_mul_f64_e32 v[110:111], v[80:81], v[88:89]
	v_mul_f64_e32 v[88:89], v[82:83], v[88:89]
	v_add_f64_e32 v[4:5], v[4:5], v[84:85]
	v_add_f64_e32 v[84:85], v[104:105], v[120:121]
	v_fmac_f64_e32 v[118:119], v[10:11], v[122:123]
	v_fma_f64 v[112:113], v[8:9], v[122:123], -v[124:125]
	ds_load_b128 v[8:11], v2 offset:928
	ds_load_b128 v[102:105], v2 offset:944
	v_fmac_f64_e32 v[110:111], v[82:83], v[86:87]
	v_fma_f64 v[80:81], v[80:81], v[86:87], -v[88:89]
	v_add_f64_e32 v[4:5], v[4:5], v[78:79]
	v_add_f64_e32 v[12:13], v[84:85], v[12:13]
	s_wait_loadcnt_dscnt 0x501
	v_mul_f64_e32 v[84:85], v[8:9], v[132:133]
	v_mul_f64_e32 v[78:79], v[10:11], v[132:133]
	s_wait_loadcnt_dscnt 0x400
	v_mul_f64_e32 v[82:83], v[102:103], v[96:97]
	v_mul_f64_e32 v[86:87], v[104:105], v[96:97]
	v_add_f64_e32 v[4:5], v[4:5], v[112:113]
	v_add_f64_e32 v[12:13], v[12:13], v[118:119]
	v_fmac_f64_e32 v[84:85], v[10:11], v[130:131]
	v_fma_f64 v[88:89], v[8:9], v[130:131], -v[78:79]
	v_fmac_f64_e32 v[82:83], v[104:105], v[94:95]
	v_fma_f64 v[86:87], v[102:103], v[94:95], -v[86:87]
	v_add_f64_e32 v[4:5], v[4:5], v[80:81]
	v_add_f64_e32 v[12:13], v[12:13], v[110:111]
	ds_load_b128 v[8:11], v2 offset:960
	ds_load_b128 v[78:81], v2 offset:976
	s_wait_loadcnt_dscnt 0x301
	v_mul_f64_e32 v[96:97], v[8:9], v[116:117]
	v_mul_f64_e32 v[110:111], v[10:11], v[116:117]
	v_add_f64_e32 v[4:5], v[4:5], v[88:89]
	v_add_f64_e32 v[12:13], v[12:13], v[84:85]
	s_wait_loadcnt_dscnt 0x200
	v_mul_f64_e32 v[84:85], v[78:79], v[92:93]
	v_mul_f64_e32 v[88:89], v[80:81], v[92:93]
	v_fmac_f64_e32 v[96:97], v[10:11], v[114:115]
	v_fma_f64 v[92:93], v[8:9], v[114:115], -v[110:111]
	v_add_f64_e32 v[86:87], v[4:5], v[86:87]
	v_add_f64_e32 v[12:13], v[12:13], v[82:83]
	ds_load_b128 v[8:11], v2 offset:992
	ds_load_b128 v[2:5], v2 offset:1008
	v_fmac_f64_e32 v[84:85], v[80:81], v[90:91]
	v_fma_f64 v[78:79], v[78:79], v[90:91], -v[88:89]
	s_wait_loadcnt_dscnt 0x101
	v_mul_f64_e32 v[82:83], v[8:9], v[108:109]
	v_mul_f64_e32 v[94:95], v[10:11], v[108:109]
	s_wait_loadcnt_dscnt 0x0
	v_mul_f64_e32 v[88:89], v[4:5], v[100:101]
	v_add_f64_e32 v[80:81], v[86:87], v[92:93]
	v_add_f64_e32 v[12:13], v[12:13], v[96:97]
	v_mul_f64_e32 v[86:87], v[2:3], v[100:101]
	v_fmac_f64_e32 v[82:83], v[10:11], v[106:107]
	v_fma_f64 v[8:9], v[8:9], v[106:107], -v[94:95]
	v_fma_f64 v[2:3], v[2:3], v[98:99], -v[88:89]
	v_add_f64_e32 v[10:11], v[80:81], v[78:79]
	v_add_f64_e32 v[12:13], v[12:13], v[84:85]
	v_fmac_f64_e32 v[86:87], v[4:5], v[98:99]
	s_delay_alu instid0(VALU_DEP_3) | instskip(NEXT) | instid1(VALU_DEP_3)
	v_add_f64_e32 v[4:5], v[10:11], v[8:9]
	v_add_f64_e32 v[8:9], v[12:13], v[82:83]
	s_delay_alu instid0(VALU_DEP_2) | instskip(NEXT) | instid1(VALU_DEP_2)
	v_add_f64_e32 v[2:3], v[4:5], v[2:3]
	v_add_f64_e32 v[4:5], v[8:9], v[86:87]
	s_delay_alu instid0(VALU_DEP_2) | instskip(NEXT) | instid1(VALU_DEP_2)
	v_add_f64_e64 v[2:3], v[126:127], -v[2:3]
	v_add_f64_e64 v[4:5], v[128:129], -v[4:5]
	scratch_store_b128 off, v[2:5], off offset:144
	s_wait_xcnt 0x0
	v_cmpx_lt_u32_e32 8, v1
	s_cbranch_execz .LBB95_189
; %bb.188:
	scratch_load_b128 v[2:5], off, s40
	v_mov_b32_e32 v8, 0
	s_delay_alu instid0(VALU_DEP_1)
	v_dual_mov_b32 v9, v8 :: v_dual_mov_b32 v10, v8
	v_mov_b32_e32 v11, v8
	scratch_store_b128 off, v[8:11], off offset:128
	s_wait_loadcnt 0x0
	ds_store_b128 v6, v[2:5]
.LBB95_189:
	s_wait_xcnt 0x0
	s_or_b32 exec_lo, exec_lo, s2
	s_wait_storecnt_dscnt 0x0
	s_barrier_signal -1
	s_barrier_wait -1
	s_clause 0x9
	scratch_load_b128 v[8:11], off, off offset:144
	scratch_load_b128 v[78:81], off, off offset:160
	;; [unrolled: 1-line block ×10, first 2 shown]
	v_mov_b32_e32 v2, 0
	s_mov_b32 s2, exec_lo
	ds_load_b128 v[114:117], v2 offset:656
	s_clause 0x2
	scratch_load_b128 v[118:121], off, off offset:304
	scratch_load_b128 v[122:125], off, off offset:128
	;; [unrolled: 1-line block ×3, first 2 shown]
	s_wait_loadcnt_dscnt 0xc00
	v_mul_f64_e32 v[4:5], v[116:117], v[10:11]
	v_mul_f64_e32 v[138:139], v[114:115], v[10:11]
	ds_load_b128 v[126:129], v2 offset:672
	scratch_load_b128 v[10:13], off, off offset:320
	ds_load_b128 v[134:137], v2 offset:704
	v_fma_f64 v[4:5], v[114:115], v[8:9], -v[4:5]
	v_fmac_f64_e32 v[138:139], v[116:117], v[8:9]
	ds_load_b128 v[114:117], v2 offset:688
	s_wait_loadcnt_dscnt 0xc02
	v_mul_f64_e32 v[140:141], v[126:127], v[80:81]
	v_mul_f64_e32 v[80:81], v[128:129], v[80:81]
	s_wait_loadcnt_dscnt 0xb00
	v_mul_f64_e32 v[8:9], v[114:115], v[84:85]
	v_mul_f64_e32 v[84:85], v[116:117], v[84:85]
	v_add_f64_e32 v[4:5], 0, v[4:5]
	v_fmac_f64_e32 v[140:141], v[128:129], v[78:79]
	v_fma_f64 v[126:127], v[126:127], v[78:79], -v[80:81]
	v_add_f64_e32 v[128:129], 0, v[138:139]
	scratch_load_b128 v[78:81], off, off offset:352
	v_fmac_f64_e32 v[8:9], v[116:117], v[82:83]
	v_fma_f64 v[142:143], v[114:115], v[82:83], -v[84:85]
	ds_load_b128 v[82:85], v2 offset:720
	s_wait_loadcnt 0xb
	v_mul_f64_e32 v[138:139], v[134:135], v[88:89]
	v_mul_f64_e32 v[88:89], v[136:137], v[88:89]
	scratch_load_b128 v[114:117], off, off offset:368
	v_add_f64_e32 v[4:5], v[4:5], v[126:127]
	v_add_f64_e32 v[140:141], v[128:129], v[140:141]
	ds_load_b128 v[126:129], v2 offset:736
	s_wait_loadcnt_dscnt 0xb01
	v_mul_f64_e32 v[144:145], v[82:83], v[92:93]
	v_mul_f64_e32 v[92:93], v[84:85], v[92:93]
	v_fmac_f64_e32 v[138:139], v[136:137], v[86:87]
	v_fma_f64 v[134:135], v[134:135], v[86:87], -v[88:89]
	scratch_load_b128 v[86:89], off, off offset:384
	v_add_f64_e32 v[4:5], v[4:5], v[142:143]
	v_add_f64_e32 v[8:9], v[140:141], v[8:9]
	v_fmac_f64_e32 v[144:145], v[84:85], v[90:91]
	v_fma_f64 v[142:143], v[82:83], v[90:91], -v[92:93]
	ds_load_b128 v[82:85], v2 offset:752
	s_wait_loadcnt_dscnt 0xb01
	v_mul_f64_e32 v[140:141], v[126:127], v[96:97]
	v_mul_f64_e32 v[96:97], v[128:129], v[96:97]
	scratch_load_b128 v[90:93], off, off offset:400
	v_add_f64_e32 v[4:5], v[4:5], v[134:135]
	v_add_f64_e32 v[8:9], v[8:9], v[138:139]
	s_wait_loadcnt_dscnt 0xb00
	v_mul_f64_e32 v[138:139], v[82:83], v[100:101]
	v_mul_f64_e32 v[100:101], v[84:85], v[100:101]
	ds_load_b128 v[134:137], v2 offset:768
	v_fmac_f64_e32 v[140:141], v[128:129], v[94:95]
	v_fma_f64 v[126:127], v[126:127], v[94:95], -v[96:97]
	scratch_load_b128 v[94:97], off, off offset:416
	v_add_f64_e32 v[4:5], v[4:5], v[142:143]
	v_add_f64_e32 v[8:9], v[8:9], v[144:145]
	v_fmac_f64_e32 v[138:139], v[84:85], v[98:99]
	v_fma_f64 v[144:145], v[82:83], v[98:99], -v[100:101]
	ds_load_b128 v[82:85], v2 offset:784
	s_wait_loadcnt_dscnt 0xb01
	v_mul_f64_e32 v[142:143], v[134:135], v[104:105]
	v_mul_f64_e32 v[104:105], v[136:137], v[104:105]
	scratch_load_b128 v[98:101], off, off offset:432
	v_add_f64_e32 v[4:5], v[4:5], v[126:127]
	v_add_f64_e32 v[8:9], v[8:9], v[140:141]
	s_wait_loadcnt_dscnt 0xb00
	v_mul_f64_e32 v[140:141], v[82:83], v[108:109]
	v_mul_f64_e32 v[108:109], v[84:85], v[108:109]
	ds_load_b128 v[126:129], v2 offset:800
	;; [unrolled: 18-line block ×3, first 2 shown]
	v_fmac_f64_e32 v[138:139], v[128:129], v[110:111]
	v_fma_f64 v[126:127], v[126:127], v[110:111], -v[112:113]
	scratch_load_b128 v[110:113], off, off offset:480
	v_add_f64_e32 v[4:5], v[4:5], v[144:145]
	v_add_f64_e32 v[8:9], v[8:9], v[140:141]
	v_fmac_f64_e32 v[142:143], v[84:85], v[118:119]
	v_fma_f64 v[144:145], v[82:83], v[118:119], -v[120:121]
	ds_load_b128 v[82:85], v2 offset:848
	s_wait_loadcnt_dscnt 0x901
	v_mul_f64_e32 v[140:141], v[134:135], v[12:13]
	v_mul_f64_e32 v[12:13], v[136:137], v[12:13]
	scratch_load_b128 v[118:121], off, off offset:496
	v_add_f64_e32 v[4:5], v[4:5], v[126:127]
	v_add_f64_e32 v[8:9], v[8:9], v[138:139]
	s_wait_dscnt 0x0
	v_mul_f64_e32 v[138:139], v[82:83], v[132:133]
	v_mul_f64_e32 v[132:133], v[84:85], v[132:133]
	ds_load_b128 v[126:129], v2 offset:864
	v_fmac_f64_e32 v[140:141], v[136:137], v[10:11]
	v_fma_f64 v[10:11], v[134:135], v[10:11], -v[12:13]
	v_add_f64_e32 v[4:5], v[4:5], v[144:145]
	v_add_f64_e32 v[8:9], v[8:9], v[142:143]
	s_wait_loadcnt_dscnt 0x900
	v_mul_f64_e32 v[12:13], v[126:127], v[80:81]
	v_mul_f64_e32 v[134:135], v[128:129], v[80:81]
	v_fmac_f64_e32 v[138:139], v[84:85], v[130:131]
	v_fma_f64 v[84:85], v[82:83], v[130:131], -v[132:133]
	v_add_f64_e32 v[4:5], v[4:5], v[10:11]
	v_add_f64_e32 v[130:131], v[8:9], v[140:141]
	ds_load_b128 v[8:11], v2 offset:880
	ds_load_b128 v[80:83], v2 offset:896
	v_fmac_f64_e32 v[12:13], v[128:129], v[78:79]
	v_fma_f64 v[78:79], v[126:127], v[78:79], -v[134:135]
	s_wait_loadcnt_dscnt 0x801
	v_mul_f64_e32 v[132:133], v[8:9], v[116:117]
	v_mul_f64_e32 v[116:117], v[10:11], v[116:117]
	s_wait_loadcnt_dscnt 0x700
	v_mul_f64_e32 v[126:127], v[80:81], v[88:89]
	v_mul_f64_e32 v[88:89], v[82:83], v[88:89]
	v_add_f64_e32 v[4:5], v[4:5], v[84:85]
	v_add_f64_e32 v[84:85], v[130:131], v[138:139]
	v_fmac_f64_e32 v[132:133], v[10:11], v[114:115]
	v_fma_f64 v[128:129], v[8:9], v[114:115], -v[116:117]
	ds_load_b128 v[8:11], v2 offset:912
	ds_load_b128 v[114:117], v2 offset:928
	v_fmac_f64_e32 v[126:127], v[82:83], v[86:87]
	v_fma_f64 v[80:81], v[80:81], v[86:87], -v[88:89]
	v_add_f64_e32 v[4:5], v[4:5], v[78:79]
	v_add_f64_e32 v[12:13], v[84:85], v[12:13]
	s_wait_loadcnt_dscnt 0x601
	v_mul_f64_e32 v[84:85], v[8:9], v[92:93]
	v_mul_f64_e32 v[78:79], v[10:11], v[92:93]
	s_wait_loadcnt_dscnt 0x500
	v_mul_f64_e32 v[82:83], v[114:115], v[96:97]
	v_mul_f64_e32 v[86:87], v[116:117], v[96:97]
	v_add_f64_e32 v[4:5], v[4:5], v[128:129]
	v_add_f64_e32 v[12:13], v[12:13], v[132:133]
	v_fmac_f64_e32 v[84:85], v[10:11], v[90:91]
	v_fma_f64 v[88:89], v[8:9], v[90:91], -v[78:79]
	v_fmac_f64_e32 v[82:83], v[116:117], v[94:95]
	v_fma_f64 v[86:87], v[114:115], v[94:95], -v[86:87]
	v_add_f64_e32 v[4:5], v[4:5], v[80:81]
	v_add_f64_e32 v[12:13], v[12:13], v[126:127]
	ds_load_b128 v[8:11], v2 offset:944
	ds_load_b128 v[78:81], v2 offset:960
	s_wait_loadcnt_dscnt 0x401
	v_mul_f64_e32 v[90:91], v[8:9], v[100:101]
	v_mul_f64_e32 v[92:93], v[10:11], v[100:101]
	s_wait_loadcnt_dscnt 0x300
	v_mul_f64_e32 v[94:95], v[80:81], v[104:105]
	v_add_f64_e32 v[4:5], v[4:5], v[88:89]
	v_add_f64_e32 v[12:13], v[12:13], v[84:85]
	v_mul_f64_e32 v[88:89], v[78:79], v[104:105]
	v_fmac_f64_e32 v[90:91], v[10:11], v[98:99]
	v_fma_f64 v[92:93], v[8:9], v[98:99], -v[92:93]
	v_fma_f64 v[78:79], v[78:79], v[102:103], -v[94:95]
	v_add_f64_e32 v[4:5], v[4:5], v[86:87]
	v_add_f64_e32 v[12:13], v[12:13], v[82:83]
	ds_load_b128 v[8:11], v2 offset:976
	ds_load_b128 v[82:85], v2 offset:992
	v_fmac_f64_e32 v[88:89], v[80:81], v[102:103]
	s_wait_loadcnt_dscnt 0x201
	v_mul_f64_e32 v[86:87], v[8:9], v[108:109]
	v_mul_f64_e32 v[96:97], v[10:11], v[108:109]
	s_wait_loadcnt_dscnt 0x100
	v_mul_f64_e32 v[80:81], v[82:83], v[112:113]
	v_add_f64_e32 v[4:5], v[4:5], v[92:93]
	v_add_f64_e32 v[12:13], v[12:13], v[90:91]
	v_mul_f64_e32 v[90:91], v[84:85], v[112:113]
	v_fmac_f64_e32 v[86:87], v[10:11], v[106:107]
	v_fma_f64 v[92:93], v[8:9], v[106:107], -v[96:97]
	ds_load_b128 v[8:11], v2 offset:1008
	v_fmac_f64_e32 v[80:81], v[84:85], v[110:111]
	v_add_f64_e32 v[4:5], v[4:5], v[78:79]
	v_add_f64_e32 v[12:13], v[12:13], v[88:89]
	v_fma_f64 v[82:83], v[82:83], v[110:111], -v[90:91]
	s_wait_loadcnt_dscnt 0x0
	v_mul_f64_e32 v[78:79], v[8:9], v[120:121]
	v_mul_f64_e32 v[88:89], v[10:11], v[120:121]
	v_add_f64_e32 v[4:5], v[4:5], v[92:93]
	v_add_f64_e32 v[12:13], v[12:13], v[86:87]
	s_delay_alu instid0(VALU_DEP_4) | instskip(NEXT) | instid1(VALU_DEP_4)
	v_fmac_f64_e32 v[78:79], v[10:11], v[118:119]
	v_fma_f64 v[8:9], v[8:9], v[118:119], -v[88:89]
	s_delay_alu instid0(VALU_DEP_4) | instskip(NEXT) | instid1(VALU_DEP_4)
	v_add_f64_e32 v[4:5], v[4:5], v[82:83]
	v_add_f64_e32 v[10:11], v[12:13], v[80:81]
	s_delay_alu instid0(VALU_DEP_2) | instskip(NEXT) | instid1(VALU_DEP_2)
	v_add_f64_e32 v[4:5], v[4:5], v[8:9]
	v_add_f64_e32 v[10:11], v[10:11], v[78:79]
	s_delay_alu instid0(VALU_DEP_2) | instskip(NEXT) | instid1(VALU_DEP_2)
	v_add_f64_e64 v[8:9], v[122:123], -v[4:5]
	v_add_f64_e64 v[10:11], v[124:125], -v[10:11]
	scratch_store_b128 off, v[8:11], off offset:128
	s_wait_xcnt 0x0
	v_cmpx_lt_u32_e32 7, v1
	s_cbranch_execz .LBB95_191
; %bb.190:
	scratch_load_b128 v[8:11], off, s41
	v_dual_mov_b32 v3, v2 :: v_dual_mov_b32 v4, v2
	v_mov_b32_e32 v5, v2
	scratch_store_b128 off, v[2:5], off offset:112
	s_wait_loadcnt 0x0
	ds_store_b128 v6, v[8:11]
.LBB95_191:
	s_wait_xcnt 0x0
	s_or_b32 exec_lo, exec_lo, s2
	s_wait_storecnt_dscnt 0x0
	s_barrier_signal -1
	s_barrier_wait -1
	s_clause 0x9
	scratch_load_b128 v[8:11], off, off offset:128
	scratch_load_b128 v[78:81], off, off offset:144
	scratch_load_b128 v[82:85], off, off offset:160
	scratch_load_b128 v[86:89], off, off offset:176
	scratch_load_b128 v[90:93], off, off offset:192
	scratch_load_b128 v[94:97], off, off offset:208
	scratch_load_b128 v[98:101], off, off offset:224
	scratch_load_b128 v[102:105], off, off offset:240
	scratch_load_b128 v[106:109], off, off offset:256
	scratch_load_b128 v[110:113], off, off offset:272
	ds_load_b128 v[114:117], v2 offset:640
	ds_load_b128 v[122:125], v2 offset:656
	s_clause 0x1
	scratch_load_b128 v[118:121], off, off offset:288
	scratch_load_b128 v[126:129], off, off offset:112
	s_mov_b32 s2, exec_lo
	s_wait_loadcnt_dscnt 0xb01
	v_mul_f64_e32 v[4:5], v[116:117], v[10:11]
	v_mul_f64_e32 v[138:139], v[114:115], v[10:11]
	scratch_load_b128 v[10:13], off, off offset:304
	s_wait_loadcnt_dscnt 0xb00
	v_mul_f64_e32 v[140:141], v[122:123], v[80:81]
	v_mul_f64_e32 v[80:81], v[124:125], v[80:81]
	v_fma_f64 v[4:5], v[114:115], v[8:9], -v[4:5]
	v_fmac_f64_e32 v[138:139], v[116:117], v[8:9]
	ds_load_b128 v[114:117], v2 offset:672
	ds_load_b128 v[130:133], v2 offset:688
	scratch_load_b128 v[134:137], off, off offset:320
	v_fmac_f64_e32 v[140:141], v[124:125], v[78:79]
	v_fma_f64 v[122:123], v[122:123], v[78:79], -v[80:81]
	scratch_load_b128 v[78:81], off, off offset:336
	s_wait_loadcnt_dscnt 0xc01
	v_mul_f64_e32 v[8:9], v[114:115], v[84:85]
	v_mul_f64_e32 v[84:85], v[116:117], v[84:85]
	v_add_f64_e32 v[4:5], 0, v[4:5]
	v_add_f64_e32 v[124:125], 0, v[138:139]
	s_wait_loadcnt_dscnt 0xb00
	v_mul_f64_e32 v[138:139], v[130:131], v[88:89]
	v_mul_f64_e32 v[88:89], v[132:133], v[88:89]
	v_fmac_f64_e32 v[8:9], v[116:117], v[82:83]
	v_fma_f64 v[142:143], v[114:115], v[82:83], -v[84:85]
	ds_load_b128 v[82:85], v2 offset:704
	ds_load_b128 v[114:117], v2 offset:720
	v_add_f64_e32 v[4:5], v[4:5], v[122:123]
	v_add_f64_e32 v[140:141], v[124:125], v[140:141]
	scratch_load_b128 v[122:125], off, off offset:352
	v_fmac_f64_e32 v[138:139], v[132:133], v[86:87]
	v_fma_f64 v[130:131], v[130:131], v[86:87], -v[88:89]
	scratch_load_b128 v[86:89], off, off offset:368
	s_wait_loadcnt_dscnt 0xc01
	v_mul_f64_e32 v[144:145], v[82:83], v[92:93]
	v_mul_f64_e32 v[92:93], v[84:85], v[92:93]
	v_add_f64_e32 v[4:5], v[4:5], v[142:143]
	v_add_f64_e32 v[8:9], v[140:141], v[8:9]
	s_wait_loadcnt_dscnt 0xb00
	v_mul_f64_e32 v[140:141], v[114:115], v[96:97]
	v_mul_f64_e32 v[96:97], v[116:117], v[96:97]
	v_fmac_f64_e32 v[144:145], v[84:85], v[90:91]
	v_fma_f64 v[142:143], v[82:83], v[90:91], -v[92:93]
	ds_load_b128 v[82:85], v2 offset:736
	ds_load_b128 v[90:93], v2 offset:752
	v_add_f64_e32 v[4:5], v[4:5], v[130:131]
	v_add_f64_e32 v[8:9], v[8:9], v[138:139]
	scratch_load_b128 v[130:133], off, off offset:384
	s_wait_loadcnt_dscnt 0xb01
	v_mul_f64_e32 v[138:139], v[82:83], v[100:101]
	v_mul_f64_e32 v[100:101], v[84:85], v[100:101]
	v_fmac_f64_e32 v[140:141], v[116:117], v[94:95]
	v_fma_f64 v[114:115], v[114:115], v[94:95], -v[96:97]
	scratch_load_b128 v[94:97], off, off offset:400
	v_add_f64_e32 v[4:5], v[4:5], v[142:143]
	v_add_f64_e32 v[8:9], v[8:9], v[144:145]
	s_wait_loadcnt_dscnt 0xb00
	v_mul_f64_e32 v[142:143], v[90:91], v[104:105]
	v_mul_f64_e32 v[104:105], v[92:93], v[104:105]
	v_fmac_f64_e32 v[138:139], v[84:85], v[98:99]
	v_fma_f64 v[144:145], v[82:83], v[98:99], -v[100:101]
	ds_load_b128 v[82:85], v2 offset:768
	ds_load_b128 v[98:101], v2 offset:784
	v_add_f64_e32 v[4:5], v[4:5], v[114:115]
	v_add_f64_e32 v[8:9], v[8:9], v[140:141]
	scratch_load_b128 v[114:117], off, off offset:416
	s_wait_loadcnt_dscnt 0xb01
	v_mul_f64_e32 v[140:141], v[82:83], v[108:109]
	v_mul_f64_e32 v[108:109], v[84:85], v[108:109]
	v_fmac_f64_e32 v[142:143], v[92:93], v[102:103]
	v_fma_f64 v[102:103], v[90:91], v[102:103], -v[104:105]
	scratch_load_b128 v[90:93], off, off offset:432
	v_add_f64_e32 v[4:5], v[4:5], v[144:145]
	v_add_f64_e32 v[8:9], v[8:9], v[138:139]
	s_wait_loadcnt_dscnt 0xb00
	v_mul_f64_e32 v[138:139], v[98:99], v[112:113]
	v_mul_f64_e32 v[112:113], v[100:101], v[112:113]
	v_fmac_f64_e32 v[140:141], v[84:85], v[106:107]
	v_fma_f64 v[144:145], v[82:83], v[106:107], -v[108:109]
	v_add_f64_e32 v[4:5], v[4:5], v[102:103]
	v_add_f64_e32 v[8:9], v[8:9], v[142:143]
	ds_load_b128 v[82:85], v2 offset:800
	ds_load_b128 v[102:105], v2 offset:816
	scratch_load_b128 v[106:109], off, off offset:448
	v_fmac_f64_e32 v[138:139], v[100:101], v[110:111]
	v_fma_f64 v[110:111], v[98:99], v[110:111], -v[112:113]
	scratch_load_b128 v[98:101], off, off offset:464
	s_wait_loadcnt_dscnt 0xc01
	v_mul_f64_e32 v[142:143], v[82:83], v[120:121]
	v_mul_f64_e32 v[120:121], v[84:85], v[120:121]
	v_add_f64_e32 v[4:5], v[4:5], v[144:145]
	v_add_f64_e32 v[8:9], v[8:9], v[140:141]
	s_wait_loadcnt_dscnt 0xa00
	v_mul_f64_e32 v[140:141], v[102:103], v[12:13]
	v_mul_f64_e32 v[12:13], v[104:105], v[12:13]
	v_fmac_f64_e32 v[142:143], v[84:85], v[118:119]
	v_fma_f64 v[144:145], v[82:83], v[118:119], -v[120:121]
	v_add_f64_e32 v[4:5], v[4:5], v[110:111]
	v_add_f64_e32 v[8:9], v[8:9], v[138:139]
	ds_load_b128 v[82:85], v2 offset:832
	ds_load_b128 v[110:113], v2 offset:848
	scratch_load_b128 v[118:121], off, off offset:480
	v_fmac_f64_e32 v[140:141], v[104:105], v[10:11]
	v_fma_f64 v[12:13], v[102:103], v[10:11], -v[12:13]
	s_wait_loadcnt_dscnt 0xa01
	v_mul_f64_e32 v[138:139], v[82:83], v[136:137]
	v_mul_f64_e32 v[136:137], v[84:85], v[136:137]
	v_add_f64_e32 v[4:5], v[4:5], v[144:145]
	v_add_f64_e32 v[102:103], v[8:9], v[142:143]
	scratch_load_b128 v[8:11], off, off offset:496
	s_wait_loadcnt_dscnt 0xa00
	v_mul_f64_e32 v[142:143], v[110:111], v[80:81]
	v_mul_f64_e32 v[144:145], v[112:113], v[80:81]
	v_fmac_f64_e32 v[138:139], v[84:85], v[134:135]
	v_fma_f64 v[84:85], v[82:83], v[134:135], -v[136:137]
	v_add_f64_e32 v[4:5], v[4:5], v[12:13]
	v_add_f64_e32 v[12:13], v[102:103], v[140:141]
	ds_load_b128 v[80:83], v2 offset:864
	ds_load_b128 v[102:105], v2 offset:880
	v_fmac_f64_e32 v[142:143], v[112:113], v[78:79]
	v_fma_f64 v[78:79], v[110:111], v[78:79], -v[144:145]
	s_wait_loadcnt_dscnt 0x901
	v_mul_f64_e32 v[134:135], v[80:81], v[124:125]
	v_mul_f64_e32 v[124:125], v[82:83], v[124:125]
	s_wait_loadcnt_dscnt 0x800
	v_mul_f64_e32 v[110:111], v[102:103], v[88:89]
	v_mul_f64_e32 v[88:89], v[104:105], v[88:89]
	v_add_f64_e32 v[4:5], v[4:5], v[84:85]
	v_add_f64_e32 v[12:13], v[12:13], v[138:139]
	v_fmac_f64_e32 v[134:135], v[82:83], v[122:123]
	v_fma_f64 v[112:113], v[80:81], v[122:123], -v[124:125]
	v_fmac_f64_e32 v[110:111], v[104:105], v[86:87]
	v_fma_f64 v[86:87], v[102:103], v[86:87], -v[88:89]
	v_add_f64_e32 v[4:5], v[4:5], v[78:79]
	v_add_f64_e32 v[12:13], v[12:13], v[142:143]
	ds_load_b128 v[78:81], v2 offset:896
	ds_load_b128 v[82:85], v2 offset:912
	s_wait_loadcnt_dscnt 0x701
	v_mul_f64_e32 v[122:123], v[78:79], v[132:133]
	v_mul_f64_e32 v[124:125], v[80:81], v[132:133]
	s_wait_loadcnt_dscnt 0x600
	v_mul_f64_e32 v[102:103], v[82:83], v[96:97]
	v_mul_f64_e32 v[96:97], v[84:85], v[96:97]
	v_add_f64_e32 v[4:5], v[4:5], v[112:113]
	v_add_f64_e32 v[12:13], v[12:13], v[134:135]
	v_fmac_f64_e32 v[122:123], v[80:81], v[130:131]
	v_fma_f64 v[104:105], v[78:79], v[130:131], -v[124:125]
	v_fmac_f64_e32 v[102:103], v[84:85], v[94:95]
	v_fma_f64 v[82:83], v[82:83], v[94:95], -v[96:97]
	v_add_f64_e32 v[4:5], v[4:5], v[86:87]
	v_add_f64_e32 v[12:13], v[12:13], v[110:111]
	ds_load_b128 v[78:81], v2 offset:928
	ds_load_b128 v[86:89], v2 offset:944
	;; [unrolled: 16-line block ×4, first 2 shown]
	s_wait_loadcnt_dscnt 0x101
	v_mul_f64_e32 v[94:95], v[78:79], v[120:121]
	v_mul_f64_e32 v[96:97], v[80:81], v[120:121]
	v_add_f64_e32 v[84:85], v[86:87], v[92:93]
	v_add_f64_e32 v[12:13], v[12:13], v[102:103]
	s_wait_loadcnt_dscnt 0x0
	v_mul_f64_e32 v[86:87], v[2:3], v[10:11]
	v_mul_f64_e32 v[10:11], v[4:5], v[10:11]
	v_fmac_f64_e32 v[94:95], v[80:81], v[118:119]
	v_fma_f64 v[78:79], v[78:79], v[118:119], -v[96:97]
	v_add_f64_e32 v[80:81], v[84:85], v[82:83]
	v_add_f64_e32 v[12:13], v[12:13], v[88:89]
	v_fmac_f64_e32 v[86:87], v[4:5], v[8:9]
	v_fma_f64 v[2:3], v[2:3], v[8:9], -v[10:11]
	s_delay_alu instid0(VALU_DEP_4) | instskip(NEXT) | instid1(VALU_DEP_4)
	v_add_f64_e32 v[4:5], v[80:81], v[78:79]
	v_add_f64_e32 v[8:9], v[12:13], v[94:95]
	s_delay_alu instid0(VALU_DEP_2) | instskip(NEXT) | instid1(VALU_DEP_2)
	v_add_f64_e32 v[2:3], v[4:5], v[2:3]
	v_add_f64_e32 v[4:5], v[8:9], v[86:87]
	s_delay_alu instid0(VALU_DEP_2) | instskip(NEXT) | instid1(VALU_DEP_2)
	v_add_f64_e64 v[2:3], v[126:127], -v[2:3]
	v_add_f64_e64 v[4:5], v[128:129], -v[4:5]
	scratch_store_b128 off, v[2:5], off offset:112
	s_wait_xcnt 0x0
	v_cmpx_lt_u32_e32 6, v1
	s_cbranch_execz .LBB95_193
; %bb.192:
	scratch_load_b128 v[2:5], off, s42
	v_mov_b32_e32 v8, 0
	s_delay_alu instid0(VALU_DEP_1)
	v_dual_mov_b32 v9, v8 :: v_dual_mov_b32 v10, v8
	v_mov_b32_e32 v11, v8
	scratch_store_b128 off, v[8:11], off offset:96
	s_wait_loadcnt 0x0
	ds_store_b128 v6, v[2:5]
.LBB95_193:
	s_wait_xcnt 0x0
	s_or_b32 exec_lo, exec_lo, s2
	s_wait_storecnt_dscnt 0x0
	s_barrier_signal -1
	s_barrier_wait -1
	s_clause 0x9
	scratch_load_b128 v[8:11], off, off offset:112
	scratch_load_b128 v[78:81], off, off offset:128
	;; [unrolled: 1-line block ×10, first 2 shown]
	v_mov_b32_e32 v2, 0
	s_mov_b32 s2, exec_lo
	ds_load_b128 v[114:117], v2 offset:624
	s_clause 0x2
	scratch_load_b128 v[118:121], off, off offset:272
	scratch_load_b128 v[122:125], off, off offset:96
	;; [unrolled: 1-line block ×3, first 2 shown]
	s_wait_loadcnt_dscnt 0xc00
	v_mul_f64_e32 v[4:5], v[116:117], v[10:11]
	v_mul_f64_e32 v[138:139], v[114:115], v[10:11]
	ds_load_b128 v[126:129], v2 offset:640
	scratch_load_b128 v[10:13], off, off offset:288
	ds_load_b128 v[134:137], v2 offset:672
	v_fma_f64 v[4:5], v[114:115], v[8:9], -v[4:5]
	v_fmac_f64_e32 v[138:139], v[116:117], v[8:9]
	ds_load_b128 v[114:117], v2 offset:656
	s_wait_loadcnt_dscnt 0xc02
	v_mul_f64_e32 v[140:141], v[126:127], v[80:81]
	v_mul_f64_e32 v[80:81], v[128:129], v[80:81]
	s_wait_loadcnt_dscnt 0xb00
	v_mul_f64_e32 v[8:9], v[114:115], v[84:85]
	v_mul_f64_e32 v[84:85], v[116:117], v[84:85]
	v_add_f64_e32 v[4:5], 0, v[4:5]
	v_fmac_f64_e32 v[140:141], v[128:129], v[78:79]
	v_fma_f64 v[126:127], v[126:127], v[78:79], -v[80:81]
	v_add_f64_e32 v[128:129], 0, v[138:139]
	scratch_load_b128 v[78:81], off, off offset:320
	v_fmac_f64_e32 v[8:9], v[116:117], v[82:83]
	v_fma_f64 v[142:143], v[114:115], v[82:83], -v[84:85]
	ds_load_b128 v[82:85], v2 offset:688
	s_wait_loadcnt 0xb
	v_mul_f64_e32 v[138:139], v[134:135], v[88:89]
	v_mul_f64_e32 v[88:89], v[136:137], v[88:89]
	scratch_load_b128 v[114:117], off, off offset:336
	v_add_f64_e32 v[4:5], v[4:5], v[126:127]
	v_add_f64_e32 v[140:141], v[128:129], v[140:141]
	ds_load_b128 v[126:129], v2 offset:704
	s_wait_loadcnt_dscnt 0xb01
	v_mul_f64_e32 v[144:145], v[82:83], v[92:93]
	v_mul_f64_e32 v[92:93], v[84:85], v[92:93]
	v_fmac_f64_e32 v[138:139], v[136:137], v[86:87]
	v_fma_f64 v[134:135], v[134:135], v[86:87], -v[88:89]
	scratch_load_b128 v[86:89], off, off offset:352
	v_add_f64_e32 v[4:5], v[4:5], v[142:143]
	v_add_f64_e32 v[8:9], v[140:141], v[8:9]
	v_fmac_f64_e32 v[144:145], v[84:85], v[90:91]
	v_fma_f64 v[142:143], v[82:83], v[90:91], -v[92:93]
	ds_load_b128 v[82:85], v2 offset:720
	s_wait_loadcnt_dscnt 0xb01
	v_mul_f64_e32 v[140:141], v[126:127], v[96:97]
	v_mul_f64_e32 v[96:97], v[128:129], v[96:97]
	scratch_load_b128 v[90:93], off, off offset:368
	v_add_f64_e32 v[4:5], v[4:5], v[134:135]
	v_add_f64_e32 v[8:9], v[8:9], v[138:139]
	s_wait_loadcnt_dscnt 0xb00
	v_mul_f64_e32 v[138:139], v[82:83], v[100:101]
	v_mul_f64_e32 v[100:101], v[84:85], v[100:101]
	ds_load_b128 v[134:137], v2 offset:736
	v_fmac_f64_e32 v[140:141], v[128:129], v[94:95]
	v_fma_f64 v[126:127], v[126:127], v[94:95], -v[96:97]
	scratch_load_b128 v[94:97], off, off offset:384
	v_add_f64_e32 v[4:5], v[4:5], v[142:143]
	v_add_f64_e32 v[8:9], v[8:9], v[144:145]
	v_fmac_f64_e32 v[138:139], v[84:85], v[98:99]
	v_fma_f64 v[144:145], v[82:83], v[98:99], -v[100:101]
	ds_load_b128 v[82:85], v2 offset:752
	s_wait_loadcnt_dscnt 0xb01
	v_mul_f64_e32 v[142:143], v[134:135], v[104:105]
	v_mul_f64_e32 v[104:105], v[136:137], v[104:105]
	scratch_load_b128 v[98:101], off, off offset:400
	v_add_f64_e32 v[4:5], v[4:5], v[126:127]
	v_add_f64_e32 v[8:9], v[8:9], v[140:141]
	s_wait_loadcnt_dscnt 0xb00
	v_mul_f64_e32 v[140:141], v[82:83], v[108:109]
	v_mul_f64_e32 v[108:109], v[84:85], v[108:109]
	ds_load_b128 v[126:129], v2 offset:768
	;; [unrolled: 18-line block ×3, first 2 shown]
	v_fmac_f64_e32 v[138:139], v[128:129], v[110:111]
	v_fma_f64 v[126:127], v[126:127], v[110:111], -v[112:113]
	scratch_load_b128 v[110:113], off, off offset:448
	v_add_f64_e32 v[4:5], v[4:5], v[144:145]
	v_add_f64_e32 v[8:9], v[8:9], v[140:141]
	v_fmac_f64_e32 v[142:143], v[84:85], v[118:119]
	v_fma_f64 v[144:145], v[82:83], v[118:119], -v[120:121]
	ds_load_b128 v[82:85], v2 offset:816
	s_wait_loadcnt_dscnt 0x901
	v_mul_f64_e32 v[140:141], v[134:135], v[12:13]
	v_mul_f64_e32 v[12:13], v[136:137], v[12:13]
	scratch_load_b128 v[118:121], off, off offset:464
	v_add_f64_e32 v[4:5], v[4:5], v[126:127]
	v_add_f64_e32 v[8:9], v[8:9], v[138:139]
	s_wait_dscnt 0x0
	v_mul_f64_e32 v[138:139], v[82:83], v[132:133]
	v_mul_f64_e32 v[132:133], v[84:85], v[132:133]
	ds_load_b128 v[126:129], v2 offset:832
	v_fmac_f64_e32 v[140:141], v[136:137], v[10:11]
	v_fma_f64 v[12:13], v[134:135], v[10:11], -v[12:13]
	v_add_f64_e32 v[4:5], v[4:5], v[144:145]
	v_add_f64_e32 v[134:135], v[8:9], v[142:143]
	scratch_load_b128 v[8:11], off, off offset:480
	v_fmac_f64_e32 v[138:139], v[84:85], v[130:131]
	v_fma_f64 v[84:85], v[82:83], v[130:131], -v[132:133]
	scratch_load_b128 v[130:133], off, off offset:496
	v_add_f64_e32 v[4:5], v[4:5], v[12:13]
	v_add_f64_e32 v[12:13], v[134:135], v[140:141]
	ds_load_b128 v[134:137], v2 offset:864
	s_wait_loadcnt_dscnt 0xb01
	v_mul_f64_e32 v[142:143], v[126:127], v[80:81]
	v_mul_f64_e32 v[144:145], v[128:129], v[80:81]
	ds_load_b128 v[80:83], v2 offset:848
	s_wait_loadcnt_dscnt 0xa00
	v_mul_f64_e32 v[140:141], v[80:81], v[116:117]
	v_mul_f64_e32 v[116:117], v[82:83], v[116:117]
	v_add_f64_e32 v[4:5], v[4:5], v[84:85]
	v_add_f64_e32 v[12:13], v[12:13], v[138:139]
	v_fmac_f64_e32 v[142:143], v[128:129], v[78:79]
	v_fma_f64 v[78:79], v[126:127], v[78:79], -v[144:145]
	s_wait_loadcnt 0x9
	v_mul_f64_e32 v[126:127], v[134:135], v[88:89]
	v_mul_f64_e32 v[88:89], v[136:137], v[88:89]
	v_fmac_f64_e32 v[140:141], v[82:83], v[114:115]
	v_fma_f64 v[114:115], v[80:81], v[114:115], -v[116:117]
	v_add_f64_e32 v[12:13], v[12:13], v[142:143]
	v_add_f64_e32 v[4:5], v[4:5], v[78:79]
	ds_load_b128 v[78:81], v2 offset:880
	ds_load_b128 v[82:85], v2 offset:896
	v_fmac_f64_e32 v[126:127], v[136:137], v[86:87]
	v_fma_f64 v[86:87], v[134:135], v[86:87], -v[88:89]
	s_wait_loadcnt_dscnt 0x801
	v_mul_f64_e32 v[116:117], v[78:79], v[92:93]
	v_mul_f64_e32 v[92:93], v[80:81], v[92:93]
	v_add_f64_e32 v[12:13], v[12:13], v[140:141]
	v_add_f64_e32 v[4:5], v[4:5], v[114:115]
	s_wait_loadcnt_dscnt 0x700
	v_mul_f64_e32 v[114:115], v[82:83], v[96:97]
	v_mul_f64_e32 v[96:97], v[84:85], v[96:97]
	v_fmac_f64_e32 v[116:117], v[80:81], v[90:91]
	v_fma_f64 v[90:91], v[78:79], v[90:91], -v[92:93]
	v_add_f64_e32 v[12:13], v[12:13], v[126:127]
	v_add_f64_e32 v[4:5], v[4:5], v[86:87]
	ds_load_b128 v[78:81], v2 offset:912
	ds_load_b128 v[86:89], v2 offset:928
	v_fmac_f64_e32 v[114:115], v[84:85], v[94:95]
	v_fma_f64 v[82:83], v[82:83], v[94:95], -v[96:97]
	s_wait_loadcnt_dscnt 0x601
	v_mul_f64_e32 v[92:93], v[78:79], v[100:101]
	v_mul_f64_e32 v[100:101], v[80:81], v[100:101]
	s_wait_loadcnt_dscnt 0x500
	v_mul_f64_e32 v[94:95], v[88:89], v[104:105]
	v_add_f64_e32 v[12:13], v[12:13], v[116:117]
	v_add_f64_e32 v[4:5], v[4:5], v[90:91]
	v_mul_f64_e32 v[90:91], v[86:87], v[104:105]
	v_fmac_f64_e32 v[92:93], v[80:81], v[98:99]
	v_fma_f64 v[96:97], v[78:79], v[98:99], -v[100:101]
	v_fma_f64 v[86:87], v[86:87], v[102:103], -v[94:95]
	v_add_f64_e32 v[12:13], v[12:13], v[114:115]
	v_add_f64_e32 v[4:5], v[4:5], v[82:83]
	ds_load_b128 v[78:81], v2 offset:944
	ds_load_b128 v[82:85], v2 offset:960
	v_fmac_f64_e32 v[90:91], v[88:89], v[102:103]
	s_wait_loadcnt_dscnt 0x401
	v_mul_f64_e32 v[98:99], v[78:79], v[108:109]
	v_mul_f64_e32 v[100:101], v[80:81], v[108:109]
	s_wait_loadcnt_dscnt 0x300
	v_mul_f64_e32 v[94:95], v[84:85], v[112:113]
	v_add_f64_e32 v[12:13], v[12:13], v[92:93]
	v_add_f64_e32 v[4:5], v[4:5], v[96:97]
	v_mul_f64_e32 v[92:93], v[82:83], v[112:113]
	v_fmac_f64_e32 v[98:99], v[80:81], v[106:107]
	v_fma_f64 v[96:97], v[78:79], v[106:107], -v[100:101]
	v_fma_f64 v[82:83], v[82:83], v[110:111], -v[94:95]
	v_add_f64_e32 v[12:13], v[12:13], v[90:91]
	v_add_f64_e32 v[4:5], v[4:5], v[86:87]
	ds_load_b128 v[78:81], v2 offset:976
	ds_load_b128 v[86:89], v2 offset:992
	v_fmac_f64_e32 v[92:93], v[84:85], v[110:111]
	s_wait_loadcnt_dscnt 0x201
	v_mul_f64_e32 v[90:91], v[78:79], v[120:121]
	v_mul_f64_e32 v[100:101], v[80:81], v[120:121]
	s_wait_loadcnt_dscnt 0x100
	v_mul_f64_e32 v[84:85], v[86:87], v[10:11]
	v_add_f64_e32 v[12:13], v[12:13], v[98:99]
	v_add_f64_e32 v[4:5], v[4:5], v[96:97]
	v_mul_f64_e32 v[94:95], v[88:89], v[10:11]
	v_fmac_f64_e32 v[90:91], v[80:81], v[118:119]
	v_fma_f64 v[78:79], v[78:79], v[118:119], -v[100:101]
	v_fmac_f64_e32 v[84:85], v[88:89], v[8:9]
	v_add_f64_e32 v[80:81], v[12:13], v[92:93]
	v_add_f64_e32 v[4:5], v[4:5], v[82:83]
	ds_load_b128 v[10:13], v2 offset:1008
	v_fma_f64 v[8:9], v[86:87], v[8:9], -v[94:95]
	s_wait_loadcnt_dscnt 0x0
	v_mul_f64_e32 v[82:83], v[10:11], v[132:133]
	v_mul_f64_e32 v[92:93], v[12:13], v[132:133]
	v_add_f64_e32 v[4:5], v[4:5], v[78:79]
	v_add_f64_e32 v[78:79], v[80:81], v[90:91]
	s_delay_alu instid0(VALU_DEP_4) | instskip(NEXT) | instid1(VALU_DEP_4)
	v_fmac_f64_e32 v[82:83], v[12:13], v[130:131]
	v_fma_f64 v[10:11], v[10:11], v[130:131], -v[92:93]
	s_delay_alu instid0(VALU_DEP_4) | instskip(NEXT) | instid1(VALU_DEP_4)
	v_add_f64_e32 v[4:5], v[4:5], v[8:9]
	v_add_f64_e32 v[8:9], v[78:79], v[84:85]
	s_delay_alu instid0(VALU_DEP_2) | instskip(NEXT) | instid1(VALU_DEP_2)
	v_add_f64_e32 v[4:5], v[4:5], v[10:11]
	v_add_f64_e32 v[10:11], v[8:9], v[82:83]
	s_delay_alu instid0(VALU_DEP_2) | instskip(NEXT) | instid1(VALU_DEP_2)
	v_add_f64_e64 v[8:9], v[122:123], -v[4:5]
	v_add_f64_e64 v[10:11], v[124:125], -v[10:11]
	scratch_store_b128 off, v[8:11], off offset:96
	s_wait_xcnt 0x0
	v_cmpx_lt_u32_e32 5, v1
	s_cbranch_execz .LBB95_195
; %bb.194:
	scratch_load_b128 v[8:11], off, s43
	v_dual_mov_b32 v3, v2 :: v_dual_mov_b32 v4, v2
	v_mov_b32_e32 v5, v2
	scratch_store_b128 off, v[2:5], off offset:80
	s_wait_loadcnt 0x0
	ds_store_b128 v6, v[8:11]
.LBB95_195:
	s_wait_xcnt 0x0
	s_or_b32 exec_lo, exec_lo, s2
	s_wait_storecnt_dscnt 0x0
	s_barrier_signal -1
	s_barrier_wait -1
	s_clause 0x9
	scratch_load_b128 v[8:11], off, off offset:96
	scratch_load_b128 v[78:81], off, off offset:112
	;; [unrolled: 1-line block ×10, first 2 shown]
	ds_load_b128 v[114:117], v2 offset:608
	ds_load_b128 v[122:125], v2 offset:624
	s_clause 0x1
	scratch_load_b128 v[118:121], off, off offset:256
	scratch_load_b128 v[126:129], off, off offset:80
	s_mov_b32 s2, exec_lo
	s_wait_loadcnt_dscnt 0xb01
	v_mul_f64_e32 v[4:5], v[116:117], v[10:11]
	v_mul_f64_e32 v[138:139], v[114:115], v[10:11]
	scratch_load_b128 v[10:13], off, off offset:272
	s_wait_loadcnt_dscnt 0xb00
	v_mul_f64_e32 v[140:141], v[122:123], v[80:81]
	v_mul_f64_e32 v[80:81], v[124:125], v[80:81]
	v_fma_f64 v[4:5], v[114:115], v[8:9], -v[4:5]
	v_fmac_f64_e32 v[138:139], v[116:117], v[8:9]
	ds_load_b128 v[114:117], v2 offset:640
	ds_load_b128 v[130:133], v2 offset:656
	scratch_load_b128 v[134:137], off, off offset:288
	v_fmac_f64_e32 v[140:141], v[124:125], v[78:79]
	v_fma_f64 v[122:123], v[122:123], v[78:79], -v[80:81]
	scratch_load_b128 v[78:81], off, off offset:304
	s_wait_loadcnt_dscnt 0xc01
	v_mul_f64_e32 v[8:9], v[114:115], v[84:85]
	v_mul_f64_e32 v[84:85], v[116:117], v[84:85]
	v_add_f64_e32 v[4:5], 0, v[4:5]
	v_add_f64_e32 v[124:125], 0, v[138:139]
	s_wait_loadcnt_dscnt 0xb00
	v_mul_f64_e32 v[138:139], v[130:131], v[88:89]
	v_mul_f64_e32 v[88:89], v[132:133], v[88:89]
	v_fmac_f64_e32 v[8:9], v[116:117], v[82:83]
	v_fma_f64 v[142:143], v[114:115], v[82:83], -v[84:85]
	ds_load_b128 v[82:85], v2 offset:672
	ds_load_b128 v[114:117], v2 offset:688
	v_add_f64_e32 v[4:5], v[4:5], v[122:123]
	v_add_f64_e32 v[140:141], v[124:125], v[140:141]
	scratch_load_b128 v[122:125], off, off offset:320
	v_fmac_f64_e32 v[138:139], v[132:133], v[86:87]
	v_fma_f64 v[130:131], v[130:131], v[86:87], -v[88:89]
	scratch_load_b128 v[86:89], off, off offset:336
	s_wait_loadcnt_dscnt 0xc01
	v_mul_f64_e32 v[144:145], v[82:83], v[92:93]
	v_mul_f64_e32 v[92:93], v[84:85], v[92:93]
	v_add_f64_e32 v[4:5], v[4:5], v[142:143]
	v_add_f64_e32 v[8:9], v[140:141], v[8:9]
	s_wait_loadcnt_dscnt 0xb00
	v_mul_f64_e32 v[140:141], v[114:115], v[96:97]
	v_mul_f64_e32 v[96:97], v[116:117], v[96:97]
	v_fmac_f64_e32 v[144:145], v[84:85], v[90:91]
	v_fma_f64 v[142:143], v[82:83], v[90:91], -v[92:93]
	ds_load_b128 v[82:85], v2 offset:704
	ds_load_b128 v[90:93], v2 offset:720
	v_add_f64_e32 v[4:5], v[4:5], v[130:131]
	v_add_f64_e32 v[8:9], v[8:9], v[138:139]
	scratch_load_b128 v[130:133], off, off offset:352
	s_wait_loadcnt_dscnt 0xb01
	v_mul_f64_e32 v[138:139], v[82:83], v[100:101]
	v_mul_f64_e32 v[100:101], v[84:85], v[100:101]
	v_fmac_f64_e32 v[140:141], v[116:117], v[94:95]
	v_fma_f64 v[114:115], v[114:115], v[94:95], -v[96:97]
	scratch_load_b128 v[94:97], off, off offset:368
	v_add_f64_e32 v[4:5], v[4:5], v[142:143]
	v_add_f64_e32 v[8:9], v[8:9], v[144:145]
	s_wait_loadcnt_dscnt 0xb00
	v_mul_f64_e32 v[142:143], v[90:91], v[104:105]
	v_mul_f64_e32 v[104:105], v[92:93], v[104:105]
	v_fmac_f64_e32 v[138:139], v[84:85], v[98:99]
	v_fma_f64 v[144:145], v[82:83], v[98:99], -v[100:101]
	ds_load_b128 v[82:85], v2 offset:736
	ds_load_b128 v[98:101], v2 offset:752
	v_add_f64_e32 v[4:5], v[4:5], v[114:115]
	v_add_f64_e32 v[8:9], v[8:9], v[140:141]
	scratch_load_b128 v[114:117], off, off offset:384
	s_wait_loadcnt_dscnt 0xb01
	v_mul_f64_e32 v[140:141], v[82:83], v[108:109]
	v_mul_f64_e32 v[108:109], v[84:85], v[108:109]
	v_fmac_f64_e32 v[142:143], v[92:93], v[102:103]
	v_fma_f64 v[102:103], v[90:91], v[102:103], -v[104:105]
	scratch_load_b128 v[90:93], off, off offset:400
	v_add_f64_e32 v[4:5], v[4:5], v[144:145]
	v_add_f64_e32 v[8:9], v[8:9], v[138:139]
	s_wait_loadcnt_dscnt 0xb00
	v_mul_f64_e32 v[138:139], v[98:99], v[112:113]
	v_mul_f64_e32 v[112:113], v[100:101], v[112:113]
	v_fmac_f64_e32 v[140:141], v[84:85], v[106:107]
	v_fma_f64 v[144:145], v[82:83], v[106:107], -v[108:109]
	v_add_f64_e32 v[4:5], v[4:5], v[102:103]
	v_add_f64_e32 v[8:9], v[8:9], v[142:143]
	ds_load_b128 v[82:85], v2 offset:768
	ds_load_b128 v[102:105], v2 offset:784
	scratch_load_b128 v[106:109], off, off offset:416
	v_fmac_f64_e32 v[138:139], v[100:101], v[110:111]
	v_fma_f64 v[110:111], v[98:99], v[110:111], -v[112:113]
	scratch_load_b128 v[98:101], off, off offset:432
	s_wait_loadcnt_dscnt 0xc01
	v_mul_f64_e32 v[142:143], v[82:83], v[120:121]
	v_mul_f64_e32 v[120:121], v[84:85], v[120:121]
	v_add_f64_e32 v[4:5], v[4:5], v[144:145]
	v_add_f64_e32 v[8:9], v[8:9], v[140:141]
	s_wait_loadcnt_dscnt 0xa00
	v_mul_f64_e32 v[140:141], v[102:103], v[12:13]
	v_mul_f64_e32 v[12:13], v[104:105], v[12:13]
	v_fmac_f64_e32 v[142:143], v[84:85], v[118:119]
	v_fma_f64 v[144:145], v[82:83], v[118:119], -v[120:121]
	v_add_f64_e32 v[4:5], v[4:5], v[110:111]
	v_add_f64_e32 v[8:9], v[8:9], v[138:139]
	ds_load_b128 v[82:85], v2 offset:800
	ds_load_b128 v[110:113], v2 offset:816
	scratch_load_b128 v[118:121], off, off offset:448
	v_fmac_f64_e32 v[140:141], v[104:105], v[10:11]
	v_fma_f64 v[12:13], v[102:103], v[10:11], -v[12:13]
	s_wait_loadcnt_dscnt 0xa01
	v_mul_f64_e32 v[138:139], v[82:83], v[136:137]
	v_mul_f64_e32 v[136:137], v[84:85], v[136:137]
	v_add_f64_e32 v[4:5], v[4:5], v[144:145]
	v_add_f64_e32 v[102:103], v[8:9], v[142:143]
	scratch_load_b128 v[8:11], off, off offset:464
	s_wait_loadcnt_dscnt 0xa00
	v_mul_f64_e32 v[142:143], v[110:111], v[80:81]
	v_mul_f64_e32 v[144:145], v[112:113], v[80:81]
	v_fmac_f64_e32 v[138:139], v[84:85], v[134:135]
	v_fma_f64 v[84:85], v[82:83], v[134:135], -v[136:137]
	v_add_f64_e32 v[4:5], v[4:5], v[12:13]
	v_add_f64_e32 v[12:13], v[102:103], v[140:141]
	ds_load_b128 v[80:83], v2 offset:832
	ds_load_b128 v[102:105], v2 offset:848
	scratch_load_b128 v[134:137], off, off offset:480
	v_fmac_f64_e32 v[142:143], v[112:113], v[78:79]
	v_fma_f64 v[78:79], v[110:111], v[78:79], -v[144:145]
	scratch_load_b128 v[110:113], off, off offset:496
	s_wait_loadcnt_dscnt 0xb01
	v_mul_f64_e32 v[140:141], v[80:81], v[124:125]
	v_mul_f64_e32 v[124:125], v[82:83], v[124:125]
	v_add_f64_e32 v[4:5], v[4:5], v[84:85]
	v_add_f64_e32 v[12:13], v[12:13], v[138:139]
	s_wait_loadcnt_dscnt 0xa00
	v_mul_f64_e32 v[138:139], v[102:103], v[88:89]
	v_mul_f64_e32 v[88:89], v[104:105], v[88:89]
	v_fmac_f64_e32 v[140:141], v[82:83], v[122:123]
	v_fma_f64 v[122:123], v[80:81], v[122:123], -v[124:125]
	v_add_f64_e32 v[4:5], v[4:5], v[78:79]
	v_add_f64_e32 v[12:13], v[12:13], v[142:143]
	ds_load_b128 v[78:81], v2 offset:864
	ds_load_b128 v[82:85], v2 offset:880
	v_fmac_f64_e32 v[138:139], v[104:105], v[86:87]
	v_fma_f64 v[86:87], v[102:103], v[86:87], -v[88:89]
	s_wait_loadcnt_dscnt 0x901
	v_mul_f64_e32 v[124:125], v[78:79], v[132:133]
	v_mul_f64_e32 v[132:133], v[80:81], v[132:133]
	s_wait_loadcnt_dscnt 0x800
	v_mul_f64_e32 v[102:103], v[82:83], v[96:97]
	v_mul_f64_e32 v[96:97], v[84:85], v[96:97]
	v_add_f64_e32 v[4:5], v[4:5], v[122:123]
	v_add_f64_e32 v[12:13], v[12:13], v[140:141]
	v_fmac_f64_e32 v[124:125], v[80:81], v[130:131]
	v_fma_f64 v[104:105], v[78:79], v[130:131], -v[132:133]
	v_fmac_f64_e32 v[102:103], v[84:85], v[94:95]
	v_fma_f64 v[82:83], v[82:83], v[94:95], -v[96:97]
	v_add_f64_e32 v[4:5], v[4:5], v[86:87]
	v_add_f64_e32 v[12:13], v[12:13], v[138:139]
	ds_load_b128 v[78:81], v2 offset:896
	ds_load_b128 v[86:89], v2 offset:912
	s_wait_loadcnt_dscnt 0x701
	v_mul_f64_e32 v[122:123], v[78:79], v[116:117]
	v_mul_f64_e32 v[116:117], v[80:81], v[116:117]
	s_wait_loadcnt_dscnt 0x600
	v_mul_f64_e32 v[94:95], v[86:87], v[92:93]
	v_mul_f64_e32 v[92:93], v[88:89], v[92:93]
	v_add_f64_e32 v[4:5], v[4:5], v[104:105]
	v_add_f64_e32 v[12:13], v[12:13], v[124:125]
	v_fmac_f64_e32 v[122:123], v[80:81], v[114:115]
	v_fma_f64 v[96:97], v[78:79], v[114:115], -v[116:117]
	v_fmac_f64_e32 v[94:95], v[88:89], v[90:91]
	v_fma_f64 v[86:87], v[86:87], v[90:91], -v[92:93]
	v_add_f64_e32 v[4:5], v[4:5], v[82:83]
	v_add_f64_e32 v[12:13], v[12:13], v[102:103]
	ds_load_b128 v[78:81], v2 offset:928
	ds_load_b128 v[82:85], v2 offset:944
	;; [unrolled: 16-line block ×3, first 2 shown]
	s_wait_loadcnt_dscnt 0x301
	v_mul_f64_e32 v[94:95], v[78:79], v[120:121]
	v_mul_f64_e32 v[100:101], v[80:81], v[120:121]
	v_add_f64_e32 v[4:5], v[4:5], v[96:97]
	v_add_f64_e32 v[12:13], v[12:13], v[102:103]
	s_wait_loadcnt_dscnt 0x200
	v_mul_f64_e32 v[84:85], v[86:87], v[10:11]
	v_mul_f64_e32 v[92:93], v[88:89], v[10:11]
	v_fmac_f64_e32 v[94:95], v[80:81], v[118:119]
	v_fma_f64 v[78:79], v[78:79], v[118:119], -v[100:101]
	v_add_f64_e32 v[80:81], v[4:5], v[82:83]
	v_add_f64_e32 v[82:83], v[12:13], v[90:91]
	ds_load_b128 v[10:13], v2 offset:992
	ds_load_b128 v[2:5], v2 offset:1008
	v_fmac_f64_e32 v[84:85], v[88:89], v[8:9]
	v_fma_f64 v[8:9], v[86:87], v[8:9], -v[92:93]
	s_wait_loadcnt_dscnt 0x101
	v_mul_f64_e32 v[90:91], v[10:11], v[136:137]
	v_mul_f64_e32 v[96:97], v[12:13], v[136:137]
	s_wait_loadcnt_dscnt 0x0
	v_mul_f64_e32 v[86:87], v[4:5], v[112:113]
	v_add_f64_e32 v[78:79], v[80:81], v[78:79]
	v_add_f64_e32 v[80:81], v[82:83], v[94:95]
	v_mul_f64_e32 v[82:83], v[2:3], v[112:113]
	v_fmac_f64_e32 v[90:91], v[12:13], v[134:135]
	v_fma_f64 v[10:11], v[10:11], v[134:135], -v[96:97]
	v_fma_f64 v[2:3], v[2:3], v[110:111], -v[86:87]
	v_add_f64_e32 v[8:9], v[78:79], v[8:9]
	v_add_f64_e32 v[12:13], v[80:81], v[84:85]
	v_fmac_f64_e32 v[82:83], v[4:5], v[110:111]
	s_delay_alu instid0(VALU_DEP_3) | instskip(NEXT) | instid1(VALU_DEP_3)
	v_add_f64_e32 v[4:5], v[8:9], v[10:11]
	v_add_f64_e32 v[8:9], v[12:13], v[90:91]
	s_delay_alu instid0(VALU_DEP_2) | instskip(NEXT) | instid1(VALU_DEP_2)
	v_add_f64_e32 v[2:3], v[4:5], v[2:3]
	v_add_f64_e32 v[4:5], v[8:9], v[82:83]
	s_delay_alu instid0(VALU_DEP_2) | instskip(NEXT) | instid1(VALU_DEP_2)
	v_add_f64_e64 v[2:3], v[126:127], -v[2:3]
	v_add_f64_e64 v[4:5], v[128:129], -v[4:5]
	scratch_store_b128 off, v[2:5], off offset:80
	s_wait_xcnt 0x0
	v_cmpx_lt_u32_e32 4, v1
	s_cbranch_execz .LBB95_197
; %bb.196:
	scratch_load_b128 v[2:5], off, s12
	v_mov_b32_e32 v8, 0
	s_delay_alu instid0(VALU_DEP_1)
	v_dual_mov_b32 v9, v8 :: v_dual_mov_b32 v10, v8
	v_mov_b32_e32 v11, v8
	scratch_store_b128 off, v[8:11], off offset:64
	s_wait_loadcnt 0x0
	ds_store_b128 v6, v[2:5]
.LBB95_197:
	s_wait_xcnt 0x0
	s_or_b32 exec_lo, exec_lo, s2
	s_wait_storecnt_dscnt 0x0
	s_barrier_signal -1
	s_barrier_wait -1
	s_clause 0x9
	scratch_load_b128 v[8:11], off, off offset:80
	scratch_load_b128 v[78:81], off, off offset:96
	;; [unrolled: 1-line block ×10, first 2 shown]
	v_mov_b32_e32 v2, 0
	s_mov_b32 s2, exec_lo
	ds_load_b128 v[114:117], v2 offset:592
	s_clause 0x2
	scratch_load_b128 v[118:121], off, off offset:240
	scratch_load_b128 v[122:125], off, off offset:64
	;; [unrolled: 1-line block ×3, first 2 shown]
	s_wait_loadcnt_dscnt 0xc00
	v_mul_f64_e32 v[4:5], v[116:117], v[10:11]
	v_mul_f64_e32 v[138:139], v[114:115], v[10:11]
	ds_load_b128 v[126:129], v2 offset:608
	scratch_load_b128 v[10:13], off, off offset:256
	ds_load_b128 v[134:137], v2 offset:640
	v_fma_f64 v[4:5], v[114:115], v[8:9], -v[4:5]
	v_fmac_f64_e32 v[138:139], v[116:117], v[8:9]
	ds_load_b128 v[114:117], v2 offset:624
	s_wait_loadcnt_dscnt 0xc02
	v_mul_f64_e32 v[140:141], v[126:127], v[80:81]
	v_mul_f64_e32 v[80:81], v[128:129], v[80:81]
	s_wait_loadcnt_dscnt 0xb00
	v_mul_f64_e32 v[8:9], v[114:115], v[84:85]
	v_mul_f64_e32 v[84:85], v[116:117], v[84:85]
	v_add_f64_e32 v[4:5], 0, v[4:5]
	v_fmac_f64_e32 v[140:141], v[128:129], v[78:79]
	v_fma_f64 v[126:127], v[126:127], v[78:79], -v[80:81]
	v_add_f64_e32 v[128:129], 0, v[138:139]
	scratch_load_b128 v[78:81], off, off offset:288
	v_fmac_f64_e32 v[8:9], v[116:117], v[82:83]
	v_fma_f64 v[142:143], v[114:115], v[82:83], -v[84:85]
	ds_load_b128 v[82:85], v2 offset:656
	s_wait_loadcnt 0xb
	v_mul_f64_e32 v[138:139], v[134:135], v[88:89]
	v_mul_f64_e32 v[88:89], v[136:137], v[88:89]
	scratch_load_b128 v[114:117], off, off offset:304
	v_add_f64_e32 v[4:5], v[4:5], v[126:127]
	v_add_f64_e32 v[140:141], v[128:129], v[140:141]
	ds_load_b128 v[126:129], v2 offset:672
	s_wait_loadcnt_dscnt 0xb01
	v_mul_f64_e32 v[144:145], v[82:83], v[92:93]
	v_mul_f64_e32 v[92:93], v[84:85], v[92:93]
	v_fmac_f64_e32 v[138:139], v[136:137], v[86:87]
	v_fma_f64 v[134:135], v[134:135], v[86:87], -v[88:89]
	scratch_load_b128 v[86:89], off, off offset:320
	v_add_f64_e32 v[4:5], v[4:5], v[142:143]
	v_add_f64_e32 v[8:9], v[140:141], v[8:9]
	v_fmac_f64_e32 v[144:145], v[84:85], v[90:91]
	v_fma_f64 v[142:143], v[82:83], v[90:91], -v[92:93]
	ds_load_b128 v[82:85], v2 offset:688
	s_wait_loadcnt_dscnt 0xb01
	v_mul_f64_e32 v[140:141], v[126:127], v[96:97]
	v_mul_f64_e32 v[96:97], v[128:129], v[96:97]
	scratch_load_b128 v[90:93], off, off offset:336
	v_add_f64_e32 v[4:5], v[4:5], v[134:135]
	v_add_f64_e32 v[8:9], v[8:9], v[138:139]
	s_wait_loadcnt_dscnt 0xb00
	v_mul_f64_e32 v[138:139], v[82:83], v[100:101]
	v_mul_f64_e32 v[100:101], v[84:85], v[100:101]
	ds_load_b128 v[134:137], v2 offset:704
	v_fmac_f64_e32 v[140:141], v[128:129], v[94:95]
	v_fma_f64 v[126:127], v[126:127], v[94:95], -v[96:97]
	scratch_load_b128 v[94:97], off, off offset:352
	v_add_f64_e32 v[4:5], v[4:5], v[142:143]
	v_add_f64_e32 v[8:9], v[8:9], v[144:145]
	v_fmac_f64_e32 v[138:139], v[84:85], v[98:99]
	v_fma_f64 v[144:145], v[82:83], v[98:99], -v[100:101]
	ds_load_b128 v[82:85], v2 offset:720
	s_wait_loadcnt_dscnt 0xb01
	v_mul_f64_e32 v[142:143], v[134:135], v[104:105]
	v_mul_f64_e32 v[104:105], v[136:137], v[104:105]
	scratch_load_b128 v[98:101], off, off offset:368
	v_add_f64_e32 v[4:5], v[4:5], v[126:127]
	v_add_f64_e32 v[8:9], v[8:9], v[140:141]
	s_wait_loadcnt_dscnt 0xb00
	v_mul_f64_e32 v[140:141], v[82:83], v[108:109]
	v_mul_f64_e32 v[108:109], v[84:85], v[108:109]
	ds_load_b128 v[126:129], v2 offset:736
	;; [unrolled: 18-line block ×3, first 2 shown]
	v_fmac_f64_e32 v[138:139], v[128:129], v[110:111]
	v_fma_f64 v[126:127], v[126:127], v[110:111], -v[112:113]
	scratch_load_b128 v[110:113], off, off offset:416
	v_add_f64_e32 v[4:5], v[4:5], v[144:145]
	v_add_f64_e32 v[8:9], v[8:9], v[140:141]
	v_fmac_f64_e32 v[142:143], v[84:85], v[118:119]
	v_fma_f64 v[144:145], v[82:83], v[118:119], -v[120:121]
	ds_load_b128 v[82:85], v2 offset:784
	s_wait_loadcnt_dscnt 0x901
	v_mul_f64_e32 v[140:141], v[134:135], v[12:13]
	v_mul_f64_e32 v[12:13], v[136:137], v[12:13]
	scratch_load_b128 v[118:121], off, off offset:432
	v_add_f64_e32 v[4:5], v[4:5], v[126:127]
	v_add_f64_e32 v[8:9], v[8:9], v[138:139]
	s_wait_dscnt 0x0
	v_mul_f64_e32 v[138:139], v[82:83], v[132:133]
	v_mul_f64_e32 v[132:133], v[84:85], v[132:133]
	ds_load_b128 v[126:129], v2 offset:800
	v_fmac_f64_e32 v[140:141], v[136:137], v[10:11]
	v_fma_f64 v[12:13], v[134:135], v[10:11], -v[12:13]
	v_add_f64_e32 v[4:5], v[4:5], v[144:145]
	v_add_f64_e32 v[134:135], v[8:9], v[142:143]
	scratch_load_b128 v[8:11], off, off offset:448
	v_fmac_f64_e32 v[138:139], v[84:85], v[130:131]
	v_fma_f64 v[84:85], v[82:83], v[130:131], -v[132:133]
	scratch_load_b128 v[130:133], off, off offset:464
	v_add_f64_e32 v[4:5], v[4:5], v[12:13]
	v_add_f64_e32 v[12:13], v[134:135], v[140:141]
	ds_load_b128 v[134:137], v2 offset:832
	s_wait_loadcnt_dscnt 0xb01
	v_mul_f64_e32 v[142:143], v[126:127], v[80:81]
	v_mul_f64_e32 v[144:145], v[128:129], v[80:81]
	ds_load_b128 v[80:83], v2 offset:816
	s_wait_loadcnt_dscnt 0xa00
	v_mul_f64_e32 v[140:141], v[80:81], v[116:117]
	v_mul_f64_e32 v[116:117], v[82:83], v[116:117]
	v_add_f64_e32 v[4:5], v[4:5], v[84:85]
	v_add_f64_e32 v[12:13], v[12:13], v[138:139]
	s_wait_loadcnt 0x9
	v_mul_f64_e32 v[138:139], v[134:135], v[88:89]
	v_fmac_f64_e32 v[142:143], v[128:129], v[78:79]
	v_fma_f64 v[78:79], v[126:127], v[78:79], -v[144:145]
	scratch_load_b128 v[126:129], off, off offset:480
	v_mul_f64_e32 v[88:89], v[136:137], v[88:89]
	v_fmac_f64_e32 v[140:141], v[82:83], v[114:115]
	v_fma_f64 v[144:145], v[80:81], v[114:115], -v[116:117]
	scratch_load_b128 v[82:85], off, off offset:496
	ds_load_b128 v[114:117], v2 offset:864
	v_fmac_f64_e32 v[138:139], v[136:137], v[86:87]
	v_add_f64_e32 v[12:13], v[12:13], v[142:143]
	v_add_f64_e32 v[4:5], v[4:5], v[78:79]
	ds_load_b128 v[78:81], v2 offset:848
	v_fma_f64 v[86:87], v[134:135], v[86:87], -v[88:89]
	s_wait_loadcnt_dscnt 0x901
	v_mul_f64_e32 v[134:135], v[114:115], v[96:97]
	v_mul_f64_e32 v[96:97], v[116:117], v[96:97]
	s_wait_dscnt 0x0
	v_mul_f64_e32 v[142:143], v[78:79], v[92:93]
	v_mul_f64_e32 v[92:93], v[80:81], v[92:93]
	v_add_f64_e32 v[12:13], v[12:13], v[140:141]
	v_add_f64_e32 v[4:5], v[4:5], v[144:145]
	v_fmac_f64_e32 v[134:135], v[116:117], v[94:95]
	v_fma_f64 v[94:95], v[114:115], v[94:95], -v[96:97]
	v_fmac_f64_e32 v[142:143], v[80:81], v[90:91]
	v_fma_f64 v[90:91], v[78:79], v[90:91], -v[92:93]
	v_add_f64_e32 v[12:13], v[12:13], v[138:139]
	v_add_f64_e32 v[4:5], v[4:5], v[86:87]
	ds_load_b128 v[78:81], v2 offset:880
	ds_load_b128 v[86:89], v2 offset:896
	s_wait_loadcnt_dscnt 0x801
	v_mul_f64_e32 v[136:137], v[78:79], v[100:101]
	v_mul_f64_e32 v[92:93], v[80:81], v[100:101]
	s_wait_loadcnt_dscnt 0x700
	v_mul_f64_e32 v[96:97], v[86:87], v[104:105]
	v_mul_f64_e32 v[100:101], v[88:89], v[104:105]
	v_add_f64_e32 v[12:13], v[12:13], v[142:143]
	v_add_f64_e32 v[4:5], v[4:5], v[90:91]
	v_fmac_f64_e32 v[136:137], v[80:81], v[98:99]
	v_fma_f64 v[98:99], v[78:79], v[98:99], -v[92:93]
	ds_load_b128 v[78:81], v2 offset:912
	ds_load_b128 v[90:93], v2 offset:928
	v_fmac_f64_e32 v[96:97], v[88:89], v[102:103]
	v_fma_f64 v[86:87], v[86:87], v[102:103], -v[100:101]
	v_add_f64_e32 v[12:13], v[12:13], v[134:135]
	v_add_f64_e32 v[4:5], v[4:5], v[94:95]
	s_wait_loadcnt_dscnt 0x601
	v_mul_f64_e32 v[94:95], v[78:79], v[108:109]
	v_mul_f64_e32 v[104:105], v[80:81], v[108:109]
	s_wait_loadcnt_dscnt 0x500
	v_mul_f64_e32 v[100:101], v[92:93], v[112:113]
	v_add_f64_e32 v[12:13], v[12:13], v[136:137]
	v_add_f64_e32 v[4:5], v[4:5], v[98:99]
	v_mul_f64_e32 v[98:99], v[90:91], v[112:113]
	v_fmac_f64_e32 v[94:95], v[80:81], v[106:107]
	v_fma_f64 v[102:103], v[78:79], v[106:107], -v[104:105]
	v_fma_f64 v[90:91], v[90:91], v[110:111], -v[100:101]
	v_add_f64_e32 v[12:13], v[12:13], v[96:97]
	v_add_f64_e32 v[4:5], v[4:5], v[86:87]
	ds_load_b128 v[78:81], v2 offset:944
	ds_load_b128 v[86:89], v2 offset:960
	v_fmac_f64_e32 v[98:99], v[92:93], v[110:111]
	s_wait_loadcnt_dscnt 0x401
	v_mul_f64_e32 v[96:97], v[78:79], v[120:121]
	v_mul_f64_e32 v[104:105], v[80:81], v[120:121]
	s_wait_loadcnt_dscnt 0x300
	v_mul_f64_e32 v[92:93], v[86:87], v[10:11]
	v_add_f64_e32 v[12:13], v[12:13], v[94:95]
	v_add_f64_e32 v[4:5], v[4:5], v[102:103]
	v_mul_f64_e32 v[94:95], v[88:89], v[10:11]
	v_fmac_f64_e32 v[96:97], v[80:81], v[118:119]
	v_fma_f64 v[100:101], v[78:79], v[118:119], -v[104:105]
	v_fmac_f64_e32 v[92:93], v[88:89], v[8:9]
	v_add_f64_e32 v[4:5], v[4:5], v[90:91]
	v_add_f64_e32 v[90:91], v[12:13], v[98:99]
	ds_load_b128 v[10:13], v2 offset:976
	ds_load_b128 v[78:81], v2 offset:992
	v_fma_f64 v[8:9], v[86:87], v[8:9], -v[94:95]
	s_wait_loadcnt_dscnt 0x201
	v_mul_f64_e32 v[98:99], v[10:11], v[132:133]
	v_mul_f64_e32 v[102:103], v[12:13], v[132:133]
	v_add_f64_e32 v[4:5], v[4:5], v[100:101]
	v_add_f64_e32 v[86:87], v[90:91], v[96:97]
	s_wait_loadcnt_dscnt 0x100
	v_mul_f64_e32 v[88:89], v[78:79], v[128:129]
	v_mul_f64_e32 v[90:91], v[80:81], v[128:129]
	v_fmac_f64_e32 v[98:99], v[12:13], v[130:131]
	v_fma_f64 v[12:13], v[10:11], v[130:131], -v[102:103]
	v_add_f64_e32 v[4:5], v[4:5], v[8:9]
	v_add_f64_e32 v[86:87], v[86:87], v[92:93]
	ds_load_b128 v[8:11], v2 offset:1008
	v_fmac_f64_e32 v[88:89], v[80:81], v[126:127]
	v_fma_f64 v[78:79], v[78:79], v[126:127], -v[90:91]
	s_wait_loadcnt_dscnt 0x0
	v_mul_f64_e32 v[92:93], v[8:9], v[84:85]
	v_mul_f64_e32 v[84:85], v[10:11], v[84:85]
	v_add_f64_e32 v[4:5], v[4:5], v[12:13]
	v_add_f64_e32 v[12:13], v[86:87], v[98:99]
	s_delay_alu instid0(VALU_DEP_4) | instskip(NEXT) | instid1(VALU_DEP_4)
	v_fmac_f64_e32 v[92:93], v[10:11], v[82:83]
	v_fma_f64 v[8:9], v[8:9], v[82:83], -v[84:85]
	s_delay_alu instid0(VALU_DEP_4) | instskip(NEXT) | instid1(VALU_DEP_4)
	v_add_f64_e32 v[4:5], v[4:5], v[78:79]
	v_add_f64_e32 v[10:11], v[12:13], v[88:89]
	s_delay_alu instid0(VALU_DEP_2) | instskip(NEXT) | instid1(VALU_DEP_2)
	v_add_f64_e32 v[4:5], v[4:5], v[8:9]
	v_add_f64_e32 v[10:11], v[10:11], v[92:93]
	s_delay_alu instid0(VALU_DEP_2) | instskip(NEXT) | instid1(VALU_DEP_2)
	v_add_f64_e64 v[8:9], v[122:123], -v[4:5]
	v_add_f64_e64 v[10:11], v[124:125], -v[10:11]
	scratch_store_b128 off, v[8:11], off offset:64
	s_wait_xcnt 0x0
	v_cmpx_lt_u32_e32 3, v1
	s_cbranch_execz .LBB95_199
; %bb.198:
	scratch_load_b128 v[8:11], off, s14
	v_dual_mov_b32 v3, v2 :: v_dual_mov_b32 v4, v2
	v_mov_b32_e32 v5, v2
	scratch_store_b128 off, v[2:5], off offset:48
	s_wait_loadcnt 0x0
	ds_store_b128 v6, v[8:11]
.LBB95_199:
	s_wait_xcnt 0x0
	s_or_b32 exec_lo, exec_lo, s2
	s_wait_storecnt_dscnt 0x0
	s_barrier_signal -1
	s_barrier_wait -1
	s_clause 0x9
	scratch_load_b128 v[8:11], off, off offset:64
	scratch_load_b128 v[78:81], off, off offset:80
	;; [unrolled: 1-line block ×10, first 2 shown]
	ds_load_b128 v[114:117], v2 offset:576
	ds_load_b128 v[122:125], v2 offset:592
	s_clause 0x1
	scratch_load_b128 v[118:121], off, off offset:224
	scratch_load_b128 v[126:129], off, off offset:48
	s_mov_b32 s2, exec_lo
	s_wait_loadcnt_dscnt 0xb01
	v_mul_f64_e32 v[4:5], v[116:117], v[10:11]
	v_mul_f64_e32 v[138:139], v[114:115], v[10:11]
	scratch_load_b128 v[10:13], off, off offset:240
	s_wait_loadcnt_dscnt 0xb00
	v_mul_f64_e32 v[140:141], v[122:123], v[80:81]
	v_mul_f64_e32 v[80:81], v[124:125], v[80:81]
	v_fma_f64 v[4:5], v[114:115], v[8:9], -v[4:5]
	v_fmac_f64_e32 v[138:139], v[116:117], v[8:9]
	ds_load_b128 v[114:117], v2 offset:608
	ds_load_b128 v[130:133], v2 offset:624
	scratch_load_b128 v[134:137], off, off offset:256
	v_fmac_f64_e32 v[140:141], v[124:125], v[78:79]
	v_fma_f64 v[122:123], v[122:123], v[78:79], -v[80:81]
	scratch_load_b128 v[78:81], off, off offset:272
	s_wait_loadcnt_dscnt 0xc01
	v_mul_f64_e32 v[8:9], v[114:115], v[84:85]
	v_mul_f64_e32 v[84:85], v[116:117], v[84:85]
	v_add_f64_e32 v[4:5], 0, v[4:5]
	v_add_f64_e32 v[124:125], 0, v[138:139]
	s_wait_loadcnt_dscnt 0xb00
	v_mul_f64_e32 v[138:139], v[130:131], v[88:89]
	v_mul_f64_e32 v[88:89], v[132:133], v[88:89]
	v_fmac_f64_e32 v[8:9], v[116:117], v[82:83]
	v_fma_f64 v[142:143], v[114:115], v[82:83], -v[84:85]
	ds_load_b128 v[82:85], v2 offset:640
	ds_load_b128 v[114:117], v2 offset:656
	v_add_f64_e32 v[4:5], v[4:5], v[122:123]
	v_add_f64_e32 v[140:141], v[124:125], v[140:141]
	scratch_load_b128 v[122:125], off, off offset:288
	v_fmac_f64_e32 v[138:139], v[132:133], v[86:87]
	v_fma_f64 v[130:131], v[130:131], v[86:87], -v[88:89]
	scratch_load_b128 v[86:89], off, off offset:304
	s_wait_loadcnt_dscnt 0xc01
	v_mul_f64_e32 v[144:145], v[82:83], v[92:93]
	v_mul_f64_e32 v[92:93], v[84:85], v[92:93]
	v_add_f64_e32 v[4:5], v[4:5], v[142:143]
	v_add_f64_e32 v[8:9], v[140:141], v[8:9]
	s_wait_loadcnt_dscnt 0xb00
	v_mul_f64_e32 v[140:141], v[114:115], v[96:97]
	v_mul_f64_e32 v[96:97], v[116:117], v[96:97]
	v_fmac_f64_e32 v[144:145], v[84:85], v[90:91]
	v_fma_f64 v[142:143], v[82:83], v[90:91], -v[92:93]
	ds_load_b128 v[82:85], v2 offset:672
	ds_load_b128 v[90:93], v2 offset:688
	v_add_f64_e32 v[4:5], v[4:5], v[130:131]
	v_add_f64_e32 v[8:9], v[8:9], v[138:139]
	scratch_load_b128 v[130:133], off, off offset:320
	s_wait_loadcnt_dscnt 0xb01
	v_mul_f64_e32 v[138:139], v[82:83], v[100:101]
	v_mul_f64_e32 v[100:101], v[84:85], v[100:101]
	v_fmac_f64_e32 v[140:141], v[116:117], v[94:95]
	v_fma_f64 v[114:115], v[114:115], v[94:95], -v[96:97]
	scratch_load_b128 v[94:97], off, off offset:336
	v_add_f64_e32 v[4:5], v[4:5], v[142:143]
	v_add_f64_e32 v[8:9], v[8:9], v[144:145]
	s_wait_loadcnt_dscnt 0xb00
	v_mul_f64_e32 v[142:143], v[90:91], v[104:105]
	v_mul_f64_e32 v[104:105], v[92:93], v[104:105]
	v_fmac_f64_e32 v[138:139], v[84:85], v[98:99]
	v_fma_f64 v[144:145], v[82:83], v[98:99], -v[100:101]
	ds_load_b128 v[82:85], v2 offset:704
	ds_load_b128 v[98:101], v2 offset:720
	v_add_f64_e32 v[4:5], v[4:5], v[114:115]
	v_add_f64_e32 v[8:9], v[8:9], v[140:141]
	scratch_load_b128 v[114:117], off, off offset:352
	s_wait_loadcnt_dscnt 0xb01
	v_mul_f64_e32 v[140:141], v[82:83], v[108:109]
	v_mul_f64_e32 v[108:109], v[84:85], v[108:109]
	v_fmac_f64_e32 v[142:143], v[92:93], v[102:103]
	v_fma_f64 v[102:103], v[90:91], v[102:103], -v[104:105]
	scratch_load_b128 v[90:93], off, off offset:368
	v_add_f64_e32 v[4:5], v[4:5], v[144:145]
	v_add_f64_e32 v[8:9], v[8:9], v[138:139]
	s_wait_loadcnt_dscnt 0xb00
	v_mul_f64_e32 v[138:139], v[98:99], v[112:113]
	v_mul_f64_e32 v[112:113], v[100:101], v[112:113]
	v_fmac_f64_e32 v[140:141], v[84:85], v[106:107]
	v_fma_f64 v[144:145], v[82:83], v[106:107], -v[108:109]
	v_add_f64_e32 v[4:5], v[4:5], v[102:103]
	v_add_f64_e32 v[8:9], v[8:9], v[142:143]
	ds_load_b128 v[82:85], v2 offset:736
	ds_load_b128 v[102:105], v2 offset:752
	scratch_load_b128 v[106:109], off, off offset:384
	v_fmac_f64_e32 v[138:139], v[100:101], v[110:111]
	v_fma_f64 v[110:111], v[98:99], v[110:111], -v[112:113]
	scratch_load_b128 v[98:101], off, off offset:400
	s_wait_loadcnt_dscnt 0xc01
	v_mul_f64_e32 v[142:143], v[82:83], v[120:121]
	v_mul_f64_e32 v[120:121], v[84:85], v[120:121]
	v_add_f64_e32 v[4:5], v[4:5], v[144:145]
	v_add_f64_e32 v[8:9], v[8:9], v[140:141]
	s_wait_loadcnt_dscnt 0xa00
	v_mul_f64_e32 v[140:141], v[102:103], v[12:13]
	v_mul_f64_e32 v[12:13], v[104:105], v[12:13]
	v_fmac_f64_e32 v[142:143], v[84:85], v[118:119]
	v_fma_f64 v[144:145], v[82:83], v[118:119], -v[120:121]
	v_add_f64_e32 v[4:5], v[4:5], v[110:111]
	v_add_f64_e32 v[8:9], v[8:9], v[138:139]
	ds_load_b128 v[82:85], v2 offset:768
	ds_load_b128 v[110:113], v2 offset:784
	scratch_load_b128 v[118:121], off, off offset:416
	v_fmac_f64_e32 v[140:141], v[104:105], v[10:11]
	v_fma_f64 v[12:13], v[102:103], v[10:11], -v[12:13]
	s_wait_loadcnt_dscnt 0xa01
	v_mul_f64_e32 v[138:139], v[82:83], v[136:137]
	v_mul_f64_e32 v[136:137], v[84:85], v[136:137]
	v_add_f64_e32 v[4:5], v[4:5], v[144:145]
	v_add_f64_e32 v[102:103], v[8:9], v[142:143]
	scratch_load_b128 v[8:11], off, off offset:432
	s_wait_loadcnt_dscnt 0xa00
	v_mul_f64_e32 v[142:143], v[110:111], v[80:81]
	v_mul_f64_e32 v[144:145], v[112:113], v[80:81]
	v_fmac_f64_e32 v[138:139], v[84:85], v[134:135]
	v_fma_f64 v[84:85], v[82:83], v[134:135], -v[136:137]
	v_add_f64_e32 v[4:5], v[4:5], v[12:13]
	v_add_f64_e32 v[12:13], v[102:103], v[140:141]
	ds_load_b128 v[80:83], v2 offset:800
	ds_load_b128 v[102:105], v2 offset:816
	scratch_load_b128 v[134:137], off, off offset:448
	v_fmac_f64_e32 v[142:143], v[112:113], v[78:79]
	v_fma_f64 v[78:79], v[110:111], v[78:79], -v[144:145]
	scratch_load_b128 v[110:113], off, off offset:464
	s_wait_loadcnt_dscnt 0xb01
	v_mul_f64_e32 v[140:141], v[80:81], v[124:125]
	v_mul_f64_e32 v[124:125], v[82:83], v[124:125]
	v_add_f64_e32 v[4:5], v[4:5], v[84:85]
	v_add_f64_e32 v[12:13], v[12:13], v[138:139]
	s_wait_loadcnt_dscnt 0xa00
	v_mul_f64_e32 v[138:139], v[102:103], v[88:89]
	v_mul_f64_e32 v[88:89], v[104:105], v[88:89]
	v_fmac_f64_e32 v[140:141], v[82:83], v[122:123]
	v_fma_f64 v[144:145], v[80:81], v[122:123], -v[124:125]
	v_add_f64_e32 v[4:5], v[4:5], v[78:79]
	v_add_f64_e32 v[12:13], v[12:13], v[142:143]
	ds_load_b128 v[78:81], v2 offset:832
	ds_load_b128 v[82:85], v2 offset:848
	scratch_load_b128 v[122:125], off, off offset:480
	v_fmac_f64_e32 v[138:139], v[104:105], v[86:87]
	v_fma_f64 v[102:103], v[102:103], v[86:87], -v[88:89]
	scratch_load_b128 v[86:89], off, off offset:496
	s_wait_loadcnt_dscnt 0xb01
	v_mul_f64_e32 v[142:143], v[78:79], v[132:133]
	v_mul_f64_e32 v[132:133], v[80:81], v[132:133]
	v_add_f64_e32 v[4:5], v[4:5], v[144:145]
	v_add_f64_e32 v[12:13], v[12:13], v[140:141]
	s_wait_loadcnt_dscnt 0xa00
	v_mul_f64_e32 v[140:141], v[82:83], v[96:97]
	v_mul_f64_e32 v[96:97], v[84:85], v[96:97]
	v_fmac_f64_e32 v[142:143], v[80:81], v[130:131]
	v_fma_f64 v[130:131], v[78:79], v[130:131], -v[132:133]
	v_add_f64_e32 v[4:5], v[4:5], v[102:103]
	v_add_f64_e32 v[12:13], v[12:13], v[138:139]
	ds_load_b128 v[78:81], v2 offset:864
	ds_load_b128 v[102:105], v2 offset:880
	v_fmac_f64_e32 v[140:141], v[84:85], v[94:95]
	v_fma_f64 v[82:83], v[82:83], v[94:95], -v[96:97]
	s_wait_loadcnt_dscnt 0x901
	v_mul_f64_e32 v[132:133], v[78:79], v[116:117]
	v_mul_f64_e32 v[116:117], v[80:81], v[116:117]
	s_wait_loadcnt_dscnt 0x800
	v_mul_f64_e32 v[94:95], v[102:103], v[92:93]
	v_mul_f64_e32 v[92:93], v[104:105], v[92:93]
	v_add_f64_e32 v[4:5], v[4:5], v[130:131]
	v_add_f64_e32 v[12:13], v[12:13], v[142:143]
	v_fmac_f64_e32 v[132:133], v[80:81], v[114:115]
	v_fma_f64 v[96:97], v[78:79], v[114:115], -v[116:117]
	v_fmac_f64_e32 v[94:95], v[104:105], v[90:91]
	v_fma_f64 v[90:91], v[102:103], v[90:91], -v[92:93]
	v_add_f64_e32 v[4:5], v[4:5], v[82:83]
	v_add_f64_e32 v[12:13], v[12:13], v[140:141]
	ds_load_b128 v[78:81], v2 offset:896
	ds_load_b128 v[82:85], v2 offset:912
	s_wait_loadcnt_dscnt 0x701
	v_mul_f64_e32 v[114:115], v[78:79], v[108:109]
	v_mul_f64_e32 v[108:109], v[80:81], v[108:109]
	v_add_f64_e32 v[4:5], v[4:5], v[96:97]
	v_add_f64_e32 v[12:13], v[12:13], v[132:133]
	s_wait_loadcnt_dscnt 0x600
	v_mul_f64_e32 v[96:97], v[82:83], v[100:101]
	v_mul_f64_e32 v[100:101], v[84:85], v[100:101]
	v_fmac_f64_e32 v[114:115], v[80:81], v[106:107]
	v_fma_f64 v[102:103], v[78:79], v[106:107], -v[108:109]
	v_add_f64_e32 v[4:5], v[4:5], v[90:91]
	v_add_f64_e32 v[12:13], v[12:13], v[94:95]
	ds_load_b128 v[78:81], v2 offset:928
	ds_load_b128 v[90:93], v2 offset:944
	v_fmac_f64_e32 v[96:97], v[84:85], v[98:99]
	v_fma_f64 v[82:83], v[82:83], v[98:99], -v[100:101]
	s_wait_loadcnt_dscnt 0x501
	v_mul_f64_e32 v[94:95], v[78:79], v[120:121]
	v_mul_f64_e32 v[104:105], v[80:81], v[120:121]
	v_add_f64_e32 v[4:5], v[4:5], v[102:103]
	v_add_f64_e32 v[12:13], v[12:13], v[114:115]
	s_wait_loadcnt_dscnt 0x400
	v_mul_f64_e32 v[84:85], v[90:91], v[10:11]
	v_mul_f64_e32 v[98:99], v[92:93], v[10:11]
	v_fmac_f64_e32 v[94:95], v[80:81], v[118:119]
	v_fma_f64 v[100:101], v[78:79], v[118:119], -v[104:105]
	v_add_f64_e32 v[4:5], v[4:5], v[82:83]
	v_add_f64_e32 v[82:83], v[12:13], v[96:97]
	ds_load_b128 v[10:13], v2 offset:960
	ds_load_b128 v[78:81], v2 offset:976
	v_fmac_f64_e32 v[84:85], v[92:93], v[8:9]
	v_fma_f64 v[8:9], v[90:91], v[8:9], -v[98:99]
	s_wait_loadcnt_dscnt 0x301
	v_mul_f64_e32 v[96:97], v[10:11], v[136:137]
	v_mul_f64_e32 v[102:103], v[12:13], v[136:137]
	s_wait_loadcnt_dscnt 0x200
	v_mul_f64_e32 v[90:91], v[78:79], v[112:113]
	v_mul_f64_e32 v[92:93], v[80:81], v[112:113]
	v_add_f64_e32 v[4:5], v[4:5], v[100:101]
	v_add_f64_e32 v[82:83], v[82:83], v[94:95]
	v_fmac_f64_e32 v[96:97], v[12:13], v[134:135]
	v_fma_f64 v[12:13], v[10:11], v[134:135], -v[102:103]
	v_fmac_f64_e32 v[90:91], v[80:81], v[110:111]
	v_fma_f64 v[78:79], v[78:79], v[110:111], -v[92:93]
	v_add_f64_e32 v[94:95], v[4:5], v[8:9]
	v_add_f64_e32 v[82:83], v[82:83], v[84:85]
	ds_load_b128 v[8:11], v2 offset:992
	ds_load_b128 v[2:5], v2 offset:1008
	s_wait_loadcnt_dscnt 0x101
	v_mul_f64_e32 v[84:85], v[8:9], v[124:125]
	v_mul_f64_e32 v[98:99], v[10:11], v[124:125]
	v_add_f64_e32 v[12:13], v[94:95], v[12:13]
	v_add_f64_e32 v[80:81], v[82:83], v[96:97]
	s_wait_loadcnt_dscnt 0x0
	v_mul_f64_e32 v[82:83], v[2:3], v[88:89]
	v_mul_f64_e32 v[88:89], v[4:5], v[88:89]
	v_fmac_f64_e32 v[84:85], v[10:11], v[122:123]
	v_fma_f64 v[8:9], v[8:9], v[122:123], -v[98:99]
	v_add_f64_e32 v[10:11], v[12:13], v[78:79]
	v_add_f64_e32 v[12:13], v[80:81], v[90:91]
	v_fmac_f64_e32 v[82:83], v[4:5], v[86:87]
	v_fma_f64 v[2:3], v[2:3], v[86:87], -v[88:89]
	s_delay_alu instid0(VALU_DEP_4) | instskip(NEXT) | instid1(VALU_DEP_4)
	v_add_f64_e32 v[4:5], v[10:11], v[8:9]
	v_add_f64_e32 v[8:9], v[12:13], v[84:85]
	s_delay_alu instid0(VALU_DEP_2) | instskip(NEXT) | instid1(VALU_DEP_2)
	v_add_f64_e32 v[2:3], v[4:5], v[2:3]
	v_add_f64_e32 v[4:5], v[8:9], v[82:83]
	s_delay_alu instid0(VALU_DEP_2) | instskip(NEXT) | instid1(VALU_DEP_2)
	v_add_f64_e64 v[2:3], v[126:127], -v[2:3]
	v_add_f64_e64 v[4:5], v[128:129], -v[4:5]
	scratch_store_b128 off, v[2:5], off offset:48
	s_wait_xcnt 0x0
	v_cmpx_lt_u32_e32 2, v1
	s_cbranch_execz .LBB95_201
; %bb.200:
	scratch_load_b128 v[2:5], off, s16
	v_mov_b32_e32 v8, 0
	s_delay_alu instid0(VALU_DEP_1)
	v_dual_mov_b32 v9, v8 :: v_dual_mov_b32 v10, v8
	v_mov_b32_e32 v11, v8
	scratch_store_b128 off, v[8:11], off offset:32
	s_wait_loadcnt 0x0
	ds_store_b128 v6, v[2:5]
.LBB95_201:
	s_wait_xcnt 0x0
	s_or_b32 exec_lo, exec_lo, s2
	s_wait_storecnt_dscnt 0x0
	s_barrier_signal -1
	s_barrier_wait -1
	s_clause 0x9
	scratch_load_b128 v[8:11], off, off offset:48
	scratch_load_b128 v[78:81], off, off offset:64
	;; [unrolled: 1-line block ×10, first 2 shown]
	v_mov_b32_e32 v2, 0
	s_mov_b32 s2, exec_lo
	v_dual_ashrrev_i32 v21, 31, v20 :: v_dual_ashrrev_i32 v19, 31, v18
	v_ashrrev_i32_e32 v23, 31, v22
	ds_load_b128 v[114:117], v2 offset:560
	s_clause 0x1
	scratch_load_b128 v[118:121], off, off offset:208
	scratch_load_b128 v[122:125], off, off offset:32
	v_ashrrev_i32_e32 v27, 31, v26
	v_ashrrev_i32_e32 v31, 31, v30
	v_dual_ashrrev_i32 v35, 31, v34 :: v_dual_ashrrev_i32 v25, 31, v24
	v_ashrrev_i32_e32 v43, 31, v42
	v_dual_ashrrev_i32 v47, 31, v46 :: v_dual_ashrrev_i32 v29, 31, v28
	v_dual_ashrrev_i32 v39, 31, v38 :: v_dual_ashrrev_i32 v33, 31, v32
	v_ashrrev_i32_e32 v41, 31, v40
	v_dual_ashrrev_i32 v37, 31, v36 :: v_dual_ashrrev_i32 v51, 31, v50
	v_ashrrev_i32_e32 v55, 31, v54
	v_dual_ashrrev_i32 v59, 31, v58 :: v_dual_ashrrev_i32 v45, 31, v44
	v_dual_ashrrev_i32 v63, 31, v62 :: v_dual_ashrrev_i32 v49, 31, v48
	;; [unrolled: 1-line block ×3, first 2 shown]
	v_ashrrev_i32_e32 v71, 31, v70
	v_dual_ashrrev_i32 v75, 31, v74 :: v_dual_ashrrev_i32 v57, 31, v56
	v_ashrrev_i32_e32 v61, 31, v60
	v_ashrrev_i32_e32 v65, 31, v64
	;; [unrolled: 1-line block ×4, first 2 shown]
	s_wait_loadcnt_dscnt 0xb00
	v_dual_mul_f64 v[4:5], v[116:117], v[10:11] :: v_dual_ashrrev_i32 v77, 31, v76
	v_mul_f64_e32 v[134:135], v[114:115], v[10:11]
	ds_load_b128 v[126:129], v2 offset:576
	ds_load_b128 v[130:133], v2 offset:592
	scratch_load_b128 v[10:13], off, off offset:224
	s_wait_loadcnt_dscnt 0xb01
	v_mul_f64_e32 v[136:137], v[126:127], v[80:81]
	v_mul_f64_e32 v[80:81], v[128:129], v[80:81]
	v_fma_f64 v[4:5], v[114:115], v[8:9], -v[4:5]
	v_fmac_f64_e32 v[134:135], v[116:117], v[8:9]
	s_wait_loadcnt_dscnt 0xa00
	v_mul_f64_e32 v[8:9], v[130:131], v[84:85]
	v_mul_f64_e32 v[84:85], v[132:133], v[84:85]
	ds_load_b128 v[114:117], v2 offset:608
	v_fmac_f64_e32 v[136:137], v[128:129], v[78:79]
	v_fma_f64 v[138:139], v[126:127], v[78:79], -v[80:81]
	scratch_load_b128 v[78:81], off, off offset:240
	ds_load_b128 v[126:129], v2 offset:624
	s_wait_loadcnt_dscnt 0xa01
	v_mul_f64_e32 v[140:141], v[114:115], v[88:89]
	v_mul_f64_e32 v[88:89], v[116:117], v[88:89]
	v_add_f64_e32 v[4:5], 0, v[4:5]
	v_add_f64_e32 v[134:135], 0, v[134:135]
	v_fmac_f64_e32 v[8:9], v[132:133], v[82:83]
	v_fma_f64 v[142:143], v[130:131], v[82:83], -v[84:85]
	scratch_load_b128 v[82:85], off, off offset:256
	ds_load_b128 v[130:133], v2 offset:640
	v_fmac_f64_e32 v[140:141], v[116:117], v[86:87]
	v_fma_f64 v[114:115], v[114:115], v[86:87], -v[88:89]
	scratch_load_b128 v[86:89], off, off offset:272
	v_add_f64_e32 v[4:5], v[4:5], v[138:139]
	v_add_f64_e32 v[134:135], v[134:135], v[136:137]
	s_wait_loadcnt_dscnt 0xb01
	v_mul_f64_e32 v[136:137], v[126:127], v[92:93]
	v_mul_f64_e32 v[92:93], v[128:129], v[92:93]
	s_delay_alu instid0(VALU_DEP_4) | instskip(NEXT) | instid1(VALU_DEP_4)
	v_add_f64_e32 v[4:5], v[4:5], v[142:143]
	v_add_f64_e32 v[8:9], v[134:135], v[8:9]
	s_delay_alu instid0(VALU_DEP_4) | instskip(NEXT) | instid1(VALU_DEP_4)
	v_fmac_f64_e32 v[136:137], v[128:129], v[90:91]
	v_fma_f64 v[138:139], v[126:127], v[90:91], -v[92:93]
	s_clause 0x1
	scratch_load_b128 v[90:93], off, off offset:288
	scratch_load_b128 v[126:129], off, off offset:304
	v_add_f64_e32 v[4:5], v[4:5], v[114:115]
	v_add_f64_e32 v[8:9], v[8:9], v[140:141]
	ds_load_b128 v[114:117], v2 offset:656
	s_wait_loadcnt_dscnt 0xc01
	v_mul_f64_e32 v[134:135], v[130:131], v[96:97]
	v_mul_f64_e32 v[96:97], v[132:133], v[96:97]
	s_wait_loadcnt_dscnt 0xb00
	v_mul_f64_e32 v[142:143], v[114:115], v[100:101]
	v_mul_f64_e32 v[100:101], v[116:117], v[100:101]
	v_add_f64_e32 v[4:5], v[4:5], v[138:139]
	v_add_f64_e32 v[8:9], v[8:9], v[136:137]
	v_fmac_f64_e32 v[134:135], v[132:133], v[94:95]
	v_fma_f64 v[140:141], v[130:131], v[94:95], -v[96:97]
	ds_load_b128 v[94:97], v2 offset:672
	scratch_load_b128 v[130:133], off, off offset:320
	v_fmac_f64_e32 v[142:143], v[116:117], v[98:99]
	v_fma_f64 v[138:139], v[114:115], v[98:99], -v[100:101]
	ds_load_b128 v[98:101], v2 offset:688
	ds_load_b128 v[114:117], v2 offset:704
	s_wait_loadcnt_dscnt 0xb02
	v_mul_f64_e32 v[136:137], v[94:95], v[104:105]
	v_mul_f64_e32 v[104:105], v[96:97], v[104:105]
	v_add_f64_e32 v[8:9], v[8:9], v[134:135]
	v_add_f64_e32 v[4:5], v[4:5], v[140:141]
	s_wait_loadcnt_dscnt 0xa01
	v_mul_f64_e32 v[134:135], v[98:99], v[108:109]
	v_fmac_f64_e32 v[136:137], v[96:97], v[102:103]
	v_fma_f64 v[102:103], v[94:95], v[102:103], -v[104:105]
	v_mul_f64_e32 v[104:105], v[100:101], v[108:109]
	scratch_load_b128 v[94:97], off, off offset:336
	v_add_f64_e32 v[8:9], v[8:9], v[142:143]
	v_add_f64_e32 v[4:5], v[4:5], v[138:139]
	s_wait_loadcnt_dscnt 0xa00
	v_mul_f64_e32 v[138:139], v[114:115], v[112:113]
	v_mul_f64_e32 v[112:113], v[116:117], v[112:113]
	v_fmac_f64_e32 v[134:135], v[100:101], v[106:107]
	v_fma_f64 v[140:141], v[98:99], v[106:107], -v[104:105]
	scratch_load_b128 v[98:101], off, off offset:352
	v_add_f64_e32 v[8:9], v[8:9], v[136:137]
	v_add_f64_e32 v[4:5], v[4:5], v[102:103]
	ds_load_b128 v[102:105], v2 offset:720
	ds_load_b128 v[106:109], v2 offset:736
	v_fmac_f64_e32 v[138:139], v[116:117], v[110:111]
	v_fma_f64 v[114:115], v[114:115], v[110:111], -v[112:113]
	scratch_load_b128 v[110:113], off, off offset:368
	s_wait_loadcnt_dscnt 0xb01
	v_mul_f64_e32 v[136:137], v[102:103], v[120:121]
	v_mul_f64_e32 v[116:117], v[104:105], v[120:121]
	v_add_f64_e32 v[8:9], v[8:9], v[134:135]
	v_add_f64_e32 v[4:5], v[4:5], v[140:141]
	s_wait_loadcnt_dscnt 0x900
	v_mul_f64_e32 v[134:135], v[106:107], v[12:13]
	v_mul_f64_e32 v[12:13], v[108:109], v[12:13]
	v_fmac_f64_e32 v[136:137], v[104:105], v[118:119]
	v_fma_f64 v[140:141], v[102:103], v[118:119], -v[116:117]
	scratch_load_b128 v[102:105], off, off offset:384
	v_add_f64_e32 v[138:139], v[8:9], v[138:139]
	v_add_f64_e32 v[4:5], v[4:5], v[114:115]
	ds_load_b128 v[114:117], v2 offset:752
	ds_load_b128 v[118:121], v2 offset:768
	v_fmac_f64_e32 v[134:135], v[108:109], v[10:11]
	v_fma_f64 v[12:13], v[106:107], v[10:11], -v[12:13]
	scratch_load_b128 v[8:11], off, off offset:400
	s_wait_loadcnt_dscnt 0xa01
	v_mul_f64_e32 v[142:143], v[114:115], v[80:81]
	v_mul_f64_e32 v[80:81], v[116:117], v[80:81]
	;; [unrolled: 18-line block ×3, first 2 shown]
	v_add_f64_e32 v[4:5], v[4:5], v[138:139]
	v_add_f64_e32 v[12:13], v[12:13], v[142:143]
	s_wait_loadcnt_dscnt 0x900
	v_mul_f64_e32 v[138:139], v[114:115], v[92:93]
	v_mul_f64_e32 v[92:93], v[116:117], v[92:93]
	v_fmac_f64_e32 v[134:135], v[108:109], v[86:87]
	v_fma_f64 v[140:141], v[106:107], v[86:87], -v[88:89]
	scratch_load_b128 v[86:89], off, off offset:448
	v_add_f64_e32 v[4:5], v[4:5], v[118:119]
	v_add_f64_e32 v[12:13], v[12:13], v[136:137]
	ds_load_b128 v[106:109], v2 offset:816
	ds_load_b128 v[118:121], v2 offset:832
	v_fmac_f64_e32 v[138:139], v[116:117], v[90:91]
	v_fma_f64 v[142:143], v[114:115], v[90:91], -v[92:93]
	s_clause 0x1
	scratch_load_b128 v[90:93], off, off offset:464
	scratch_load_b128 v[114:117], off, off offset:480
	s_wait_loadcnt_dscnt 0xb01
	v_mul_f64_e32 v[136:137], v[106:107], v[128:129]
	v_mul_f64_e32 v[128:129], v[108:109], v[128:129]
	v_add_f64_e32 v[4:5], v[4:5], v[140:141]
	v_add_f64_e32 v[12:13], v[12:13], v[134:135]
	s_wait_loadcnt_dscnt 0xa00
	v_mul_f64_e32 v[134:135], v[118:119], v[132:133]
	v_mul_f64_e32 v[132:133], v[120:121], v[132:133]
	v_fmac_f64_e32 v[136:137], v[108:109], v[126:127]
	v_fma_f64 v[140:141], v[106:107], v[126:127], -v[128:129]
	ds_load_b128 v[106:109], v2 offset:848
	scratch_load_b128 v[126:129], off, off offset:496
	v_add_f64_e32 v[4:5], v[4:5], v[142:143]
	v_add_f64_e32 v[12:13], v[12:13], v[138:139]
	v_fmac_f64_e32 v[134:135], v[120:121], v[130:131]
	v_fma_f64 v[130:131], v[118:119], v[130:131], -v[132:133]
	ds_load_b128 v[118:121], v2 offset:864
	s_wait_loadcnt_dscnt 0xa01
	v_mul_f64_e32 v[132:133], v[106:107], v[96:97]
	v_mul_f64_e32 v[96:97], v[108:109], v[96:97]
	v_add_f64_e32 v[4:5], v[4:5], v[140:141]
	v_add_f64_e32 v[12:13], v[12:13], v[136:137]
	s_wait_loadcnt_dscnt 0x900
	v_mul_f64_e32 v[136:137], v[118:119], v[100:101]
	v_mul_f64_e32 v[100:101], v[120:121], v[100:101]
	v_fmac_f64_e32 v[132:133], v[108:109], v[94:95]
	v_fma_f64 v[138:139], v[106:107], v[94:95], -v[96:97]
	ds_load_b128 v[94:97], v2 offset:880
	ds_load_b128 v[106:109], v2 offset:896
	v_add_f64_e32 v[4:5], v[4:5], v[130:131]
	v_add_f64_e32 v[12:13], v[12:13], v[134:135]
	s_wait_loadcnt_dscnt 0x801
	v_mul_f64_e32 v[130:131], v[94:95], v[112:113]
	v_mul_f64_e32 v[112:113], v[96:97], v[112:113]
	v_fmac_f64_e32 v[136:137], v[120:121], v[98:99]
	v_fma_f64 v[98:99], v[118:119], v[98:99], -v[100:101]
	v_add_f64_e32 v[4:5], v[4:5], v[138:139]
	v_add_f64_e32 v[12:13], v[12:13], v[132:133]
	v_fmac_f64_e32 v[130:131], v[96:97], v[110:111]
	v_fma_f64 v[110:111], v[94:95], v[110:111], -v[112:113]
	s_wait_loadcnt_dscnt 0x700
	v_mul_f64_e32 v[118:119], v[106:107], v[104:105]
	v_mul_f64_e32 v[104:105], v[108:109], v[104:105]
	v_add_f64_e32 v[4:5], v[4:5], v[98:99]
	v_add_f64_e32 v[12:13], v[12:13], v[136:137]
	ds_load_b128 v[94:97], v2 offset:912
	ds_load_b128 v[98:101], v2 offset:928
	s_wait_loadcnt_dscnt 0x601
	v_mul_f64_e32 v[112:113], v[94:95], v[10:11]
	v_mul_f64_e32 v[10:11], v[96:97], v[10:11]
	v_fmac_f64_e32 v[118:119], v[108:109], v[102:103]
	v_fma_f64 v[102:103], v[106:107], v[102:103], -v[104:105]
	v_add_f64_e32 v[4:5], v[4:5], v[110:111]
	v_add_f64_e32 v[12:13], v[12:13], v[130:131]
	v_fmac_f64_e32 v[112:113], v[96:97], v[8:9]
	s_wait_loadcnt_dscnt 0x500
	v_mul_f64_e32 v[104:105], v[98:99], v[80:81]
	v_mul_f64_e32 v[80:81], v[100:101], v[80:81]
	v_fma_f64 v[106:107], v[94:95], v[8:9], -v[10:11]
	ds_load_b128 v[8:11], v2 offset:944
	ds_load_b128 v[94:97], v2 offset:960
	v_add_f64_e32 v[4:5], v[4:5], v[102:103]
	v_add_f64_e32 v[12:13], v[12:13], v[118:119]
	s_wait_loadcnt_dscnt 0x401
	v_mul_f64_e32 v[102:103], v[8:9], v[84:85]
	v_mul_f64_e32 v[84:85], v[10:11], v[84:85]
	v_fmac_f64_e32 v[104:105], v[100:101], v[78:79]
	v_fma_f64 v[78:79], v[98:99], v[78:79], -v[80:81]
	v_add_f64_e32 v[4:5], v[4:5], v[106:107]
	v_add_f64_e32 v[12:13], v[12:13], v[112:113]
	v_fmac_f64_e32 v[102:103], v[10:11], v[82:83]
	v_fma_f64 v[82:83], v[8:9], v[82:83], -v[84:85]
	s_wait_loadcnt_dscnt 0x300
	v_mul_f64_e32 v[98:99], v[94:95], v[88:89]
	v_mul_f64_e32 v[88:89], v[96:97], v[88:89]
	v_add_f64_e32 v[4:5], v[4:5], v[78:79]
	v_add_f64_e32 v[12:13], v[12:13], v[104:105]
	ds_load_b128 v[8:11], v2 offset:976
	ds_load_b128 v[78:81], v2 offset:992
	s_wait_loadcnt_dscnt 0x201
	v_mul_f64_e32 v[84:85], v[8:9], v[92:93]
	v_mul_f64_e32 v[92:93], v[10:11], v[92:93]
	v_fmac_f64_e32 v[98:99], v[96:97], v[86:87]
	v_fma_f64 v[86:87], v[94:95], v[86:87], -v[88:89]
	s_wait_loadcnt_dscnt 0x100
	v_mul_f64_e32 v[88:89], v[80:81], v[116:117]
	v_add_f64_e32 v[4:5], v[4:5], v[82:83]
	v_add_f64_e32 v[12:13], v[12:13], v[102:103]
	v_mul_f64_e32 v[82:83], v[78:79], v[116:117]
	v_fmac_f64_e32 v[84:85], v[10:11], v[90:91]
	v_fma_f64 v[90:91], v[8:9], v[90:91], -v[92:93]
	ds_load_b128 v[8:11], v2 offset:1008
	v_fma_f64 v[78:79], v[78:79], v[114:115], -v[88:89]
	v_add_f64_e32 v[4:5], v[4:5], v[86:87]
	v_add_f64_e32 v[12:13], v[12:13], v[98:99]
	v_fmac_f64_e32 v[82:83], v[80:81], v[114:115]
	s_wait_loadcnt_dscnt 0x0
	v_mul_f64_e32 v[86:87], v[8:9], v[128:129]
	v_mul_f64_e32 v[92:93], v[10:11], v[128:129]
	v_add_f64_e32 v[4:5], v[4:5], v[90:91]
	v_add_f64_e32 v[12:13], v[12:13], v[84:85]
	s_delay_alu instid0(VALU_DEP_4) | instskip(NEXT) | instid1(VALU_DEP_4)
	v_fmac_f64_e32 v[86:87], v[10:11], v[126:127]
	v_fma_f64 v[8:9], v[8:9], v[126:127], -v[92:93]
	s_delay_alu instid0(VALU_DEP_4) | instskip(NEXT) | instid1(VALU_DEP_4)
	v_add_f64_e32 v[4:5], v[4:5], v[78:79]
	v_add_f64_e32 v[10:11], v[12:13], v[82:83]
	s_delay_alu instid0(VALU_DEP_2) | instskip(NEXT) | instid1(VALU_DEP_2)
	v_add_f64_e32 v[4:5], v[4:5], v[8:9]
	v_add_f64_e32 v[10:11], v[10:11], v[86:87]
	s_delay_alu instid0(VALU_DEP_2) | instskip(NEXT) | instid1(VALU_DEP_2)
	v_add_f64_e64 v[8:9], v[122:123], -v[4:5]
	v_add_f64_e64 v[10:11], v[124:125], -v[10:11]
	scratch_store_b128 off, v[8:11], off offset:32
	s_wait_xcnt 0x0
	v_cmpx_lt_u32_e32 1, v1
	s_cbranch_execz .LBB95_203
; %bb.202:
	scratch_load_b128 v[8:11], off, s18
	v_dual_mov_b32 v3, v2 :: v_dual_mov_b32 v4, v2
	v_mov_b32_e32 v5, v2
	scratch_store_b128 off, v[2:5], off offset:16
	s_wait_loadcnt 0x0
	ds_store_b128 v6, v[8:11]
.LBB95_203:
	s_wait_xcnt 0x0
	s_or_b32 exec_lo, exec_lo, s2
	s_wait_storecnt_dscnt 0x0
	s_barrier_signal -1
	s_barrier_wait -1
	s_clause 0x9
	scratch_load_b128 v[8:11], off, off offset:32
	scratch_load_b128 v[78:81], off, off offset:48
	;; [unrolled: 1-line block ×10, first 2 shown]
	ds_load_b128 v[114:117], v2 offset:544
	s_clause 0x2
	scratch_load_b128 v[118:121], off, off offset:192
	scratch_load_b128 v[122:125], off, off offset:208
	scratch_load_b128 v[126:129], off, off offset:224
	s_mov_b32 s2, exec_lo
	s_wait_loadcnt_dscnt 0xc00
	v_mul_f64_e32 v[4:5], v[116:117], v[10:11]
	v_mul_f64_e32 v[130:131], v[114:115], v[10:11]
	ds_load_b128 v[10:13], v2 offset:560
	v_fma_f64 v[4:5], v[114:115], v[8:9], -v[4:5]
	v_fmac_f64_e32 v[130:131], v[116:117], v[8:9]
	ds_load_b128 v[114:117], v2 offset:576
	s_wait_loadcnt_dscnt 0xb01
	v_mul_f64_e32 v[132:133], v[10:11], v[80:81]
	v_mul_f64_e32 v[80:81], v[12:13], v[80:81]
	s_wait_loadcnt_dscnt 0xa00
	v_mul_f64_e32 v[134:135], v[114:115], v[84:85]
	v_mul_f64_e32 v[84:85], v[116:117], v[84:85]
	v_add_f64_e32 v[4:5], 0, v[4:5]
	v_add_f64_e32 v[130:131], 0, v[130:131]
	v_fmac_f64_e32 v[132:133], v[12:13], v[78:79]
	v_fma_f64 v[12:13], v[10:11], v[78:79], -v[80:81]
	ds_load_b128 v[8:11], v2 offset:592
	scratch_load_b128 v[78:81], off, off offset:240
	v_fmac_f64_e32 v[134:135], v[116:117], v[82:83]
	v_fma_f64 v[138:139], v[114:115], v[82:83], -v[84:85]
	ds_load_b128 v[82:85], v2 offset:608
	s_wait_loadcnt_dscnt 0xa01
	v_mul_f64_e32 v[136:137], v[8:9], v[88:89]
	v_mul_f64_e32 v[88:89], v[10:11], v[88:89]
	scratch_load_b128 v[114:117], off, off offset:256
	v_add_f64_e32 v[4:5], v[4:5], v[12:13]
	v_add_f64_e32 v[12:13], v[130:131], v[132:133]
	s_wait_loadcnt_dscnt 0xa00
	v_mul_f64_e32 v[130:131], v[82:83], v[92:93]
	v_mul_f64_e32 v[92:93], v[84:85], v[92:93]
	v_fmac_f64_e32 v[136:137], v[10:11], v[86:87]
	v_fma_f64 v[132:133], v[8:9], v[86:87], -v[88:89]
	ds_load_b128 v[8:11], v2 offset:624
	scratch_load_b128 v[86:89], off, off offset:272
	v_add_f64_e32 v[4:5], v[4:5], v[138:139]
	v_add_f64_e32 v[12:13], v[12:13], v[134:135]
	v_fmac_f64_e32 v[130:131], v[84:85], v[90:91]
	v_fma_f64 v[138:139], v[82:83], v[90:91], -v[92:93]
	ds_load_b128 v[82:85], v2 offset:640
	s_wait_loadcnt_dscnt 0xa01
	v_mul_f64_e32 v[134:135], v[8:9], v[96:97]
	v_mul_f64_e32 v[96:97], v[10:11], v[96:97]
	scratch_load_b128 v[90:93], off, off offset:288
	v_add_f64_e32 v[4:5], v[4:5], v[132:133]
	v_add_f64_e32 v[12:13], v[12:13], v[136:137]
	s_wait_loadcnt_dscnt 0xa00
	v_mul_f64_e32 v[132:133], v[82:83], v[100:101]
	v_mul_f64_e32 v[100:101], v[84:85], v[100:101]
	v_fmac_f64_e32 v[134:135], v[10:11], v[94:95]
	v_fma_f64 v[136:137], v[8:9], v[94:95], -v[96:97]
	ds_load_b128 v[8:11], v2 offset:656
	scratch_load_b128 v[94:97], off, off offset:304
	v_add_f64_e32 v[4:5], v[4:5], v[138:139]
	v_add_f64_e32 v[12:13], v[12:13], v[130:131]
	;; [unrolled: 18-line block ×5, first 2 shown]
	s_wait_loadcnt_dscnt 0xa00
	v_mul_f64_e32 v[138:139], v[8:9], v[80:81]
	v_mul_f64_e32 v[130:131], v[10:11], v[80:81]
	v_fmac_f64_e32 v[132:133], v[84:85], v[126:127]
	v_fma_f64 v[84:85], v[82:83], v[126:127], -v[128:129]
	ds_load_b128 v[80:83], v2 offset:768
	scratch_load_b128 v[126:129], off, off offset:416
	v_add_f64_e32 v[4:5], v[4:5], v[136:137]
	v_add_f64_e32 v[12:13], v[12:13], v[134:135]
	v_fmac_f64_e32 v[138:139], v[10:11], v[78:79]
	v_fma_f64 v[78:79], v[8:9], v[78:79], -v[130:131]
	ds_load_b128 v[8:11], v2 offset:784
	s_wait_loadcnt_dscnt 0xa01
	v_mul_f64_e32 v[134:135], v[80:81], v[116:117]
	v_mul_f64_e32 v[116:117], v[82:83], v[116:117]
	s_wait_loadcnt_dscnt 0x900
	v_mul_f64_e32 v[136:137], v[8:9], v[88:89]
	v_mul_f64_e32 v[88:89], v[10:11], v[88:89]
	v_add_f64_e32 v[4:5], v[4:5], v[84:85]
	v_add_f64_e32 v[12:13], v[12:13], v[132:133]
	scratch_load_b128 v[130:133], off, off offset:432
	v_fmac_f64_e32 v[134:135], v[82:83], v[114:115]
	v_fma_f64 v[114:115], v[80:81], v[114:115], -v[116:117]
	scratch_load_b128 v[82:85], off, off offset:448
	v_fmac_f64_e32 v[136:137], v[10:11], v[86:87]
	v_add_f64_e32 v[4:5], v[4:5], v[78:79]
	v_add_f64_e32 v[12:13], v[12:13], v[138:139]
	ds_load_b128 v[78:81], v2 offset:800
	v_fma_f64 v[138:139], v[8:9], v[86:87], -v[88:89]
	ds_load_b128 v[8:11], v2 offset:816
	scratch_load_b128 v[86:89], off, off offset:464
	s_wait_loadcnt_dscnt 0xb01
	v_mul_f64_e32 v[116:117], v[78:79], v[92:93]
	v_mul_f64_e32 v[92:93], v[80:81], v[92:93]
	v_add_f64_e32 v[4:5], v[4:5], v[114:115]
	v_add_f64_e32 v[12:13], v[12:13], v[134:135]
	s_wait_loadcnt_dscnt 0xa00
	v_mul_f64_e32 v[114:115], v[8:9], v[96:97]
	v_mul_f64_e32 v[96:97], v[10:11], v[96:97]
	v_fmac_f64_e32 v[116:117], v[80:81], v[90:91]
	v_fma_f64 v[134:135], v[78:79], v[90:91], -v[92:93]
	ds_load_b128 v[78:81], v2 offset:832
	scratch_load_b128 v[90:93], off, off offset:480
	v_add_f64_e32 v[4:5], v[4:5], v[138:139]
	v_add_f64_e32 v[12:13], v[12:13], v[136:137]
	v_fmac_f64_e32 v[114:115], v[10:11], v[94:95]
	v_fma_f64 v[138:139], v[8:9], v[94:95], -v[96:97]
	ds_load_b128 v[8:11], v2 offset:848
	scratch_load_b128 v[94:97], off, off offset:496
	s_wait_loadcnt_dscnt 0xb01
	v_mul_f64_e32 v[136:137], v[78:79], v[100:101]
	v_mul_f64_e32 v[100:101], v[80:81], v[100:101]
	v_add_f64_e32 v[4:5], v[4:5], v[134:135]
	v_add_f64_e32 v[12:13], v[12:13], v[116:117]
	s_delay_alu instid0(VALU_DEP_4) | instskip(NEXT) | instid1(VALU_DEP_4)
	v_fmac_f64_e32 v[136:137], v[80:81], v[98:99]
	v_fma_f64 v[98:99], v[78:79], v[98:99], -v[100:101]
	ds_load_b128 v[78:81], v2 offset:864
	v_add_f64_e32 v[4:5], v[4:5], v[138:139]
	v_add_f64_e32 v[12:13], v[12:13], v[114:115]
	s_wait_loadcnt_dscnt 0x900
	v_mul_f64_e32 v[114:115], v[78:79], v[108:109]
	v_mul_f64_e32 v[100:101], v[80:81], v[108:109]
	s_delay_alu instid0(VALU_DEP_4) | instskip(NEXT) | instid1(VALU_DEP_4)
	v_add_f64_e32 v[4:5], v[4:5], v[98:99]
	v_add_f64_e32 v[12:13], v[12:13], v[136:137]
	s_delay_alu instid0(VALU_DEP_4) | instskip(NEXT) | instid1(VALU_DEP_4)
	v_fmac_f64_e32 v[114:115], v[80:81], v[106:107]
	v_fma_f64 v[106:107], v[78:79], v[106:107], -v[100:101]
	scratch_load_b128 v[98:101], off, off offset:16
	v_mul_f64_e32 v[116:117], v[8:9], v[104:105]
	v_mul_f64_e32 v[104:105], v[10:11], v[104:105]
	ds_load_b128 v[78:81], v2 offset:896
	v_fmac_f64_e32 v[116:117], v[10:11], v[102:103]
	v_fma_f64 v[102:103], v[8:9], v[102:103], -v[104:105]
	ds_load_b128 v[8:11], v2 offset:880
	s_wait_loadcnt_dscnt 0x900
	v_mul_f64_e32 v[104:105], v[8:9], v[112:113]
	v_mul_f64_e32 v[108:109], v[10:11], v[112:113]
	s_wait_loadcnt 0x8
	v_mul_f64_e32 v[112:113], v[80:81], v[120:121]
	v_add_f64_e32 v[12:13], v[12:13], v[116:117]
	v_add_f64_e32 v[4:5], v[4:5], v[102:103]
	v_mul_f64_e32 v[102:103], v[78:79], v[120:121]
	v_fmac_f64_e32 v[104:105], v[10:11], v[110:111]
	v_fma_f64 v[108:109], v[8:9], v[110:111], -v[108:109]
	ds_load_b128 v[8:11], v2 offset:912
	v_fma_f64 v[112:113], v[78:79], v[118:119], -v[112:113]
	v_add_f64_e32 v[12:13], v[12:13], v[114:115]
	v_add_f64_e32 v[4:5], v[4:5], v[106:107]
	v_fmac_f64_e32 v[102:103], v[80:81], v[118:119]
	ds_load_b128 v[78:81], v2 offset:928
	s_wait_loadcnt_dscnt 0x701
	v_mul_f64_e32 v[106:107], v[8:9], v[124:125]
	v_mul_f64_e32 v[110:111], v[10:11], v[124:125]
	v_add_f64_e32 v[12:13], v[12:13], v[104:105]
	v_add_f64_e32 v[4:5], v[4:5], v[108:109]
	s_wait_loadcnt_dscnt 0x600
	v_mul_f64_e32 v[104:105], v[78:79], v[128:129]
	v_mul_f64_e32 v[108:109], v[80:81], v[128:129]
	v_fmac_f64_e32 v[106:107], v[10:11], v[122:123]
	v_fma_f64 v[110:111], v[8:9], v[122:123], -v[110:111]
	ds_load_b128 v[8:11], v2 offset:944
	v_add_f64_e32 v[12:13], v[12:13], v[102:103]
	v_add_f64_e32 v[4:5], v[4:5], v[112:113]
	v_fmac_f64_e32 v[104:105], v[80:81], v[126:127]
	v_fma_f64 v[108:109], v[78:79], v[126:127], -v[108:109]
	ds_load_b128 v[78:81], v2 offset:960
	s_wait_loadcnt_dscnt 0x501
	v_mul_f64_e32 v[102:103], v[8:9], v[132:133]
	v_mul_f64_e32 v[112:113], v[10:11], v[132:133]
	v_add_f64_e32 v[12:13], v[12:13], v[106:107]
	v_add_f64_e32 v[4:5], v[4:5], v[110:111]
	s_wait_loadcnt_dscnt 0x400
	v_mul_f64_e32 v[106:107], v[78:79], v[84:85]
	v_mul_f64_e32 v[84:85], v[80:81], v[84:85]
	v_fmac_f64_e32 v[102:103], v[10:11], v[130:131]
	v_fma_f64 v[110:111], v[8:9], v[130:131], -v[112:113]
	ds_load_b128 v[8:11], v2 offset:976
	v_add_f64_e32 v[12:13], v[12:13], v[104:105]
	v_add_f64_e32 v[4:5], v[4:5], v[108:109]
	v_fmac_f64_e32 v[106:107], v[80:81], v[82:83]
	v_fma_f64 v[82:83], v[78:79], v[82:83], -v[84:85]
	ds_load_b128 v[78:81], v2 offset:992
	s_wait_loadcnt_dscnt 0x301
	v_mul_f64_e32 v[104:105], v[8:9], v[88:89]
	v_mul_f64_e32 v[88:89], v[10:11], v[88:89]
	s_wait_loadcnt_dscnt 0x200
	v_mul_f64_e32 v[84:85], v[78:79], v[92:93]
	v_mul_f64_e32 v[92:93], v[80:81], v[92:93]
	v_add_f64_e32 v[12:13], v[12:13], v[102:103]
	v_add_f64_e32 v[4:5], v[4:5], v[110:111]
	v_fmac_f64_e32 v[104:105], v[10:11], v[86:87]
	v_fma_f64 v[8:9], v[8:9], v[86:87], -v[88:89]
	v_fmac_f64_e32 v[84:85], v[80:81], v[90:91]
	v_fma_f64 v[78:79], v[78:79], v[90:91], -v[92:93]
	v_add_f64_e32 v[12:13], v[12:13], v[106:107]
	v_add_f64_e32 v[10:11], v[4:5], v[82:83]
	ds_load_b128 v[2:5], v2 offset:1008
	s_wait_loadcnt_dscnt 0x100
	v_mul_f64_e32 v[82:83], v[2:3], v[96:97]
	v_mul_f64_e32 v[86:87], v[4:5], v[96:97]
	v_add_f64_e32 v[8:9], v[10:11], v[8:9]
	v_add_f64_e32 v[10:11], v[12:13], v[104:105]
	s_delay_alu instid0(VALU_DEP_4) | instskip(NEXT) | instid1(VALU_DEP_4)
	v_fmac_f64_e32 v[82:83], v[4:5], v[94:95]
	v_fma_f64 v[2:3], v[2:3], v[94:95], -v[86:87]
	s_delay_alu instid0(VALU_DEP_4) | instskip(NEXT) | instid1(VALU_DEP_4)
	v_add_f64_e32 v[4:5], v[8:9], v[78:79]
	v_add_f64_e32 v[8:9], v[10:11], v[84:85]
	s_delay_alu instid0(VALU_DEP_2) | instskip(NEXT) | instid1(VALU_DEP_2)
	v_add_f64_e32 v[2:3], v[4:5], v[2:3]
	v_add_f64_e32 v[4:5], v[8:9], v[82:83]
	s_wait_loadcnt 0x0
	s_delay_alu instid0(VALU_DEP_2) | instskip(NEXT) | instid1(VALU_DEP_2)
	v_add_f64_e64 v[2:3], v[98:99], -v[2:3]
	v_add_f64_e64 v[4:5], v[100:101], -v[4:5]
	scratch_store_b128 off, v[2:5], off offset:16
	s_wait_xcnt 0x0
	v_cmpx_ne_u32_e32 0, v1
	s_cbranch_execz .LBB95_205
; %bb.204:
	scratch_load_b128 v[2:5], off, off
	v_mov_b32_e32 v8, 0
	s_delay_alu instid0(VALU_DEP_1)
	v_dual_mov_b32 v9, v8 :: v_dual_mov_b32 v10, v8
	v_mov_b32_e32 v11, v8
	scratch_store_b128 off, v[8:11], off
	s_wait_loadcnt 0x0
	ds_store_b128 v6, v[2:5]
.LBB95_205:
	s_wait_xcnt 0x0
	s_or_b32 exec_lo, exec_lo, s2
	s_wait_storecnt_dscnt 0x0
	s_barrier_signal -1
	s_barrier_wait -1
	s_clause 0x9
	scratch_load_b128 v[2:5], off, off offset:16
	scratch_load_b128 v[6:9], off, off offset:32
	;; [unrolled: 1-line block ×10, first 2 shown]
	v_mov_b32_e32 v102, 0
	s_and_b32 vcc_lo, exec_lo, s44
	ds_load_b128 v[108:111], v102 offset:528
	s_clause 0x2
	scratch_load_b128 v[112:115], off, off offset:176
	scratch_load_b128 v[116:119], off, off
	scratch_load_b128 v[124:127], off, off offset:192
	s_wait_loadcnt_dscnt 0xc00
	v_mul_f64_e32 v[128:129], v[110:111], v[4:5]
	v_mul_f64_e32 v[132:133], v[108:109], v[4:5]
	ds_load_b128 v[120:123], v102 offset:544
	v_fma_f64 v[136:137], v[108:109], v[2:3], -v[128:129]
	v_fmac_f64_e32 v[132:133], v[110:111], v[2:3]
	ds_load_b128 v[2:5], v102 offset:560
	s_wait_loadcnt_dscnt 0xb01
	v_mul_f64_e32 v[134:135], v[120:121], v[8:9]
	v_mul_f64_e32 v[8:9], v[122:123], v[8:9]
	scratch_load_b128 v[108:111], off, off offset:208
	ds_load_b128 v[128:131], v102 offset:576
	s_wait_loadcnt_dscnt 0xb01
	v_mul_f64_e32 v[138:139], v[2:3], v[12:13]
	v_mul_f64_e32 v[12:13], v[4:5], v[12:13]
	v_add_f64_e32 v[132:133], 0, v[132:133]
	v_fmac_f64_e32 v[134:135], v[122:123], v[6:7]
	v_fma_f64 v[120:121], v[120:121], v[6:7], -v[8:9]
	v_add_f64_e32 v[122:123], 0, v[136:137]
	scratch_load_b128 v[6:9], off, off offset:224
	v_fmac_f64_e32 v[138:139], v[4:5], v[10:11]
	v_fma_f64 v[140:141], v[2:3], v[10:11], -v[12:13]
	ds_load_b128 v[2:5], v102 offset:592
	s_wait_loadcnt_dscnt 0xb01
	v_mul_f64_e32 v[136:137], v[128:129], v[80:81]
	v_mul_f64_e32 v[80:81], v[130:131], v[80:81]
	scratch_load_b128 v[10:13], off, off offset:240
	v_add_f64_e32 v[132:133], v[132:133], v[134:135]
	v_add_f64_e32 v[142:143], v[122:123], v[120:121]
	ds_load_b128 v[120:123], v102 offset:608
	s_wait_loadcnt_dscnt 0xb01
	v_mul_f64_e32 v[134:135], v[2:3], v[84:85]
	v_mul_f64_e32 v[84:85], v[4:5], v[84:85]
	v_fmac_f64_e32 v[136:137], v[130:131], v[78:79]
	v_fma_f64 v[128:129], v[128:129], v[78:79], -v[80:81]
	scratch_load_b128 v[78:81], off, off offset:256
	v_add_f64_e32 v[132:133], v[132:133], v[138:139]
	v_add_f64_e32 v[130:131], v[142:143], v[140:141]
	v_fmac_f64_e32 v[134:135], v[4:5], v[82:83]
	v_fma_f64 v[140:141], v[2:3], v[82:83], -v[84:85]
	ds_load_b128 v[2:5], v102 offset:624
	s_wait_loadcnt_dscnt 0xb01
	v_mul_f64_e32 v[138:139], v[120:121], v[88:89]
	v_mul_f64_e32 v[88:89], v[122:123], v[88:89]
	scratch_load_b128 v[82:85], off, off offset:272
	v_add_f64_e32 v[132:133], v[132:133], v[136:137]
	s_wait_loadcnt_dscnt 0xb00
	v_mul_f64_e32 v[136:137], v[2:3], v[92:93]
	v_add_f64_e32 v[142:143], v[130:131], v[128:129]
	v_mul_f64_e32 v[92:93], v[4:5], v[92:93]
	ds_load_b128 v[128:131], v102 offset:640
	v_fmac_f64_e32 v[138:139], v[122:123], v[86:87]
	v_fma_f64 v[120:121], v[120:121], v[86:87], -v[88:89]
	scratch_load_b128 v[86:89], off, off offset:288
	v_add_f64_e32 v[132:133], v[132:133], v[134:135]
	v_fmac_f64_e32 v[136:137], v[4:5], v[90:91]
	v_add_f64_e32 v[122:123], v[142:143], v[140:141]
	v_fma_f64 v[140:141], v[2:3], v[90:91], -v[92:93]
	ds_load_b128 v[2:5], v102 offset:656
	s_wait_loadcnt_dscnt 0xb01
	v_mul_f64_e32 v[134:135], v[128:129], v[96:97]
	v_mul_f64_e32 v[96:97], v[130:131], v[96:97]
	scratch_load_b128 v[90:93], off, off offset:304
	v_add_f64_e32 v[132:133], v[132:133], v[138:139]
	s_wait_loadcnt_dscnt 0xb00
	v_mul_f64_e32 v[138:139], v[2:3], v[100:101]
	v_add_f64_e32 v[142:143], v[122:123], v[120:121]
	v_mul_f64_e32 v[100:101], v[4:5], v[100:101]
	ds_load_b128 v[120:123], v102 offset:672
	v_fmac_f64_e32 v[134:135], v[130:131], v[94:95]
	v_fma_f64 v[128:129], v[128:129], v[94:95], -v[96:97]
	scratch_load_b128 v[94:97], off, off offset:320
	v_add_f64_e32 v[132:133], v[132:133], v[136:137]
	v_fmac_f64_e32 v[138:139], v[4:5], v[98:99]
	v_add_f64_e32 v[130:131], v[142:143], v[140:141]
	v_fma_f64 v[140:141], v[2:3], v[98:99], -v[100:101]
	ds_load_b128 v[2:5], v102 offset:688
	s_wait_loadcnt_dscnt 0xb01
	v_mul_f64_e32 v[136:137], v[120:121], v[106:107]
	v_mul_f64_e32 v[106:107], v[122:123], v[106:107]
	scratch_load_b128 v[98:101], off, off offset:336
	v_add_f64_e32 v[132:133], v[132:133], v[134:135]
	s_wait_loadcnt_dscnt 0xb00
	v_mul_f64_e32 v[134:135], v[2:3], v[114:115]
	v_add_f64_e32 v[142:143], v[130:131], v[128:129]
	v_mul_f64_e32 v[114:115], v[4:5], v[114:115]
	ds_load_b128 v[128:131], v102 offset:704
	v_fmac_f64_e32 v[136:137], v[122:123], v[104:105]
	v_fma_f64 v[120:121], v[120:121], v[104:105], -v[106:107]
	scratch_load_b128 v[104:107], off, off offset:352
	v_add_f64_e32 v[132:133], v[132:133], v[138:139]
	v_fmac_f64_e32 v[134:135], v[4:5], v[112:113]
	v_add_f64_e32 v[122:123], v[142:143], v[140:141]
	v_fma_f64 v[140:141], v[2:3], v[112:113], -v[114:115]
	ds_load_b128 v[2:5], v102 offset:720
	s_wait_loadcnt_dscnt 0xa01
	v_mul_f64_e32 v[138:139], v[128:129], v[126:127]
	v_mul_f64_e32 v[126:127], v[130:131], v[126:127]
	scratch_load_b128 v[112:115], off, off offset:368
	v_add_f64_e32 v[132:133], v[132:133], v[136:137]
	v_add_f64_e32 v[142:143], v[122:123], v[120:121]
	s_wait_loadcnt_dscnt 0xa00
	v_mul_f64_e32 v[136:137], v[2:3], v[110:111]
	v_mul_f64_e32 v[110:111], v[4:5], v[110:111]
	v_fmac_f64_e32 v[138:139], v[130:131], v[124:125]
	v_fma_f64 v[128:129], v[128:129], v[124:125], -v[126:127]
	ds_load_b128 v[120:123], v102 offset:736
	scratch_load_b128 v[124:127], off, off offset:384
	v_add_f64_e32 v[132:133], v[132:133], v[134:135]
	v_add_f64_e32 v[130:131], v[142:143], v[140:141]
	v_fmac_f64_e32 v[136:137], v[4:5], v[108:109]
	v_fma_f64 v[140:141], v[2:3], v[108:109], -v[110:111]
	ds_load_b128 v[2:5], v102 offset:752
	s_wait_loadcnt_dscnt 0xa01
	v_mul_f64_e32 v[134:135], v[120:121], v[8:9]
	v_mul_f64_e32 v[8:9], v[122:123], v[8:9]
	scratch_load_b128 v[108:111], off, off offset:400
	v_add_f64_e32 v[132:133], v[132:133], v[138:139]
	s_wait_loadcnt_dscnt 0xa00
	v_mul_f64_e32 v[138:139], v[2:3], v[12:13]
	v_add_f64_e32 v[142:143], v[130:131], v[128:129]
	v_mul_f64_e32 v[12:13], v[4:5], v[12:13]
	ds_load_b128 v[128:131], v102 offset:768
	v_fmac_f64_e32 v[134:135], v[122:123], v[6:7]
	v_fma_f64 v[120:121], v[120:121], v[6:7], -v[8:9]
	scratch_load_b128 v[6:9], off, off offset:416
	v_add_f64_e32 v[132:133], v[132:133], v[136:137]
	v_fmac_f64_e32 v[138:139], v[4:5], v[10:11]
	v_add_f64_e32 v[122:123], v[142:143], v[140:141]
	v_fma_f64 v[140:141], v[2:3], v[10:11], -v[12:13]
	ds_load_b128 v[2:5], v102 offset:784
	s_wait_loadcnt_dscnt 0xa01
	v_mul_f64_e32 v[136:137], v[128:129], v[80:81]
	v_mul_f64_e32 v[80:81], v[130:131], v[80:81]
	scratch_load_b128 v[10:13], off, off offset:432
	v_add_f64_e32 v[132:133], v[132:133], v[134:135]
	s_wait_loadcnt_dscnt 0xa00
	v_mul_f64_e32 v[134:135], v[2:3], v[84:85]
	v_add_f64_e32 v[142:143], v[122:123], v[120:121]
	v_mul_f64_e32 v[84:85], v[4:5], v[84:85]
	ds_load_b128 v[120:123], v102 offset:800
	v_fmac_f64_e32 v[136:137], v[130:131], v[78:79]
	v_fma_f64 v[128:129], v[128:129], v[78:79], -v[80:81]
	scratch_load_b128 v[78:81], off, off offset:448
	v_add_f64_e32 v[132:133], v[132:133], v[138:139]
	v_fmac_f64_e32 v[134:135], v[4:5], v[82:83]
	v_add_f64_e32 v[130:131], v[142:143], v[140:141]
	v_fma_f64 v[140:141], v[2:3], v[82:83], -v[84:85]
	ds_load_b128 v[2:5], v102 offset:816
	s_wait_loadcnt_dscnt 0xa01
	v_mul_f64_e32 v[138:139], v[120:121], v[88:89]
	v_mul_f64_e32 v[88:89], v[122:123], v[88:89]
	scratch_load_b128 v[82:85], off, off offset:464
	v_add_f64_e32 v[132:133], v[132:133], v[136:137]
	s_wait_loadcnt_dscnt 0xa00
	v_mul_f64_e32 v[136:137], v[2:3], v[92:93]
	v_add_f64_e32 v[142:143], v[130:131], v[128:129]
	v_mul_f64_e32 v[92:93], v[4:5], v[92:93]
	ds_load_b128 v[128:131], v102 offset:832
	v_fmac_f64_e32 v[138:139], v[122:123], v[86:87]
	v_fma_f64 v[120:121], v[120:121], v[86:87], -v[88:89]
	scratch_load_b128 v[86:89], off, off offset:480
	v_add_f64_e32 v[132:133], v[132:133], v[134:135]
	v_fmac_f64_e32 v[136:137], v[4:5], v[90:91]
	v_add_f64_e32 v[122:123], v[142:143], v[140:141]
	v_fma_f64 v[140:141], v[2:3], v[90:91], -v[92:93]
	ds_load_b128 v[2:5], v102 offset:848
	s_wait_loadcnt_dscnt 0xa01
	v_mul_f64_e32 v[134:135], v[128:129], v[96:97]
	v_mul_f64_e32 v[96:97], v[130:131], v[96:97]
	scratch_load_b128 v[90:93], off, off offset:496
	v_add_f64_e32 v[132:133], v[132:133], v[138:139]
	s_wait_loadcnt_dscnt 0xa00
	v_mul_f64_e32 v[138:139], v[2:3], v[100:101]
	v_add_f64_e32 v[142:143], v[122:123], v[120:121]
	ds_load_b128 v[120:123], v102 offset:864
	v_fmac_f64_e32 v[134:135], v[130:131], v[94:95]
	v_fma_f64 v[94:95], v[128:129], v[94:95], -v[96:97]
	v_mul_f64_e32 v[96:97], v[4:5], v[100:101]
	s_wait_loadcnt_dscnt 0x900
	v_mul_f64_e32 v[130:131], v[120:121], v[106:107]
	v_mul_f64_e32 v[106:107], v[122:123], v[106:107]
	v_add_f64_e32 v[128:129], v[132:133], v[136:137]
	v_fmac_f64_e32 v[138:139], v[4:5], v[98:99]
	v_add_f64_e32 v[100:101], v[142:143], v[140:141]
	v_fma_f64 v[98:99], v[2:3], v[98:99], -v[96:97]
	v_fmac_f64_e32 v[130:131], v[122:123], v[104:105]
	v_fma_f64 v[104:105], v[120:121], v[104:105], -v[106:107]
	v_add_f64_e32 v[128:129], v[128:129], v[134:135]
	v_add_f64_e32 v[100:101], v[100:101], v[94:95]
	ds_load_b128 v[2:5], v102 offset:880
	ds_load_b128 v[94:97], v102 offset:896
	s_wait_loadcnt_dscnt 0x801
	v_mul_f64_e32 v[132:133], v[2:3], v[114:115]
	v_mul_f64_e32 v[114:115], v[4:5], v[114:115]
	s_wait_loadcnt_dscnt 0x700
	v_mul_f64_e32 v[106:107], v[94:95], v[126:127]
	v_mul_f64_e32 v[120:121], v[96:97], v[126:127]
	v_add_f64_e32 v[98:99], v[100:101], v[98:99]
	v_add_f64_e32 v[100:101], v[128:129], v[138:139]
	v_fmac_f64_e32 v[132:133], v[4:5], v[112:113]
	v_fma_f64 v[112:113], v[2:3], v[112:113], -v[114:115]
	v_fmac_f64_e32 v[106:107], v[96:97], v[124:125]
	v_fma_f64 v[94:95], v[94:95], v[124:125], -v[120:121]
	v_add_f64_e32 v[104:105], v[98:99], v[104:105]
	v_add_f64_e32 v[114:115], v[100:101], v[130:131]
	ds_load_b128 v[2:5], v102 offset:912
	ds_load_b128 v[98:101], v102 offset:928
	s_wait_loadcnt_dscnt 0x601
	v_mul_f64_e32 v[122:123], v[2:3], v[110:111]
	v_mul_f64_e32 v[110:111], v[4:5], v[110:111]
	v_add_f64_e32 v[96:97], v[104:105], v[112:113]
	v_add_f64_e32 v[104:105], v[114:115], v[132:133]
	s_wait_loadcnt_dscnt 0x500
	v_mul_f64_e32 v[112:113], v[98:99], v[8:9]
	v_mul_f64_e32 v[8:9], v[100:101], v[8:9]
	v_fmac_f64_e32 v[122:123], v[4:5], v[108:109]
	v_fma_f64 v[108:109], v[2:3], v[108:109], -v[110:111]
	v_add_f64_e32 v[110:111], v[96:97], v[94:95]
	v_add_f64_e32 v[104:105], v[104:105], v[106:107]
	ds_load_b128 v[2:5], v102 offset:944
	ds_load_b128 v[94:97], v102 offset:960
	v_fmac_f64_e32 v[112:113], v[100:101], v[6:7]
	v_fma_f64 v[6:7], v[98:99], v[6:7], -v[8:9]
	s_wait_loadcnt_dscnt 0x401
	v_mul_f64_e32 v[106:107], v[2:3], v[12:13]
	v_mul_f64_e32 v[12:13], v[4:5], v[12:13]
	s_wait_loadcnt_dscnt 0x300
	v_mul_f64_e32 v[100:101], v[94:95], v[80:81]
	v_mul_f64_e32 v[80:81], v[96:97], v[80:81]
	v_add_f64_e32 v[8:9], v[110:111], v[108:109]
	v_add_f64_e32 v[98:99], v[104:105], v[122:123]
	v_fmac_f64_e32 v[106:107], v[4:5], v[10:11]
	v_fma_f64 v[10:11], v[2:3], v[10:11], -v[12:13]
	v_fmac_f64_e32 v[100:101], v[96:97], v[78:79]
	v_fma_f64 v[78:79], v[94:95], v[78:79], -v[80:81]
	v_lshl_add_u64 v[96:97], v[22:23], 4, s[4:5]
	v_lshl_add_u64 v[94:95], v[24:25], 4, s[4:5]
	v_lshl_add_u64 v[24:25], v[58:59], 4, s[4:5]
	v_lshl_add_u64 v[22:23], v[60:61], 4, s[4:5]
	v_add_f64_e32 v[12:13], v[8:9], v[6:7]
	v_add_f64_e32 v[98:99], v[98:99], v[112:113]
	ds_load_b128 v[2:5], v102 offset:976
	ds_load_b128 v[6:9], v102 offset:992
	s_wait_loadcnt_dscnt 0x201
	v_mul_f64_e32 v[104:105], v[2:3], v[84:85]
	v_mul_f64_e32 v[84:85], v[4:5], v[84:85]
	s_wait_loadcnt_dscnt 0x100
	v_mul_f64_e32 v[80:81], v[6:7], v[88:89]
	v_mul_f64_e32 v[88:89], v[8:9], v[88:89]
	v_add_f64_e32 v[10:11], v[12:13], v[10:11]
	v_add_f64_e32 v[12:13], v[98:99], v[106:107]
	v_lshl_add_u64 v[98:99], v[20:21], 4, s[4:5]
	v_lshl_add_u64 v[20:21], v[62:63], 4, s[4:5]
	v_fmac_f64_e32 v[104:105], v[4:5], v[82:83]
	v_fma_f64 v[82:83], v[2:3], v[82:83], -v[84:85]
	ds_load_b128 v[2:5], v102 offset:1008
	v_fmac_f64_e32 v[80:81], v[8:9], v[86:87]
	v_fma_f64 v[6:7], v[6:7], v[86:87], -v[88:89]
	v_lshl_add_u64 v[88:89], v[30:31], 4, s[4:5]
	v_lshl_add_u64 v[86:87], v[32:33], 4, s[4:5]
	;; [unrolled: 1-line block ×4, first 2 shown]
	v_add_f64_e32 v[10:11], v[10:11], v[78:79]
	v_add_f64_e32 v[12:13], v[12:13], v[100:101]
	v_lshl_add_u64 v[100:101], v[18:19], 4, s[4:5]
	v_lshl_add_u64 v[18:19], v[64:65], 4, s[4:5]
	s_wait_loadcnt_dscnt 0x0
	v_mul_f64_e32 v[78:79], v[2:3], v[92:93]
	v_mul_f64_e32 v[84:85], v[4:5], v[92:93]
	v_lshl_add_u64 v[92:93], v[26:27], 4, s[4:5]
	v_lshl_add_u64 v[26:27], v[56:57], 4, s[4:5]
	v_add_f64_e32 v[8:9], v[10:11], v[82:83]
	v_add_f64_e32 v[10:11], v[12:13], v[104:105]
	v_lshl_add_u64 v[82:83], v[36:37], 4, s[4:5]
	v_lshl_add_u64 v[36:37], v[46:47], 4, s[4:5]
	v_lshl_add_u64 v[12:13], v[66:67], 4, s[4:5]
	v_fmac_f64_e32 v[78:79], v[4:5], v[90:91]
	v_fma_f64 v[2:3], v[2:3], v[90:91], -v[84:85]
	v_lshl_add_u64 v[90:91], v[28:29], 4, s[4:5]
	v_lshl_add_u64 v[84:85], v[34:35], 4, s[4:5]
	;; [unrolled: 1-line block ×4, first 2 shown]
	v_add_f64_e32 v[4:5], v[8:9], v[6:7]
	v_add_f64_e32 v[6:7], v[10:11], v[80:81]
	v_lshl_add_u64 v[80:81], v[38:39], 4, s[4:5]
	v_lshl_add_u64 v[38:39], v[44:45], 4, s[4:5]
	;; [unrolled: 1-line block ×4, first 2 shown]
	v_add_f64_e32 v[2:3], v[4:5], v[2:3]
	v_add_f64_e32 v[4:5], v[6:7], v[78:79]
	v_lshl_add_u64 v[78:79], v[40:41], 4, s[4:5]
	v_lshl_add_u64 v[40:41], v[42:43], 4, s[4:5]
	;; [unrolled: 1-line block ×3, first 2 shown]
	v_add_f64_e64 v[104:105], v[116:117], -v[2:3]
	v_add_f64_e64 v[106:107], v[118:119], -v[4:5]
	v_lshl_add_u64 v[4:5], v[74:75], 4, s[4:5]
	v_lshl_add_u64 v[2:3], v[76:77], 4, s[4:5]
	scratch_store_b128 off, v[104:107], off
	s_cbranch_vccz .LBB95_268
; %bb.206:
	global_load_b32 v42, v102, s[8:9] offset:120
	s_load_b64 s[2:3], s[0:1], 0x4
	v_bfe_u32 v43, v0, 10, 10
	v_bfe_u32 v0, v0, 20, 10
	s_wait_kmcnt 0x0
	s_lshr_b32 s0, s2, 16
	s_delay_alu instid0(VALU_DEP_2) | instskip(SKIP_1) | instid1(SALU_CYCLE_1)
	v_mul_u32_u24_e32 v43, s3, v43
	s_mul_i32 s0, s0, s3
	v_mul_u32_u24_e32 v1, s0, v1
	s_delay_alu instid0(VALU_DEP_1) | instskip(NEXT) | instid1(VALU_DEP_1)
	v_add3_u32 v0, v1, v43, v0
	v_lshl_add_u32 v0, v0, 4, 0x408
	s_wait_loadcnt 0x0
	v_cmp_ne_u32_e32 vcc_lo, 31, v42
	s_cbranch_vccz .LBB95_208
; %bb.207:
	v_lshlrev_b32_e32 v1, 4, v42
	s_clause 0x1
	scratch_load_b128 v[42:45], off, s15
	scratch_load_b128 v[46:49], v1, off offset:-16
	s_wait_loadcnt 0x1
	ds_store_2addr_b64 v0, v[42:43], v[44:45] offset1:1
	s_wait_loadcnt 0x0
	s_clause 0x1
	scratch_store_b128 off, v[46:49], s15
	scratch_store_b128 v1, v[42:45], off offset:-16
.LBB95_208:
	s_wait_xcnt 0x0
	v_mov_b32_e32 v1, 0
	global_load_b32 v42, v1, s[8:9] offset:116
	s_wait_loadcnt 0x0
	v_cmp_eq_u32_e32 vcc_lo, 30, v42
	s_cbranch_vccnz .LBB95_210
; %bb.209:
	v_lshlrev_b32_e32 v42, 4, v42
	s_delay_alu instid0(VALU_DEP_1)
	v_mov_b32_e32 v50, v42
	s_clause 0x1
	scratch_load_b128 v[42:45], off, s17
	scratch_load_b128 v[46:49], v50, off offset:-16
	s_wait_loadcnt 0x1
	ds_store_2addr_b64 v0, v[42:43], v[44:45] offset1:1
	s_wait_loadcnt 0x0
	s_clause 0x1
	scratch_store_b128 off, v[46:49], s17
	scratch_store_b128 v50, v[42:45], off offset:-16
.LBB95_210:
	global_load_b32 v1, v1, s[8:9] offset:112
	s_wait_loadcnt 0x0
	v_cmp_eq_u32_e32 vcc_lo, 29, v1
	s_cbranch_vccnz .LBB95_212
; %bb.211:
	s_wait_xcnt 0x0
	v_lshlrev_b32_e32 v1, 4, v1
	s_clause 0x1
	scratch_load_b128 v[42:45], off, s19
	scratch_load_b128 v[46:49], v1, off offset:-16
	s_wait_loadcnt 0x1
	ds_store_2addr_b64 v0, v[42:43], v[44:45] offset1:1
	s_wait_loadcnt 0x0
	s_clause 0x1
	scratch_store_b128 off, v[46:49], s19
	scratch_store_b128 v1, v[42:45], off offset:-16
.LBB95_212:
	s_wait_xcnt 0x0
	v_mov_b32_e32 v1, 0
	global_load_b32 v42, v1, s[8:9] offset:108
	s_wait_loadcnt 0x0
	v_cmp_eq_u32_e32 vcc_lo, 28, v42
	s_cbranch_vccnz .LBB95_214
; %bb.213:
	v_lshlrev_b32_e32 v42, 4, v42
	s_delay_alu instid0(VALU_DEP_1)
	v_mov_b32_e32 v50, v42
	s_clause 0x1
	scratch_load_b128 v[42:45], off, s20
	scratch_load_b128 v[46:49], v50, off offset:-16
	s_wait_loadcnt 0x1
	ds_store_2addr_b64 v0, v[42:43], v[44:45] offset1:1
	s_wait_loadcnt 0x0
	s_clause 0x1
	scratch_store_b128 off, v[46:49], s20
	scratch_store_b128 v50, v[42:45], off offset:-16
.LBB95_214:
	global_load_b32 v1, v1, s[8:9] offset:104
	s_wait_loadcnt 0x0
	v_cmp_eq_u32_e32 vcc_lo, 27, v1
	s_cbranch_vccnz .LBB95_216
; %bb.215:
	s_wait_xcnt 0x0
	v_lshlrev_b32_e32 v1, 4, v1
	s_clause 0x1
	scratch_load_b128 v[42:45], off, s21
	scratch_load_b128 v[46:49], v1, off offset:-16
	s_wait_loadcnt 0x1
	ds_store_2addr_b64 v0, v[42:43], v[44:45] offset1:1
	s_wait_loadcnt 0x0
	s_clause 0x1
	scratch_store_b128 off, v[46:49], s21
	scratch_store_b128 v1, v[42:45], off offset:-16
.LBB95_216:
	;; [unrolled: 37-line block ×14, first 2 shown]
	s_wait_xcnt 0x0
	v_mov_b32_e32 v1, 0
	global_load_b32 v42, v1, s[8:9] offset:4
	s_wait_loadcnt 0x0
	v_cmp_eq_u32_e32 vcc_lo, 2, v42
	s_cbranch_vccnz .LBB95_266
; %bb.265:
	v_lshlrev_b32_e32 v42, 4, v42
	s_delay_alu instid0(VALU_DEP_1)
	v_mov_b32_e32 v50, v42
	s_clause 0x1
	scratch_load_b128 v[42:45], off, s18
	scratch_load_b128 v[46:49], v50, off offset:-16
	s_wait_loadcnt 0x1
	ds_store_2addr_b64 v0, v[42:43], v[44:45] offset1:1
	s_wait_loadcnt 0x0
	s_clause 0x1
	scratch_store_b128 off, v[46:49], s18
	scratch_store_b128 v50, v[42:45], off offset:-16
.LBB95_266:
	global_load_b32 v1, v1, s[8:9]
	s_wait_loadcnt 0x0
	v_cmp_eq_u32_e32 vcc_lo, 1, v1
	s_cbranch_vccnz .LBB95_268
; %bb.267:
	s_wait_xcnt 0x0
	v_lshlrev_b32_e32 v1, 4, v1
	scratch_load_b128 v[42:45], off, off
	scratch_load_b128 v[46:49], v1, off offset:-16
	s_wait_loadcnt 0x1
	ds_store_2addr_b64 v0, v[42:43], v[44:45] offset1:1
	s_wait_loadcnt 0x0
	scratch_store_b128 off, v[46:49], off
	scratch_store_b128 v1, v[42:45], off offset:-16
.LBB95_268:
	scratch_load_b128 v[42:45], off, off
	s_wait_loadcnt 0x0
	flat_store_b128 v[14:15], v[42:45]
	scratch_load_b128 v[42:45], off, s18
	s_wait_loadcnt 0x0
	flat_store_b128 v[16:17], v[42:45]
	scratch_load_b128 v[14:17], off, s16
	;; [unrolled: 3-line block ×31, first 2 shown]
	s_wait_loadcnt 0x0
	flat_store_b128 v[2:3], v[4:7]
	s_sendmsg sendmsg(MSG_DEALLOC_VGPRS)
	s_endpgm
	.section	.rodata,"a",@progbits
	.p2align	6, 0x0
	.amdhsa_kernel _ZN9rocsolver6v33100L18getri_kernel_smallILi32E19rocblas_complex_numIdEPKPS3_EEvT1_iilPiilS8_bb
		.amdhsa_group_segment_fixed_size 2056
		.amdhsa_private_segment_fixed_size 528
		.amdhsa_kernarg_size 60
		.amdhsa_user_sgpr_count 4
		.amdhsa_user_sgpr_dispatch_ptr 1
		.amdhsa_user_sgpr_queue_ptr 0
		.amdhsa_user_sgpr_kernarg_segment_ptr 1
		.amdhsa_user_sgpr_dispatch_id 0
		.amdhsa_user_sgpr_kernarg_preload_length 0
		.amdhsa_user_sgpr_kernarg_preload_offset 0
		.amdhsa_user_sgpr_private_segment_size 0
		.amdhsa_wavefront_size32 1
		.amdhsa_uses_dynamic_stack 0
		.amdhsa_enable_private_segment 1
		.amdhsa_system_sgpr_workgroup_id_x 1
		.amdhsa_system_sgpr_workgroup_id_y 0
		.amdhsa_system_sgpr_workgroup_id_z 0
		.amdhsa_system_sgpr_workgroup_info 0
		.amdhsa_system_vgpr_workitem_id 2
		.amdhsa_next_free_vgpr 146
		.amdhsa_next_free_sgpr 58
		.amdhsa_named_barrier_count 0
		.amdhsa_reserve_vcc 1
		.amdhsa_float_round_mode_32 0
		.amdhsa_float_round_mode_16_64 0
		.amdhsa_float_denorm_mode_32 3
		.amdhsa_float_denorm_mode_16_64 3
		.amdhsa_fp16_overflow 0
		.amdhsa_memory_ordered 1
		.amdhsa_forward_progress 1
		.amdhsa_inst_pref_size 255
		.amdhsa_round_robin_scheduling 0
		.amdhsa_exception_fp_ieee_invalid_op 0
		.amdhsa_exception_fp_denorm_src 0
		.amdhsa_exception_fp_ieee_div_zero 0
		.amdhsa_exception_fp_ieee_overflow 0
		.amdhsa_exception_fp_ieee_underflow 0
		.amdhsa_exception_fp_ieee_inexact 0
		.amdhsa_exception_int_div_zero 0
	.end_amdhsa_kernel
	.section	.text._ZN9rocsolver6v33100L18getri_kernel_smallILi32E19rocblas_complex_numIdEPKPS3_EEvT1_iilPiilS8_bb,"axG",@progbits,_ZN9rocsolver6v33100L18getri_kernel_smallILi32E19rocblas_complex_numIdEPKPS3_EEvT1_iilPiilS8_bb,comdat
.Lfunc_end95:
	.size	_ZN9rocsolver6v33100L18getri_kernel_smallILi32E19rocblas_complex_numIdEPKPS3_EEvT1_iilPiilS8_bb, .Lfunc_end95-_ZN9rocsolver6v33100L18getri_kernel_smallILi32E19rocblas_complex_numIdEPKPS3_EEvT1_iilPiilS8_bb
                                        ; -- End function
	.set _ZN9rocsolver6v33100L18getri_kernel_smallILi32E19rocblas_complex_numIdEPKPS3_EEvT1_iilPiilS8_bb.num_vgpr, 146
	.set _ZN9rocsolver6v33100L18getri_kernel_smallILi32E19rocblas_complex_numIdEPKPS3_EEvT1_iilPiilS8_bb.num_agpr, 0
	.set _ZN9rocsolver6v33100L18getri_kernel_smallILi32E19rocblas_complex_numIdEPKPS3_EEvT1_iilPiilS8_bb.numbered_sgpr, 58
	.set _ZN9rocsolver6v33100L18getri_kernel_smallILi32E19rocblas_complex_numIdEPKPS3_EEvT1_iilPiilS8_bb.num_named_barrier, 0
	.set _ZN9rocsolver6v33100L18getri_kernel_smallILi32E19rocblas_complex_numIdEPKPS3_EEvT1_iilPiilS8_bb.private_seg_size, 528
	.set _ZN9rocsolver6v33100L18getri_kernel_smallILi32E19rocblas_complex_numIdEPKPS3_EEvT1_iilPiilS8_bb.uses_vcc, 1
	.set _ZN9rocsolver6v33100L18getri_kernel_smallILi32E19rocblas_complex_numIdEPKPS3_EEvT1_iilPiilS8_bb.uses_flat_scratch, 1
	.set _ZN9rocsolver6v33100L18getri_kernel_smallILi32E19rocblas_complex_numIdEPKPS3_EEvT1_iilPiilS8_bb.has_dyn_sized_stack, 0
	.set _ZN9rocsolver6v33100L18getri_kernel_smallILi32E19rocblas_complex_numIdEPKPS3_EEvT1_iilPiilS8_bb.has_recursion, 0
	.set _ZN9rocsolver6v33100L18getri_kernel_smallILi32E19rocblas_complex_numIdEPKPS3_EEvT1_iilPiilS8_bb.has_indirect_call, 0
	.section	.AMDGPU.csdata,"",@progbits
; Kernel info:
; codeLenInByte = 45872
; TotalNumSgprs: 60
; NumVgprs: 146
; ScratchSize: 528
; MemoryBound: 0
; FloatMode: 240
; IeeeMode: 1
; LDSByteSize: 2056 bytes/workgroup (compile time only)
; SGPRBlocks: 0
; VGPRBlocks: 9
; NumSGPRsForWavesPerEU: 60
; NumVGPRsForWavesPerEU: 146
; NamedBarCnt: 0
; Occupancy: 6
; WaveLimiterHint : 1
; COMPUTE_PGM_RSRC2:SCRATCH_EN: 1
; COMPUTE_PGM_RSRC2:USER_SGPR: 4
; COMPUTE_PGM_RSRC2:TRAP_HANDLER: 0
; COMPUTE_PGM_RSRC2:TGID_X_EN: 1
; COMPUTE_PGM_RSRC2:TGID_Y_EN: 0
; COMPUTE_PGM_RSRC2:TGID_Z_EN: 0
; COMPUTE_PGM_RSRC2:TIDIG_COMP_CNT: 2
	.section	.text._ZN9rocsolver6v33100L18getri_kernel_smallILi33E19rocblas_complex_numIdEPKPS3_EEvT1_iilPiilS8_bb,"axG",@progbits,_ZN9rocsolver6v33100L18getri_kernel_smallILi33E19rocblas_complex_numIdEPKPS3_EEvT1_iilPiilS8_bb,comdat
	.globl	_ZN9rocsolver6v33100L18getri_kernel_smallILi33E19rocblas_complex_numIdEPKPS3_EEvT1_iilPiilS8_bb ; -- Begin function _ZN9rocsolver6v33100L18getri_kernel_smallILi33E19rocblas_complex_numIdEPKPS3_EEvT1_iilPiilS8_bb
	.p2align	8
	.type	_ZN9rocsolver6v33100L18getri_kernel_smallILi33E19rocblas_complex_numIdEPKPS3_EEvT1_iilPiilS8_bb,@function
_ZN9rocsolver6v33100L18getri_kernel_smallILi33E19rocblas_complex_numIdEPKPS3_EEvT1_iilPiilS8_bb: ; @_ZN9rocsolver6v33100L18getri_kernel_smallILi33E19rocblas_complex_numIdEPKPS3_EEvT1_iilPiilS8_bb
; %bb.0:
	v_and_b32_e32 v1, 0x3ff, v0
	s_mov_b32 s4, exec_lo
	s_delay_alu instid0(VALU_DEP_1)
	v_cmpx_gt_u32_e32 33, v1
	s_cbranch_execz .LBB96_146
; %bb.1:
	s_clause 0x1
	s_load_b32 s16, s[2:3], 0x38
	s_load_b64 s[8:9], s[2:3], 0x0
	s_getreg_b32 s6, hwreg(HW_REG_IB_STS2, 6, 4)
	s_wait_kmcnt 0x0
	s_bitcmp1_b32 s16, 8
	s_cselect_b32 s45, -1, 0
	s_bfe_u32 s4, ttmp6, 0x4000c
	s_and_b32 s5, ttmp6, 15
	s_add_co_i32 s4, s4, 1
	s_delay_alu instid0(SALU_CYCLE_1) | instskip(NEXT) | instid1(SALU_CYCLE_1)
	s_mul_i32 s4, ttmp9, s4
	s_add_co_i32 s5, s5, s4
	s_cmp_eq_u32 s6, 0
	s_cselect_b32 s10, ttmp9, s5
	s_load_b128 s[4:7], s[2:3], 0x28
	s_ashr_i32 s11, s10, 31
	s_delay_alu instid0(SALU_CYCLE_1) | instskip(NEXT) | instid1(SALU_CYCLE_1)
	s_lshl_b64 s[12:13], s[10:11], 3
	s_add_nc_u64 s[8:9], s[8:9], s[12:13]
	s_load_b64 s[14:15], s[8:9], 0x0
	s_wait_xcnt 0x0
	s_bfe_u32 s8, s16, 0x10008
	s_delay_alu instid0(SALU_CYCLE_1)
	s_cmp_eq_u32 s8, 0
                                        ; implicit-def: $sgpr8_sgpr9
	s_cbranch_scc1 .LBB96_3
; %bb.2:
	s_load_b96 s[16:18], s[2:3], 0x18
	s_wait_kmcnt 0x0
	s_mul_u64 s[4:5], s[4:5], s[10:11]
	s_delay_alu instid0(SALU_CYCLE_1) | instskip(SKIP_4) | instid1(SALU_CYCLE_1)
	s_lshl_b64 s[4:5], s[4:5], 2
	s_ashr_i32 s9, s18, 31
	s_mov_b32 s8, s18
	s_add_nc_u64 s[4:5], s[16:17], s[4:5]
	s_lshl_b64 s[8:9], s[8:9], 2
	s_add_nc_u64 s[8:9], s[4:5], s[8:9]
.LBB96_3:
	s_clause 0x1
	s_load_b64 s[12:13], s[2:3], 0x8
	s_load_b32 s46, s[2:3], 0x38
	v_dual_mov_b32 v81, 0 :: v_dual_lshlrev_b32 v80, 4, v1
	s_movk_i32 s47, 0x140
	s_movk_i32 s48, 0x150
	;; [unrolled: 1-line block ×13, first 2 shown]
	s_mov_b32 s18, 16
	s_mov_b32 s16, 32
	s_movk_i32 s44, 0x50
	s_wait_kmcnt 0x0
	s_ashr_i32 s3, s12, 31
	s_mov_b32 s2, s12
	v_add3_u32 v20, s13, s13, v1
	s_lshl_b64 s[2:3], s[2:3], 4
	s_mov_b32 s12, 64
	s_add_nc_u64 s[4:5], s[14:15], s[2:3]
	s_ashr_i32 s3, s13, 31
	flat_load_b128 v[2:5], v1, s[4:5] scale_offset
	v_add_nc_u64_e32 v[14:15], s[4:5], v[80:81]
	s_mov_b32 s2, s13
	v_add_nc_u32_e32 v18, s13, v20
	s_mov_b32 s14, 48
	s_movk_i32 s43, 0x60
	s_movk_i32 s42, 0x70
	;; [unrolled: 1-line block ×3, first 2 shown]
	v_lshl_add_u64 v[16:17], s[2:3], 4, v[14:15]
	v_add_nc_u32_e32 v22, s13, v18
	s_movk_i32 s40, 0x90
	s_movk_i32 s39, 0xa0
	;; [unrolled: 1-line block ×4, first 2 shown]
	v_add_nc_u32_e32 v24, s13, v22
	s_movk_i32 s36, 0xd0
	s_movk_i32 s35, 0xe0
	;; [unrolled: 1-line block ×4, first 2 shown]
	v_add_nc_u32_e32 v26, s13, v24
	s_movk_i32 s31, 0x110
	s_movk_i32 s30, 0x120
	;; [unrolled: 1-line block ×3, first 2 shown]
	s_mov_b32 s28, s47
	v_add_nc_u32_e32 v28, s13, v26
	s_mov_b32 s27, s48
	s_mov_b32 s26, s49
	s_mov_b32 s25, s50
	s_mov_b32 s24, s51
	v_add_nc_u32_e32 v30, s13, v28
	s_mov_b32 s23, s52
	s_mov_b32 s22, s53
	s_mov_b32 s21, s54
	;; [unrolled: 5-line block ×3, first 2 shown]
	s_bitcmp0_b32 s46, 0
	v_add_nc_u32_e32 v34, s13, v32
	s_mov_b32 s3, -1
	s_delay_alu instid0(VALU_DEP_1) | instskip(NEXT) | instid1(VALU_DEP_1)
	v_add_nc_u32_e32 v36, s13, v34
	v_add_nc_u32_e32 v38, s13, v36
	s_delay_alu instid0(VALU_DEP_1) | instskip(NEXT) | instid1(VALU_DEP_1)
	v_add_nc_u32_e32 v40, s13, v38
	v_add_nc_u32_e32 v42, s13, v40
	;; [unrolled: 3-line block ×11, first 2 shown]
	s_mov_b32 s13, s59
	s_wait_loadcnt_dscnt 0x0
	scratch_store_b128 off, v[2:5], off
	flat_load_b128 v[2:5], v[16:17]
	s_wait_loadcnt_dscnt 0x0
	scratch_store_b128 off, v[2:5], off offset:16
	flat_load_b128 v[2:5], v20, s[4:5] scale_offset
	s_wait_loadcnt_dscnt 0x0
	scratch_store_b128 off, v[2:5], off offset:32
	flat_load_b128 v[2:5], v18, s[4:5] scale_offset
	;; [unrolled: 3-line block ×31, first 2 shown]
	s_wait_loadcnt_dscnt 0x0
	scratch_store_b128 off, v[2:5], off offset:512
	s_cbranch_scc1 .LBB96_144
; %bb.4:
	v_cmp_eq_u32_e64 s2, 0, v1
	s_wait_xcnt 0x0
	s_and_saveexec_b32 s3, s2
; %bb.5:
	v_mov_b32_e32 v2, 0
	ds_store_b32 v2, v2 offset:1056
; %bb.6:
	s_or_b32 exec_lo, exec_lo, s3
	s_wait_storecnt_dscnt 0x0
	s_barrier_signal -1
	s_barrier_wait -1
	scratch_load_b128 v[2:5], v1, off scale_offset
	s_wait_loadcnt 0x0
	v_cmp_eq_f64_e32 vcc_lo, 0, v[2:3]
	v_cmp_eq_f64_e64 s3, 0, v[4:5]
	s_and_b32 s3, vcc_lo, s3
	s_delay_alu instid0(SALU_CYCLE_1)
	s_and_saveexec_b32 s46, s3
	s_cbranch_execz .LBB96_10
; %bb.7:
	v_mov_b32_e32 v2, 0
	s_mov_b32 s47, 0
	ds_load_b32 v3, v2 offset:1056
	s_wait_dscnt 0x0
	v_readfirstlane_b32 s3, v3
	v_add_nc_u32_e32 v3, 1, v1
	s_cmp_eq_u32 s3, 0
	s_delay_alu instid0(VALU_DEP_1) | instskip(SKIP_1) | instid1(SALU_CYCLE_1)
	v_cmp_gt_i32_e32 vcc_lo, s3, v3
	s_cselect_b32 s48, -1, 0
	s_or_b32 s48, s48, vcc_lo
	s_delay_alu instid0(SALU_CYCLE_1)
	s_and_b32 exec_lo, exec_lo, s48
	s_cbranch_execz .LBB96_10
; %bb.8:
	v_mov_b32_e32 v4, s3
.LBB96_9:                               ; =>This Inner Loop Header: Depth=1
	ds_cmpstore_rtn_b32 v4, v2, v3, v4 offset:1056
	s_wait_dscnt 0x0
	v_cmp_ne_u32_e32 vcc_lo, 0, v4
	v_cmp_le_i32_e64 s3, v4, v3
	s_and_b32 s3, vcc_lo, s3
	s_delay_alu instid0(SALU_CYCLE_1) | instskip(NEXT) | instid1(SALU_CYCLE_1)
	s_and_b32 s3, exec_lo, s3
	s_or_b32 s47, s3, s47
	s_delay_alu instid0(SALU_CYCLE_1)
	s_and_not1_b32 exec_lo, exec_lo, s47
	s_cbranch_execnz .LBB96_9
.LBB96_10:
	s_or_b32 exec_lo, exec_lo, s46
	v_mov_b32_e32 v2, 0
	s_barrier_signal -1
	s_barrier_wait -1
	ds_load_b32 v3, v2 offset:1056
	s_and_saveexec_b32 s3, s2
	s_cbranch_execz .LBB96_12
; %bb.11:
	s_lshl_b64 s[46:47], s[10:11], 2
	s_delay_alu instid0(SALU_CYCLE_1)
	s_add_nc_u64 s[46:47], s[6:7], s[46:47]
	s_wait_dscnt 0x0
	global_store_b32 v2, v3, s[46:47]
.LBB96_12:
	s_wait_xcnt 0x0
	s_or_b32 exec_lo, exec_lo, s3
	s_wait_dscnt 0x0
	v_cmp_ne_u32_e32 vcc_lo, 0, v3
	s_mov_b32 s3, 0
	s_cbranch_vccnz .LBB96_144
; %bb.13:
	v_lshl_add_u32 v19, v1, 4, 0
                                        ; implicit-def: $vgpr6_vgpr7
                                        ; implicit-def: $vgpr10_vgpr11
	scratch_load_b128 v[2:5], v19, off
	s_wait_loadcnt 0x0
	v_cmp_ngt_f64_e64 s3, |v[2:3]|, |v[4:5]|
	s_wait_xcnt 0x0
	s_and_saveexec_b32 s46, s3
	s_delay_alu instid0(SALU_CYCLE_1)
	s_xor_b32 s3, exec_lo, s46
	s_cbranch_execz .LBB96_15
; %bb.14:
	v_div_scale_f64 v[6:7], null, v[4:5], v[4:5], v[2:3]
	v_div_scale_f64 v[12:13], vcc_lo, v[2:3], v[4:5], v[2:3]
	s_delay_alu instid0(VALU_DEP_2) | instskip(SKIP_1) | instid1(TRANS32_DEP_1)
	v_rcp_f64_e32 v[8:9], v[6:7]
	v_nop
	v_fma_f64 v[10:11], -v[6:7], v[8:9], 1.0
	s_delay_alu instid0(VALU_DEP_1) | instskip(NEXT) | instid1(VALU_DEP_1)
	v_fmac_f64_e32 v[8:9], v[8:9], v[10:11]
	v_fma_f64 v[10:11], -v[6:7], v[8:9], 1.0
	s_delay_alu instid0(VALU_DEP_1) | instskip(NEXT) | instid1(VALU_DEP_1)
	v_fmac_f64_e32 v[8:9], v[8:9], v[10:11]
	v_mul_f64_e32 v[10:11], v[12:13], v[8:9]
	s_delay_alu instid0(VALU_DEP_1) | instskip(NEXT) | instid1(VALU_DEP_1)
	v_fma_f64 v[6:7], -v[6:7], v[10:11], v[12:13]
	v_div_fmas_f64 v[6:7], v[6:7], v[8:9], v[10:11]
	s_delay_alu instid0(VALU_DEP_1) | instskip(NEXT) | instid1(VALU_DEP_1)
	v_div_fixup_f64 v[6:7], v[6:7], v[4:5], v[2:3]
	v_fmac_f64_e32 v[4:5], v[2:3], v[6:7]
	s_delay_alu instid0(VALU_DEP_1) | instskip(SKIP_1) | instid1(VALU_DEP_2)
	v_div_scale_f64 v[2:3], null, v[4:5], v[4:5], 1.0
	v_div_scale_f64 v[12:13], vcc_lo, 1.0, v[4:5], 1.0
	v_rcp_f64_e32 v[8:9], v[2:3]
	v_nop
	s_delay_alu instid0(TRANS32_DEP_1) | instskip(NEXT) | instid1(VALU_DEP_1)
	v_fma_f64 v[10:11], -v[2:3], v[8:9], 1.0
	v_fmac_f64_e32 v[8:9], v[8:9], v[10:11]
	s_delay_alu instid0(VALU_DEP_1) | instskip(NEXT) | instid1(VALU_DEP_1)
	v_fma_f64 v[10:11], -v[2:3], v[8:9], 1.0
	v_fmac_f64_e32 v[8:9], v[8:9], v[10:11]
	s_delay_alu instid0(VALU_DEP_1) | instskip(NEXT) | instid1(VALU_DEP_1)
	v_mul_f64_e32 v[10:11], v[12:13], v[8:9]
	v_fma_f64 v[2:3], -v[2:3], v[10:11], v[12:13]
	s_delay_alu instid0(VALU_DEP_1) | instskip(NEXT) | instid1(VALU_DEP_1)
	v_div_fmas_f64 v[2:3], v[2:3], v[8:9], v[10:11]
	v_div_fixup_f64 v[8:9], v[2:3], v[4:5], 1.0
                                        ; implicit-def: $vgpr2_vgpr3
	s_delay_alu instid0(VALU_DEP_1) | instskip(SKIP_1) | instid1(VALU_DEP_2)
	v_mul_f64_e32 v[6:7], v[6:7], v[8:9]
	v_xor_b32_e32 v9, 0x80000000, v9
	v_xor_b32_e32 v11, 0x80000000, v7
	s_delay_alu instid0(VALU_DEP_3)
	v_mov_b32_e32 v10, v6
.LBB96_15:
	s_and_not1_saveexec_b32 s3, s3
	s_cbranch_execz .LBB96_17
; %bb.16:
	v_div_scale_f64 v[6:7], null, v[2:3], v[2:3], v[4:5]
	v_div_scale_f64 v[12:13], vcc_lo, v[4:5], v[2:3], v[4:5]
	s_delay_alu instid0(VALU_DEP_2) | instskip(SKIP_1) | instid1(TRANS32_DEP_1)
	v_rcp_f64_e32 v[8:9], v[6:7]
	v_nop
	v_fma_f64 v[10:11], -v[6:7], v[8:9], 1.0
	s_delay_alu instid0(VALU_DEP_1) | instskip(NEXT) | instid1(VALU_DEP_1)
	v_fmac_f64_e32 v[8:9], v[8:9], v[10:11]
	v_fma_f64 v[10:11], -v[6:7], v[8:9], 1.0
	s_delay_alu instid0(VALU_DEP_1) | instskip(NEXT) | instid1(VALU_DEP_1)
	v_fmac_f64_e32 v[8:9], v[8:9], v[10:11]
	v_mul_f64_e32 v[10:11], v[12:13], v[8:9]
	s_delay_alu instid0(VALU_DEP_1) | instskip(NEXT) | instid1(VALU_DEP_1)
	v_fma_f64 v[6:7], -v[6:7], v[10:11], v[12:13]
	v_div_fmas_f64 v[6:7], v[6:7], v[8:9], v[10:11]
	s_delay_alu instid0(VALU_DEP_1) | instskip(NEXT) | instid1(VALU_DEP_1)
	v_div_fixup_f64 v[8:9], v[6:7], v[2:3], v[4:5]
	v_fmac_f64_e32 v[2:3], v[4:5], v[8:9]
	s_delay_alu instid0(VALU_DEP_1) | instskip(NEXT) | instid1(VALU_DEP_1)
	v_div_scale_f64 v[4:5], null, v[2:3], v[2:3], 1.0
	v_rcp_f64_e32 v[6:7], v[4:5]
	v_nop
	s_delay_alu instid0(TRANS32_DEP_1) | instskip(NEXT) | instid1(VALU_DEP_1)
	v_fma_f64 v[10:11], -v[4:5], v[6:7], 1.0
	v_fmac_f64_e32 v[6:7], v[6:7], v[10:11]
	s_delay_alu instid0(VALU_DEP_1) | instskip(NEXT) | instid1(VALU_DEP_1)
	v_fma_f64 v[10:11], -v[4:5], v[6:7], 1.0
	v_fmac_f64_e32 v[6:7], v[6:7], v[10:11]
	v_div_scale_f64 v[10:11], vcc_lo, 1.0, v[2:3], 1.0
	s_delay_alu instid0(VALU_DEP_1) | instskip(NEXT) | instid1(VALU_DEP_1)
	v_mul_f64_e32 v[12:13], v[10:11], v[6:7]
	v_fma_f64 v[4:5], -v[4:5], v[12:13], v[10:11]
	s_delay_alu instid0(VALU_DEP_1) | instskip(NEXT) | instid1(VALU_DEP_1)
	v_div_fmas_f64 v[4:5], v[4:5], v[6:7], v[12:13]
	v_div_fixup_f64 v[6:7], v[4:5], v[2:3], 1.0
	s_delay_alu instid0(VALU_DEP_1)
	v_mul_f64_e64 v[8:9], v[8:9], -v[6:7]
	v_xor_b32_e32 v11, 0x80000000, v7
	v_mov_b32_e32 v10, v6
.LBB96_17:
	s_or_b32 exec_lo, exec_lo, s3
	s_clause 0x1
	scratch_store_b128 v19, v[6:9], off
	scratch_load_b128 v[2:5], off, s18
	v_xor_b32_e32 v13, 0x80000000, v9
	v_mov_b32_e32 v12, v8
	s_wait_xcnt 0x1
	v_add_nc_u32_e32 v6, 0x210, v80
	ds_store_b128 v80, v[10:13]
	s_wait_loadcnt 0x0
	ds_store_b128 v80, v[2:5] offset:528
	s_wait_storecnt_dscnt 0x0
	s_barrier_signal -1
	s_barrier_wait -1
	s_wait_xcnt 0x0
	s_and_saveexec_b32 s3, s2
	s_cbranch_execz .LBB96_19
; %bb.18:
	scratch_load_b128 v[2:5], v19, off
	ds_load_b128 v[8:11], v6
	v_mov_b32_e32 v7, 0
	ds_load_b128 v[82:85], v7 offset:16
	s_wait_loadcnt_dscnt 0x1
	v_mul_f64_e32 v[12:13], v[8:9], v[4:5]
	v_mul_f64_e32 v[4:5], v[10:11], v[4:5]
	s_delay_alu instid0(VALU_DEP_2) | instskip(NEXT) | instid1(VALU_DEP_2)
	v_fmac_f64_e32 v[12:13], v[10:11], v[2:3]
	v_fma_f64 v[2:3], v[8:9], v[2:3], -v[4:5]
	s_delay_alu instid0(VALU_DEP_2) | instskip(NEXT) | instid1(VALU_DEP_2)
	v_add_f64_e32 v[8:9], 0, v[12:13]
	v_add_f64_e32 v[2:3], 0, v[2:3]
	s_wait_dscnt 0x0
	s_delay_alu instid0(VALU_DEP_2) | instskip(NEXT) | instid1(VALU_DEP_2)
	v_mul_f64_e32 v[10:11], v[8:9], v[84:85]
	v_mul_f64_e32 v[4:5], v[2:3], v[84:85]
	s_delay_alu instid0(VALU_DEP_2) | instskip(NEXT) | instid1(VALU_DEP_2)
	v_fma_f64 v[2:3], v[2:3], v[82:83], -v[10:11]
	v_fmac_f64_e32 v[4:5], v[8:9], v[82:83]
	scratch_store_b128 off, v[2:5], off offset:16
.LBB96_19:
	s_wait_xcnt 0x0
	s_or_b32 exec_lo, exec_lo, s3
	s_wait_storecnt 0x0
	s_barrier_signal -1
	s_barrier_wait -1
	scratch_load_b128 v[2:5], off, s16
	s_mov_b32 s3, exec_lo
	s_wait_loadcnt 0x0
	ds_store_b128 v6, v[2:5]
	s_wait_dscnt 0x0
	s_barrier_signal -1
	s_barrier_wait -1
	v_cmpx_gt_u32_e32 2, v1
	s_cbranch_execz .LBB96_23
; %bb.20:
	scratch_load_b128 v[2:5], v19, off
	ds_load_b128 v[8:11], v6
	s_wait_loadcnt_dscnt 0x0
	v_mul_f64_e32 v[12:13], v[10:11], v[4:5]
	v_mul_f64_e32 v[82:83], v[8:9], v[4:5]
	s_delay_alu instid0(VALU_DEP_2) | instskip(NEXT) | instid1(VALU_DEP_2)
	v_fma_f64 v[4:5], v[8:9], v[2:3], -v[12:13]
	v_fmac_f64_e32 v[82:83], v[10:11], v[2:3]
	s_delay_alu instid0(VALU_DEP_2) | instskip(NEXT) | instid1(VALU_DEP_2)
	v_add_f64_e32 v[4:5], 0, v[4:5]
	v_add_f64_e32 v[2:3], 0, v[82:83]
	s_and_saveexec_b32 s46, s2
	s_cbranch_execz .LBB96_22
; %bb.21:
	scratch_load_b128 v[8:11], off, off offset:16
	v_mov_b32_e32 v7, 0
	ds_load_b128 v[82:85], v7 offset:544
	s_wait_loadcnt_dscnt 0x0
	v_mul_f64_e32 v[12:13], v[82:83], v[10:11]
	v_mul_f64_e32 v[10:11], v[84:85], v[10:11]
	s_delay_alu instid0(VALU_DEP_2) | instskip(NEXT) | instid1(VALU_DEP_2)
	v_fmac_f64_e32 v[12:13], v[84:85], v[8:9]
	v_fma_f64 v[8:9], v[82:83], v[8:9], -v[10:11]
	s_delay_alu instid0(VALU_DEP_2) | instskip(NEXT) | instid1(VALU_DEP_2)
	v_add_f64_e32 v[2:3], v[2:3], v[12:13]
	v_add_f64_e32 v[4:5], v[4:5], v[8:9]
.LBB96_22:
	s_or_b32 exec_lo, exec_lo, s46
	v_mov_b32_e32 v7, 0
	ds_load_b128 v[8:11], v7 offset:32
	s_wait_dscnt 0x0
	v_mul_f64_e32 v[82:83], v[2:3], v[10:11]
	v_mul_f64_e32 v[12:13], v[4:5], v[10:11]
	s_delay_alu instid0(VALU_DEP_2) | instskip(NEXT) | instid1(VALU_DEP_2)
	v_fma_f64 v[10:11], v[4:5], v[8:9], -v[82:83]
	v_fmac_f64_e32 v[12:13], v[2:3], v[8:9]
	scratch_store_b128 off, v[10:13], off offset:32
.LBB96_23:
	s_wait_xcnt 0x0
	s_or_b32 exec_lo, exec_lo, s3
	s_wait_storecnt 0x0
	s_barrier_signal -1
	s_barrier_wait -1
	scratch_load_b128 v[2:5], off, s14
	v_add_nc_u32_e32 v7, -1, v1
	s_mov_b32 s2, exec_lo
	s_wait_loadcnt 0x0
	ds_store_b128 v6, v[2:5]
	s_wait_dscnt 0x0
	s_barrier_signal -1
	s_barrier_wait -1
	v_cmpx_gt_u32_e32 3, v1
	s_cbranch_execz .LBB96_27
; %bb.24:
	v_dual_mov_b32 v10, v80 :: v_dual_add_nc_u32 v8, -1, v1
	v_mov_b64_e32 v[2:3], 0
	v_mov_b64_e32 v[4:5], 0
	v_add_nc_u32_e32 v9, 0x210, v80
	s_delay_alu instid0(VALU_DEP_4)
	v_or_b32_e32 v10, 8, v10
	s_mov_b32 s3, 0
.LBB96_25:                              ; =>This Inner Loop Header: Depth=1
	scratch_load_b128 v[82:85], v10, off offset:-8
	ds_load_b128 v[86:89], v9
	s_wait_xcnt 0x0
	v_dual_add_nc_u32 v9, 16, v9 :: v_dual_add_nc_u32 v10, 16, v10
	v_add_nc_u32_e32 v8, 1, v8
	s_delay_alu instid0(VALU_DEP_1) | instskip(SKIP_4) | instid1(VALU_DEP_2)
	v_cmp_lt_u32_e32 vcc_lo, 1, v8
	s_or_b32 s3, vcc_lo, s3
	s_wait_loadcnt_dscnt 0x0
	v_mul_f64_e32 v[12:13], v[88:89], v[84:85]
	v_mul_f64_e32 v[84:85], v[86:87], v[84:85]
	v_fma_f64 v[12:13], v[86:87], v[82:83], -v[12:13]
	s_delay_alu instid0(VALU_DEP_2) | instskip(NEXT) | instid1(VALU_DEP_2)
	v_fmac_f64_e32 v[84:85], v[88:89], v[82:83]
	v_add_f64_e32 v[4:5], v[4:5], v[12:13]
	s_delay_alu instid0(VALU_DEP_2)
	v_add_f64_e32 v[2:3], v[2:3], v[84:85]
	s_and_not1_b32 exec_lo, exec_lo, s3
	s_cbranch_execnz .LBB96_25
; %bb.26:
	s_or_b32 exec_lo, exec_lo, s3
	v_mov_b32_e32 v8, 0
	ds_load_b128 v[8:11], v8 offset:48
	s_wait_dscnt 0x0
	v_mul_f64_e32 v[82:83], v[2:3], v[10:11]
	v_mul_f64_e32 v[12:13], v[4:5], v[10:11]
	s_delay_alu instid0(VALU_DEP_2) | instskip(NEXT) | instid1(VALU_DEP_2)
	v_fma_f64 v[10:11], v[4:5], v[8:9], -v[82:83]
	v_fmac_f64_e32 v[12:13], v[2:3], v[8:9]
	scratch_store_b128 off, v[10:13], off offset:48
.LBB96_27:
	s_wait_xcnt 0x0
	s_or_b32 exec_lo, exec_lo, s2
	s_wait_storecnt 0x0
	s_barrier_signal -1
	s_barrier_wait -1
	scratch_load_b128 v[2:5], off, s12
	s_mov_b32 s2, exec_lo
	s_wait_loadcnt 0x0
	ds_store_b128 v6, v[2:5]
	s_wait_dscnt 0x0
	s_barrier_signal -1
	s_barrier_wait -1
	v_cmpx_gt_u32_e32 4, v1
	s_cbranch_execz .LBB96_31
; %bb.28:
	v_dual_mov_b32 v10, v80 :: v_dual_add_nc_u32 v8, -1, v1
	v_mov_b64_e32 v[2:3], 0
	v_mov_b64_e32 v[4:5], 0
	v_add_nc_u32_e32 v9, 0x210, v80
	s_delay_alu instid0(VALU_DEP_4)
	v_or_b32_e32 v10, 8, v10
	s_mov_b32 s3, 0
.LBB96_29:                              ; =>This Inner Loop Header: Depth=1
	scratch_load_b128 v[82:85], v10, off offset:-8
	ds_load_b128 v[86:89], v9
	s_wait_xcnt 0x0
	v_dual_add_nc_u32 v9, 16, v9 :: v_dual_add_nc_u32 v10, 16, v10
	v_add_nc_u32_e32 v8, 1, v8
	s_delay_alu instid0(VALU_DEP_1) | instskip(SKIP_4) | instid1(VALU_DEP_2)
	v_cmp_lt_u32_e32 vcc_lo, 2, v8
	s_or_b32 s3, vcc_lo, s3
	s_wait_loadcnt_dscnt 0x0
	v_mul_f64_e32 v[12:13], v[88:89], v[84:85]
	v_mul_f64_e32 v[84:85], v[86:87], v[84:85]
	v_fma_f64 v[12:13], v[86:87], v[82:83], -v[12:13]
	s_delay_alu instid0(VALU_DEP_2) | instskip(NEXT) | instid1(VALU_DEP_2)
	v_fmac_f64_e32 v[84:85], v[88:89], v[82:83]
	v_add_f64_e32 v[4:5], v[4:5], v[12:13]
	s_delay_alu instid0(VALU_DEP_2)
	v_add_f64_e32 v[2:3], v[2:3], v[84:85]
	s_and_not1_b32 exec_lo, exec_lo, s3
	s_cbranch_execnz .LBB96_29
; %bb.30:
	s_or_b32 exec_lo, exec_lo, s3
	v_mov_b32_e32 v8, 0
	ds_load_b128 v[8:11], v8 offset:64
	s_wait_dscnt 0x0
	v_mul_f64_e32 v[82:83], v[2:3], v[10:11]
	v_mul_f64_e32 v[12:13], v[4:5], v[10:11]
	s_delay_alu instid0(VALU_DEP_2) | instskip(NEXT) | instid1(VALU_DEP_2)
	v_fma_f64 v[10:11], v[4:5], v[8:9], -v[82:83]
	v_fmac_f64_e32 v[12:13], v[2:3], v[8:9]
	scratch_store_b128 off, v[10:13], off offset:64
.LBB96_31:
	s_wait_xcnt 0x0
	s_or_b32 exec_lo, exec_lo, s2
	s_wait_storecnt 0x0
	s_barrier_signal -1
	s_barrier_wait -1
	scratch_load_b128 v[2:5], off, s44
	s_mov_b32 s2, exec_lo
	s_wait_loadcnt 0x0
	ds_store_b128 v6, v[2:5]
	s_wait_dscnt 0x0
	s_barrier_signal -1
	s_barrier_wait -1
	v_cmpx_gt_u32_e32 5, v1
	s_cbranch_execz .LBB96_35
; %bb.32:
	v_dual_mov_b32 v10, v80 :: v_dual_add_nc_u32 v8, -1, v1
	v_mov_b64_e32 v[2:3], 0
	v_mov_b64_e32 v[4:5], 0
	v_add_nc_u32_e32 v9, 0x210, v80
	s_delay_alu instid0(VALU_DEP_4)
	v_or_b32_e32 v10, 8, v10
	s_mov_b32 s3, 0
.LBB96_33:                              ; =>This Inner Loop Header: Depth=1
	scratch_load_b128 v[82:85], v10, off offset:-8
	ds_load_b128 v[86:89], v9
	s_wait_xcnt 0x0
	v_dual_add_nc_u32 v9, 16, v9 :: v_dual_add_nc_u32 v10, 16, v10
	v_add_nc_u32_e32 v8, 1, v8
	s_delay_alu instid0(VALU_DEP_1) | instskip(SKIP_4) | instid1(VALU_DEP_2)
	v_cmp_lt_u32_e32 vcc_lo, 3, v8
	s_or_b32 s3, vcc_lo, s3
	s_wait_loadcnt_dscnt 0x0
	v_mul_f64_e32 v[12:13], v[88:89], v[84:85]
	v_mul_f64_e32 v[84:85], v[86:87], v[84:85]
	v_fma_f64 v[12:13], v[86:87], v[82:83], -v[12:13]
	s_delay_alu instid0(VALU_DEP_2) | instskip(NEXT) | instid1(VALU_DEP_2)
	v_fmac_f64_e32 v[84:85], v[88:89], v[82:83]
	v_add_f64_e32 v[4:5], v[4:5], v[12:13]
	s_delay_alu instid0(VALU_DEP_2)
	v_add_f64_e32 v[2:3], v[2:3], v[84:85]
	s_and_not1_b32 exec_lo, exec_lo, s3
	s_cbranch_execnz .LBB96_33
; %bb.34:
	s_or_b32 exec_lo, exec_lo, s3
	v_mov_b32_e32 v8, 0
	ds_load_b128 v[8:11], v8 offset:80
	s_wait_dscnt 0x0
	v_mul_f64_e32 v[82:83], v[2:3], v[10:11]
	v_mul_f64_e32 v[12:13], v[4:5], v[10:11]
	s_delay_alu instid0(VALU_DEP_2) | instskip(NEXT) | instid1(VALU_DEP_2)
	v_fma_f64 v[10:11], v[4:5], v[8:9], -v[82:83]
	v_fmac_f64_e32 v[12:13], v[2:3], v[8:9]
	scratch_store_b128 off, v[10:13], off offset:80
.LBB96_35:
	s_wait_xcnt 0x0
	s_or_b32 exec_lo, exec_lo, s2
	s_wait_storecnt 0x0
	s_barrier_signal -1
	s_barrier_wait -1
	scratch_load_b128 v[2:5], off, s43
	s_mov_b32 s2, exec_lo
	s_wait_loadcnt 0x0
	ds_store_b128 v6, v[2:5]
	s_wait_dscnt 0x0
	s_barrier_signal -1
	s_barrier_wait -1
	v_cmpx_gt_u32_e32 6, v1
	s_cbranch_execz .LBB96_39
; %bb.36:
	v_dual_mov_b32 v10, v80 :: v_dual_add_nc_u32 v8, -1, v1
	v_mov_b64_e32 v[2:3], 0
	v_mov_b64_e32 v[4:5], 0
	v_add_nc_u32_e32 v9, 0x210, v80
	s_delay_alu instid0(VALU_DEP_4)
	v_or_b32_e32 v10, 8, v10
	s_mov_b32 s3, 0
.LBB96_37:                              ; =>This Inner Loop Header: Depth=1
	scratch_load_b128 v[82:85], v10, off offset:-8
	ds_load_b128 v[86:89], v9
	s_wait_xcnt 0x0
	v_dual_add_nc_u32 v9, 16, v9 :: v_dual_add_nc_u32 v10, 16, v10
	v_add_nc_u32_e32 v8, 1, v8
	s_delay_alu instid0(VALU_DEP_1) | instskip(SKIP_4) | instid1(VALU_DEP_2)
	v_cmp_lt_u32_e32 vcc_lo, 4, v8
	s_or_b32 s3, vcc_lo, s3
	s_wait_loadcnt_dscnt 0x0
	v_mul_f64_e32 v[12:13], v[88:89], v[84:85]
	v_mul_f64_e32 v[84:85], v[86:87], v[84:85]
	v_fma_f64 v[12:13], v[86:87], v[82:83], -v[12:13]
	s_delay_alu instid0(VALU_DEP_2) | instskip(NEXT) | instid1(VALU_DEP_2)
	v_fmac_f64_e32 v[84:85], v[88:89], v[82:83]
	v_add_f64_e32 v[4:5], v[4:5], v[12:13]
	s_delay_alu instid0(VALU_DEP_2)
	v_add_f64_e32 v[2:3], v[2:3], v[84:85]
	s_and_not1_b32 exec_lo, exec_lo, s3
	s_cbranch_execnz .LBB96_37
; %bb.38:
	s_or_b32 exec_lo, exec_lo, s3
	v_mov_b32_e32 v8, 0
	ds_load_b128 v[8:11], v8 offset:96
	s_wait_dscnt 0x0
	v_mul_f64_e32 v[82:83], v[2:3], v[10:11]
	v_mul_f64_e32 v[12:13], v[4:5], v[10:11]
	s_delay_alu instid0(VALU_DEP_2) | instskip(NEXT) | instid1(VALU_DEP_2)
	v_fma_f64 v[10:11], v[4:5], v[8:9], -v[82:83]
	v_fmac_f64_e32 v[12:13], v[2:3], v[8:9]
	scratch_store_b128 off, v[10:13], off offset:96
.LBB96_39:
	s_wait_xcnt 0x0
	s_or_b32 exec_lo, exec_lo, s2
	s_wait_storecnt 0x0
	s_barrier_signal -1
	s_barrier_wait -1
	scratch_load_b128 v[2:5], off, s42
	s_mov_b32 s2, exec_lo
	s_wait_loadcnt 0x0
	ds_store_b128 v6, v[2:5]
	s_wait_dscnt 0x0
	s_barrier_signal -1
	s_barrier_wait -1
	v_cmpx_gt_u32_e32 7, v1
	s_cbranch_execz .LBB96_43
; %bb.40:
	v_dual_mov_b32 v10, v80 :: v_dual_add_nc_u32 v8, -1, v1
	v_mov_b64_e32 v[2:3], 0
	v_mov_b64_e32 v[4:5], 0
	v_add_nc_u32_e32 v9, 0x210, v80
	s_delay_alu instid0(VALU_DEP_4)
	v_or_b32_e32 v10, 8, v10
	s_mov_b32 s3, 0
.LBB96_41:                              ; =>This Inner Loop Header: Depth=1
	scratch_load_b128 v[82:85], v10, off offset:-8
	ds_load_b128 v[86:89], v9
	s_wait_xcnt 0x0
	v_dual_add_nc_u32 v9, 16, v9 :: v_dual_add_nc_u32 v10, 16, v10
	v_add_nc_u32_e32 v8, 1, v8
	s_delay_alu instid0(VALU_DEP_1) | instskip(SKIP_4) | instid1(VALU_DEP_2)
	v_cmp_lt_u32_e32 vcc_lo, 5, v8
	s_or_b32 s3, vcc_lo, s3
	s_wait_loadcnt_dscnt 0x0
	v_mul_f64_e32 v[12:13], v[88:89], v[84:85]
	v_mul_f64_e32 v[84:85], v[86:87], v[84:85]
	v_fma_f64 v[12:13], v[86:87], v[82:83], -v[12:13]
	s_delay_alu instid0(VALU_DEP_2) | instskip(NEXT) | instid1(VALU_DEP_2)
	v_fmac_f64_e32 v[84:85], v[88:89], v[82:83]
	v_add_f64_e32 v[4:5], v[4:5], v[12:13]
	s_delay_alu instid0(VALU_DEP_2)
	v_add_f64_e32 v[2:3], v[2:3], v[84:85]
	s_and_not1_b32 exec_lo, exec_lo, s3
	s_cbranch_execnz .LBB96_41
; %bb.42:
	s_or_b32 exec_lo, exec_lo, s3
	v_mov_b32_e32 v8, 0
	ds_load_b128 v[8:11], v8 offset:112
	s_wait_dscnt 0x0
	v_mul_f64_e32 v[82:83], v[2:3], v[10:11]
	v_mul_f64_e32 v[12:13], v[4:5], v[10:11]
	s_delay_alu instid0(VALU_DEP_2) | instskip(NEXT) | instid1(VALU_DEP_2)
	v_fma_f64 v[10:11], v[4:5], v[8:9], -v[82:83]
	v_fmac_f64_e32 v[12:13], v[2:3], v[8:9]
	scratch_store_b128 off, v[10:13], off offset:112
.LBB96_43:
	s_wait_xcnt 0x0
	s_or_b32 exec_lo, exec_lo, s2
	s_wait_storecnt 0x0
	s_barrier_signal -1
	s_barrier_wait -1
	scratch_load_b128 v[2:5], off, s41
	s_mov_b32 s2, exec_lo
	s_wait_loadcnt 0x0
	ds_store_b128 v6, v[2:5]
	s_wait_dscnt 0x0
	s_barrier_signal -1
	s_barrier_wait -1
	v_cmpx_gt_u32_e32 8, v1
	s_cbranch_execz .LBB96_47
; %bb.44:
	v_dual_mov_b32 v10, v80 :: v_dual_add_nc_u32 v8, -1, v1
	v_mov_b64_e32 v[2:3], 0
	v_mov_b64_e32 v[4:5], 0
	v_add_nc_u32_e32 v9, 0x210, v80
	s_delay_alu instid0(VALU_DEP_4)
	v_or_b32_e32 v10, 8, v10
	s_mov_b32 s3, 0
.LBB96_45:                              ; =>This Inner Loop Header: Depth=1
	scratch_load_b128 v[82:85], v10, off offset:-8
	ds_load_b128 v[86:89], v9
	s_wait_xcnt 0x0
	v_dual_add_nc_u32 v9, 16, v9 :: v_dual_add_nc_u32 v10, 16, v10
	v_add_nc_u32_e32 v8, 1, v8
	s_delay_alu instid0(VALU_DEP_1) | instskip(SKIP_4) | instid1(VALU_DEP_2)
	v_cmp_lt_u32_e32 vcc_lo, 6, v8
	s_or_b32 s3, vcc_lo, s3
	s_wait_loadcnt_dscnt 0x0
	v_mul_f64_e32 v[12:13], v[88:89], v[84:85]
	v_mul_f64_e32 v[84:85], v[86:87], v[84:85]
	v_fma_f64 v[12:13], v[86:87], v[82:83], -v[12:13]
	s_delay_alu instid0(VALU_DEP_2) | instskip(NEXT) | instid1(VALU_DEP_2)
	v_fmac_f64_e32 v[84:85], v[88:89], v[82:83]
	v_add_f64_e32 v[4:5], v[4:5], v[12:13]
	s_delay_alu instid0(VALU_DEP_2)
	v_add_f64_e32 v[2:3], v[2:3], v[84:85]
	s_and_not1_b32 exec_lo, exec_lo, s3
	s_cbranch_execnz .LBB96_45
; %bb.46:
	s_or_b32 exec_lo, exec_lo, s3
	v_mov_b32_e32 v8, 0
	ds_load_b128 v[8:11], v8 offset:128
	s_wait_dscnt 0x0
	v_mul_f64_e32 v[82:83], v[2:3], v[10:11]
	v_mul_f64_e32 v[12:13], v[4:5], v[10:11]
	s_delay_alu instid0(VALU_DEP_2) | instskip(NEXT) | instid1(VALU_DEP_2)
	v_fma_f64 v[10:11], v[4:5], v[8:9], -v[82:83]
	v_fmac_f64_e32 v[12:13], v[2:3], v[8:9]
	scratch_store_b128 off, v[10:13], off offset:128
.LBB96_47:
	s_wait_xcnt 0x0
	s_or_b32 exec_lo, exec_lo, s2
	s_wait_storecnt 0x0
	s_barrier_signal -1
	s_barrier_wait -1
	scratch_load_b128 v[2:5], off, s40
	s_mov_b32 s2, exec_lo
	s_wait_loadcnt 0x0
	ds_store_b128 v6, v[2:5]
	s_wait_dscnt 0x0
	s_barrier_signal -1
	s_barrier_wait -1
	v_cmpx_gt_u32_e32 9, v1
	s_cbranch_execz .LBB96_51
; %bb.48:
	v_dual_mov_b32 v10, v80 :: v_dual_add_nc_u32 v8, -1, v1
	v_mov_b64_e32 v[2:3], 0
	v_mov_b64_e32 v[4:5], 0
	v_add_nc_u32_e32 v9, 0x210, v80
	s_delay_alu instid0(VALU_DEP_4)
	v_or_b32_e32 v10, 8, v10
	s_mov_b32 s3, 0
.LBB96_49:                              ; =>This Inner Loop Header: Depth=1
	scratch_load_b128 v[82:85], v10, off offset:-8
	ds_load_b128 v[86:89], v9
	s_wait_xcnt 0x0
	v_dual_add_nc_u32 v9, 16, v9 :: v_dual_add_nc_u32 v10, 16, v10
	v_add_nc_u32_e32 v8, 1, v8
	s_delay_alu instid0(VALU_DEP_1) | instskip(SKIP_4) | instid1(VALU_DEP_2)
	v_cmp_lt_u32_e32 vcc_lo, 7, v8
	s_or_b32 s3, vcc_lo, s3
	s_wait_loadcnt_dscnt 0x0
	v_mul_f64_e32 v[12:13], v[88:89], v[84:85]
	v_mul_f64_e32 v[84:85], v[86:87], v[84:85]
	v_fma_f64 v[12:13], v[86:87], v[82:83], -v[12:13]
	s_delay_alu instid0(VALU_DEP_2) | instskip(NEXT) | instid1(VALU_DEP_2)
	v_fmac_f64_e32 v[84:85], v[88:89], v[82:83]
	v_add_f64_e32 v[4:5], v[4:5], v[12:13]
	s_delay_alu instid0(VALU_DEP_2)
	v_add_f64_e32 v[2:3], v[2:3], v[84:85]
	s_and_not1_b32 exec_lo, exec_lo, s3
	s_cbranch_execnz .LBB96_49
; %bb.50:
	s_or_b32 exec_lo, exec_lo, s3
	v_mov_b32_e32 v8, 0
	ds_load_b128 v[8:11], v8 offset:144
	s_wait_dscnt 0x0
	v_mul_f64_e32 v[82:83], v[2:3], v[10:11]
	v_mul_f64_e32 v[12:13], v[4:5], v[10:11]
	s_delay_alu instid0(VALU_DEP_2) | instskip(NEXT) | instid1(VALU_DEP_2)
	v_fma_f64 v[10:11], v[4:5], v[8:9], -v[82:83]
	v_fmac_f64_e32 v[12:13], v[2:3], v[8:9]
	scratch_store_b128 off, v[10:13], off offset:144
.LBB96_51:
	s_wait_xcnt 0x0
	s_or_b32 exec_lo, exec_lo, s2
	s_wait_storecnt 0x0
	s_barrier_signal -1
	s_barrier_wait -1
	scratch_load_b128 v[2:5], off, s39
	s_mov_b32 s2, exec_lo
	s_wait_loadcnt 0x0
	ds_store_b128 v6, v[2:5]
	s_wait_dscnt 0x0
	s_barrier_signal -1
	s_barrier_wait -1
	v_cmpx_gt_u32_e32 10, v1
	s_cbranch_execz .LBB96_55
; %bb.52:
	v_dual_mov_b32 v10, v80 :: v_dual_add_nc_u32 v8, -1, v1
	v_mov_b64_e32 v[2:3], 0
	v_mov_b64_e32 v[4:5], 0
	v_add_nc_u32_e32 v9, 0x210, v80
	s_delay_alu instid0(VALU_DEP_4)
	v_or_b32_e32 v10, 8, v10
	s_mov_b32 s3, 0
.LBB96_53:                              ; =>This Inner Loop Header: Depth=1
	scratch_load_b128 v[82:85], v10, off offset:-8
	ds_load_b128 v[86:89], v9
	s_wait_xcnt 0x0
	v_dual_add_nc_u32 v9, 16, v9 :: v_dual_add_nc_u32 v10, 16, v10
	v_add_nc_u32_e32 v8, 1, v8
	s_delay_alu instid0(VALU_DEP_1) | instskip(SKIP_4) | instid1(VALU_DEP_2)
	v_cmp_lt_u32_e32 vcc_lo, 8, v8
	s_or_b32 s3, vcc_lo, s3
	s_wait_loadcnt_dscnt 0x0
	v_mul_f64_e32 v[12:13], v[88:89], v[84:85]
	v_mul_f64_e32 v[84:85], v[86:87], v[84:85]
	v_fma_f64 v[12:13], v[86:87], v[82:83], -v[12:13]
	s_delay_alu instid0(VALU_DEP_2) | instskip(NEXT) | instid1(VALU_DEP_2)
	v_fmac_f64_e32 v[84:85], v[88:89], v[82:83]
	v_add_f64_e32 v[4:5], v[4:5], v[12:13]
	s_delay_alu instid0(VALU_DEP_2)
	v_add_f64_e32 v[2:3], v[2:3], v[84:85]
	s_and_not1_b32 exec_lo, exec_lo, s3
	s_cbranch_execnz .LBB96_53
; %bb.54:
	s_or_b32 exec_lo, exec_lo, s3
	v_mov_b32_e32 v8, 0
	ds_load_b128 v[8:11], v8 offset:160
	s_wait_dscnt 0x0
	v_mul_f64_e32 v[82:83], v[2:3], v[10:11]
	v_mul_f64_e32 v[12:13], v[4:5], v[10:11]
	s_delay_alu instid0(VALU_DEP_2) | instskip(NEXT) | instid1(VALU_DEP_2)
	v_fma_f64 v[10:11], v[4:5], v[8:9], -v[82:83]
	v_fmac_f64_e32 v[12:13], v[2:3], v[8:9]
	scratch_store_b128 off, v[10:13], off offset:160
.LBB96_55:
	s_wait_xcnt 0x0
	s_or_b32 exec_lo, exec_lo, s2
	s_wait_storecnt 0x0
	s_barrier_signal -1
	s_barrier_wait -1
	scratch_load_b128 v[2:5], off, s38
	s_mov_b32 s2, exec_lo
	s_wait_loadcnt 0x0
	ds_store_b128 v6, v[2:5]
	s_wait_dscnt 0x0
	s_barrier_signal -1
	s_barrier_wait -1
	v_cmpx_gt_u32_e32 11, v1
	s_cbranch_execz .LBB96_59
; %bb.56:
	v_dual_mov_b32 v10, v80 :: v_dual_add_nc_u32 v8, -1, v1
	v_mov_b64_e32 v[2:3], 0
	v_mov_b64_e32 v[4:5], 0
	v_add_nc_u32_e32 v9, 0x210, v80
	s_delay_alu instid0(VALU_DEP_4)
	v_or_b32_e32 v10, 8, v10
	s_mov_b32 s3, 0
.LBB96_57:                              ; =>This Inner Loop Header: Depth=1
	scratch_load_b128 v[82:85], v10, off offset:-8
	ds_load_b128 v[86:89], v9
	s_wait_xcnt 0x0
	v_dual_add_nc_u32 v9, 16, v9 :: v_dual_add_nc_u32 v10, 16, v10
	v_add_nc_u32_e32 v8, 1, v8
	s_delay_alu instid0(VALU_DEP_1) | instskip(SKIP_4) | instid1(VALU_DEP_2)
	v_cmp_lt_u32_e32 vcc_lo, 9, v8
	s_or_b32 s3, vcc_lo, s3
	s_wait_loadcnt_dscnt 0x0
	v_mul_f64_e32 v[12:13], v[88:89], v[84:85]
	v_mul_f64_e32 v[84:85], v[86:87], v[84:85]
	v_fma_f64 v[12:13], v[86:87], v[82:83], -v[12:13]
	s_delay_alu instid0(VALU_DEP_2) | instskip(NEXT) | instid1(VALU_DEP_2)
	v_fmac_f64_e32 v[84:85], v[88:89], v[82:83]
	v_add_f64_e32 v[4:5], v[4:5], v[12:13]
	s_delay_alu instid0(VALU_DEP_2)
	v_add_f64_e32 v[2:3], v[2:3], v[84:85]
	s_and_not1_b32 exec_lo, exec_lo, s3
	s_cbranch_execnz .LBB96_57
; %bb.58:
	s_or_b32 exec_lo, exec_lo, s3
	v_mov_b32_e32 v8, 0
	ds_load_b128 v[8:11], v8 offset:176
	s_wait_dscnt 0x0
	v_mul_f64_e32 v[82:83], v[2:3], v[10:11]
	v_mul_f64_e32 v[12:13], v[4:5], v[10:11]
	s_delay_alu instid0(VALU_DEP_2) | instskip(NEXT) | instid1(VALU_DEP_2)
	v_fma_f64 v[10:11], v[4:5], v[8:9], -v[82:83]
	v_fmac_f64_e32 v[12:13], v[2:3], v[8:9]
	scratch_store_b128 off, v[10:13], off offset:176
.LBB96_59:
	s_wait_xcnt 0x0
	s_or_b32 exec_lo, exec_lo, s2
	s_wait_storecnt 0x0
	s_barrier_signal -1
	s_barrier_wait -1
	scratch_load_b128 v[2:5], off, s37
	s_mov_b32 s2, exec_lo
	s_wait_loadcnt 0x0
	ds_store_b128 v6, v[2:5]
	s_wait_dscnt 0x0
	s_barrier_signal -1
	s_barrier_wait -1
	v_cmpx_gt_u32_e32 12, v1
	s_cbranch_execz .LBB96_63
; %bb.60:
	v_dual_mov_b32 v10, v80 :: v_dual_add_nc_u32 v8, -1, v1
	v_mov_b64_e32 v[2:3], 0
	v_mov_b64_e32 v[4:5], 0
	v_add_nc_u32_e32 v9, 0x210, v80
	s_delay_alu instid0(VALU_DEP_4)
	v_or_b32_e32 v10, 8, v10
	s_mov_b32 s3, 0
.LBB96_61:                              ; =>This Inner Loop Header: Depth=1
	scratch_load_b128 v[82:85], v10, off offset:-8
	ds_load_b128 v[86:89], v9
	s_wait_xcnt 0x0
	v_dual_add_nc_u32 v9, 16, v9 :: v_dual_add_nc_u32 v10, 16, v10
	v_add_nc_u32_e32 v8, 1, v8
	s_delay_alu instid0(VALU_DEP_1) | instskip(SKIP_4) | instid1(VALU_DEP_2)
	v_cmp_lt_u32_e32 vcc_lo, 10, v8
	s_or_b32 s3, vcc_lo, s3
	s_wait_loadcnt_dscnt 0x0
	v_mul_f64_e32 v[12:13], v[88:89], v[84:85]
	v_mul_f64_e32 v[84:85], v[86:87], v[84:85]
	v_fma_f64 v[12:13], v[86:87], v[82:83], -v[12:13]
	s_delay_alu instid0(VALU_DEP_2) | instskip(NEXT) | instid1(VALU_DEP_2)
	v_fmac_f64_e32 v[84:85], v[88:89], v[82:83]
	v_add_f64_e32 v[4:5], v[4:5], v[12:13]
	s_delay_alu instid0(VALU_DEP_2)
	v_add_f64_e32 v[2:3], v[2:3], v[84:85]
	s_and_not1_b32 exec_lo, exec_lo, s3
	s_cbranch_execnz .LBB96_61
; %bb.62:
	s_or_b32 exec_lo, exec_lo, s3
	v_mov_b32_e32 v8, 0
	ds_load_b128 v[8:11], v8 offset:192
	s_wait_dscnt 0x0
	v_mul_f64_e32 v[82:83], v[2:3], v[10:11]
	v_mul_f64_e32 v[12:13], v[4:5], v[10:11]
	s_delay_alu instid0(VALU_DEP_2) | instskip(NEXT) | instid1(VALU_DEP_2)
	v_fma_f64 v[10:11], v[4:5], v[8:9], -v[82:83]
	v_fmac_f64_e32 v[12:13], v[2:3], v[8:9]
	scratch_store_b128 off, v[10:13], off offset:192
.LBB96_63:
	s_wait_xcnt 0x0
	s_or_b32 exec_lo, exec_lo, s2
	s_wait_storecnt 0x0
	s_barrier_signal -1
	s_barrier_wait -1
	scratch_load_b128 v[2:5], off, s36
	s_mov_b32 s2, exec_lo
	s_wait_loadcnt 0x0
	ds_store_b128 v6, v[2:5]
	s_wait_dscnt 0x0
	s_barrier_signal -1
	s_barrier_wait -1
	v_cmpx_gt_u32_e32 13, v1
	s_cbranch_execz .LBB96_67
; %bb.64:
	v_dual_mov_b32 v10, v80 :: v_dual_add_nc_u32 v8, -1, v1
	v_mov_b64_e32 v[2:3], 0
	v_mov_b64_e32 v[4:5], 0
	v_add_nc_u32_e32 v9, 0x210, v80
	s_delay_alu instid0(VALU_DEP_4)
	v_or_b32_e32 v10, 8, v10
	s_mov_b32 s3, 0
.LBB96_65:                              ; =>This Inner Loop Header: Depth=1
	scratch_load_b128 v[82:85], v10, off offset:-8
	ds_load_b128 v[86:89], v9
	s_wait_xcnt 0x0
	v_dual_add_nc_u32 v9, 16, v9 :: v_dual_add_nc_u32 v10, 16, v10
	v_add_nc_u32_e32 v8, 1, v8
	s_delay_alu instid0(VALU_DEP_1) | instskip(SKIP_4) | instid1(VALU_DEP_2)
	v_cmp_lt_u32_e32 vcc_lo, 11, v8
	s_or_b32 s3, vcc_lo, s3
	s_wait_loadcnt_dscnt 0x0
	v_mul_f64_e32 v[12:13], v[88:89], v[84:85]
	v_mul_f64_e32 v[84:85], v[86:87], v[84:85]
	v_fma_f64 v[12:13], v[86:87], v[82:83], -v[12:13]
	s_delay_alu instid0(VALU_DEP_2) | instskip(NEXT) | instid1(VALU_DEP_2)
	v_fmac_f64_e32 v[84:85], v[88:89], v[82:83]
	v_add_f64_e32 v[4:5], v[4:5], v[12:13]
	s_delay_alu instid0(VALU_DEP_2)
	v_add_f64_e32 v[2:3], v[2:3], v[84:85]
	s_and_not1_b32 exec_lo, exec_lo, s3
	s_cbranch_execnz .LBB96_65
; %bb.66:
	s_or_b32 exec_lo, exec_lo, s3
	v_mov_b32_e32 v8, 0
	ds_load_b128 v[8:11], v8 offset:208
	s_wait_dscnt 0x0
	v_mul_f64_e32 v[82:83], v[2:3], v[10:11]
	v_mul_f64_e32 v[12:13], v[4:5], v[10:11]
	s_delay_alu instid0(VALU_DEP_2) | instskip(NEXT) | instid1(VALU_DEP_2)
	v_fma_f64 v[10:11], v[4:5], v[8:9], -v[82:83]
	v_fmac_f64_e32 v[12:13], v[2:3], v[8:9]
	scratch_store_b128 off, v[10:13], off offset:208
.LBB96_67:
	s_wait_xcnt 0x0
	s_or_b32 exec_lo, exec_lo, s2
	s_wait_storecnt 0x0
	s_barrier_signal -1
	s_barrier_wait -1
	scratch_load_b128 v[2:5], off, s35
	s_mov_b32 s2, exec_lo
	s_wait_loadcnt 0x0
	ds_store_b128 v6, v[2:5]
	s_wait_dscnt 0x0
	s_barrier_signal -1
	s_barrier_wait -1
	v_cmpx_gt_u32_e32 14, v1
	s_cbranch_execz .LBB96_71
; %bb.68:
	v_dual_mov_b32 v10, v80 :: v_dual_add_nc_u32 v8, -1, v1
	v_mov_b64_e32 v[2:3], 0
	v_mov_b64_e32 v[4:5], 0
	v_add_nc_u32_e32 v9, 0x210, v80
	s_delay_alu instid0(VALU_DEP_4)
	v_or_b32_e32 v10, 8, v10
	s_mov_b32 s3, 0
.LBB96_69:                              ; =>This Inner Loop Header: Depth=1
	scratch_load_b128 v[82:85], v10, off offset:-8
	ds_load_b128 v[86:89], v9
	s_wait_xcnt 0x0
	v_dual_add_nc_u32 v9, 16, v9 :: v_dual_add_nc_u32 v10, 16, v10
	v_add_nc_u32_e32 v8, 1, v8
	s_delay_alu instid0(VALU_DEP_1) | instskip(SKIP_4) | instid1(VALU_DEP_2)
	v_cmp_lt_u32_e32 vcc_lo, 12, v8
	s_or_b32 s3, vcc_lo, s3
	s_wait_loadcnt_dscnt 0x0
	v_mul_f64_e32 v[12:13], v[88:89], v[84:85]
	v_mul_f64_e32 v[84:85], v[86:87], v[84:85]
	v_fma_f64 v[12:13], v[86:87], v[82:83], -v[12:13]
	s_delay_alu instid0(VALU_DEP_2) | instskip(NEXT) | instid1(VALU_DEP_2)
	v_fmac_f64_e32 v[84:85], v[88:89], v[82:83]
	v_add_f64_e32 v[4:5], v[4:5], v[12:13]
	s_delay_alu instid0(VALU_DEP_2)
	v_add_f64_e32 v[2:3], v[2:3], v[84:85]
	s_and_not1_b32 exec_lo, exec_lo, s3
	s_cbranch_execnz .LBB96_69
; %bb.70:
	s_or_b32 exec_lo, exec_lo, s3
	v_mov_b32_e32 v8, 0
	ds_load_b128 v[8:11], v8 offset:224
	s_wait_dscnt 0x0
	v_mul_f64_e32 v[82:83], v[2:3], v[10:11]
	v_mul_f64_e32 v[12:13], v[4:5], v[10:11]
	s_delay_alu instid0(VALU_DEP_2) | instskip(NEXT) | instid1(VALU_DEP_2)
	v_fma_f64 v[10:11], v[4:5], v[8:9], -v[82:83]
	v_fmac_f64_e32 v[12:13], v[2:3], v[8:9]
	scratch_store_b128 off, v[10:13], off offset:224
.LBB96_71:
	s_wait_xcnt 0x0
	s_or_b32 exec_lo, exec_lo, s2
	s_wait_storecnt 0x0
	s_barrier_signal -1
	s_barrier_wait -1
	scratch_load_b128 v[2:5], off, s34
	s_mov_b32 s2, exec_lo
	s_wait_loadcnt 0x0
	ds_store_b128 v6, v[2:5]
	s_wait_dscnt 0x0
	s_barrier_signal -1
	s_barrier_wait -1
	v_cmpx_gt_u32_e32 15, v1
	s_cbranch_execz .LBB96_75
; %bb.72:
	v_dual_mov_b32 v10, v80 :: v_dual_add_nc_u32 v8, -1, v1
	v_mov_b64_e32 v[2:3], 0
	v_mov_b64_e32 v[4:5], 0
	v_add_nc_u32_e32 v9, 0x210, v80
	s_delay_alu instid0(VALU_DEP_4)
	v_or_b32_e32 v10, 8, v10
	s_mov_b32 s3, 0
.LBB96_73:                              ; =>This Inner Loop Header: Depth=1
	scratch_load_b128 v[82:85], v10, off offset:-8
	ds_load_b128 v[86:89], v9
	s_wait_xcnt 0x0
	v_dual_add_nc_u32 v9, 16, v9 :: v_dual_add_nc_u32 v10, 16, v10
	v_add_nc_u32_e32 v8, 1, v8
	s_delay_alu instid0(VALU_DEP_1) | instskip(SKIP_4) | instid1(VALU_DEP_2)
	v_cmp_lt_u32_e32 vcc_lo, 13, v8
	s_or_b32 s3, vcc_lo, s3
	s_wait_loadcnt_dscnt 0x0
	v_mul_f64_e32 v[12:13], v[88:89], v[84:85]
	v_mul_f64_e32 v[84:85], v[86:87], v[84:85]
	v_fma_f64 v[12:13], v[86:87], v[82:83], -v[12:13]
	s_delay_alu instid0(VALU_DEP_2) | instskip(NEXT) | instid1(VALU_DEP_2)
	v_fmac_f64_e32 v[84:85], v[88:89], v[82:83]
	v_add_f64_e32 v[4:5], v[4:5], v[12:13]
	s_delay_alu instid0(VALU_DEP_2)
	v_add_f64_e32 v[2:3], v[2:3], v[84:85]
	s_and_not1_b32 exec_lo, exec_lo, s3
	s_cbranch_execnz .LBB96_73
; %bb.74:
	s_or_b32 exec_lo, exec_lo, s3
	v_mov_b32_e32 v8, 0
	ds_load_b128 v[8:11], v8 offset:240
	s_wait_dscnt 0x0
	v_mul_f64_e32 v[82:83], v[2:3], v[10:11]
	v_mul_f64_e32 v[12:13], v[4:5], v[10:11]
	s_delay_alu instid0(VALU_DEP_2) | instskip(NEXT) | instid1(VALU_DEP_2)
	v_fma_f64 v[10:11], v[4:5], v[8:9], -v[82:83]
	v_fmac_f64_e32 v[12:13], v[2:3], v[8:9]
	scratch_store_b128 off, v[10:13], off offset:240
.LBB96_75:
	s_wait_xcnt 0x0
	s_or_b32 exec_lo, exec_lo, s2
	s_wait_storecnt 0x0
	s_barrier_signal -1
	s_barrier_wait -1
	scratch_load_b128 v[2:5], off, s33
	s_mov_b32 s2, exec_lo
	s_wait_loadcnt 0x0
	ds_store_b128 v6, v[2:5]
	s_wait_dscnt 0x0
	s_barrier_signal -1
	s_barrier_wait -1
	v_cmpx_gt_u32_e32 16, v1
	s_cbranch_execz .LBB96_79
; %bb.76:
	v_dual_mov_b32 v10, v80 :: v_dual_add_nc_u32 v8, -1, v1
	v_mov_b64_e32 v[2:3], 0
	v_mov_b64_e32 v[4:5], 0
	v_add_nc_u32_e32 v9, 0x210, v80
	s_delay_alu instid0(VALU_DEP_4)
	v_or_b32_e32 v10, 8, v10
	s_mov_b32 s3, 0
.LBB96_77:                              ; =>This Inner Loop Header: Depth=1
	scratch_load_b128 v[82:85], v10, off offset:-8
	ds_load_b128 v[86:89], v9
	s_wait_xcnt 0x0
	v_dual_add_nc_u32 v9, 16, v9 :: v_dual_add_nc_u32 v10, 16, v10
	v_add_nc_u32_e32 v8, 1, v8
	s_delay_alu instid0(VALU_DEP_1) | instskip(SKIP_4) | instid1(VALU_DEP_2)
	v_cmp_lt_u32_e32 vcc_lo, 14, v8
	s_or_b32 s3, vcc_lo, s3
	s_wait_loadcnt_dscnt 0x0
	v_mul_f64_e32 v[12:13], v[88:89], v[84:85]
	v_mul_f64_e32 v[84:85], v[86:87], v[84:85]
	v_fma_f64 v[12:13], v[86:87], v[82:83], -v[12:13]
	s_delay_alu instid0(VALU_DEP_2) | instskip(NEXT) | instid1(VALU_DEP_2)
	v_fmac_f64_e32 v[84:85], v[88:89], v[82:83]
	v_add_f64_e32 v[4:5], v[4:5], v[12:13]
	s_delay_alu instid0(VALU_DEP_2)
	v_add_f64_e32 v[2:3], v[2:3], v[84:85]
	s_and_not1_b32 exec_lo, exec_lo, s3
	s_cbranch_execnz .LBB96_77
; %bb.78:
	s_or_b32 exec_lo, exec_lo, s3
	v_mov_b32_e32 v8, 0
	ds_load_b128 v[8:11], v8 offset:256
	s_wait_dscnt 0x0
	v_mul_f64_e32 v[82:83], v[2:3], v[10:11]
	v_mul_f64_e32 v[12:13], v[4:5], v[10:11]
	s_delay_alu instid0(VALU_DEP_2) | instskip(NEXT) | instid1(VALU_DEP_2)
	v_fma_f64 v[10:11], v[4:5], v[8:9], -v[82:83]
	v_fmac_f64_e32 v[12:13], v[2:3], v[8:9]
	scratch_store_b128 off, v[10:13], off offset:256
.LBB96_79:
	s_wait_xcnt 0x0
	s_or_b32 exec_lo, exec_lo, s2
	s_wait_storecnt 0x0
	s_barrier_signal -1
	s_barrier_wait -1
	scratch_load_b128 v[2:5], off, s31
	s_mov_b32 s2, exec_lo
	s_wait_loadcnt 0x0
	ds_store_b128 v6, v[2:5]
	s_wait_dscnt 0x0
	s_barrier_signal -1
	s_barrier_wait -1
	v_cmpx_gt_u32_e32 17, v1
	s_cbranch_execz .LBB96_83
; %bb.80:
	v_dual_mov_b32 v10, v80 :: v_dual_add_nc_u32 v8, -1, v1
	v_mov_b64_e32 v[2:3], 0
	v_mov_b64_e32 v[4:5], 0
	v_add_nc_u32_e32 v9, 0x210, v80
	s_delay_alu instid0(VALU_DEP_4)
	v_or_b32_e32 v10, 8, v10
	s_mov_b32 s3, 0
.LBB96_81:                              ; =>This Inner Loop Header: Depth=1
	scratch_load_b128 v[82:85], v10, off offset:-8
	ds_load_b128 v[86:89], v9
	s_wait_xcnt 0x0
	v_dual_add_nc_u32 v9, 16, v9 :: v_dual_add_nc_u32 v10, 16, v10
	v_add_nc_u32_e32 v8, 1, v8
	s_delay_alu instid0(VALU_DEP_1) | instskip(SKIP_4) | instid1(VALU_DEP_2)
	v_cmp_lt_u32_e32 vcc_lo, 15, v8
	s_or_b32 s3, vcc_lo, s3
	s_wait_loadcnt_dscnt 0x0
	v_mul_f64_e32 v[12:13], v[88:89], v[84:85]
	v_mul_f64_e32 v[84:85], v[86:87], v[84:85]
	v_fma_f64 v[12:13], v[86:87], v[82:83], -v[12:13]
	s_delay_alu instid0(VALU_DEP_2) | instskip(NEXT) | instid1(VALU_DEP_2)
	v_fmac_f64_e32 v[84:85], v[88:89], v[82:83]
	v_add_f64_e32 v[4:5], v[4:5], v[12:13]
	s_delay_alu instid0(VALU_DEP_2)
	v_add_f64_e32 v[2:3], v[2:3], v[84:85]
	s_and_not1_b32 exec_lo, exec_lo, s3
	s_cbranch_execnz .LBB96_81
; %bb.82:
	s_or_b32 exec_lo, exec_lo, s3
	v_mov_b32_e32 v8, 0
	ds_load_b128 v[8:11], v8 offset:272
	s_wait_dscnt 0x0
	v_mul_f64_e32 v[82:83], v[2:3], v[10:11]
	v_mul_f64_e32 v[12:13], v[4:5], v[10:11]
	s_delay_alu instid0(VALU_DEP_2) | instskip(NEXT) | instid1(VALU_DEP_2)
	v_fma_f64 v[10:11], v[4:5], v[8:9], -v[82:83]
	v_fmac_f64_e32 v[12:13], v[2:3], v[8:9]
	scratch_store_b128 off, v[10:13], off offset:272
.LBB96_83:
	s_wait_xcnt 0x0
	s_or_b32 exec_lo, exec_lo, s2
	s_wait_storecnt 0x0
	s_barrier_signal -1
	s_barrier_wait -1
	scratch_load_b128 v[2:5], off, s30
	s_mov_b32 s2, exec_lo
	s_wait_loadcnt 0x0
	ds_store_b128 v6, v[2:5]
	s_wait_dscnt 0x0
	s_barrier_signal -1
	s_barrier_wait -1
	v_cmpx_gt_u32_e32 18, v1
	s_cbranch_execz .LBB96_87
; %bb.84:
	v_dual_mov_b32 v10, v80 :: v_dual_add_nc_u32 v8, -1, v1
	v_mov_b64_e32 v[2:3], 0
	v_mov_b64_e32 v[4:5], 0
	v_add_nc_u32_e32 v9, 0x210, v80
	s_delay_alu instid0(VALU_DEP_4)
	v_or_b32_e32 v10, 8, v10
	s_mov_b32 s3, 0
.LBB96_85:                              ; =>This Inner Loop Header: Depth=1
	scratch_load_b128 v[82:85], v10, off offset:-8
	ds_load_b128 v[86:89], v9
	s_wait_xcnt 0x0
	v_dual_add_nc_u32 v9, 16, v9 :: v_dual_add_nc_u32 v10, 16, v10
	v_add_nc_u32_e32 v8, 1, v8
	s_delay_alu instid0(VALU_DEP_1) | instskip(SKIP_4) | instid1(VALU_DEP_2)
	v_cmp_lt_u32_e32 vcc_lo, 16, v8
	s_or_b32 s3, vcc_lo, s3
	s_wait_loadcnt_dscnt 0x0
	v_mul_f64_e32 v[12:13], v[88:89], v[84:85]
	v_mul_f64_e32 v[84:85], v[86:87], v[84:85]
	v_fma_f64 v[12:13], v[86:87], v[82:83], -v[12:13]
	s_delay_alu instid0(VALU_DEP_2) | instskip(NEXT) | instid1(VALU_DEP_2)
	v_fmac_f64_e32 v[84:85], v[88:89], v[82:83]
	v_add_f64_e32 v[4:5], v[4:5], v[12:13]
	s_delay_alu instid0(VALU_DEP_2)
	v_add_f64_e32 v[2:3], v[2:3], v[84:85]
	s_and_not1_b32 exec_lo, exec_lo, s3
	s_cbranch_execnz .LBB96_85
; %bb.86:
	s_or_b32 exec_lo, exec_lo, s3
	v_mov_b32_e32 v8, 0
	ds_load_b128 v[8:11], v8 offset:288
	s_wait_dscnt 0x0
	v_mul_f64_e32 v[82:83], v[2:3], v[10:11]
	v_mul_f64_e32 v[12:13], v[4:5], v[10:11]
	s_delay_alu instid0(VALU_DEP_2) | instskip(NEXT) | instid1(VALU_DEP_2)
	v_fma_f64 v[10:11], v[4:5], v[8:9], -v[82:83]
	v_fmac_f64_e32 v[12:13], v[2:3], v[8:9]
	scratch_store_b128 off, v[10:13], off offset:288
.LBB96_87:
	s_wait_xcnt 0x0
	s_or_b32 exec_lo, exec_lo, s2
	s_wait_storecnt 0x0
	s_barrier_signal -1
	s_barrier_wait -1
	scratch_load_b128 v[2:5], off, s29
	s_mov_b32 s2, exec_lo
	s_wait_loadcnt 0x0
	ds_store_b128 v6, v[2:5]
	s_wait_dscnt 0x0
	s_barrier_signal -1
	s_barrier_wait -1
	v_cmpx_gt_u32_e32 19, v1
	s_cbranch_execz .LBB96_91
; %bb.88:
	v_dual_mov_b32 v10, v80 :: v_dual_add_nc_u32 v8, -1, v1
	v_mov_b64_e32 v[2:3], 0
	v_mov_b64_e32 v[4:5], 0
	v_add_nc_u32_e32 v9, 0x210, v80
	s_delay_alu instid0(VALU_DEP_4)
	v_or_b32_e32 v10, 8, v10
	s_mov_b32 s3, 0
.LBB96_89:                              ; =>This Inner Loop Header: Depth=1
	scratch_load_b128 v[82:85], v10, off offset:-8
	ds_load_b128 v[86:89], v9
	s_wait_xcnt 0x0
	v_dual_add_nc_u32 v9, 16, v9 :: v_dual_add_nc_u32 v10, 16, v10
	v_add_nc_u32_e32 v8, 1, v8
	s_delay_alu instid0(VALU_DEP_1) | instskip(SKIP_4) | instid1(VALU_DEP_2)
	v_cmp_lt_u32_e32 vcc_lo, 17, v8
	s_or_b32 s3, vcc_lo, s3
	s_wait_loadcnt_dscnt 0x0
	v_mul_f64_e32 v[12:13], v[88:89], v[84:85]
	v_mul_f64_e32 v[84:85], v[86:87], v[84:85]
	v_fma_f64 v[12:13], v[86:87], v[82:83], -v[12:13]
	s_delay_alu instid0(VALU_DEP_2) | instskip(NEXT) | instid1(VALU_DEP_2)
	v_fmac_f64_e32 v[84:85], v[88:89], v[82:83]
	v_add_f64_e32 v[4:5], v[4:5], v[12:13]
	s_delay_alu instid0(VALU_DEP_2)
	v_add_f64_e32 v[2:3], v[2:3], v[84:85]
	s_and_not1_b32 exec_lo, exec_lo, s3
	s_cbranch_execnz .LBB96_89
; %bb.90:
	s_or_b32 exec_lo, exec_lo, s3
	v_mov_b32_e32 v8, 0
	ds_load_b128 v[8:11], v8 offset:304
	s_wait_dscnt 0x0
	v_mul_f64_e32 v[82:83], v[2:3], v[10:11]
	v_mul_f64_e32 v[12:13], v[4:5], v[10:11]
	s_delay_alu instid0(VALU_DEP_2) | instskip(NEXT) | instid1(VALU_DEP_2)
	v_fma_f64 v[10:11], v[4:5], v[8:9], -v[82:83]
	v_fmac_f64_e32 v[12:13], v[2:3], v[8:9]
	scratch_store_b128 off, v[10:13], off offset:304
.LBB96_91:
	s_wait_xcnt 0x0
	s_or_b32 exec_lo, exec_lo, s2
	s_wait_storecnt 0x0
	s_barrier_signal -1
	s_barrier_wait -1
	scratch_load_b128 v[2:5], off, s28
	s_mov_b32 s2, exec_lo
	s_wait_loadcnt 0x0
	ds_store_b128 v6, v[2:5]
	s_wait_dscnt 0x0
	s_barrier_signal -1
	s_barrier_wait -1
	v_cmpx_gt_u32_e32 20, v1
	s_cbranch_execz .LBB96_95
; %bb.92:
	v_dual_mov_b32 v10, v80 :: v_dual_add_nc_u32 v8, -1, v1
	v_mov_b64_e32 v[2:3], 0
	v_mov_b64_e32 v[4:5], 0
	v_add_nc_u32_e32 v9, 0x210, v80
	s_delay_alu instid0(VALU_DEP_4)
	v_or_b32_e32 v10, 8, v10
	s_mov_b32 s3, 0
.LBB96_93:                              ; =>This Inner Loop Header: Depth=1
	scratch_load_b128 v[82:85], v10, off offset:-8
	ds_load_b128 v[86:89], v9
	s_wait_xcnt 0x0
	v_dual_add_nc_u32 v9, 16, v9 :: v_dual_add_nc_u32 v10, 16, v10
	v_add_nc_u32_e32 v8, 1, v8
	s_delay_alu instid0(VALU_DEP_1) | instskip(SKIP_4) | instid1(VALU_DEP_2)
	v_cmp_lt_u32_e32 vcc_lo, 18, v8
	s_or_b32 s3, vcc_lo, s3
	s_wait_loadcnt_dscnt 0x0
	v_mul_f64_e32 v[12:13], v[88:89], v[84:85]
	v_mul_f64_e32 v[84:85], v[86:87], v[84:85]
	v_fma_f64 v[12:13], v[86:87], v[82:83], -v[12:13]
	s_delay_alu instid0(VALU_DEP_2) | instskip(NEXT) | instid1(VALU_DEP_2)
	v_fmac_f64_e32 v[84:85], v[88:89], v[82:83]
	v_add_f64_e32 v[4:5], v[4:5], v[12:13]
	s_delay_alu instid0(VALU_DEP_2)
	v_add_f64_e32 v[2:3], v[2:3], v[84:85]
	s_and_not1_b32 exec_lo, exec_lo, s3
	s_cbranch_execnz .LBB96_93
; %bb.94:
	s_or_b32 exec_lo, exec_lo, s3
	v_mov_b32_e32 v8, 0
	ds_load_b128 v[8:11], v8 offset:320
	s_wait_dscnt 0x0
	v_mul_f64_e32 v[82:83], v[2:3], v[10:11]
	v_mul_f64_e32 v[12:13], v[4:5], v[10:11]
	s_delay_alu instid0(VALU_DEP_2) | instskip(NEXT) | instid1(VALU_DEP_2)
	v_fma_f64 v[10:11], v[4:5], v[8:9], -v[82:83]
	v_fmac_f64_e32 v[12:13], v[2:3], v[8:9]
	scratch_store_b128 off, v[10:13], off offset:320
.LBB96_95:
	s_wait_xcnt 0x0
	s_or_b32 exec_lo, exec_lo, s2
	s_wait_storecnt 0x0
	s_barrier_signal -1
	s_barrier_wait -1
	scratch_load_b128 v[2:5], off, s27
	s_mov_b32 s2, exec_lo
	s_wait_loadcnt 0x0
	ds_store_b128 v6, v[2:5]
	s_wait_dscnt 0x0
	s_barrier_signal -1
	s_barrier_wait -1
	v_cmpx_gt_u32_e32 21, v1
	s_cbranch_execz .LBB96_99
; %bb.96:
	v_dual_mov_b32 v10, v80 :: v_dual_add_nc_u32 v8, -1, v1
	v_mov_b64_e32 v[2:3], 0
	v_mov_b64_e32 v[4:5], 0
	v_add_nc_u32_e32 v9, 0x210, v80
	s_delay_alu instid0(VALU_DEP_4)
	v_or_b32_e32 v10, 8, v10
	s_mov_b32 s3, 0
.LBB96_97:                              ; =>This Inner Loop Header: Depth=1
	scratch_load_b128 v[82:85], v10, off offset:-8
	ds_load_b128 v[86:89], v9
	s_wait_xcnt 0x0
	v_dual_add_nc_u32 v9, 16, v9 :: v_dual_add_nc_u32 v10, 16, v10
	v_add_nc_u32_e32 v8, 1, v8
	s_delay_alu instid0(VALU_DEP_1) | instskip(SKIP_4) | instid1(VALU_DEP_2)
	v_cmp_lt_u32_e32 vcc_lo, 19, v8
	s_or_b32 s3, vcc_lo, s3
	s_wait_loadcnt_dscnt 0x0
	v_mul_f64_e32 v[12:13], v[88:89], v[84:85]
	v_mul_f64_e32 v[84:85], v[86:87], v[84:85]
	v_fma_f64 v[12:13], v[86:87], v[82:83], -v[12:13]
	s_delay_alu instid0(VALU_DEP_2) | instskip(NEXT) | instid1(VALU_DEP_2)
	v_fmac_f64_e32 v[84:85], v[88:89], v[82:83]
	v_add_f64_e32 v[4:5], v[4:5], v[12:13]
	s_delay_alu instid0(VALU_DEP_2)
	v_add_f64_e32 v[2:3], v[2:3], v[84:85]
	s_and_not1_b32 exec_lo, exec_lo, s3
	s_cbranch_execnz .LBB96_97
; %bb.98:
	s_or_b32 exec_lo, exec_lo, s3
	v_mov_b32_e32 v8, 0
	ds_load_b128 v[8:11], v8 offset:336
	s_wait_dscnt 0x0
	v_mul_f64_e32 v[82:83], v[2:3], v[10:11]
	v_mul_f64_e32 v[12:13], v[4:5], v[10:11]
	s_delay_alu instid0(VALU_DEP_2) | instskip(NEXT) | instid1(VALU_DEP_2)
	v_fma_f64 v[10:11], v[4:5], v[8:9], -v[82:83]
	v_fmac_f64_e32 v[12:13], v[2:3], v[8:9]
	scratch_store_b128 off, v[10:13], off offset:336
.LBB96_99:
	s_wait_xcnt 0x0
	s_or_b32 exec_lo, exec_lo, s2
	s_wait_storecnt 0x0
	s_barrier_signal -1
	s_barrier_wait -1
	scratch_load_b128 v[2:5], off, s26
	s_mov_b32 s2, exec_lo
	s_wait_loadcnt 0x0
	ds_store_b128 v6, v[2:5]
	s_wait_dscnt 0x0
	s_barrier_signal -1
	s_barrier_wait -1
	v_cmpx_gt_u32_e32 22, v1
	s_cbranch_execz .LBB96_103
; %bb.100:
	v_dual_mov_b32 v10, v80 :: v_dual_add_nc_u32 v8, -1, v1
	v_mov_b64_e32 v[2:3], 0
	v_mov_b64_e32 v[4:5], 0
	v_add_nc_u32_e32 v9, 0x210, v80
	s_delay_alu instid0(VALU_DEP_4)
	v_or_b32_e32 v10, 8, v10
	s_mov_b32 s3, 0
.LBB96_101:                             ; =>This Inner Loop Header: Depth=1
	scratch_load_b128 v[82:85], v10, off offset:-8
	ds_load_b128 v[86:89], v9
	s_wait_xcnt 0x0
	v_dual_add_nc_u32 v9, 16, v9 :: v_dual_add_nc_u32 v10, 16, v10
	v_add_nc_u32_e32 v8, 1, v8
	s_delay_alu instid0(VALU_DEP_1) | instskip(SKIP_4) | instid1(VALU_DEP_2)
	v_cmp_lt_u32_e32 vcc_lo, 20, v8
	s_or_b32 s3, vcc_lo, s3
	s_wait_loadcnt_dscnt 0x0
	v_mul_f64_e32 v[12:13], v[88:89], v[84:85]
	v_mul_f64_e32 v[84:85], v[86:87], v[84:85]
	v_fma_f64 v[12:13], v[86:87], v[82:83], -v[12:13]
	s_delay_alu instid0(VALU_DEP_2) | instskip(NEXT) | instid1(VALU_DEP_2)
	v_fmac_f64_e32 v[84:85], v[88:89], v[82:83]
	v_add_f64_e32 v[4:5], v[4:5], v[12:13]
	s_delay_alu instid0(VALU_DEP_2)
	v_add_f64_e32 v[2:3], v[2:3], v[84:85]
	s_and_not1_b32 exec_lo, exec_lo, s3
	s_cbranch_execnz .LBB96_101
; %bb.102:
	s_or_b32 exec_lo, exec_lo, s3
	v_mov_b32_e32 v8, 0
	ds_load_b128 v[8:11], v8 offset:352
	s_wait_dscnt 0x0
	v_mul_f64_e32 v[82:83], v[2:3], v[10:11]
	v_mul_f64_e32 v[12:13], v[4:5], v[10:11]
	s_delay_alu instid0(VALU_DEP_2) | instskip(NEXT) | instid1(VALU_DEP_2)
	v_fma_f64 v[10:11], v[4:5], v[8:9], -v[82:83]
	v_fmac_f64_e32 v[12:13], v[2:3], v[8:9]
	scratch_store_b128 off, v[10:13], off offset:352
.LBB96_103:
	s_wait_xcnt 0x0
	s_or_b32 exec_lo, exec_lo, s2
	s_wait_storecnt 0x0
	s_barrier_signal -1
	s_barrier_wait -1
	scratch_load_b128 v[2:5], off, s25
	s_mov_b32 s2, exec_lo
	s_wait_loadcnt 0x0
	ds_store_b128 v6, v[2:5]
	s_wait_dscnt 0x0
	s_barrier_signal -1
	s_barrier_wait -1
	v_cmpx_gt_u32_e32 23, v1
	s_cbranch_execz .LBB96_107
; %bb.104:
	v_dual_mov_b32 v10, v80 :: v_dual_add_nc_u32 v8, -1, v1
	v_mov_b64_e32 v[2:3], 0
	v_mov_b64_e32 v[4:5], 0
	v_add_nc_u32_e32 v9, 0x210, v80
	s_delay_alu instid0(VALU_DEP_4)
	v_or_b32_e32 v10, 8, v10
	s_mov_b32 s3, 0
.LBB96_105:                             ; =>This Inner Loop Header: Depth=1
	scratch_load_b128 v[82:85], v10, off offset:-8
	ds_load_b128 v[86:89], v9
	s_wait_xcnt 0x0
	v_dual_add_nc_u32 v9, 16, v9 :: v_dual_add_nc_u32 v10, 16, v10
	v_add_nc_u32_e32 v8, 1, v8
	s_delay_alu instid0(VALU_DEP_1) | instskip(SKIP_4) | instid1(VALU_DEP_2)
	v_cmp_lt_u32_e32 vcc_lo, 21, v8
	s_or_b32 s3, vcc_lo, s3
	s_wait_loadcnt_dscnt 0x0
	v_mul_f64_e32 v[12:13], v[88:89], v[84:85]
	v_mul_f64_e32 v[84:85], v[86:87], v[84:85]
	v_fma_f64 v[12:13], v[86:87], v[82:83], -v[12:13]
	s_delay_alu instid0(VALU_DEP_2) | instskip(NEXT) | instid1(VALU_DEP_2)
	v_fmac_f64_e32 v[84:85], v[88:89], v[82:83]
	v_add_f64_e32 v[4:5], v[4:5], v[12:13]
	s_delay_alu instid0(VALU_DEP_2)
	v_add_f64_e32 v[2:3], v[2:3], v[84:85]
	s_and_not1_b32 exec_lo, exec_lo, s3
	s_cbranch_execnz .LBB96_105
; %bb.106:
	s_or_b32 exec_lo, exec_lo, s3
	v_mov_b32_e32 v8, 0
	ds_load_b128 v[8:11], v8 offset:368
	s_wait_dscnt 0x0
	v_mul_f64_e32 v[82:83], v[2:3], v[10:11]
	v_mul_f64_e32 v[12:13], v[4:5], v[10:11]
	s_delay_alu instid0(VALU_DEP_2) | instskip(NEXT) | instid1(VALU_DEP_2)
	v_fma_f64 v[10:11], v[4:5], v[8:9], -v[82:83]
	v_fmac_f64_e32 v[12:13], v[2:3], v[8:9]
	scratch_store_b128 off, v[10:13], off offset:368
.LBB96_107:
	s_wait_xcnt 0x0
	s_or_b32 exec_lo, exec_lo, s2
	s_wait_storecnt 0x0
	s_barrier_signal -1
	s_barrier_wait -1
	scratch_load_b128 v[2:5], off, s24
	;; [unrolled: 54-line block ×10, first 2 shown]
	s_mov_b32 s2, exec_lo
	s_wait_loadcnt 0x0
	ds_store_b128 v6, v[2:5]
	s_wait_dscnt 0x0
	s_barrier_signal -1
	s_barrier_wait -1
	v_cmpx_ne_u32_e32 32, v1
	s_cbranch_execz .LBB96_143
; %bb.140:
	v_mov_b32_e32 v8, v80
	v_mov_b64_e32 v[2:3], 0
	v_mov_b64_e32 v[4:5], 0
	s_mov_b32 s3, 0
	s_delay_alu instid0(VALU_DEP_3)
	v_or_b32_e32 v8, 8, v8
.LBB96_141:                             ; =>This Inner Loop Header: Depth=1
	scratch_load_b128 v[10:13], v8, off offset:-8
	ds_load_b128 v[80:83], v6
	v_dual_add_nc_u32 v7, 1, v7 :: v_dual_add_nc_u32 v6, 16, v6
	s_wait_xcnt 0x0
	v_add_nc_u32_e32 v8, 16, v8
	s_delay_alu instid0(VALU_DEP_2) | instskip(SKIP_4) | instid1(VALU_DEP_2)
	v_cmp_lt_u32_e32 vcc_lo, 30, v7
	s_or_b32 s3, vcc_lo, s3
	s_wait_loadcnt_dscnt 0x0
	v_mul_f64_e32 v[84:85], v[82:83], v[12:13]
	v_mul_f64_e32 v[12:13], v[80:81], v[12:13]
	v_fma_f64 v[80:81], v[80:81], v[10:11], -v[84:85]
	s_delay_alu instid0(VALU_DEP_2) | instskip(NEXT) | instid1(VALU_DEP_2)
	v_fmac_f64_e32 v[12:13], v[82:83], v[10:11]
	v_add_f64_e32 v[4:5], v[4:5], v[80:81]
	s_delay_alu instid0(VALU_DEP_2)
	v_add_f64_e32 v[2:3], v[2:3], v[12:13]
	s_and_not1_b32 exec_lo, exec_lo, s3
	s_cbranch_execnz .LBB96_141
; %bb.142:
	s_or_b32 exec_lo, exec_lo, s3
	v_mov_b32_e32 v6, 0
	ds_load_b128 v[6:9], v6 offset:512
	s_wait_dscnt 0x0
	v_mul_f64_e32 v[12:13], v[2:3], v[8:9]
	v_mul_f64_e32 v[10:11], v[4:5], v[8:9]
	s_delay_alu instid0(VALU_DEP_2) | instskip(NEXT) | instid1(VALU_DEP_2)
	v_fma_f64 v[8:9], v[4:5], v[6:7], -v[12:13]
	v_fmac_f64_e32 v[10:11], v[2:3], v[6:7]
	scratch_store_b128 off, v[8:11], off offset:512
.LBB96_143:
	s_wait_xcnt 0x0
	s_or_b32 exec_lo, exec_lo, s2
	s_mov_b32 s3, -1
	s_wait_storecnt 0x0
	s_barrier_signal -1
	s_barrier_wait -1
.LBB96_144:
	s_and_b32 vcc_lo, exec_lo, s3
	s_cbranch_vccz .LBB96_146
; %bb.145:
	s_wait_xcnt 0x0
	v_mov_b32_e32 v2, 0
	s_lshl_b64 s[2:3], s[10:11], 2
	s_delay_alu instid0(SALU_CYCLE_1)
	s_add_nc_u64 s[2:3], s[6:7], s[2:3]
	global_load_b32 v2, v2, s[2:3]
	s_wait_loadcnt 0x0
	v_cmp_ne_u32_e32 vcc_lo, 0, v2
	s_cbranch_vccz .LBB96_147
.LBB96_146:
	s_sendmsg sendmsg(MSG_DEALLOC_VGPRS)
	s_endpgm
.LBB96_147:
	v_lshl_add_u32 v6, v1, 4, 0x210
	s_wait_xcnt 0x0
	s_mov_b32 s2, exec_lo
	v_cmpx_eq_u32_e32 32, v1
	s_cbranch_execz .LBB96_149
; %bb.148:
	scratch_load_b128 v[2:5], off, s15
	v_mov_b32_e32 v8, 0
	s_delay_alu instid0(VALU_DEP_1)
	v_dual_mov_b32 v9, v8 :: v_dual_mov_b32 v10, v8
	v_mov_b32_e32 v11, v8
	scratch_store_b128 off, v[8:11], off offset:496
	s_wait_loadcnt 0x0
	ds_store_b128 v6, v[2:5]
.LBB96_149:
	s_wait_xcnt 0x0
	s_or_b32 exec_lo, exec_lo, s2
	s_wait_storecnt_dscnt 0x0
	s_barrier_signal -1
	s_barrier_wait -1
	s_clause 0x1
	scratch_load_b128 v[8:11], off, off offset:512
	scratch_load_b128 v[80:83], off, off offset:496
	v_mov_b32_e32 v2, 0
	s_mov_b32 s2, exec_lo
	ds_load_b128 v[84:87], v2 offset:1040
	s_wait_loadcnt_dscnt 0x100
	v_mul_f64_e32 v[4:5], v[86:87], v[10:11]
	v_mul_f64_e32 v[10:11], v[84:85], v[10:11]
	s_delay_alu instid0(VALU_DEP_2) | instskip(NEXT) | instid1(VALU_DEP_2)
	v_fma_f64 v[4:5], v[84:85], v[8:9], -v[4:5]
	v_fmac_f64_e32 v[10:11], v[86:87], v[8:9]
	s_delay_alu instid0(VALU_DEP_2) | instskip(NEXT) | instid1(VALU_DEP_2)
	v_add_f64_e32 v[4:5], 0, v[4:5]
	v_add_f64_e32 v[10:11], 0, v[10:11]
	s_wait_loadcnt 0x0
	s_delay_alu instid0(VALU_DEP_2) | instskip(NEXT) | instid1(VALU_DEP_2)
	v_add_f64_e64 v[8:9], v[80:81], -v[4:5]
	v_add_f64_e64 v[10:11], v[82:83], -v[10:11]
	scratch_store_b128 off, v[8:11], off offset:496
	s_wait_xcnt 0x0
	v_cmpx_lt_u32_e32 30, v1
	s_cbranch_execz .LBB96_151
; %bb.150:
	scratch_load_b128 v[8:11], off, s17
	v_dual_mov_b32 v3, v2 :: v_dual_mov_b32 v4, v2
	v_mov_b32_e32 v5, v2
	scratch_store_b128 off, v[2:5], off offset:480
	s_wait_loadcnt 0x0
	ds_store_b128 v6, v[8:11]
.LBB96_151:
	s_wait_xcnt 0x0
	s_or_b32 exec_lo, exec_lo, s2
	s_wait_storecnt_dscnt 0x0
	s_barrier_signal -1
	s_barrier_wait -1
	s_clause 0x2
	scratch_load_b128 v[8:11], off, off offset:496
	scratch_load_b128 v[80:83], off, off offset:512
	;; [unrolled: 1-line block ×3, first 2 shown]
	ds_load_b128 v[88:91], v2 offset:1024
	ds_load_b128 v[2:5], v2 offset:1040
	s_mov_b32 s2, exec_lo
	s_wait_loadcnt_dscnt 0x201
	v_mul_f64_e32 v[12:13], v[90:91], v[10:11]
	v_mul_f64_e32 v[10:11], v[88:89], v[10:11]
	s_wait_loadcnt_dscnt 0x100
	v_mul_f64_e32 v[92:93], v[2:3], v[82:83]
	v_mul_f64_e32 v[82:83], v[4:5], v[82:83]
	s_delay_alu instid0(VALU_DEP_4) | instskip(NEXT) | instid1(VALU_DEP_4)
	v_fma_f64 v[12:13], v[88:89], v[8:9], -v[12:13]
	v_fmac_f64_e32 v[10:11], v[90:91], v[8:9]
	s_delay_alu instid0(VALU_DEP_4) | instskip(NEXT) | instid1(VALU_DEP_4)
	v_fmac_f64_e32 v[92:93], v[4:5], v[80:81]
	v_fma_f64 v[2:3], v[2:3], v[80:81], -v[82:83]
	s_delay_alu instid0(VALU_DEP_4) | instskip(NEXT) | instid1(VALU_DEP_4)
	v_add_f64_e32 v[4:5], 0, v[12:13]
	v_add_f64_e32 v[8:9], 0, v[10:11]
	s_delay_alu instid0(VALU_DEP_2) | instskip(NEXT) | instid1(VALU_DEP_2)
	v_add_f64_e32 v[2:3], v[4:5], v[2:3]
	v_add_f64_e32 v[4:5], v[8:9], v[92:93]
	s_wait_loadcnt 0x0
	s_delay_alu instid0(VALU_DEP_2) | instskip(NEXT) | instid1(VALU_DEP_2)
	v_add_f64_e64 v[2:3], v[84:85], -v[2:3]
	v_add_f64_e64 v[4:5], v[86:87], -v[4:5]
	scratch_store_b128 off, v[2:5], off offset:480
	s_wait_xcnt 0x0
	v_cmpx_lt_u32_e32 29, v1
	s_cbranch_execz .LBB96_153
; %bb.152:
	scratch_load_b128 v[2:5], off, s19
	v_mov_b32_e32 v8, 0
	s_delay_alu instid0(VALU_DEP_1)
	v_dual_mov_b32 v9, v8 :: v_dual_mov_b32 v10, v8
	v_mov_b32_e32 v11, v8
	scratch_store_b128 off, v[8:11], off offset:464
	s_wait_loadcnt 0x0
	ds_store_b128 v6, v[2:5]
.LBB96_153:
	s_wait_xcnt 0x0
	s_or_b32 exec_lo, exec_lo, s2
	s_wait_storecnt_dscnt 0x0
	s_barrier_signal -1
	s_barrier_wait -1
	s_clause 0x3
	scratch_load_b128 v[8:11], off, off offset:480
	scratch_load_b128 v[80:83], off, off offset:496
	;; [unrolled: 1-line block ×4, first 2 shown]
	v_mov_b32_e32 v2, 0
	ds_load_b128 v[92:95], v2 offset:1008
	ds_load_b128 v[96:99], v2 offset:1024
	s_mov_b32 s2, exec_lo
	s_wait_loadcnt_dscnt 0x301
	v_mul_f64_e32 v[4:5], v[94:95], v[10:11]
	v_mul_f64_e32 v[12:13], v[92:93], v[10:11]
	s_wait_loadcnt_dscnt 0x200
	v_mul_f64_e32 v[100:101], v[96:97], v[82:83]
	v_mul_f64_e32 v[82:83], v[98:99], v[82:83]
	s_delay_alu instid0(VALU_DEP_4) | instskip(NEXT) | instid1(VALU_DEP_4)
	v_fma_f64 v[4:5], v[92:93], v[8:9], -v[4:5]
	v_fmac_f64_e32 v[12:13], v[94:95], v[8:9]
	ds_load_b128 v[8:11], v2 offset:1040
	v_fmac_f64_e32 v[100:101], v[98:99], v[80:81]
	v_fma_f64 v[80:81], v[96:97], v[80:81], -v[82:83]
	s_wait_loadcnt_dscnt 0x100
	v_mul_f64_e32 v[92:93], v[8:9], v[86:87]
	v_mul_f64_e32 v[86:87], v[10:11], v[86:87]
	v_add_f64_e32 v[4:5], 0, v[4:5]
	v_add_f64_e32 v[12:13], 0, v[12:13]
	s_delay_alu instid0(VALU_DEP_4) | instskip(NEXT) | instid1(VALU_DEP_4)
	v_fmac_f64_e32 v[92:93], v[10:11], v[84:85]
	v_fma_f64 v[8:9], v[8:9], v[84:85], -v[86:87]
	s_delay_alu instid0(VALU_DEP_4) | instskip(NEXT) | instid1(VALU_DEP_4)
	v_add_f64_e32 v[4:5], v[4:5], v[80:81]
	v_add_f64_e32 v[10:11], v[12:13], v[100:101]
	s_delay_alu instid0(VALU_DEP_2) | instskip(NEXT) | instid1(VALU_DEP_2)
	v_add_f64_e32 v[4:5], v[4:5], v[8:9]
	v_add_f64_e32 v[10:11], v[10:11], v[92:93]
	s_wait_loadcnt 0x0
	s_delay_alu instid0(VALU_DEP_2) | instskip(NEXT) | instid1(VALU_DEP_2)
	v_add_f64_e64 v[8:9], v[88:89], -v[4:5]
	v_add_f64_e64 v[10:11], v[90:91], -v[10:11]
	scratch_store_b128 off, v[8:11], off offset:464
	s_wait_xcnt 0x0
	v_cmpx_lt_u32_e32 28, v1
	s_cbranch_execz .LBB96_155
; %bb.154:
	scratch_load_b128 v[8:11], off, s20
	v_dual_mov_b32 v3, v2 :: v_dual_mov_b32 v4, v2
	v_mov_b32_e32 v5, v2
	scratch_store_b128 off, v[2:5], off offset:448
	s_wait_loadcnt 0x0
	ds_store_b128 v6, v[8:11]
.LBB96_155:
	s_wait_xcnt 0x0
	s_or_b32 exec_lo, exec_lo, s2
	s_wait_storecnt_dscnt 0x0
	s_barrier_signal -1
	s_barrier_wait -1
	s_clause 0x4
	scratch_load_b128 v[8:11], off, off offset:464
	scratch_load_b128 v[80:83], off, off offset:480
	;; [unrolled: 1-line block ×5, first 2 shown]
	ds_load_b128 v[96:99], v2 offset:992
	ds_load_b128 v[100:103], v2 offset:1008
	s_mov_b32 s2, exec_lo
	s_wait_loadcnt_dscnt 0x401
	v_mul_f64_e32 v[4:5], v[98:99], v[10:11]
	v_mul_f64_e32 v[12:13], v[96:97], v[10:11]
	s_wait_loadcnt_dscnt 0x300
	v_mul_f64_e32 v[104:105], v[100:101], v[82:83]
	v_mul_f64_e32 v[82:83], v[102:103], v[82:83]
	s_delay_alu instid0(VALU_DEP_4) | instskip(NEXT) | instid1(VALU_DEP_4)
	v_fma_f64 v[96:97], v[96:97], v[8:9], -v[4:5]
	v_fmac_f64_e32 v[12:13], v[98:99], v[8:9]
	ds_load_b128 v[8:11], v2 offset:1024
	ds_load_b128 v[2:5], v2 offset:1040
	v_fmac_f64_e32 v[104:105], v[102:103], v[80:81]
	v_fma_f64 v[80:81], v[100:101], v[80:81], -v[82:83]
	s_wait_loadcnt_dscnt 0x201
	v_mul_f64_e32 v[98:99], v[8:9], v[86:87]
	v_mul_f64_e32 v[86:87], v[10:11], v[86:87]
	v_add_f64_e32 v[82:83], 0, v[96:97]
	v_add_f64_e32 v[12:13], 0, v[12:13]
	s_wait_loadcnt_dscnt 0x100
	v_mul_f64_e32 v[96:97], v[2:3], v[90:91]
	v_mul_f64_e32 v[90:91], v[4:5], v[90:91]
	v_fmac_f64_e32 v[98:99], v[10:11], v[84:85]
	v_fma_f64 v[8:9], v[8:9], v[84:85], -v[86:87]
	v_add_f64_e32 v[10:11], v[82:83], v[80:81]
	v_add_f64_e32 v[12:13], v[12:13], v[104:105]
	v_fmac_f64_e32 v[96:97], v[4:5], v[88:89]
	v_fma_f64 v[2:3], v[2:3], v[88:89], -v[90:91]
	s_delay_alu instid0(VALU_DEP_4) | instskip(NEXT) | instid1(VALU_DEP_4)
	v_add_f64_e32 v[4:5], v[10:11], v[8:9]
	v_add_f64_e32 v[8:9], v[12:13], v[98:99]
	s_delay_alu instid0(VALU_DEP_2) | instskip(NEXT) | instid1(VALU_DEP_2)
	v_add_f64_e32 v[2:3], v[4:5], v[2:3]
	v_add_f64_e32 v[4:5], v[8:9], v[96:97]
	s_wait_loadcnt 0x0
	s_delay_alu instid0(VALU_DEP_2) | instskip(NEXT) | instid1(VALU_DEP_2)
	v_add_f64_e64 v[2:3], v[92:93], -v[2:3]
	v_add_f64_e64 v[4:5], v[94:95], -v[4:5]
	scratch_store_b128 off, v[2:5], off offset:448
	s_wait_xcnt 0x0
	v_cmpx_lt_u32_e32 27, v1
	s_cbranch_execz .LBB96_157
; %bb.156:
	scratch_load_b128 v[2:5], off, s21
	v_mov_b32_e32 v8, 0
	s_delay_alu instid0(VALU_DEP_1)
	v_dual_mov_b32 v9, v8 :: v_dual_mov_b32 v10, v8
	v_mov_b32_e32 v11, v8
	scratch_store_b128 off, v[8:11], off offset:432
	s_wait_loadcnt 0x0
	ds_store_b128 v6, v[2:5]
.LBB96_157:
	s_wait_xcnt 0x0
	s_or_b32 exec_lo, exec_lo, s2
	s_wait_storecnt_dscnt 0x0
	s_barrier_signal -1
	s_barrier_wait -1
	s_clause 0x5
	scratch_load_b128 v[8:11], off, off offset:448
	scratch_load_b128 v[80:83], off, off offset:464
	;; [unrolled: 1-line block ×6, first 2 shown]
	v_mov_b32_e32 v2, 0
	ds_load_b128 v[100:103], v2 offset:976
	ds_load_b128 v[104:107], v2 offset:992
	s_mov_b32 s2, exec_lo
	s_wait_loadcnt_dscnt 0x501
	v_mul_f64_e32 v[4:5], v[102:103], v[10:11]
	v_mul_f64_e32 v[12:13], v[100:101], v[10:11]
	s_wait_loadcnt_dscnt 0x400
	v_mul_f64_e32 v[108:109], v[104:105], v[82:83]
	v_mul_f64_e32 v[82:83], v[106:107], v[82:83]
	s_delay_alu instid0(VALU_DEP_4) | instskip(NEXT) | instid1(VALU_DEP_4)
	v_fma_f64 v[4:5], v[100:101], v[8:9], -v[4:5]
	v_fmac_f64_e32 v[12:13], v[102:103], v[8:9]
	ds_load_b128 v[8:11], v2 offset:1008
	ds_load_b128 v[100:103], v2 offset:1024
	v_fmac_f64_e32 v[108:109], v[106:107], v[80:81]
	v_fma_f64 v[80:81], v[104:105], v[80:81], -v[82:83]
	s_wait_loadcnt_dscnt 0x301
	v_mul_f64_e32 v[110:111], v[8:9], v[86:87]
	v_mul_f64_e32 v[86:87], v[10:11], v[86:87]
	s_wait_loadcnt_dscnt 0x200
	v_mul_f64_e32 v[82:83], v[100:101], v[90:91]
	v_mul_f64_e32 v[90:91], v[102:103], v[90:91]
	v_add_f64_e32 v[4:5], 0, v[4:5]
	v_add_f64_e32 v[12:13], 0, v[12:13]
	v_fmac_f64_e32 v[110:111], v[10:11], v[84:85]
	v_fma_f64 v[84:85], v[8:9], v[84:85], -v[86:87]
	ds_load_b128 v[8:11], v2 offset:1040
	v_fmac_f64_e32 v[82:83], v[102:103], v[88:89]
	v_fma_f64 v[88:89], v[100:101], v[88:89], -v[90:91]
	v_add_f64_e32 v[4:5], v[4:5], v[80:81]
	v_add_f64_e32 v[12:13], v[12:13], v[108:109]
	s_wait_loadcnt_dscnt 0x100
	v_mul_f64_e32 v[80:81], v[8:9], v[94:95]
	v_mul_f64_e32 v[86:87], v[10:11], v[94:95]
	s_delay_alu instid0(VALU_DEP_4) | instskip(NEXT) | instid1(VALU_DEP_4)
	v_add_f64_e32 v[4:5], v[4:5], v[84:85]
	v_add_f64_e32 v[12:13], v[12:13], v[110:111]
	s_delay_alu instid0(VALU_DEP_4) | instskip(NEXT) | instid1(VALU_DEP_4)
	v_fmac_f64_e32 v[80:81], v[10:11], v[92:93]
	v_fma_f64 v[8:9], v[8:9], v[92:93], -v[86:87]
	s_delay_alu instid0(VALU_DEP_4) | instskip(NEXT) | instid1(VALU_DEP_4)
	v_add_f64_e32 v[4:5], v[4:5], v[88:89]
	v_add_f64_e32 v[10:11], v[12:13], v[82:83]
	s_delay_alu instid0(VALU_DEP_2) | instskip(NEXT) | instid1(VALU_DEP_2)
	v_add_f64_e32 v[4:5], v[4:5], v[8:9]
	v_add_f64_e32 v[10:11], v[10:11], v[80:81]
	s_wait_loadcnt 0x0
	s_delay_alu instid0(VALU_DEP_2) | instskip(NEXT) | instid1(VALU_DEP_2)
	v_add_f64_e64 v[8:9], v[96:97], -v[4:5]
	v_add_f64_e64 v[10:11], v[98:99], -v[10:11]
	scratch_store_b128 off, v[8:11], off offset:432
	s_wait_xcnt 0x0
	v_cmpx_lt_u32_e32 26, v1
	s_cbranch_execz .LBB96_159
; %bb.158:
	scratch_load_b128 v[8:11], off, s22
	v_dual_mov_b32 v3, v2 :: v_dual_mov_b32 v4, v2
	v_mov_b32_e32 v5, v2
	scratch_store_b128 off, v[2:5], off offset:416
	s_wait_loadcnt 0x0
	ds_store_b128 v6, v[8:11]
.LBB96_159:
	s_wait_xcnt 0x0
	s_or_b32 exec_lo, exec_lo, s2
	s_wait_storecnt_dscnt 0x0
	s_barrier_signal -1
	s_barrier_wait -1
	s_clause 0x6
	scratch_load_b128 v[8:11], off, off offset:432
	scratch_load_b128 v[80:83], off, off offset:448
	scratch_load_b128 v[84:87], off, off offset:464
	scratch_load_b128 v[88:91], off, off offset:480
	scratch_load_b128 v[92:95], off, off offset:496
	scratch_load_b128 v[96:99], off, off offset:512
	scratch_load_b128 v[100:103], off, off offset:416
	ds_load_b128 v[104:107], v2 offset:960
	ds_load_b128 v[108:111], v2 offset:976
	s_mov_b32 s2, exec_lo
	s_wait_loadcnt_dscnt 0x601
	v_mul_f64_e32 v[4:5], v[106:107], v[10:11]
	v_mul_f64_e32 v[12:13], v[104:105], v[10:11]
	s_wait_loadcnt_dscnt 0x500
	v_mul_f64_e32 v[112:113], v[108:109], v[82:83]
	v_mul_f64_e32 v[82:83], v[110:111], v[82:83]
	s_delay_alu instid0(VALU_DEP_4) | instskip(NEXT) | instid1(VALU_DEP_4)
	v_fma_f64 v[4:5], v[104:105], v[8:9], -v[4:5]
	v_fmac_f64_e32 v[12:13], v[106:107], v[8:9]
	ds_load_b128 v[8:11], v2 offset:992
	ds_load_b128 v[104:107], v2 offset:1008
	v_fmac_f64_e32 v[112:113], v[110:111], v[80:81]
	v_fma_f64 v[80:81], v[108:109], v[80:81], -v[82:83]
	s_wait_loadcnt_dscnt 0x401
	v_mul_f64_e32 v[114:115], v[8:9], v[86:87]
	v_mul_f64_e32 v[86:87], v[10:11], v[86:87]
	s_wait_loadcnt_dscnt 0x300
	v_mul_f64_e32 v[82:83], v[104:105], v[90:91]
	v_mul_f64_e32 v[90:91], v[106:107], v[90:91]
	v_add_f64_e32 v[4:5], 0, v[4:5]
	v_add_f64_e32 v[12:13], 0, v[12:13]
	v_fmac_f64_e32 v[114:115], v[10:11], v[84:85]
	v_fma_f64 v[84:85], v[8:9], v[84:85], -v[86:87]
	v_fmac_f64_e32 v[82:83], v[106:107], v[88:89]
	v_fma_f64 v[88:89], v[104:105], v[88:89], -v[90:91]
	v_add_f64_e32 v[80:81], v[4:5], v[80:81]
	v_add_f64_e32 v[12:13], v[12:13], v[112:113]
	ds_load_b128 v[8:11], v2 offset:1024
	ds_load_b128 v[2:5], v2 offset:1040
	s_wait_loadcnt_dscnt 0x201
	v_mul_f64_e32 v[86:87], v[8:9], v[94:95]
	v_mul_f64_e32 v[94:95], v[10:11], v[94:95]
	s_wait_loadcnt_dscnt 0x100
	v_mul_f64_e32 v[90:91], v[4:5], v[98:99]
	v_add_f64_e32 v[80:81], v[80:81], v[84:85]
	v_add_f64_e32 v[12:13], v[12:13], v[114:115]
	v_mul_f64_e32 v[84:85], v[2:3], v[98:99]
	v_fmac_f64_e32 v[86:87], v[10:11], v[92:93]
	v_fma_f64 v[8:9], v[8:9], v[92:93], -v[94:95]
	v_fma_f64 v[2:3], v[2:3], v[96:97], -v[90:91]
	v_add_f64_e32 v[10:11], v[80:81], v[88:89]
	v_add_f64_e32 v[12:13], v[12:13], v[82:83]
	v_fmac_f64_e32 v[84:85], v[4:5], v[96:97]
	s_delay_alu instid0(VALU_DEP_3) | instskip(NEXT) | instid1(VALU_DEP_3)
	v_add_f64_e32 v[4:5], v[10:11], v[8:9]
	v_add_f64_e32 v[8:9], v[12:13], v[86:87]
	s_delay_alu instid0(VALU_DEP_2) | instskip(NEXT) | instid1(VALU_DEP_2)
	v_add_f64_e32 v[2:3], v[4:5], v[2:3]
	v_add_f64_e32 v[4:5], v[8:9], v[84:85]
	s_wait_loadcnt 0x0
	s_delay_alu instid0(VALU_DEP_2) | instskip(NEXT) | instid1(VALU_DEP_2)
	v_add_f64_e64 v[2:3], v[100:101], -v[2:3]
	v_add_f64_e64 v[4:5], v[102:103], -v[4:5]
	scratch_store_b128 off, v[2:5], off offset:416
	s_wait_xcnt 0x0
	v_cmpx_lt_u32_e32 25, v1
	s_cbranch_execz .LBB96_161
; %bb.160:
	scratch_load_b128 v[2:5], off, s23
	v_mov_b32_e32 v8, 0
	s_delay_alu instid0(VALU_DEP_1)
	v_dual_mov_b32 v9, v8 :: v_dual_mov_b32 v10, v8
	v_mov_b32_e32 v11, v8
	scratch_store_b128 off, v[8:11], off offset:400
	s_wait_loadcnt 0x0
	ds_store_b128 v6, v[2:5]
.LBB96_161:
	s_wait_xcnt 0x0
	s_or_b32 exec_lo, exec_lo, s2
	s_wait_storecnt_dscnt 0x0
	s_barrier_signal -1
	s_barrier_wait -1
	s_clause 0x7
	scratch_load_b128 v[8:11], off, off offset:416
	scratch_load_b128 v[80:83], off, off offset:432
	scratch_load_b128 v[84:87], off, off offset:448
	scratch_load_b128 v[88:91], off, off offset:464
	scratch_load_b128 v[92:95], off, off offset:480
	scratch_load_b128 v[96:99], off, off offset:496
	scratch_load_b128 v[100:103], off, off offset:512
	scratch_load_b128 v[104:107], off, off offset:400
	v_mov_b32_e32 v2, 0
	ds_load_b128 v[108:111], v2 offset:944
	ds_load_b128 v[112:115], v2 offset:960
	s_mov_b32 s2, exec_lo
	s_wait_loadcnt_dscnt 0x701
	v_mul_f64_e32 v[4:5], v[110:111], v[10:11]
	v_mul_f64_e32 v[12:13], v[108:109], v[10:11]
	s_wait_loadcnt_dscnt 0x600
	v_mul_f64_e32 v[116:117], v[112:113], v[82:83]
	v_mul_f64_e32 v[82:83], v[114:115], v[82:83]
	s_delay_alu instid0(VALU_DEP_4) | instskip(NEXT) | instid1(VALU_DEP_4)
	v_fma_f64 v[4:5], v[108:109], v[8:9], -v[4:5]
	v_fmac_f64_e32 v[12:13], v[110:111], v[8:9]
	ds_load_b128 v[8:11], v2 offset:976
	ds_load_b128 v[108:111], v2 offset:992
	v_fmac_f64_e32 v[116:117], v[114:115], v[80:81]
	v_fma_f64 v[80:81], v[112:113], v[80:81], -v[82:83]
	s_wait_loadcnt_dscnt 0x501
	v_mul_f64_e32 v[118:119], v[8:9], v[86:87]
	v_mul_f64_e32 v[86:87], v[10:11], v[86:87]
	s_wait_loadcnt_dscnt 0x400
	v_mul_f64_e32 v[112:113], v[108:109], v[90:91]
	v_mul_f64_e32 v[90:91], v[110:111], v[90:91]
	v_add_f64_e32 v[4:5], 0, v[4:5]
	v_add_f64_e32 v[12:13], 0, v[12:13]
	v_fmac_f64_e32 v[118:119], v[10:11], v[84:85]
	v_fma_f64 v[84:85], v[8:9], v[84:85], -v[86:87]
	v_fmac_f64_e32 v[112:113], v[110:111], v[88:89]
	v_fma_f64 v[88:89], v[108:109], v[88:89], -v[90:91]
	v_add_f64_e32 v[4:5], v[4:5], v[80:81]
	v_add_f64_e32 v[12:13], v[12:13], v[116:117]
	ds_load_b128 v[8:11], v2 offset:1008
	ds_load_b128 v[80:83], v2 offset:1024
	s_wait_loadcnt_dscnt 0x301
	v_mul_f64_e32 v[86:87], v[8:9], v[94:95]
	v_mul_f64_e32 v[94:95], v[10:11], v[94:95]
	s_wait_loadcnt_dscnt 0x200
	v_mul_f64_e32 v[90:91], v[82:83], v[98:99]
	v_add_f64_e32 v[4:5], v[4:5], v[84:85]
	v_add_f64_e32 v[12:13], v[12:13], v[118:119]
	v_mul_f64_e32 v[84:85], v[80:81], v[98:99]
	v_fmac_f64_e32 v[86:87], v[10:11], v[92:93]
	v_fma_f64 v[92:93], v[8:9], v[92:93], -v[94:95]
	ds_load_b128 v[8:11], v2 offset:1040
	v_fma_f64 v[80:81], v[80:81], v[96:97], -v[90:91]
	v_add_f64_e32 v[4:5], v[4:5], v[88:89]
	v_add_f64_e32 v[12:13], v[12:13], v[112:113]
	v_fmac_f64_e32 v[84:85], v[82:83], v[96:97]
	s_wait_loadcnt_dscnt 0x100
	v_mul_f64_e32 v[88:89], v[8:9], v[102:103]
	v_mul_f64_e32 v[94:95], v[10:11], v[102:103]
	v_add_f64_e32 v[4:5], v[4:5], v[92:93]
	v_add_f64_e32 v[12:13], v[12:13], v[86:87]
	s_delay_alu instid0(VALU_DEP_4) | instskip(NEXT) | instid1(VALU_DEP_4)
	v_fmac_f64_e32 v[88:89], v[10:11], v[100:101]
	v_fma_f64 v[8:9], v[8:9], v[100:101], -v[94:95]
	s_delay_alu instid0(VALU_DEP_4) | instskip(NEXT) | instid1(VALU_DEP_4)
	v_add_f64_e32 v[4:5], v[4:5], v[80:81]
	v_add_f64_e32 v[10:11], v[12:13], v[84:85]
	s_delay_alu instid0(VALU_DEP_2) | instskip(NEXT) | instid1(VALU_DEP_2)
	v_add_f64_e32 v[4:5], v[4:5], v[8:9]
	v_add_f64_e32 v[10:11], v[10:11], v[88:89]
	s_wait_loadcnt 0x0
	s_delay_alu instid0(VALU_DEP_2) | instskip(NEXT) | instid1(VALU_DEP_2)
	v_add_f64_e64 v[8:9], v[104:105], -v[4:5]
	v_add_f64_e64 v[10:11], v[106:107], -v[10:11]
	scratch_store_b128 off, v[8:11], off offset:400
	s_wait_xcnt 0x0
	v_cmpx_lt_u32_e32 24, v1
	s_cbranch_execz .LBB96_163
; %bb.162:
	scratch_load_b128 v[8:11], off, s24
	v_dual_mov_b32 v3, v2 :: v_dual_mov_b32 v4, v2
	v_mov_b32_e32 v5, v2
	scratch_store_b128 off, v[2:5], off offset:384
	s_wait_loadcnt 0x0
	ds_store_b128 v6, v[8:11]
.LBB96_163:
	s_wait_xcnt 0x0
	s_or_b32 exec_lo, exec_lo, s2
	s_wait_storecnt_dscnt 0x0
	s_barrier_signal -1
	s_barrier_wait -1
	s_clause 0x7
	scratch_load_b128 v[8:11], off, off offset:400
	scratch_load_b128 v[80:83], off, off offset:416
	;; [unrolled: 1-line block ×8, first 2 shown]
	ds_load_b128 v[108:111], v2 offset:928
	ds_load_b128 v[112:115], v2 offset:944
	scratch_load_b128 v[116:119], off, off offset:384
	s_mov_b32 s2, exec_lo
	s_wait_loadcnt_dscnt 0x801
	v_mul_f64_e32 v[4:5], v[110:111], v[10:11]
	v_mul_f64_e32 v[12:13], v[108:109], v[10:11]
	s_wait_loadcnt_dscnt 0x700
	v_mul_f64_e32 v[120:121], v[112:113], v[82:83]
	v_mul_f64_e32 v[82:83], v[114:115], v[82:83]
	s_delay_alu instid0(VALU_DEP_4) | instskip(NEXT) | instid1(VALU_DEP_4)
	v_fma_f64 v[4:5], v[108:109], v[8:9], -v[4:5]
	v_fmac_f64_e32 v[12:13], v[110:111], v[8:9]
	ds_load_b128 v[8:11], v2 offset:960
	ds_load_b128 v[108:111], v2 offset:976
	v_fmac_f64_e32 v[120:121], v[114:115], v[80:81]
	v_fma_f64 v[80:81], v[112:113], v[80:81], -v[82:83]
	s_wait_loadcnt_dscnt 0x601
	v_mul_f64_e32 v[122:123], v[8:9], v[86:87]
	v_mul_f64_e32 v[86:87], v[10:11], v[86:87]
	s_wait_loadcnt_dscnt 0x500
	v_mul_f64_e32 v[112:113], v[108:109], v[90:91]
	v_mul_f64_e32 v[90:91], v[110:111], v[90:91]
	v_add_f64_e32 v[4:5], 0, v[4:5]
	v_add_f64_e32 v[12:13], 0, v[12:13]
	v_fmac_f64_e32 v[122:123], v[10:11], v[84:85]
	v_fma_f64 v[84:85], v[8:9], v[84:85], -v[86:87]
	v_fmac_f64_e32 v[112:113], v[110:111], v[88:89]
	v_fma_f64 v[88:89], v[108:109], v[88:89], -v[90:91]
	v_add_f64_e32 v[4:5], v[4:5], v[80:81]
	v_add_f64_e32 v[12:13], v[12:13], v[120:121]
	ds_load_b128 v[8:11], v2 offset:992
	ds_load_b128 v[80:83], v2 offset:1008
	s_wait_loadcnt_dscnt 0x401
	v_mul_f64_e32 v[86:87], v[8:9], v[94:95]
	v_mul_f64_e32 v[94:95], v[10:11], v[94:95]
	s_wait_loadcnt_dscnt 0x300
	v_mul_f64_e32 v[90:91], v[82:83], v[98:99]
	v_add_f64_e32 v[4:5], v[4:5], v[84:85]
	v_add_f64_e32 v[12:13], v[12:13], v[122:123]
	v_mul_f64_e32 v[84:85], v[80:81], v[98:99]
	v_fmac_f64_e32 v[86:87], v[10:11], v[92:93]
	v_fma_f64 v[92:93], v[8:9], v[92:93], -v[94:95]
	v_fma_f64 v[80:81], v[80:81], v[96:97], -v[90:91]
	v_add_f64_e32 v[88:89], v[4:5], v[88:89]
	v_add_f64_e32 v[12:13], v[12:13], v[112:113]
	ds_load_b128 v[8:11], v2 offset:1024
	ds_load_b128 v[2:5], v2 offset:1040
	v_fmac_f64_e32 v[84:85], v[82:83], v[96:97]
	s_wait_loadcnt_dscnt 0x201
	v_mul_f64_e32 v[94:95], v[8:9], v[102:103]
	v_mul_f64_e32 v[98:99], v[10:11], v[102:103]
	v_add_f64_e32 v[82:83], v[88:89], v[92:93]
	v_add_f64_e32 v[12:13], v[12:13], v[86:87]
	s_wait_loadcnt_dscnt 0x100
	v_mul_f64_e32 v[86:87], v[2:3], v[106:107]
	v_mul_f64_e32 v[88:89], v[4:5], v[106:107]
	v_fmac_f64_e32 v[94:95], v[10:11], v[100:101]
	v_fma_f64 v[8:9], v[8:9], v[100:101], -v[98:99]
	v_add_f64_e32 v[10:11], v[82:83], v[80:81]
	v_add_f64_e32 v[12:13], v[12:13], v[84:85]
	v_fmac_f64_e32 v[86:87], v[4:5], v[104:105]
	v_fma_f64 v[2:3], v[2:3], v[104:105], -v[88:89]
	s_delay_alu instid0(VALU_DEP_4) | instskip(NEXT) | instid1(VALU_DEP_4)
	v_add_f64_e32 v[4:5], v[10:11], v[8:9]
	v_add_f64_e32 v[8:9], v[12:13], v[94:95]
	s_delay_alu instid0(VALU_DEP_2) | instskip(NEXT) | instid1(VALU_DEP_2)
	v_add_f64_e32 v[2:3], v[4:5], v[2:3]
	v_add_f64_e32 v[4:5], v[8:9], v[86:87]
	s_wait_loadcnt 0x0
	s_delay_alu instid0(VALU_DEP_2) | instskip(NEXT) | instid1(VALU_DEP_2)
	v_add_f64_e64 v[2:3], v[116:117], -v[2:3]
	v_add_f64_e64 v[4:5], v[118:119], -v[4:5]
	scratch_store_b128 off, v[2:5], off offset:384
	s_wait_xcnt 0x0
	v_cmpx_lt_u32_e32 23, v1
	s_cbranch_execz .LBB96_165
; %bb.164:
	scratch_load_b128 v[2:5], off, s25
	v_mov_b32_e32 v8, 0
	s_delay_alu instid0(VALU_DEP_1)
	v_dual_mov_b32 v9, v8 :: v_dual_mov_b32 v10, v8
	v_mov_b32_e32 v11, v8
	scratch_store_b128 off, v[8:11], off offset:368
	s_wait_loadcnt 0x0
	ds_store_b128 v6, v[2:5]
.LBB96_165:
	s_wait_xcnt 0x0
	s_or_b32 exec_lo, exec_lo, s2
	s_wait_storecnt_dscnt 0x0
	s_barrier_signal -1
	s_barrier_wait -1
	s_clause 0x8
	scratch_load_b128 v[8:11], off, off offset:384
	scratch_load_b128 v[80:83], off, off offset:400
	;; [unrolled: 1-line block ×9, first 2 shown]
	v_mov_b32_e32 v2, 0
	scratch_load_b128 v[116:119], off, off offset:368
	s_mov_b32 s2, exec_lo
	ds_load_b128 v[112:115], v2 offset:912
	ds_load_b128 v[120:123], v2 offset:928
	s_wait_loadcnt_dscnt 0x901
	v_mul_f64_e32 v[4:5], v[114:115], v[10:11]
	v_mul_f64_e32 v[12:13], v[112:113], v[10:11]
	s_wait_loadcnt_dscnt 0x800
	v_mul_f64_e32 v[124:125], v[120:121], v[82:83]
	v_mul_f64_e32 v[82:83], v[122:123], v[82:83]
	s_delay_alu instid0(VALU_DEP_4) | instskip(NEXT) | instid1(VALU_DEP_4)
	v_fma_f64 v[4:5], v[112:113], v[8:9], -v[4:5]
	v_fmac_f64_e32 v[12:13], v[114:115], v[8:9]
	ds_load_b128 v[8:11], v2 offset:944
	ds_load_b128 v[112:115], v2 offset:960
	v_fmac_f64_e32 v[124:125], v[122:123], v[80:81]
	v_fma_f64 v[80:81], v[120:121], v[80:81], -v[82:83]
	s_wait_loadcnt_dscnt 0x701
	v_mul_f64_e32 v[126:127], v[8:9], v[86:87]
	v_mul_f64_e32 v[86:87], v[10:11], v[86:87]
	s_wait_loadcnt_dscnt 0x600
	v_mul_f64_e32 v[120:121], v[112:113], v[90:91]
	v_mul_f64_e32 v[90:91], v[114:115], v[90:91]
	v_add_f64_e32 v[4:5], 0, v[4:5]
	v_add_f64_e32 v[12:13], 0, v[12:13]
	v_fmac_f64_e32 v[126:127], v[10:11], v[84:85]
	v_fma_f64 v[84:85], v[8:9], v[84:85], -v[86:87]
	v_fmac_f64_e32 v[120:121], v[114:115], v[88:89]
	v_fma_f64 v[88:89], v[112:113], v[88:89], -v[90:91]
	v_add_f64_e32 v[4:5], v[4:5], v[80:81]
	v_add_f64_e32 v[12:13], v[12:13], v[124:125]
	ds_load_b128 v[8:11], v2 offset:976
	ds_load_b128 v[80:83], v2 offset:992
	s_wait_loadcnt_dscnt 0x501
	v_mul_f64_e32 v[122:123], v[8:9], v[94:95]
	v_mul_f64_e32 v[86:87], v[10:11], v[94:95]
	s_wait_loadcnt_dscnt 0x400
	v_mul_f64_e32 v[90:91], v[80:81], v[98:99]
	v_mul_f64_e32 v[94:95], v[82:83], v[98:99]
	v_add_f64_e32 v[4:5], v[4:5], v[84:85]
	v_add_f64_e32 v[12:13], v[12:13], v[126:127]
	v_fmac_f64_e32 v[122:123], v[10:11], v[92:93]
	v_fma_f64 v[92:93], v[8:9], v[92:93], -v[86:87]
	ds_load_b128 v[8:11], v2 offset:1008
	ds_load_b128 v[84:87], v2 offset:1024
	v_fmac_f64_e32 v[90:91], v[82:83], v[96:97]
	v_fma_f64 v[80:81], v[80:81], v[96:97], -v[94:95]
	v_add_f64_e32 v[4:5], v[4:5], v[88:89]
	v_add_f64_e32 v[12:13], v[12:13], v[120:121]
	s_wait_loadcnt_dscnt 0x301
	v_mul_f64_e32 v[88:89], v[8:9], v[102:103]
	v_mul_f64_e32 v[98:99], v[10:11], v[102:103]
	s_wait_loadcnt_dscnt 0x200
	v_mul_f64_e32 v[82:83], v[84:85], v[106:107]
	v_add_f64_e32 v[4:5], v[4:5], v[92:93]
	v_add_f64_e32 v[12:13], v[12:13], v[122:123]
	v_mul_f64_e32 v[92:93], v[86:87], v[106:107]
	v_fmac_f64_e32 v[88:89], v[10:11], v[100:101]
	v_fma_f64 v[94:95], v[8:9], v[100:101], -v[98:99]
	ds_load_b128 v[8:11], v2 offset:1040
	v_fmac_f64_e32 v[82:83], v[86:87], v[104:105]
	v_add_f64_e32 v[4:5], v[4:5], v[80:81]
	v_add_f64_e32 v[12:13], v[12:13], v[90:91]
	s_wait_loadcnt_dscnt 0x100
	v_mul_f64_e32 v[80:81], v[8:9], v[110:111]
	v_mul_f64_e32 v[90:91], v[10:11], v[110:111]
	v_fma_f64 v[84:85], v[84:85], v[104:105], -v[92:93]
	v_add_f64_e32 v[4:5], v[4:5], v[94:95]
	v_add_f64_e32 v[12:13], v[12:13], v[88:89]
	v_fmac_f64_e32 v[80:81], v[10:11], v[108:109]
	v_fma_f64 v[8:9], v[8:9], v[108:109], -v[90:91]
	s_delay_alu instid0(VALU_DEP_4) | instskip(NEXT) | instid1(VALU_DEP_4)
	v_add_f64_e32 v[4:5], v[4:5], v[84:85]
	v_add_f64_e32 v[10:11], v[12:13], v[82:83]
	s_delay_alu instid0(VALU_DEP_2) | instskip(NEXT) | instid1(VALU_DEP_2)
	v_add_f64_e32 v[4:5], v[4:5], v[8:9]
	v_add_f64_e32 v[10:11], v[10:11], v[80:81]
	s_wait_loadcnt 0x0
	s_delay_alu instid0(VALU_DEP_2) | instskip(NEXT) | instid1(VALU_DEP_2)
	v_add_f64_e64 v[8:9], v[116:117], -v[4:5]
	v_add_f64_e64 v[10:11], v[118:119], -v[10:11]
	scratch_store_b128 off, v[8:11], off offset:368
	s_wait_xcnt 0x0
	v_cmpx_lt_u32_e32 22, v1
	s_cbranch_execz .LBB96_167
; %bb.166:
	scratch_load_b128 v[8:11], off, s26
	v_dual_mov_b32 v3, v2 :: v_dual_mov_b32 v4, v2
	v_mov_b32_e32 v5, v2
	scratch_store_b128 off, v[2:5], off offset:352
	s_wait_loadcnt 0x0
	ds_store_b128 v6, v[8:11]
.LBB96_167:
	s_wait_xcnt 0x0
	s_or_b32 exec_lo, exec_lo, s2
	s_wait_storecnt_dscnt 0x0
	s_barrier_signal -1
	s_barrier_wait -1
	s_clause 0x9
	scratch_load_b128 v[8:11], off, off offset:368
	scratch_load_b128 v[80:83], off, off offset:384
	;; [unrolled: 1-line block ×10, first 2 shown]
	ds_load_b128 v[116:119], v2 offset:896
	ds_load_b128 v[120:123], v2 offset:912
	scratch_load_b128 v[124:127], off, off offset:352
	s_mov_b32 s2, exec_lo
	s_wait_loadcnt_dscnt 0xa01
	v_mul_f64_e32 v[4:5], v[118:119], v[10:11]
	v_mul_f64_e32 v[12:13], v[116:117], v[10:11]
	s_wait_loadcnt_dscnt 0x900
	v_mul_f64_e32 v[128:129], v[120:121], v[82:83]
	v_mul_f64_e32 v[82:83], v[122:123], v[82:83]
	s_delay_alu instid0(VALU_DEP_4) | instskip(NEXT) | instid1(VALU_DEP_4)
	v_fma_f64 v[4:5], v[116:117], v[8:9], -v[4:5]
	v_fmac_f64_e32 v[12:13], v[118:119], v[8:9]
	ds_load_b128 v[8:11], v2 offset:928
	ds_load_b128 v[116:119], v2 offset:944
	v_fmac_f64_e32 v[128:129], v[122:123], v[80:81]
	v_fma_f64 v[80:81], v[120:121], v[80:81], -v[82:83]
	s_wait_loadcnt_dscnt 0x801
	v_mul_f64_e32 v[130:131], v[8:9], v[86:87]
	v_mul_f64_e32 v[86:87], v[10:11], v[86:87]
	s_wait_loadcnt_dscnt 0x700
	v_mul_f64_e32 v[120:121], v[116:117], v[90:91]
	v_mul_f64_e32 v[90:91], v[118:119], v[90:91]
	v_add_f64_e32 v[4:5], 0, v[4:5]
	v_add_f64_e32 v[12:13], 0, v[12:13]
	v_fmac_f64_e32 v[130:131], v[10:11], v[84:85]
	v_fma_f64 v[84:85], v[8:9], v[84:85], -v[86:87]
	v_fmac_f64_e32 v[120:121], v[118:119], v[88:89]
	v_fma_f64 v[88:89], v[116:117], v[88:89], -v[90:91]
	v_add_f64_e32 v[4:5], v[4:5], v[80:81]
	v_add_f64_e32 v[12:13], v[12:13], v[128:129]
	ds_load_b128 v[8:11], v2 offset:960
	ds_load_b128 v[80:83], v2 offset:976
	s_wait_loadcnt_dscnt 0x601
	v_mul_f64_e32 v[122:123], v[8:9], v[94:95]
	v_mul_f64_e32 v[86:87], v[10:11], v[94:95]
	s_wait_loadcnt_dscnt 0x500
	v_mul_f64_e32 v[90:91], v[80:81], v[98:99]
	v_mul_f64_e32 v[94:95], v[82:83], v[98:99]
	v_add_f64_e32 v[4:5], v[4:5], v[84:85]
	v_add_f64_e32 v[12:13], v[12:13], v[130:131]
	v_fmac_f64_e32 v[122:123], v[10:11], v[92:93]
	v_fma_f64 v[92:93], v[8:9], v[92:93], -v[86:87]
	ds_load_b128 v[8:11], v2 offset:992
	ds_load_b128 v[84:87], v2 offset:1008
	v_fmac_f64_e32 v[90:91], v[82:83], v[96:97]
	v_fma_f64 v[80:81], v[80:81], v[96:97], -v[94:95]
	v_add_f64_e32 v[4:5], v[4:5], v[88:89]
	v_add_f64_e32 v[12:13], v[12:13], v[120:121]
	s_wait_loadcnt_dscnt 0x401
	v_mul_f64_e32 v[88:89], v[8:9], v[102:103]
	v_mul_f64_e32 v[98:99], v[10:11], v[102:103]
	s_wait_loadcnt_dscnt 0x300
	v_mul_f64_e32 v[82:83], v[84:85], v[106:107]
	v_add_f64_e32 v[4:5], v[4:5], v[92:93]
	v_add_f64_e32 v[12:13], v[12:13], v[122:123]
	v_mul_f64_e32 v[92:93], v[86:87], v[106:107]
	v_fmac_f64_e32 v[88:89], v[10:11], v[100:101]
	v_fma_f64 v[94:95], v[8:9], v[100:101], -v[98:99]
	v_fmac_f64_e32 v[82:83], v[86:87], v[104:105]
	v_add_f64_e32 v[80:81], v[4:5], v[80:81]
	v_add_f64_e32 v[12:13], v[12:13], v[90:91]
	ds_load_b128 v[8:11], v2 offset:1024
	ds_load_b128 v[2:5], v2 offset:1040
	v_fma_f64 v[84:85], v[84:85], v[104:105], -v[92:93]
	s_wait_loadcnt_dscnt 0x201
	v_mul_f64_e32 v[90:91], v[8:9], v[110:111]
	v_mul_f64_e32 v[96:97], v[10:11], v[110:111]
	s_wait_loadcnt_dscnt 0x100
	v_mul_f64_e32 v[86:87], v[2:3], v[114:115]
	v_add_f64_e32 v[80:81], v[80:81], v[94:95]
	v_add_f64_e32 v[12:13], v[12:13], v[88:89]
	v_mul_f64_e32 v[88:89], v[4:5], v[114:115]
	v_fmac_f64_e32 v[90:91], v[10:11], v[108:109]
	v_fma_f64 v[8:9], v[8:9], v[108:109], -v[96:97]
	v_fmac_f64_e32 v[86:87], v[4:5], v[112:113]
	v_add_f64_e32 v[10:11], v[80:81], v[84:85]
	v_add_f64_e32 v[12:13], v[12:13], v[82:83]
	v_fma_f64 v[2:3], v[2:3], v[112:113], -v[88:89]
	s_delay_alu instid0(VALU_DEP_3) | instskip(NEXT) | instid1(VALU_DEP_3)
	v_add_f64_e32 v[4:5], v[10:11], v[8:9]
	v_add_f64_e32 v[8:9], v[12:13], v[90:91]
	s_delay_alu instid0(VALU_DEP_2) | instskip(NEXT) | instid1(VALU_DEP_2)
	v_add_f64_e32 v[2:3], v[4:5], v[2:3]
	v_add_f64_e32 v[4:5], v[8:9], v[86:87]
	s_wait_loadcnt 0x0
	s_delay_alu instid0(VALU_DEP_2) | instskip(NEXT) | instid1(VALU_DEP_2)
	v_add_f64_e64 v[2:3], v[124:125], -v[2:3]
	v_add_f64_e64 v[4:5], v[126:127], -v[4:5]
	scratch_store_b128 off, v[2:5], off offset:352
	s_wait_xcnt 0x0
	v_cmpx_lt_u32_e32 21, v1
	s_cbranch_execz .LBB96_169
; %bb.168:
	scratch_load_b128 v[2:5], off, s27
	v_mov_b32_e32 v8, 0
	s_delay_alu instid0(VALU_DEP_1)
	v_dual_mov_b32 v9, v8 :: v_dual_mov_b32 v10, v8
	v_mov_b32_e32 v11, v8
	scratch_store_b128 off, v[8:11], off offset:336
	s_wait_loadcnt 0x0
	ds_store_b128 v6, v[2:5]
.LBB96_169:
	s_wait_xcnt 0x0
	s_or_b32 exec_lo, exec_lo, s2
	s_wait_storecnt_dscnt 0x0
	s_barrier_signal -1
	s_barrier_wait -1
	s_clause 0x9
	scratch_load_b128 v[8:11], off, off offset:352
	scratch_load_b128 v[80:83], off, off offset:368
	;; [unrolled: 1-line block ×10, first 2 shown]
	v_mov_b32_e32 v2, 0
	s_mov_b32 s2, exec_lo
	ds_load_b128 v[116:119], v2 offset:880
	s_clause 0x1
	scratch_load_b128 v[120:123], off, off offset:512
	scratch_load_b128 v[124:127], off, off offset:336
	s_wait_loadcnt_dscnt 0xb00
	v_mul_f64_e32 v[4:5], v[118:119], v[10:11]
	v_mul_f64_e32 v[12:13], v[116:117], v[10:11]
	ds_load_b128 v[128:131], v2 offset:896
	s_wait_loadcnt_dscnt 0xa00
	v_mul_f64_e32 v[132:133], v[128:129], v[82:83]
	v_mul_f64_e32 v[82:83], v[130:131], v[82:83]
	v_fma_f64 v[4:5], v[116:117], v[8:9], -v[4:5]
	v_fmac_f64_e32 v[12:13], v[118:119], v[8:9]
	ds_load_b128 v[8:11], v2 offset:912
	ds_load_b128 v[116:119], v2 offset:928
	s_wait_loadcnt_dscnt 0x901
	v_mul_f64_e32 v[134:135], v[8:9], v[86:87]
	v_mul_f64_e32 v[86:87], v[10:11], v[86:87]
	v_fmac_f64_e32 v[132:133], v[130:131], v[80:81]
	v_fma_f64 v[80:81], v[128:129], v[80:81], -v[82:83]
	s_wait_loadcnt_dscnt 0x800
	v_mul_f64_e32 v[128:129], v[116:117], v[90:91]
	v_mul_f64_e32 v[90:91], v[118:119], v[90:91]
	v_add_f64_e32 v[4:5], 0, v[4:5]
	v_add_f64_e32 v[12:13], 0, v[12:13]
	v_fmac_f64_e32 v[134:135], v[10:11], v[84:85]
	v_fma_f64 v[84:85], v[8:9], v[84:85], -v[86:87]
	v_fmac_f64_e32 v[128:129], v[118:119], v[88:89]
	v_fma_f64 v[88:89], v[116:117], v[88:89], -v[90:91]
	v_add_f64_e32 v[4:5], v[4:5], v[80:81]
	v_add_f64_e32 v[12:13], v[12:13], v[132:133]
	ds_load_b128 v[8:11], v2 offset:944
	ds_load_b128 v[80:83], v2 offset:960
	s_wait_loadcnt_dscnt 0x701
	v_mul_f64_e32 v[130:131], v[8:9], v[94:95]
	v_mul_f64_e32 v[86:87], v[10:11], v[94:95]
	s_wait_loadcnt_dscnt 0x600
	v_mul_f64_e32 v[90:91], v[80:81], v[98:99]
	v_mul_f64_e32 v[94:95], v[82:83], v[98:99]
	v_add_f64_e32 v[4:5], v[4:5], v[84:85]
	v_add_f64_e32 v[12:13], v[12:13], v[134:135]
	v_fmac_f64_e32 v[130:131], v[10:11], v[92:93]
	v_fma_f64 v[92:93], v[8:9], v[92:93], -v[86:87]
	ds_load_b128 v[8:11], v2 offset:976
	ds_load_b128 v[84:87], v2 offset:992
	v_fmac_f64_e32 v[90:91], v[82:83], v[96:97]
	v_fma_f64 v[80:81], v[80:81], v[96:97], -v[94:95]
	v_add_f64_e32 v[4:5], v[4:5], v[88:89]
	v_add_f64_e32 v[12:13], v[12:13], v[128:129]
	s_wait_loadcnt_dscnt 0x501
	v_mul_f64_e32 v[88:89], v[8:9], v[102:103]
	v_mul_f64_e32 v[98:99], v[10:11], v[102:103]
	s_wait_loadcnt_dscnt 0x400
	v_mul_f64_e32 v[94:95], v[86:87], v[106:107]
	v_add_f64_e32 v[4:5], v[4:5], v[92:93]
	v_add_f64_e32 v[12:13], v[12:13], v[130:131]
	v_mul_f64_e32 v[92:93], v[84:85], v[106:107]
	v_fmac_f64_e32 v[88:89], v[10:11], v[100:101]
	v_fma_f64 v[96:97], v[8:9], v[100:101], -v[98:99]
	v_fma_f64 v[84:85], v[84:85], v[104:105], -v[94:95]
	v_add_f64_e32 v[4:5], v[4:5], v[80:81]
	v_add_f64_e32 v[12:13], v[12:13], v[90:91]
	ds_load_b128 v[8:11], v2 offset:1008
	ds_load_b128 v[80:83], v2 offset:1024
	v_fmac_f64_e32 v[92:93], v[86:87], v[104:105]
	s_wait_loadcnt_dscnt 0x301
	v_mul_f64_e32 v[90:91], v[8:9], v[110:111]
	v_mul_f64_e32 v[98:99], v[10:11], v[110:111]
	s_wait_loadcnt_dscnt 0x200
	v_mul_f64_e32 v[86:87], v[80:81], v[114:115]
	v_add_f64_e32 v[4:5], v[4:5], v[96:97]
	v_add_f64_e32 v[12:13], v[12:13], v[88:89]
	v_mul_f64_e32 v[88:89], v[82:83], v[114:115]
	v_fmac_f64_e32 v[90:91], v[10:11], v[108:109]
	v_fma_f64 v[94:95], v[8:9], v[108:109], -v[98:99]
	ds_load_b128 v[8:11], v2 offset:1040
	v_fmac_f64_e32 v[86:87], v[82:83], v[112:113]
	v_add_f64_e32 v[4:5], v[4:5], v[84:85]
	v_add_f64_e32 v[12:13], v[12:13], v[92:93]
	v_fma_f64 v[80:81], v[80:81], v[112:113], -v[88:89]
	s_wait_loadcnt_dscnt 0x100
	v_mul_f64_e32 v[84:85], v[8:9], v[122:123]
	v_mul_f64_e32 v[92:93], v[10:11], v[122:123]
	v_add_f64_e32 v[4:5], v[4:5], v[94:95]
	v_add_f64_e32 v[12:13], v[12:13], v[90:91]
	s_delay_alu instid0(VALU_DEP_4) | instskip(NEXT) | instid1(VALU_DEP_4)
	v_fmac_f64_e32 v[84:85], v[10:11], v[120:121]
	v_fma_f64 v[8:9], v[8:9], v[120:121], -v[92:93]
	s_delay_alu instid0(VALU_DEP_4) | instskip(NEXT) | instid1(VALU_DEP_4)
	v_add_f64_e32 v[4:5], v[4:5], v[80:81]
	v_add_f64_e32 v[10:11], v[12:13], v[86:87]
	s_delay_alu instid0(VALU_DEP_2) | instskip(NEXT) | instid1(VALU_DEP_2)
	v_add_f64_e32 v[4:5], v[4:5], v[8:9]
	v_add_f64_e32 v[10:11], v[10:11], v[84:85]
	s_wait_loadcnt 0x0
	s_delay_alu instid0(VALU_DEP_2) | instskip(NEXT) | instid1(VALU_DEP_2)
	v_add_f64_e64 v[8:9], v[124:125], -v[4:5]
	v_add_f64_e64 v[10:11], v[126:127], -v[10:11]
	scratch_store_b128 off, v[8:11], off offset:336
	s_wait_xcnt 0x0
	v_cmpx_lt_u32_e32 20, v1
	s_cbranch_execz .LBB96_171
; %bb.170:
	scratch_load_b128 v[8:11], off, s28
	v_dual_mov_b32 v3, v2 :: v_dual_mov_b32 v4, v2
	v_mov_b32_e32 v5, v2
	scratch_store_b128 off, v[2:5], off offset:320
	s_wait_loadcnt 0x0
	ds_store_b128 v6, v[8:11]
.LBB96_171:
	s_wait_xcnt 0x0
	s_or_b32 exec_lo, exec_lo, s2
	s_wait_storecnt_dscnt 0x0
	s_barrier_signal -1
	s_barrier_wait -1
	s_clause 0x9
	scratch_load_b128 v[8:11], off, off offset:336
	scratch_load_b128 v[80:83], off, off offset:352
	;; [unrolled: 1-line block ×10, first 2 shown]
	ds_load_b128 v[116:119], v2 offset:864
	ds_load_b128 v[124:127], v2 offset:880
	s_clause 0x1
	scratch_load_b128 v[120:123], off, off offset:496
	scratch_load_b128 v[128:131], off, off offset:320
	s_mov_b32 s2, exec_lo
	s_wait_loadcnt_dscnt 0xb01
	v_mul_f64_e32 v[4:5], v[118:119], v[10:11]
	v_mul_f64_e32 v[136:137], v[116:117], v[10:11]
	scratch_load_b128 v[10:13], off, off offset:512
	s_wait_loadcnt_dscnt 0xb00
	v_mul_f64_e32 v[138:139], v[124:125], v[82:83]
	v_mul_f64_e32 v[82:83], v[126:127], v[82:83]
	v_fma_f64 v[4:5], v[116:117], v[8:9], -v[4:5]
	v_fmac_f64_e32 v[136:137], v[118:119], v[8:9]
	ds_load_b128 v[116:119], v2 offset:896
	ds_load_b128 v[132:135], v2 offset:912
	v_fmac_f64_e32 v[138:139], v[126:127], v[80:81]
	v_fma_f64 v[80:81], v[124:125], v[80:81], -v[82:83]
	s_wait_loadcnt_dscnt 0xa01
	v_mul_f64_e32 v[8:9], v[116:117], v[86:87]
	v_mul_f64_e32 v[86:87], v[118:119], v[86:87]
	s_wait_loadcnt_dscnt 0x900
	v_mul_f64_e32 v[124:125], v[132:133], v[90:91]
	v_mul_f64_e32 v[90:91], v[134:135], v[90:91]
	v_add_f64_e32 v[4:5], 0, v[4:5]
	v_add_f64_e32 v[82:83], 0, v[136:137]
	v_fmac_f64_e32 v[8:9], v[118:119], v[84:85]
	v_fma_f64 v[116:117], v[116:117], v[84:85], -v[86:87]
	v_fmac_f64_e32 v[124:125], v[134:135], v[88:89]
	v_fma_f64 v[88:89], v[132:133], v[88:89], -v[90:91]
	v_add_f64_e32 v[4:5], v[4:5], v[80:81]
	v_add_f64_e32 v[118:119], v[82:83], v[138:139]
	ds_load_b128 v[80:83], v2 offset:928
	ds_load_b128 v[84:87], v2 offset:944
	s_wait_loadcnt_dscnt 0x801
	v_mul_f64_e32 v[126:127], v[80:81], v[94:95]
	v_mul_f64_e32 v[94:95], v[82:83], v[94:95]
	v_add_f64_e32 v[4:5], v[4:5], v[116:117]
	v_add_f64_e32 v[8:9], v[118:119], v[8:9]
	s_wait_loadcnt_dscnt 0x700
	v_mul_f64_e32 v[116:117], v[84:85], v[98:99]
	v_mul_f64_e32 v[98:99], v[86:87], v[98:99]
	v_fmac_f64_e32 v[126:127], v[82:83], v[92:93]
	v_fma_f64 v[92:93], v[80:81], v[92:93], -v[94:95]
	v_add_f64_e32 v[4:5], v[4:5], v[88:89]
	v_add_f64_e32 v[8:9], v[8:9], v[124:125]
	ds_load_b128 v[80:83], v2 offset:960
	ds_load_b128 v[88:91], v2 offset:976
	v_fmac_f64_e32 v[116:117], v[86:87], v[96:97]
	v_fma_f64 v[84:85], v[84:85], v[96:97], -v[98:99]
	s_wait_loadcnt_dscnt 0x601
	v_mul_f64_e32 v[94:95], v[80:81], v[102:103]
	v_mul_f64_e32 v[102:103], v[82:83], v[102:103]
	s_wait_loadcnt_dscnt 0x500
	v_mul_f64_e32 v[96:97], v[90:91], v[106:107]
	v_add_f64_e32 v[4:5], v[4:5], v[92:93]
	v_add_f64_e32 v[8:9], v[8:9], v[126:127]
	v_mul_f64_e32 v[92:93], v[88:89], v[106:107]
	v_fmac_f64_e32 v[94:95], v[82:83], v[100:101]
	v_fma_f64 v[98:99], v[80:81], v[100:101], -v[102:103]
	v_fma_f64 v[88:89], v[88:89], v[104:105], -v[96:97]
	v_add_f64_e32 v[4:5], v[4:5], v[84:85]
	v_add_f64_e32 v[8:9], v[8:9], v[116:117]
	ds_load_b128 v[80:83], v2 offset:992
	ds_load_b128 v[84:87], v2 offset:1008
	v_fmac_f64_e32 v[92:93], v[90:91], v[104:105]
	s_wait_loadcnt_dscnt 0x401
	v_mul_f64_e32 v[100:101], v[80:81], v[110:111]
	v_mul_f64_e32 v[102:103], v[82:83], v[110:111]
	s_wait_loadcnt_dscnt 0x300
	v_mul_f64_e32 v[90:91], v[84:85], v[114:115]
	v_add_f64_e32 v[4:5], v[4:5], v[98:99]
	v_add_f64_e32 v[8:9], v[8:9], v[94:95]
	v_mul_f64_e32 v[94:95], v[86:87], v[114:115]
	v_fmac_f64_e32 v[100:101], v[82:83], v[108:109]
	v_fma_f64 v[96:97], v[80:81], v[108:109], -v[102:103]
	v_fmac_f64_e32 v[90:91], v[86:87], v[112:113]
	v_add_f64_e32 v[88:89], v[4:5], v[88:89]
	v_add_f64_e32 v[8:9], v[8:9], v[92:93]
	ds_load_b128 v[80:83], v2 offset:1024
	ds_load_b128 v[2:5], v2 offset:1040
	v_fma_f64 v[84:85], v[84:85], v[112:113], -v[94:95]
	s_wait_loadcnt_dscnt 0x201
	v_mul_f64_e32 v[92:93], v[80:81], v[122:123]
	v_mul_f64_e32 v[98:99], v[82:83], v[122:123]
	v_add_f64_e32 v[86:87], v[88:89], v[96:97]
	v_add_f64_e32 v[8:9], v[8:9], v[100:101]
	s_wait_loadcnt_dscnt 0x0
	v_mul_f64_e32 v[88:89], v[2:3], v[12:13]
	v_mul_f64_e32 v[12:13], v[4:5], v[12:13]
	v_fmac_f64_e32 v[92:93], v[82:83], v[120:121]
	v_fma_f64 v[80:81], v[80:81], v[120:121], -v[98:99]
	v_add_f64_e32 v[82:83], v[86:87], v[84:85]
	v_add_f64_e32 v[8:9], v[8:9], v[90:91]
	v_fmac_f64_e32 v[88:89], v[4:5], v[10:11]
	v_fma_f64 v[2:3], v[2:3], v[10:11], -v[12:13]
	s_delay_alu instid0(VALU_DEP_4) | instskip(NEXT) | instid1(VALU_DEP_4)
	v_add_f64_e32 v[4:5], v[82:83], v[80:81]
	v_add_f64_e32 v[8:9], v[8:9], v[92:93]
	s_delay_alu instid0(VALU_DEP_2) | instskip(NEXT) | instid1(VALU_DEP_2)
	v_add_f64_e32 v[2:3], v[4:5], v[2:3]
	v_add_f64_e32 v[4:5], v[8:9], v[88:89]
	s_delay_alu instid0(VALU_DEP_2) | instskip(NEXT) | instid1(VALU_DEP_2)
	v_add_f64_e64 v[2:3], v[128:129], -v[2:3]
	v_add_f64_e64 v[4:5], v[130:131], -v[4:5]
	scratch_store_b128 off, v[2:5], off offset:320
	s_wait_xcnt 0x0
	v_cmpx_lt_u32_e32 19, v1
	s_cbranch_execz .LBB96_173
; %bb.172:
	scratch_load_b128 v[2:5], off, s29
	v_mov_b32_e32 v8, 0
	s_delay_alu instid0(VALU_DEP_1)
	v_dual_mov_b32 v9, v8 :: v_dual_mov_b32 v10, v8
	v_mov_b32_e32 v11, v8
	scratch_store_b128 off, v[8:11], off offset:304
	s_wait_loadcnt 0x0
	ds_store_b128 v6, v[2:5]
.LBB96_173:
	s_wait_xcnt 0x0
	s_or_b32 exec_lo, exec_lo, s2
	s_wait_storecnt_dscnt 0x0
	s_barrier_signal -1
	s_barrier_wait -1
	s_clause 0x9
	scratch_load_b128 v[8:11], off, off offset:320
	scratch_load_b128 v[80:83], off, off offset:336
	;; [unrolled: 1-line block ×10, first 2 shown]
	v_mov_b32_e32 v2, 0
	s_mov_b32 s2, exec_lo
	ds_load_b128 v[116:119], v2 offset:848
	s_clause 0x2
	scratch_load_b128 v[120:123], off, off offset:480
	scratch_load_b128 v[124:127], off, off offset:304
	;; [unrolled: 1-line block ×3, first 2 shown]
	s_wait_loadcnt_dscnt 0xc00
	v_mul_f64_e32 v[4:5], v[118:119], v[10:11]
	v_mul_f64_e32 v[140:141], v[116:117], v[10:11]
	ds_load_b128 v[128:131], v2 offset:864
	scratch_load_b128 v[10:13], off, off offset:496
	ds_load_b128 v[136:139], v2 offset:896
	v_fma_f64 v[4:5], v[116:117], v[8:9], -v[4:5]
	v_fmac_f64_e32 v[140:141], v[118:119], v[8:9]
	ds_load_b128 v[116:119], v2 offset:880
	s_wait_loadcnt_dscnt 0xc02
	v_mul_f64_e32 v[142:143], v[128:129], v[82:83]
	v_mul_f64_e32 v[82:83], v[130:131], v[82:83]
	s_wait_loadcnt_dscnt 0xb00
	v_mul_f64_e32 v[8:9], v[116:117], v[86:87]
	v_mul_f64_e32 v[86:87], v[118:119], v[86:87]
	v_add_f64_e32 v[4:5], 0, v[4:5]
	v_fmac_f64_e32 v[142:143], v[130:131], v[80:81]
	v_fma_f64 v[80:81], v[128:129], v[80:81], -v[82:83]
	v_add_f64_e32 v[82:83], 0, v[140:141]
	s_wait_loadcnt 0xa
	v_mul_f64_e32 v[128:129], v[136:137], v[90:91]
	v_mul_f64_e32 v[90:91], v[138:139], v[90:91]
	v_fmac_f64_e32 v[8:9], v[118:119], v[84:85]
	v_fma_f64 v[116:117], v[116:117], v[84:85], -v[86:87]
	v_add_f64_e32 v[4:5], v[4:5], v[80:81]
	v_add_f64_e32 v[118:119], v[82:83], v[142:143]
	ds_load_b128 v[80:83], v2 offset:912
	ds_load_b128 v[84:87], v2 offset:928
	v_fmac_f64_e32 v[128:129], v[138:139], v[88:89]
	v_fma_f64 v[88:89], v[136:137], v[88:89], -v[90:91]
	s_wait_loadcnt_dscnt 0x901
	v_mul_f64_e32 v[130:131], v[80:81], v[94:95]
	v_mul_f64_e32 v[94:95], v[82:83], v[94:95]
	v_add_f64_e32 v[4:5], v[4:5], v[116:117]
	v_add_f64_e32 v[8:9], v[118:119], v[8:9]
	s_wait_loadcnt_dscnt 0x800
	v_mul_f64_e32 v[116:117], v[84:85], v[98:99]
	v_mul_f64_e32 v[98:99], v[86:87], v[98:99]
	v_fmac_f64_e32 v[130:131], v[82:83], v[92:93]
	v_fma_f64 v[92:93], v[80:81], v[92:93], -v[94:95]
	v_add_f64_e32 v[4:5], v[4:5], v[88:89]
	v_add_f64_e32 v[8:9], v[8:9], v[128:129]
	ds_load_b128 v[80:83], v2 offset:944
	ds_load_b128 v[88:91], v2 offset:960
	v_fmac_f64_e32 v[116:117], v[86:87], v[96:97]
	v_fma_f64 v[84:85], v[84:85], v[96:97], -v[98:99]
	s_wait_loadcnt_dscnt 0x701
	v_mul_f64_e32 v[94:95], v[80:81], v[102:103]
	v_mul_f64_e32 v[102:103], v[82:83], v[102:103]
	s_wait_loadcnt_dscnt 0x600
	v_mul_f64_e32 v[96:97], v[90:91], v[106:107]
	v_add_f64_e32 v[4:5], v[4:5], v[92:93]
	v_add_f64_e32 v[8:9], v[8:9], v[130:131]
	v_mul_f64_e32 v[92:93], v[88:89], v[106:107]
	v_fmac_f64_e32 v[94:95], v[82:83], v[100:101]
	v_fma_f64 v[98:99], v[80:81], v[100:101], -v[102:103]
	v_fma_f64 v[88:89], v[88:89], v[104:105], -v[96:97]
	v_add_f64_e32 v[4:5], v[4:5], v[84:85]
	v_add_f64_e32 v[8:9], v[8:9], v[116:117]
	ds_load_b128 v[80:83], v2 offset:976
	ds_load_b128 v[84:87], v2 offset:992
	v_fmac_f64_e32 v[92:93], v[90:91], v[104:105]
	s_wait_loadcnt_dscnt 0x501
	v_mul_f64_e32 v[100:101], v[80:81], v[110:111]
	v_mul_f64_e32 v[102:103], v[82:83], v[110:111]
	s_wait_loadcnt_dscnt 0x400
	v_mul_f64_e32 v[96:97], v[86:87], v[114:115]
	v_add_f64_e32 v[4:5], v[4:5], v[98:99]
	v_add_f64_e32 v[8:9], v[8:9], v[94:95]
	v_mul_f64_e32 v[94:95], v[84:85], v[114:115]
	v_fmac_f64_e32 v[100:101], v[82:83], v[108:109]
	v_fma_f64 v[98:99], v[80:81], v[108:109], -v[102:103]
	v_fma_f64 v[84:85], v[84:85], v[112:113], -v[96:97]
	v_add_f64_e32 v[4:5], v[4:5], v[88:89]
	v_add_f64_e32 v[8:9], v[8:9], v[92:93]
	ds_load_b128 v[80:83], v2 offset:1008
	ds_load_b128 v[88:91], v2 offset:1024
	v_fmac_f64_e32 v[94:95], v[86:87], v[112:113]
	s_wait_loadcnt_dscnt 0x301
	v_mul_f64_e32 v[92:93], v[80:81], v[122:123]
	v_mul_f64_e32 v[102:103], v[82:83], v[122:123]
	s_wait_loadcnt_dscnt 0x0
	v_mul_f64_e32 v[86:87], v[88:89], v[12:13]
	v_add_f64_e32 v[4:5], v[4:5], v[98:99]
	v_add_f64_e32 v[8:9], v[8:9], v[100:101]
	v_mul_f64_e32 v[12:13], v[90:91], v[12:13]
	v_fmac_f64_e32 v[92:93], v[82:83], v[120:121]
	v_fma_f64 v[96:97], v[80:81], v[120:121], -v[102:103]
	ds_load_b128 v[80:83], v2 offset:1040
	v_fmac_f64_e32 v[86:87], v[90:91], v[10:11]
	v_add_f64_e32 v[4:5], v[4:5], v[84:85]
	v_add_f64_e32 v[8:9], v[8:9], v[94:95]
	v_fma_f64 v[10:11], v[88:89], v[10:11], -v[12:13]
	s_wait_dscnt 0x0
	v_mul_f64_e32 v[84:85], v[80:81], v[134:135]
	v_mul_f64_e32 v[94:95], v[82:83], v[134:135]
	v_add_f64_e32 v[4:5], v[4:5], v[96:97]
	v_add_f64_e32 v[8:9], v[8:9], v[92:93]
	s_delay_alu instid0(VALU_DEP_4) | instskip(NEXT) | instid1(VALU_DEP_4)
	v_fmac_f64_e32 v[84:85], v[82:83], v[132:133]
	v_fma_f64 v[12:13], v[80:81], v[132:133], -v[94:95]
	s_delay_alu instid0(VALU_DEP_4) | instskip(NEXT) | instid1(VALU_DEP_4)
	v_add_f64_e32 v[4:5], v[4:5], v[10:11]
	v_add_f64_e32 v[8:9], v[8:9], v[86:87]
	s_delay_alu instid0(VALU_DEP_2) | instskip(NEXT) | instid1(VALU_DEP_2)
	v_add_f64_e32 v[4:5], v[4:5], v[12:13]
	v_add_f64_e32 v[10:11], v[8:9], v[84:85]
	s_delay_alu instid0(VALU_DEP_2) | instskip(NEXT) | instid1(VALU_DEP_2)
	v_add_f64_e64 v[8:9], v[124:125], -v[4:5]
	v_add_f64_e64 v[10:11], v[126:127], -v[10:11]
	scratch_store_b128 off, v[8:11], off offset:304
	s_wait_xcnt 0x0
	v_cmpx_lt_u32_e32 18, v1
	s_cbranch_execz .LBB96_175
; %bb.174:
	scratch_load_b128 v[8:11], off, s30
	v_dual_mov_b32 v3, v2 :: v_dual_mov_b32 v4, v2
	v_mov_b32_e32 v5, v2
	scratch_store_b128 off, v[2:5], off offset:288
	s_wait_loadcnt 0x0
	ds_store_b128 v6, v[8:11]
.LBB96_175:
	s_wait_xcnt 0x0
	s_or_b32 exec_lo, exec_lo, s2
	s_wait_storecnt_dscnt 0x0
	s_barrier_signal -1
	s_barrier_wait -1
	s_clause 0x9
	scratch_load_b128 v[8:11], off, off offset:304
	scratch_load_b128 v[80:83], off, off offset:320
	;; [unrolled: 1-line block ×10, first 2 shown]
	ds_load_b128 v[116:119], v2 offset:832
	ds_load_b128 v[124:127], v2 offset:848
	s_clause 0x1
	scratch_load_b128 v[120:123], off, off offset:464
	scratch_load_b128 v[128:131], off, off offset:288
	s_mov_b32 s2, exec_lo
	s_wait_loadcnt_dscnt 0xb01
	v_mul_f64_e32 v[4:5], v[118:119], v[10:11]
	v_mul_f64_e32 v[140:141], v[116:117], v[10:11]
	scratch_load_b128 v[10:13], off, off offset:480
	s_wait_loadcnt_dscnt 0xb00
	v_mul_f64_e32 v[142:143], v[124:125], v[82:83]
	v_mul_f64_e32 v[82:83], v[126:127], v[82:83]
	v_fma_f64 v[4:5], v[116:117], v[8:9], -v[4:5]
	v_fmac_f64_e32 v[140:141], v[118:119], v[8:9]
	ds_load_b128 v[116:119], v2 offset:864
	ds_load_b128 v[132:135], v2 offset:880
	scratch_load_b128 v[136:139], off, off offset:496
	v_fmac_f64_e32 v[142:143], v[126:127], v[80:81]
	v_fma_f64 v[124:125], v[124:125], v[80:81], -v[82:83]
	scratch_load_b128 v[80:83], off, off offset:512
	s_wait_loadcnt_dscnt 0xc01
	v_mul_f64_e32 v[8:9], v[116:117], v[86:87]
	v_mul_f64_e32 v[86:87], v[118:119], v[86:87]
	v_add_f64_e32 v[4:5], 0, v[4:5]
	v_add_f64_e32 v[126:127], 0, v[140:141]
	s_wait_loadcnt_dscnt 0xb00
	v_mul_f64_e32 v[140:141], v[132:133], v[90:91]
	v_mul_f64_e32 v[90:91], v[134:135], v[90:91]
	v_fmac_f64_e32 v[8:9], v[118:119], v[84:85]
	v_fma_f64 v[144:145], v[116:117], v[84:85], -v[86:87]
	ds_load_b128 v[84:87], v2 offset:896
	ds_load_b128 v[116:119], v2 offset:912
	v_add_f64_e32 v[4:5], v[4:5], v[124:125]
	v_add_f64_e32 v[124:125], v[126:127], v[142:143]
	v_fmac_f64_e32 v[140:141], v[134:135], v[88:89]
	v_fma_f64 v[88:89], v[132:133], v[88:89], -v[90:91]
	s_wait_loadcnt_dscnt 0xa01
	v_mul_f64_e32 v[126:127], v[84:85], v[94:95]
	v_mul_f64_e32 v[94:95], v[86:87], v[94:95]
	v_add_f64_e32 v[4:5], v[4:5], v[144:145]
	v_add_f64_e32 v[8:9], v[124:125], v[8:9]
	s_wait_loadcnt_dscnt 0x900
	v_mul_f64_e32 v[124:125], v[116:117], v[98:99]
	v_mul_f64_e32 v[98:99], v[118:119], v[98:99]
	v_fmac_f64_e32 v[126:127], v[86:87], v[92:93]
	v_fma_f64 v[92:93], v[84:85], v[92:93], -v[94:95]
	v_add_f64_e32 v[4:5], v[4:5], v[88:89]
	v_add_f64_e32 v[8:9], v[8:9], v[140:141]
	ds_load_b128 v[84:87], v2 offset:928
	ds_load_b128 v[88:91], v2 offset:944
	v_fmac_f64_e32 v[124:125], v[118:119], v[96:97]
	v_fma_f64 v[96:97], v[116:117], v[96:97], -v[98:99]
	s_wait_loadcnt_dscnt 0x801
	v_mul_f64_e32 v[132:133], v[84:85], v[102:103]
	v_mul_f64_e32 v[94:95], v[86:87], v[102:103]
	s_wait_loadcnt_dscnt 0x700
	v_mul_f64_e32 v[98:99], v[88:89], v[106:107]
	v_mul_f64_e32 v[102:103], v[90:91], v[106:107]
	v_add_f64_e32 v[4:5], v[4:5], v[92:93]
	v_add_f64_e32 v[8:9], v[8:9], v[126:127]
	v_fmac_f64_e32 v[132:133], v[86:87], v[100:101]
	v_fma_f64 v[100:101], v[84:85], v[100:101], -v[94:95]
	ds_load_b128 v[84:87], v2 offset:960
	ds_load_b128 v[92:95], v2 offset:976
	v_fmac_f64_e32 v[98:99], v[90:91], v[104:105]
	v_fma_f64 v[88:89], v[88:89], v[104:105], -v[102:103]
	v_add_f64_e32 v[4:5], v[4:5], v[96:97]
	v_add_f64_e32 v[8:9], v[8:9], v[124:125]
	s_wait_loadcnt_dscnt 0x601
	v_mul_f64_e32 v[96:97], v[84:85], v[110:111]
	v_mul_f64_e32 v[106:107], v[86:87], v[110:111]
	s_wait_loadcnt_dscnt 0x500
	v_mul_f64_e32 v[102:103], v[94:95], v[114:115]
	v_add_f64_e32 v[4:5], v[4:5], v[100:101]
	v_add_f64_e32 v[8:9], v[8:9], v[132:133]
	v_mul_f64_e32 v[100:101], v[92:93], v[114:115]
	v_fmac_f64_e32 v[96:97], v[86:87], v[108:109]
	v_fma_f64 v[104:105], v[84:85], v[108:109], -v[106:107]
	v_fma_f64 v[92:93], v[92:93], v[112:113], -v[102:103]
	v_add_f64_e32 v[4:5], v[4:5], v[88:89]
	v_add_f64_e32 v[8:9], v[8:9], v[98:99]
	ds_load_b128 v[84:87], v2 offset:992
	ds_load_b128 v[88:91], v2 offset:1008
	v_fmac_f64_e32 v[100:101], v[94:95], v[112:113]
	s_wait_loadcnt_dscnt 0x401
	v_mul_f64_e32 v[98:99], v[84:85], v[122:123]
	v_mul_f64_e32 v[106:107], v[86:87], v[122:123]
	v_add_f64_e32 v[4:5], v[4:5], v[104:105]
	v_add_f64_e32 v[8:9], v[8:9], v[96:97]
	s_wait_loadcnt_dscnt 0x200
	v_mul_f64_e32 v[94:95], v[88:89], v[12:13]
	v_mul_f64_e32 v[12:13], v[90:91], v[12:13]
	v_fmac_f64_e32 v[98:99], v[86:87], v[120:121]
	v_fma_f64 v[96:97], v[84:85], v[120:121], -v[106:107]
	v_add_f64_e32 v[92:93], v[4:5], v[92:93]
	v_add_f64_e32 v[8:9], v[8:9], v[100:101]
	ds_load_b128 v[84:87], v2 offset:1024
	ds_load_b128 v[2:5], v2 offset:1040
	v_fmac_f64_e32 v[94:95], v[90:91], v[10:11]
	v_fma_f64 v[10:11], v[88:89], v[10:11], -v[12:13]
	s_wait_loadcnt_dscnt 0x101
	v_mul_f64_e32 v[100:101], v[84:85], v[138:139]
	v_mul_f64_e32 v[102:103], v[86:87], v[138:139]
	s_wait_loadcnt_dscnt 0x0
	v_mul_f64_e32 v[88:89], v[2:3], v[82:83]
	v_mul_f64_e32 v[82:83], v[4:5], v[82:83]
	v_add_f64_e32 v[12:13], v[92:93], v[96:97]
	v_add_f64_e32 v[8:9], v[8:9], v[98:99]
	v_fmac_f64_e32 v[100:101], v[86:87], v[136:137]
	v_fma_f64 v[84:85], v[84:85], v[136:137], -v[102:103]
	v_fmac_f64_e32 v[88:89], v[4:5], v[80:81]
	v_fma_f64 v[2:3], v[2:3], v[80:81], -v[82:83]
	v_add_f64_e32 v[10:11], v[12:13], v[10:11]
	v_add_f64_e32 v[8:9], v[8:9], v[94:95]
	s_delay_alu instid0(VALU_DEP_2) | instskip(NEXT) | instid1(VALU_DEP_2)
	v_add_f64_e32 v[4:5], v[10:11], v[84:85]
	v_add_f64_e32 v[8:9], v[8:9], v[100:101]
	s_delay_alu instid0(VALU_DEP_2) | instskip(NEXT) | instid1(VALU_DEP_2)
	;; [unrolled: 3-line block ×3, first 2 shown]
	v_add_f64_e64 v[2:3], v[128:129], -v[2:3]
	v_add_f64_e64 v[4:5], v[130:131], -v[4:5]
	scratch_store_b128 off, v[2:5], off offset:288
	s_wait_xcnt 0x0
	v_cmpx_lt_u32_e32 17, v1
	s_cbranch_execz .LBB96_177
; %bb.176:
	scratch_load_b128 v[2:5], off, s31
	v_mov_b32_e32 v8, 0
	s_delay_alu instid0(VALU_DEP_1)
	v_dual_mov_b32 v9, v8 :: v_dual_mov_b32 v10, v8
	v_mov_b32_e32 v11, v8
	scratch_store_b128 off, v[8:11], off offset:272
	s_wait_loadcnt 0x0
	ds_store_b128 v6, v[2:5]
.LBB96_177:
	s_wait_xcnt 0x0
	s_or_b32 exec_lo, exec_lo, s2
	s_wait_storecnt_dscnt 0x0
	s_barrier_signal -1
	s_barrier_wait -1
	s_clause 0x9
	scratch_load_b128 v[8:11], off, off offset:288
	scratch_load_b128 v[80:83], off, off offset:304
	;; [unrolled: 1-line block ×10, first 2 shown]
	v_mov_b32_e32 v2, 0
	s_mov_b32 s2, exec_lo
	ds_load_b128 v[116:119], v2 offset:816
	s_clause 0x2
	scratch_load_b128 v[120:123], off, off offset:448
	scratch_load_b128 v[124:127], off, off offset:272
	;; [unrolled: 1-line block ×3, first 2 shown]
	s_wait_loadcnt_dscnt 0xc00
	v_mul_f64_e32 v[4:5], v[118:119], v[10:11]
	v_mul_f64_e32 v[140:141], v[116:117], v[10:11]
	ds_load_b128 v[128:131], v2 offset:832
	scratch_load_b128 v[10:13], off, off offset:464
	ds_load_b128 v[136:139], v2 offset:864
	v_fma_f64 v[4:5], v[116:117], v[8:9], -v[4:5]
	v_fmac_f64_e32 v[140:141], v[118:119], v[8:9]
	ds_load_b128 v[116:119], v2 offset:848
	s_wait_loadcnt_dscnt 0xc02
	v_mul_f64_e32 v[142:143], v[128:129], v[82:83]
	v_mul_f64_e32 v[82:83], v[130:131], v[82:83]
	s_wait_loadcnt_dscnt 0xb00
	v_mul_f64_e32 v[8:9], v[116:117], v[86:87]
	v_mul_f64_e32 v[86:87], v[118:119], v[86:87]
	v_add_f64_e32 v[4:5], 0, v[4:5]
	v_fmac_f64_e32 v[142:143], v[130:131], v[80:81]
	v_fma_f64 v[128:129], v[128:129], v[80:81], -v[82:83]
	v_add_f64_e32 v[130:131], 0, v[140:141]
	scratch_load_b128 v[80:83], off, off offset:496
	v_fmac_f64_e32 v[8:9], v[118:119], v[84:85]
	v_fma_f64 v[144:145], v[116:117], v[84:85], -v[86:87]
	ds_load_b128 v[84:87], v2 offset:880
	s_wait_loadcnt 0xb
	v_mul_f64_e32 v[140:141], v[136:137], v[90:91]
	v_mul_f64_e32 v[90:91], v[138:139], v[90:91]
	scratch_load_b128 v[116:119], off, off offset:512
	v_add_f64_e32 v[4:5], v[4:5], v[128:129]
	v_add_f64_e32 v[142:143], v[130:131], v[142:143]
	ds_load_b128 v[128:131], v2 offset:896
	s_wait_loadcnt_dscnt 0xb01
	v_mul_f64_e32 v[146:147], v[84:85], v[94:95]
	v_mul_f64_e32 v[94:95], v[86:87], v[94:95]
	v_fmac_f64_e32 v[140:141], v[138:139], v[88:89]
	v_fma_f64 v[88:89], v[136:137], v[88:89], -v[90:91]
	s_wait_loadcnt_dscnt 0xa00
	v_mul_f64_e32 v[136:137], v[128:129], v[98:99]
	v_mul_f64_e32 v[98:99], v[130:131], v[98:99]
	v_add_f64_e32 v[4:5], v[4:5], v[144:145]
	v_add_f64_e32 v[8:9], v[142:143], v[8:9]
	v_fmac_f64_e32 v[146:147], v[86:87], v[92:93]
	v_fma_f64 v[92:93], v[84:85], v[92:93], -v[94:95]
	v_fmac_f64_e32 v[136:137], v[130:131], v[96:97]
	v_fma_f64 v[96:97], v[128:129], v[96:97], -v[98:99]
	v_add_f64_e32 v[4:5], v[4:5], v[88:89]
	v_add_f64_e32 v[8:9], v[8:9], v[140:141]
	ds_load_b128 v[84:87], v2 offset:912
	ds_load_b128 v[88:91], v2 offset:928
	s_wait_loadcnt_dscnt 0x901
	v_mul_f64_e32 v[138:139], v[84:85], v[102:103]
	v_mul_f64_e32 v[94:95], v[86:87], v[102:103]
	s_wait_loadcnt_dscnt 0x800
	v_mul_f64_e32 v[98:99], v[88:89], v[106:107]
	v_mul_f64_e32 v[102:103], v[90:91], v[106:107]
	v_add_f64_e32 v[4:5], v[4:5], v[92:93]
	v_add_f64_e32 v[8:9], v[8:9], v[146:147]
	v_fmac_f64_e32 v[138:139], v[86:87], v[100:101]
	v_fma_f64 v[100:101], v[84:85], v[100:101], -v[94:95]
	ds_load_b128 v[84:87], v2 offset:944
	ds_load_b128 v[92:95], v2 offset:960
	v_fmac_f64_e32 v[98:99], v[90:91], v[104:105]
	v_fma_f64 v[88:89], v[88:89], v[104:105], -v[102:103]
	v_add_f64_e32 v[4:5], v[4:5], v[96:97]
	v_add_f64_e32 v[8:9], v[8:9], v[136:137]
	s_wait_loadcnt_dscnt 0x701
	v_mul_f64_e32 v[96:97], v[84:85], v[110:111]
	v_mul_f64_e32 v[106:107], v[86:87], v[110:111]
	s_wait_loadcnt_dscnt 0x600
	v_mul_f64_e32 v[102:103], v[94:95], v[114:115]
	v_add_f64_e32 v[4:5], v[4:5], v[100:101]
	v_add_f64_e32 v[8:9], v[8:9], v[138:139]
	v_mul_f64_e32 v[100:101], v[92:93], v[114:115]
	v_fmac_f64_e32 v[96:97], v[86:87], v[108:109]
	v_fma_f64 v[104:105], v[84:85], v[108:109], -v[106:107]
	v_fma_f64 v[92:93], v[92:93], v[112:113], -v[102:103]
	v_add_f64_e32 v[4:5], v[4:5], v[88:89]
	v_add_f64_e32 v[8:9], v[8:9], v[98:99]
	ds_load_b128 v[84:87], v2 offset:976
	ds_load_b128 v[88:91], v2 offset:992
	v_fmac_f64_e32 v[100:101], v[94:95], v[112:113]
	s_wait_loadcnt_dscnt 0x501
	v_mul_f64_e32 v[98:99], v[84:85], v[122:123]
	v_mul_f64_e32 v[106:107], v[86:87], v[122:123]
	v_add_f64_e32 v[4:5], v[4:5], v[104:105]
	v_add_f64_e32 v[8:9], v[8:9], v[96:97]
	s_wait_loadcnt_dscnt 0x200
	v_mul_f64_e32 v[96:97], v[88:89], v[12:13]
	v_mul_f64_e32 v[12:13], v[90:91], v[12:13]
	v_fmac_f64_e32 v[98:99], v[86:87], v[120:121]
	v_fma_f64 v[102:103], v[84:85], v[120:121], -v[106:107]
	v_add_f64_e32 v[4:5], v[4:5], v[92:93]
	v_add_f64_e32 v[8:9], v[8:9], v[100:101]
	ds_load_b128 v[84:87], v2 offset:1008
	ds_load_b128 v[92:95], v2 offset:1024
	v_fmac_f64_e32 v[96:97], v[90:91], v[10:11]
	v_fma_f64 v[10:11], v[88:89], v[10:11], -v[12:13]
	s_wait_dscnt 0x1
	v_mul_f64_e32 v[100:101], v[84:85], v[134:135]
	v_mul_f64_e32 v[104:105], v[86:87], v[134:135]
	v_add_f64_e32 v[4:5], v[4:5], v[102:103]
	v_add_f64_e32 v[8:9], v[8:9], v[98:99]
	s_wait_loadcnt_dscnt 0x100
	v_mul_f64_e32 v[12:13], v[92:93], v[82:83]
	v_mul_f64_e32 v[82:83], v[94:95], v[82:83]
	v_fmac_f64_e32 v[100:101], v[86:87], v[132:133]
	v_fma_f64 v[84:85], v[84:85], v[132:133], -v[104:105]
	v_add_f64_e32 v[4:5], v[4:5], v[10:11]
	v_add_f64_e32 v[86:87], v[8:9], v[96:97]
	ds_load_b128 v[8:11], v2 offset:1040
	v_fmac_f64_e32 v[12:13], v[94:95], v[80:81]
	v_fma_f64 v[80:81], v[92:93], v[80:81], -v[82:83]
	s_wait_loadcnt_dscnt 0x0
	v_mul_f64_e32 v[88:89], v[8:9], v[118:119]
	v_mul_f64_e32 v[90:91], v[10:11], v[118:119]
	v_add_f64_e32 v[4:5], v[4:5], v[84:85]
	v_add_f64_e32 v[82:83], v[86:87], v[100:101]
	s_delay_alu instid0(VALU_DEP_4) | instskip(NEXT) | instid1(VALU_DEP_4)
	v_fmac_f64_e32 v[88:89], v[10:11], v[116:117]
	v_fma_f64 v[8:9], v[8:9], v[116:117], -v[90:91]
	s_delay_alu instid0(VALU_DEP_4) | instskip(NEXT) | instid1(VALU_DEP_4)
	v_add_f64_e32 v[4:5], v[4:5], v[80:81]
	v_add_f64_e32 v[10:11], v[82:83], v[12:13]
	s_delay_alu instid0(VALU_DEP_2) | instskip(NEXT) | instid1(VALU_DEP_2)
	v_add_f64_e32 v[4:5], v[4:5], v[8:9]
	v_add_f64_e32 v[10:11], v[10:11], v[88:89]
	s_delay_alu instid0(VALU_DEP_2) | instskip(NEXT) | instid1(VALU_DEP_2)
	v_add_f64_e64 v[8:9], v[124:125], -v[4:5]
	v_add_f64_e64 v[10:11], v[126:127], -v[10:11]
	scratch_store_b128 off, v[8:11], off offset:272
	s_wait_xcnt 0x0
	v_cmpx_lt_u32_e32 16, v1
	s_cbranch_execz .LBB96_179
; %bb.178:
	scratch_load_b128 v[8:11], off, s33
	v_dual_mov_b32 v3, v2 :: v_dual_mov_b32 v4, v2
	v_mov_b32_e32 v5, v2
	scratch_store_b128 off, v[2:5], off offset:256
	s_wait_loadcnt 0x0
	ds_store_b128 v6, v[8:11]
.LBB96_179:
	s_wait_xcnt 0x0
	s_or_b32 exec_lo, exec_lo, s2
	s_wait_storecnt_dscnt 0x0
	s_barrier_signal -1
	s_barrier_wait -1
	s_clause 0x9
	scratch_load_b128 v[8:11], off, off offset:272
	scratch_load_b128 v[80:83], off, off offset:288
	;; [unrolled: 1-line block ×10, first 2 shown]
	ds_load_b128 v[116:119], v2 offset:800
	ds_load_b128 v[124:127], v2 offset:816
	s_clause 0x1
	scratch_load_b128 v[120:123], off, off offset:432
	scratch_load_b128 v[128:131], off, off offset:256
	s_mov_b32 s2, exec_lo
	s_wait_loadcnt_dscnt 0xb01
	v_mul_f64_e32 v[4:5], v[118:119], v[10:11]
	v_mul_f64_e32 v[140:141], v[116:117], v[10:11]
	scratch_load_b128 v[10:13], off, off offset:448
	s_wait_loadcnt_dscnt 0xb00
	v_mul_f64_e32 v[142:143], v[124:125], v[82:83]
	v_mul_f64_e32 v[82:83], v[126:127], v[82:83]
	v_fma_f64 v[4:5], v[116:117], v[8:9], -v[4:5]
	v_fmac_f64_e32 v[140:141], v[118:119], v[8:9]
	ds_load_b128 v[116:119], v2 offset:832
	ds_load_b128 v[132:135], v2 offset:848
	scratch_load_b128 v[136:139], off, off offset:464
	v_fmac_f64_e32 v[142:143], v[126:127], v[80:81]
	v_fma_f64 v[124:125], v[124:125], v[80:81], -v[82:83]
	scratch_load_b128 v[80:83], off, off offset:480
	s_wait_loadcnt_dscnt 0xc01
	v_mul_f64_e32 v[8:9], v[116:117], v[86:87]
	v_mul_f64_e32 v[86:87], v[118:119], v[86:87]
	v_add_f64_e32 v[4:5], 0, v[4:5]
	v_add_f64_e32 v[126:127], 0, v[140:141]
	s_wait_loadcnt_dscnt 0xb00
	v_mul_f64_e32 v[140:141], v[132:133], v[90:91]
	v_mul_f64_e32 v[90:91], v[134:135], v[90:91]
	v_fmac_f64_e32 v[8:9], v[118:119], v[84:85]
	v_fma_f64 v[144:145], v[116:117], v[84:85], -v[86:87]
	ds_load_b128 v[84:87], v2 offset:864
	ds_load_b128 v[116:119], v2 offset:880
	v_add_f64_e32 v[4:5], v[4:5], v[124:125]
	v_add_f64_e32 v[142:143], v[126:127], v[142:143]
	scratch_load_b128 v[124:127], off, off offset:496
	v_fmac_f64_e32 v[140:141], v[134:135], v[88:89]
	v_fma_f64 v[132:133], v[132:133], v[88:89], -v[90:91]
	scratch_load_b128 v[88:91], off, off offset:512
	s_wait_loadcnt_dscnt 0xc01
	v_mul_f64_e32 v[146:147], v[84:85], v[94:95]
	v_mul_f64_e32 v[94:95], v[86:87], v[94:95]
	s_wait_loadcnt_dscnt 0xb00
	v_mul_f64_e32 v[134:135], v[116:117], v[98:99]
	v_mul_f64_e32 v[98:99], v[118:119], v[98:99]
	v_add_f64_e32 v[4:5], v[4:5], v[144:145]
	v_add_f64_e32 v[8:9], v[142:143], v[8:9]
	v_fmac_f64_e32 v[146:147], v[86:87], v[92:93]
	v_fma_f64 v[142:143], v[84:85], v[92:93], -v[94:95]
	ds_load_b128 v[84:87], v2 offset:896
	ds_load_b128 v[92:95], v2 offset:912
	v_fmac_f64_e32 v[134:135], v[118:119], v[96:97]
	v_fma_f64 v[96:97], v[116:117], v[96:97], -v[98:99]
	s_wait_loadcnt_dscnt 0x900
	v_mul_f64_e32 v[116:117], v[92:93], v[106:107]
	v_add_f64_e32 v[4:5], v[4:5], v[132:133]
	v_add_f64_e32 v[8:9], v[8:9], v[140:141]
	v_mul_f64_e32 v[132:133], v[84:85], v[102:103]
	v_mul_f64_e32 v[102:103], v[86:87], v[102:103]
	;; [unrolled: 1-line block ×3, first 2 shown]
	v_fmac_f64_e32 v[116:117], v[94:95], v[104:105]
	v_add_f64_e32 v[4:5], v[4:5], v[142:143]
	v_add_f64_e32 v[8:9], v[8:9], v[146:147]
	v_fmac_f64_e32 v[132:133], v[86:87], v[100:101]
	v_fma_f64 v[100:101], v[84:85], v[100:101], -v[102:103]
	v_fma_f64 v[92:93], v[92:93], v[104:105], -v[106:107]
	v_add_f64_e32 v[4:5], v[4:5], v[96:97]
	v_add_f64_e32 v[8:9], v[8:9], v[134:135]
	ds_load_b128 v[84:87], v2 offset:928
	ds_load_b128 v[96:99], v2 offset:944
	s_wait_loadcnt_dscnt 0x801
	v_mul_f64_e32 v[102:103], v[84:85], v[110:111]
	v_mul_f64_e32 v[110:111], v[86:87], v[110:111]
	s_wait_loadcnt_dscnt 0x700
	v_mul_f64_e32 v[104:105], v[98:99], v[114:115]
	v_add_f64_e32 v[4:5], v[4:5], v[100:101]
	v_add_f64_e32 v[8:9], v[8:9], v[132:133]
	v_mul_f64_e32 v[100:101], v[96:97], v[114:115]
	v_fmac_f64_e32 v[102:103], v[86:87], v[108:109]
	v_fma_f64 v[106:107], v[84:85], v[108:109], -v[110:111]
	v_fma_f64 v[96:97], v[96:97], v[112:113], -v[104:105]
	v_add_f64_e32 v[4:5], v[4:5], v[92:93]
	v_add_f64_e32 v[8:9], v[8:9], v[116:117]
	ds_load_b128 v[84:87], v2 offset:960
	ds_load_b128 v[92:95], v2 offset:976
	v_fmac_f64_e32 v[100:101], v[98:99], v[112:113]
	s_wait_loadcnt_dscnt 0x601
	v_mul_f64_e32 v[108:109], v[84:85], v[122:123]
	v_mul_f64_e32 v[110:111], v[86:87], v[122:123]
	v_add_f64_e32 v[4:5], v[4:5], v[106:107]
	v_add_f64_e32 v[8:9], v[8:9], v[102:103]
	s_wait_loadcnt_dscnt 0x400
	v_mul_f64_e32 v[102:103], v[92:93], v[12:13]
	v_mul_f64_e32 v[12:13], v[94:95], v[12:13]
	v_fmac_f64_e32 v[108:109], v[86:87], v[120:121]
	v_fma_f64 v[104:105], v[84:85], v[120:121], -v[110:111]
	v_add_f64_e32 v[4:5], v[4:5], v[96:97]
	v_add_f64_e32 v[8:9], v[8:9], v[100:101]
	ds_load_b128 v[84:87], v2 offset:992
	ds_load_b128 v[96:99], v2 offset:1008
	v_fmac_f64_e32 v[102:103], v[94:95], v[10:11]
	v_fma_f64 v[10:11], v[92:93], v[10:11], -v[12:13]
	s_wait_loadcnt_dscnt 0x301
	v_mul_f64_e32 v[100:101], v[84:85], v[138:139]
	v_mul_f64_e32 v[106:107], v[86:87], v[138:139]
	s_wait_loadcnt_dscnt 0x200
	v_mul_f64_e32 v[12:13], v[96:97], v[82:83]
	v_mul_f64_e32 v[82:83], v[98:99], v[82:83]
	v_add_f64_e32 v[4:5], v[4:5], v[104:105]
	v_add_f64_e32 v[8:9], v[8:9], v[108:109]
	v_fmac_f64_e32 v[100:101], v[86:87], v[136:137]
	v_fma_f64 v[84:85], v[84:85], v[136:137], -v[106:107]
	v_fmac_f64_e32 v[12:13], v[98:99], v[80:81]
	v_fma_f64 v[80:81], v[96:97], v[80:81], -v[82:83]
	v_add_f64_e32 v[86:87], v[4:5], v[10:11]
	v_add_f64_e32 v[92:93], v[8:9], v[102:103]
	ds_load_b128 v[8:11], v2 offset:1024
	ds_load_b128 v[2:5], v2 offset:1040
	s_wait_loadcnt_dscnt 0x101
	v_mul_f64_e32 v[94:95], v[8:9], v[126:127]
	v_mul_f64_e32 v[102:103], v[10:11], v[126:127]
	v_add_f64_e32 v[82:83], v[86:87], v[84:85]
	v_add_f64_e32 v[84:85], v[92:93], v[100:101]
	s_wait_loadcnt_dscnt 0x0
	v_mul_f64_e32 v[86:87], v[2:3], v[90:91]
	v_mul_f64_e32 v[90:91], v[4:5], v[90:91]
	v_fmac_f64_e32 v[94:95], v[10:11], v[124:125]
	v_fma_f64 v[8:9], v[8:9], v[124:125], -v[102:103]
	v_add_f64_e32 v[10:11], v[82:83], v[80:81]
	v_add_f64_e32 v[12:13], v[84:85], v[12:13]
	v_fmac_f64_e32 v[86:87], v[4:5], v[88:89]
	v_fma_f64 v[2:3], v[2:3], v[88:89], -v[90:91]
	s_delay_alu instid0(VALU_DEP_4) | instskip(NEXT) | instid1(VALU_DEP_4)
	v_add_f64_e32 v[4:5], v[10:11], v[8:9]
	v_add_f64_e32 v[8:9], v[12:13], v[94:95]
	s_delay_alu instid0(VALU_DEP_2) | instskip(NEXT) | instid1(VALU_DEP_2)
	v_add_f64_e32 v[2:3], v[4:5], v[2:3]
	v_add_f64_e32 v[4:5], v[8:9], v[86:87]
	s_delay_alu instid0(VALU_DEP_2) | instskip(NEXT) | instid1(VALU_DEP_2)
	v_add_f64_e64 v[2:3], v[128:129], -v[2:3]
	v_add_f64_e64 v[4:5], v[130:131], -v[4:5]
	scratch_store_b128 off, v[2:5], off offset:256
	s_wait_xcnt 0x0
	v_cmpx_lt_u32_e32 15, v1
	s_cbranch_execz .LBB96_181
; %bb.180:
	scratch_load_b128 v[2:5], off, s34
	v_mov_b32_e32 v8, 0
	s_delay_alu instid0(VALU_DEP_1)
	v_dual_mov_b32 v9, v8 :: v_dual_mov_b32 v10, v8
	v_mov_b32_e32 v11, v8
	scratch_store_b128 off, v[8:11], off offset:240
	s_wait_loadcnt 0x0
	ds_store_b128 v6, v[2:5]
.LBB96_181:
	s_wait_xcnt 0x0
	s_or_b32 exec_lo, exec_lo, s2
	s_wait_storecnt_dscnt 0x0
	s_barrier_signal -1
	s_barrier_wait -1
	s_clause 0x9
	scratch_load_b128 v[8:11], off, off offset:256
	scratch_load_b128 v[80:83], off, off offset:272
	;; [unrolled: 1-line block ×10, first 2 shown]
	v_mov_b32_e32 v2, 0
	s_mov_b32 s2, exec_lo
	ds_load_b128 v[116:119], v2 offset:784
	s_clause 0x2
	scratch_load_b128 v[120:123], off, off offset:416
	scratch_load_b128 v[124:127], off, off offset:240
	;; [unrolled: 1-line block ×3, first 2 shown]
	s_wait_loadcnt_dscnt 0xc00
	v_mul_f64_e32 v[4:5], v[118:119], v[10:11]
	v_mul_f64_e32 v[140:141], v[116:117], v[10:11]
	ds_load_b128 v[128:131], v2 offset:800
	scratch_load_b128 v[10:13], off, off offset:432
	ds_load_b128 v[136:139], v2 offset:832
	v_fma_f64 v[4:5], v[116:117], v[8:9], -v[4:5]
	v_fmac_f64_e32 v[140:141], v[118:119], v[8:9]
	ds_load_b128 v[116:119], v2 offset:816
	s_wait_loadcnt_dscnt 0xc02
	v_mul_f64_e32 v[142:143], v[128:129], v[82:83]
	v_mul_f64_e32 v[82:83], v[130:131], v[82:83]
	s_wait_loadcnt_dscnt 0xb00
	v_mul_f64_e32 v[8:9], v[116:117], v[86:87]
	v_mul_f64_e32 v[86:87], v[118:119], v[86:87]
	v_add_f64_e32 v[4:5], 0, v[4:5]
	v_fmac_f64_e32 v[142:143], v[130:131], v[80:81]
	v_fma_f64 v[128:129], v[128:129], v[80:81], -v[82:83]
	v_add_f64_e32 v[130:131], 0, v[140:141]
	scratch_load_b128 v[80:83], off, off offset:464
	v_fmac_f64_e32 v[8:9], v[118:119], v[84:85]
	v_fma_f64 v[144:145], v[116:117], v[84:85], -v[86:87]
	ds_load_b128 v[84:87], v2 offset:848
	s_wait_loadcnt 0xb
	v_mul_f64_e32 v[140:141], v[136:137], v[90:91]
	v_mul_f64_e32 v[90:91], v[138:139], v[90:91]
	scratch_load_b128 v[116:119], off, off offset:480
	v_add_f64_e32 v[4:5], v[4:5], v[128:129]
	v_add_f64_e32 v[142:143], v[130:131], v[142:143]
	ds_load_b128 v[128:131], v2 offset:864
	s_wait_loadcnt_dscnt 0xb01
	v_mul_f64_e32 v[146:147], v[84:85], v[94:95]
	v_mul_f64_e32 v[94:95], v[86:87], v[94:95]
	v_fmac_f64_e32 v[140:141], v[138:139], v[88:89]
	v_fma_f64 v[136:137], v[136:137], v[88:89], -v[90:91]
	scratch_load_b128 v[88:91], off, off offset:496
	v_add_f64_e32 v[4:5], v[4:5], v[144:145]
	v_add_f64_e32 v[8:9], v[142:143], v[8:9]
	v_fmac_f64_e32 v[146:147], v[86:87], v[92:93]
	v_fma_f64 v[144:145], v[84:85], v[92:93], -v[94:95]
	ds_load_b128 v[84:87], v2 offset:880
	s_wait_loadcnt_dscnt 0xb01
	v_mul_f64_e32 v[142:143], v[128:129], v[98:99]
	v_mul_f64_e32 v[98:99], v[130:131], v[98:99]
	scratch_load_b128 v[92:95], off, off offset:512
	v_add_f64_e32 v[4:5], v[4:5], v[136:137]
	v_add_f64_e32 v[8:9], v[8:9], v[140:141]
	s_wait_loadcnt_dscnt 0xb00
	v_mul_f64_e32 v[140:141], v[84:85], v[102:103]
	v_mul_f64_e32 v[102:103], v[86:87], v[102:103]
	ds_load_b128 v[136:139], v2 offset:896
	v_fmac_f64_e32 v[142:143], v[130:131], v[96:97]
	v_fma_f64 v[96:97], v[128:129], v[96:97], -v[98:99]
	s_wait_loadcnt_dscnt 0xa00
	v_mul_f64_e32 v[128:129], v[136:137], v[106:107]
	v_mul_f64_e32 v[106:107], v[138:139], v[106:107]
	v_add_f64_e32 v[4:5], v[4:5], v[144:145]
	v_add_f64_e32 v[8:9], v[8:9], v[146:147]
	v_fmac_f64_e32 v[140:141], v[86:87], v[100:101]
	v_fma_f64 v[100:101], v[84:85], v[100:101], -v[102:103]
	v_fmac_f64_e32 v[128:129], v[138:139], v[104:105]
	v_fma_f64 v[104:105], v[136:137], v[104:105], -v[106:107]
	v_add_f64_e32 v[4:5], v[4:5], v[96:97]
	v_add_f64_e32 v[8:9], v[8:9], v[142:143]
	ds_load_b128 v[84:87], v2 offset:912
	ds_load_b128 v[96:99], v2 offset:928
	s_wait_loadcnt_dscnt 0x901
	v_mul_f64_e32 v[130:131], v[84:85], v[110:111]
	v_mul_f64_e32 v[102:103], v[86:87], v[110:111]
	s_wait_loadcnt_dscnt 0x800
	v_mul_f64_e32 v[106:107], v[96:97], v[114:115]
	v_mul_f64_e32 v[110:111], v[98:99], v[114:115]
	v_add_f64_e32 v[4:5], v[4:5], v[100:101]
	v_add_f64_e32 v[8:9], v[8:9], v[140:141]
	v_fmac_f64_e32 v[130:131], v[86:87], v[108:109]
	v_fma_f64 v[108:109], v[84:85], v[108:109], -v[102:103]
	ds_load_b128 v[84:87], v2 offset:944
	ds_load_b128 v[100:103], v2 offset:960
	v_fmac_f64_e32 v[106:107], v[98:99], v[112:113]
	v_fma_f64 v[96:97], v[96:97], v[112:113], -v[110:111]
	v_add_f64_e32 v[4:5], v[4:5], v[104:105]
	v_add_f64_e32 v[8:9], v[8:9], v[128:129]
	s_wait_loadcnt_dscnt 0x701
	v_mul_f64_e32 v[104:105], v[84:85], v[122:123]
	v_mul_f64_e32 v[114:115], v[86:87], v[122:123]
	s_delay_alu instid0(VALU_DEP_4) | instskip(NEXT) | instid1(VALU_DEP_4)
	v_add_f64_e32 v[4:5], v[4:5], v[108:109]
	v_add_f64_e32 v[8:9], v[8:9], v[130:131]
	s_wait_loadcnt_dscnt 0x400
	v_mul_f64_e32 v[108:109], v[100:101], v[12:13]
	v_mul_f64_e32 v[12:13], v[102:103], v[12:13]
	v_fmac_f64_e32 v[104:105], v[86:87], v[120:121]
	v_fma_f64 v[110:111], v[84:85], v[120:121], -v[114:115]
	v_add_f64_e32 v[4:5], v[4:5], v[96:97]
	v_add_f64_e32 v[8:9], v[8:9], v[106:107]
	ds_load_b128 v[84:87], v2 offset:976
	ds_load_b128 v[96:99], v2 offset:992
	v_fmac_f64_e32 v[108:109], v[102:103], v[10:11]
	v_fma_f64 v[10:11], v[100:101], v[10:11], -v[12:13]
	s_wait_dscnt 0x1
	v_mul_f64_e32 v[106:107], v[84:85], v[134:135]
	v_mul_f64_e32 v[112:113], v[86:87], v[134:135]
	v_add_f64_e32 v[4:5], v[4:5], v[110:111]
	v_add_f64_e32 v[8:9], v[8:9], v[104:105]
	s_wait_loadcnt_dscnt 0x300
	v_mul_f64_e32 v[12:13], v[96:97], v[82:83]
	v_mul_f64_e32 v[100:101], v[98:99], v[82:83]
	v_fmac_f64_e32 v[106:107], v[86:87], v[132:133]
	v_fma_f64 v[86:87], v[84:85], v[132:133], -v[112:113]
	v_add_f64_e32 v[4:5], v[4:5], v[10:11]
	v_add_f64_e32 v[102:103], v[8:9], v[108:109]
	ds_load_b128 v[8:11], v2 offset:1008
	ds_load_b128 v[82:85], v2 offset:1024
	v_fmac_f64_e32 v[12:13], v[98:99], v[80:81]
	v_fma_f64 v[80:81], v[96:97], v[80:81], -v[100:101]
	s_wait_loadcnt_dscnt 0x201
	v_mul_f64_e32 v[104:105], v[8:9], v[118:119]
	v_mul_f64_e32 v[108:109], v[10:11], v[118:119]
	s_wait_loadcnt_dscnt 0x100
	v_mul_f64_e32 v[96:97], v[82:83], v[90:91]
	v_mul_f64_e32 v[90:91], v[84:85], v[90:91]
	v_add_f64_e32 v[4:5], v[4:5], v[86:87]
	v_add_f64_e32 v[86:87], v[102:103], v[106:107]
	v_fmac_f64_e32 v[104:105], v[10:11], v[116:117]
	v_fma_f64 v[98:99], v[8:9], v[116:117], -v[108:109]
	ds_load_b128 v[8:11], v2 offset:1040
	v_fmac_f64_e32 v[96:97], v[84:85], v[88:89]
	v_fma_f64 v[82:83], v[82:83], v[88:89], -v[90:91]
	v_add_f64_e32 v[4:5], v[4:5], v[80:81]
	v_add_f64_e32 v[12:13], v[86:87], v[12:13]
	s_wait_loadcnt_dscnt 0x0
	v_mul_f64_e32 v[80:81], v[8:9], v[94:95]
	v_mul_f64_e32 v[86:87], v[10:11], v[94:95]
	s_delay_alu instid0(VALU_DEP_4) | instskip(NEXT) | instid1(VALU_DEP_4)
	v_add_f64_e32 v[4:5], v[4:5], v[98:99]
	v_add_f64_e32 v[12:13], v[12:13], v[104:105]
	s_delay_alu instid0(VALU_DEP_4) | instskip(NEXT) | instid1(VALU_DEP_4)
	v_fmac_f64_e32 v[80:81], v[10:11], v[92:93]
	v_fma_f64 v[8:9], v[8:9], v[92:93], -v[86:87]
	s_delay_alu instid0(VALU_DEP_4) | instskip(NEXT) | instid1(VALU_DEP_4)
	v_add_f64_e32 v[4:5], v[4:5], v[82:83]
	v_add_f64_e32 v[10:11], v[12:13], v[96:97]
	s_delay_alu instid0(VALU_DEP_2) | instskip(NEXT) | instid1(VALU_DEP_2)
	v_add_f64_e32 v[4:5], v[4:5], v[8:9]
	v_add_f64_e32 v[10:11], v[10:11], v[80:81]
	s_delay_alu instid0(VALU_DEP_2) | instskip(NEXT) | instid1(VALU_DEP_2)
	v_add_f64_e64 v[8:9], v[124:125], -v[4:5]
	v_add_f64_e64 v[10:11], v[126:127], -v[10:11]
	scratch_store_b128 off, v[8:11], off offset:240
	s_wait_xcnt 0x0
	v_cmpx_lt_u32_e32 14, v1
	s_cbranch_execz .LBB96_183
; %bb.182:
	scratch_load_b128 v[8:11], off, s35
	v_dual_mov_b32 v3, v2 :: v_dual_mov_b32 v4, v2
	v_mov_b32_e32 v5, v2
	scratch_store_b128 off, v[2:5], off offset:224
	s_wait_loadcnt 0x0
	ds_store_b128 v6, v[8:11]
.LBB96_183:
	s_wait_xcnt 0x0
	s_or_b32 exec_lo, exec_lo, s2
	s_wait_storecnt_dscnt 0x0
	s_barrier_signal -1
	s_barrier_wait -1
	s_clause 0x9
	scratch_load_b128 v[8:11], off, off offset:240
	scratch_load_b128 v[80:83], off, off offset:256
	;; [unrolled: 1-line block ×10, first 2 shown]
	ds_load_b128 v[116:119], v2 offset:768
	ds_load_b128 v[124:127], v2 offset:784
	s_clause 0x1
	scratch_load_b128 v[120:123], off, off offset:400
	scratch_load_b128 v[128:131], off, off offset:224
	s_mov_b32 s2, exec_lo
	s_wait_loadcnt_dscnt 0xb01
	v_mul_f64_e32 v[4:5], v[118:119], v[10:11]
	v_mul_f64_e32 v[140:141], v[116:117], v[10:11]
	scratch_load_b128 v[10:13], off, off offset:416
	s_wait_loadcnt_dscnt 0xb00
	v_mul_f64_e32 v[142:143], v[124:125], v[82:83]
	v_mul_f64_e32 v[82:83], v[126:127], v[82:83]
	v_fma_f64 v[4:5], v[116:117], v[8:9], -v[4:5]
	v_fmac_f64_e32 v[140:141], v[118:119], v[8:9]
	ds_load_b128 v[116:119], v2 offset:800
	ds_load_b128 v[132:135], v2 offset:816
	scratch_load_b128 v[136:139], off, off offset:432
	v_fmac_f64_e32 v[142:143], v[126:127], v[80:81]
	v_fma_f64 v[124:125], v[124:125], v[80:81], -v[82:83]
	scratch_load_b128 v[80:83], off, off offset:448
	s_wait_loadcnt_dscnt 0xc01
	v_mul_f64_e32 v[8:9], v[116:117], v[86:87]
	v_mul_f64_e32 v[86:87], v[118:119], v[86:87]
	v_add_f64_e32 v[4:5], 0, v[4:5]
	v_add_f64_e32 v[126:127], 0, v[140:141]
	s_wait_loadcnt_dscnt 0xb00
	v_mul_f64_e32 v[140:141], v[132:133], v[90:91]
	v_mul_f64_e32 v[90:91], v[134:135], v[90:91]
	v_fmac_f64_e32 v[8:9], v[118:119], v[84:85]
	v_fma_f64 v[144:145], v[116:117], v[84:85], -v[86:87]
	ds_load_b128 v[84:87], v2 offset:832
	ds_load_b128 v[116:119], v2 offset:848
	v_add_f64_e32 v[4:5], v[4:5], v[124:125]
	v_add_f64_e32 v[142:143], v[126:127], v[142:143]
	scratch_load_b128 v[124:127], off, off offset:464
	v_fmac_f64_e32 v[140:141], v[134:135], v[88:89]
	v_fma_f64 v[132:133], v[132:133], v[88:89], -v[90:91]
	scratch_load_b128 v[88:91], off, off offset:480
	s_wait_loadcnt_dscnt 0xc01
	v_mul_f64_e32 v[146:147], v[84:85], v[94:95]
	v_mul_f64_e32 v[94:95], v[86:87], v[94:95]
	v_add_f64_e32 v[4:5], v[4:5], v[144:145]
	v_add_f64_e32 v[8:9], v[142:143], v[8:9]
	s_wait_loadcnt_dscnt 0xb00
	v_mul_f64_e32 v[142:143], v[116:117], v[98:99]
	v_mul_f64_e32 v[98:99], v[118:119], v[98:99]
	v_fmac_f64_e32 v[146:147], v[86:87], v[92:93]
	v_fma_f64 v[144:145], v[84:85], v[92:93], -v[94:95]
	ds_load_b128 v[84:87], v2 offset:864
	ds_load_b128 v[92:95], v2 offset:880
	v_add_f64_e32 v[4:5], v[4:5], v[132:133]
	v_add_f64_e32 v[8:9], v[8:9], v[140:141]
	scratch_load_b128 v[132:135], off, off offset:496
	s_wait_loadcnt_dscnt 0xb01
	v_mul_f64_e32 v[140:141], v[84:85], v[102:103]
	v_mul_f64_e32 v[102:103], v[86:87], v[102:103]
	v_fmac_f64_e32 v[142:143], v[118:119], v[96:97]
	v_fma_f64 v[116:117], v[116:117], v[96:97], -v[98:99]
	scratch_load_b128 v[96:99], off, off offset:512
	s_wait_loadcnt_dscnt 0xb00
	v_mul_f64_e32 v[118:119], v[92:93], v[106:107]
	v_mul_f64_e32 v[106:107], v[94:95], v[106:107]
	v_add_f64_e32 v[4:5], v[4:5], v[144:145]
	v_add_f64_e32 v[8:9], v[8:9], v[146:147]
	v_fmac_f64_e32 v[140:141], v[86:87], v[100:101]
	v_fma_f64 v[144:145], v[84:85], v[100:101], -v[102:103]
	ds_load_b128 v[84:87], v2 offset:896
	ds_load_b128 v[100:103], v2 offset:912
	v_fmac_f64_e32 v[118:119], v[94:95], v[104:105]
	v_fma_f64 v[92:93], v[92:93], v[104:105], -v[106:107]
	s_wait_loadcnt_dscnt 0x900
	v_mul_f64_e32 v[104:105], v[100:101], v[114:115]
	v_mul_f64_e32 v[106:107], v[102:103], v[114:115]
	v_add_f64_e32 v[4:5], v[4:5], v[116:117]
	v_add_f64_e32 v[8:9], v[8:9], v[142:143]
	v_mul_f64_e32 v[116:117], v[84:85], v[110:111]
	v_mul_f64_e32 v[110:111], v[86:87], v[110:111]
	v_fmac_f64_e32 v[104:105], v[102:103], v[112:113]
	v_fma_f64 v[100:101], v[100:101], v[112:113], -v[106:107]
	v_add_f64_e32 v[4:5], v[4:5], v[144:145]
	v_add_f64_e32 v[8:9], v[8:9], v[140:141]
	v_fmac_f64_e32 v[116:117], v[86:87], v[108:109]
	v_fma_f64 v[108:109], v[84:85], v[108:109], -v[110:111]
	s_delay_alu instid0(VALU_DEP_4) | instskip(NEXT) | instid1(VALU_DEP_4)
	v_add_f64_e32 v[4:5], v[4:5], v[92:93]
	v_add_f64_e32 v[8:9], v[8:9], v[118:119]
	ds_load_b128 v[84:87], v2 offset:928
	ds_load_b128 v[92:95], v2 offset:944
	s_wait_loadcnt_dscnt 0x801
	v_mul_f64_e32 v[110:111], v[84:85], v[122:123]
	v_mul_f64_e32 v[114:115], v[86:87], v[122:123]
	v_add_f64_e32 v[4:5], v[4:5], v[108:109]
	v_add_f64_e32 v[8:9], v[8:9], v[116:117]
	s_wait_loadcnt_dscnt 0x600
	v_mul_f64_e32 v[106:107], v[92:93], v[12:13]
	v_mul_f64_e32 v[12:13], v[94:95], v[12:13]
	v_fmac_f64_e32 v[110:111], v[86:87], v[120:121]
	v_fma_f64 v[108:109], v[84:85], v[120:121], -v[114:115]
	v_add_f64_e32 v[4:5], v[4:5], v[100:101]
	v_add_f64_e32 v[8:9], v[8:9], v[104:105]
	ds_load_b128 v[84:87], v2 offset:960
	ds_load_b128 v[100:103], v2 offset:976
	v_fmac_f64_e32 v[106:107], v[94:95], v[10:11]
	v_fma_f64 v[10:11], v[92:93], v[10:11], -v[12:13]
	s_wait_loadcnt_dscnt 0x501
	v_mul_f64_e32 v[104:105], v[84:85], v[138:139]
	v_mul_f64_e32 v[112:113], v[86:87], v[138:139]
	s_wait_loadcnt_dscnt 0x400
	v_mul_f64_e32 v[12:13], v[100:101], v[82:83]
	v_mul_f64_e32 v[92:93], v[102:103], v[82:83]
	v_add_f64_e32 v[4:5], v[4:5], v[108:109]
	v_add_f64_e32 v[8:9], v[8:9], v[110:111]
	v_fmac_f64_e32 v[104:105], v[86:87], v[136:137]
	v_fma_f64 v[86:87], v[84:85], v[136:137], -v[112:113]
	v_fmac_f64_e32 v[12:13], v[102:103], v[80:81]
	v_fma_f64 v[80:81], v[100:101], v[80:81], -v[92:93]
	v_add_f64_e32 v[4:5], v[4:5], v[10:11]
	v_add_f64_e32 v[94:95], v[8:9], v[106:107]
	ds_load_b128 v[8:11], v2 offset:992
	ds_load_b128 v[82:85], v2 offset:1008
	s_wait_loadcnt_dscnt 0x301
	v_mul_f64_e32 v[106:107], v[8:9], v[126:127]
	v_mul_f64_e32 v[108:109], v[10:11], v[126:127]
	s_wait_loadcnt_dscnt 0x200
	v_mul_f64_e32 v[92:93], v[82:83], v[90:91]
	v_mul_f64_e32 v[90:91], v[84:85], v[90:91]
	v_add_f64_e32 v[4:5], v[4:5], v[86:87]
	v_add_f64_e32 v[86:87], v[94:95], v[104:105]
	v_fmac_f64_e32 v[106:107], v[10:11], v[124:125]
	v_fma_f64 v[94:95], v[8:9], v[124:125], -v[108:109]
	v_fmac_f64_e32 v[92:93], v[84:85], v[88:89]
	v_fma_f64 v[82:83], v[82:83], v[88:89], -v[90:91]
	v_add_f64_e32 v[80:81], v[4:5], v[80:81]
	v_add_f64_e32 v[12:13], v[86:87], v[12:13]
	ds_load_b128 v[8:11], v2 offset:1024
	ds_load_b128 v[2:5], v2 offset:1040
	s_wait_loadcnt_dscnt 0x101
	v_mul_f64_e32 v[86:87], v[8:9], v[134:135]
	v_mul_f64_e32 v[100:101], v[10:11], v[134:135]
	s_wait_loadcnt_dscnt 0x0
	v_mul_f64_e32 v[84:85], v[2:3], v[98:99]
	v_mul_f64_e32 v[88:89], v[4:5], v[98:99]
	v_add_f64_e32 v[80:81], v[80:81], v[94:95]
	v_add_f64_e32 v[12:13], v[12:13], v[106:107]
	v_fmac_f64_e32 v[86:87], v[10:11], v[132:133]
	v_fma_f64 v[8:9], v[8:9], v[132:133], -v[100:101]
	v_fmac_f64_e32 v[84:85], v[4:5], v[96:97]
	v_fma_f64 v[2:3], v[2:3], v[96:97], -v[88:89]
	v_add_f64_e32 v[10:11], v[80:81], v[82:83]
	v_add_f64_e32 v[12:13], v[12:13], v[92:93]
	s_delay_alu instid0(VALU_DEP_2) | instskip(NEXT) | instid1(VALU_DEP_2)
	v_add_f64_e32 v[4:5], v[10:11], v[8:9]
	v_add_f64_e32 v[8:9], v[12:13], v[86:87]
	s_delay_alu instid0(VALU_DEP_2) | instskip(NEXT) | instid1(VALU_DEP_2)
	;; [unrolled: 3-line block ×3, first 2 shown]
	v_add_f64_e64 v[2:3], v[128:129], -v[2:3]
	v_add_f64_e64 v[4:5], v[130:131], -v[4:5]
	scratch_store_b128 off, v[2:5], off offset:224
	s_wait_xcnt 0x0
	v_cmpx_lt_u32_e32 13, v1
	s_cbranch_execz .LBB96_185
; %bb.184:
	scratch_load_b128 v[2:5], off, s36
	v_mov_b32_e32 v8, 0
	s_delay_alu instid0(VALU_DEP_1)
	v_dual_mov_b32 v9, v8 :: v_dual_mov_b32 v10, v8
	v_mov_b32_e32 v11, v8
	scratch_store_b128 off, v[8:11], off offset:208
	s_wait_loadcnt 0x0
	ds_store_b128 v6, v[2:5]
.LBB96_185:
	s_wait_xcnt 0x0
	s_or_b32 exec_lo, exec_lo, s2
	s_wait_storecnt_dscnt 0x0
	s_barrier_signal -1
	s_barrier_wait -1
	s_clause 0x9
	scratch_load_b128 v[8:11], off, off offset:224
	scratch_load_b128 v[80:83], off, off offset:240
	scratch_load_b128 v[84:87], off, off offset:256
	scratch_load_b128 v[88:91], off, off offset:272
	scratch_load_b128 v[92:95], off, off offset:288
	scratch_load_b128 v[96:99], off, off offset:304
	scratch_load_b128 v[100:103], off, off offset:320
	scratch_load_b128 v[104:107], off, off offset:336
	scratch_load_b128 v[108:111], off, off offset:352
	scratch_load_b128 v[112:115], off, off offset:368
	v_mov_b32_e32 v2, 0
	s_mov_b32 s2, exec_lo
	ds_load_b128 v[116:119], v2 offset:752
	s_clause 0x2
	scratch_load_b128 v[120:123], off, off offset:384
	scratch_load_b128 v[124:127], off, off offset:208
	scratch_load_b128 v[132:135], off, off offset:416
	s_wait_loadcnt_dscnt 0xc00
	v_mul_f64_e32 v[4:5], v[118:119], v[10:11]
	v_mul_f64_e32 v[140:141], v[116:117], v[10:11]
	ds_load_b128 v[128:131], v2 offset:768
	scratch_load_b128 v[10:13], off, off offset:400
	ds_load_b128 v[136:139], v2 offset:800
	v_fma_f64 v[4:5], v[116:117], v[8:9], -v[4:5]
	v_fmac_f64_e32 v[140:141], v[118:119], v[8:9]
	ds_load_b128 v[116:119], v2 offset:784
	s_wait_loadcnt_dscnt 0xc02
	v_mul_f64_e32 v[142:143], v[128:129], v[82:83]
	v_mul_f64_e32 v[82:83], v[130:131], v[82:83]
	s_wait_loadcnt_dscnt 0xb00
	v_mul_f64_e32 v[8:9], v[116:117], v[86:87]
	v_mul_f64_e32 v[86:87], v[118:119], v[86:87]
	v_add_f64_e32 v[4:5], 0, v[4:5]
	v_fmac_f64_e32 v[142:143], v[130:131], v[80:81]
	v_fma_f64 v[128:129], v[128:129], v[80:81], -v[82:83]
	v_add_f64_e32 v[130:131], 0, v[140:141]
	scratch_load_b128 v[80:83], off, off offset:432
	v_fmac_f64_e32 v[8:9], v[118:119], v[84:85]
	v_fma_f64 v[144:145], v[116:117], v[84:85], -v[86:87]
	ds_load_b128 v[84:87], v2 offset:816
	s_wait_loadcnt 0xb
	v_mul_f64_e32 v[140:141], v[136:137], v[90:91]
	v_mul_f64_e32 v[90:91], v[138:139], v[90:91]
	scratch_load_b128 v[116:119], off, off offset:448
	v_add_f64_e32 v[4:5], v[4:5], v[128:129]
	v_add_f64_e32 v[142:143], v[130:131], v[142:143]
	ds_load_b128 v[128:131], v2 offset:832
	s_wait_loadcnt_dscnt 0xb01
	v_mul_f64_e32 v[146:147], v[84:85], v[94:95]
	v_mul_f64_e32 v[94:95], v[86:87], v[94:95]
	v_fmac_f64_e32 v[140:141], v[138:139], v[88:89]
	v_fma_f64 v[136:137], v[136:137], v[88:89], -v[90:91]
	scratch_load_b128 v[88:91], off, off offset:464
	v_add_f64_e32 v[4:5], v[4:5], v[144:145]
	v_add_f64_e32 v[8:9], v[142:143], v[8:9]
	v_fmac_f64_e32 v[146:147], v[86:87], v[92:93]
	v_fma_f64 v[144:145], v[84:85], v[92:93], -v[94:95]
	ds_load_b128 v[84:87], v2 offset:848
	s_wait_loadcnt_dscnt 0xb01
	v_mul_f64_e32 v[142:143], v[128:129], v[98:99]
	v_mul_f64_e32 v[98:99], v[130:131], v[98:99]
	scratch_load_b128 v[92:95], off, off offset:480
	v_add_f64_e32 v[4:5], v[4:5], v[136:137]
	v_add_f64_e32 v[8:9], v[8:9], v[140:141]
	s_wait_loadcnt_dscnt 0xb00
	v_mul_f64_e32 v[140:141], v[84:85], v[102:103]
	v_mul_f64_e32 v[102:103], v[86:87], v[102:103]
	ds_load_b128 v[136:139], v2 offset:864
	v_fmac_f64_e32 v[142:143], v[130:131], v[96:97]
	v_fma_f64 v[128:129], v[128:129], v[96:97], -v[98:99]
	scratch_load_b128 v[96:99], off, off offset:496
	v_add_f64_e32 v[4:5], v[4:5], v[144:145]
	v_add_f64_e32 v[8:9], v[8:9], v[146:147]
	v_fmac_f64_e32 v[140:141], v[86:87], v[100:101]
	v_fma_f64 v[146:147], v[84:85], v[100:101], -v[102:103]
	ds_load_b128 v[84:87], v2 offset:880
	s_wait_loadcnt_dscnt 0xb01
	v_mul_f64_e32 v[144:145], v[136:137], v[106:107]
	v_mul_f64_e32 v[106:107], v[138:139], v[106:107]
	scratch_load_b128 v[100:103], off, off offset:512
	v_add_f64_e32 v[4:5], v[4:5], v[128:129]
	v_add_f64_e32 v[8:9], v[8:9], v[142:143]
	s_wait_loadcnt_dscnt 0xb00
	v_mul_f64_e32 v[142:143], v[84:85], v[110:111]
	v_mul_f64_e32 v[110:111], v[86:87], v[110:111]
	ds_load_b128 v[128:131], v2 offset:896
	v_fmac_f64_e32 v[144:145], v[138:139], v[104:105]
	v_fma_f64 v[104:105], v[136:137], v[104:105], -v[106:107]
	s_wait_loadcnt_dscnt 0xa00
	v_mul_f64_e32 v[136:137], v[128:129], v[114:115]
	v_mul_f64_e32 v[114:115], v[130:131], v[114:115]
	v_add_f64_e32 v[4:5], v[4:5], v[146:147]
	v_add_f64_e32 v[8:9], v[8:9], v[140:141]
	v_fmac_f64_e32 v[142:143], v[86:87], v[108:109]
	v_fma_f64 v[108:109], v[84:85], v[108:109], -v[110:111]
	v_fmac_f64_e32 v[136:137], v[130:131], v[112:113]
	v_fma_f64 v[112:113], v[128:129], v[112:113], -v[114:115]
	v_add_f64_e32 v[4:5], v[4:5], v[104:105]
	v_add_f64_e32 v[8:9], v[8:9], v[144:145]
	ds_load_b128 v[84:87], v2 offset:912
	ds_load_b128 v[104:107], v2 offset:928
	s_wait_loadcnt_dscnt 0x901
	v_mul_f64_e32 v[138:139], v[84:85], v[122:123]
	v_mul_f64_e32 v[110:111], v[86:87], v[122:123]
	s_wait_loadcnt_dscnt 0x600
	v_mul_f64_e32 v[114:115], v[104:105], v[12:13]
	v_add_f64_e32 v[4:5], v[4:5], v[108:109]
	v_add_f64_e32 v[8:9], v[8:9], v[142:143]
	v_mul_f64_e32 v[12:13], v[106:107], v[12:13]
	v_fmac_f64_e32 v[138:139], v[86:87], v[120:121]
	v_fma_f64 v[120:121], v[84:85], v[120:121], -v[110:111]
	ds_load_b128 v[84:87], v2 offset:944
	ds_load_b128 v[108:111], v2 offset:960
	v_fmac_f64_e32 v[114:115], v[106:107], v[10:11]
	v_add_f64_e32 v[4:5], v[4:5], v[112:113]
	v_add_f64_e32 v[8:9], v[8:9], v[136:137]
	v_fma_f64 v[10:11], v[104:105], v[10:11], -v[12:13]
	s_wait_dscnt 0x1
	v_mul_f64_e32 v[112:113], v[84:85], v[134:135]
	v_mul_f64_e32 v[122:123], v[86:87], v[134:135]
	v_add_f64_e32 v[4:5], v[4:5], v[120:121]
	v_add_f64_e32 v[8:9], v[8:9], v[138:139]
	s_wait_loadcnt_dscnt 0x500
	v_mul_f64_e32 v[12:13], v[108:109], v[82:83]
	v_mul_f64_e32 v[104:105], v[110:111], v[82:83]
	v_fmac_f64_e32 v[112:113], v[86:87], v[132:133]
	v_fma_f64 v[86:87], v[84:85], v[132:133], -v[122:123]
	v_add_f64_e32 v[4:5], v[4:5], v[10:11]
	v_add_f64_e32 v[106:107], v[8:9], v[114:115]
	ds_load_b128 v[8:11], v2 offset:976
	ds_load_b128 v[82:85], v2 offset:992
	v_fmac_f64_e32 v[12:13], v[110:111], v[80:81]
	v_fma_f64 v[80:81], v[108:109], v[80:81], -v[104:105]
	s_wait_loadcnt_dscnt 0x401
	v_mul_f64_e32 v[114:115], v[8:9], v[118:119]
	v_mul_f64_e32 v[118:119], v[10:11], v[118:119]
	s_wait_loadcnt_dscnt 0x300
	v_mul_f64_e32 v[108:109], v[82:83], v[90:91]
	v_mul_f64_e32 v[90:91], v[84:85], v[90:91]
	v_add_f64_e32 v[4:5], v[4:5], v[86:87]
	v_add_f64_e32 v[86:87], v[106:107], v[112:113]
	v_fmac_f64_e32 v[114:115], v[10:11], v[116:117]
	v_fma_f64 v[110:111], v[8:9], v[116:117], -v[118:119]
	ds_load_b128 v[8:11], v2 offset:1008
	ds_load_b128 v[104:107], v2 offset:1024
	v_fmac_f64_e32 v[108:109], v[84:85], v[88:89]
	v_fma_f64 v[82:83], v[82:83], v[88:89], -v[90:91]
	v_add_f64_e32 v[4:5], v[4:5], v[80:81]
	v_add_f64_e32 v[12:13], v[86:87], v[12:13]
	s_wait_loadcnt_dscnt 0x201
	v_mul_f64_e32 v[80:81], v[8:9], v[94:95]
	v_mul_f64_e32 v[86:87], v[10:11], v[94:95]
	s_wait_loadcnt_dscnt 0x100
	v_mul_f64_e32 v[84:85], v[104:105], v[98:99]
	v_mul_f64_e32 v[88:89], v[106:107], v[98:99]
	v_add_f64_e32 v[4:5], v[4:5], v[110:111]
	v_add_f64_e32 v[12:13], v[12:13], v[114:115]
	v_fmac_f64_e32 v[80:81], v[10:11], v[92:93]
	v_fma_f64 v[86:87], v[8:9], v[92:93], -v[86:87]
	ds_load_b128 v[8:11], v2 offset:1040
	v_fmac_f64_e32 v[84:85], v[106:107], v[96:97]
	v_fma_f64 v[88:89], v[104:105], v[96:97], -v[88:89]
	s_wait_loadcnt_dscnt 0x0
	v_mul_f64_e32 v[90:91], v[10:11], v[102:103]
	v_add_f64_e32 v[4:5], v[4:5], v[82:83]
	v_add_f64_e32 v[12:13], v[12:13], v[108:109]
	v_mul_f64_e32 v[82:83], v[8:9], v[102:103]
	s_delay_alu instid0(VALU_DEP_4) | instskip(NEXT) | instid1(VALU_DEP_4)
	v_fma_f64 v[8:9], v[8:9], v[100:101], -v[90:91]
	v_add_f64_e32 v[4:5], v[4:5], v[86:87]
	s_delay_alu instid0(VALU_DEP_4) | instskip(NEXT) | instid1(VALU_DEP_4)
	v_add_f64_e32 v[12:13], v[12:13], v[80:81]
	v_fmac_f64_e32 v[82:83], v[10:11], v[100:101]
	s_delay_alu instid0(VALU_DEP_3) | instskip(NEXT) | instid1(VALU_DEP_3)
	v_add_f64_e32 v[4:5], v[4:5], v[88:89]
	v_add_f64_e32 v[10:11], v[12:13], v[84:85]
	s_delay_alu instid0(VALU_DEP_2) | instskip(NEXT) | instid1(VALU_DEP_2)
	v_add_f64_e32 v[4:5], v[4:5], v[8:9]
	v_add_f64_e32 v[10:11], v[10:11], v[82:83]
	s_delay_alu instid0(VALU_DEP_2) | instskip(NEXT) | instid1(VALU_DEP_2)
	v_add_f64_e64 v[8:9], v[124:125], -v[4:5]
	v_add_f64_e64 v[10:11], v[126:127], -v[10:11]
	scratch_store_b128 off, v[8:11], off offset:208
	s_wait_xcnt 0x0
	v_cmpx_lt_u32_e32 12, v1
	s_cbranch_execz .LBB96_187
; %bb.186:
	scratch_load_b128 v[8:11], off, s37
	v_dual_mov_b32 v3, v2 :: v_dual_mov_b32 v4, v2
	v_mov_b32_e32 v5, v2
	scratch_store_b128 off, v[2:5], off offset:192
	s_wait_loadcnt 0x0
	ds_store_b128 v6, v[8:11]
.LBB96_187:
	s_wait_xcnt 0x0
	s_or_b32 exec_lo, exec_lo, s2
	s_wait_storecnt_dscnt 0x0
	s_barrier_signal -1
	s_barrier_wait -1
	s_clause 0x9
	scratch_load_b128 v[8:11], off, off offset:208
	scratch_load_b128 v[80:83], off, off offset:224
	;; [unrolled: 1-line block ×10, first 2 shown]
	ds_load_b128 v[116:119], v2 offset:736
	ds_load_b128 v[124:127], v2 offset:752
	s_clause 0x1
	scratch_load_b128 v[120:123], off, off offset:368
	scratch_load_b128 v[128:131], off, off offset:192
	s_mov_b32 s2, exec_lo
	s_wait_loadcnt_dscnt 0xb01
	v_mul_f64_e32 v[4:5], v[118:119], v[10:11]
	v_mul_f64_e32 v[140:141], v[116:117], v[10:11]
	scratch_load_b128 v[10:13], off, off offset:384
	s_wait_loadcnt_dscnt 0xb00
	v_mul_f64_e32 v[142:143], v[124:125], v[82:83]
	v_mul_f64_e32 v[82:83], v[126:127], v[82:83]
	v_fma_f64 v[4:5], v[116:117], v[8:9], -v[4:5]
	v_fmac_f64_e32 v[140:141], v[118:119], v[8:9]
	ds_load_b128 v[116:119], v2 offset:768
	ds_load_b128 v[132:135], v2 offset:784
	scratch_load_b128 v[136:139], off, off offset:400
	v_fmac_f64_e32 v[142:143], v[126:127], v[80:81]
	v_fma_f64 v[124:125], v[124:125], v[80:81], -v[82:83]
	scratch_load_b128 v[80:83], off, off offset:416
	s_wait_loadcnt_dscnt 0xc01
	v_mul_f64_e32 v[8:9], v[116:117], v[86:87]
	v_mul_f64_e32 v[86:87], v[118:119], v[86:87]
	v_add_f64_e32 v[4:5], 0, v[4:5]
	v_add_f64_e32 v[126:127], 0, v[140:141]
	s_wait_loadcnt_dscnt 0xb00
	v_mul_f64_e32 v[140:141], v[132:133], v[90:91]
	v_mul_f64_e32 v[90:91], v[134:135], v[90:91]
	v_fmac_f64_e32 v[8:9], v[118:119], v[84:85]
	v_fma_f64 v[144:145], v[116:117], v[84:85], -v[86:87]
	ds_load_b128 v[84:87], v2 offset:800
	ds_load_b128 v[116:119], v2 offset:816
	v_add_f64_e32 v[4:5], v[4:5], v[124:125]
	v_add_f64_e32 v[142:143], v[126:127], v[142:143]
	scratch_load_b128 v[124:127], off, off offset:432
	v_fmac_f64_e32 v[140:141], v[134:135], v[88:89]
	v_fma_f64 v[132:133], v[132:133], v[88:89], -v[90:91]
	scratch_load_b128 v[88:91], off, off offset:448
	s_wait_loadcnt_dscnt 0xc01
	v_mul_f64_e32 v[146:147], v[84:85], v[94:95]
	v_mul_f64_e32 v[94:95], v[86:87], v[94:95]
	v_add_f64_e32 v[4:5], v[4:5], v[144:145]
	v_add_f64_e32 v[8:9], v[142:143], v[8:9]
	s_wait_loadcnt_dscnt 0xb00
	v_mul_f64_e32 v[142:143], v[116:117], v[98:99]
	v_mul_f64_e32 v[98:99], v[118:119], v[98:99]
	v_fmac_f64_e32 v[146:147], v[86:87], v[92:93]
	v_fma_f64 v[144:145], v[84:85], v[92:93], -v[94:95]
	ds_load_b128 v[84:87], v2 offset:832
	ds_load_b128 v[92:95], v2 offset:848
	v_add_f64_e32 v[4:5], v[4:5], v[132:133]
	v_add_f64_e32 v[8:9], v[8:9], v[140:141]
	scratch_load_b128 v[132:135], off, off offset:464
	s_wait_loadcnt_dscnt 0xb01
	v_mul_f64_e32 v[140:141], v[84:85], v[102:103]
	v_mul_f64_e32 v[102:103], v[86:87], v[102:103]
	v_fmac_f64_e32 v[142:143], v[118:119], v[96:97]
	v_fma_f64 v[116:117], v[116:117], v[96:97], -v[98:99]
	scratch_load_b128 v[96:99], off, off offset:480
	v_add_f64_e32 v[4:5], v[4:5], v[144:145]
	v_add_f64_e32 v[8:9], v[8:9], v[146:147]
	s_wait_loadcnt_dscnt 0xb00
	v_mul_f64_e32 v[144:145], v[92:93], v[106:107]
	v_mul_f64_e32 v[106:107], v[94:95], v[106:107]
	v_fmac_f64_e32 v[140:141], v[86:87], v[100:101]
	v_fma_f64 v[146:147], v[84:85], v[100:101], -v[102:103]
	ds_load_b128 v[84:87], v2 offset:864
	ds_load_b128 v[100:103], v2 offset:880
	v_add_f64_e32 v[4:5], v[4:5], v[116:117]
	v_add_f64_e32 v[8:9], v[8:9], v[142:143]
	scratch_load_b128 v[116:119], off, off offset:496
	s_wait_loadcnt_dscnt 0xb01
	v_mul_f64_e32 v[142:143], v[84:85], v[110:111]
	v_mul_f64_e32 v[110:111], v[86:87], v[110:111]
	v_fmac_f64_e32 v[144:145], v[94:95], v[104:105]
	v_fma_f64 v[104:105], v[92:93], v[104:105], -v[106:107]
	scratch_load_b128 v[92:95], off, off offset:512
	v_add_f64_e32 v[4:5], v[4:5], v[146:147]
	v_add_f64_e32 v[8:9], v[8:9], v[140:141]
	s_wait_loadcnt_dscnt 0xb00
	v_mul_f64_e32 v[140:141], v[100:101], v[114:115]
	v_mul_f64_e32 v[114:115], v[102:103], v[114:115]
	v_fmac_f64_e32 v[142:143], v[86:87], v[108:109]
	v_fma_f64 v[108:109], v[84:85], v[108:109], -v[110:111]
	v_add_f64_e32 v[4:5], v[4:5], v[104:105]
	v_add_f64_e32 v[8:9], v[8:9], v[144:145]
	ds_load_b128 v[84:87], v2 offset:896
	ds_load_b128 v[104:107], v2 offset:912
	v_fmac_f64_e32 v[140:141], v[102:103], v[112:113]
	v_fma_f64 v[100:101], v[100:101], v[112:113], -v[114:115]
	s_wait_loadcnt_dscnt 0xa01
	v_mul_f64_e32 v[110:111], v[84:85], v[122:123]
	v_mul_f64_e32 v[122:123], v[86:87], v[122:123]
	v_add_f64_e32 v[4:5], v[4:5], v[108:109]
	v_add_f64_e32 v[8:9], v[8:9], v[142:143]
	s_wait_loadcnt_dscnt 0x800
	v_mul_f64_e32 v[108:109], v[104:105], v[12:13]
	v_mul_f64_e32 v[12:13], v[106:107], v[12:13]
	v_fmac_f64_e32 v[110:111], v[86:87], v[120:121]
	v_fma_f64 v[112:113], v[84:85], v[120:121], -v[122:123]
	v_add_f64_e32 v[4:5], v[4:5], v[100:101]
	v_add_f64_e32 v[8:9], v[8:9], v[140:141]
	ds_load_b128 v[84:87], v2 offset:928
	ds_load_b128 v[100:103], v2 offset:944
	v_fmac_f64_e32 v[108:109], v[106:107], v[10:11]
	v_fma_f64 v[10:11], v[104:105], v[10:11], -v[12:13]
	s_wait_loadcnt_dscnt 0x701
	v_mul_f64_e32 v[114:115], v[84:85], v[138:139]
	v_mul_f64_e32 v[120:121], v[86:87], v[138:139]
	s_wait_loadcnt_dscnt 0x600
	v_mul_f64_e32 v[12:13], v[100:101], v[82:83]
	v_mul_f64_e32 v[104:105], v[102:103], v[82:83]
	v_add_f64_e32 v[4:5], v[4:5], v[112:113]
	v_add_f64_e32 v[8:9], v[8:9], v[110:111]
	v_fmac_f64_e32 v[114:115], v[86:87], v[136:137]
	v_fma_f64 v[86:87], v[84:85], v[136:137], -v[120:121]
	v_fmac_f64_e32 v[12:13], v[102:103], v[80:81]
	v_fma_f64 v[80:81], v[100:101], v[80:81], -v[104:105]
	v_add_f64_e32 v[4:5], v[4:5], v[10:11]
	v_add_f64_e32 v[106:107], v[8:9], v[108:109]
	ds_load_b128 v[8:11], v2 offset:960
	ds_load_b128 v[82:85], v2 offset:976
	s_wait_loadcnt_dscnt 0x501
	v_mul_f64_e32 v[108:109], v[8:9], v[126:127]
	v_mul_f64_e32 v[110:111], v[10:11], v[126:127]
	s_wait_loadcnt_dscnt 0x400
	v_mul_f64_e32 v[104:105], v[82:83], v[90:91]
	v_mul_f64_e32 v[90:91], v[84:85], v[90:91]
	v_add_f64_e32 v[4:5], v[4:5], v[86:87]
	v_add_f64_e32 v[86:87], v[106:107], v[114:115]
	v_fmac_f64_e32 v[108:109], v[10:11], v[124:125]
	v_fma_f64 v[106:107], v[8:9], v[124:125], -v[110:111]
	ds_load_b128 v[8:11], v2 offset:992
	ds_load_b128 v[100:103], v2 offset:1008
	v_fmac_f64_e32 v[104:105], v[84:85], v[88:89]
	v_fma_f64 v[82:83], v[82:83], v[88:89], -v[90:91]
	v_add_f64_e32 v[4:5], v[4:5], v[80:81]
	v_add_f64_e32 v[12:13], v[86:87], v[12:13]
	s_wait_loadcnt_dscnt 0x301
	v_mul_f64_e32 v[80:81], v[8:9], v[134:135]
	v_mul_f64_e32 v[86:87], v[10:11], v[134:135]
	s_wait_loadcnt_dscnt 0x200
	v_mul_f64_e32 v[84:85], v[100:101], v[98:99]
	v_mul_f64_e32 v[88:89], v[102:103], v[98:99]
	v_add_f64_e32 v[4:5], v[4:5], v[106:107]
	v_add_f64_e32 v[12:13], v[12:13], v[108:109]
	v_fmac_f64_e32 v[80:81], v[10:11], v[132:133]
	v_fma_f64 v[86:87], v[8:9], v[132:133], -v[86:87]
	v_fmac_f64_e32 v[84:85], v[102:103], v[96:97]
	v_fma_f64 v[88:89], v[100:101], v[96:97], -v[88:89]
	v_add_f64_e32 v[82:83], v[4:5], v[82:83]
	v_add_f64_e32 v[12:13], v[12:13], v[104:105]
	ds_load_b128 v[8:11], v2 offset:1024
	ds_load_b128 v[2:5], v2 offset:1040
	s_wait_loadcnt_dscnt 0x101
	v_mul_f64_e32 v[90:91], v[8:9], v[118:119]
	v_mul_f64_e32 v[98:99], v[10:11], v[118:119]
	v_add_f64_e32 v[82:83], v[82:83], v[86:87]
	v_add_f64_e32 v[12:13], v[12:13], v[80:81]
	s_wait_loadcnt_dscnt 0x0
	v_mul_f64_e32 v[80:81], v[2:3], v[94:95]
	v_mul_f64_e32 v[86:87], v[4:5], v[94:95]
	v_fmac_f64_e32 v[90:91], v[10:11], v[116:117]
	v_fma_f64 v[8:9], v[8:9], v[116:117], -v[98:99]
	v_add_f64_e32 v[10:11], v[82:83], v[88:89]
	v_add_f64_e32 v[12:13], v[12:13], v[84:85]
	v_fmac_f64_e32 v[80:81], v[4:5], v[92:93]
	v_fma_f64 v[2:3], v[2:3], v[92:93], -v[86:87]
	s_delay_alu instid0(VALU_DEP_4) | instskip(NEXT) | instid1(VALU_DEP_4)
	v_add_f64_e32 v[4:5], v[10:11], v[8:9]
	v_add_f64_e32 v[8:9], v[12:13], v[90:91]
	s_delay_alu instid0(VALU_DEP_2) | instskip(NEXT) | instid1(VALU_DEP_2)
	v_add_f64_e32 v[2:3], v[4:5], v[2:3]
	v_add_f64_e32 v[4:5], v[8:9], v[80:81]
	s_delay_alu instid0(VALU_DEP_2) | instskip(NEXT) | instid1(VALU_DEP_2)
	v_add_f64_e64 v[2:3], v[128:129], -v[2:3]
	v_add_f64_e64 v[4:5], v[130:131], -v[4:5]
	scratch_store_b128 off, v[2:5], off offset:192
	s_wait_xcnt 0x0
	v_cmpx_lt_u32_e32 11, v1
	s_cbranch_execz .LBB96_189
; %bb.188:
	scratch_load_b128 v[2:5], off, s38
	v_mov_b32_e32 v8, 0
	s_delay_alu instid0(VALU_DEP_1)
	v_dual_mov_b32 v9, v8 :: v_dual_mov_b32 v10, v8
	v_mov_b32_e32 v11, v8
	scratch_store_b128 off, v[8:11], off offset:176
	s_wait_loadcnt 0x0
	ds_store_b128 v6, v[2:5]
.LBB96_189:
	s_wait_xcnt 0x0
	s_or_b32 exec_lo, exec_lo, s2
	s_wait_storecnt_dscnt 0x0
	s_barrier_signal -1
	s_barrier_wait -1
	s_clause 0x9
	scratch_load_b128 v[8:11], off, off offset:192
	scratch_load_b128 v[80:83], off, off offset:208
	;; [unrolled: 1-line block ×10, first 2 shown]
	v_mov_b32_e32 v2, 0
	s_mov_b32 s2, exec_lo
	ds_load_b128 v[116:119], v2 offset:720
	s_clause 0x2
	scratch_load_b128 v[120:123], off, off offset:352
	scratch_load_b128 v[124:127], off, off offset:176
	;; [unrolled: 1-line block ×3, first 2 shown]
	s_wait_loadcnt_dscnt 0xc00
	v_mul_f64_e32 v[4:5], v[118:119], v[10:11]
	v_mul_f64_e32 v[140:141], v[116:117], v[10:11]
	ds_load_b128 v[128:131], v2 offset:736
	scratch_load_b128 v[10:13], off, off offset:368
	ds_load_b128 v[136:139], v2 offset:768
	v_fma_f64 v[4:5], v[116:117], v[8:9], -v[4:5]
	v_fmac_f64_e32 v[140:141], v[118:119], v[8:9]
	ds_load_b128 v[116:119], v2 offset:752
	s_wait_loadcnt_dscnt 0xc02
	v_mul_f64_e32 v[142:143], v[128:129], v[82:83]
	v_mul_f64_e32 v[82:83], v[130:131], v[82:83]
	s_wait_loadcnt_dscnt 0xb00
	v_mul_f64_e32 v[8:9], v[116:117], v[86:87]
	v_mul_f64_e32 v[86:87], v[118:119], v[86:87]
	v_add_f64_e32 v[4:5], 0, v[4:5]
	v_fmac_f64_e32 v[142:143], v[130:131], v[80:81]
	v_fma_f64 v[128:129], v[128:129], v[80:81], -v[82:83]
	v_add_f64_e32 v[130:131], 0, v[140:141]
	scratch_load_b128 v[80:83], off, off offset:400
	v_fmac_f64_e32 v[8:9], v[118:119], v[84:85]
	v_fma_f64 v[144:145], v[116:117], v[84:85], -v[86:87]
	ds_load_b128 v[84:87], v2 offset:784
	s_wait_loadcnt 0xb
	v_mul_f64_e32 v[140:141], v[136:137], v[90:91]
	v_mul_f64_e32 v[90:91], v[138:139], v[90:91]
	scratch_load_b128 v[116:119], off, off offset:416
	v_add_f64_e32 v[4:5], v[4:5], v[128:129]
	v_add_f64_e32 v[142:143], v[130:131], v[142:143]
	ds_load_b128 v[128:131], v2 offset:800
	s_wait_loadcnt_dscnt 0xb01
	v_mul_f64_e32 v[146:147], v[84:85], v[94:95]
	v_mul_f64_e32 v[94:95], v[86:87], v[94:95]
	v_fmac_f64_e32 v[140:141], v[138:139], v[88:89]
	v_fma_f64 v[136:137], v[136:137], v[88:89], -v[90:91]
	scratch_load_b128 v[88:91], off, off offset:432
	v_add_f64_e32 v[4:5], v[4:5], v[144:145]
	v_add_f64_e32 v[8:9], v[142:143], v[8:9]
	v_fmac_f64_e32 v[146:147], v[86:87], v[92:93]
	v_fma_f64 v[144:145], v[84:85], v[92:93], -v[94:95]
	ds_load_b128 v[84:87], v2 offset:816
	s_wait_loadcnt_dscnt 0xb01
	v_mul_f64_e32 v[142:143], v[128:129], v[98:99]
	v_mul_f64_e32 v[98:99], v[130:131], v[98:99]
	scratch_load_b128 v[92:95], off, off offset:448
	v_add_f64_e32 v[4:5], v[4:5], v[136:137]
	v_add_f64_e32 v[8:9], v[8:9], v[140:141]
	s_wait_loadcnt_dscnt 0xb00
	v_mul_f64_e32 v[140:141], v[84:85], v[102:103]
	v_mul_f64_e32 v[102:103], v[86:87], v[102:103]
	ds_load_b128 v[136:139], v2 offset:832
	v_fmac_f64_e32 v[142:143], v[130:131], v[96:97]
	v_fma_f64 v[128:129], v[128:129], v[96:97], -v[98:99]
	scratch_load_b128 v[96:99], off, off offset:464
	v_add_f64_e32 v[4:5], v[4:5], v[144:145]
	v_add_f64_e32 v[8:9], v[8:9], v[146:147]
	v_fmac_f64_e32 v[140:141], v[86:87], v[100:101]
	v_fma_f64 v[146:147], v[84:85], v[100:101], -v[102:103]
	ds_load_b128 v[84:87], v2 offset:848
	s_wait_loadcnt_dscnt 0xb01
	v_mul_f64_e32 v[144:145], v[136:137], v[106:107]
	v_mul_f64_e32 v[106:107], v[138:139], v[106:107]
	scratch_load_b128 v[100:103], off, off offset:480
	v_add_f64_e32 v[4:5], v[4:5], v[128:129]
	v_add_f64_e32 v[8:9], v[8:9], v[142:143]
	s_wait_loadcnt_dscnt 0xb00
	v_mul_f64_e32 v[142:143], v[84:85], v[110:111]
	v_mul_f64_e32 v[110:111], v[86:87], v[110:111]
	ds_load_b128 v[128:131], v2 offset:864
	;; [unrolled: 18-line block ×3, first 2 shown]
	v_fmac_f64_e32 v[140:141], v[130:131], v[112:113]
	v_fma_f64 v[112:113], v[128:129], v[112:113], -v[114:115]
	s_wait_loadcnt_dscnt 0x800
	v_mul_f64_e32 v[128:129], v[136:137], v[12:13]
	v_add_f64_e32 v[4:5], v[4:5], v[146:147]
	v_add_f64_e32 v[8:9], v[8:9], v[142:143]
	v_mul_f64_e32 v[12:13], v[138:139], v[12:13]
	v_fmac_f64_e32 v[144:145], v[86:87], v[120:121]
	v_fma_f64 v[120:121], v[84:85], v[120:121], -v[122:123]
	v_fmac_f64_e32 v[128:129], v[138:139], v[10:11]
	v_add_f64_e32 v[4:5], v[4:5], v[112:113]
	v_add_f64_e32 v[8:9], v[8:9], v[140:141]
	ds_load_b128 v[84:87], v2 offset:912
	ds_load_b128 v[112:115], v2 offset:928
	v_fma_f64 v[10:11], v[136:137], v[10:11], -v[12:13]
	s_wait_dscnt 0x1
	v_mul_f64_e32 v[122:123], v[84:85], v[134:135]
	v_mul_f64_e32 v[130:131], v[86:87], v[134:135]
	v_add_f64_e32 v[4:5], v[4:5], v[120:121]
	v_add_f64_e32 v[8:9], v[8:9], v[144:145]
	s_wait_loadcnt_dscnt 0x700
	v_mul_f64_e32 v[12:13], v[112:113], v[82:83]
	v_mul_f64_e32 v[120:121], v[114:115], v[82:83]
	v_fmac_f64_e32 v[122:123], v[86:87], v[132:133]
	v_fma_f64 v[86:87], v[84:85], v[132:133], -v[130:131]
	v_add_f64_e32 v[4:5], v[4:5], v[10:11]
	v_add_f64_e32 v[128:129], v[8:9], v[128:129]
	ds_load_b128 v[8:11], v2 offset:944
	ds_load_b128 v[82:85], v2 offset:960
	v_fmac_f64_e32 v[12:13], v[114:115], v[80:81]
	v_fma_f64 v[80:81], v[112:113], v[80:81], -v[120:121]
	s_wait_loadcnt_dscnt 0x601
	v_mul_f64_e32 v[130:131], v[8:9], v[118:119]
	v_mul_f64_e32 v[118:119], v[10:11], v[118:119]
	s_wait_loadcnt_dscnt 0x500
	v_mul_f64_e32 v[120:121], v[82:83], v[90:91]
	v_mul_f64_e32 v[90:91], v[84:85], v[90:91]
	v_add_f64_e32 v[4:5], v[4:5], v[86:87]
	v_add_f64_e32 v[86:87], v[128:129], v[122:123]
	v_fmac_f64_e32 v[130:131], v[10:11], v[116:117]
	v_fma_f64 v[116:117], v[8:9], v[116:117], -v[118:119]
	ds_load_b128 v[8:11], v2 offset:976
	ds_load_b128 v[112:115], v2 offset:992
	v_fmac_f64_e32 v[120:121], v[84:85], v[88:89]
	v_fma_f64 v[82:83], v[82:83], v[88:89], -v[90:91]
	v_add_f64_e32 v[4:5], v[4:5], v[80:81]
	v_add_f64_e32 v[12:13], v[86:87], v[12:13]
	s_wait_loadcnt_dscnt 0x401
	v_mul_f64_e32 v[86:87], v[8:9], v[94:95]
	v_mul_f64_e32 v[80:81], v[10:11], v[94:95]
	s_wait_loadcnt_dscnt 0x300
	v_mul_f64_e32 v[84:85], v[112:113], v[98:99]
	v_mul_f64_e32 v[88:89], v[114:115], v[98:99]
	v_add_f64_e32 v[4:5], v[4:5], v[116:117]
	v_add_f64_e32 v[12:13], v[12:13], v[130:131]
	v_fmac_f64_e32 v[86:87], v[10:11], v[92:93]
	v_fma_f64 v[90:91], v[8:9], v[92:93], -v[80:81]
	v_fmac_f64_e32 v[84:85], v[114:115], v[96:97]
	v_fma_f64 v[88:89], v[112:113], v[96:97], -v[88:89]
	v_add_f64_e32 v[4:5], v[4:5], v[82:83]
	v_add_f64_e32 v[12:13], v[12:13], v[120:121]
	ds_load_b128 v[8:11], v2 offset:1008
	ds_load_b128 v[80:83], v2 offset:1024
	s_wait_loadcnt_dscnt 0x201
	v_mul_f64_e32 v[92:93], v[8:9], v[102:103]
	v_mul_f64_e32 v[94:95], v[10:11], v[102:103]
	v_add_f64_e32 v[4:5], v[4:5], v[90:91]
	v_add_f64_e32 v[12:13], v[12:13], v[86:87]
	s_wait_loadcnt_dscnt 0x100
	v_mul_f64_e32 v[86:87], v[80:81], v[106:107]
	v_mul_f64_e32 v[90:91], v[82:83], v[106:107]
	v_fmac_f64_e32 v[92:93], v[10:11], v[100:101]
	v_fma_f64 v[94:95], v[8:9], v[100:101], -v[94:95]
	ds_load_b128 v[8:11], v2 offset:1040
	v_add_f64_e32 v[4:5], v[4:5], v[88:89]
	v_add_f64_e32 v[12:13], v[12:13], v[84:85]
	v_fmac_f64_e32 v[86:87], v[82:83], v[104:105]
	v_fma_f64 v[80:81], v[80:81], v[104:105], -v[90:91]
	s_wait_loadcnt_dscnt 0x0
	v_mul_f64_e32 v[84:85], v[8:9], v[110:111]
	v_mul_f64_e32 v[88:89], v[10:11], v[110:111]
	v_add_f64_e32 v[4:5], v[4:5], v[94:95]
	v_add_f64_e32 v[12:13], v[12:13], v[92:93]
	s_delay_alu instid0(VALU_DEP_4) | instskip(NEXT) | instid1(VALU_DEP_4)
	v_fmac_f64_e32 v[84:85], v[10:11], v[108:109]
	v_fma_f64 v[8:9], v[8:9], v[108:109], -v[88:89]
	s_delay_alu instid0(VALU_DEP_4) | instskip(NEXT) | instid1(VALU_DEP_4)
	v_add_f64_e32 v[4:5], v[4:5], v[80:81]
	v_add_f64_e32 v[10:11], v[12:13], v[86:87]
	s_delay_alu instid0(VALU_DEP_2) | instskip(NEXT) | instid1(VALU_DEP_2)
	v_add_f64_e32 v[4:5], v[4:5], v[8:9]
	v_add_f64_e32 v[10:11], v[10:11], v[84:85]
	s_delay_alu instid0(VALU_DEP_2) | instskip(NEXT) | instid1(VALU_DEP_2)
	v_add_f64_e64 v[8:9], v[124:125], -v[4:5]
	v_add_f64_e64 v[10:11], v[126:127], -v[10:11]
	scratch_store_b128 off, v[8:11], off offset:176
	s_wait_xcnt 0x0
	v_cmpx_lt_u32_e32 10, v1
	s_cbranch_execz .LBB96_191
; %bb.190:
	scratch_load_b128 v[8:11], off, s39
	v_dual_mov_b32 v3, v2 :: v_dual_mov_b32 v4, v2
	v_mov_b32_e32 v5, v2
	scratch_store_b128 off, v[2:5], off offset:160
	s_wait_loadcnt 0x0
	ds_store_b128 v6, v[8:11]
.LBB96_191:
	s_wait_xcnt 0x0
	s_or_b32 exec_lo, exec_lo, s2
	s_wait_storecnt_dscnt 0x0
	s_barrier_signal -1
	s_barrier_wait -1
	s_clause 0x9
	scratch_load_b128 v[8:11], off, off offset:176
	scratch_load_b128 v[80:83], off, off offset:192
	;; [unrolled: 1-line block ×10, first 2 shown]
	ds_load_b128 v[116:119], v2 offset:704
	ds_load_b128 v[124:127], v2 offset:720
	s_clause 0x1
	scratch_load_b128 v[120:123], off, off offset:336
	scratch_load_b128 v[128:131], off, off offset:160
	s_mov_b32 s2, exec_lo
	s_wait_loadcnt_dscnt 0xb01
	v_mul_f64_e32 v[4:5], v[118:119], v[10:11]
	v_mul_f64_e32 v[140:141], v[116:117], v[10:11]
	scratch_load_b128 v[10:13], off, off offset:352
	s_wait_loadcnt_dscnt 0xb00
	v_mul_f64_e32 v[142:143], v[124:125], v[82:83]
	v_mul_f64_e32 v[82:83], v[126:127], v[82:83]
	v_fma_f64 v[4:5], v[116:117], v[8:9], -v[4:5]
	v_fmac_f64_e32 v[140:141], v[118:119], v[8:9]
	ds_load_b128 v[116:119], v2 offset:736
	ds_load_b128 v[132:135], v2 offset:752
	scratch_load_b128 v[136:139], off, off offset:368
	v_fmac_f64_e32 v[142:143], v[126:127], v[80:81]
	v_fma_f64 v[124:125], v[124:125], v[80:81], -v[82:83]
	scratch_load_b128 v[80:83], off, off offset:384
	s_wait_loadcnt_dscnt 0xc01
	v_mul_f64_e32 v[8:9], v[116:117], v[86:87]
	v_mul_f64_e32 v[86:87], v[118:119], v[86:87]
	v_add_f64_e32 v[4:5], 0, v[4:5]
	v_add_f64_e32 v[126:127], 0, v[140:141]
	s_wait_loadcnt_dscnt 0xb00
	v_mul_f64_e32 v[140:141], v[132:133], v[90:91]
	v_mul_f64_e32 v[90:91], v[134:135], v[90:91]
	v_fmac_f64_e32 v[8:9], v[118:119], v[84:85]
	v_fma_f64 v[144:145], v[116:117], v[84:85], -v[86:87]
	ds_load_b128 v[84:87], v2 offset:768
	ds_load_b128 v[116:119], v2 offset:784
	v_add_f64_e32 v[4:5], v[4:5], v[124:125]
	v_add_f64_e32 v[142:143], v[126:127], v[142:143]
	scratch_load_b128 v[124:127], off, off offset:400
	v_fmac_f64_e32 v[140:141], v[134:135], v[88:89]
	v_fma_f64 v[132:133], v[132:133], v[88:89], -v[90:91]
	scratch_load_b128 v[88:91], off, off offset:416
	s_wait_loadcnt_dscnt 0xc01
	v_mul_f64_e32 v[146:147], v[84:85], v[94:95]
	v_mul_f64_e32 v[94:95], v[86:87], v[94:95]
	v_add_f64_e32 v[4:5], v[4:5], v[144:145]
	v_add_f64_e32 v[8:9], v[142:143], v[8:9]
	s_wait_loadcnt_dscnt 0xb00
	v_mul_f64_e32 v[142:143], v[116:117], v[98:99]
	v_mul_f64_e32 v[98:99], v[118:119], v[98:99]
	v_fmac_f64_e32 v[146:147], v[86:87], v[92:93]
	v_fma_f64 v[144:145], v[84:85], v[92:93], -v[94:95]
	ds_load_b128 v[84:87], v2 offset:800
	ds_load_b128 v[92:95], v2 offset:816
	v_add_f64_e32 v[4:5], v[4:5], v[132:133]
	v_add_f64_e32 v[8:9], v[8:9], v[140:141]
	scratch_load_b128 v[132:135], off, off offset:432
	s_wait_loadcnt_dscnt 0xb01
	v_mul_f64_e32 v[140:141], v[84:85], v[102:103]
	v_mul_f64_e32 v[102:103], v[86:87], v[102:103]
	v_fmac_f64_e32 v[142:143], v[118:119], v[96:97]
	v_fma_f64 v[116:117], v[116:117], v[96:97], -v[98:99]
	scratch_load_b128 v[96:99], off, off offset:448
	v_add_f64_e32 v[4:5], v[4:5], v[144:145]
	v_add_f64_e32 v[8:9], v[8:9], v[146:147]
	s_wait_loadcnt_dscnt 0xb00
	v_mul_f64_e32 v[144:145], v[92:93], v[106:107]
	v_mul_f64_e32 v[106:107], v[94:95], v[106:107]
	v_fmac_f64_e32 v[140:141], v[86:87], v[100:101]
	v_fma_f64 v[146:147], v[84:85], v[100:101], -v[102:103]
	ds_load_b128 v[84:87], v2 offset:832
	ds_load_b128 v[100:103], v2 offset:848
	v_add_f64_e32 v[4:5], v[4:5], v[116:117]
	v_add_f64_e32 v[8:9], v[8:9], v[142:143]
	scratch_load_b128 v[116:119], off, off offset:464
	s_wait_loadcnt_dscnt 0xb01
	v_mul_f64_e32 v[142:143], v[84:85], v[110:111]
	v_mul_f64_e32 v[110:111], v[86:87], v[110:111]
	v_fmac_f64_e32 v[144:145], v[94:95], v[104:105]
	v_fma_f64 v[104:105], v[92:93], v[104:105], -v[106:107]
	scratch_load_b128 v[92:95], off, off offset:480
	v_add_f64_e32 v[4:5], v[4:5], v[146:147]
	v_add_f64_e32 v[8:9], v[8:9], v[140:141]
	s_wait_loadcnt_dscnt 0xb00
	v_mul_f64_e32 v[140:141], v[100:101], v[114:115]
	v_mul_f64_e32 v[114:115], v[102:103], v[114:115]
	v_fmac_f64_e32 v[142:143], v[86:87], v[108:109]
	v_fma_f64 v[146:147], v[84:85], v[108:109], -v[110:111]
	v_add_f64_e32 v[4:5], v[4:5], v[104:105]
	v_add_f64_e32 v[8:9], v[8:9], v[144:145]
	ds_load_b128 v[84:87], v2 offset:864
	ds_load_b128 v[104:107], v2 offset:880
	scratch_load_b128 v[108:111], off, off offset:496
	v_fmac_f64_e32 v[140:141], v[102:103], v[112:113]
	v_fma_f64 v[112:113], v[100:101], v[112:113], -v[114:115]
	scratch_load_b128 v[100:103], off, off offset:512
	s_wait_loadcnt_dscnt 0xc01
	v_mul_f64_e32 v[144:145], v[84:85], v[122:123]
	v_mul_f64_e32 v[122:123], v[86:87], v[122:123]
	v_add_f64_e32 v[4:5], v[4:5], v[146:147]
	v_add_f64_e32 v[8:9], v[8:9], v[142:143]
	s_wait_loadcnt_dscnt 0xa00
	v_mul_f64_e32 v[142:143], v[104:105], v[12:13]
	v_mul_f64_e32 v[12:13], v[106:107], v[12:13]
	v_fmac_f64_e32 v[144:145], v[86:87], v[120:121]
	v_fma_f64 v[120:121], v[84:85], v[120:121], -v[122:123]
	v_add_f64_e32 v[4:5], v[4:5], v[112:113]
	v_add_f64_e32 v[8:9], v[8:9], v[140:141]
	ds_load_b128 v[84:87], v2 offset:896
	ds_load_b128 v[112:115], v2 offset:912
	v_fmac_f64_e32 v[142:143], v[106:107], v[10:11]
	v_fma_f64 v[10:11], v[104:105], v[10:11], -v[12:13]
	s_wait_loadcnt_dscnt 0x901
	v_mul_f64_e32 v[122:123], v[84:85], v[138:139]
	v_mul_f64_e32 v[138:139], v[86:87], v[138:139]
	s_wait_loadcnt_dscnt 0x800
	v_mul_f64_e32 v[12:13], v[112:113], v[82:83]
	v_mul_f64_e32 v[104:105], v[114:115], v[82:83]
	v_add_f64_e32 v[4:5], v[4:5], v[120:121]
	v_add_f64_e32 v[8:9], v[8:9], v[144:145]
	v_fmac_f64_e32 v[122:123], v[86:87], v[136:137]
	v_fma_f64 v[86:87], v[84:85], v[136:137], -v[138:139]
	v_fmac_f64_e32 v[12:13], v[114:115], v[80:81]
	v_fma_f64 v[80:81], v[112:113], v[80:81], -v[104:105]
	v_add_f64_e32 v[4:5], v[4:5], v[10:11]
	v_add_f64_e32 v[106:107], v[8:9], v[142:143]
	ds_load_b128 v[8:11], v2 offset:928
	ds_load_b128 v[82:85], v2 offset:944
	s_wait_loadcnt_dscnt 0x701
	v_mul_f64_e32 v[120:121], v[8:9], v[126:127]
	v_mul_f64_e32 v[126:127], v[10:11], v[126:127]
	s_wait_loadcnt_dscnt 0x600
	v_mul_f64_e32 v[112:113], v[82:83], v[90:91]
	v_mul_f64_e32 v[90:91], v[84:85], v[90:91]
	v_add_f64_e32 v[4:5], v[4:5], v[86:87]
	v_add_f64_e32 v[86:87], v[106:107], v[122:123]
	v_fmac_f64_e32 v[120:121], v[10:11], v[124:125]
	v_fma_f64 v[114:115], v[8:9], v[124:125], -v[126:127]
	ds_load_b128 v[8:11], v2 offset:960
	ds_load_b128 v[104:107], v2 offset:976
	v_fmac_f64_e32 v[112:113], v[84:85], v[88:89]
	v_fma_f64 v[82:83], v[82:83], v[88:89], -v[90:91]
	v_add_f64_e32 v[4:5], v[4:5], v[80:81]
	v_add_f64_e32 v[12:13], v[86:87], v[12:13]
	s_wait_loadcnt_dscnt 0x501
	v_mul_f64_e32 v[86:87], v[8:9], v[134:135]
	v_mul_f64_e32 v[80:81], v[10:11], v[134:135]
	s_wait_loadcnt_dscnt 0x400
	v_mul_f64_e32 v[84:85], v[104:105], v[98:99]
	v_mul_f64_e32 v[88:89], v[106:107], v[98:99]
	v_add_f64_e32 v[4:5], v[4:5], v[114:115]
	v_add_f64_e32 v[12:13], v[12:13], v[120:121]
	v_fmac_f64_e32 v[86:87], v[10:11], v[132:133]
	v_fma_f64 v[90:91], v[8:9], v[132:133], -v[80:81]
	v_fmac_f64_e32 v[84:85], v[106:107], v[96:97]
	v_fma_f64 v[88:89], v[104:105], v[96:97], -v[88:89]
	v_add_f64_e32 v[4:5], v[4:5], v[82:83]
	v_add_f64_e32 v[12:13], v[12:13], v[112:113]
	ds_load_b128 v[8:11], v2 offset:992
	ds_load_b128 v[80:83], v2 offset:1008
	s_wait_loadcnt_dscnt 0x301
	v_mul_f64_e32 v[98:99], v[8:9], v[118:119]
	v_mul_f64_e32 v[112:113], v[10:11], v[118:119]
	v_add_f64_e32 v[4:5], v[4:5], v[90:91]
	v_add_f64_e32 v[12:13], v[12:13], v[86:87]
	s_wait_loadcnt_dscnt 0x200
	v_mul_f64_e32 v[86:87], v[80:81], v[94:95]
	v_mul_f64_e32 v[90:91], v[82:83], v[94:95]
	v_fmac_f64_e32 v[98:99], v[10:11], v[116:117]
	v_fma_f64 v[94:95], v[8:9], v[116:117], -v[112:113]
	v_add_f64_e32 v[88:89], v[4:5], v[88:89]
	v_add_f64_e32 v[12:13], v[12:13], v[84:85]
	ds_load_b128 v[8:11], v2 offset:1024
	ds_load_b128 v[2:5], v2 offset:1040
	v_fmac_f64_e32 v[86:87], v[82:83], v[92:93]
	v_fma_f64 v[80:81], v[80:81], v[92:93], -v[90:91]
	s_wait_loadcnt_dscnt 0x101
	v_mul_f64_e32 v[84:85], v[8:9], v[110:111]
	v_mul_f64_e32 v[96:97], v[10:11], v[110:111]
	s_wait_loadcnt_dscnt 0x0
	v_mul_f64_e32 v[90:91], v[4:5], v[102:103]
	v_add_f64_e32 v[82:83], v[88:89], v[94:95]
	v_add_f64_e32 v[12:13], v[12:13], v[98:99]
	v_mul_f64_e32 v[88:89], v[2:3], v[102:103]
	v_fmac_f64_e32 v[84:85], v[10:11], v[108:109]
	v_fma_f64 v[8:9], v[8:9], v[108:109], -v[96:97]
	v_fma_f64 v[2:3], v[2:3], v[100:101], -v[90:91]
	v_add_f64_e32 v[10:11], v[82:83], v[80:81]
	v_add_f64_e32 v[12:13], v[12:13], v[86:87]
	v_fmac_f64_e32 v[88:89], v[4:5], v[100:101]
	s_delay_alu instid0(VALU_DEP_3) | instskip(NEXT) | instid1(VALU_DEP_3)
	v_add_f64_e32 v[4:5], v[10:11], v[8:9]
	v_add_f64_e32 v[8:9], v[12:13], v[84:85]
	s_delay_alu instid0(VALU_DEP_2) | instskip(NEXT) | instid1(VALU_DEP_2)
	v_add_f64_e32 v[2:3], v[4:5], v[2:3]
	v_add_f64_e32 v[4:5], v[8:9], v[88:89]
	s_delay_alu instid0(VALU_DEP_2) | instskip(NEXT) | instid1(VALU_DEP_2)
	v_add_f64_e64 v[2:3], v[128:129], -v[2:3]
	v_add_f64_e64 v[4:5], v[130:131], -v[4:5]
	scratch_store_b128 off, v[2:5], off offset:160
	s_wait_xcnt 0x0
	v_cmpx_lt_u32_e32 9, v1
	s_cbranch_execz .LBB96_193
; %bb.192:
	scratch_load_b128 v[2:5], off, s40
	v_mov_b32_e32 v8, 0
	s_delay_alu instid0(VALU_DEP_1)
	v_dual_mov_b32 v9, v8 :: v_dual_mov_b32 v10, v8
	v_mov_b32_e32 v11, v8
	scratch_store_b128 off, v[8:11], off offset:144
	s_wait_loadcnt 0x0
	ds_store_b128 v6, v[2:5]
.LBB96_193:
	s_wait_xcnt 0x0
	s_or_b32 exec_lo, exec_lo, s2
	s_wait_storecnt_dscnt 0x0
	s_barrier_signal -1
	s_barrier_wait -1
	s_clause 0x9
	scratch_load_b128 v[8:11], off, off offset:160
	scratch_load_b128 v[80:83], off, off offset:176
	;; [unrolled: 1-line block ×10, first 2 shown]
	v_mov_b32_e32 v2, 0
	s_mov_b32 s2, exec_lo
	ds_load_b128 v[116:119], v2 offset:688
	s_clause 0x2
	scratch_load_b128 v[120:123], off, off offset:320
	scratch_load_b128 v[124:127], off, off offset:144
	;; [unrolled: 1-line block ×3, first 2 shown]
	s_wait_loadcnt_dscnt 0xc00
	v_mul_f64_e32 v[4:5], v[118:119], v[10:11]
	v_mul_f64_e32 v[140:141], v[116:117], v[10:11]
	ds_load_b128 v[128:131], v2 offset:704
	scratch_load_b128 v[10:13], off, off offset:336
	ds_load_b128 v[136:139], v2 offset:736
	v_fma_f64 v[4:5], v[116:117], v[8:9], -v[4:5]
	v_fmac_f64_e32 v[140:141], v[118:119], v[8:9]
	ds_load_b128 v[116:119], v2 offset:720
	s_wait_loadcnt_dscnt 0xc02
	v_mul_f64_e32 v[142:143], v[128:129], v[82:83]
	v_mul_f64_e32 v[82:83], v[130:131], v[82:83]
	s_wait_loadcnt_dscnt 0xb00
	v_mul_f64_e32 v[8:9], v[116:117], v[86:87]
	v_mul_f64_e32 v[86:87], v[118:119], v[86:87]
	v_add_f64_e32 v[4:5], 0, v[4:5]
	v_fmac_f64_e32 v[142:143], v[130:131], v[80:81]
	v_fma_f64 v[128:129], v[128:129], v[80:81], -v[82:83]
	v_add_f64_e32 v[130:131], 0, v[140:141]
	scratch_load_b128 v[80:83], off, off offset:368
	v_fmac_f64_e32 v[8:9], v[118:119], v[84:85]
	v_fma_f64 v[144:145], v[116:117], v[84:85], -v[86:87]
	ds_load_b128 v[84:87], v2 offset:752
	s_wait_loadcnt 0xb
	v_mul_f64_e32 v[140:141], v[136:137], v[90:91]
	v_mul_f64_e32 v[90:91], v[138:139], v[90:91]
	scratch_load_b128 v[116:119], off, off offset:384
	v_add_f64_e32 v[4:5], v[4:5], v[128:129]
	v_add_f64_e32 v[142:143], v[130:131], v[142:143]
	ds_load_b128 v[128:131], v2 offset:768
	s_wait_loadcnt_dscnt 0xb01
	v_mul_f64_e32 v[146:147], v[84:85], v[94:95]
	v_mul_f64_e32 v[94:95], v[86:87], v[94:95]
	v_fmac_f64_e32 v[140:141], v[138:139], v[88:89]
	v_fma_f64 v[136:137], v[136:137], v[88:89], -v[90:91]
	scratch_load_b128 v[88:91], off, off offset:400
	v_add_f64_e32 v[4:5], v[4:5], v[144:145]
	v_add_f64_e32 v[8:9], v[142:143], v[8:9]
	v_fmac_f64_e32 v[146:147], v[86:87], v[92:93]
	v_fma_f64 v[144:145], v[84:85], v[92:93], -v[94:95]
	ds_load_b128 v[84:87], v2 offset:784
	s_wait_loadcnt_dscnt 0xb01
	v_mul_f64_e32 v[142:143], v[128:129], v[98:99]
	v_mul_f64_e32 v[98:99], v[130:131], v[98:99]
	scratch_load_b128 v[92:95], off, off offset:416
	v_add_f64_e32 v[4:5], v[4:5], v[136:137]
	v_add_f64_e32 v[8:9], v[8:9], v[140:141]
	s_wait_loadcnt_dscnt 0xb00
	v_mul_f64_e32 v[140:141], v[84:85], v[102:103]
	v_mul_f64_e32 v[102:103], v[86:87], v[102:103]
	ds_load_b128 v[136:139], v2 offset:800
	v_fmac_f64_e32 v[142:143], v[130:131], v[96:97]
	v_fma_f64 v[128:129], v[128:129], v[96:97], -v[98:99]
	scratch_load_b128 v[96:99], off, off offset:432
	v_add_f64_e32 v[4:5], v[4:5], v[144:145]
	v_add_f64_e32 v[8:9], v[8:9], v[146:147]
	v_fmac_f64_e32 v[140:141], v[86:87], v[100:101]
	v_fma_f64 v[146:147], v[84:85], v[100:101], -v[102:103]
	ds_load_b128 v[84:87], v2 offset:816
	s_wait_loadcnt_dscnt 0xb01
	v_mul_f64_e32 v[144:145], v[136:137], v[106:107]
	v_mul_f64_e32 v[106:107], v[138:139], v[106:107]
	scratch_load_b128 v[100:103], off, off offset:448
	v_add_f64_e32 v[4:5], v[4:5], v[128:129]
	v_add_f64_e32 v[8:9], v[8:9], v[142:143]
	s_wait_loadcnt_dscnt 0xb00
	v_mul_f64_e32 v[142:143], v[84:85], v[110:111]
	v_mul_f64_e32 v[110:111], v[86:87], v[110:111]
	ds_load_b128 v[128:131], v2 offset:832
	;; [unrolled: 18-line block ×3, first 2 shown]
	v_fmac_f64_e32 v[140:141], v[130:131], v[112:113]
	v_fma_f64 v[128:129], v[128:129], v[112:113], -v[114:115]
	scratch_load_b128 v[112:115], off, off offset:496
	v_add_f64_e32 v[4:5], v[4:5], v[146:147]
	v_add_f64_e32 v[8:9], v[8:9], v[142:143]
	v_fmac_f64_e32 v[144:145], v[86:87], v[120:121]
	v_fma_f64 v[146:147], v[84:85], v[120:121], -v[122:123]
	ds_load_b128 v[84:87], v2 offset:880
	s_wait_loadcnt_dscnt 0x901
	v_mul_f64_e32 v[142:143], v[136:137], v[12:13]
	v_mul_f64_e32 v[12:13], v[138:139], v[12:13]
	scratch_load_b128 v[120:123], off, off offset:512
	v_add_f64_e32 v[4:5], v[4:5], v[128:129]
	v_add_f64_e32 v[8:9], v[8:9], v[140:141]
	s_wait_dscnt 0x0
	v_mul_f64_e32 v[140:141], v[84:85], v[134:135]
	v_mul_f64_e32 v[134:135], v[86:87], v[134:135]
	ds_load_b128 v[128:131], v2 offset:896
	v_fmac_f64_e32 v[142:143], v[138:139], v[10:11]
	v_fma_f64 v[10:11], v[136:137], v[10:11], -v[12:13]
	v_add_f64_e32 v[4:5], v[4:5], v[146:147]
	v_add_f64_e32 v[8:9], v[8:9], v[144:145]
	s_wait_loadcnt_dscnt 0x900
	v_mul_f64_e32 v[12:13], v[128:129], v[82:83]
	v_mul_f64_e32 v[136:137], v[130:131], v[82:83]
	v_fmac_f64_e32 v[140:141], v[86:87], v[132:133]
	v_fma_f64 v[86:87], v[84:85], v[132:133], -v[134:135]
	v_add_f64_e32 v[4:5], v[4:5], v[10:11]
	v_add_f64_e32 v[132:133], v[8:9], v[142:143]
	ds_load_b128 v[8:11], v2 offset:912
	ds_load_b128 v[82:85], v2 offset:928
	v_fmac_f64_e32 v[12:13], v[130:131], v[80:81]
	v_fma_f64 v[80:81], v[128:129], v[80:81], -v[136:137]
	s_wait_loadcnt_dscnt 0x801
	v_mul_f64_e32 v[134:135], v[8:9], v[118:119]
	v_mul_f64_e32 v[118:119], v[10:11], v[118:119]
	s_wait_loadcnt_dscnt 0x700
	v_mul_f64_e32 v[128:129], v[82:83], v[90:91]
	v_mul_f64_e32 v[90:91], v[84:85], v[90:91]
	v_add_f64_e32 v[4:5], v[4:5], v[86:87]
	v_add_f64_e32 v[86:87], v[132:133], v[140:141]
	v_fmac_f64_e32 v[134:135], v[10:11], v[116:117]
	v_fma_f64 v[130:131], v[8:9], v[116:117], -v[118:119]
	ds_load_b128 v[8:11], v2 offset:944
	ds_load_b128 v[116:119], v2 offset:960
	v_fmac_f64_e32 v[128:129], v[84:85], v[88:89]
	v_fma_f64 v[82:83], v[82:83], v[88:89], -v[90:91]
	v_add_f64_e32 v[4:5], v[4:5], v[80:81]
	v_add_f64_e32 v[12:13], v[86:87], v[12:13]
	s_wait_loadcnt_dscnt 0x601
	v_mul_f64_e32 v[86:87], v[8:9], v[94:95]
	v_mul_f64_e32 v[80:81], v[10:11], v[94:95]
	s_wait_loadcnt_dscnt 0x500
	v_mul_f64_e32 v[84:85], v[116:117], v[98:99]
	v_mul_f64_e32 v[88:89], v[118:119], v[98:99]
	v_add_f64_e32 v[4:5], v[4:5], v[130:131]
	v_add_f64_e32 v[12:13], v[12:13], v[134:135]
	v_fmac_f64_e32 v[86:87], v[10:11], v[92:93]
	v_fma_f64 v[90:91], v[8:9], v[92:93], -v[80:81]
	v_fmac_f64_e32 v[84:85], v[118:119], v[96:97]
	v_fma_f64 v[88:89], v[116:117], v[96:97], -v[88:89]
	v_add_f64_e32 v[4:5], v[4:5], v[82:83]
	v_add_f64_e32 v[12:13], v[12:13], v[128:129]
	ds_load_b128 v[8:11], v2 offset:976
	ds_load_b128 v[80:83], v2 offset:992
	s_wait_loadcnt_dscnt 0x401
	v_mul_f64_e32 v[92:93], v[8:9], v[102:103]
	v_mul_f64_e32 v[94:95], v[10:11], v[102:103]
	s_wait_loadcnt_dscnt 0x300
	v_mul_f64_e32 v[96:97], v[82:83], v[106:107]
	v_add_f64_e32 v[4:5], v[4:5], v[90:91]
	v_add_f64_e32 v[12:13], v[12:13], v[86:87]
	v_mul_f64_e32 v[90:91], v[80:81], v[106:107]
	v_fmac_f64_e32 v[92:93], v[10:11], v[100:101]
	v_fma_f64 v[94:95], v[8:9], v[100:101], -v[94:95]
	v_fma_f64 v[80:81], v[80:81], v[104:105], -v[96:97]
	v_add_f64_e32 v[4:5], v[4:5], v[88:89]
	v_add_f64_e32 v[12:13], v[12:13], v[84:85]
	ds_load_b128 v[8:11], v2 offset:1008
	ds_load_b128 v[84:87], v2 offset:1024
	v_fmac_f64_e32 v[90:91], v[82:83], v[104:105]
	s_wait_loadcnt_dscnt 0x201
	v_mul_f64_e32 v[88:89], v[8:9], v[110:111]
	v_mul_f64_e32 v[98:99], v[10:11], v[110:111]
	s_wait_loadcnt_dscnt 0x100
	v_mul_f64_e32 v[82:83], v[84:85], v[114:115]
	v_add_f64_e32 v[4:5], v[4:5], v[94:95]
	v_add_f64_e32 v[12:13], v[12:13], v[92:93]
	v_mul_f64_e32 v[92:93], v[86:87], v[114:115]
	v_fmac_f64_e32 v[88:89], v[10:11], v[108:109]
	v_fma_f64 v[94:95], v[8:9], v[108:109], -v[98:99]
	ds_load_b128 v[8:11], v2 offset:1040
	v_fmac_f64_e32 v[82:83], v[86:87], v[112:113]
	v_add_f64_e32 v[4:5], v[4:5], v[80:81]
	v_add_f64_e32 v[12:13], v[12:13], v[90:91]
	v_fma_f64 v[84:85], v[84:85], v[112:113], -v[92:93]
	s_wait_loadcnt_dscnt 0x0
	v_mul_f64_e32 v[80:81], v[8:9], v[122:123]
	v_mul_f64_e32 v[90:91], v[10:11], v[122:123]
	v_add_f64_e32 v[4:5], v[4:5], v[94:95]
	v_add_f64_e32 v[12:13], v[12:13], v[88:89]
	s_delay_alu instid0(VALU_DEP_4) | instskip(NEXT) | instid1(VALU_DEP_4)
	v_fmac_f64_e32 v[80:81], v[10:11], v[120:121]
	v_fma_f64 v[8:9], v[8:9], v[120:121], -v[90:91]
	s_delay_alu instid0(VALU_DEP_4) | instskip(NEXT) | instid1(VALU_DEP_4)
	v_add_f64_e32 v[4:5], v[4:5], v[84:85]
	v_add_f64_e32 v[10:11], v[12:13], v[82:83]
	s_delay_alu instid0(VALU_DEP_2) | instskip(NEXT) | instid1(VALU_DEP_2)
	v_add_f64_e32 v[4:5], v[4:5], v[8:9]
	v_add_f64_e32 v[10:11], v[10:11], v[80:81]
	s_delay_alu instid0(VALU_DEP_2) | instskip(NEXT) | instid1(VALU_DEP_2)
	v_add_f64_e64 v[8:9], v[124:125], -v[4:5]
	v_add_f64_e64 v[10:11], v[126:127], -v[10:11]
	scratch_store_b128 off, v[8:11], off offset:144
	s_wait_xcnt 0x0
	v_cmpx_lt_u32_e32 8, v1
	s_cbranch_execz .LBB96_195
; %bb.194:
	scratch_load_b128 v[8:11], off, s41
	v_dual_mov_b32 v3, v2 :: v_dual_mov_b32 v4, v2
	v_mov_b32_e32 v5, v2
	scratch_store_b128 off, v[2:5], off offset:128
	s_wait_loadcnt 0x0
	ds_store_b128 v6, v[8:11]
.LBB96_195:
	s_wait_xcnt 0x0
	s_or_b32 exec_lo, exec_lo, s2
	s_wait_storecnt_dscnt 0x0
	s_barrier_signal -1
	s_barrier_wait -1
	s_clause 0x9
	scratch_load_b128 v[8:11], off, off offset:144
	scratch_load_b128 v[80:83], off, off offset:160
	;; [unrolled: 1-line block ×10, first 2 shown]
	ds_load_b128 v[116:119], v2 offset:672
	ds_load_b128 v[124:127], v2 offset:688
	s_clause 0x1
	scratch_load_b128 v[120:123], off, off offset:304
	scratch_load_b128 v[128:131], off, off offset:128
	s_mov_b32 s2, exec_lo
	s_wait_loadcnt_dscnt 0xb01
	v_mul_f64_e32 v[4:5], v[118:119], v[10:11]
	v_mul_f64_e32 v[140:141], v[116:117], v[10:11]
	scratch_load_b128 v[10:13], off, off offset:320
	s_wait_loadcnt_dscnt 0xb00
	v_mul_f64_e32 v[142:143], v[124:125], v[82:83]
	v_mul_f64_e32 v[82:83], v[126:127], v[82:83]
	v_fma_f64 v[4:5], v[116:117], v[8:9], -v[4:5]
	v_fmac_f64_e32 v[140:141], v[118:119], v[8:9]
	ds_load_b128 v[116:119], v2 offset:704
	ds_load_b128 v[132:135], v2 offset:720
	scratch_load_b128 v[136:139], off, off offset:336
	v_fmac_f64_e32 v[142:143], v[126:127], v[80:81]
	v_fma_f64 v[124:125], v[124:125], v[80:81], -v[82:83]
	scratch_load_b128 v[80:83], off, off offset:352
	s_wait_loadcnt_dscnt 0xc01
	v_mul_f64_e32 v[8:9], v[116:117], v[86:87]
	v_mul_f64_e32 v[86:87], v[118:119], v[86:87]
	v_add_f64_e32 v[4:5], 0, v[4:5]
	v_add_f64_e32 v[126:127], 0, v[140:141]
	s_wait_loadcnt_dscnt 0xb00
	v_mul_f64_e32 v[140:141], v[132:133], v[90:91]
	v_mul_f64_e32 v[90:91], v[134:135], v[90:91]
	v_fmac_f64_e32 v[8:9], v[118:119], v[84:85]
	v_fma_f64 v[144:145], v[116:117], v[84:85], -v[86:87]
	ds_load_b128 v[84:87], v2 offset:736
	ds_load_b128 v[116:119], v2 offset:752
	v_add_f64_e32 v[4:5], v[4:5], v[124:125]
	v_add_f64_e32 v[142:143], v[126:127], v[142:143]
	scratch_load_b128 v[124:127], off, off offset:368
	v_fmac_f64_e32 v[140:141], v[134:135], v[88:89]
	v_fma_f64 v[132:133], v[132:133], v[88:89], -v[90:91]
	scratch_load_b128 v[88:91], off, off offset:384
	s_wait_loadcnt_dscnt 0xc01
	v_mul_f64_e32 v[146:147], v[84:85], v[94:95]
	v_mul_f64_e32 v[94:95], v[86:87], v[94:95]
	v_add_f64_e32 v[4:5], v[4:5], v[144:145]
	v_add_f64_e32 v[8:9], v[142:143], v[8:9]
	s_wait_loadcnt_dscnt 0xb00
	v_mul_f64_e32 v[142:143], v[116:117], v[98:99]
	v_mul_f64_e32 v[98:99], v[118:119], v[98:99]
	v_fmac_f64_e32 v[146:147], v[86:87], v[92:93]
	v_fma_f64 v[144:145], v[84:85], v[92:93], -v[94:95]
	ds_load_b128 v[84:87], v2 offset:768
	ds_load_b128 v[92:95], v2 offset:784
	v_add_f64_e32 v[4:5], v[4:5], v[132:133]
	v_add_f64_e32 v[8:9], v[8:9], v[140:141]
	scratch_load_b128 v[132:135], off, off offset:400
	s_wait_loadcnt_dscnt 0xb01
	v_mul_f64_e32 v[140:141], v[84:85], v[102:103]
	v_mul_f64_e32 v[102:103], v[86:87], v[102:103]
	v_fmac_f64_e32 v[142:143], v[118:119], v[96:97]
	v_fma_f64 v[116:117], v[116:117], v[96:97], -v[98:99]
	scratch_load_b128 v[96:99], off, off offset:416
	v_add_f64_e32 v[4:5], v[4:5], v[144:145]
	v_add_f64_e32 v[8:9], v[8:9], v[146:147]
	s_wait_loadcnt_dscnt 0xb00
	v_mul_f64_e32 v[144:145], v[92:93], v[106:107]
	v_mul_f64_e32 v[106:107], v[94:95], v[106:107]
	v_fmac_f64_e32 v[140:141], v[86:87], v[100:101]
	v_fma_f64 v[146:147], v[84:85], v[100:101], -v[102:103]
	ds_load_b128 v[84:87], v2 offset:800
	ds_load_b128 v[100:103], v2 offset:816
	v_add_f64_e32 v[4:5], v[4:5], v[116:117]
	v_add_f64_e32 v[8:9], v[8:9], v[142:143]
	scratch_load_b128 v[116:119], off, off offset:432
	s_wait_loadcnt_dscnt 0xb01
	v_mul_f64_e32 v[142:143], v[84:85], v[110:111]
	v_mul_f64_e32 v[110:111], v[86:87], v[110:111]
	v_fmac_f64_e32 v[144:145], v[94:95], v[104:105]
	v_fma_f64 v[104:105], v[92:93], v[104:105], -v[106:107]
	scratch_load_b128 v[92:95], off, off offset:448
	v_add_f64_e32 v[4:5], v[4:5], v[146:147]
	v_add_f64_e32 v[8:9], v[8:9], v[140:141]
	s_wait_loadcnt_dscnt 0xb00
	v_mul_f64_e32 v[140:141], v[100:101], v[114:115]
	v_mul_f64_e32 v[114:115], v[102:103], v[114:115]
	v_fmac_f64_e32 v[142:143], v[86:87], v[108:109]
	v_fma_f64 v[146:147], v[84:85], v[108:109], -v[110:111]
	v_add_f64_e32 v[4:5], v[4:5], v[104:105]
	v_add_f64_e32 v[8:9], v[8:9], v[144:145]
	ds_load_b128 v[84:87], v2 offset:832
	ds_load_b128 v[104:107], v2 offset:848
	scratch_load_b128 v[108:111], off, off offset:464
	v_fmac_f64_e32 v[140:141], v[102:103], v[112:113]
	v_fma_f64 v[112:113], v[100:101], v[112:113], -v[114:115]
	scratch_load_b128 v[100:103], off, off offset:480
	s_wait_loadcnt_dscnt 0xc01
	v_mul_f64_e32 v[144:145], v[84:85], v[122:123]
	v_mul_f64_e32 v[122:123], v[86:87], v[122:123]
	v_add_f64_e32 v[4:5], v[4:5], v[146:147]
	v_add_f64_e32 v[8:9], v[8:9], v[142:143]
	s_wait_loadcnt_dscnt 0xa00
	v_mul_f64_e32 v[142:143], v[104:105], v[12:13]
	v_mul_f64_e32 v[12:13], v[106:107], v[12:13]
	v_fmac_f64_e32 v[144:145], v[86:87], v[120:121]
	v_fma_f64 v[146:147], v[84:85], v[120:121], -v[122:123]
	v_add_f64_e32 v[4:5], v[4:5], v[112:113]
	v_add_f64_e32 v[8:9], v[8:9], v[140:141]
	ds_load_b128 v[84:87], v2 offset:864
	ds_load_b128 v[112:115], v2 offset:880
	scratch_load_b128 v[120:123], off, off offset:496
	v_fmac_f64_e32 v[142:143], v[106:107], v[10:11]
	v_fma_f64 v[12:13], v[104:105], v[10:11], -v[12:13]
	s_wait_loadcnt_dscnt 0xa01
	v_mul_f64_e32 v[140:141], v[84:85], v[138:139]
	v_mul_f64_e32 v[138:139], v[86:87], v[138:139]
	v_add_f64_e32 v[4:5], v[4:5], v[146:147]
	v_add_f64_e32 v[104:105], v[8:9], v[144:145]
	scratch_load_b128 v[8:11], off, off offset:512
	s_wait_loadcnt_dscnt 0xa00
	v_mul_f64_e32 v[144:145], v[112:113], v[82:83]
	v_mul_f64_e32 v[146:147], v[114:115], v[82:83]
	v_fmac_f64_e32 v[140:141], v[86:87], v[136:137]
	v_fma_f64 v[86:87], v[84:85], v[136:137], -v[138:139]
	v_add_f64_e32 v[4:5], v[4:5], v[12:13]
	v_add_f64_e32 v[12:13], v[104:105], v[142:143]
	ds_load_b128 v[82:85], v2 offset:896
	ds_load_b128 v[104:107], v2 offset:912
	v_fmac_f64_e32 v[144:145], v[114:115], v[80:81]
	v_fma_f64 v[80:81], v[112:113], v[80:81], -v[146:147]
	s_wait_loadcnt_dscnt 0x901
	v_mul_f64_e32 v[136:137], v[82:83], v[126:127]
	v_mul_f64_e32 v[126:127], v[84:85], v[126:127]
	s_wait_loadcnt_dscnt 0x800
	v_mul_f64_e32 v[112:113], v[104:105], v[90:91]
	v_mul_f64_e32 v[90:91], v[106:107], v[90:91]
	v_add_f64_e32 v[4:5], v[4:5], v[86:87]
	v_add_f64_e32 v[12:13], v[12:13], v[140:141]
	v_fmac_f64_e32 v[136:137], v[84:85], v[124:125]
	v_fma_f64 v[114:115], v[82:83], v[124:125], -v[126:127]
	v_fmac_f64_e32 v[112:113], v[106:107], v[88:89]
	v_fma_f64 v[88:89], v[104:105], v[88:89], -v[90:91]
	v_add_f64_e32 v[4:5], v[4:5], v[80:81]
	v_add_f64_e32 v[12:13], v[12:13], v[144:145]
	ds_load_b128 v[80:83], v2 offset:928
	ds_load_b128 v[84:87], v2 offset:944
	s_wait_loadcnt_dscnt 0x701
	v_mul_f64_e32 v[124:125], v[80:81], v[134:135]
	v_mul_f64_e32 v[126:127], v[82:83], v[134:135]
	s_wait_loadcnt_dscnt 0x600
	v_mul_f64_e32 v[104:105], v[84:85], v[98:99]
	v_mul_f64_e32 v[98:99], v[86:87], v[98:99]
	v_add_f64_e32 v[4:5], v[4:5], v[114:115]
	v_add_f64_e32 v[12:13], v[12:13], v[136:137]
	v_fmac_f64_e32 v[124:125], v[82:83], v[132:133]
	v_fma_f64 v[106:107], v[80:81], v[132:133], -v[126:127]
	v_fmac_f64_e32 v[104:105], v[86:87], v[96:97]
	v_fma_f64 v[84:85], v[84:85], v[96:97], -v[98:99]
	v_add_f64_e32 v[4:5], v[4:5], v[88:89]
	v_add_f64_e32 v[12:13], v[12:13], v[112:113]
	ds_load_b128 v[80:83], v2 offset:960
	ds_load_b128 v[88:91], v2 offset:976
	;; [unrolled: 16-line block ×4, first 2 shown]
	s_wait_loadcnt_dscnt 0x101
	v_mul_f64_e32 v[96:97], v[80:81], v[122:123]
	v_mul_f64_e32 v[98:99], v[82:83], v[122:123]
	v_add_f64_e32 v[86:87], v[88:89], v[94:95]
	v_add_f64_e32 v[12:13], v[12:13], v[104:105]
	s_wait_loadcnt_dscnt 0x0
	v_mul_f64_e32 v[88:89], v[2:3], v[10:11]
	v_mul_f64_e32 v[10:11], v[4:5], v[10:11]
	v_fmac_f64_e32 v[96:97], v[82:83], v[120:121]
	v_fma_f64 v[80:81], v[80:81], v[120:121], -v[98:99]
	v_add_f64_e32 v[82:83], v[86:87], v[84:85]
	v_add_f64_e32 v[12:13], v[12:13], v[90:91]
	v_fmac_f64_e32 v[88:89], v[4:5], v[8:9]
	v_fma_f64 v[2:3], v[2:3], v[8:9], -v[10:11]
	s_delay_alu instid0(VALU_DEP_4) | instskip(NEXT) | instid1(VALU_DEP_4)
	v_add_f64_e32 v[4:5], v[82:83], v[80:81]
	v_add_f64_e32 v[8:9], v[12:13], v[96:97]
	s_delay_alu instid0(VALU_DEP_2) | instskip(NEXT) | instid1(VALU_DEP_2)
	v_add_f64_e32 v[2:3], v[4:5], v[2:3]
	v_add_f64_e32 v[4:5], v[8:9], v[88:89]
	s_delay_alu instid0(VALU_DEP_2) | instskip(NEXT) | instid1(VALU_DEP_2)
	v_add_f64_e64 v[2:3], v[128:129], -v[2:3]
	v_add_f64_e64 v[4:5], v[130:131], -v[4:5]
	scratch_store_b128 off, v[2:5], off offset:128
	s_wait_xcnt 0x0
	v_cmpx_lt_u32_e32 7, v1
	s_cbranch_execz .LBB96_197
; %bb.196:
	scratch_load_b128 v[2:5], off, s42
	v_mov_b32_e32 v8, 0
	s_delay_alu instid0(VALU_DEP_1)
	v_dual_mov_b32 v9, v8 :: v_dual_mov_b32 v10, v8
	v_mov_b32_e32 v11, v8
	scratch_store_b128 off, v[8:11], off offset:112
	s_wait_loadcnt 0x0
	ds_store_b128 v6, v[2:5]
.LBB96_197:
	s_wait_xcnt 0x0
	s_or_b32 exec_lo, exec_lo, s2
	s_wait_storecnt_dscnt 0x0
	s_barrier_signal -1
	s_barrier_wait -1
	s_clause 0x9
	scratch_load_b128 v[8:11], off, off offset:128
	scratch_load_b128 v[80:83], off, off offset:144
	;; [unrolled: 1-line block ×10, first 2 shown]
	v_mov_b32_e32 v2, 0
	s_mov_b32 s2, exec_lo
	ds_load_b128 v[116:119], v2 offset:656
	s_clause 0x2
	scratch_load_b128 v[120:123], off, off offset:288
	scratch_load_b128 v[124:127], off, off offset:112
	;; [unrolled: 1-line block ×3, first 2 shown]
	s_wait_loadcnt_dscnt 0xc00
	v_mul_f64_e32 v[4:5], v[118:119], v[10:11]
	v_mul_f64_e32 v[140:141], v[116:117], v[10:11]
	ds_load_b128 v[128:131], v2 offset:672
	scratch_load_b128 v[10:13], off, off offset:304
	ds_load_b128 v[136:139], v2 offset:704
	v_fma_f64 v[4:5], v[116:117], v[8:9], -v[4:5]
	v_fmac_f64_e32 v[140:141], v[118:119], v[8:9]
	ds_load_b128 v[116:119], v2 offset:688
	s_wait_loadcnt_dscnt 0xc02
	v_mul_f64_e32 v[142:143], v[128:129], v[82:83]
	v_mul_f64_e32 v[82:83], v[130:131], v[82:83]
	s_wait_loadcnt_dscnt 0xb00
	v_mul_f64_e32 v[8:9], v[116:117], v[86:87]
	v_mul_f64_e32 v[86:87], v[118:119], v[86:87]
	v_add_f64_e32 v[4:5], 0, v[4:5]
	v_fmac_f64_e32 v[142:143], v[130:131], v[80:81]
	v_fma_f64 v[128:129], v[128:129], v[80:81], -v[82:83]
	v_add_f64_e32 v[130:131], 0, v[140:141]
	scratch_load_b128 v[80:83], off, off offset:336
	v_fmac_f64_e32 v[8:9], v[118:119], v[84:85]
	v_fma_f64 v[144:145], v[116:117], v[84:85], -v[86:87]
	ds_load_b128 v[84:87], v2 offset:720
	s_wait_loadcnt 0xb
	v_mul_f64_e32 v[140:141], v[136:137], v[90:91]
	v_mul_f64_e32 v[90:91], v[138:139], v[90:91]
	scratch_load_b128 v[116:119], off, off offset:352
	v_add_f64_e32 v[4:5], v[4:5], v[128:129]
	v_add_f64_e32 v[142:143], v[130:131], v[142:143]
	ds_load_b128 v[128:131], v2 offset:736
	s_wait_loadcnt_dscnt 0xb01
	v_mul_f64_e32 v[146:147], v[84:85], v[94:95]
	v_mul_f64_e32 v[94:95], v[86:87], v[94:95]
	v_fmac_f64_e32 v[140:141], v[138:139], v[88:89]
	v_fma_f64 v[136:137], v[136:137], v[88:89], -v[90:91]
	scratch_load_b128 v[88:91], off, off offset:368
	v_add_f64_e32 v[4:5], v[4:5], v[144:145]
	v_add_f64_e32 v[8:9], v[142:143], v[8:9]
	v_fmac_f64_e32 v[146:147], v[86:87], v[92:93]
	v_fma_f64 v[144:145], v[84:85], v[92:93], -v[94:95]
	ds_load_b128 v[84:87], v2 offset:752
	s_wait_loadcnt_dscnt 0xb01
	v_mul_f64_e32 v[142:143], v[128:129], v[98:99]
	v_mul_f64_e32 v[98:99], v[130:131], v[98:99]
	scratch_load_b128 v[92:95], off, off offset:384
	v_add_f64_e32 v[4:5], v[4:5], v[136:137]
	v_add_f64_e32 v[8:9], v[8:9], v[140:141]
	s_wait_loadcnt_dscnt 0xb00
	v_mul_f64_e32 v[140:141], v[84:85], v[102:103]
	v_mul_f64_e32 v[102:103], v[86:87], v[102:103]
	ds_load_b128 v[136:139], v2 offset:768
	v_fmac_f64_e32 v[142:143], v[130:131], v[96:97]
	v_fma_f64 v[128:129], v[128:129], v[96:97], -v[98:99]
	scratch_load_b128 v[96:99], off, off offset:400
	v_add_f64_e32 v[4:5], v[4:5], v[144:145]
	v_add_f64_e32 v[8:9], v[8:9], v[146:147]
	v_fmac_f64_e32 v[140:141], v[86:87], v[100:101]
	v_fma_f64 v[146:147], v[84:85], v[100:101], -v[102:103]
	ds_load_b128 v[84:87], v2 offset:784
	s_wait_loadcnt_dscnt 0xb01
	v_mul_f64_e32 v[144:145], v[136:137], v[106:107]
	v_mul_f64_e32 v[106:107], v[138:139], v[106:107]
	scratch_load_b128 v[100:103], off, off offset:416
	v_add_f64_e32 v[4:5], v[4:5], v[128:129]
	v_add_f64_e32 v[8:9], v[8:9], v[142:143]
	s_wait_loadcnt_dscnt 0xb00
	v_mul_f64_e32 v[142:143], v[84:85], v[110:111]
	v_mul_f64_e32 v[110:111], v[86:87], v[110:111]
	ds_load_b128 v[128:131], v2 offset:800
	;; [unrolled: 18-line block ×3, first 2 shown]
	v_fmac_f64_e32 v[140:141], v[130:131], v[112:113]
	v_fma_f64 v[128:129], v[128:129], v[112:113], -v[114:115]
	scratch_load_b128 v[112:115], off, off offset:464
	v_add_f64_e32 v[4:5], v[4:5], v[146:147]
	v_add_f64_e32 v[8:9], v[8:9], v[142:143]
	v_fmac_f64_e32 v[144:145], v[86:87], v[120:121]
	v_fma_f64 v[146:147], v[84:85], v[120:121], -v[122:123]
	ds_load_b128 v[84:87], v2 offset:848
	s_wait_loadcnt_dscnt 0x901
	v_mul_f64_e32 v[142:143], v[136:137], v[12:13]
	v_mul_f64_e32 v[12:13], v[138:139], v[12:13]
	scratch_load_b128 v[120:123], off, off offset:480
	v_add_f64_e32 v[4:5], v[4:5], v[128:129]
	v_add_f64_e32 v[8:9], v[8:9], v[140:141]
	s_wait_dscnt 0x0
	v_mul_f64_e32 v[140:141], v[84:85], v[134:135]
	v_mul_f64_e32 v[134:135], v[86:87], v[134:135]
	ds_load_b128 v[128:131], v2 offset:864
	v_fmac_f64_e32 v[142:143], v[138:139], v[10:11]
	v_fma_f64 v[12:13], v[136:137], v[10:11], -v[12:13]
	v_add_f64_e32 v[4:5], v[4:5], v[146:147]
	v_add_f64_e32 v[136:137], v[8:9], v[144:145]
	scratch_load_b128 v[8:11], off, off offset:496
	v_fmac_f64_e32 v[140:141], v[86:87], v[132:133]
	v_fma_f64 v[86:87], v[84:85], v[132:133], -v[134:135]
	scratch_load_b128 v[132:135], off, off offset:512
	v_add_f64_e32 v[4:5], v[4:5], v[12:13]
	v_add_f64_e32 v[12:13], v[136:137], v[142:143]
	ds_load_b128 v[136:139], v2 offset:896
	s_wait_loadcnt_dscnt 0xb01
	v_mul_f64_e32 v[144:145], v[128:129], v[82:83]
	v_mul_f64_e32 v[146:147], v[130:131], v[82:83]
	ds_load_b128 v[82:85], v2 offset:880
	s_wait_loadcnt_dscnt 0xa00
	v_mul_f64_e32 v[142:143], v[82:83], v[118:119]
	v_mul_f64_e32 v[118:119], v[84:85], v[118:119]
	v_add_f64_e32 v[4:5], v[4:5], v[86:87]
	v_add_f64_e32 v[12:13], v[12:13], v[140:141]
	v_fmac_f64_e32 v[144:145], v[130:131], v[80:81]
	v_fma_f64 v[80:81], v[128:129], v[80:81], -v[146:147]
	s_wait_loadcnt 0x9
	v_mul_f64_e32 v[128:129], v[136:137], v[90:91]
	v_mul_f64_e32 v[90:91], v[138:139], v[90:91]
	v_fmac_f64_e32 v[142:143], v[84:85], v[116:117]
	v_fma_f64 v[116:117], v[82:83], v[116:117], -v[118:119]
	v_add_f64_e32 v[12:13], v[12:13], v[144:145]
	v_add_f64_e32 v[4:5], v[4:5], v[80:81]
	ds_load_b128 v[80:83], v2 offset:912
	ds_load_b128 v[84:87], v2 offset:928
	v_fmac_f64_e32 v[128:129], v[138:139], v[88:89]
	v_fma_f64 v[88:89], v[136:137], v[88:89], -v[90:91]
	s_wait_loadcnt_dscnt 0x801
	v_mul_f64_e32 v[118:119], v[80:81], v[94:95]
	v_mul_f64_e32 v[94:95], v[82:83], v[94:95]
	v_add_f64_e32 v[12:13], v[12:13], v[142:143]
	v_add_f64_e32 v[4:5], v[4:5], v[116:117]
	s_wait_loadcnt_dscnt 0x700
	v_mul_f64_e32 v[116:117], v[84:85], v[98:99]
	v_mul_f64_e32 v[98:99], v[86:87], v[98:99]
	v_fmac_f64_e32 v[118:119], v[82:83], v[92:93]
	v_fma_f64 v[92:93], v[80:81], v[92:93], -v[94:95]
	v_add_f64_e32 v[12:13], v[12:13], v[128:129]
	v_add_f64_e32 v[4:5], v[4:5], v[88:89]
	ds_load_b128 v[80:83], v2 offset:944
	ds_load_b128 v[88:91], v2 offset:960
	v_fmac_f64_e32 v[116:117], v[86:87], v[96:97]
	v_fma_f64 v[84:85], v[84:85], v[96:97], -v[98:99]
	s_wait_loadcnt_dscnt 0x601
	v_mul_f64_e32 v[94:95], v[80:81], v[102:103]
	v_mul_f64_e32 v[102:103], v[82:83], v[102:103]
	s_wait_loadcnt_dscnt 0x500
	v_mul_f64_e32 v[96:97], v[90:91], v[106:107]
	v_add_f64_e32 v[12:13], v[12:13], v[118:119]
	v_add_f64_e32 v[4:5], v[4:5], v[92:93]
	v_mul_f64_e32 v[92:93], v[88:89], v[106:107]
	v_fmac_f64_e32 v[94:95], v[82:83], v[100:101]
	v_fma_f64 v[98:99], v[80:81], v[100:101], -v[102:103]
	v_fma_f64 v[88:89], v[88:89], v[104:105], -v[96:97]
	v_add_f64_e32 v[12:13], v[12:13], v[116:117]
	v_add_f64_e32 v[4:5], v[4:5], v[84:85]
	ds_load_b128 v[80:83], v2 offset:976
	ds_load_b128 v[84:87], v2 offset:992
	v_fmac_f64_e32 v[92:93], v[90:91], v[104:105]
	s_wait_loadcnt_dscnt 0x401
	v_mul_f64_e32 v[100:101], v[80:81], v[110:111]
	v_mul_f64_e32 v[102:103], v[82:83], v[110:111]
	s_wait_loadcnt_dscnt 0x300
	v_mul_f64_e32 v[96:97], v[86:87], v[114:115]
	v_add_f64_e32 v[12:13], v[12:13], v[94:95]
	v_add_f64_e32 v[4:5], v[4:5], v[98:99]
	v_mul_f64_e32 v[94:95], v[84:85], v[114:115]
	v_fmac_f64_e32 v[100:101], v[82:83], v[108:109]
	v_fma_f64 v[98:99], v[80:81], v[108:109], -v[102:103]
	v_fma_f64 v[84:85], v[84:85], v[112:113], -v[96:97]
	v_add_f64_e32 v[12:13], v[12:13], v[92:93]
	v_add_f64_e32 v[4:5], v[4:5], v[88:89]
	ds_load_b128 v[80:83], v2 offset:1008
	ds_load_b128 v[88:91], v2 offset:1024
	v_fmac_f64_e32 v[94:95], v[86:87], v[112:113]
	s_wait_loadcnt_dscnt 0x201
	v_mul_f64_e32 v[92:93], v[80:81], v[122:123]
	v_mul_f64_e32 v[102:103], v[82:83], v[122:123]
	s_wait_loadcnt_dscnt 0x100
	v_mul_f64_e32 v[86:87], v[88:89], v[10:11]
	v_add_f64_e32 v[12:13], v[12:13], v[100:101]
	v_add_f64_e32 v[4:5], v[4:5], v[98:99]
	v_mul_f64_e32 v[96:97], v[90:91], v[10:11]
	v_fmac_f64_e32 v[92:93], v[82:83], v[120:121]
	v_fma_f64 v[80:81], v[80:81], v[120:121], -v[102:103]
	v_fmac_f64_e32 v[86:87], v[90:91], v[8:9]
	v_add_f64_e32 v[82:83], v[12:13], v[94:95]
	v_add_f64_e32 v[4:5], v[4:5], v[84:85]
	ds_load_b128 v[10:13], v2 offset:1040
	v_fma_f64 v[8:9], v[88:89], v[8:9], -v[96:97]
	s_wait_loadcnt_dscnt 0x0
	v_mul_f64_e32 v[84:85], v[10:11], v[134:135]
	v_mul_f64_e32 v[94:95], v[12:13], v[134:135]
	v_add_f64_e32 v[4:5], v[4:5], v[80:81]
	v_add_f64_e32 v[80:81], v[82:83], v[92:93]
	s_delay_alu instid0(VALU_DEP_4) | instskip(NEXT) | instid1(VALU_DEP_4)
	v_fmac_f64_e32 v[84:85], v[12:13], v[132:133]
	v_fma_f64 v[10:11], v[10:11], v[132:133], -v[94:95]
	s_delay_alu instid0(VALU_DEP_4) | instskip(NEXT) | instid1(VALU_DEP_4)
	v_add_f64_e32 v[4:5], v[4:5], v[8:9]
	v_add_f64_e32 v[8:9], v[80:81], v[86:87]
	s_delay_alu instid0(VALU_DEP_2) | instskip(NEXT) | instid1(VALU_DEP_2)
	v_add_f64_e32 v[4:5], v[4:5], v[10:11]
	v_add_f64_e32 v[10:11], v[8:9], v[84:85]
	s_delay_alu instid0(VALU_DEP_2) | instskip(NEXT) | instid1(VALU_DEP_2)
	v_add_f64_e64 v[8:9], v[124:125], -v[4:5]
	v_add_f64_e64 v[10:11], v[126:127], -v[10:11]
	scratch_store_b128 off, v[8:11], off offset:112
	s_wait_xcnt 0x0
	v_cmpx_lt_u32_e32 6, v1
	s_cbranch_execz .LBB96_199
; %bb.198:
	scratch_load_b128 v[8:11], off, s43
	v_dual_mov_b32 v3, v2 :: v_dual_mov_b32 v4, v2
	v_mov_b32_e32 v5, v2
	scratch_store_b128 off, v[2:5], off offset:96
	s_wait_loadcnt 0x0
	ds_store_b128 v6, v[8:11]
.LBB96_199:
	s_wait_xcnt 0x0
	s_or_b32 exec_lo, exec_lo, s2
	s_wait_storecnt_dscnt 0x0
	s_barrier_signal -1
	s_barrier_wait -1
	s_clause 0x9
	scratch_load_b128 v[8:11], off, off offset:112
	scratch_load_b128 v[80:83], off, off offset:128
	;; [unrolled: 1-line block ×10, first 2 shown]
	ds_load_b128 v[116:119], v2 offset:640
	ds_load_b128 v[124:127], v2 offset:656
	s_clause 0x1
	scratch_load_b128 v[120:123], off, off offset:272
	scratch_load_b128 v[128:131], off, off offset:96
	s_mov_b32 s2, exec_lo
	s_wait_loadcnt_dscnt 0xb01
	v_mul_f64_e32 v[4:5], v[118:119], v[10:11]
	v_mul_f64_e32 v[140:141], v[116:117], v[10:11]
	scratch_load_b128 v[10:13], off, off offset:288
	s_wait_loadcnt_dscnt 0xb00
	v_mul_f64_e32 v[142:143], v[124:125], v[82:83]
	v_mul_f64_e32 v[82:83], v[126:127], v[82:83]
	v_fma_f64 v[4:5], v[116:117], v[8:9], -v[4:5]
	v_fmac_f64_e32 v[140:141], v[118:119], v[8:9]
	ds_load_b128 v[116:119], v2 offset:672
	ds_load_b128 v[132:135], v2 offset:688
	scratch_load_b128 v[136:139], off, off offset:304
	v_fmac_f64_e32 v[142:143], v[126:127], v[80:81]
	v_fma_f64 v[124:125], v[124:125], v[80:81], -v[82:83]
	scratch_load_b128 v[80:83], off, off offset:320
	s_wait_loadcnt_dscnt 0xc01
	v_mul_f64_e32 v[8:9], v[116:117], v[86:87]
	v_mul_f64_e32 v[86:87], v[118:119], v[86:87]
	v_add_f64_e32 v[4:5], 0, v[4:5]
	v_add_f64_e32 v[126:127], 0, v[140:141]
	s_wait_loadcnt_dscnt 0xb00
	v_mul_f64_e32 v[140:141], v[132:133], v[90:91]
	v_mul_f64_e32 v[90:91], v[134:135], v[90:91]
	v_fmac_f64_e32 v[8:9], v[118:119], v[84:85]
	v_fma_f64 v[144:145], v[116:117], v[84:85], -v[86:87]
	ds_load_b128 v[84:87], v2 offset:704
	ds_load_b128 v[116:119], v2 offset:720
	v_add_f64_e32 v[4:5], v[4:5], v[124:125]
	v_add_f64_e32 v[142:143], v[126:127], v[142:143]
	scratch_load_b128 v[124:127], off, off offset:336
	v_fmac_f64_e32 v[140:141], v[134:135], v[88:89]
	v_fma_f64 v[132:133], v[132:133], v[88:89], -v[90:91]
	scratch_load_b128 v[88:91], off, off offset:352
	s_wait_loadcnt_dscnt 0xc01
	v_mul_f64_e32 v[146:147], v[84:85], v[94:95]
	v_mul_f64_e32 v[94:95], v[86:87], v[94:95]
	v_add_f64_e32 v[4:5], v[4:5], v[144:145]
	v_add_f64_e32 v[8:9], v[142:143], v[8:9]
	s_wait_loadcnt_dscnt 0xb00
	v_mul_f64_e32 v[142:143], v[116:117], v[98:99]
	v_mul_f64_e32 v[98:99], v[118:119], v[98:99]
	v_fmac_f64_e32 v[146:147], v[86:87], v[92:93]
	v_fma_f64 v[144:145], v[84:85], v[92:93], -v[94:95]
	ds_load_b128 v[84:87], v2 offset:736
	ds_load_b128 v[92:95], v2 offset:752
	v_add_f64_e32 v[4:5], v[4:5], v[132:133]
	v_add_f64_e32 v[8:9], v[8:9], v[140:141]
	scratch_load_b128 v[132:135], off, off offset:368
	s_wait_loadcnt_dscnt 0xb01
	v_mul_f64_e32 v[140:141], v[84:85], v[102:103]
	v_mul_f64_e32 v[102:103], v[86:87], v[102:103]
	v_fmac_f64_e32 v[142:143], v[118:119], v[96:97]
	v_fma_f64 v[116:117], v[116:117], v[96:97], -v[98:99]
	scratch_load_b128 v[96:99], off, off offset:384
	v_add_f64_e32 v[4:5], v[4:5], v[144:145]
	v_add_f64_e32 v[8:9], v[8:9], v[146:147]
	s_wait_loadcnt_dscnt 0xb00
	v_mul_f64_e32 v[144:145], v[92:93], v[106:107]
	v_mul_f64_e32 v[106:107], v[94:95], v[106:107]
	v_fmac_f64_e32 v[140:141], v[86:87], v[100:101]
	v_fma_f64 v[146:147], v[84:85], v[100:101], -v[102:103]
	ds_load_b128 v[84:87], v2 offset:768
	ds_load_b128 v[100:103], v2 offset:784
	v_add_f64_e32 v[4:5], v[4:5], v[116:117]
	v_add_f64_e32 v[8:9], v[8:9], v[142:143]
	scratch_load_b128 v[116:119], off, off offset:400
	s_wait_loadcnt_dscnt 0xb01
	v_mul_f64_e32 v[142:143], v[84:85], v[110:111]
	v_mul_f64_e32 v[110:111], v[86:87], v[110:111]
	v_fmac_f64_e32 v[144:145], v[94:95], v[104:105]
	v_fma_f64 v[104:105], v[92:93], v[104:105], -v[106:107]
	scratch_load_b128 v[92:95], off, off offset:416
	v_add_f64_e32 v[4:5], v[4:5], v[146:147]
	v_add_f64_e32 v[8:9], v[8:9], v[140:141]
	s_wait_loadcnt_dscnt 0xb00
	v_mul_f64_e32 v[140:141], v[100:101], v[114:115]
	v_mul_f64_e32 v[114:115], v[102:103], v[114:115]
	v_fmac_f64_e32 v[142:143], v[86:87], v[108:109]
	v_fma_f64 v[146:147], v[84:85], v[108:109], -v[110:111]
	v_add_f64_e32 v[4:5], v[4:5], v[104:105]
	v_add_f64_e32 v[8:9], v[8:9], v[144:145]
	ds_load_b128 v[84:87], v2 offset:800
	ds_load_b128 v[104:107], v2 offset:816
	scratch_load_b128 v[108:111], off, off offset:432
	v_fmac_f64_e32 v[140:141], v[102:103], v[112:113]
	v_fma_f64 v[112:113], v[100:101], v[112:113], -v[114:115]
	scratch_load_b128 v[100:103], off, off offset:448
	s_wait_loadcnt_dscnt 0xc01
	v_mul_f64_e32 v[144:145], v[84:85], v[122:123]
	v_mul_f64_e32 v[122:123], v[86:87], v[122:123]
	v_add_f64_e32 v[4:5], v[4:5], v[146:147]
	v_add_f64_e32 v[8:9], v[8:9], v[142:143]
	s_wait_loadcnt_dscnt 0xa00
	v_mul_f64_e32 v[142:143], v[104:105], v[12:13]
	v_mul_f64_e32 v[12:13], v[106:107], v[12:13]
	v_fmac_f64_e32 v[144:145], v[86:87], v[120:121]
	v_fma_f64 v[146:147], v[84:85], v[120:121], -v[122:123]
	v_add_f64_e32 v[4:5], v[4:5], v[112:113]
	v_add_f64_e32 v[8:9], v[8:9], v[140:141]
	ds_load_b128 v[84:87], v2 offset:832
	ds_load_b128 v[112:115], v2 offset:848
	scratch_load_b128 v[120:123], off, off offset:464
	v_fmac_f64_e32 v[142:143], v[106:107], v[10:11]
	v_fma_f64 v[12:13], v[104:105], v[10:11], -v[12:13]
	s_wait_loadcnt_dscnt 0xa01
	v_mul_f64_e32 v[140:141], v[84:85], v[138:139]
	v_mul_f64_e32 v[138:139], v[86:87], v[138:139]
	v_add_f64_e32 v[4:5], v[4:5], v[146:147]
	v_add_f64_e32 v[104:105], v[8:9], v[144:145]
	scratch_load_b128 v[8:11], off, off offset:480
	s_wait_loadcnt_dscnt 0xa00
	v_mul_f64_e32 v[144:145], v[112:113], v[82:83]
	v_mul_f64_e32 v[146:147], v[114:115], v[82:83]
	v_fmac_f64_e32 v[140:141], v[86:87], v[136:137]
	v_fma_f64 v[86:87], v[84:85], v[136:137], -v[138:139]
	v_add_f64_e32 v[4:5], v[4:5], v[12:13]
	v_add_f64_e32 v[12:13], v[104:105], v[142:143]
	ds_load_b128 v[82:85], v2 offset:864
	ds_load_b128 v[104:107], v2 offset:880
	scratch_load_b128 v[136:139], off, off offset:496
	v_fmac_f64_e32 v[144:145], v[114:115], v[80:81]
	v_fma_f64 v[80:81], v[112:113], v[80:81], -v[146:147]
	scratch_load_b128 v[112:115], off, off offset:512
	s_wait_loadcnt_dscnt 0xb01
	v_mul_f64_e32 v[142:143], v[82:83], v[126:127]
	v_mul_f64_e32 v[126:127], v[84:85], v[126:127]
	v_add_f64_e32 v[4:5], v[4:5], v[86:87]
	v_add_f64_e32 v[12:13], v[12:13], v[140:141]
	s_wait_loadcnt_dscnt 0xa00
	v_mul_f64_e32 v[140:141], v[104:105], v[90:91]
	v_mul_f64_e32 v[90:91], v[106:107], v[90:91]
	v_fmac_f64_e32 v[142:143], v[84:85], v[124:125]
	v_fma_f64 v[124:125], v[82:83], v[124:125], -v[126:127]
	v_add_f64_e32 v[4:5], v[4:5], v[80:81]
	v_add_f64_e32 v[12:13], v[12:13], v[144:145]
	ds_load_b128 v[80:83], v2 offset:896
	ds_load_b128 v[84:87], v2 offset:912
	v_fmac_f64_e32 v[140:141], v[106:107], v[88:89]
	v_fma_f64 v[88:89], v[104:105], v[88:89], -v[90:91]
	s_wait_loadcnt_dscnt 0x901
	v_mul_f64_e32 v[126:127], v[80:81], v[134:135]
	v_mul_f64_e32 v[134:135], v[82:83], v[134:135]
	s_wait_loadcnt_dscnt 0x800
	v_mul_f64_e32 v[104:105], v[84:85], v[98:99]
	v_mul_f64_e32 v[98:99], v[86:87], v[98:99]
	v_add_f64_e32 v[4:5], v[4:5], v[124:125]
	v_add_f64_e32 v[12:13], v[12:13], v[142:143]
	v_fmac_f64_e32 v[126:127], v[82:83], v[132:133]
	v_fma_f64 v[106:107], v[80:81], v[132:133], -v[134:135]
	v_fmac_f64_e32 v[104:105], v[86:87], v[96:97]
	v_fma_f64 v[84:85], v[84:85], v[96:97], -v[98:99]
	v_add_f64_e32 v[4:5], v[4:5], v[88:89]
	v_add_f64_e32 v[12:13], v[12:13], v[140:141]
	ds_load_b128 v[80:83], v2 offset:928
	ds_load_b128 v[88:91], v2 offset:944
	s_wait_loadcnt_dscnt 0x701
	v_mul_f64_e32 v[124:125], v[80:81], v[118:119]
	v_mul_f64_e32 v[118:119], v[82:83], v[118:119]
	s_wait_loadcnt_dscnt 0x600
	v_mul_f64_e32 v[96:97], v[88:89], v[94:95]
	v_mul_f64_e32 v[94:95], v[90:91], v[94:95]
	v_add_f64_e32 v[4:5], v[4:5], v[106:107]
	v_add_f64_e32 v[12:13], v[12:13], v[126:127]
	v_fmac_f64_e32 v[124:125], v[82:83], v[116:117]
	v_fma_f64 v[98:99], v[80:81], v[116:117], -v[118:119]
	v_fmac_f64_e32 v[96:97], v[90:91], v[92:93]
	v_fma_f64 v[88:89], v[88:89], v[92:93], -v[94:95]
	v_add_f64_e32 v[4:5], v[4:5], v[84:85]
	v_add_f64_e32 v[12:13], v[12:13], v[104:105]
	ds_load_b128 v[80:83], v2 offset:960
	ds_load_b128 v[84:87], v2 offset:976
	;; [unrolled: 16-line block ×3, first 2 shown]
	s_wait_loadcnt_dscnt 0x301
	v_mul_f64_e32 v[96:97], v[80:81], v[122:123]
	v_mul_f64_e32 v[102:103], v[82:83], v[122:123]
	v_add_f64_e32 v[4:5], v[4:5], v[98:99]
	v_add_f64_e32 v[12:13], v[12:13], v[104:105]
	s_wait_loadcnt_dscnt 0x200
	v_mul_f64_e32 v[86:87], v[88:89], v[10:11]
	v_mul_f64_e32 v[94:95], v[90:91], v[10:11]
	v_fmac_f64_e32 v[96:97], v[82:83], v[120:121]
	v_fma_f64 v[80:81], v[80:81], v[120:121], -v[102:103]
	v_add_f64_e32 v[82:83], v[4:5], v[84:85]
	v_add_f64_e32 v[84:85], v[12:13], v[92:93]
	ds_load_b128 v[10:13], v2 offset:1024
	ds_load_b128 v[2:5], v2 offset:1040
	v_fmac_f64_e32 v[86:87], v[90:91], v[8:9]
	v_fma_f64 v[8:9], v[88:89], v[8:9], -v[94:95]
	s_wait_loadcnt_dscnt 0x101
	v_mul_f64_e32 v[92:93], v[10:11], v[138:139]
	v_mul_f64_e32 v[98:99], v[12:13], v[138:139]
	s_wait_loadcnt_dscnt 0x0
	v_mul_f64_e32 v[88:89], v[4:5], v[114:115]
	v_add_f64_e32 v[80:81], v[82:83], v[80:81]
	v_add_f64_e32 v[82:83], v[84:85], v[96:97]
	v_mul_f64_e32 v[84:85], v[2:3], v[114:115]
	v_fmac_f64_e32 v[92:93], v[12:13], v[136:137]
	v_fma_f64 v[10:11], v[10:11], v[136:137], -v[98:99]
	v_fma_f64 v[2:3], v[2:3], v[112:113], -v[88:89]
	v_add_f64_e32 v[8:9], v[80:81], v[8:9]
	v_add_f64_e32 v[12:13], v[82:83], v[86:87]
	v_fmac_f64_e32 v[84:85], v[4:5], v[112:113]
	s_delay_alu instid0(VALU_DEP_3) | instskip(NEXT) | instid1(VALU_DEP_3)
	v_add_f64_e32 v[4:5], v[8:9], v[10:11]
	v_add_f64_e32 v[8:9], v[12:13], v[92:93]
	s_delay_alu instid0(VALU_DEP_2) | instskip(NEXT) | instid1(VALU_DEP_2)
	v_add_f64_e32 v[2:3], v[4:5], v[2:3]
	v_add_f64_e32 v[4:5], v[8:9], v[84:85]
	s_delay_alu instid0(VALU_DEP_2) | instskip(NEXT) | instid1(VALU_DEP_2)
	v_add_f64_e64 v[2:3], v[128:129], -v[2:3]
	v_add_f64_e64 v[4:5], v[130:131], -v[4:5]
	scratch_store_b128 off, v[2:5], off offset:96
	s_wait_xcnt 0x0
	v_cmpx_lt_u32_e32 5, v1
	s_cbranch_execz .LBB96_201
; %bb.200:
	scratch_load_b128 v[2:5], off, s44
	v_mov_b32_e32 v8, 0
	s_delay_alu instid0(VALU_DEP_1)
	v_dual_mov_b32 v9, v8 :: v_dual_mov_b32 v10, v8
	v_mov_b32_e32 v11, v8
	scratch_store_b128 off, v[8:11], off offset:80
	s_wait_loadcnt 0x0
	ds_store_b128 v6, v[2:5]
.LBB96_201:
	s_wait_xcnt 0x0
	s_or_b32 exec_lo, exec_lo, s2
	s_wait_storecnt_dscnt 0x0
	s_barrier_signal -1
	s_barrier_wait -1
	s_clause 0x9
	scratch_load_b128 v[8:11], off, off offset:96
	scratch_load_b128 v[80:83], off, off offset:112
	;; [unrolled: 1-line block ×10, first 2 shown]
	v_mov_b32_e32 v2, 0
	s_mov_b32 s2, exec_lo
	ds_load_b128 v[116:119], v2 offset:624
	s_clause 0x2
	scratch_load_b128 v[120:123], off, off offset:256
	scratch_load_b128 v[124:127], off, off offset:80
	;; [unrolled: 1-line block ×3, first 2 shown]
	s_wait_loadcnt_dscnt 0xc00
	v_mul_f64_e32 v[4:5], v[118:119], v[10:11]
	v_mul_f64_e32 v[140:141], v[116:117], v[10:11]
	ds_load_b128 v[128:131], v2 offset:640
	scratch_load_b128 v[10:13], off, off offset:272
	ds_load_b128 v[136:139], v2 offset:672
	v_fma_f64 v[4:5], v[116:117], v[8:9], -v[4:5]
	v_fmac_f64_e32 v[140:141], v[118:119], v[8:9]
	ds_load_b128 v[116:119], v2 offset:656
	s_wait_loadcnt_dscnt 0xc02
	v_mul_f64_e32 v[142:143], v[128:129], v[82:83]
	v_mul_f64_e32 v[82:83], v[130:131], v[82:83]
	s_wait_loadcnt_dscnt 0xb00
	v_mul_f64_e32 v[8:9], v[116:117], v[86:87]
	v_mul_f64_e32 v[86:87], v[118:119], v[86:87]
	v_add_f64_e32 v[4:5], 0, v[4:5]
	v_fmac_f64_e32 v[142:143], v[130:131], v[80:81]
	v_fma_f64 v[128:129], v[128:129], v[80:81], -v[82:83]
	v_add_f64_e32 v[130:131], 0, v[140:141]
	scratch_load_b128 v[80:83], off, off offset:304
	v_fmac_f64_e32 v[8:9], v[118:119], v[84:85]
	v_fma_f64 v[144:145], v[116:117], v[84:85], -v[86:87]
	ds_load_b128 v[84:87], v2 offset:688
	s_wait_loadcnt 0xb
	v_mul_f64_e32 v[140:141], v[136:137], v[90:91]
	v_mul_f64_e32 v[90:91], v[138:139], v[90:91]
	scratch_load_b128 v[116:119], off, off offset:320
	v_add_f64_e32 v[4:5], v[4:5], v[128:129]
	v_add_f64_e32 v[142:143], v[130:131], v[142:143]
	ds_load_b128 v[128:131], v2 offset:704
	s_wait_loadcnt_dscnt 0xb01
	v_mul_f64_e32 v[146:147], v[84:85], v[94:95]
	v_mul_f64_e32 v[94:95], v[86:87], v[94:95]
	v_fmac_f64_e32 v[140:141], v[138:139], v[88:89]
	v_fma_f64 v[136:137], v[136:137], v[88:89], -v[90:91]
	scratch_load_b128 v[88:91], off, off offset:336
	v_add_f64_e32 v[4:5], v[4:5], v[144:145]
	v_add_f64_e32 v[8:9], v[142:143], v[8:9]
	v_fmac_f64_e32 v[146:147], v[86:87], v[92:93]
	v_fma_f64 v[144:145], v[84:85], v[92:93], -v[94:95]
	ds_load_b128 v[84:87], v2 offset:720
	s_wait_loadcnt_dscnt 0xb01
	v_mul_f64_e32 v[142:143], v[128:129], v[98:99]
	v_mul_f64_e32 v[98:99], v[130:131], v[98:99]
	scratch_load_b128 v[92:95], off, off offset:352
	v_add_f64_e32 v[4:5], v[4:5], v[136:137]
	v_add_f64_e32 v[8:9], v[8:9], v[140:141]
	s_wait_loadcnt_dscnt 0xb00
	v_mul_f64_e32 v[140:141], v[84:85], v[102:103]
	v_mul_f64_e32 v[102:103], v[86:87], v[102:103]
	ds_load_b128 v[136:139], v2 offset:736
	v_fmac_f64_e32 v[142:143], v[130:131], v[96:97]
	v_fma_f64 v[128:129], v[128:129], v[96:97], -v[98:99]
	scratch_load_b128 v[96:99], off, off offset:368
	v_add_f64_e32 v[4:5], v[4:5], v[144:145]
	v_add_f64_e32 v[8:9], v[8:9], v[146:147]
	v_fmac_f64_e32 v[140:141], v[86:87], v[100:101]
	v_fma_f64 v[146:147], v[84:85], v[100:101], -v[102:103]
	ds_load_b128 v[84:87], v2 offset:752
	s_wait_loadcnt_dscnt 0xb01
	v_mul_f64_e32 v[144:145], v[136:137], v[106:107]
	v_mul_f64_e32 v[106:107], v[138:139], v[106:107]
	scratch_load_b128 v[100:103], off, off offset:384
	v_add_f64_e32 v[4:5], v[4:5], v[128:129]
	v_add_f64_e32 v[8:9], v[8:9], v[142:143]
	s_wait_loadcnt_dscnt 0xb00
	v_mul_f64_e32 v[142:143], v[84:85], v[110:111]
	v_mul_f64_e32 v[110:111], v[86:87], v[110:111]
	ds_load_b128 v[128:131], v2 offset:768
	;; [unrolled: 18-line block ×3, first 2 shown]
	v_fmac_f64_e32 v[140:141], v[130:131], v[112:113]
	v_fma_f64 v[128:129], v[128:129], v[112:113], -v[114:115]
	scratch_load_b128 v[112:115], off, off offset:432
	v_add_f64_e32 v[4:5], v[4:5], v[146:147]
	v_add_f64_e32 v[8:9], v[8:9], v[142:143]
	v_fmac_f64_e32 v[144:145], v[86:87], v[120:121]
	v_fma_f64 v[146:147], v[84:85], v[120:121], -v[122:123]
	ds_load_b128 v[84:87], v2 offset:816
	s_wait_loadcnt_dscnt 0x901
	v_mul_f64_e32 v[142:143], v[136:137], v[12:13]
	v_mul_f64_e32 v[12:13], v[138:139], v[12:13]
	scratch_load_b128 v[120:123], off, off offset:448
	v_add_f64_e32 v[4:5], v[4:5], v[128:129]
	v_add_f64_e32 v[8:9], v[8:9], v[140:141]
	s_wait_dscnt 0x0
	v_mul_f64_e32 v[140:141], v[84:85], v[134:135]
	v_mul_f64_e32 v[134:135], v[86:87], v[134:135]
	ds_load_b128 v[128:131], v2 offset:832
	v_fmac_f64_e32 v[142:143], v[138:139], v[10:11]
	v_fma_f64 v[12:13], v[136:137], v[10:11], -v[12:13]
	v_add_f64_e32 v[4:5], v[4:5], v[146:147]
	v_add_f64_e32 v[136:137], v[8:9], v[144:145]
	scratch_load_b128 v[8:11], off, off offset:464
	v_fmac_f64_e32 v[140:141], v[86:87], v[132:133]
	v_fma_f64 v[86:87], v[84:85], v[132:133], -v[134:135]
	scratch_load_b128 v[132:135], off, off offset:480
	v_add_f64_e32 v[4:5], v[4:5], v[12:13]
	v_add_f64_e32 v[12:13], v[136:137], v[142:143]
	ds_load_b128 v[136:139], v2 offset:864
	s_wait_loadcnt_dscnt 0xb01
	v_mul_f64_e32 v[144:145], v[128:129], v[82:83]
	v_mul_f64_e32 v[146:147], v[130:131], v[82:83]
	ds_load_b128 v[82:85], v2 offset:848
	s_wait_loadcnt_dscnt 0xa00
	v_mul_f64_e32 v[142:143], v[82:83], v[118:119]
	v_mul_f64_e32 v[118:119], v[84:85], v[118:119]
	v_add_f64_e32 v[4:5], v[4:5], v[86:87]
	v_add_f64_e32 v[12:13], v[12:13], v[140:141]
	s_wait_loadcnt 0x9
	v_mul_f64_e32 v[140:141], v[136:137], v[90:91]
	v_fmac_f64_e32 v[144:145], v[130:131], v[80:81]
	v_fma_f64 v[80:81], v[128:129], v[80:81], -v[146:147]
	scratch_load_b128 v[128:131], off, off offset:496
	v_mul_f64_e32 v[90:91], v[138:139], v[90:91]
	v_fmac_f64_e32 v[142:143], v[84:85], v[116:117]
	v_fma_f64 v[146:147], v[82:83], v[116:117], -v[118:119]
	scratch_load_b128 v[84:87], off, off offset:512
	ds_load_b128 v[116:119], v2 offset:896
	v_fmac_f64_e32 v[140:141], v[138:139], v[88:89]
	v_add_f64_e32 v[12:13], v[12:13], v[144:145]
	v_add_f64_e32 v[4:5], v[4:5], v[80:81]
	ds_load_b128 v[80:83], v2 offset:880
	v_fma_f64 v[88:89], v[136:137], v[88:89], -v[90:91]
	s_wait_loadcnt_dscnt 0x901
	v_mul_f64_e32 v[136:137], v[116:117], v[98:99]
	v_mul_f64_e32 v[98:99], v[118:119], v[98:99]
	s_wait_dscnt 0x0
	v_mul_f64_e32 v[144:145], v[80:81], v[94:95]
	v_mul_f64_e32 v[94:95], v[82:83], v[94:95]
	v_add_f64_e32 v[12:13], v[12:13], v[142:143]
	v_add_f64_e32 v[4:5], v[4:5], v[146:147]
	v_fmac_f64_e32 v[136:137], v[118:119], v[96:97]
	v_fma_f64 v[96:97], v[116:117], v[96:97], -v[98:99]
	v_fmac_f64_e32 v[144:145], v[82:83], v[92:93]
	v_fma_f64 v[92:93], v[80:81], v[92:93], -v[94:95]
	v_add_f64_e32 v[12:13], v[12:13], v[140:141]
	v_add_f64_e32 v[4:5], v[4:5], v[88:89]
	ds_load_b128 v[80:83], v2 offset:912
	ds_load_b128 v[88:91], v2 offset:928
	s_wait_loadcnt_dscnt 0x801
	v_mul_f64_e32 v[138:139], v[80:81], v[102:103]
	v_mul_f64_e32 v[94:95], v[82:83], v[102:103]
	s_wait_loadcnt_dscnt 0x700
	v_mul_f64_e32 v[98:99], v[88:89], v[106:107]
	v_mul_f64_e32 v[102:103], v[90:91], v[106:107]
	v_add_f64_e32 v[12:13], v[12:13], v[144:145]
	v_add_f64_e32 v[4:5], v[4:5], v[92:93]
	v_fmac_f64_e32 v[138:139], v[82:83], v[100:101]
	v_fma_f64 v[100:101], v[80:81], v[100:101], -v[94:95]
	ds_load_b128 v[80:83], v2 offset:944
	ds_load_b128 v[92:95], v2 offset:960
	v_fmac_f64_e32 v[98:99], v[90:91], v[104:105]
	v_fma_f64 v[88:89], v[88:89], v[104:105], -v[102:103]
	v_add_f64_e32 v[12:13], v[12:13], v[136:137]
	v_add_f64_e32 v[4:5], v[4:5], v[96:97]
	s_wait_loadcnt_dscnt 0x601
	v_mul_f64_e32 v[96:97], v[80:81], v[110:111]
	v_mul_f64_e32 v[106:107], v[82:83], v[110:111]
	s_wait_loadcnt_dscnt 0x500
	v_mul_f64_e32 v[102:103], v[94:95], v[114:115]
	v_add_f64_e32 v[12:13], v[12:13], v[138:139]
	v_add_f64_e32 v[4:5], v[4:5], v[100:101]
	v_mul_f64_e32 v[100:101], v[92:93], v[114:115]
	v_fmac_f64_e32 v[96:97], v[82:83], v[108:109]
	v_fma_f64 v[104:105], v[80:81], v[108:109], -v[106:107]
	v_fma_f64 v[92:93], v[92:93], v[112:113], -v[102:103]
	v_add_f64_e32 v[12:13], v[12:13], v[98:99]
	v_add_f64_e32 v[4:5], v[4:5], v[88:89]
	ds_load_b128 v[80:83], v2 offset:976
	ds_load_b128 v[88:91], v2 offset:992
	v_fmac_f64_e32 v[100:101], v[94:95], v[112:113]
	s_wait_loadcnt_dscnt 0x401
	v_mul_f64_e32 v[98:99], v[80:81], v[122:123]
	v_mul_f64_e32 v[106:107], v[82:83], v[122:123]
	s_wait_loadcnt_dscnt 0x300
	v_mul_f64_e32 v[94:95], v[88:89], v[10:11]
	v_add_f64_e32 v[12:13], v[12:13], v[96:97]
	v_add_f64_e32 v[4:5], v[4:5], v[104:105]
	v_mul_f64_e32 v[96:97], v[90:91], v[10:11]
	v_fmac_f64_e32 v[98:99], v[82:83], v[120:121]
	v_fma_f64 v[102:103], v[80:81], v[120:121], -v[106:107]
	v_fmac_f64_e32 v[94:95], v[90:91], v[8:9]
	v_add_f64_e32 v[4:5], v[4:5], v[92:93]
	v_add_f64_e32 v[92:93], v[12:13], v[100:101]
	ds_load_b128 v[10:13], v2 offset:1008
	ds_load_b128 v[80:83], v2 offset:1024
	v_fma_f64 v[8:9], v[88:89], v[8:9], -v[96:97]
	s_wait_loadcnt_dscnt 0x201
	v_mul_f64_e32 v[100:101], v[10:11], v[134:135]
	v_mul_f64_e32 v[104:105], v[12:13], v[134:135]
	v_add_f64_e32 v[4:5], v[4:5], v[102:103]
	v_add_f64_e32 v[88:89], v[92:93], v[98:99]
	s_wait_loadcnt_dscnt 0x100
	v_mul_f64_e32 v[90:91], v[80:81], v[130:131]
	v_mul_f64_e32 v[92:93], v[82:83], v[130:131]
	v_fmac_f64_e32 v[100:101], v[12:13], v[132:133]
	v_fma_f64 v[12:13], v[10:11], v[132:133], -v[104:105]
	v_add_f64_e32 v[4:5], v[4:5], v[8:9]
	v_add_f64_e32 v[88:89], v[88:89], v[94:95]
	ds_load_b128 v[8:11], v2 offset:1040
	v_fmac_f64_e32 v[90:91], v[82:83], v[128:129]
	v_fma_f64 v[80:81], v[80:81], v[128:129], -v[92:93]
	s_wait_loadcnt_dscnt 0x0
	v_mul_f64_e32 v[94:95], v[8:9], v[86:87]
	v_mul_f64_e32 v[86:87], v[10:11], v[86:87]
	v_add_f64_e32 v[4:5], v[4:5], v[12:13]
	v_add_f64_e32 v[12:13], v[88:89], v[100:101]
	s_delay_alu instid0(VALU_DEP_4) | instskip(NEXT) | instid1(VALU_DEP_4)
	v_fmac_f64_e32 v[94:95], v[10:11], v[84:85]
	v_fma_f64 v[8:9], v[8:9], v[84:85], -v[86:87]
	s_delay_alu instid0(VALU_DEP_4) | instskip(NEXT) | instid1(VALU_DEP_4)
	v_add_f64_e32 v[4:5], v[4:5], v[80:81]
	v_add_f64_e32 v[10:11], v[12:13], v[90:91]
	s_delay_alu instid0(VALU_DEP_2) | instskip(NEXT) | instid1(VALU_DEP_2)
	v_add_f64_e32 v[4:5], v[4:5], v[8:9]
	v_add_f64_e32 v[10:11], v[10:11], v[94:95]
	s_delay_alu instid0(VALU_DEP_2) | instskip(NEXT) | instid1(VALU_DEP_2)
	v_add_f64_e64 v[8:9], v[124:125], -v[4:5]
	v_add_f64_e64 v[10:11], v[126:127], -v[10:11]
	scratch_store_b128 off, v[8:11], off offset:80
	s_wait_xcnt 0x0
	v_cmpx_lt_u32_e32 4, v1
	s_cbranch_execz .LBB96_203
; %bb.202:
	scratch_load_b128 v[8:11], off, s12
	v_dual_mov_b32 v3, v2 :: v_dual_mov_b32 v4, v2
	v_mov_b32_e32 v5, v2
	scratch_store_b128 off, v[2:5], off offset:64
	s_wait_loadcnt 0x0
	ds_store_b128 v6, v[8:11]
.LBB96_203:
	s_wait_xcnt 0x0
	s_or_b32 exec_lo, exec_lo, s2
	s_wait_storecnt_dscnt 0x0
	s_barrier_signal -1
	s_barrier_wait -1
	s_clause 0x9
	scratch_load_b128 v[8:11], off, off offset:80
	scratch_load_b128 v[80:83], off, off offset:96
	;; [unrolled: 1-line block ×10, first 2 shown]
	ds_load_b128 v[116:119], v2 offset:608
	ds_load_b128 v[124:127], v2 offset:624
	s_clause 0x1
	scratch_load_b128 v[120:123], off, off offset:240
	scratch_load_b128 v[128:131], off, off offset:64
	s_mov_b32 s2, exec_lo
	s_wait_loadcnt_dscnt 0xb01
	v_mul_f64_e32 v[4:5], v[118:119], v[10:11]
	v_mul_f64_e32 v[140:141], v[116:117], v[10:11]
	scratch_load_b128 v[10:13], off, off offset:256
	s_wait_loadcnt_dscnt 0xb00
	v_mul_f64_e32 v[142:143], v[124:125], v[82:83]
	v_mul_f64_e32 v[82:83], v[126:127], v[82:83]
	v_fma_f64 v[4:5], v[116:117], v[8:9], -v[4:5]
	v_fmac_f64_e32 v[140:141], v[118:119], v[8:9]
	ds_load_b128 v[116:119], v2 offset:640
	ds_load_b128 v[132:135], v2 offset:656
	scratch_load_b128 v[136:139], off, off offset:272
	v_fmac_f64_e32 v[142:143], v[126:127], v[80:81]
	v_fma_f64 v[124:125], v[124:125], v[80:81], -v[82:83]
	scratch_load_b128 v[80:83], off, off offset:288
	s_wait_loadcnt_dscnt 0xc01
	v_mul_f64_e32 v[8:9], v[116:117], v[86:87]
	v_mul_f64_e32 v[86:87], v[118:119], v[86:87]
	v_add_f64_e32 v[4:5], 0, v[4:5]
	v_add_f64_e32 v[126:127], 0, v[140:141]
	s_wait_loadcnt_dscnt 0xb00
	v_mul_f64_e32 v[140:141], v[132:133], v[90:91]
	v_mul_f64_e32 v[90:91], v[134:135], v[90:91]
	v_fmac_f64_e32 v[8:9], v[118:119], v[84:85]
	v_fma_f64 v[144:145], v[116:117], v[84:85], -v[86:87]
	ds_load_b128 v[84:87], v2 offset:672
	ds_load_b128 v[116:119], v2 offset:688
	v_add_f64_e32 v[4:5], v[4:5], v[124:125]
	v_add_f64_e32 v[142:143], v[126:127], v[142:143]
	scratch_load_b128 v[124:127], off, off offset:304
	v_fmac_f64_e32 v[140:141], v[134:135], v[88:89]
	v_fma_f64 v[132:133], v[132:133], v[88:89], -v[90:91]
	scratch_load_b128 v[88:91], off, off offset:320
	s_wait_loadcnt_dscnt 0xc01
	v_mul_f64_e32 v[146:147], v[84:85], v[94:95]
	v_mul_f64_e32 v[94:95], v[86:87], v[94:95]
	v_add_f64_e32 v[4:5], v[4:5], v[144:145]
	v_add_f64_e32 v[8:9], v[142:143], v[8:9]
	s_wait_loadcnt_dscnt 0xb00
	v_mul_f64_e32 v[142:143], v[116:117], v[98:99]
	v_mul_f64_e32 v[98:99], v[118:119], v[98:99]
	v_fmac_f64_e32 v[146:147], v[86:87], v[92:93]
	v_fma_f64 v[144:145], v[84:85], v[92:93], -v[94:95]
	ds_load_b128 v[84:87], v2 offset:704
	ds_load_b128 v[92:95], v2 offset:720
	v_add_f64_e32 v[4:5], v[4:5], v[132:133]
	v_add_f64_e32 v[8:9], v[8:9], v[140:141]
	scratch_load_b128 v[132:135], off, off offset:336
	s_wait_loadcnt_dscnt 0xb01
	v_mul_f64_e32 v[140:141], v[84:85], v[102:103]
	v_mul_f64_e32 v[102:103], v[86:87], v[102:103]
	v_fmac_f64_e32 v[142:143], v[118:119], v[96:97]
	v_fma_f64 v[116:117], v[116:117], v[96:97], -v[98:99]
	scratch_load_b128 v[96:99], off, off offset:352
	v_add_f64_e32 v[4:5], v[4:5], v[144:145]
	v_add_f64_e32 v[8:9], v[8:9], v[146:147]
	s_wait_loadcnt_dscnt 0xb00
	v_mul_f64_e32 v[144:145], v[92:93], v[106:107]
	v_mul_f64_e32 v[106:107], v[94:95], v[106:107]
	v_fmac_f64_e32 v[140:141], v[86:87], v[100:101]
	v_fma_f64 v[146:147], v[84:85], v[100:101], -v[102:103]
	ds_load_b128 v[84:87], v2 offset:736
	ds_load_b128 v[100:103], v2 offset:752
	v_add_f64_e32 v[4:5], v[4:5], v[116:117]
	v_add_f64_e32 v[8:9], v[8:9], v[142:143]
	scratch_load_b128 v[116:119], off, off offset:368
	s_wait_loadcnt_dscnt 0xb01
	v_mul_f64_e32 v[142:143], v[84:85], v[110:111]
	v_mul_f64_e32 v[110:111], v[86:87], v[110:111]
	v_fmac_f64_e32 v[144:145], v[94:95], v[104:105]
	v_fma_f64 v[104:105], v[92:93], v[104:105], -v[106:107]
	scratch_load_b128 v[92:95], off, off offset:384
	v_add_f64_e32 v[4:5], v[4:5], v[146:147]
	v_add_f64_e32 v[8:9], v[8:9], v[140:141]
	s_wait_loadcnt_dscnt 0xb00
	v_mul_f64_e32 v[140:141], v[100:101], v[114:115]
	v_mul_f64_e32 v[114:115], v[102:103], v[114:115]
	v_fmac_f64_e32 v[142:143], v[86:87], v[108:109]
	v_fma_f64 v[146:147], v[84:85], v[108:109], -v[110:111]
	v_add_f64_e32 v[4:5], v[4:5], v[104:105]
	v_add_f64_e32 v[8:9], v[8:9], v[144:145]
	ds_load_b128 v[84:87], v2 offset:768
	ds_load_b128 v[104:107], v2 offset:784
	scratch_load_b128 v[108:111], off, off offset:400
	v_fmac_f64_e32 v[140:141], v[102:103], v[112:113]
	v_fma_f64 v[112:113], v[100:101], v[112:113], -v[114:115]
	scratch_load_b128 v[100:103], off, off offset:416
	s_wait_loadcnt_dscnt 0xc01
	v_mul_f64_e32 v[144:145], v[84:85], v[122:123]
	v_mul_f64_e32 v[122:123], v[86:87], v[122:123]
	v_add_f64_e32 v[4:5], v[4:5], v[146:147]
	v_add_f64_e32 v[8:9], v[8:9], v[142:143]
	s_wait_loadcnt_dscnt 0xa00
	v_mul_f64_e32 v[142:143], v[104:105], v[12:13]
	v_mul_f64_e32 v[12:13], v[106:107], v[12:13]
	v_fmac_f64_e32 v[144:145], v[86:87], v[120:121]
	v_fma_f64 v[146:147], v[84:85], v[120:121], -v[122:123]
	v_add_f64_e32 v[4:5], v[4:5], v[112:113]
	v_add_f64_e32 v[8:9], v[8:9], v[140:141]
	ds_load_b128 v[84:87], v2 offset:800
	ds_load_b128 v[112:115], v2 offset:816
	scratch_load_b128 v[120:123], off, off offset:432
	v_fmac_f64_e32 v[142:143], v[106:107], v[10:11]
	v_fma_f64 v[12:13], v[104:105], v[10:11], -v[12:13]
	s_wait_loadcnt_dscnt 0xa01
	v_mul_f64_e32 v[140:141], v[84:85], v[138:139]
	v_mul_f64_e32 v[138:139], v[86:87], v[138:139]
	v_add_f64_e32 v[4:5], v[4:5], v[146:147]
	v_add_f64_e32 v[104:105], v[8:9], v[144:145]
	scratch_load_b128 v[8:11], off, off offset:448
	s_wait_loadcnt_dscnt 0xa00
	v_mul_f64_e32 v[144:145], v[112:113], v[82:83]
	v_mul_f64_e32 v[146:147], v[114:115], v[82:83]
	v_fmac_f64_e32 v[140:141], v[86:87], v[136:137]
	v_fma_f64 v[86:87], v[84:85], v[136:137], -v[138:139]
	v_add_f64_e32 v[4:5], v[4:5], v[12:13]
	v_add_f64_e32 v[12:13], v[104:105], v[142:143]
	ds_load_b128 v[82:85], v2 offset:832
	ds_load_b128 v[104:107], v2 offset:848
	scratch_load_b128 v[136:139], off, off offset:464
	v_fmac_f64_e32 v[144:145], v[114:115], v[80:81]
	v_fma_f64 v[80:81], v[112:113], v[80:81], -v[146:147]
	scratch_load_b128 v[112:115], off, off offset:480
	s_wait_loadcnt_dscnt 0xb01
	v_mul_f64_e32 v[142:143], v[82:83], v[126:127]
	v_mul_f64_e32 v[126:127], v[84:85], v[126:127]
	v_add_f64_e32 v[4:5], v[4:5], v[86:87]
	v_add_f64_e32 v[12:13], v[12:13], v[140:141]
	s_wait_loadcnt_dscnt 0xa00
	v_mul_f64_e32 v[140:141], v[104:105], v[90:91]
	v_mul_f64_e32 v[90:91], v[106:107], v[90:91]
	v_fmac_f64_e32 v[142:143], v[84:85], v[124:125]
	v_fma_f64 v[146:147], v[82:83], v[124:125], -v[126:127]
	v_add_f64_e32 v[4:5], v[4:5], v[80:81]
	v_add_f64_e32 v[12:13], v[12:13], v[144:145]
	ds_load_b128 v[80:83], v2 offset:864
	ds_load_b128 v[84:87], v2 offset:880
	scratch_load_b128 v[124:127], off, off offset:496
	v_fmac_f64_e32 v[140:141], v[106:107], v[88:89]
	v_fma_f64 v[104:105], v[104:105], v[88:89], -v[90:91]
	scratch_load_b128 v[88:91], off, off offset:512
	s_wait_loadcnt_dscnt 0xb01
	v_mul_f64_e32 v[144:145], v[80:81], v[134:135]
	v_mul_f64_e32 v[134:135], v[82:83], v[134:135]
	v_add_f64_e32 v[4:5], v[4:5], v[146:147]
	v_add_f64_e32 v[12:13], v[12:13], v[142:143]
	s_wait_loadcnt_dscnt 0xa00
	v_mul_f64_e32 v[142:143], v[84:85], v[98:99]
	v_mul_f64_e32 v[98:99], v[86:87], v[98:99]
	v_fmac_f64_e32 v[144:145], v[82:83], v[132:133]
	v_fma_f64 v[132:133], v[80:81], v[132:133], -v[134:135]
	v_add_f64_e32 v[4:5], v[4:5], v[104:105]
	v_add_f64_e32 v[12:13], v[12:13], v[140:141]
	ds_load_b128 v[80:83], v2 offset:896
	ds_load_b128 v[104:107], v2 offset:912
	v_fmac_f64_e32 v[142:143], v[86:87], v[96:97]
	v_fma_f64 v[84:85], v[84:85], v[96:97], -v[98:99]
	s_wait_loadcnt_dscnt 0x901
	v_mul_f64_e32 v[134:135], v[80:81], v[118:119]
	v_mul_f64_e32 v[118:119], v[82:83], v[118:119]
	s_wait_loadcnt_dscnt 0x800
	v_mul_f64_e32 v[96:97], v[104:105], v[94:95]
	v_mul_f64_e32 v[94:95], v[106:107], v[94:95]
	v_add_f64_e32 v[4:5], v[4:5], v[132:133]
	v_add_f64_e32 v[12:13], v[12:13], v[144:145]
	v_fmac_f64_e32 v[134:135], v[82:83], v[116:117]
	v_fma_f64 v[98:99], v[80:81], v[116:117], -v[118:119]
	v_fmac_f64_e32 v[96:97], v[106:107], v[92:93]
	v_fma_f64 v[92:93], v[104:105], v[92:93], -v[94:95]
	v_add_f64_e32 v[4:5], v[4:5], v[84:85]
	v_add_f64_e32 v[12:13], v[12:13], v[142:143]
	ds_load_b128 v[80:83], v2 offset:928
	ds_load_b128 v[84:87], v2 offset:944
	s_wait_loadcnt_dscnt 0x701
	v_mul_f64_e32 v[116:117], v[80:81], v[110:111]
	v_mul_f64_e32 v[110:111], v[82:83], v[110:111]
	v_add_f64_e32 v[4:5], v[4:5], v[98:99]
	v_add_f64_e32 v[12:13], v[12:13], v[134:135]
	s_wait_loadcnt_dscnt 0x600
	v_mul_f64_e32 v[98:99], v[84:85], v[102:103]
	v_mul_f64_e32 v[102:103], v[86:87], v[102:103]
	v_fmac_f64_e32 v[116:117], v[82:83], v[108:109]
	v_fma_f64 v[104:105], v[80:81], v[108:109], -v[110:111]
	v_add_f64_e32 v[4:5], v[4:5], v[92:93]
	v_add_f64_e32 v[12:13], v[12:13], v[96:97]
	ds_load_b128 v[80:83], v2 offset:960
	ds_load_b128 v[92:95], v2 offset:976
	v_fmac_f64_e32 v[98:99], v[86:87], v[100:101]
	v_fma_f64 v[84:85], v[84:85], v[100:101], -v[102:103]
	s_wait_loadcnt_dscnt 0x501
	v_mul_f64_e32 v[96:97], v[80:81], v[122:123]
	v_mul_f64_e32 v[106:107], v[82:83], v[122:123]
	v_add_f64_e32 v[4:5], v[4:5], v[104:105]
	v_add_f64_e32 v[12:13], v[12:13], v[116:117]
	s_wait_loadcnt_dscnt 0x400
	v_mul_f64_e32 v[86:87], v[92:93], v[10:11]
	v_mul_f64_e32 v[100:101], v[94:95], v[10:11]
	v_fmac_f64_e32 v[96:97], v[82:83], v[120:121]
	v_fma_f64 v[102:103], v[80:81], v[120:121], -v[106:107]
	v_add_f64_e32 v[4:5], v[4:5], v[84:85]
	v_add_f64_e32 v[84:85], v[12:13], v[98:99]
	ds_load_b128 v[10:13], v2 offset:992
	ds_load_b128 v[80:83], v2 offset:1008
	v_fmac_f64_e32 v[86:87], v[94:95], v[8:9]
	v_fma_f64 v[8:9], v[92:93], v[8:9], -v[100:101]
	s_wait_loadcnt_dscnt 0x301
	v_mul_f64_e32 v[98:99], v[10:11], v[138:139]
	v_mul_f64_e32 v[104:105], v[12:13], v[138:139]
	s_wait_loadcnt_dscnt 0x200
	v_mul_f64_e32 v[92:93], v[80:81], v[114:115]
	v_mul_f64_e32 v[94:95], v[82:83], v[114:115]
	v_add_f64_e32 v[4:5], v[4:5], v[102:103]
	v_add_f64_e32 v[84:85], v[84:85], v[96:97]
	v_fmac_f64_e32 v[98:99], v[12:13], v[136:137]
	v_fma_f64 v[12:13], v[10:11], v[136:137], -v[104:105]
	v_fmac_f64_e32 v[92:93], v[82:83], v[112:113]
	v_fma_f64 v[80:81], v[80:81], v[112:113], -v[94:95]
	v_add_f64_e32 v[96:97], v[4:5], v[8:9]
	v_add_f64_e32 v[84:85], v[84:85], v[86:87]
	ds_load_b128 v[8:11], v2 offset:1024
	ds_load_b128 v[2:5], v2 offset:1040
	s_wait_loadcnt_dscnt 0x101
	v_mul_f64_e32 v[86:87], v[8:9], v[126:127]
	v_mul_f64_e32 v[100:101], v[10:11], v[126:127]
	v_add_f64_e32 v[12:13], v[96:97], v[12:13]
	v_add_f64_e32 v[82:83], v[84:85], v[98:99]
	s_wait_loadcnt_dscnt 0x0
	v_mul_f64_e32 v[84:85], v[2:3], v[90:91]
	v_mul_f64_e32 v[90:91], v[4:5], v[90:91]
	v_fmac_f64_e32 v[86:87], v[10:11], v[124:125]
	v_fma_f64 v[8:9], v[8:9], v[124:125], -v[100:101]
	v_add_f64_e32 v[10:11], v[12:13], v[80:81]
	v_add_f64_e32 v[12:13], v[82:83], v[92:93]
	v_fmac_f64_e32 v[84:85], v[4:5], v[88:89]
	v_fma_f64 v[2:3], v[2:3], v[88:89], -v[90:91]
	s_delay_alu instid0(VALU_DEP_4) | instskip(NEXT) | instid1(VALU_DEP_4)
	v_add_f64_e32 v[4:5], v[10:11], v[8:9]
	v_add_f64_e32 v[8:9], v[12:13], v[86:87]
	s_delay_alu instid0(VALU_DEP_2) | instskip(NEXT) | instid1(VALU_DEP_2)
	v_add_f64_e32 v[2:3], v[4:5], v[2:3]
	v_add_f64_e32 v[4:5], v[8:9], v[84:85]
	s_delay_alu instid0(VALU_DEP_2) | instskip(NEXT) | instid1(VALU_DEP_2)
	v_add_f64_e64 v[2:3], v[128:129], -v[2:3]
	v_add_f64_e64 v[4:5], v[130:131], -v[4:5]
	scratch_store_b128 off, v[2:5], off offset:64
	s_wait_xcnt 0x0
	v_cmpx_lt_u32_e32 3, v1
	s_cbranch_execz .LBB96_205
; %bb.204:
	scratch_load_b128 v[2:5], off, s14
	v_mov_b32_e32 v8, 0
	s_delay_alu instid0(VALU_DEP_1)
	v_dual_mov_b32 v9, v8 :: v_dual_mov_b32 v10, v8
	v_mov_b32_e32 v11, v8
	scratch_store_b128 off, v[8:11], off offset:48
	s_wait_loadcnt 0x0
	ds_store_b128 v6, v[2:5]
.LBB96_205:
	s_wait_xcnt 0x0
	s_or_b32 exec_lo, exec_lo, s2
	s_wait_storecnt_dscnt 0x0
	s_barrier_signal -1
	s_barrier_wait -1
	s_clause 0x9
	scratch_load_b128 v[8:11], off, off offset:64
	scratch_load_b128 v[80:83], off, off offset:80
	;; [unrolled: 1-line block ×10, first 2 shown]
	v_mov_b32_e32 v2, 0
	s_mov_b32 s2, exec_lo
	ds_load_b128 v[116:119], v2 offset:592
	s_clause 0x2
	scratch_load_b128 v[120:123], off, off offset:224
	scratch_load_b128 v[124:127], off, off offset:48
	;; [unrolled: 1-line block ×3, first 2 shown]
	s_wait_loadcnt_dscnt 0xc00
	v_mul_f64_e32 v[4:5], v[118:119], v[10:11]
	v_mul_f64_e32 v[140:141], v[116:117], v[10:11]
	ds_load_b128 v[128:131], v2 offset:608
	scratch_load_b128 v[10:13], off, off offset:240
	ds_load_b128 v[136:139], v2 offset:640
	v_fma_f64 v[4:5], v[116:117], v[8:9], -v[4:5]
	v_fmac_f64_e32 v[140:141], v[118:119], v[8:9]
	ds_load_b128 v[116:119], v2 offset:624
	s_wait_loadcnt_dscnt 0xc02
	v_mul_f64_e32 v[142:143], v[128:129], v[82:83]
	v_mul_f64_e32 v[82:83], v[130:131], v[82:83]
	s_wait_loadcnt_dscnt 0xb00
	v_mul_f64_e32 v[8:9], v[116:117], v[86:87]
	v_mul_f64_e32 v[86:87], v[118:119], v[86:87]
	v_add_f64_e32 v[4:5], 0, v[4:5]
	v_fmac_f64_e32 v[142:143], v[130:131], v[80:81]
	v_fma_f64 v[128:129], v[128:129], v[80:81], -v[82:83]
	v_add_f64_e32 v[130:131], 0, v[140:141]
	scratch_load_b128 v[80:83], off, off offset:272
	v_fmac_f64_e32 v[8:9], v[118:119], v[84:85]
	v_fma_f64 v[144:145], v[116:117], v[84:85], -v[86:87]
	ds_load_b128 v[84:87], v2 offset:656
	s_wait_loadcnt 0xb
	v_mul_f64_e32 v[140:141], v[136:137], v[90:91]
	v_mul_f64_e32 v[90:91], v[138:139], v[90:91]
	scratch_load_b128 v[116:119], off, off offset:288
	v_add_f64_e32 v[4:5], v[4:5], v[128:129]
	v_add_f64_e32 v[142:143], v[130:131], v[142:143]
	ds_load_b128 v[128:131], v2 offset:672
	s_wait_loadcnt_dscnt 0xb01
	v_mul_f64_e32 v[146:147], v[84:85], v[94:95]
	v_mul_f64_e32 v[94:95], v[86:87], v[94:95]
	v_fmac_f64_e32 v[140:141], v[138:139], v[88:89]
	v_fma_f64 v[136:137], v[136:137], v[88:89], -v[90:91]
	scratch_load_b128 v[88:91], off, off offset:304
	v_add_f64_e32 v[4:5], v[4:5], v[144:145]
	v_add_f64_e32 v[8:9], v[142:143], v[8:9]
	v_fmac_f64_e32 v[146:147], v[86:87], v[92:93]
	v_fma_f64 v[144:145], v[84:85], v[92:93], -v[94:95]
	ds_load_b128 v[84:87], v2 offset:688
	s_wait_loadcnt_dscnt 0xb01
	v_mul_f64_e32 v[142:143], v[128:129], v[98:99]
	v_mul_f64_e32 v[98:99], v[130:131], v[98:99]
	scratch_load_b128 v[92:95], off, off offset:320
	v_add_f64_e32 v[4:5], v[4:5], v[136:137]
	v_add_f64_e32 v[8:9], v[8:9], v[140:141]
	s_wait_loadcnt_dscnt 0xb00
	v_mul_f64_e32 v[140:141], v[84:85], v[102:103]
	v_mul_f64_e32 v[102:103], v[86:87], v[102:103]
	ds_load_b128 v[136:139], v2 offset:704
	v_fmac_f64_e32 v[142:143], v[130:131], v[96:97]
	v_fma_f64 v[128:129], v[128:129], v[96:97], -v[98:99]
	scratch_load_b128 v[96:99], off, off offset:336
	v_add_f64_e32 v[4:5], v[4:5], v[144:145]
	v_add_f64_e32 v[8:9], v[8:9], v[146:147]
	v_fmac_f64_e32 v[140:141], v[86:87], v[100:101]
	v_fma_f64 v[146:147], v[84:85], v[100:101], -v[102:103]
	ds_load_b128 v[84:87], v2 offset:720
	s_wait_loadcnt_dscnt 0xb01
	v_mul_f64_e32 v[144:145], v[136:137], v[106:107]
	v_mul_f64_e32 v[106:107], v[138:139], v[106:107]
	scratch_load_b128 v[100:103], off, off offset:352
	v_add_f64_e32 v[4:5], v[4:5], v[128:129]
	v_add_f64_e32 v[8:9], v[8:9], v[142:143]
	s_wait_loadcnt_dscnt 0xb00
	v_mul_f64_e32 v[142:143], v[84:85], v[110:111]
	v_mul_f64_e32 v[110:111], v[86:87], v[110:111]
	ds_load_b128 v[128:131], v2 offset:736
	;; [unrolled: 18-line block ×3, first 2 shown]
	v_fmac_f64_e32 v[140:141], v[130:131], v[112:113]
	v_fma_f64 v[128:129], v[128:129], v[112:113], -v[114:115]
	scratch_load_b128 v[112:115], off, off offset:400
	v_add_f64_e32 v[4:5], v[4:5], v[146:147]
	v_add_f64_e32 v[8:9], v[8:9], v[142:143]
	v_fmac_f64_e32 v[144:145], v[86:87], v[120:121]
	v_fma_f64 v[146:147], v[84:85], v[120:121], -v[122:123]
	ds_load_b128 v[84:87], v2 offset:784
	s_wait_loadcnt_dscnt 0x901
	v_mul_f64_e32 v[142:143], v[136:137], v[12:13]
	v_mul_f64_e32 v[12:13], v[138:139], v[12:13]
	scratch_load_b128 v[120:123], off, off offset:416
	v_add_f64_e32 v[4:5], v[4:5], v[128:129]
	v_add_f64_e32 v[8:9], v[8:9], v[140:141]
	s_wait_dscnt 0x0
	v_mul_f64_e32 v[140:141], v[84:85], v[134:135]
	v_mul_f64_e32 v[134:135], v[86:87], v[134:135]
	ds_load_b128 v[128:131], v2 offset:800
	v_fmac_f64_e32 v[142:143], v[138:139], v[10:11]
	v_fma_f64 v[12:13], v[136:137], v[10:11], -v[12:13]
	v_add_f64_e32 v[4:5], v[4:5], v[146:147]
	v_add_f64_e32 v[136:137], v[8:9], v[144:145]
	scratch_load_b128 v[8:11], off, off offset:432
	v_fmac_f64_e32 v[140:141], v[86:87], v[132:133]
	v_fma_f64 v[86:87], v[84:85], v[132:133], -v[134:135]
	scratch_load_b128 v[132:135], off, off offset:448
	v_add_f64_e32 v[4:5], v[4:5], v[12:13]
	v_add_f64_e32 v[12:13], v[136:137], v[142:143]
	ds_load_b128 v[136:139], v2 offset:832
	s_wait_loadcnt_dscnt 0xb01
	v_mul_f64_e32 v[144:145], v[128:129], v[82:83]
	v_mul_f64_e32 v[146:147], v[130:131], v[82:83]
	ds_load_b128 v[82:85], v2 offset:816
	s_wait_loadcnt_dscnt 0xa00
	v_mul_f64_e32 v[142:143], v[82:83], v[118:119]
	v_mul_f64_e32 v[118:119], v[84:85], v[118:119]
	v_add_f64_e32 v[4:5], v[4:5], v[86:87]
	v_add_f64_e32 v[12:13], v[12:13], v[140:141]
	s_wait_loadcnt 0x9
	v_mul_f64_e32 v[140:141], v[136:137], v[90:91]
	v_fmac_f64_e32 v[144:145], v[130:131], v[80:81]
	v_fma_f64 v[80:81], v[128:129], v[80:81], -v[146:147]
	scratch_load_b128 v[128:131], off, off offset:464
	v_mul_f64_e32 v[90:91], v[138:139], v[90:91]
	v_fmac_f64_e32 v[142:143], v[84:85], v[116:117]
	v_fma_f64 v[146:147], v[82:83], v[116:117], -v[118:119]
	scratch_load_b128 v[84:87], off, off offset:480
	ds_load_b128 v[116:119], v2 offset:864
	v_fmac_f64_e32 v[140:141], v[138:139], v[88:89]
	v_add_f64_e32 v[12:13], v[12:13], v[144:145]
	v_add_f64_e32 v[4:5], v[4:5], v[80:81]
	ds_load_b128 v[80:83], v2 offset:848
	v_fma_f64 v[136:137], v[136:137], v[88:89], -v[90:91]
	scratch_load_b128 v[88:91], off, off offset:496
	s_wait_loadcnt_dscnt 0xb00
	v_mul_f64_e32 v[144:145], v[80:81], v[94:95]
	v_mul_f64_e32 v[94:95], v[82:83], v[94:95]
	v_add_f64_e32 v[12:13], v[12:13], v[142:143]
	v_add_f64_e32 v[4:5], v[4:5], v[146:147]
	s_wait_loadcnt 0xa
	v_mul_f64_e32 v[142:143], v[116:117], v[98:99]
	v_mul_f64_e32 v[98:99], v[118:119], v[98:99]
	v_fmac_f64_e32 v[144:145], v[82:83], v[92:93]
	v_fma_f64 v[146:147], v[80:81], v[92:93], -v[94:95]
	ds_load_b128 v[80:83], v2 offset:880
	scratch_load_b128 v[92:95], off, off offset:512
	v_add_f64_e32 v[12:13], v[12:13], v[140:141]
	v_add_f64_e32 v[4:5], v[4:5], v[136:137]
	ds_load_b128 v[136:139], v2 offset:896
	v_fmac_f64_e32 v[142:143], v[118:119], v[96:97]
	v_fma_f64 v[96:97], v[116:117], v[96:97], -v[98:99]
	s_wait_loadcnt_dscnt 0xa01
	v_mul_f64_e32 v[140:141], v[80:81], v[102:103]
	v_mul_f64_e32 v[102:103], v[82:83], v[102:103]
	s_wait_loadcnt_dscnt 0x900
	v_mul_f64_e32 v[116:117], v[136:137], v[106:107]
	v_mul_f64_e32 v[106:107], v[138:139], v[106:107]
	v_add_f64_e32 v[12:13], v[12:13], v[144:145]
	v_add_f64_e32 v[4:5], v[4:5], v[146:147]
	v_fmac_f64_e32 v[140:141], v[82:83], v[100:101]
	v_fma_f64 v[100:101], v[80:81], v[100:101], -v[102:103]
	v_fmac_f64_e32 v[116:117], v[138:139], v[104:105]
	v_fma_f64 v[104:105], v[136:137], v[104:105], -v[106:107]
	v_add_f64_e32 v[12:13], v[12:13], v[142:143]
	v_add_f64_e32 v[4:5], v[4:5], v[96:97]
	ds_load_b128 v[80:83], v2 offset:912
	ds_load_b128 v[96:99], v2 offset:928
	s_wait_loadcnt_dscnt 0x801
	v_mul_f64_e32 v[118:119], v[80:81], v[110:111]
	v_mul_f64_e32 v[102:103], v[82:83], v[110:111]
	s_wait_loadcnt_dscnt 0x700
	v_mul_f64_e32 v[106:107], v[96:97], v[114:115]
	v_mul_f64_e32 v[110:111], v[98:99], v[114:115]
	v_add_f64_e32 v[12:13], v[12:13], v[140:141]
	v_add_f64_e32 v[4:5], v[4:5], v[100:101]
	v_fmac_f64_e32 v[118:119], v[82:83], v[108:109]
	v_fma_f64 v[108:109], v[80:81], v[108:109], -v[102:103]
	ds_load_b128 v[80:83], v2 offset:944
	ds_load_b128 v[100:103], v2 offset:960
	v_fmac_f64_e32 v[106:107], v[98:99], v[112:113]
	v_fma_f64 v[96:97], v[96:97], v[112:113], -v[110:111]
	v_add_f64_e32 v[12:13], v[12:13], v[116:117]
	v_add_f64_e32 v[4:5], v[4:5], v[104:105]
	s_wait_loadcnt_dscnt 0x601
	v_mul_f64_e32 v[104:105], v[80:81], v[122:123]
	v_mul_f64_e32 v[114:115], v[82:83], v[122:123]
	s_wait_loadcnt_dscnt 0x500
	v_mul_f64_e32 v[98:99], v[100:101], v[10:11]
	v_add_f64_e32 v[12:13], v[12:13], v[118:119]
	v_add_f64_e32 v[4:5], v[4:5], v[108:109]
	v_mul_f64_e32 v[108:109], v[102:103], v[10:11]
	v_fmac_f64_e32 v[104:105], v[82:83], v[120:121]
	v_fma_f64 v[110:111], v[80:81], v[120:121], -v[114:115]
	v_fmac_f64_e32 v[98:99], v[102:103], v[8:9]
	v_add_f64_e32 v[4:5], v[4:5], v[96:97]
	v_add_f64_e32 v[96:97], v[12:13], v[106:107]
	ds_load_b128 v[10:13], v2 offset:976
	ds_load_b128 v[80:83], v2 offset:992
	v_fma_f64 v[8:9], v[100:101], v[8:9], -v[108:109]
	s_wait_loadcnt_dscnt 0x401
	v_mul_f64_e32 v[106:107], v[10:11], v[134:135]
	v_mul_f64_e32 v[112:113], v[12:13], v[134:135]
	v_add_f64_e32 v[4:5], v[4:5], v[110:111]
	v_add_f64_e32 v[96:97], v[96:97], v[104:105]
	s_wait_loadcnt_dscnt 0x300
	v_mul_f64_e32 v[100:101], v[80:81], v[130:131]
	v_mul_f64_e32 v[102:103], v[82:83], v[130:131]
	v_fmac_f64_e32 v[106:107], v[12:13], v[132:133]
	v_fma_f64 v[12:13], v[10:11], v[132:133], -v[112:113]
	v_add_f64_e32 v[4:5], v[4:5], v[8:9]
	v_add_f64_e32 v[104:105], v[96:97], v[98:99]
	ds_load_b128 v[8:11], v2 offset:1008
	ds_load_b128 v[96:99], v2 offset:1024
	v_fmac_f64_e32 v[100:101], v[82:83], v[128:129]
	v_fma_f64 v[80:81], v[80:81], v[128:129], -v[102:103]
	s_wait_loadcnt_dscnt 0x201
	v_mul_f64_e32 v[108:109], v[8:9], v[86:87]
	v_mul_f64_e32 v[86:87], v[10:11], v[86:87]
	s_wait_loadcnt_dscnt 0x100
	v_mul_f64_e32 v[82:83], v[96:97], v[90:91]
	v_mul_f64_e32 v[90:91], v[98:99], v[90:91]
	v_add_f64_e32 v[4:5], v[4:5], v[12:13]
	v_add_f64_e32 v[12:13], v[104:105], v[106:107]
	v_fmac_f64_e32 v[108:109], v[10:11], v[84:85]
	v_fma_f64 v[84:85], v[8:9], v[84:85], -v[86:87]
	ds_load_b128 v[8:11], v2 offset:1040
	v_fmac_f64_e32 v[82:83], v[98:99], v[88:89]
	v_fma_f64 v[88:89], v[96:97], v[88:89], -v[90:91]
	v_add_f64_e32 v[4:5], v[4:5], v[80:81]
	v_add_f64_e32 v[12:13], v[12:13], v[100:101]
	s_wait_loadcnt_dscnt 0x0
	v_mul_f64_e32 v[80:81], v[8:9], v[94:95]
	v_mul_f64_e32 v[86:87], v[10:11], v[94:95]
	s_delay_alu instid0(VALU_DEP_4) | instskip(NEXT) | instid1(VALU_DEP_4)
	v_add_f64_e32 v[4:5], v[4:5], v[84:85]
	v_add_f64_e32 v[12:13], v[12:13], v[108:109]
	s_delay_alu instid0(VALU_DEP_4) | instskip(NEXT) | instid1(VALU_DEP_4)
	v_fmac_f64_e32 v[80:81], v[10:11], v[92:93]
	v_fma_f64 v[8:9], v[8:9], v[92:93], -v[86:87]
	s_delay_alu instid0(VALU_DEP_4) | instskip(NEXT) | instid1(VALU_DEP_4)
	v_add_f64_e32 v[4:5], v[4:5], v[88:89]
	v_add_f64_e32 v[10:11], v[12:13], v[82:83]
	s_delay_alu instid0(VALU_DEP_2) | instskip(NEXT) | instid1(VALU_DEP_2)
	v_add_f64_e32 v[4:5], v[4:5], v[8:9]
	v_add_f64_e32 v[10:11], v[10:11], v[80:81]
	s_delay_alu instid0(VALU_DEP_2) | instskip(NEXT) | instid1(VALU_DEP_2)
	v_add_f64_e64 v[8:9], v[124:125], -v[4:5]
	v_add_f64_e64 v[10:11], v[126:127], -v[10:11]
	scratch_store_b128 off, v[8:11], off offset:48
	s_wait_xcnt 0x0
	v_cmpx_lt_u32_e32 2, v1
	s_cbranch_execz .LBB96_207
; %bb.206:
	scratch_load_b128 v[8:11], off, s16
	v_dual_mov_b32 v3, v2 :: v_dual_mov_b32 v4, v2
	v_mov_b32_e32 v5, v2
	scratch_store_b128 off, v[2:5], off offset:32
	s_wait_loadcnt 0x0
	ds_store_b128 v6, v[8:11]
.LBB96_207:
	s_wait_xcnt 0x0
	s_or_b32 exec_lo, exec_lo, s2
	s_wait_storecnt_dscnt 0x0
	s_barrier_signal -1
	s_barrier_wait -1
	s_clause 0x9
	scratch_load_b128 v[8:11], off, off offset:48
	scratch_load_b128 v[80:83], off, off offset:64
	;; [unrolled: 1-line block ×10, first 2 shown]
	ds_load_b128 v[116:119], v2 offset:576
	ds_load_b128 v[124:127], v2 offset:592
	s_clause 0x1
	scratch_load_b128 v[120:123], off, off offset:208
	scratch_load_b128 v[128:131], off, off offset:32
	s_mov_b32 s2, exec_lo
	v_ashrrev_i32_e32 v21, 31, v20
	v_ashrrev_i32_e32 v25, 31, v24
	;; [unrolled: 1-line block ×3, first 2 shown]
	v_dual_ashrrev_i32 v33, 31, v32 :: v_dual_ashrrev_i32 v19, 31, v18
	v_dual_ashrrev_i32 v23, 31, v22 :: v_dual_ashrrev_i32 v37, 31, v36
	v_ashrrev_i32_e32 v41, 31, v40
	v_ashrrev_i32_e32 v45, 31, v44
	v_dual_ashrrev_i32 v49, 31, v48 :: v_dual_ashrrev_i32 v27, 31, v26
	v_ashrrev_i32_e32 v31, 31, v30
	v_ashrrev_i32_e32 v35, 31, v34
	v_ashrrev_i32_e32 v47, 31, v46
	v_ashrrev_i32_e32 v39, 31, v38
	v_dual_ashrrev_i32 v43, 31, v42 :: v_dual_ashrrev_i32 v53, 31, v52
	v_ashrrev_i32_e32 v57, 31, v56
	v_ashrrev_i32_e32 v61, 31, v60
	;; [unrolled: 5-line block ×3, first 2 shown]
	v_dual_ashrrev_i32 v63, 31, v62 :: v_dual_ashrrev_i32 v77, 31, v76
	v_ashrrev_i32_e32 v67, 31, v66
	v_ashrrev_i32_e32 v71, 31, v70
	;; [unrolled: 1-line block ×4, first 2 shown]
	s_wait_loadcnt_dscnt 0xb01
	v_mul_f64_e32 v[4:5], v[116:117], v[10:11]
	v_mul_f64_e32 v[132:133], v[118:119], v[10:11]
	scratch_load_b128 v[10:13], off, off offset:224
	s_wait_loadcnt_dscnt 0xb00
	v_mul_f64_e32 v[136:137], v[124:125], v[82:83]
	v_mul_f64_e32 v[82:83], v[126:127], v[82:83]
	v_fmac_f64_e32 v[4:5], v[118:119], v[8:9]
	v_fma_f64 v[8:9], v[116:117], v[8:9], -v[132:133]
	ds_load_b128 v[116:119], v2 offset:608
	ds_load_b128 v[132:135], v2 offset:624
	v_fmac_f64_e32 v[136:137], v[126:127], v[80:81]
	v_fma_f64 v[124:125], v[124:125], v[80:81], -v[82:83]
	scratch_load_b128 v[80:83], off, off offset:240
	s_wait_loadcnt_dscnt 0xb01
	v_mul_f64_e32 v[138:139], v[116:117], v[86:87]
	v_mul_f64_e32 v[86:87], v[118:119], v[86:87]
	s_wait_loadcnt_dscnt 0xa00
	v_mul_f64_e32 v[140:141], v[132:133], v[90:91]
	v_mul_f64_e32 v[90:91], v[134:135], v[90:91]
	v_add_f64_e32 v[4:5], 0, v[4:5]
	v_add_f64_e32 v[8:9], 0, v[8:9]
	v_fmac_f64_e32 v[138:139], v[118:119], v[84:85]
	v_fma_f64 v[142:143], v[116:117], v[84:85], -v[86:87]
	scratch_load_b128 v[84:87], off, off offset:256
	v_fmac_f64_e32 v[140:141], v[134:135], v[88:89]
	v_fma_f64 v[132:133], v[132:133], v[88:89], -v[90:91]
	v_add_f64_e32 v[4:5], v[4:5], v[136:137]
	v_add_f64_e32 v[8:9], v[8:9], v[124:125]
	ds_load_b128 v[116:119], v2 offset:640
	ds_load_b128 v[124:127], v2 offset:656
	scratch_load_b128 v[88:91], off, off offset:272
	s_wait_loadcnt_dscnt 0xb01
	v_mul_f64_e32 v[136:137], v[116:117], v[94:95]
	v_mul_f64_e32 v[94:95], v[118:119], v[94:95]
	v_add_f64_e32 v[4:5], v[4:5], v[138:139]
	v_add_f64_e32 v[8:9], v[8:9], v[142:143]
	s_wait_loadcnt_dscnt 0xa00
	v_mul_f64_e32 v[138:139], v[124:125], v[98:99]
	v_mul_f64_e32 v[98:99], v[126:127], v[98:99]
	v_fmac_f64_e32 v[136:137], v[118:119], v[92:93]
	v_fma_f64 v[142:143], v[116:117], v[92:93], -v[94:95]
	scratch_load_b128 v[92:95], off, off offset:288
	v_add_f64_e32 v[4:5], v[4:5], v[140:141]
	v_add_f64_e32 v[8:9], v[8:9], v[132:133]
	ds_load_b128 v[116:119], v2 offset:672
	ds_load_b128 v[132:135], v2 offset:688
	v_fmac_f64_e32 v[138:139], v[126:127], v[96:97]
	v_fma_f64 v[140:141], v[124:125], v[96:97], -v[98:99]
	s_clause 0x1
	scratch_load_b128 v[96:99], off, off offset:304
	scratch_load_b128 v[124:127], off, off offset:320
	s_wait_loadcnt_dscnt 0xc01
	v_mul_f64_e32 v[144:145], v[116:117], v[102:103]
	v_mul_f64_e32 v[102:103], v[118:119], v[102:103]
	v_add_f64_e32 v[4:5], v[4:5], v[136:137]
	v_add_f64_e32 v[8:9], v[8:9], v[142:143]
	s_wait_loadcnt_dscnt 0xb00
	v_mul_f64_e32 v[142:143], v[132:133], v[106:107]
	v_mul_f64_e32 v[106:107], v[134:135], v[106:107]
	v_fmac_f64_e32 v[144:145], v[118:119], v[100:101]
	v_fma_f64 v[136:137], v[116:117], v[100:101], -v[102:103]
	ds_load_b128 v[100:103], v2 offset:704
	ds_load_b128 v[116:119], v2 offset:720
	v_add_f64_e32 v[4:5], v[4:5], v[138:139]
	v_add_f64_e32 v[8:9], v[8:9], v[140:141]
	v_fmac_f64_e32 v[142:143], v[134:135], v[104:105]
	v_fma_f64 v[132:133], v[132:133], v[104:105], -v[106:107]
	scratch_load_b128 v[104:107], off, off offset:336
	s_wait_loadcnt_dscnt 0xb01
	v_mul_f64_e32 v[138:139], v[100:101], v[110:111]
	v_mul_f64_e32 v[110:111], v[102:103], v[110:111]
	v_add_f64_e32 v[4:5], v[4:5], v[144:145]
	v_add_f64_e32 v[8:9], v[8:9], v[136:137]
	s_wait_loadcnt_dscnt 0xa00
	v_mul_f64_e32 v[136:137], v[116:117], v[114:115]
	v_mul_f64_e32 v[114:115], v[118:119], v[114:115]
	v_fmac_f64_e32 v[138:139], v[102:103], v[108:109]
	v_fma_f64 v[140:141], v[100:101], v[108:109], -v[110:111]
	scratch_load_b128 v[100:103], off, off offset:352
	v_add_f64_e32 v[4:5], v[4:5], v[142:143]
	v_add_f64_e32 v[8:9], v[8:9], v[132:133]
	ds_load_b128 v[108:111], v2 offset:736
	ds_load_b128 v[132:135], v2 offset:752
	v_fmac_f64_e32 v[136:137], v[118:119], v[112:113]
	v_fma_f64 v[116:117], v[116:117], v[112:113], -v[114:115]
	scratch_load_b128 v[112:115], off, off offset:368
	s_wait_loadcnt_dscnt 0xb01
	v_mul_f64_e32 v[142:143], v[108:109], v[122:123]
	v_mul_f64_e32 v[118:119], v[110:111], v[122:123]
	v_add_f64_e32 v[4:5], v[4:5], v[138:139]
	v_add_f64_e32 v[8:9], v[8:9], v[140:141]
	s_wait_loadcnt_dscnt 0x900
	v_mul_f64_e32 v[138:139], v[132:133], v[12:13]
	v_mul_f64_e32 v[12:13], v[134:135], v[12:13]
	v_fmac_f64_e32 v[142:143], v[110:111], v[120:121]
	v_fma_f64 v[140:141], v[108:109], v[120:121], -v[118:119]
	scratch_load_b128 v[108:111], off, off offset:384
	v_add_f64_e32 v[4:5], v[4:5], v[136:137]
	v_add_f64_e32 v[144:145], v[8:9], v[116:117]
	ds_load_b128 v[116:119], v2 offset:768
	ds_load_b128 v[120:123], v2 offset:784
	v_fmac_f64_e32 v[138:139], v[134:135], v[10:11]
	v_fma_f64 v[12:13], v[132:133], v[10:11], -v[12:13]
	scratch_load_b128 v[8:11], off, off offset:400
	s_wait_loadcnt_dscnt 0xa01
	v_mul_f64_e32 v[136:137], v[116:117], v[82:83]
	v_mul_f64_e32 v[82:83], v[118:119], v[82:83]
	v_add_f64_e32 v[4:5], v[4:5], v[142:143]
	v_add_f64_e32 v[132:133], v[144:145], v[140:141]
	s_delay_alu instid0(VALU_DEP_4) | instskip(NEXT) | instid1(VALU_DEP_4)
	v_fmac_f64_e32 v[136:137], v[118:119], v[80:81]
	v_fma_f64 v[142:143], v[116:117], v[80:81], -v[82:83]
	s_wait_loadcnt_dscnt 0x900
	v_mul_f64_e32 v[140:141], v[120:121], v[86:87]
	v_mul_f64_e32 v[86:87], v[122:123], v[86:87]
	scratch_load_b128 v[80:83], off, off offset:416
	v_add_f64_e32 v[4:5], v[4:5], v[138:139]
	v_add_f64_e32 v[12:13], v[132:133], v[12:13]
	ds_load_b128 v[116:119], v2 offset:800
	ds_load_b128 v[132:135], v2 offset:816
	s_wait_loadcnt_dscnt 0x901
	v_mul_f64_e32 v[138:139], v[116:117], v[90:91]
	v_mul_f64_e32 v[90:91], v[118:119], v[90:91]
	v_fmac_f64_e32 v[140:141], v[122:123], v[84:85]
	v_fma_f64 v[120:121], v[120:121], v[84:85], -v[86:87]
	scratch_load_b128 v[84:87], off, off offset:432
	v_add_f64_e32 v[4:5], v[4:5], v[136:137]
	v_add_f64_e32 v[12:13], v[12:13], v[142:143]
	v_fmac_f64_e32 v[138:139], v[118:119], v[88:89]
	v_fma_f64 v[142:143], v[116:117], v[88:89], -v[90:91]
	s_wait_loadcnt_dscnt 0x900
	v_mul_f64_e32 v[136:137], v[132:133], v[94:95]
	v_mul_f64_e32 v[94:95], v[134:135], v[94:95]
	scratch_load_b128 v[88:91], off, off offset:448
	v_add_f64_e32 v[4:5], v[4:5], v[140:141]
	v_add_f64_e32 v[12:13], v[12:13], v[120:121]
	ds_load_b128 v[116:119], v2 offset:832
	ds_load_b128 v[120:123], v2 offset:848
	s_wait_loadcnt_dscnt 0x901
	v_mul_f64_e32 v[140:141], v[116:117], v[98:99]
	v_mul_f64_e32 v[98:99], v[118:119], v[98:99]
	v_fmac_f64_e32 v[136:137], v[134:135], v[92:93]
	v_fma_f64 v[132:133], v[132:133], v[92:93], -v[94:95]
	scratch_load_b128 v[92:95], off, off offset:464
	v_add_f64_e32 v[4:5], v[4:5], v[138:139]
	v_add_f64_e32 v[12:13], v[12:13], v[142:143]
	s_wait_loadcnt_dscnt 0x900
	v_mul_f64_e32 v[138:139], v[120:121], v[126:127]
	v_mul_f64_e32 v[126:127], v[122:123], v[126:127]
	v_fmac_f64_e32 v[140:141], v[118:119], v[96:97]
	v_fma_f64 v[142:143], v[116:117], v[96:97], -v[98:99]
	scratch_load_b128 v[96:99], off, off offset:480
	v_add_f64_e32 v[4:5], v[4:5], v[136:137]
	v_add_f64_e32 v[12:13], v[12:13], v[132:133]
	ds_load_b128 v[116:119], v2 offset:864
	ds_load_b128 v[132:135], v2 offset:880
	v_fmac_f64_e32 v[138:139], v[122:123], v[124:125]
	v_fma_f64 v[136:137], v[120:121], v[124:125], -v[126:127]
	s_clause 0x1
	scratch_load_b128 v[120:123], off, off offset:496
	scratch_load_b128 v[124:127], off, off offset:512
	s_wait_loadcnt_dscnt 0xb01
	v_mul_f64_e32 v[144:145], v[116:117], v[106:107]
	v_mul_f64_e32 v[106:107], v[118:119], v[106:107]
	v_add_f64_e32 v[4:5], v[4:5], v[140:141]
	v_add_f64_e32 v[12:13], v[12:13], v[142:143]
	s_wait_loadcnt_dscnt 0xa00
	v_mul_f64_e32 v[140:141], v[132:133], v[102:103]
	v_mul_f64_e32 v[142:143], v[134:135], v[102:103]
	v_fmac_f64_e32 v[144:145], v[118:119], v[104:105]
	v_fma_f64 v[106:107], v[116:117], v[104:105], -v[106:107]
	ds_load_b128 v[102:105], v2 offset:896
	ds_load_b128 v[116:119], v2 offset:912
	v_add_f64_e32 v[4:5], v[4:5], v[138:139]
	v_add_f64_e32 v[12:13], v[12:13], v[136:137]
	v_fmac_f64_e32 v[140:141], v[134:135], v[100:101]
	v_fma_f64 v[100:101], v[132:133], v[100:101], -v[142:143]
	s_wait_loadcnt_dscnt 0x901
	v_mul_f64_e32 v[132:133], v[102:103], v[114:115]
	v_mul_f64_e32 v[114:115], v[104:105], v[114:115]
	v_add_f64_e32 v[4:5], v[4:5], v[144:145]
	v_add_f64_e32 v[12:13], v[12:13], v[106:107]
	s_delay_alu instid0(VALU_DEP_4) | instskip(NEXT) | instid1(VALU_DEP_4)
	v_fmac_f64_e32 v[132:133], v[104:105], v[112:113]
	v_fma_f64 v[112:113], v[102:103], v[112:113], -v[114:115]
	s_wait_loadcnt_dscnt 0x800
	v_mul_f64_e32 v[134:135], v[116:117], v[110:111]
	v_mul_f64_e32 v[110:111], v[118:119], v[110:111]
	v_add_f64_e32 v[4:5], v[4:5], v[140:141]
	v_add_f64_e32 v[12:13], v[12:13], v[100:101]
	ds_load_b128 v[100:103], v2 offset:928
	ds_load_b128 v[104:107], v2 offset:944
	s_wait_loadcnt_dscnt 0x701
	v_mul_f64_e32 v[114:115], v[100:101], v[10:11]
	v_mul_f64_e32 v[10:11], v[102:103], v[10:11]
	v_fmac_f64_e32 v[134:135], v[118:119], v[108:109]
	v_fma_f64 v[108:109], v[116:117], v[108:109], -v[110:111]
	v_add_f64_e32 v[4:5], v[4:5], v[132:133]
	v_add_f64_e32 v[12:13], v[12:13], v[112:113]
	v_fmac_f64_e32 v[114:115], v[102:103], v[8:9]
	v_fma_f64 v[112:113], v[100:101], v[8:9], -v[10:11]
	ds_load_b128 v[8:11], v2 offset:960
	ds_load_b128 v[100:103], v2 offset:976
	s_wait_loadcnt_dscnt 0x602
	v_mul_f64_e32 v[110:111], v[104:105], v[82:83]
	v_mul_f64_e32 v[82:83], v[106:107], v[82:83]
	v_add_f64_e32 v[4:5], v[4:5], v[134:135]
	v_add_f64_e32 v[12:13], v[12:13], v[108:109]
	s_wait_loadcnt_dscnt 0x501
	v_mul_f64_e32 v[108:109], v[8:9], v[86:87]
	v_mul_f64_e32 v[86:87], v[10:11], v[86:87]
	v_fmac_f64_e32 v[110:111], v[106:107], v[80:81]
	v_fma_f64 v[80:81], v[104:105], v[80:81], -v[82:83]
	v_add_f64_e32 v[4:5], v[4:5], v[114:115]
	v_add_f64_e32 v[12:13], v[12:13], v[112:113]
	s_wait_loadcnt_dscnt 0x400
	v_mul_f64_e32 v[104:105], v[100:101], v[90:91]
	v_mul_f64_e32 v[90:91], v[102:103], v[90:91]
	v_fmac_f64_e32 v[108:109], v[10:11], v[84:85]
	v_fma_f64 v[84:85], v[8:9], v[84:85], -v[86:87]
	v_add_f64_e32 v[4:5], v[4:5], v[110:111]
	v_add_f64_e32 v[12:13], v[12:13], v[80:81]
	ds_load_b128 v[8:11], v2 offset:992
	ds_load_b128 v[80:83], v2 offset:1008
	s_wait_loadcnt_dscnt 0x301
	v_mul_f64_e32 v[86:87], v[8:9], v[94:95]
	v_mul_f64_e32 v[94:95], v[10:11], v[94:95]
	v_fmac_f64_e32 v[104:105], v[102:103], v[88:89]
	v_fma_f64 v[88:89], v[100:101], v[88:89], -v[90:91]
	v_add_f64_e32 v[4:5], v[4:5], v[108:109]
	v_add_f64_e32 v[12:13], v[12:13], v[84:85]
	s_wait_loadcnt_dscnt 0x200
	v_mul_f64_e32 v[84:85], v[80:81], v[98:99]
	v_mul_f64_e32 v[90:91], v[82:83], v[98:99]
	v_fmac_f64_e32 v[86:87], v[10:11], v[92:93]
	v_fma_f64 v[92:93], v[8:9], v[92:93], -v[94:95]
	v_add_f64_e32 v[12:13], v[12:13], v[88:89]
	v_add_f64_e32 v[88:89], v[4:5], v[104:105]
	ds_load_b128 v[8:11], v2 offset:1024
	ds_load_b128 v[2:5], v2 offset:1040
	s_wait_loadcnt_dscnt 0x101
	v_mul_f64_e32 v[94:95], v[8:9], v[122:123]
	v_mul_f64_e32 v[98:99], v[10:11], v[122:123]
	v_fmac_f64_e32 v[84:85], v[82:83], v[96:97]
	v_fma_f64 v[80:81], v[80:81], v[96:97], -v[90:91]
	v_add_f64_e32 v[12:13], v[12:13], v[92:93]
	v_add_f64_e32 v[82:83], v[88:89], v[86:87]
	s_wait_loadcnt_dscnt 0x0
	v_mul_f64_e32 v[86:87], v[2:3], v[126:127]
	v_mul_f64_e32 v[88:89], v[4:5], v[126:127]
	v_fmac_f64_e32 v[94:95], v[10:11], v[120:121]
	v_fma_f64 v[8:9], v[8:9], v[120:121], -v[98:99]
	v_add_f64_e32 v[10:11], v[12:13], v[80:81]
	v_add_f64_e32 v[12:13], v[82:83], v[84:85]
	v_fmac_f64_e32 v[86:87], v[4:5], v[124:125]
	v_fma_f64 v[2:3], v[2:3], v[124:125], -v[88:89]
	s_delay_alu instid0(VALU_DEP_4) | instskip(NEXT) | instid1(VALU_DEP_4)
	v_add_f64_e32 v[4:5], v[10:11], v[8:9]
	v_add_f64_e32 v[8:9], v[12:13], v[94:95]
	s_delay_alu instid0(VALU_DEP_2) | instskip(NEXT) | instid1(VALU_DEP_2)
	v_add_f64_e32 v[2:3], v[4:5], v[2:3]
	v_add_f64_e32 v[4:5], v[8:9], v[86:87]
	s_delay_alu instid0(VALU_DEP_2) | instskip(NEXT) | instid1(VALU_DEP_2)
	v_add_f64_e64 v[2:3], v[128:129], -v[2:3]
	v_add_f64_e64 v[4:5], v[130:131], -v[4:5]
	scratch_store_b128 off, v[2:5], off offset:32
	s_wait_xcnt 0x0
	v_cmpx_lt_u32_e32 1, v1
	s_cbranch_execz .LBB96_209
; %bb.208:
	scratch_load_b128 v[2:5], off, s18
	v_mov_b32_e32 v8, 0
	s_delay_alu instid0(VALU_DEP_1)
	v_dual_mov_b32 v9, v8 :: v_dual_mov_b32 v10, v8
	v_mov_b32_e32 v11, v8
	scratch_store_b128 off, v[8:11], off offset:16
	s_wait_loadcnt 0x0
	ds_store_b128 v6, v[2:5]
.LBB96_209:
	s_wait_xcnt 0x0
	s_or_b32 exec_lo, exec_lo, s2
	s_wait_storecnt_dscnt 0x0
	s_barrier_signal -1
	s_barrier_wait -1
	s_clause 0x9
	scratch_load_b128 v[8:11], off, off offset:32
	scratch_load_b128 v[80:83], off, off offset:48
	;; [unrolled: 1-line block ×10, first 2 shown]
	v_mov_b32_e32 v2, 0
	s_clause 0x2
	scratch_load_b128 v[120:123], off, off offset:192
	scratch_load_b128 v[124:127], off, off offset:208
	;; [unrolled: 1-line block ×3, first 2 shown]
	s_mov_b32 s2, exec_lo
	ds_load_b128 v[116:119], v2 offset:560
	s_wait_loadcnt_dscnt 0xc00
	v_mul_f64_e32 v[4:5], v[118:119], v[10:11]
	v_mul_f64_e32 v[132:133], v[116:117], v[10:11]
	ds_load_b128 v[10:13], v2 offset:576
	v_fma_f64 v[4:5], v[116:117], v[8:9], -v[4:5]
	v_fmac_f64_e32 v[132:133], v[118:119], v[8:9]
	ds_load_b128 v[116:119], v2 offset:592
	s_wait_loadcnt_dscnt 0xb01
	v_mul_f64_e32 v[134:135], v[10:11], v[82:83]
	v_mul_f64_e32 v[82:83], v[12:13], v[82:83]
	s_wait_loadcnt_dscnt 0xa00
	v_mul_f64_e32 v[136:137], v[116:117], v[86:87]
	v_mul_f64_e32 v[86:87], v[118:119], v[86:87]
	v_add_f64_e32 v[4:5], 0, v[4:5]
	v_add_f64_e32 v[132:133], 0, v[132:133]
	v_fmac_f64_e32 v[134:135], v[12:13], v[80:81]
	v_fma_f64 v[12:13], v[10:11], v[80:81], -v[82:83]
	ds_load_b128 v[8:11], v2 offset:608
	scratch_load_b128 v[80:83], off, off offset:240
	v_fmac_f64_e32 v[136:137], v[118:119], v[84:85]
	v_fma_f64 v[140:141], v[116:117], v[84:85], -v[86:87]
	ds_load_b128 v[84:87], v2 offset:624
	s_wait_loadcnt_dscnt 0xa01
	v_mul_f64_e32 v[138:139], v[8:9], v[90:91]
	v_mul_f64_e32 v[90:91], v[10:11], v[90:91]
	scratch_load_b128 v[116:119], off, off offset:256
	v_add_f64_e32 v[4:5], v[4:5], v[12:13]
	v_add_f64_e32 v[12:13], v[132:133], v[134:135]
	s_wait_loadcnt_dscnt 0xa00
	v_mul_f64_e32 v[132:133], v[84:85], v[94:95]
	v_mul_f64_e32 v[94:95], v[86:87], v[94:95]
	v_fmac_f64_e32 v[138:139], v[10:11], v[88:89]
	v_fma_f64 v[134:135], v[8:9], v[88:89], -v[90:91]
	ds_load_b128 v[8:11], v2 offset:640
	scratch_load_b128 v[88:91], off, off offset:272
	v_add_f64_e32 v[4:5], v[4:5], v[140:141]
	v_add_f64_e32 v[12:13], v[12:13], v[136:137]
	v_fmac_f64_e32 v[132:133], v[86:87], v[92:93]
	v_fma_f64 v[140:141], v[84:85], v[92:93], -v[94:95]
	ds_load_b128 v[84:87], v2 offset:656
	s_wait_loadcnt_dscnt 0xa01
	v_mul_f64_e32 v[136:137], v[8:9], v[98:99]
	v_mul_f64_e32 v[98:99], v[10:11], v[98:99]
	scratch_load_b128 v[92:95], off, off offset:288
	v_add_f64_e32 v[4:5], v[4:5], v[134:135]
	v_add_f64_e32 v[12:13], v[12:13], v[138:139]
	s_wait_loadcnt_dscnt 0xa00
	v_mul_f64_e32 v[134:135], v[84:85], v[102:103]
	v_mul_f64_e32 v[102:103], v[86:87], v[102:103]
	v_fmac_f64_e32 v[136:137], v[10:11], v[96:97]
	v_fma_f64 v[138:139], v[8:9], v[96:97], -v[98:99]
	ds_load_b128 v[8:11], v2 offset:672
	scratch_load_b128 v[96:99], off, off offset:304
	v_add_f64_e32 v[4:5], v[4:5], v[140:141]
	v_add_f64_e32 v[12:13], v[12:13], v[132:133]
	;; [unrolled: 18-line block ×3, first 2 shown]
	v_fmac_f64_e32 v[136:137], v[86:87], v[108:109]
	v_fma_f64 v[140:141], v[84:85], v[108:109], -v[110:111]
	ds_load_b128 v[84:87], v2 offset:720
	s_wait_loadcnt_dscnt 0xa01
	v_mul_f64_e32 v[134:135], v[8:9], v[114:115]
	v_mul_f64_e32 v[114:115], v[10:11], v[114:115]
	scratch_load_b128 v[108:111], off, off offset:352
	v_add_f64_e32 v[4:5], v[4:5], v[138:139]
	v_add_f64_e32 v[12:13], v[12:13], v[132:133]
	s_wait_loadcnt_dscnt 0xa00
	v_mul_f64_e32 v[132:133], v[84:85], v[122:123]
	v_mul_f64_e32 v[122:123], v[86:87], v[122:123]
	v_fmac_f64_e32 v[134:135], v[10:11], v[112:113]
	v_fma_f64 v[138:139], v[8:9], v[112:113], -v[114:115]
	scratch_load_b128 v[112:115], off, off offset:368
	ds_load_b128 v[8:11], v2 offset:736
	v_add_f64_e32 v[4:5], v[4:5], v[140:141]
	v_add_f64_e32 v[12:13], v[12:13], v[136:137]
	v_fmac_f64_e32 v[132:133], v[86:87], v[120:121]
	v_fma_f64 v[140:141], v[84:85], v[120:121], -v[122:123]
	ds_load_b128 v[84:87], v2 offset:752
	s_wait_loadcnt_dscnt 0xa01
	v_mul_f64_e32 v[136:137], v[8:9], v[126:127]
	v_mul_f64_e32 v[126:127], v[10:11], v[126:127]
	scratch_load_b128 v[120:123], off, off offset:384
	v_add_f64_e32 v[4:5], v[4:5], v[138:139]
	v_add_f64_e32 v[12:13], v[12:13], v[134:135]
	s_wait_loadcnt_dscnt 0xa00
	v_mul_f64_e32 v[134:135], v[84:85], v[130:131]
	v_mul_f64_e32 v[130:131], v[86:87], v[130:131]
	v_fmac_f64_e32 v[136:137], v[10:11], v[124:125]
	v_fma_f64 v[138:139], v[8:9], v[124:125], -v[126:127]
	ds_load_b128 v[8:11], v2 offset:768
	scratch_load_b128 v[124:127], off, off offset:400
	v_add_f64_e32 v[4:5], v[4:5], v[140:141]
	v_add_f64_e32 v[12:13], v[12:13], v[132:133]
	s_wait_loadcnt_dscnt 0xa00
	v_mul_f64_e32 v[140:141], v[8:9], v[82:83]
	v_mul_f64_e32 v[132:133], v[10:11], v[82:83]
	v_fmac_f64_e32 v[134:135], v[86:87], v[128:129]
	v_fma_f64 v[86:87], v[84:85], v[128:129], -v[130:131]
	ds_load_b128 v[82:85], v2 offset:784
	scratch_load_b128 v[128:131], off, off offset:416
	v_add_f64_e32 v[4:5], v[4:5], v[138:139]
	v_add_f64_e32 v[12:13], v[12:13], v[136:137]
	v_fmac_f64_e32 v[140:141], v[10:11], v[80:81]
	v_fma_f64 v[80:81], v[8:9], v[80:81], -v[132:133]
	ds_load_b128 v[8:11], v2 offset:800
	s_wait_loadcnt_dscnt 0xa01
	v_mul_f64_e32 v[136:137], v[82:83], v[118:119]
	v_mul_f64_e32 v[118:119], v[84:85], v[118:119]
	s_wait_loadcnt_dscnt 0x900
	v_mul_f64_e32 v[138:139], v[8:9], v[90:91]
	v_mul_f64_e32 v[90:91], v[10:11], v[90:91]
	v_add_f64_e32 v[4:5], v[4:5], v[86:87]
	v_add_f64_e32 v[12:13], v[12:13], v[134:135]
	scratch_load_b128 v[132:135], off, off offset:432
	v_fmac_f64_e32 v[136:137], v[84:85], v[116:117]
	v_fma_f64 v[116:117], v[82:83], v[116:117], -v[118:119]
	scratch_load_b128 v[84:87], off, off offset:448
	v_fmac_f64_e32 v[138:139], v[10:11], v[88:89]
	v_add_f64_e32 v[4:5], v[4:5], v[80:81]
	v_add_f64_e32 v[12:13], v[12:13], v[140:141]
	ds_load_b128 v[80:83], v2 offset:816
	v_fma_f64 v[140:141], v[8:9], v[88:89], -v[90:91]
	ds_load_b128 v[8:11], v2 offset:832
	scratch_load_b128 v[88:91], off, off offset:464
	s_wait_loadcnt_dscnt 0xb01
	v_mul_f64_e32 v[118:119], v[80:81], v[94:95]
	v_mul_f64_e32 v[94:95], v[82:83], v[94:95]
	v_add_f64_e32 v[4:5], v[4:5], v[116:117]
	v_add_f64_e32 v[12:13], v[12:13], v[136:137]
	s_wait_loadcnt_dscnt 0xa00
	v_mul_f64_e32 v[116:117], v[8:9], v[98:99]
	v_mul_f64_e32 v[98:99], v[10:11], v[98:99]
	v_fmac_f64_e32 v[118:119], v[82:83], v[92:93]
	v_fma_f64 v[136:137], v[80:81], v[92:93], -v[94:95]
	ds_load_b128 v[80:83], v2 offset:848
	scratch_load_b128 v[92:95], off, off offset:480
	v_add_f64_e32 v[4:5], v[4:5], v[140:141]
	v_add_f64_e32 v[12:13], v[12:13], v[138:139]
	v_fmac_f64_e32 v[116:117], v[10:11], v[96:97]
	v_fma_f64 v[140:141], v[8:9], v[96:97], -v[98:99]
	ds_load_b128 v[8:11], v2 offset:864
	scratch_load_b128 v[96:99], off, off offset:496
	s_wait_loadcnt_dscnt 0xb01
	v_mul_f64_e32 v[138:139], v[80:81], v[102:103]
	v_mul_f64_e32 v[102:103], v[82:83], v[102:103]
	v_add_f64_e32 v[4:5], v[4:5], v[136:137]
	v_add_f64_e32 v[12:13], v[12:13], v[118:119]
	s_wait_loadcnt_dscnt 0xa00
	v_mul_f64_e32 v[118:119], v[8:9], v[106:107]
	v_mul_f64_e32 v[106:107], v[10:11], v[106:107]
	v_fmac_f64_e32 v[138:139], v[82:83], v[100:101]
	v_fma_f64 v[136:137], v[80:81], v[100:101], -v[102:103]
	ds_load_b128 v[80:83], v2 offset:880
	scratch_load_b128 v[100:103], off, off offset:512
	v_add_f64_e32 v[4:5], v[4:5], v[140:141]
	v_add_f64_e32 v[12:13], v[12:13], v[116:117]
	v_fmac_f64_e32 v[118:119], v[10:11], v[104:105]
	v_fma_f64 v[104:105], v[8:9], v[104:105], -v[106:107]
	ds_load_b128 v[8:11], v2 offset:896
	s_wait_loadcnt_dscnt 0x900
	v_mul_f64_e32 v[106:107], v[10:11], v[114:115]
	v_add_f64_e32 v[4:5], v[4:5], v[136:137]
	v_mul_f64_e32 v[136:137], v[8:9], v[114:115]
	v_add_f64_e32 v[12:13], v[12:13], v[138:139]
	s_delay_alu instid0(VALU_DEP_3) | instskip(NEXT) | instid1(VALU_DEP_3)
	v_add_f64_e32 v[4:5], v[4:5], v[104:105]
	v_fmac_f64_e32 v[136:137], v[10:11], v[112:113]
	v_fma_f64 v[112:113], v[8:9], v[112:113], -v[106:107]
	scratch_load_b128 v[104:107], off, off offset:16
	v_mul_f64_e32 v[116:117], v[80:81], v[110:111]
	v_mul_f64_e32 v[110:111], v[82:83], v[110:111]
	v_add_f64_e32 v[12:13], v[12:13], v[118:119]
	ds_load_b128 v[8:11], v2 offset:928
	v_fmac_f64_e32 v[116:117], v[82:83], v[108:109]
	v_fma_f64 v[108:109], v[80:81], v[108:109], -v[110:111]
	ds_load_b128 v[80:83], v2 offset:912
	s_wait_loadcnt_dscnt 0x900
	v_mul_f64_e32 v[110:111], v[80:81], v[122:123]
	v_mul_f64_e32 v[114:115], v[82:83], v[122:123]
	v_add_f64_e32 v[12:13], v[12:13], v[116:117]
	v_add_f64_e32 v[4:5], v[4:5], v[108:109]
	s_wait_loadcnt 0x8
	v_mul_f64_e32 v[108:109], v[8:9], v[126:127]
	v_mul_f64_e32 v[116:117], v[10:11], v[126:127]
	v_fmac_f64_e32 v[110:111], v[82:83], v[120:121]
	v_fma_f64 v[114:115], v[80:81], v[120:121], -v[114:115]
	ds_load_b128 v[80:83], v2 offset:944
	v_add_f64_e32 v[12:13], v[12:13], v[136:137]
	v_add_f64_e32 v[4:5], v[4:5], v[112:113]
	v_fmac_f64_e32 v[108:109], v[10:11], v[124:125]
	v_fma_f64 v[116:117], v[8:9], v[124:125], -v[116:117]
	ds_load_b128 v[8:11], v2 offset:960
	s_wait_loadcnt_dscnt 0x701
	v_mul_f64_e32 v[112:113], v[80:81], v[130:131]
	v_mul_f64_e32 v[118:119], v[82:83], v[130:131]
	v_add_f64_e32 v[12:13], v[12:13], v[110:111]
	v_add_f64_e32 v[4:5], v[4:5], v[114:115]
	s_wait_loadcnt_dscnt 0x600
	v_mul_f64_e32 v[110:111], v[8:9], v[134:135]
	v_mul_f64_e32 v[114:115], v[10:11], v[134:135]
	v_fmac_f64_e32 v[112:113], v[82:83], v[128:129]
	v_fma_f64 v[118:119], v[80:81], v[128:129], -v[118:119]
	ds_load_b128 v[80:83], v2 offset:976
	v_add_f64_e32 v[12:13], v[12:13], v[108:109]
	v_add_f64_e32 v[4:5], v[4:5], v[116:117]
	v_fmac_f64_e32 v[110:111], v[10:11], v[132:133]
	v_fma_f64 v[114:115], v[8:9], v[132:133], -v[114:115]
	ds_load_b128 v[8:11], v2 offset:992
	s_wait_loadcnt_dscnt 0x501
	v_mul_f64_e32 v[108:109], v[80:81], v[86:87]
	v_mul_f64_e32 v[86:87], v[82:83], v[86:87]
	v_add_f64_e32 v[12:13], v[12:13], v[112:113]
	v_add_f64_e32 v[4:5], v[4:5], v[118:119]
	s_wait_loadcnt_dscnt 0x400
	v_mul_f64_e32 v[112:113], v[8:9], v[90:91]
	v_mul_f64_e32 v[90:91], v[10:11], v[90:91]
	v_fmac_f64_e32 v[108:109], v[82:83], v[84:85]
	v_fma_f64 v[84:85], v[80:81], v[84:85], -v[86:87]
	ds_load_b128 v[80:83], v2 offset:1008
	v_add_f64_e32 v[12:13], v[12:13], v[110:111]
	v_add_f64_e32 v[4:5], v[4:5], v[114:115]
	v_fmac_f64_e32 v[112:113], v[10:11], v[88:89]
	v_fma_f64 v[88:89], v[8:9], v[88:89], -v[90:91]
	ds_load_b128 v[8:11], v2 offset:1024
	s_wait_loadcnt_dscnt 0x301
	v_mul_f64_e32 v[86:87], v[80:81], v[94:95]
	v_mul_f64_e32 v[94:95], v[82:83], v[94:95]
	s_wait_loadcnt_dscnt 0x200
	v_mul_f64_e32 v[90:91], v[10:11], v[98:99]
	v_add_f64_e32 v[12:13], v[12:13], v[108:109]
	v_add_f64_e32 v[4:5], v[4:5], v[84:85]
	v_mul_f64_e32 v[84:85], v[8:9], v[98:99]
	v_fmac_f64_e32 v[86:87], v[82:83], v[92:93]
	v_fma_f64 v[92:93], v[80:81], v[92:93], -v[94:95]
	ds_load_b128 v[80:83], v2 offset:1040
	v_fma_f64 v[8:9], v[8:9], v[96:97], -v[90:91]
	s_wait_loadcnt_dscnt 0x100
	v_mul_f64_e32 v[94:95], v[82:83], v[102:103]
	v_add_f64_e32 v[12:13], v[12:13], v[112:113]
	v_add_f64_e32 v[4:5], v[4:5], v[88:89]
	v_mul_f64_e32 v[88:89], v[80:81], v[102:103]
	v_fmac_f64_e32 v[84:85], v[10:11], v[96:97]
	s_delay_alu instid0(VALU_DEP_4) | instskip(NEXT) | instid1(VALU_DEP_4)
	v_add_f64_e32 v[10:11], v[12:13], v[86:87]
	v_add_f64_e32 v[4:5], v[4:5], v[92:93]
	s_delay_alu instid0(VALU_DEP_4) | instskip(SKIP_1) | instid1(VALU_DEP_3)
	v_fmac_f64_e32 v[88:89], v[82:83], v[100:101]
	v_fma_f64 v[12:13], v[80:81], v[100:101], -v[94:95]
	v_add_f64_e32 v[4:5], v[4:5], v[8:9]
	v_add_f64_e32 v[8:9], v[10:11], v[84:85]
	s_delay_alu instid0(VALU_DEP_2) | instskip(NEXT) | instid1(VALU_DEP_2)
	v_add_f64_e32 v[4:5], v[4:5], v[12:13]
	v_add_f64_e32 v[10:11], v[8:9], v[88:89]
	s_wait_loadcnt 0x0
	s_delay_alu instid0(VALU_DEP_2) | instskip(NEXT) | instid1(VALU_DEP_2)
	v_add_f64_e64 v[8:9], v[104:105], -v[4:5]
	v_add_f64_e64 v[10:11], v[106:107], -v[10:11]
	scratch_store_b128 off, v[8:11], off offset:16
	s_wait_xcnt 0x0
	v_cmpx_ne_u32_e32 0, v1
	s_cbranch_execz .LBB96_211
; %bb.210:
	scratch_load_b128 v[8:11], off, off
	v_dual_mov_b32 v3, v2 :: v_dual_mov_b32 v4, v2
	v_mov_b32_e32 v5, v2
	scratch_store_b128 off, v[2:5], off
	s_wait_loadcnt 0x0
	ds_store_b128 v6, v[8:11]
.LBB96_211:
	s_wait_xcnt 0x0
	s_or_b32 exec_lo, exec_lo, s2
	s_wait_storecnt_dscnt 0x0
	s_barrier_signal -1
	s_barrier_wait -1
	s_clause 0x9
	scratch_load_b128 v[4:7], off, off offset:16
	scratch_load_b128 v[8:11], off, off offset:32
	;; [unrolled: 1-line block ×10, first 2 shown]
	ds_load_b128 v[112:115], v2 offset:544
	ds_load_b128 v[120:123], v2 offset:560
	s_clause 0x2
	scratch_load_b128 v[116:119], off, off offset:176
	scratch_load_b128 v[124:127], off, off
	scratch_load_b128 v[128:131], off, off offset:192
	v_lshl_add_u64 v[42:43], v[42:43], 4, s[4:5]
	s_and_b32 vcc_lo, exec_lo, s45
	s_wait_loadcnt_dscnt 0xc01
	v_mul_f64_e32 v[132:133], v[114:115], v[6:7]
	v_mul_f64_e32 v[134:135], v[112:113], v[6:7]
	s_wait_loadcnt_dscnt 0xb00
	v_mul_f64_e32 v[136:137], v[120:121], v[10:11]
	v_mul_f64_e32 v[138:139], v[122:123], v[10:11]
	ds_load_b128 v[10:13], v2 offset:576
	v_fma_f64 v[132:133], v[112:113], v[4:5], -v[132:133]
	v_fmac_f64_e32 v[134:135], v[114:115], v[4:5]
	ds_load_b128 v[4:7], v2 offset:592
	s_wait_loadcnt_dscnt 0xa01
	v_mul_f64_e32 v[140:141], v[10:11], v[82:83]
	v_mul_f64_e32 v[82:83], v[12:13], v[82:83]
	v_fmac_f64_e32 v[136:137], v[122:123], v[8:9]
	v_fma_f64 v[120:121], v[120:121], v[8:9], -v[138:139]
	scratch_load_b128 v[112:115], off, off offset:208
	v_add_f64_e32 v[122:123], 0, v[132:133]
	v_add_f64_e32 v[132:133], 0, v[134:135]
	s_wait_loadcnt_dscnt 0xa00
	v_mul_f64_e32 v[134:135], v[4:5], v[86:87]
	v_mul_f64_e32 v[86:87], v[6:7], v[86:87]
	v_fmac_f64_e32 v[140:141], v[12:13], v[80:81]
	v_fma_f64 v[12:13], v[10:11], v[80:81], -v[82:83]
	scratch_load_b128 v[8:11], off, off offset:224
	ds_load_b128 v[80:83], v2 offset:608
	v_add_f64_e32 v[138:139], v[122:123], v[120:121]
	v_add_f64_e32 v[132:133], v[132:133], v[136:137]
	ds_load_b128 v[120:123], v2 offset:624
	s_wait_loadcnt_dscnt 0xa01
	v_mul_f64_e32 v[136:137], v[80:81], v[90:91]
	v_fmac_f64_e32 v[134:135], v[6:7], v[84:85]
	v_fma_f64 v[142:143], v[4:5], v[84:85], -v[86:87]
	v_mul_f64_e32 v[84:85], v[82:83], v[90:91]
	scratch_load_b128 v[4:7], off, off offset:240
	v_add_f64_e32 v[12:13], v[138:139], v[12:13]
	v_add_f64_e32 v[90:91], v[132:133], v[140:141]
	s_wait_loadcnt_dscnt 0xa00
	v_mul_f64_e32 v[132:133], v[120:121], v[94:95]
	v_mul_f64_e32 v[94:95], v[122:123], v[94:95]
	v_fmac_f64_e32 v[136:137], v[82:83], v[88:89]
	v_fma_f64 v[138:139], v[80:81], v[88:89], -v[84:85]
	scratch_load_b128 v[80:83], off, off offset:256
	ds_load_b128 v[84:87], v2 offset:640
	v_add_f64_e32 v[12:13], v[12:13], v[142:143]
	v_add_f64_e32 v[134:135], v[90:91], v[134:135]
	ds_load_b128 v[88:91], v2 offset:656
	s_wait_loadcnt_dscnt 0xa01
	v_mul_f64_e32 v[140:141], v[84:85], v[98:99]
	v_fmac_f64_e32 v[132:133], v[122:123], v[92:93]
	v_fma_f64 v[120:121], v[120:121], v[92:93], -v[94:95]
	v_mul_f64_e32 v[98:99], v[86:87], v[98:99]
	scratch_load_b128 v[92:95], off, off offset:272
	v_add_f64_e32 v[12:13], v[12:13], v[138:139]
	v_add_f64_e32 v[122:123], v[134:135], v[136:137]
	s_wait_loadcnt_dscnt 0xa00
	v_mul_f64_e32 v[134:135], v[88:89], v[102:103]
	v_mul_f64_e32 v[102:103], v[90:91], v[102:103]
	v_fmac_f64_e32 v[140:141], v[86:87], v[96:97]
	v_fma_f64 v[136:137], v[84:85], v[96:97], -v[98:99]
	scratch_load_b128 v[84:87], off, off offset:288
	ds_load_b128 v[96:99], v2 offset:672
	v_add_f64_e32 v[12:13], v[12:13], v[120:121]
	v_add_f64_e32 v[132:133], v[122:123], v[132:133]
	scratch_load_b128 v[120:123], off, off offset:304
	v_fmac_f64_e32 v[134:135], v[90:91], v[100:101]
	v_fma_f64 v[138:139], v[88:89], v[100:101], -v[102:103]
	ds_load_b128 v[88:91], v2 offset:688
	s_wait_loadcnt_dscnt 0xb01
	v_mul_f64_e32 v[142:143], v[96:97], v[106:107]
	v_mul_f64_e32 v[106:107], v[98:99], v[106:107]
	scratch_load_b128 v[100:103], off, off offset:320
	v_add_f64_e32 v[12:13], v[12:13], v[136:137]
	v_add_f64_e32 v[132:133], v[132:133], v[140:141]
	s_wait_loadcnt_dscnt 0xb00
	v_mul_f64_e32 v[136:137], v[88:89], v[110:111]
	v_mul_f64_e32 v[110:111], v[90:91], v[110:111]
	v_fmac_f64_e32 v[142:143], v[98:99], v[104:105]
	v_fma_f64 v[140:141], v[96:97], v[104:105], -v[106:107]
	ds_load_b128 v[96:99], v2 offset:704
	ds_load_b128 v[104:107], v2 offset:720
	v_add_f64_e32 v[12:13], v[12:13], v[138:139]
	v_add_f64_e32 v[132:133], v[132:133], v[134:135]
	s_wait_loadcnt_dscnt 0xa01
	v_mul_f64_e32 v[134:135], v[96:97], v[118:119]
	v_fmac_f64_e32 v[136:137], v[90:91], v[108:109]
	v_fma_f64 v[108:109], v[88:89], v[108:109], -v[110:111]
	v_mul_f64_e32 v[110:111], v[98:99], v[118:119]
	scratch_load_b128 v[88:91], off, off offset:336
	v_add_f64_e32 v[12:13], v[12:13], v[140:141]
	v_add_f64_e32 v[118:119], v[132:133], v[142:143]
	s_wait_loadcnt_dscnt 0x900
	v_mul_f64_e32 v[132:133], v[104:105], v[130:131]
	v_mul_f64_e32 v[130:131], v[106:107], v[130:131]
	v_fmac_f64_e32 v[134:135], v[98:99], v[116:117]
	v_fma_f64 v[138:139], v[96:97], v[116:117], -v[110:111]
	scratch_load_b128 v[96:99], off, off offset:352
	v_add_f64_e32 v[12:13], v[12:13], v[108:109]
	v_add_f64_e32 v[136:137], v[118:119], v[136:137]
	ds_load_b128 v[108:111], v2 offset:736
	ds_load_b128 v[116:119], v2 offset:752
	v_fmac_f64_e32 v[132:133], v[106:107], v[128:129]
	v_fma_f64 v[128:129], v[104:105], v[128:129], -v[130:131]
	scratch_load_b128 v[104:107], off, off offset:368
	s_wait_loadcnt_dscnt 0xa01
	v_mul_f64_e32 v[140:141], v[108:109], v[114:115]
	v_mul_f64_e32 v[114:115], v[110:111], v[114:115]
	v_add_f64_e32 v[130:131], v[12:13], v[138:139]
	v_add_f64_e32 v[134:135], v[136:137], v[134:135]
	s_wait_loadcnt_dscnt 0x900
	v_mul_f64_e32 v[136:137], v[116:117], v[10:11]
	v_mul_f64_e32 v[138:139], v[118:119], v[10:11]
	scratch_load_b128 v[10:13], off, off offset:384
	v_fmac_f64_e32 v[140:141], v[110:111], v[112:113]
	v_fma_f64 v[142:143], v[108:109], v[112:113], -v[114:115]
	ds_load_b128 v[108:111], v2 offset:768
	ds_load_b128 v[112:115], v2 offset:784
	v_add_f64_e32 v[128:129], v[130:131], v[128:129]
	v_add_f64_e32 v[130:131], v[134:135], v[132:133]
	v_fmac_f64_e32 v[136:137], v[118:119], v[8:9]
	v_fma_f64 v[116:117], v[116:117], v[8:9], -v[138:139]
	s_wait_loadcnt_dscnt 0x901
	v_mul_f64_e32 v[132:133], v[108:109], v[6:7]
	v_mul_f64_e32 v[118:119], v[110:111], v[6:7]
	scratch_load_b128 v[6:9], off, off offset:400
	v_add_f64_e32 v[128:129], v[128:129], v[142:143]
	v_add_f64_e32 v[130:131], v[130:131], v[140:141]
	s_wait_loadcnt_dscnt 0x900
	v_mul_f64_e32 v[134:135], v[112:113], v[82:83]
	v_mul_f64_e32 v[82:83], v[114:115], v[82:83]
	v_fmac_f64_e32 v[132:133], v[110:111], v[4:5]
	v_fma_f64 v[4:5], v[108:109], v[4:5], -v[118:119]
	scratch_load_b128 v[108:111], off, off offset:416
	v_add_f64_e32 v[138:139], v[128:129], v[116:117]
	v_add_f64_e32 v[136:137], v[130:131], v[136:137]
	ds_load_b128 v[116:119], v2 offset:800
	ds_load_b128 v[128:131], v2 offset:816
	v_fmac_f64_e32 v[134:135], v[114:115], v[80:81]
	v_fma_f64 v[112:113], v[112:113], v[80:81], -v[82:83]
	scratch_load_b128 v[80:83], off, off offset:432
	s_wait_loadcnt_dscnt 0xa01
	v_mul_f64_e32 v[140:141], v[116:117], v[94:95]
	v_mul_f64_e32 v[94:95], v[118:119], v[94:95]
	v_add_f64_e32 v[4:5], v[138:139], v[4:5]
	v_add_f64_e32 v[114:115], v[136:137], v[132:133]
	s_wait_loadcnt_dscnt 0x900
	v_mul_f64_e32 v[132:133], v[128:129], v[86:87]
	v_mul_f64_e32 v[86:87], v[130:131], v[86:87]
	v_fmac_f64_e32 v[140:141], v[118:119], v[92:93]
	v_fma_f64 v[136:137], v[116:117], v[92:93], -v[94:95]
	scratch_load_b128 v[92:95], off, off offset:448
	v_add_f64_e32 v[4:5], v[4:5], v[112:113]
	v_add_f64_e32 v[134:135], v[114:115], v[134:135]
	ds_load_b128 v[112:115], v2 offset:832
	ds_load_b128 v[116:119], v2 offset:848
	v_fmac_f64_e32 v[132:133], v[130:131], v[84:85]
	v_fma_f64 v[128:129], v[128:129], v[84:85], -v[86:87]
	scratch_load_b128 v[84:87], off, off offset:464
	s_wait_loadcnt_dscnt 0xa01
	v_mul_f64_e32 v[138:139], v[112:113], v[122:123]
	v_mul_f64_e32 v[122:123], v[114:115], v[122:123]
	v_add_f64_e32 v[4:5], v[4:5], v[136:137]
	v_add_f64_e32 v[130:131], v[134:135], v[140:141]
	s_wait_loadcnt_dscnt 0x900
	v_mul_f64_e32 v[134:135], v[116:117], v[102:103]
	v_mul_f64_e32 v[102:103], v[118:119], v[102:103]
	v_fmac_f64_e32 v[138:139], v[114:115], v[120:121]
	v_fma_f64 v[136:137], v[112:113], v[120:121], -v[122:123]
	scratch_load_b128 v[112:115], off, off offset:480
	ds_load_b128 v[120:123], v2 offset:864
	v_add_f64_e32 v[4:5], v[4:5], v[128:129]
	v_add_f64_e32 v[132:133], v[130:131], v[132:133]
	scratch_load_b128 v[128:131], off, off offset:496
	v_fmac_f64_e32 v[134:135], v[118:119], v[100:101]
	v_fma_f64 v[140:141], v[116:117], v[100:101], -v[102:103]
	ds_load_b128 v[100:103], v2 offset:880
	scratch_load_b128 v[116:119], off, off offset:512
	s_wait_loadcnt_dscnt 0xb01
	v_mul_f64_e32 v[142:143], v[120:121], v[90:91]
	v_mul_f64_e32 v[90:91], v[122:123], v[90:91]
	v_add_f64_e32 v[4:5], v[4:5], v[136:137]
	v_add_f64_e32 v[132:133], v[132:133], v[138:139]
	s_wait_loadcnt_dscnt 0xa00
	v_mul_f64_e32 v[136:137], v[100:101], v[98:99]
	v_mul_f64_e32 v[98:99], v[102:103], v[98:99]
	v_fmac_f64_e32 v[142:143], v[122:123], v[88:89]
	v_fma_f64 v[138:139], v[120:121], v[88:89], -v[90:91]
	ds_load_b128 v[88:91], v2 offset:896
	ds_load_b128 v[120:123], v2 offset:912
	v_add_f64_e32 v[4:5], v[4:5], v[140:141]
	v_add_f64_e32 v[132:133], v[132:133], v[134:135]
	s_wait_loadcnt_dscnt 0x901
	v_mul_f64_e32 v[134:135], v[88:89], v[106:107]
	v_fmac_f64_e32 v[136:137], v[102:103], v[96:97]
	v_fma_f64 v[96:97], v[100:101], v[96:97], -v[98:99]
	v_mul_f64_e32 v[98:99], v[90:91], v[106:107]
	v_add_f64_e32 v[4:5], v[4:5], v[138:139]
	v_add_f64_e32 v[100:101], v[132:133], v[142:143]
	v_fmac_f64_e32 v[134:135], v[90:91], v[104:105]
	s_wait_loadcnt_dscnt 0x800
	v_mul_f64_e32 v[102:103], v[120:121], v[12:13]
	v_mul_f64_e32 v[12:13], v[122:123], v[12:13]
	v_fma_f64 v[104:105], v[88:89], v[104:105], -v[98:99]
	v_add_f64_e32 v[4:5], v[4:5], v[96:97]
	v_add_f64_e32 v[100:101], v[100:101], v[136:137]
	ds_load_b128 v[88:91], v2 offset:928
	ds_load_b128 v[96:99], v2 offset:944
	v_fmac_f64_e32 v[102:103], v[122:123], v[10:11]
	v_fma_f64 v[10:11], v[120:121], v[10:11], -v[12:13]
	s_wait_loadcnt_dscnt 0x701
	v_mul_f64_e32 v[106:107], v[88:89], v[8:9]
	v_mul_f64_e32 v[8:9], v[90:91], v[8:9]
	v_add_f64_e32 v[4:5], v[4:5], v[104:105]
	v_add_f64_e32 v[12:13], v[100:101], v[134:135]
	s_wait_loadcnt_dscnt 0x600
	v_mul_f64_e32 v[100:101], v[96:97], v[110:111]
	v_mul_f64_e32 v[104:105], v[98:99], v[110:111]
	v_fmac_f64_e32 v[106:107], v[90:91], v[6:7]
	v_fma_f64 v[88:89], v[88:89], v[6:7], -v[8:9]
	v_add_f64_e32 v[90:91], v[4:5], v[10:11]
	v_add_f64_e32 v[12:13], v[12:13], v[102:103]
	ds_load_b128 v[4:7], v2 offset:960
	ds_load_b128 v[8:11], v2 offset:976
	v_fmac_f64_e32 v[100:101], v[98:99], v[108:109]
	v_fma_f64 v[96:97], v[96:97], v[108:109], -v[104:105]
	s_wait_loadcnt_dscnt 0x501
	v_mul_f64_e32 v[102:103], v[4:5], v[82:83]
	v_mul_f64_e32 v[82:83], v[6:7], v[82:83]
	v_add_f64_e32 v[88:89], v[90:91], v[88:89]
	v_add_f64_e32 v[12:13], v[12:13], v[106:107]
	s_delay_alu instid0(VALU_DEP_4) | instskip(NEXT) | instid1(VALU_DEP_4)
	v_fmac_f64_e32 v[102:103], v[6:7], v[80:81]
	v_fma_f64 v[98:99], v[4:5], v[80:81], -v[82:83]
	s_wait_loadcnt_dscnt 0x400
	v_mul_f64_e32 v[90:91], v[8:9], v[94:95]
	v_mul_f64_e32 v[94:95], v[10:11], v[94:95]
	ds_load_b128 v[4:7], v2 offset:992
	ds_load_b128 v[80:83], v2 offset:1008
	v_add_f64_e32 v[88:89], v[88:89], v[96:97]
	v_add_f64_e32 v[12:13], v[12:13], v[100:101]
	v_lshl_add_u64 v[100:101], v[22:23], 4, s[4:5]
	v_lshl_add_u64 v[22:23], v[62:63], 4, s[4:5]
	s_wait_loadcnt_dscnt 0x301
	v_mul_f64_e32 v[96:97], v[4:5], v[86:87]
	v_mul_f64_e32 v[86:87], v[6:7], v[86:87]
	v_fmac_f64_e32 v[90:91], v[10:11], v[92:93]
	v_fma_f64 v[8:9], v[8:9], v[92:93], -v[94:95]
	v_lshl_add_u64 v[94:95], v[28:29], 4, s[4:5]
	v_lshl_add_u64 v[28:29], v[56:57], 4, s[4:5]
	v_add_f64_e32 v[10:11], v[88:89], v[98:99]
	v_add_f64_e32 v[12:13], v[12:13], v[102:103]
	v_lshl_add_u64 v[102:103], v[18:19], 4, s[4:5]
	v_lshl_add_u64 v[98:99], v[24:25], 4, s[4:5]
	;; [unrolled: 1-line block ×4, first 2 shown]
	v_fmac_f64_e32 v[96:97], v[6:7], v[84:85]
	v_fma_f64 v[84:85], v[4:5], v[84:85], -v[86:87]
	s_wait_loadcnt_dscnt 0x200
	v_mul_f64_e32 v[88:89], v[80:81], v[114:115]
	v_mul_f64_e32 v[92:93], v[82:83], v[114:115]
	v_add_f64_e32 v[86:87], v[10:11], v[8:9]
	v_add_f64_e32 v[12:13], v[12:13], v[90:91]
	ds_load_b128 v[4:7], v2 offset:1024
	ds_load_b128 v[8:11], v2 offset:1040
	s_wait_loadcnt_dscnt 0x101
	v_mul_f64_e32 v[2:3], v[4:5], v[130:131]
	v_mul_f64_e32 v[90:91], v[6:7], v[130:131]
	v_fmac_f64_e32 v[88:89], v[82:83], v[112:113]
	v_fma_f64 v[80:81], v[80:81], v[112:113], -v[92:93]
	v_lshl_add_u64 v[92:93], v[30:31], 4, s[4:5]
	v_lshl_add_u64 v[30:31], v[54:55], 4, s[4:5]
	v_add_f64_e32 v[82:83], v[86:87], v[84:85]
	v_add_f64_e32 v[12:13], v[12:13], v[96:97]
	s_wait_loadcnt_dscnt 0x0
	v_mul_f64_e32 v[84:85], v[8:9], v[118:119]
	v_mul_f64_e32 v[86:87], v[10:11], v[118:119]
	v_lshl_add_u64 v[96:97], v[26:27], 4, s[4:5]
	v_lshl_add_u64 v[26:27], v[58:59], 4, s[4:5]
	v_fmac_f64_e32 v[2:3], v[6:7], v[128:129]
	v_fma_f64 v[4:5], v[4:5], v[128:129], -v[90:91]
	v_lshl_add_u64 v[90:91], v[20:21], 4, s[4:5]
	v_lshl_add_u64 v[20:21], v[64:65], 4, s[4:5]
	v_add_f64_e32 v[6:7], v[82:83], v[80:81]
	v_add_f64_e32 v[12:13], v[12:13], v[88:89]
	v_fmac_f64_e32 v[84:85], v[10:11], v[116:117]
	v_fma_f64 v[8:9], v[8:9], v[116:117], -v[86:87]
	v_lshl_add_u64 v[88:89], v[32:33], 4, s[4:5]
	v_lshl_add_u64 v[86:87], v[34:35], 4, s[4:5]
	;; [unrolled: 1-line block ×9, first 2 shown]
	v_add_f64_e32 v[4:5], v[6:7], v[4:5]
	v_add_f64_e32 v[2:3], v[12:13], v[2:3]
	v_lshl_add_u64 v[12:13], v[68:69], 4, s[4:5]
	v_lshl_add_u64 v[6:7], v[74:75], 4, s[4:5]
	s_delay_alu instid0(VALU_DEP_4) | instskip(NEXT) | instid1(VALU_DEP_4)
	v_add_f64_e32 v[4:5], v[4:5], v[8:9]
	v_add_f64_e32 v[2:3], v[2:3], v[84:85]
	v_lshl_add_u64 v[84:85], v[36:37], 4, s[4:5]
	v_lshl_add_u64 v[36:37], v[48:49], 4, s[4:5]
	v_lshl_add_u64 v[8:9], v[72:73], 4, s[4:5]
	v_add_f64_e64 v[104:105], v[124:125], -v[4:5]
	v_add_f64_e64 v[106:107], v[126:127], -v[2:3]
	v_lshl_add_u64 v[4:5], v[76:77], 4, s[4:5]
	v_lshl_add_u64 v[2:3], v[78:79], 4, s[4:5]
	scratch_store_b128 off, v[104:107], off
	s_cbranch_vccz .LBB96_276
; %bb.212:
	v_mov_b32_e32 v44, 0
	s_load_b64 s[2:3], s[0:1], 0x4
	v_bfe_u32 v46, v0, 10, 10
	v_bfe_u32 v0, v0, 20, 10
	global_load_b32 v45, v44, s[8:9] offset:124
	s_wait_kmcnt 0x0
	s_lshr_b32 s0, s2, 16
	v_mul_u32_u24_e32 v46, s3, v46
	s_mul_i32 s0, s0, s3
	s_delay_alu instid0(SALU_CYCLE_1) | instskip(NEXT) | instid1(VALU_DEP_1)
	v_mul_u32_u24_e32 v1, s0, v1
	v_add3_u32 v0, v1, v46, v0
	s_delay_alu instid0(VALU_DEP_1)
	v_lshl_add_u32 v0, v0, 4, 0x428
	s_wait_loadcnt 0x0
	v_cmp_ne_u32_e32 vcc_lo, 32, v45
	s_cbranch_vccz .LBB96_214
; %bb.213:
	v_lshlrev_b32_e32 v1, 4, v45
	s_clause 0x1
	scratch_load_b128 v[46:49], off, s15
	scratch_load_b128 v[50:53], v1, off offset:-16
	s_wait_loadcnt 0x1
	ds_store_2addr_b64 v0, v[46:47], v[48:49] offset1:1
	s_wait_loadcnt 0x0
	s_clause 0x1
	scratch_store_b128 off, v[50:53], s15
	scratch_store_b128 v1, v[46:49], off offset:-16
.LBB96_214:
	global_load_b32 v1, v44, s[8:9] offset:120
	s_wait_loadcnt 0x0
	v_cmp_eq_u32_e32 vcc_lo, 31, v1
	s_cbranch_vccnz .LBB96_216
; %bb.215:
	v_lshlrev_b32_e32 v1, 4, v1
	s_clause 0x1
	scratch_load_b128 v[44:47], off, s17
	scratch_load_b128 v[48:51], v1, off offset:-16
	s_wait_loadcnt 0x1
	ds_store_2addr_b64 v0, v[44:45], v[46:47] offset1:1
	s_wait_loadcnt 0x0
	s_clause 0x1
	scratch_store_b128 off, v[48:51], s17
	scratch_store_b128 v1, v[44:47], off offset:-16
.LBB96_216:
	s_wait_xcnt 0x0
	v_mov_b32_e32 v1, 0
	global_load_b32 v44, v1, s[8:9] offset:116
	s_wait_loadcnt 0x0
	v_cmp_eq_u32_e32 vcc_lo, 30, v44
	s_cbranch_vccnz .LBB96_218
; %bb.217:
	v_lshlrev_b32_e32 v44, 4, v44
	s_delay_alu instid0(VALU_DEP_1)
	v_mov_b32_e32 v52, v44
	s_clause 0x1
	scratch_load_b128 v[44:47], off, s19
	scratch_load_b128 v[48:51], v52, off offset:-16
	s_wait_loadcnt 0x1
	ds_store_2addr_b64 v0, v[44:45], v[46:47] offset1:1
	s_wait_loadcnt 0x0
	s_clause 0x1
	scratch_store_b128 off, v[48:51], s19
	scratch_store_b128 v52, v[44:47], off offset:-16
.LBB96_218:
	global_load_b32 v1, v1, s[8:9] offset:112
	s_wait_loadcnt 0x0
	v_cmp_eq_u32_e32 vcc_lo, 29, v1
	s_cbranch_vccnz .LBB96_220
; %bb.219:
	s_wait_xcnt 0x0
	v_lshlrev_b32_e32 v1, 4, v1
	s_clause 0x1
	scratch_load_b128 v[44:47], off, s20
	scratch_load_b128 v[48:51], v1, off offset:-16
	s_wait_loadcnt 0x1
	ds_store_2addr_b64 v0, v[44:45], v[46:47] offset1:1
	s_wait_loadcnt 0x0
	s_clause 0x1
	scratch_store_b128 off, v[48:51], s20
	scratch_store_b128 v1, v[44:47], off offset:-16
.LBB96_220:
	s_wait_xcnt 0x0
	v_mov_b32_e32 v1, 0
	global_load_b32 v44, v1, s[8:9] offset:108
	s_wait_loadcnt 0x0
	v_cmp_eq_u32_e32 vcc_lo, 28, v44
	s_cbranch_vccnz .LBB96_222
; %bb.221:
	v_lshlrev_b32_e32 v44, 4, v44
	s_delay_alu instid0(VALU_DEP_1)
	v_mov_b32_e32 v52, v44
	s_clause 0x1
	scratch_load_b128 v[44:47], off, s21
	scratch_load_b128 v[48:51], v52, off offset:-16
	s_wait_loadcnt 0x1
	ds_store_2addr_b64 v0, v[44:45], v[46:47] offset1:1
	s_wait_loadcnt 0x0
	s_clause 0x1
	scratch_store_b128 off, v[48:51], s21
	scratch_store_b128 v52, v[44:47], off offset:-16
.LBB96_222:
	global_load_b32 v1, v1, s[8:9] offset:104
	s_wait_loadcnt 0x0
	v_cmp_eq_u32_e32 vcc_lo, 27, v1
	s_cbranch_vccnz .LBB96_224
; %bb.223:
	s_wait_xcnt 0x0
	v_lshlrev_b32_e32 v1, 4, v1
	s_clause 0x1
	scratch_load_b128 v[44:47], off, s22
	scratch_load_b128 v[48:51], v1, off offset:-16
	s_wait_loadcnt 0x1
	ds_store_2addr_b64 v0, v[44:45], v[46:47] offset1:1
	s_wait_loadcnt 0x0
	s_clause 0x1
	scratch_store_b128 off, v[48:51], s22
	scratch_store_b128 v1, v[44:47], off offset:-16
.LBB96_224:
	;; [unrolled: 37-line block ×14, first 2 shown]
	s_wait_xcnt 0x0
	v_mov_b32_e32 v1, 0
	global_load_b32 v44, v1, s[8:9] offset:4
	s_wait_loadcnt 0x0
	v_cmp_eq_u32_e32 vcc_lo, 2, v44
	s_cbranch_vccnz .LBB96_274
; %bb.273:
	v_lshlrev_b32_e32 v44, 4, v44
	s_delay_alu instid0(VALU_DEP_1)
	v_mov_b32_e32 v52, v44
	s_clause 0x1
	scratch_load_b128 v[44:47], off, s18
	scratch_load_b128 v[48:51], v52, off offset:-16
	s_wait_loadcnt 0x1
	ds_store_2addr_b64 v0, v[44:45], v[46:47] offset1:1
	s_wait_loadcnt 0x0
	s_clause 0x1
	scratch_store_b128 off, v[48:51], s18
	scratch_store_b128 v52, v[44:47], off offset:-16
.LBB96_274:
	global_load_b32 v1, v1, s[8:9]
	s_wait_loadcnt 0x0
	v_cmp_eq_u32_e32 vcc_lo, 1, v1
	s_cbranch_vccnz .LBB96_276
; %bb.275:
	s_wait_xcnt 0x0
	v_lshlrev_b32_e32 v1, 4, v1
	scratch_load_b128 v[44:47], off, off
	scratch_load_b128 v[48:51], v1, off offset:-16
	s_wait_loadcnt 0x1
	ds_store_2addr_b64 v0, v[44:45], v[46:47] offset1:1
	s_wait_loadcnt 0x0
	scratch_store_b128 off, v[48:51], off
	scratch_store_b128 v1, v[44:47], off offset:-16
.LBB96_276:
	scratch_load_b128 v[44:47], off, off
	s_wait_loadcnt 0x0
	flat_store_b128 v[14:15], v[44:47]
	scratch_load_b128 v[44:47], off, s18
	s_wait_loadcnt 0x0
	flat_store_b128 v[16:17], v[44:47]
	scratch_load_b128 v[14:17], off, s16
	;; [unrolled: 3-line block ×32, first 2 shown]
	s_wait_loadcnt 0x0
	flat_store_b128 v[2:3], v[4:7]
	s_sendmsg sendmsg(MSG_DEALLOC_VGPRS)
	s_endpgm
	.section	.rodata,"a",@progbits
	.p2align	6, 0x0
	.amdhsa_kernel _ZN9rocsolver6v33100L18getri_kernel_smallILi33E19rocblas_complex_numIdEPKPS3_EEvT1_iilPiilS8_bb
		.amdhsa_group_segment_fixed_size 2088
		.amdhsa_private_segment_fixed_size 544
		.amdhsa_kernarg_size 60
		.amdhsa_user_sgpr_count 4
		.amdhsa_user_sgpr_dispatch_ptr 1
		.amdhsa_user_sgpr_queue_ptr 0
		.amdhsa_user_sgpr_kernarg_segment_ptr 1
		.amdhsa_user_sgpr_dispatch_id 0
		.amdhsa_user_sgpr_kernarg_preload_length 0
		.amdhsa_user_sgpr_kernarg_preload_offset 0
		.amdhsa_user_sgpr_private_segment_size 0
		.amdhsa_wavefront_size32 1
		.amdhsa_uses_dynamic_stack 0
		.amdhsa_enable_private_segment 1
		.amdhsa_system_sgpr_workgroup_id_x 1
		.amdhsa_system_sgpr_workgroup_id_y 0
		.amdhsa_system_sgpr_workgroup_id_z 0
		.amdhsa_system_sgpr_workgroup_info 0
		.amdhsa_system_vgpr_workitem_id 2
		.amdhsa_next_free_vgpr 148
		.amdhsa_next_free_sgpr 60
		.amdhsa_named_barrier_count 0
		.amdhsa_reserve_vcc 1
		.amdhsa_float_round_mode_32 0
		.amdhsa_float_round_mode_16_64 0
		.amdhsa_float_denorm_mode_32 3
		.amdhsa_float_denorm_mode_16_64 3
		.amdhsa_fp16_overflow 0
		.amdhsa_memory_ordered 1
		.amdhsa_forward_progress 1
		.amdhsa_inst_pref_size 255
		.amdhsa_round_robin_scheduling 0
		.amdhsa_exception_fp_ieee_invalid_op 0
		.amdhsa_exception_fp_denorm_src 0
		.amdhsa_exception_fp_ieee_div_zero 0
		.amdhsa_exception_fp_ieee_overflow 0
		.amdhsa_exception_fp_ieee_underflow 0
		.amdhsa_exception_fp_ieee_inexact 0
		.amdhsa_exception_int_div_zero 0
	.end_amdhsa_kernel
	.section	.text._ZN9rocsolver6v33100L18getri_kernel_smallILi33E19rocblas_complex_numIdEPKPS3_EEvT1_iilPiilS8_bb,"axG",@progbits,_ZN9rocsolver6v33100L18getri_kernel_smallILi33E19rocblas_complex_numIdEPKPS3_EEvT1_iilPiilS8_bb,comdat
.Lfunc_end96:
	.size	_ZN9rocsolver6v33100L18getri_kernel_smallILi33E19rocblas_complex_numIdEPKPS3_EEvT1_iilPiilS8_bb, .Lfunc_end96-_ZN9rocsolver6v33100L18getri_kernel_smallILi33E19rocblas_complex_numIdEPKPS3_EEvT1_iilPiilS8_bb
                                        ; -- End function
	.set _ZN9rocsolver6v33100L18getri_kernel_smallILi33E19rocblas_complex_numIdEPKPS3_EEvT1_iilPiilS8_bb.num_vgpr, 148
	.set _ZN9rocsolver6v33100L18getri_kernel_smallILi33E19rocblas_complex_numIdEPKPS3_EEvT1_iilPiilS8_bb.num_agpr, 0
	.set _ZN9rocsolver6v33100L18getri_kernel_smallILi33E19rocblas_complex_numIdEPKPS3_EEvT1_iilPiilS8_bb.numbered_sgpr, 60
	.set _ZN9rocsolver6v33100L18getri_kernel_smallILi33E19rocblas_complex_numIdEPKPS3_EEvT1_iilPiilS8_bb.num_named_barrier, 0
	.set _ZN9rocsolver6v33100L18getri_kernel_smallILi33E19rocblas_complex_numIdEPKPS3_EEvT1_iilPiilS8_bb.private_seg_size, 544
	.set _ZN9rocsolver6v33100L18getri_kernel_smallILi33E19rocblas_complex_numIdEPKPS3_EEvT1_iilPiilS8_bb.uses_vcc, 1
	.set _ZN9rocsolver6v33100L18getri_kernel_smallILi33E19rocblas_complex_numIdEPKPS3_EEvT1_iilPiilS8_bb.uses_flat_scratch, 1
	.set _ZN9rocsolver6v33100L18getri_kernel_smallILi33E19rocblas_complex_numIdEPKPS3_EEvT1_iilPiilS8_bb.has_dyn_sized_stack, 0
	.set _ZN9rocsolver6v33100L18getri_kernel_smallILi33E19rocblas_complex_numIdEPKPS3_EEvT1_iilPiilS8_bb.has_recursion, 0
	.set _ZN9rocsolver6v33100L18getri_kernel_smallILi33E19rocblas_complex_numIdEPKPS3_EEvT1_iilPiilS8_bb.has_indirect_call, 0
	.section	.AMDGPU.csdata,"",@progbits
; Kernel info:
; codeLenInByte = 48116
; TotalNumSgprs: 62
; NumVgprs: 148
; ScratchSize: 544
; MemoryBound: 0
; FloatMode: 240
; IeeeMode: 1
; LDSByteSize: 2088 bytes/workgroup (compile time only)
; SGPRBlocks: 0
; VGPRBlocks: 9
; NumSGPRsForWavesPerEU: 62
; NumVGPRsForWavesPerEU: 148
; NamedBarCnt: 0
; Occupancy: 6
; WaveLimiterHint : 1
; COMPUTE_PGM_RSRC2:SCRATCH_EN: 1
; COMPUTE_PGM_RSRC2:USER_SGPR: 4
; COMPUTE_PGM_RSRC2:TRAP_HANDLER: 0
; COMPUTE_PGM_RSRC2:TGID_X_EN: 1
; COMPUTE_PGM_RSRC2:TGID_Y_EN: 0
; COMPUTE_PGM_RSRC2:TGID_Z_EN: 0
; COMPUTE_PGM_RSRC2:TIDIG_COMP_CNT: 2
	.section	.text._ZN9rocsolver6v33100L18getri_kernel_smallILi34E19rocblas_complex_numIdEPKPS3_EEvT1_iilPiilS8_bb,"axG",@progbits,_ZN9rocsolver6v33100L18getri_kernel_smallILi34E19rocblas_complex_numIdEPKPS3_EEvT1_iilPiilS8_bb,comdat
	.globl	_ZN9rocsolver6v33100L18getri_kernel_smallILi34E19rocblas_complex_numIdEPKPS3_EEvT1_iilPiilS8_bb ; -- Begin function _ZN9rocsolver6v33100L18getri_kernel_smallILi34E19rocblas_complex_numIdEPKPS3_EEvT1_iilPiilS8_bb
	.p2align	8
	.type	_ZN9rocsolver6v33100L18getri_kernel_smallILi34E19rocblas_complex_numIdEPKPS3_EEvT1_iilPiilS8_bb,@function
_ZN9rocsolver6v33100L18getri_kernel_smallILi34E19rocblas_complex_numIdEPKPS3_EEvT1_iilPiilS8_bb: ; @_ZN9rocsolver6v33100L18getri_kernel_smallILi34E19rocblas_complex_numIdEPKPS3_EEvT1_iilPiilS8_bb
; %bb.0:
	v_and_b32_e32 v1, 0x3ff, v0
	s_mov_b32 s4, exec_lo
	s_delay_alu instid0(VALU_DEP_1)
	v_cmpx_gt_u32_e32 34, v1
	s_cbranch_execz .LBB97_150
; %bb.1:
	s_clause 0x1
	s_load_b32 s16, s[2:3], 0x38
	s_load_b64 s[8:9], s[2:3], 0x0
	s_getreg_b32 s6, hwreg(HW_REG_IB_STS2, 6, 4)
	s_wait_kmcnt 0x0
	s_bitcmp1_b32 s16, 8
	s_cselect_b32 s46, -1, 0
	s_bfe_u32 s4, ttmp6, 0x4000c
	s_and_b32 s5, ttmp6, 15
	s_add_co_i32 s4, s4, 1
	s_delay_alu instid0(SALU_CYCLE_1) | instskip(NEXT) | instid1(SALU_CYCLE_1)
	s_mul_i32 s4, ttmp9, s4
	s_add_co_i32 s5, s5, s4
	s_cmp_eq_u32 s6, 0
	s_cselect_b32 s10, ttmp9, s5
	s_load_b128 s[4:7], s[2:3], 0x28
	s_ashr_i32 s11, s10, 31
	s_delay_alu instid0(SALU_CYCLE_1) | instskip(NEXT) | instid1(SALU_CYCLE_1)
	s_lshl_b64 s[12:13], s[10:11], 3
	s_add_nc_u64 s[8:9], s[8:9], s[12:13]
	s_load_b64 s[14:15], s[8:9], 0x0
	s_wait_xcnt 0x0
	s_bfe_u32 s8, s16, 0x10008
	s_delay_alu instid0(SALU_CYCLE_1)
	s_cmp_eq_u32 s8, 0
                                        ; implicit-def: $sgpr8_sgpr9
	s_cbranch_scc1 .LBB97_3
; %bb.2:
	s_load_b96 s[16:18], s[2:3], 0x18
	s_wait_kmcnt 0x0
	s_mul_u64 s[4:5], s[4:5], s[10:11]
	s_delay_alu instid0(SALU_CYCLE_1) | instskip(SKIP_4) | instid1(SALU_CYCLE_1)
	s_lshl_b64 s[4:5], s[4:5], 2
	s_ashr_i32 s9, s18, 31
	s_mov_b32 s8, s18
	s_add_nc_u64 s[4:5], s[16:17], s[4:5]
	s_lshl_b64 s[8:9], s[8:9], 2
	s_add_nc_u64 s[8:9], s[4:5], s[8:9]
.LBB97_3:
	s_clause 0x1
	s_load_b64 s[12:13], s[2:3], 0x8
	s_load_b32 s47, s[2:3], 0x38
	v_dual_mov_b32 v83, 0 :: v_dual_lshlrev_b32 v82, 4, v1
	s_movk_i32 s48, 0x150
	s_movk_i32 s49, 0x160
	s_movk_i32 s50, 0x170
	s_movk_i32 s51, 0x180
	s_movk_i32 s52, 0x190
	s_movk_i32 s53, 0x1a0
	s_movk_i32 s54, 0x1b0
	s_movk_i32 s55, 0x1c0
	s_movk_i32 s56, 0x1d0
	s_movk_i32 s57, 0x1e0
	s_movk_i32 s58, 0x1f0
	s_movk_i32 s59, 0x200
	s_movk_i32 s60, 0x210
	s_mov_b32 s18, 16
	s_mov_b32 s16, 32
	s_movk_i32 s45, 0x50
	s_wait_kmcnt 0x0
	s_ashr_i32 s3, s12, 31
	s_mov_b32 s2, s12
	v_add3_u32 v18, s13, s13, v1
	s_lshl_b64 s[2:3], s[2:3], 4
	s_mov_b32 s12, 64
	s_add_nc_u64 s[4:5], s[14:15], s[2:3]
	s_ashr_i32 s3, s13, 31
	flat_load_b128 v[2:5], v1, s[4:5] scale_offset
	v_add_nc_u64_e32 v[14:15], s[4:5], v[82:83]
	s_mov_b32 s2, s13
	v_add_nc_u32_e32 v22, s13, v18
	s_mov_b32 s14, 48
	s_movk_i32 s44, 0x60
	s_movk_i32 s43, 0x70
	;; [unrolled: 1-line block ×3, first 2 shown]
	v_lshl_add_u64 v[16:17], s[2:3], 4, v[14:15]
	v_add_nc_u32_e32 v20, s13, v22
	s_movk_i32 s41, 0x90
	s_movk_i32 s40, 0xa0
	s_movk_i32 s39, 0xb0
	s_movk_i32 s38, 0xc0
	v_add_nc_u32_e32 v24, s13, v20
	s_movk_i32 s37, 0xd0
	s_movk_i32 s36, 0xe0
	s_movk_i32 s35, 0xf0
	s_movk_i32 s34, 0x100
	;; [unrolled: 5-line block ×3, first 2 shown]
	v_add_nc_u32_e32 v28, s13, v26
	s_mov_b32 s28, s48
	s_mov_b32 s27, s49
	s_mov_b32 s26, s50
	s_mov_b32 s25, s51
	v_add_nc_u32_e32 v30, s13, v28
	s_mov_b32 s24, s52
	s_mov_b32 s23, s53
	s_mov_b32 s22, s54
	s_mov_b32 s21, s55
	;; [unrolled: 5-line block ×3, first 2 shown]
	v_add_nc_u32_e32 v34, s13, v32
	s_bitcmp0_b32 s47, 0
	s_mov_b32 s3, -1
	s_delay_alu instid0(VALU_DEP_1) | instskip(NEXT) | instid1(VALU_DEP_1)
	v_add_nc_u32_e32 v36, s13, v34
	v_add_nc_u32_e32 v38, s13, v36
	s_delay_alu instid0(VALU_DEP_1) | instskip(NEXT) | instid1(VALU_DEP_1)
	v_add_nc_u32_e32 v40, s13, v38
	v_add_nc_u32_e32 v42, s13, v40
	;; [unrolled: 3-line block ×11, first 2 shown]
	s_delay_alu instid0(VALU_DEP_1)
	v_add_nc_u32_e32 v80, s13, v78
	s_mov_b32 s13, s60
	s_wait_loadcnt_dscnt 0x0
	scratch_store_b128 off, v[2:5], off
	flat_load_b128 v[2:5], v[16:17]
	s_wait_loadcnt_dscnt 0x0
	scratch_store_b128 off, v[2:5], off offset:16
	flat_load_b128 v[2:5], v18, s[4:5] scale_offset
	s_wait_loadcnt_dscnt 0x0
	scratch_store_b128 off, v[2:5], off offset:32
	flat_load_b128 v[2:5], v22, s[4:5] scale_offset
	s_wait_loadcnt_dscnt 0x0
	scratch_store_b128 off, v[2:5], off offset:48
	flat_load_b128 v[2:5], v20, s[4:5] scale_offset
	s_wait_loadcnt_dscnt 0x0
	scratch_store_b128 off, v[2:5], off offset:64
	flat_load_b128 v[2:5], v24, s[4:5] scale_offset
	s_wait_loadcnt_dscnt 0x0
	scratch_store_b128 off, v[2:5], off offset:80
	flat_load_b128 v[2:5], v26, s[4:5] scale_offset
	s_wait_loadcnt_dscnt 0x0
	scratch_store_b128 off, v[2:5], off offset:96
	flat_load_b128 v[2:5], v28, s[4:5] scale_offset
	s_wait_loadcnt_dscnt 0x0
	scratch_store_b128 off, v[2:5], off offset:112
	flat_load_b128 v[2:5], v30, s[4:5] scale_offset
	s_wait_loadcnt_dscnt 0x0
	scratch_store_b128 off, v[2:5], off offset:128
	flat_load_b128 v[2:5], v32, s[4:5] scale_offset
	s_wait_loadcnt_dscnt 0x0
	scratch_store_b128 off, v[2:5], off offset:144
	flat_load_b128 v[2:5], v34, s[4:5] scale_offset
	s_wait_loadcnt_dscnt 0x0
	scratch_store_b128 off, v[2:5], off offset:160
	flat_load_b128 v[2:5], v36, s[4:5] scale_offset
	s_wait_loadcnt_dscnt 0x0
	scratch_store_b128 off, v[2:5], off offset:176
	flat_load_b128 v[2:5], v38, s[4:5] scale_offset
	s_wait_loadcnt_dscnt 0x0
	scratch_store_b128 off, v[2:5], off offset:192
	flat_load_b128 v[2:5], v40, s[4:5] scale_offset
	s_wait_loadcnt_dscnt 0x0
	scratch_store_b128 off, v[2:5], off offset:208
	flat_load_b128 v[2:5], v42, s[4:5] scale_offset
	s_wait_loadcnt_dscnt 0x0
	scratch_store_b128 off, v[2:5], off offset:224
	flat_load_b128 v[2:5], v44, s[4:5] scale_offset
	s_wait_loadcnt_dscnt 0x0
	scratch_store_b128 off, v[2:5], off offset:240
	flat_load_b128 v[2:5], v46, s[4:5] scale_offset
	s_wait_loadcnt_dscnt 0x0
	scratch_store_b128 off, v[2:5], off offset:256
	flat_load_b128 v[2:5], v48, s[4:5] scale_offset
	s_wait_loadcnt_dscnt 0x0
	scratch_store_b128 off, v[2:5], off offset:272
	flat_load_b128 v[2:5], v50, s[4:5] scale_offset
	s_wait_loadcnt_dscnt 0x0
	scratch_store_b128 off, v[2:5], off offset:288
	flat_load_b128 v[2:5], v52, s[4:5] scale_offset
	s_wait_loadcnt_dscnt 0x0
	scratch_store_b128 off, v[2:5], off offset:304
	flat_load_b128 v[2:5], v54, s[4:5] scale_offset
	s_wait_loadcnt_dscnt 0x0
	scratch_store_b128 off, v[2:5], off offset:320
	flat_load_b128 v[2:5], v56, s[4:5] scale_offset
	s_wait_loadcnt_dscnt 0x0
	scratch_store_b128 off, v[2:5], off offset:336
	flat_load_b128 v[2:5], v58, s[4:5] scale_offset
	s_wait_loadcnt_dscnt 0x0
	scratch_store_b128 off, v[2:5], off offset:352
	flat_load_b128 v[2:5], v60, s[4:5] scale_offset
	s_wait_loadcnt_dscnt 0x0
	scratch_store_b128 off, v[2:5], off offset:368
	flat_load_b128 v[2:5], v62, s[4:5] scale_offset
	s_wait_loadcnt_dscnt 0x0
	scratch_store_b128 off, v[2:5], off offset:384
	flat_load_b128 v[2:5], v64, s[4:5] scale_offset
	s_wait_loadcnt_dscnt 0x0
	scratch_store_b128 off, v[2:5], off offset:400
	flat_load_b128 v[2:5], v66, s[4:5] scale_offset
	s_wait_loadcnt_dscnt 0x0
	scratch_store_b128 off, v[2:5], off offset:416
	flat_load_b128 v[2:5], v68, s[4:5] scale_offset
	s_wait_loadcnt_dscnt 0x0
	scratch_store_b128 off, v[2:5], off offset:432
	flat_load_b128 v[2:5], v70, s[4:5] scale_offset
	s_wait_loadcnt_dscnt 0x0
	scratch_store_b128 off, v[2:5], off offset:448
	flat_load_b128 v[2:5], v72, s[4:5] scale_offset
	s_wait_loadcnt_dscnt 0x0
	scratch_store_b128 off, v[2:5], off offset:464
	flat_load_b128 v[2:5], v74, s[4:5] scale_offset
	s_wait_loadcnt_dscnt 0x0
	scratch_store_b128 off, v[2:5], off offset:480
	flat_load_b128 v[2:5], v76, s[4:5] scale_offset
	s_wait_loadcnt_dscnt 0x0
	scratch_store_b128 off, v[2:5], off offset:496
	flat_load_b128 v[2:5], v78, s[4:5] scale_offset
	s_wait_loadcnt_dscnt 0x0
	scratch_store_b128 off, v[2:5], off offset:512
	flat_load_b128 v[2:5], v80, s[4:5] scale_offset
	s_wait_loadcnt_dscnt 0x0
	scratch_store_b128 off, v[2:5], off offset:528
	s_cbranch_scc1 .LBB97_148
; %bb.4:
	v_cmp_eq_u32_e64 s2, 0, v1
	s_wait_xcnt 0x0
	s_and_saveexec_b32 s3, s2
; %bb.5:
	v_mov_b32_e32 v2, 0
	ds_store_b32 v2, v2 offset:1088
; %bb.6:
	s_or_b32 exec_lo, exec_lo, s3
	s_wait_storecnt_dscnt 0x0
	s_barrier_signal -1
	s_barrier_wait -1
	scratch_load_b128 v[2:5], v1, off scale_offset
	s_wait_loadcnt 0x0
	v_cmp_eq_f64_e32 vcc_lo, 0, v[2:3]
	v_cmp_eq_f64_e64 s3, 0, v[4:5]
	s_and_b32 s3, vcc_lo, s3
	s_delay_alu instid0(SALU_CYCLE_1)
	s_and_saveexec_b32 s47, s3
	s_cbranch_execz .LBB97_10
; %bb.7:
	v_mov_b32_e32 v2, 0
	s_mov_b32 s48, 0
	ds_load_b32 v3, v2 offset:1088
	s_wait_dscnt 0x0
	v_readfirstlane_b32 s3, v3
	v_add_nc_u32_e32 v3, 1, v1
	s_cmp_eq_u32 s3, 0
	s_delay_alu instid0(VALU_DEP_1) | instskip(SKIP_1) | instid1(SALU_CYCLE_1)
	v_cmp_gt_i32_e32 vcc_lo, s3, v3
	s_cselect_b32 s49, -1, 0
	s_or_b32 s49, s49, vcc_lo
	s_delay_alu instid0(SALU_CYCLE_1)
	s_and_b32 exec_lo, exec_lo, s49
	s_cbranch_execz .LBB97_10
; %bb.8:
	v_mov_b32_e32 v4, s3
.LBB97_9:                               ; =>This Inner Loop Header: Depth=1
	ds_cmpstore_rtn_b32 v4, v2, v3, v4 offset:1088
	s_wait_dscnt 0x0
	v_cmp_ne_u32_e32 vcc_lo, 0, v4
	v_cmp_le_i32_e64 s3, v4, v3
	s_and_b32 s3, vcc_lo, s3
	s_delay_alu instid0(SALU_CYCLE_1) | instskip(NEXT) | instid1(SALU_CYCLE_1)
	s_and_b32 s3, exec_lo, s3
	s_or_b32 s48, s3, s48
	s_delay_alu instid0(SALU_CYCLE_1)
	s_and_not1_b32 exec_lo, exec_lo, s48
	s_cbranch_execnz .LBB97_9
.LBB97_10:
	s_or_b32 exec_lo, exec_lo, s47
	v_mov_b32_e32 v2, 0
	s_barrier_signal -1
	s_barrier_wait -1
	ds_load_b32 v3, v2 offset:1088
	s_and_saveexec_b32 s3, s2
	s_cbranch_execz .LBB97_12
; %bb.11:
	s_lshl_b64 s[48:49], s[10:11], 2
	s_delay_alu instid0(SALU_CYCLE_1)
	s_add_nc_u64 s[48:49], s[6:7], s[48:49]
	s_wait_dscnt 0x0
	global_store_b32 v2, v3, s[48:49]
.LBB97_12:
	s_wait_xcnt 0x0
	s_or_b32 exec_lo, exec_lo, s3
	s_wait_dscnt 0x0
	v_cmp_ne_u32_e32 vcc_lo, 0, v3
	s_mov_b32 s3, 0
	s_cbranch_vccnz .LBB97_148
; %bb.13:
	v_lshl_add_u32 v19, v1, 4, 0
                                        ; implicit-def: $vgpr6_vgpr7
                                        ; implicit-def: $vgpr10_vgpr11
	scratch_load_b128 v[2:5], v19, off
	s_wait_loadcnt 0x0
	v_cmp_ngt_f64_e64 s3, |v[2:3]|, |v[4:5]|
	s_wait_xcnt 0x0
	s_and_saveexec_b32 s47, s3
	s_delay_alu instid0(SALU_CYCLE_1)
	s_xor_b32 s3, exec_lo, s47
	s_cbranch_execz .LBB97_15
; %bb.14:
	v_div_scale_f64 v[6:7], null, v[4:5], v[4:5], v[2:3]
	v_div_scale_f64 v[12:13], vcc_lo, v[2:3], v[4:5], v[2:3]
	s_delay_alu instid0(VALU_DEP_2) | instskip(SKIP_1) | instid1(TRANS32_DEP_1)
	v_rcp_f64_e32 v[8:9], v[6:7]
	v_nop
	v_fma_f64 v[10:11], -v[6:7], v[8:9], 1.0
	s_delay_alu instid0(VALU_DEP_1) | instskip(NEXT) | instid1(VALU_DEP_1)
	v_fmac_f64_e32 v[8:9], v[8:9], v[10:11]
	v_fma_f64 v[10:11], -v[6:7], v[8:9], 1.0
	s_delay_alu instid0(VALU_DEP_1) | instskip(NEXT) | instid1(VALU_DEP_1)
	v_fmac_f64_e32 v[8:9], v[8:9], v[10:11]
	v_mul_f64_e32 v[10:11], v[12:13], v[8:9]
	s_delay_alu instid0(VALU_DEP_1) | instskip(NEXT) | instid1(VALU_DEP_1)
	v_fma_f64 v[6:7], -v[6:7], v[10:11], v[12:13]
	v_div_fmas_f64 v[6:7], v[6:7], v[8:9], v[10:11]
	s_delay_alu instid0(VALU_DEP_1) | instskip(NEXT) | instid1(VALU_DEP_1)
	v_div_fixup_f64 v[6:7], v[6:7], v[4:5], v[2:3]
	v_fmac_f64_e32 v[4:5], v[2:3], v[6:7]
	s_delay_alu instid0(VALU_DEP_1) | instskip(SKIP_1) | instid1(VALU_DEP_2)
	v_div_scale_f64 v[2:3], null, v[4:5], v[4:5], 1.0
	v_div_scale_f64 v[12:13], vcc_lo, 1.0, v[4:5], 1.0
	v_rcp_f64_e32 v[8:9], v[2:3]
	v_nop
	s_delay_alu instid0(TRANS32_DEP_1) | instskip(NEXT) | instid1(VALU_DEP_1)
	v_fma_f64 v[10:11], -v[2:3], v[8:9], 1.0
	v_fmac_f64_e32 v[8:9], v[8:9], v[10:11]
	s_delay_alu instid0(VALU_DEP_1) | instskip(NEXT) | instid1(VALU_DEP_1)
	v_fma_f64 v[10:11], -v[2:3], v[8:9], 1.0
	v_fmac_f64_e32 v[8:9], v[8:9], v[10:11]
	s_delay_alu instid0(VALU_DEP_1) | instskip(NEXT) | instid1(VALU_DEP_1)
	v_mul_f64_e32 v[10:11], v[12:13], v[8:9]
	v_fma_f64 v[2:3], -v[2:3], v[10:11], v[12:13]
	s_delay_alu instid0(VALU_DEP_1) | instskip(NEXT) | instid1(VALU_DEP_1)
	v_div_fmas_f64 v[2:3], v[2:3], v[8:9], v[10:11]
	v_div_fixup_f64 v[8:9], v[2:3], v[4:5], 1.0
                                        ; implicit-def: $vgpr2_vgpr3
	s_delay_alu instid0(VALU_DEP_1) | instskip(SKIP_1) | instid1(VALU_DEP_2)
	v_mul_f64_e32 v[6:7], v[6:7], v[8:9]
	v_xor_b32_e32 v9, 0x80000000, v9
	v_xor_b32_e32 v11, 0x80000000, v7
	s_delay_alu instid0(VALU_DEP_3)
	v_mov_b32_e32 v10, v6
.LBB97_15:
	s_and_not1_saveexec_b32 s3, s3
	s_cbranch_execz .LBB97_17
; %bb.16:
	v_div_scale_f64 v[6:7], null, v[2:3], v[2:3], v[4:5]
	v_div_scale_f64 v[12:13], vcc_lo, v[4:5], v[2:3], v[4:5]
	s_delay_alu instid0(VALU_DEP_2) | instskip(SKIP_1) | instid1(TRANS32_DEP_1)
	v_rcp_f64_e32 v[8:9], v[6:7]
	v_nop
	v_fma_f64 v[10:11], -v[6:7], v[8:9], 1.0
	s_delay_alu instid0(VALU_DEP_1) | instskip(NEXT) | instid1(VALU_DEP_1)
	v_fmac_f64_e32 v[8:9], v[8:9], v[10:11]
	v_fma_f64 v[10:11], -v[6:7], v[8:9], 1.0
	s_delay_alu instid0(VALU_DEP_1) | instskip(NEXT) | instid1(VALU_DEP_1)
	v_fmac_f64_e32 v[8:9], v[8:9], v[10:11]
	v_mul_f64_e32 v[10:11], v[12:13], v[8:9]
	s_delay_alu instid0(VALU_DEP_1) | instskip(NEXT) | instid1(VALU_DEP_1)
	v_fma_f64 v[6:7], -v[6:7], v[10:11], v[12:13]
	v_div_fmas_f64 v[6:7], v[6:7], v[8:9], v[10:11]
	s_delay_alu instid0(VALU_DEP_1) | instskip(NEXT) | instid1(VALU_DEP_1)
	v_div_fixup_f64 v[8:9], v[6:7], v[2:3], v[4:5]
	v_fmac_f64_e32 v[2:3], v[4:5], v[8:9]
	s_delay_alu instid0(VALU_DEP_1) | instskip(NEXT) | instid1(VALU_DEP_1)
	v_div_scale_f64 v[4:5], null, v[2:3], v[2:3], 1.0
	v_rcp_f64_e32 v[6:7], v[4:5]
	v_nop
	s_delay_alu instid0(TRANS32_DEP_1) | instskip(NEXT) | instid1(VALU_DEP_1)
	v_fma_f64 v[10:11], -v[4:5], v[6:7], 1.0
	v_fmac_f64_e32 v[6:7], v[6:7], v[10:11]
	s_delay_alu instid0(VALU_DEP_1) | instskip(NEXT) | instid1(VALU_DEP_1)
	v_fma_f64 v[10:11], -v[4:5], v[6:7], 1.0
	v_fmac_f64_e32 v[6:7], v[6:7], v[10:11]
	v_div_scale_f64 v[10:11], vcc_lo, 1.0, v[2:3], 1.0
	s_delay_alu instid0(VALU_DEP_1) | instskip(NEXT) | instid1(VALU_DEP_1)
	v_mul_f64_e32 v[12:13], v[10:11], v[6:7]
	v_fma_f64 v[4:5], -v[4:5], v[12:13], v[10:11]
	s_delay_alu instid0(VALU_DEP_1) | instskip(NEXT) | instid1(VALU_DEP_1)
	v_div_fmas_f64 v[4:5], v[4:5], v[6:7], v[12:13]
	v_div_fixup_f64 v[6:7], v[4:5], v[2:3], 1.0
	s_delay_alu instid0(VALU_DEP_1)
	v_mul_f64_e64 v[8:9], v[8:9], -v[6:7]
	v_xor_b32_e32 v11, 0x80000000, v7
	v_mov_b32_e32 v10, v6
.LBB97_17:
	s_or_b32 exec_lo, exec_lo, s3
	s_clause 0x1
	scratch_store_b128 v19, v[6:9], off
	scratch_load_b128 v[2:5], off, s18
	v_xor_b32_e32 v13, 0x80000000, v9
	v_mov_b32_e32 v12, v8
	s_wait_xcnt 0x1
	v_add_nc_u32_e32 v6, 0x220, v82
	ds_store_b128 v82, v[10:13]
	s_wait_loadcnt 0x0
	ds_store_b128 v82, v[2:5] offset:544
	s_wait_storecnt_dscnt 0x0
	s_barrier_signal -1
	s_barrier_wait -1
	s_wait_xcnt 0x0
	s_and_saveexec_b32 s3, s2
	s_cbranch_execz .LBB97_19
; %bb.18:
	scratch_load_b128 v[2:5], v19, off
	ds_load_b128 v[8:11], v6
	v_mov_b32_e32 v7, 0
	ds_load_b128 v[84:87], v7 offset:16
	s_wait_loadcnt_dscnt 0x1
	v_mul_f64_e32 v[12:13], v[8:9], v[4:5]
	v_mul_f64_e32 v[4:5], v[10:11], v[4:5]
	s_delay_alu instid0(VALU_DEP_2) | instskip(NEXT) | instid1(VALU_DEP_2)
	v_fmac_f64_e32 v[12:13], v[10:11], v[2:3]
	v_fma_f64 v[2:3], v[8:9], v[2:3], -v[4:5]
	s_delay_alu instid0(VALU_DEP_2) | instskip(NEXT) | instid1(VALU_DEP_2)
	v_add_f64_e32 v[8:9], 0, v[12:13]
	v_add_f64_e32 v[2:3], 0, v[2:3]
	s_wait_dscnt 0x0
	s_delay_alu instid0(VALU_DEP_2) | instskip(NEXT) | instid1(VALU_DEP_2)
	v_mul_f64_e32 v[10:11], v[8:9], v[86:87]
	v_mul_f64_e32 v[4:5], v[2:3], v[86:87]
	s_delay_alu instid0(VALU_DEP_2) | instskip(NEXT) | instid1(VALU_DEP_2)
	v_fma_f64 v[2:3], v[2:3], v[84:85], -v[10:11]
	v_fmac_f64_e32 v[4:5], v[8:9], v[84:85]
	scratch_store_b128 off, v[2:5], off offset:16
.LBB97_19:
	s_wait_xcnt 0x0
	s_or_b32 exec_lo, exec_lo, s3
	s_wait_storecnt 0x0
	s_barrier_signal -1
	s_barrier_wait -1
	scratch_load_b128 v[2:5], off, s16
	s_mov_b32 s3, exec_lo
	s_wait_loadcnt 0x0
	ds_store_b128 v6, v[2:5]
	s_wait_dscnt 0x0
	s_barrier_signal -1
	s_barrier_wait -1
	v_cmpx_gt_u32_e32 2, v1
	s_cbranch_execz .LBB97_23
; %bb.20:
	scratch_load_b128 v[2:5], v19, off
	ds_load_b128 v[8:11], v6
	s_wait_loadcnt_dscnt 0x0
	v_mul_f64_e32 v[12:13], v[10:11], v[4:5]
	v_mul_f64_e32 v[84:85], v[8:9], v[4:5]
	s_delay_alu instid0(VALU_DEP_2) | instskip(NEXT) | instid1(VALU_DEP_2)
	v_fma_f64 v[4:5], v[8:9], v[2:3], -v[12:13]
	v_fmac_f64_e32 v[84:85], v[10:11], v[2:3]
	s_delay_alu instid0(VALU_DEP_2) | instskip(NEXT) | instid1(VALU_DEP_2)
	v_add_f64_e32 v[4:5], 0, v[4:5]
	v_add_f64_e32 v[2:3], 0, v[84:85]
	s_and_saveexec_b32 s47, s2
	s_cbranch_execz .LBB97_22
; %bb.21:
	scratch_load_b128 v[8:11], off, off offset:16
	v_mov_b32_e32 v7, 0
	ds_load_b128 v[84:87], v7 offset:560
	s_wait_loadcnt_dscnt 0x0
	v_mul_f64_e32 v[12:13], v[84:85], v[10:11]
	v_mul_f64_e32 v[10:11], v[86:87], v[10:11]
	s_delay_alu instid0(VALU_DEP_2) | instskip(NEXT) | instid1(VALU_DEP_2)
	v_fmac_f64_e32 v[12:13], v[86:87], v[8:9]
	v_fma_f64 v[8:9], v[84:85], v[8:9], -v[10:11]
	s_delay_alu instid0(VALU_DEP_2) | instskip(NEXT) | instid1(VALU_DEP_2)
	v_add_f64_e32 v[2:3], v[2:3], v[12:13]
	v_add_f64_e32 v[4:5], v[4:5], v[8:9]
.LBB97_22:
	s_or_b32 exec_lo, exec_lo, s47
	v_mov_b32_e32 v7, 0
	ds_load_b128 v[8:11], v7 offset:32
	s_wait_dscnt 0x0
	v_mul_f64_e32 v[84:85], v[2:3], v[10:11]
	v_mul_f64_e32 v[12:13], v[4:5], v[10:11]
	s_delay_alu instid0(VALU_DEP_2) | instskip(NEXT) | instid1(VALU_DEP_2)
	v_fma_f64 v[10:11], v[4:5], v[8:9], -v[84:85]
	v_fmac_f64_e32 v[12:13], v[2:3], v[8:9]
	scratch_store_b128 off, v[10:13], off offset:32
.LBB97_23:
	s_wait_xcnt 0x0
	s_or_b32 exec_lo, exec_lo, s3
	s_wait_storecnt 0x0
	s_barrier_signal -1
	s_barrier_wait -1
	scratch_load_b128 v[2:5], off, s14
	v_add_nc_u32_e32 v7, -1, v1
	s_mov_b32 s2, exec_lo
	s_wait_loadcnt 0x0
	ds_store_b128 v6, v[2:5]
	s_wait_dscnt 0x0
	s_barrier_signal -1
	s_barrier_wait -1
	v_cmpx_gt_u32_e32 3, v1
	s_cbranch_execz .LBB97_27
; %bb.24:
	v_dual_mov_b32 v10, v82 :: v_dual_add_nc_u32 v8, -1, v1
	v_mov_b64_e32 v[2:3], 0
	v_mov_b64_e32 v[4:5], 0
	v_add_nc_u32_e32 v9, 0x220, v82
	s_delay_alu instid0(VALU_DEP_4)
	v_or_b32_e32 v10, 8, v10
	s_mov_b32 s3, 0
.LBB97_25:                              ; =>This Inner Loop Header: Depth=1
	scratch_load_b128 v[84:87], v10, off offset:-8
	ds_load_b128 v[88:91], v9
	v_dual_add_nc_u32 v8, 1, v8 :: v_dual_add_nc_u32 v9, 16, v9
	s_wait_xcnt 0x0
	v_add_nc_u32_e32 v10, 16, v10
	s_delay_alu instid0(VALU_DEP_2) | instskip(SKIP_4) | instid1(VALU_DEP_2)
	v_cmp_lt_u32_e32 vcc_lo, 1, v8
	s_or_b32 s3, vcc_lo, s3
	s_wait_loadcnt_dscnt 0x0
	v_mul_f64_e32 v[12:13], v[90:91], v[86:87]
	v_mul_f64_e32 v[86:87], v[88:89], v[86:87]
	v_fma_f64 v[12:13], v[88:89], v[84:85], -v[12:13]
	s_delay_alu instid0(VALU_DEP_2) | instskip(NEXT) | instid1(VALU_DEP_2)
	v_fmac_f64_e32 v[86:87], v[90:91], v[84:85]
	v_add_f64_e32 v[4:5], v[4:5], v[12:13]
	s_delay_alu instid0(VALU_DEP_2)
	v_add_f64_e32 v[2:3], v[2:3], v[86:87]
	s_and_not1_b32 exec_lo, exec_lo, s3
	s_cbranch_execnz .LBB97_25
; %bb.26:
	s_or_b32 exec_lo, exec_lo, s3
	v_mov_b32_e32 v8, 0
	ds_load_b128 v[8:11], v8 offset:48
	s_wait_dscnt 0x0
	v_mul_f64_e32 v[84:85], v[2:3], v[10:11]
	v_mul_f64_e32 v[12:13], v[4:5], v[10:11]
	s_delay_alu instid0(VALU_DEP_2) | instskip(NEXT) | instid1(VALU_DEP_2)
	v_fma_f64 v[10:11], v[4:5], v[8:9], -v[84:85]
	v_fmac_f64_e32 v[12:13], v[2:3], v[8:9]
	scratch_store_b128 off, v[10:13], off offset:48
.LBB97_27:
	s_wait_xcnt 0x0
	s_or_b32 exec_lo, exec_lo, s2
	s_wait_storecnt 0x0
	s_barrier_signal -1
	s_barrier_wait -1
	scratch_load_b128 v[2:5], off, s12
	s_mov_b32 s2, exec_lo
	s_wait_loadcnt 0x0
	ds_store_b128 v6, v[2:5]
	s_wait_dscnt 0x0
	s_barrier_signal -1
	s_barrier_wait -1
	v_cmpx_gt_u32_e32 4, v1
	s_cbranch_execz .LBB97_31
; %bb.28:
	v_dual_mov_b32 v10, v82 :: v_dual_add_nc_u32 v8, -1, v1
	v_mov_b64_e32 v[2:3], 0
	v_mov_b64_e32 v[4:5], 0
	v_add_nc_u32_e32 v9, 0x220, v82
	s_delay_alu instid0(VALU_DEP_4)
	v_or_b32_e32 v10, 8, v10
	s_mov_b32 s3, 0
.LBB97_29:                              ; =>This Inner Loop Header: Depth=1
	scratch_load_b128 v[84:87], v10, off offset:-8
	ds_load_b128 v[88:91], v9
	v_dual_add_nc_u32 v8, 1, v8 :: v_dual_add_nc_u32 v9, 16, v9
	s_wait_xcnt 0x0
	v_add_nc_u32_e32 v10, 16, v10
	s_delay_alu instid0(VALU_DEP_2) | instskip(SKIP_4) | instid1(VALU_DEP_2)
	v_cmp_lt_u32_e32 vcc_lo, 2, v8
	s_or_b32 s3, vcc_lo, s3
	s_wait_loadcnt_dscnt 0x0
	v_mul_f64_e32 v[12:13], v[90:91], v[86:87]
	v_mul_f64_e32 v[86:87], v[88:89], v[86:87]
	v_fma_f64 v[12:13], v[88:89], v[84:85], -v[12:13]
	s_delay_alu instid0(VALU_DEP_2) | instskip(NEXT) | instid1(VALU_DEP_2)
	v_fmac_f64_e32 v[86:87], v[90:91], v[84:85]
	v_add_f64_e32 v[4:5], v[4:5], v[12:13]
	s_delay_alu instid0(VALU_DEP_2)
	v_add_f64_e32 v[2:3], v[2:3], v[86:87]
	s_and_not1_b32 exec_lo, exec_lo, s3
	s_cbranch_execnz .LBB97_29
; %bb.30:
	s_or_b32 exec_lo, exec_lo, s3
	v_mov_b32_e32 v8, 0
	ds_load_b128 v[8:11], v8 offset:64
	s_wait_dscnt 0x0
	v_mul_f64_e32 v[84:85], v[2:3], v[10:11]
	v_mul_f64_e32 v[12:13], v[4:5], v[10:11]
	s_delay_alu instid0(VALU_DEP_2) | instskip(NEXT) | instid1(VALU_DEP_2)
	v_fma_f64 v[10:11], v[4:5], v[8:9], -v[84:85]
	v_fmac_f64_e32 v[12:13], v[2:3], v[8:9]
	scratch_store_b128 off, v[10:13], off offset:64
.LBB97_31:
	s_wait_xcnt 0x0
	s_or_b32 exec_lo, exec_lo, s2
	s_wait_storecnt 0x0
	s_barrier_signal -1
	s_barrier_wait -1
	scratch_load_b128 v[2:5], off, s45
	;; [unrolled: 54-line block ×19, first 2 shown]
	s_mov_b32 s2, exec_lo
	s_wait_loadcnt 0x0
	ds_store_b128 v6, v[2:5]
	s_wait_dscnt 0x0
	s_barrier_signal -1
	s_barrier_wait -1
	v_cmpx_gt_u32_e32 22, v1
	s_cbranch_execz .LBB97_103
; %bb.100:
	v_dual_mov_b32 v10, v82 :: v_dual_add_nc_u32 v8, -1, v1
	v_mov_b64_e32 v[2:3], 0
	v_mov_b64_e32 v[4:5], 0
	v_add_nc_u32_e32 v9, 0x220, v82
	s_delay_alu instid0(VALU_DEP_4)
	v_or_b32_e32 v10, 8, v10
	s_mov_b32 s3, 0
.LBB97_101:                             ; =>This Inner Loop Header: Depth=1
	scratch_load_b128 v[84:87], v10, off offset:-8
	ds_load_b128 v[88:91], v9
	v_dual_add_nc_u32 v8, 1, v8 :: v_dual_add_nc_u32 v9, 16, v9
	s_wait_xcnt 0x0
	v_add_nc_u32_e32 v10, 16, v10
	s_delay_alu instid0(VALU_DEP_2) | instskip(SKIP_4) | instid1(VALU_DEP_2)
	v_cmp_lt_u32_e32 vcc_lo, 20, v8
	s_or_b32 s3, vcc_lo, s3
	s_wait_loadcnt_dscnt 0x0
	v_mul_f64_e32 v[12:13], v[90:91], v[86:87]
	v_mul_f64_e32 v[86:87], v[88:89], v[86:87]
	v_fma_f64 v[12:13], v[88:89], v[84:85], -v[12:13]
	s_delay_alu instid0(VALU_DEP_2) | instskip(NEXT) | instid1(VALU_DEP_2)
	v_fmac_f64_e32 v[86:87], v[90:91], v[84:85]
	v_add_f64_e32 v[4:5], v[4:5], v[12:13]
	s_delay_alu instid0(VALU_DEP_2)
	v_add_f64_e32 v[2:3], v[2:3], v[86:87]
	s_and_not1_b32 exec_lo, exec_lo, s3
	s_cbranch_execnz .LBB97_101
; %bb.102:
	s_or_b32 exec_lo, exec_lo, s3
	v_mov_b32_e32 v8, 0
	ds_load_b128 v[8:11], v8 offset:352
	s_wait_dscnt 0x0
	v_mul_f64_e32 v[84:85], v[2:3], v[10:11]
	v_mul_f64_e32 v[12:13], v[4:5], v[10:11]
	s_delay_alu instid0(VALU_DEP_2) | instskip(NEXT) | instid1(VALU_DEP_2)
	v_fma_f64 v[10:11], v[4:5], v[8:9], -v[84:85]
	v_fmac_f64_e32 v[12:13], v[2:3], v[8:9]
	scratch_store_b128 off, v[10:13], off offset:352
.LBB97_103:
	s_wait_xcnt 0x0
	s_or_b32 exec_lo, exec_lo, s2
	s_wait_storecnt 0x0
	s_barrier_signal -1
	s_barrier_wait -1
	scratch_load_b128 v[2:5], off, s26
	s_mov_b32 s2, exec_lo
	s_wait_loadcnt 0x0
	ds_store_b128 v6, v[2:5]
	s_wait_dscnt 0x0
	s_barrier_signal -1
	s_barrier_wait -1
	v_cmpx_gt_u32_e32 23, v1
	s_cbranch_execz .LBB97_107
; %bb.104:
	v_dual_mov_b32 v10, v82 :: v_dual_add_nc_u32 v8, -1, v1
	v_mov_b64_e32 v[2:3], 0
	v_mov_b64_e32 v[4:5], 0
	v_add_nc_u32_e32 v9, 0x220, v82
	s_delay_alu instid0(VALU_DEP_4)
	v_or_b32_e32 v10, 8, v10
	s_mov_b32 s3, 0
.LBB97_105:                             ; =>This Inner Loop Header: Depth=1
	scratch_load_b128 v[84:87], v10, off offset:-8
	ds_load_b128 v[88:91], v9
	v_dual_add_nc_u32 v8, 1, v8 :: v_dual_add_nc_u32 v9, 16, v9
	s_wait_xcnt 0x0
	v_add_nc_u32_e32 v10, 16, v10
	s_delay_alu instid0(VALU_DEP_2) | instskip(SKIP_4) | instid1(VALU_DEP_2)
	v_cmp_lt_u32_e32 vcc_lo, 21, v8
	s_or_b32 s3, vcc_lo, s3
	s_wait_loadcnt_dscnt 0x0
	v_mul_f64_e32 v[12:13], v[90:91], v[86:87]
	v_mul_f64_e32 v[86:87], v[88:89], v[86:87]
	v_fma_f64 v[12:13], v[88:89], v[84:85], -v[12:13]
	s_delay_alu instid0(VALU_DEP_2) | instskip(NEXT) | instid1(VALU_DEP_2)
	v_fmac_f64_e32 v[86:87], v[90:91], v[84:85]
	v_add_f64_e32 v[4:5], v[4:5], v[12:13]
	s_delay_alu instid0(VALU_DEP_2)
	v_add_f64_e32 v[2:3], v[2:3], v[86:87]
	s_and_not1_b32 exec_lo, exec_lo, s3
	s_cbranch_execnz .LBB97_105
; %bb.106:
	s_or_b32 exec_lo, exec_lo, s3
	v_mov_b32_e32 v8, 0
	ds_load_b128 v[8:11], v8 offset:368
	s_wait_dscnt 0x0
	v_mul_f64_e32 v[84:85], v[2:3], v[10:11]
	v_mul_f64_e32 v[12:13], v[4:5], v[10:11]
	s_delay_alu instid0(VALU_DEP_2) | instskip(NEXT) | instid1(VALU_DEP_2)
	v_fma_f64 v[10:11], v[4:5], v[8:9], -v[84:85]
	v_fmac_f64_e32 v[12:13], v[2:3], v[8:9]
	scratch_store_b128 off, v[10:13], off offset:368
.LBB97_107:
	s_wait_xcnt 0x0
	s_or_b32 exec_lo, exec_lo, s2
	s_wait_storecnt 0x0
	s_barrier_signal -1
	s_barrier_wait -1
	scratch_load_b128 v[2:5], off, s25
	;; [unrolled: 54-line block ×11, first 2 shown]
	s_mov_b32 s2, exec_lo
	s_wait_loadcnt 0x0
	ds_store_b128 v6, v[2:5]
	s_wait_dscnt 0x0
	s_barrier_signal -1
	s_barrier_wait -1
	v_cmpx_ne_u32_e32 33, v1
	s_cbranch_execz .LBB97_147
; %bb.144:
	v_mov_b32_e32 v8, v82
	v_mov_b64_e32 v[2:3], 0
	v_mov_b64_e32 v[4:5], 0
	s_mov_b32 s3, 0
	s_delay_alu instid0(VALU_DEP_3)
	v_or_b32_e32 v8, 8, v8
.LBB97_145:                             ; =>This Inner Loop Header: Depth=1
	scratch_load_b128 v[10:13], v8, off offset:-8
	ds_load_b128 v[82:85], v6
	v_dual_add_nc_u32 v7, 1, v7 :: v_dual_add_nc_u32 v6, 16, v6
	s_wait_xcnt 0x0
	v_add_nc_u32_e32 v8, 16, v8
	s_delay_alu instid0(VALU_DEP_2) | instskip(SKIP_4) | instid1(VALU_DEP_2)
	v_cmp_lt_u32_e32 vcc_lo, 31, v7
	s_or_b32 s3, vcc_lo, s3
	s_wait_loadcnt_dscnt 0x0
	v_mul_f64_e32 v[86:87], v[84:85], v[12:13]
	v_mul_f64_e32 v[12:13], v[82:83], v[12:13]
	v_fma_f64 v[82:83], v[82:83], v[10:11], -v[86:87]
	s_delay_alu instid0(VALU_DEP_2) | instskip(NEXT) | instid1(VALU_DEP_2)
	v_fmac_f64_e32 v[12:13], v[84:85], v[10:11]
	v_add_f64_e32 v[4:5], v[4:5], v[82:83]
	s_delay_alu instid0(VALU_DEP_2)
	v_add_f64_e32 v[2:3], v[2:3], v[12:13]
	s_and_not1_b32 exec_lo, exec_lo, s3
	s_cbranch_execnz .LBB97_145
; %bb.146:
	s_or_b32 exec_lo, exec_lo, s3
	v_mov_b32_e32 v6, 0
	ds_load_b128 v[6:9], v6 offset:528
	s_wait_dscnt 0x0
	v_mul_f64_e32 v[12:13], v[2:3], v[8:9]
	v_mul_f64_e32 v[10:11], v[4:5], v[8:9]
	s_delay_alu instid0(VALU_DEP_2) | instskip(NEXT) | instid1(VALU_DEP_2)
	v_fma_f64 v[8:9], v[4:5], v[6:7], -v[12:13]
	v_fmac_f64_e32 v[10:11], v[2:3], v[6:7]
	scratch_store_b128 off, v[8:11], off offset:528
.LBB97_147:
	s_wait_xcnt 0x0
	s_or_b32 exec_lo, exec_lo, s2
	s_mov_b32 s3, -1
	s_wait_storecnt 0x0
	s_barrier_signal -1
	s_barrier_wait -1
.LBB97_148:
	s_and_b32 vcc_lo, exec_lo, s3
	s_cbranch_vccz .LBB97_150
; %bb.149:
	s_wait_xcnt 0x0
	v_mov_b32_e32 v2, 0
	s_lshl_b64 s[2:3], s[10:11], 2
	s_delay_alu instid0(SALU_CYCLE_1)
	s_add_nc_u64 s[2:3], s[6:7], s[2:3]
	global_load_b32 v2, v2, s[2:3]
	s_wait_loadcnt 0x0
	v_cmp_ne_u32_e32 vcc_lo, 0, v2
	s_cbranch_vccz .LBB97_151
.LBB97_150:
	s_sendmsg sendmsg(MSG_DEALLOC_VGPRS)
	s_endpgm
.LBB97_151:
	v_lshl_add_u32 v6, v1, 4, 0x220
	s_wait_xcnt 0x0
	s_mov_b32 s2, exec_lo
	v_cmpx_eq_u32_e32 33, v1
	s_cbranch_execz .LBB97_153
; %bb.152:
	scratch_load_b128 v[2:5], off, s15
	v_mov_b32_e32 v8, 0
	s_delay_alu instid0(VALU_DEP_1)
	v_dual_mov_b32 v9, v8 :: v_dual_mov_b32 v10, v8
	v_mov_b32_e32 v11, v8
	scratch_store_b128 off, v[8:11], off offset:512
	s_wait_loadcnt 0x0
	ds_store_b128 v6, v[2:5]
.LBB97_153:
	s_wait_xcnt 0x0
	s_or_b32 exec_lo, exec_lo, s2
	s_wait_storecnt_dscnt 0x0
	s_barrier_signal -1
	s_barrier_wait -1
	s_clause 0x1
	scratch_load_b128 v[8:11], off, off offset:528
	scratch_load_b128 v[82:85], off, off offset:512
	v_mov_b32_e32 v2, 0
	s_mov_b32 s2, exec_lo
	ds_load_b128 v[86:89], v2 offset:1072
	s_wait_loadcnt_dscnt 0x100
	v_mul_f64_e32 v[4:5], v[88:89], v[10:11]
	v_mul_f64_e32 v[10:11], v[86:87], v[10:11]
	s_delay_alu instid0(VALU_DEP_2) | instskip(NEXT) | instid1(VALU_DEP_2)
	v_fma_f64 v[4:5], v[86:87], v[8:9], -v[4:5]
	v_fmac_f64_e32 v[10:11], v[88:89], v[8:9]
	s_delay_alu instid0(VALU_DEP_2) | instskip(NEXT) | instid1(VALU_DEP_2)
	v_add_f64_e32 v[4:5], 0, v[4:5]
	v_add_f64_e32 v[10:11], 0, v[10:11]
	s_wait_loadcnt 0x0
	s_delay_alu instid0(VALU_DEP_2) | instskip(NEXT) | instid1(VALU_DEP_2)
	v_add_f64_e64 v[8:9], v[82:83], -v[4:5]
	v_add_f64_e64 v[10:11], v[84:85], -v[10:11]
	scratch_store_b128 off, v[8:11], off offset:512
	s_wait_xcnt 0x0
	v_cmpx_lt_u32_e32 31, v1
	s_cbranch_execz .LBB97_155
; %bb.154:
	scratch_load_b128 v[8:11], off, s17
	v_dual_mov_b32 v3, v2 :: v_dual_mov_b32 v4, v2
	v_mov_b32_e32 v5, v2
	scratch_store_b128 off, v[2:5], off offset:496
	s_wait_loadcnt 0x0
	ds_store_b128 v6, v[8:11]
.LBB97_155:
	s_wait_xcnt 0x0
	s_or_b32 exec_lo, exec_lo, s2
	s_wait_storecnt_dscnt 0x0
	s_barrier_signal -1
	s_barrier_wait -1
	s_clause 0x2
	scratch_load_b128 v[8:11], off, off offset:512
	scratch_load_b128 v[82:85], off, off offset:528
	;; [unrolled: 1-line block ×3, first 2 shown]
	ds_load_b128 v[90:93], v2 offset:1056
	ds_load_b128 v[2:5], v2 offset:1072
	s_mov_b32 s2, exec_lo
	s_wait_loadcnt_dscnt 0x201
	v_mul_f64_e32 v[12:13], v[92:93], v[10:11]
	v_mul_f64_e32 v[10:11], v[90:91], v[10:11]
	s_wait_loadcnt_dscnt 0x100
	v_mul_f64_e32 v[94:95], v[2:3], v[84:85]
	v_mul_f64_e32 v[84:85], v[4:5], v[84:85]
	s_delay_alu instid0(VALU_DEP_4) | instskip(NEXT) | instid1(VALU_DEP_4)
	v_fma_f64 v[12:13], v[90:91], v[8:9], -v[12:13]
	v_fmac_f64_e32 v[10:11], v[92:93], v[8:9]
	s_delay_alu instid0(VALU_DEP_4) | instskip(NEXT) | instid1(VALU_DEP_4)
	v_fmac_f64_e32 v[94:95], v[4:5], v[82:83]
	v_fma_f64 v[2:3], v[2:3], v[82:83], -v[84:85]
	s_delay_alu instid0(VALU_DEP_4) | instskip(NEXT) | instid1(VALU_DEP_4)
	v_add_f64_e32 v[4:5], 0, v[12:13]
	v_add_f64_e32 v[8:9], 0, v[10:11]
	s_delay_alu instid0(VALU_DEP_2) | instskip(NEXT) | instid1(VALU_DEP_2)
	v_add_f64_e32 v[2:3], v[4:5], v[2:3]
	v_add_f64_e32 v[4:5], v[8:9], v[94:95]
	s_wait_loadcnt 0x0
	s_delay_alu instid0(VALU_DEP_2) | instskip(NEXT) | instid1(VALU_DEP_2)
	v_add_f64_e64 v[2:3], v[86:87], -v[2:3]
	v_add_f64_e64 v[4:5], v[88:89], -v[4:5]
	scratch_store_b128 off, v[2:5], off offset:496
	s_wait_xcnt 0x0
	v_cmpx_lt_u32_e32 30, v1
	s_cbranch_execz .LBB97_157
; %bb.156:
	scratch_load_b128 v[2:5], off, s19
	v_mov_b32_e32 v8, 0
	s_delay_alu instid0(VALU_DEP_1)
	v_dual_mov_b32 v9, v8 :: v_dual_mov_b32 v10, v8
	v_mov_b32_e32 v11, v8
	scratch_store_b128 off, v[8:11], off offset:480
	s_wait_loadcnt 0x0
	ds_store_b128 v6, v[2:5]
.LBB97_157:
	s_wait_xcnt 0x0
	s_or_b32 exec_lo, exec_lo, s2
	s_wait_storecnt_dscnt 0x0
	s_barrier_signal -1
	s_barrier_wait -1
	s_clause 0x3
	scratch_load_b128 v[8:11], off, off offset:496
	scratch_load_b128 v[82:85], off, off offset:512
	;; [unrolled: 1-line block ×4, first 2 shown]
	v_mov_b32_e32 v2, 0
	ds_load_b128 v[94:97], v2 offset:1040
	ds_load_b128 v[98:101], v2 offset:1056
	s_mov_b32 s2, exec_lo
	s_wait_loadcnt_dscnt 0x301
	v_mul_f64_e32 v[4:5], v[96:97], v[10:11]
	v_mul_f64_e32 v[12:13], v[94:95], v[10:11]
	s_wait_loadcnt_dscnt 0x200
	v_mul_f64_e32 v[102:103], v[98:99], v[84:85]
	v_mul_f64_e32 v[84:85], v[100:101], v[84:85]
	s_delay_alu instid0(VALU_DEP_4) | instskip(NEXT) | instid1(VALU_DEP_4)
	v_fma_f64 v[4:5], v[94:95], v[8:9], -v[4:5]
	v_fmac_f64_e32 v[12:13], v[96:97], v[8:9]
	ds_load_b128 v[8:11], v2 offset:1072
	v_fmac_f64_e32 v[102:103], v[100:101], v[82:83]
	v_fma_f64 v[82:83], v[98:99], v[82:83], -v[84:85]
	s_wait_loadcnt_dscnt 0x100
	v_mul_f64_e32 v[94:95], v[8:9], v[88:89]
	v_mul_f64_e32 v[88:89], v[10:11], v[88:89]
	v_add_f64_e32 v[4:5], 0, v[4:5]
	v_add_f64_e32 v[12:13], 0, v[12:13]
	s_delay_alu instid0(VALU_DEP_4) | instskip(NEXT) | instid1(VALU_DEP_4)
	v_fmac_f64_e32 v[94:95], v[10:11], v[86:87]
	v_fma_f64 v[8:9], v[8:9], v[86:87], -v[88:89]
	s_delay_alu instid0(VALU_DEP_4) | instskip(NEXT) | instid1(VALU_DEP_4)
	v_add_f64_e32 v[4:5], v[4:5], v[82:83]
	v_add_f64_e32 v[10:11], v[12:13], v[102:103]
	s_delay_alu instid0(VALU_DEP_2) | instskip(NEXT) | instid1(VALU_DEP_2)
	v_add_f64_e32 v[4:5], v[4:5], v[8:9]
	v_add_f64_e32 v[10:11], v[10:11], v[94:95]
	s_wait_loadcnt 0x0
	s_delay_alu instid0(VALU_DEP_2) | instskip(NEXT) | instid1(VALU_DEP_2)
	v_add_f64_e64 v[8:9], v[90:91], -v[4:5]
	v_add_f64_e64 v[10:11], v[92:93], -v[10:11]
	scratch_store_b128 off, v[8:11], off offset:480
	s_wait_xcnt 0x0
	v_cmpx_lt_u32_e32 29, v1
	s_cbranch_execz .LBB97_159
; %bb.158:
	scratch_load_b128 v[8:11], off, s20
	v_dual_mov_b32 v3, v2 :: v_dual_mov_b32 v4, v2
	v_mov_b32_e32 v5, v2
	scratch_store_b128 off, v[2:5], off offset:464
	s_wait_loadcnt 0x0
	ds_store_b128 v6, v[8:11]
.LBB97_159:
	s_wait_xcnt 0x0
	s_or_b32 exec_lo, exec_lo, s2
	s_wait_storecnt_dscnt 0x0
	s_barrier_signal -1
	s_barrier_wait -1
	s_clause 0x4
	scratch_load_b128 v[8:11], off, off offset:480
	scratch_load_b128 v[82:85], off, off offset:496
	;; [unrolled: 1-line block ×5, first 2 shown]
	ds_load_b128 v[98:101], v2 offset:1024
	ds_load_b128 v[102:105], v2 offset:1040
	s_mov_b32 s2, exec_lo
	s_wait_loadcnt_dscnt 0x401
	v_mul_f64_e32 v[4:5], v[100:101], v[10:11]
	v_mul_f64_e32 v[12:13], v[98:99], v[10:11]
	s_wait_loadcnt_dscnt 0x300
	v_mul_f64_e32 v[106:107], v[102:103], v[84:85]
	v_mul_f64_e32 v[84:85], v[104:105], v[84:85]
	s_delay_alu instid0(VALU_DEP_4) | instskip(NEXT) | instid1(VALU_DEP_4)
	v_fma_f64 v[98:99], v[98:99], v[8:9], -v[4:5]
	v_fmac_f64_e32 v[12:13], v[100:101], v[8:9]
	ds_load_b128 v[8:11], v2 offset:1056
	ds_load_b128 v[2:5], v2 offset:1072
	v_fmac_f64_e32 v[106:107], v[104:105], v[82:83]
	v_fma_f64 v[82:83], v[102:103], v[82:83], -v[84:85]
	s_wait_loadcnt_dscnt 0x201
	v_mul_f64_e32 v[100:101], v[8:9], v[88:89]
	v_mul_f64_e32 v[88:89], v[10:11], v[88:89]
	v_add_f64_e32 v[84:85], 0, v[98:99]
	v_add_f64_e32 v[12:13], 0, v[12:13]
	s_wait_loadcnt_dscnt 0x100
	v_mul_f64_e32 v[98:99], v[2:3], v[92:93]
	v_mul_f64_e32 v[92:93], v[4:5], v[92:93]
	v_fmac_f64_e32 v[100:101], v[10:11], v[86:87]
	v_fma_f64 v[8:9], v[8:9], v[86:87], -v[88:89]
	v_add_f64_e32 v[10:11], v[84:85], v[82:83]
	v_add_f64_e32 v[12:13], v[12:13], v[106:107]
	v_fmac_f64_e32 v[98:99], v[4:5], v[90:91]
	v_fma_f64 v[2:3], v[2:3], v[90:91], -v[92:93]
	s_delay_alu instid0(VALU_DEP_4) | instskip(NEXT) | instid1(VALU_DEP_4)
	v_add_f64_e32 v[4:5], v[10:11], v[8:9]
	v_add_f64_e32 v[8:9], v[12:13], v[100:101]
	s_delay_alu instid0(VALU_DEP_2) | instskip(NEXT) | instid1(VALU_DEP_2)
	v_add_f64_e32 v[2:3], v[4:5], v[2:3]
	v_add_f64_e32 v[4:5], v[8:9], v[98:99]
	s_wait_loadcnt 0x0
	s_delay_alu instid0(VALU_DEP_2) | instskip(NEXT) | instid1(VALU_DEP_2)
	v_add_f64_e64 v[2:3], v[94:95], -v[2:3]
	v_add_f64_e64 v[4:5], v[96:97], -v[4:5]
	scratch_store_b128 off, v[2:5], off offset:464
	s_wait_xcnt 0x0
	v_cmpx_lt_u32_e32 28, v1
	s_cbranch_execz .LBB97_161
; %bb.160:
	scratch_load_b128 v[2:5], off, s21
	v_mov_b32_e32 v8, 0
	s_delay_alu instid0(VALU_DEP_1)
	v_dual_mov_b32 v9, v8 :: v_dual_mov_b32 v10, v8
	v_mov_b32_e32 v11, v8
	scratch_store_b128 off, v[8:11], off offset:448
	s_wait_loadcnt 0x0
	ds_store_b128 v6, v[2:5]
.LBB97_161:
	s_wait_xcnt 0x0
	s_or_b32 exec_lo, exec_lo, s2
	s_wait_storecnt_dscnt 0x0
	s_barrier_signal -1
	s_barrier_wait -1
	s_clause 0x5
	scratch_load_b128 v[8:11], off, off offset:464
	scratch_load_b128 v[82:85], off, off offset:480
	;; [unrolled: 1-line block ×6, first 2 shown]
	v_mov_b32_e32 v2, 0
	ds_load_b128 v[102:105], v2 offset:1008
	ds_load_b128 v[106:109], v2 offset:1024
	s_mov_b32 s2, exec_lo
	s_wait_loadcnt_dscnt 0x501
	v_mul_f64_e32 v[4:5], v[104:105], v[10:11]
	v_mul_f64_e32 v[12:13], v[102:103], v[10:11]
	s_wait_loadcnt_dscnt 0x400
	v_mul_f64_e32 v[110:111], v[106:107], v[84:85]
	v_mul_f64_e32 v[84:85], v[108:109], v[84:85]
	s_delay_alu instid0(VALU_DEP_4) | instskip(NEXT) | instid1(VALU_DEP_4)
	v_fma_f64 v[4:5], v[102:103], v[8:9], -v[4:5]
	v_fmac_f64_e32 v[12:13], v[104:105], v[8:9]
	ds_load_b128 v[8:11], v2 offset:1040
	ds_load_b128 v[102:105], v2 offset:1056
	v_fmac_f64_e32 v[110:111], v[108:109], v[82:83]
	v_fma_f64 v[82:83], v[106:107], v[82:83], -v[84:85]
	s_wait_loadcnt_dscnt 0x301
	v_mul_f64_e32 v[112:113], v[8:9], v[88:89]
	v_mul_f64_e32 v[88:89], v[10:11], v[88:89]
	s_wait_loadcnt_dscnt 0x200
	v_mul_f64_e32 v[84:85], v[102:103], v[92:93]
	v_mul_f64_e32 v[92:93], v[104:105], v[92:93]
	v_add_f64_e32 v[4:5], 0, v[4:5]
	v_add_f64_e32 v[12:13], 0, v[12:13]
	v_fmac_f64_e32 v[112:113], v[10:11], v[86:87]
	v_fma_f64 v[86:87], v[8:9], v[86:87], -v[88:89]
	ds_load_b128 v[8:11], v2 offset:1072
	v_fmac_f64_e32 v[84:85], v[104:105], v[90:91]
	v_fma_f64 v[90:91], v[102:103], v[90:91], -v[92:93]
	v_add_f64_e32 v[4:5], v[4:5], v[82:83]
	v_add_f64_e32 v[12:13], v[12:13], v[110:111]
	s_wait_loadcnt_dscnt 0x100
	v_mul_f64_e32 v[82:83], v[8:9], v[96:97]
	v_mul_f64_e32 v[88:89], v[10:11], v[96:97]
	s_delay_alu instid0(VALU_DEP_4) | instskip(NEXT) | instid1(VALU_DEP_4)
	v_add_f64_e32 v[4:5], v[4:5], v[86:87]
	v_add_f64_e32 v[12:13], v[12:13], v[112:113]
	s_delay_alu instid0(VALU_DEP_4) | instskip(NEXT) | instid1(VALU_DEP_4)
	v_fmac_f64_e32 v[82:83], v[10:11], v[94:95]
	v_fma_f64 v[8:9], v[8:9], v[94:95], -v[88:89]
	s_delay_alu instid0(VALU_DEP_4) | instskip(NEXT) | instid1(VALU_DEP_4)
	v_add_f64_e32 v[4:5], v[4:5], v[90:91]
	v_add_f64_e32 v[10:11], v[12:13], v[84:85]
	s_delay_alu instid0(VALU_DEP_2) | instskip(NEXT) | instid1(VALU_DEP_2)
	v_add_f64_e32 v[4:5], v[4:5], v[8:9]
	v_add_f64_e32 v[10:11], v[10:11], v[82:83]
	s_wait_loadcnt 0x0
	s_delay_alu instid0(VALU_DEP_2) | instskip(NEXT) | instid1(VALU_DEP_2)
	v_add_f64_e64 v[8:9], v[98:99], -v[4:5]
	v_add_f64_e64 v[10:11], v[100:101], -v[10:11]
	scratch_store_b128 off, v[8:11], off offset:448
	s_wait_xcnt 0x0
	v_cmpx_lt_u32_e32 27, v1
	s_cbranch_execz .LBB97_163
; %bb.162:
	scratch_load_b128 v[8:11], off, s22
	v_dual_mov_b32 v3, v2 :: v_dual_mov_b32 v4, v2
	v_mov_b32_e32 v5, v2
	scratch_store_b128 off, v[2:5], off offset:432
	s_wait_loadcnt 0x0
	ds_store_b128 v6, v[8:11]
.LBB97_163:
	s_wait_xcnt 0x0
	s_or_b32 exec_lo, exec_lo, s2
	s_wait_storecnt_dscnt 0x0
	s_barrier_signal -1
	s_barrier_wait -1
	s_clause 0x6
	scratch_load_b128 v[8:11], off, off offset:448
	scratch_load_b128 v[82:85], off, off offset:464
	;; [unrolled: 1-line block ×7, first 2 shown]
	ds_load_b128 v[106:109], v2 offset:992
	ds_load_b128 v[110:113], v2 offset:1008
	s_mov_b32 s2, exec_lo
	s_wait_loadcnt_dscnt 0x601
	v_mul_f64_e32 v[4:5], v[108:109], v[10:11]
	v_mul_f64_e32 v[12:13], v[106:107], v[10:11]
	s_wait_loadcnt_dscnt 0x500
	v_mul_f64_e32 v[114:115], v[110:111], v[84:85]
	v_mul_f64_e32 v[84:85], v[112:113], v[84:85]
	s_delay_alu instid0(VALU_DEP_4) | instskip(NEXT) | instid1(VALU_DEP_4)
	v_fma_f64 v[4:5], v[106:107], v[8:9], -v[4:5]
	v_fmac_f64_e32 v[12:13], v[108:109], v[8:9]
	ds_load_b128 v[8:11], v2 offset:1024
	ds_load_b128 v[106:109], v2 offset:1040
	v_fmac_f64_e32 v[114:115], v[112:113], v[82:83]
	v_fma_f64 v[82:83], v[110:111], v[82:83], -v[84:85]
	s_wait_loadcnt_dscnt 0x401
	v_mul_f64_e32 v[116:117], v[8:9], v[88:89]
	v_mul_f64_e32 v[88:89], v[10:11], v[88:89]
	s_wait_loadcnt_dscnt 0x300
	v_mul_f64_e32 v[84:85], v[106:107], v[92:93]
	v_mul_f64_e32 v[92:93], v[108:109], v[92:93]
	v_add_f64_e32 v[4:5], 0, v[4:5]
	v_add_f64_e32 v[12:13], 0, v[12:13]
	v_fmac_f64_e32 v[116:117], v[10:11], v[86:87]
	v_fma_f64 v[86:87], v[8:9], v[86:87], -v[88:89]
	v_fmac_f64_e32 v[84:85], v[108:109], v[90:91]
	v_fma_f64 v[90:91], v[106:107], v[90:91], -v[92:93]
	v_add_f64_e32 v[82:83], v[4:5], v[82:83]
	v_add_f64_e32 v[12:13], v[12:13], v[114:115]
	ds_load_b128 v[8:11], v2 offset:1056
	ds_load_b128 v[2:5], v2 offset:1072
	s_wait_loadcnt_dscnt 0x201
	v_mul_f64_e32 v[88:89], v[8:9], v[96:97]
	v_mul_f64_e32 v[96:97], v[10:11], v[96:97]
	s_wait_loadcnt_dscnt 0x100
	v_mul_f64_e32 v[92:93], v[4:5], v[100:101]
	v_add_f64_e32 v[82:83], v[82:83], v[86:87]
	v_add_f64_e32 v[12:13], v[12:13], v[116:117]
	v_mul_f64_e32 v[86:87], v[2:3], v[100:101]
	v_fmac_f64_e32 v[88:89], v[10:11], v[94:95]
	v_fma_f64 v[8:9], v[8:9], v[94:95], -v[96:97]
	v_fma_f64 v[2:3], v[2:3], v[98:99], -v[92:93]
	v_add_f64_e32 v[10:11], v[82:83], v[90:91]
	v_add_f64_e32 v[12:13], v[12:13], v[84:85]
	v_fmac_f64_e32 v[86:87], v[4:5], v[98:99]
	s_delay_alu instid0(VALU_DEP_3) | instskip(NEXT) | instid1(VALU_DEP_3)
	v_add_f64_e32 v[4:5], v[10:11], v[8:9]
	v_add_f64_e32 v[8:9], v[12:13], v[88:89]
	s_delay_alu instid0(VALU_DEP_2) | instskip(NEXT) | instid1(VALU_DEP_2)
	v_add_f64_e32 v[2:3], v[4:5], v[2:3]
	v_add_f64_e32 v[4:5], v[8:9], v[86:87]
	s_wait_loadcnt 0x0
	s_delay_alu instid0(VALU_DEP_2) | instskip(NEXT) | instid1(VALU_DEP_2)
	v_add_f64_e64 v[2:3], v[102:103], -v[2:3]
	v_add_f64_e64 v[4:5], v[104:105], -v[4:5]
	scratch_store_b128 off, v[2:5], off offset:432
	s_wait_xcnt 0x0
	v_cmpx_lt_u32_e32 26, v1
	s_cbranch_execz .LBB97_165
; %bb.164:
	scratch_load_b128 v[2:5], off, s23
	v_mov_b32_e32 v8, 0
	s_delay_alu instid0(VALU_DEP_1)
	v_dual_mov_b32 v9, v8 :: v_dual_mov_b32 v10, v8
	v_mov_b32_e32 v11, v8
	scratch_store_b128 off, v[8:11], off offset:416
	s_wait_loadcnt 0x0
	ds_store_b128 v6, v[2:5]
.LBB97_165:
	s_wait_xcnt 0x0
	s_or_b32 exec_lo, exec_lo, s2
	s_wait_storecnt_dscnt 0x0
	s_barrier_signal -1
	s_barrier_wait -1
	s_clause 0x7
	scratch_load_b128 v[8:11], off, off offset:432
	scratch_load_b128 v[82:85], off, off offset:448
	scratch_load_b128 v[86:89], off, off offset:464
	scratch_load_b128 v[90:93], off, off offset:480
	scratch_load_b128 v[94:97], off, off offset:496
	scratch_load_b128 v[98:101], off, off offset:512
	scratch_load_b128 v[102:105], off, off offset:528
	scratch_load_b128 v[106:109], off, off offset:416
	v_mov_b32_e32 v2, 0
	ds_load_b128 v[110:113], v2 offset:976
	ds_load_b128 v[114:117], v2 offset:992
	s_mov_b32 s2, exec_lo
	s_wait_loadcnt_dscnt 0x701
	v_mul_f64_e32 v[4:5], v[112:113], v[10:11]
	v_mul_f64_e32 v[12:13], v[110:111], v[10:11]
	s_wait_loadcnt_dscnt 0x600
	v_mul_f64_e32 v[118:119], v[114:115], v[84:85]
	v_mul_f64_e32 v[84:85], v[116:117], v[84:85]
	s_delay_alu instid0(VALU_DEP_4) | instskip(NEXT) | instid1(VALU_DEP_4)
	v_fma_f64 v[4:5], v[110:111], v[8:9], -v[4:5]
	v_fmac_f64_e32 v[12:13], v[112:113], v[8:9]
	ds_load_b128 v[8:11], v2 offset:1008
	ds_load_b128 v[110:113], v2 offset:1024
	v_fmac_f64_e32 v[118:119], v[116:117], v[82:83]
	v_fma_f64 v[82:83], v[114:115], v[82:83], -v[84:85]
	s_wait_loadcnt_dscnt 0x501
	v_mul_f64_e32 v[120:121], v[8:9], v[88:89]
	v_mul_f64_e32 v[88:89], v[10:11], v[88:89]
	s_wait_loadcnt_dscnt 0x400
	v_mul_f64_e32 v[114:115], v[110:111], v[92:93]
	v_mul_f64_e32 v[92:93], v[112:113], v[92:93]
	v_add_f64_e32 v[4:5], 0, v[4:5]
	v_add_f64_e32 v[12:13], 0, v[12:13]
	v_fmac_f64_e32 v[120:121], v[10:11], v[86:87]
	v_fma_f64 v[86:87], v[8:9], v[86:87], -v[88:89]
	v_fmac_f64_e32 v[114:115], v[112:113], v[90:91]
	v_fma_f64 v[90:91], v[110:111], v[90:91], -v[92:93]
	v_add_f64_e32 v[4:5], v[4:5], v[82:83]
	v_add_f64_e32 v[12:13], v[12:13], v[118:119]
	ds_load_b128 v[8:11], v2 offset:1040
	ds_load_b128 v[82:85], v2 offset:1056
	s_wait_loadcnt_dscnt 0x301
	v_mul_f64_e32 v[88:89], v[8:9], v[96:97]
	v_mul_f64_e32 v[96:97], v[10:11], v[96:97]
	s_wait_loadcnt_dscnt 0x200
	v_mul_f64_e32 v[92:93], v[84:85], v[100:101]
	v_add_f64_e32 v[4:5], v[4:5], v[86:87]
	v_add_f64_e32 v[12:13], v[12:13], v[120:121]
	v_mul_f64_e32 v[86:87], v[82:83], v[100:101]
	v_fmac_f64_e32 v[88:89], v[10:11], v[94:95]
	v_fma_f64 v[94:95], v[8:9], v[94:95], -v[96:97]
	ds_load_b128 v[8:11], v2 offset:1072
	v_fma_f64 v[82:83], v[82:83], v[98:99], -v[92:93]
	v_add_f64_e32 v[4:5], v[4:5], v[90:91]
	v_add_f64_e32 v[12:13], v[12:13], v[114:115]
	v_fmac_f64_e32 v[86:87], v[84:85], v[98:99]
	s_wait_loadcnt_dscnt 0x100
	v_mul_f64_e32 v[90:91], v[8:9], v[104:105]
	v_mul_f64_e32 v[96:97], v[10:11], v[104:105]
	v_add_f64_e32 v[4:5], v[4:5], v[94:95]
	v_add_f64_e32 v[12:13], v[12:13], v[88:89]
	s_delay_alu instid0(VALU_DEP_4) | instskip(NEXT) | instid1(VALU_DEP_4)
	v_fmac_f64_e32 v[90:91], v[10:11], v[102:103]
	v_fma_f64 v[8:9], v[8:9], v[102:103], -v[96:97]
	s_delay_alu instid0(VALU_DEP_4) | instskip(NEXT) | instid1(VALU_DEP_4)
	v_add_f64_e32 v[4:5], v[4:5], v[82:83]
	v_add_f64_e32 v[10:11], v[12:13], v[86:87]
	s_delay_alu instid0(VALU_DEP_2) | instskip(NEXT) | instid1(VALU_DEP_2)
	v_add_f64_e32 v[4:5], v[4:5], v[8:9]
	v_add_f64_e32 v[10:11], v[10:11], v[90:91]
	s_wait_loadcnt 0x0
	s_delay_alu instid0(VALU_DEP_2) | instskip(NEXT) | instid1(VALU_DEP_2)
	v_add_f64_e64 v[8:9], v[106:107], -v[4:5]
	v_add_f64_e64 v[10:11], v[108:109], -v[10:11]
	scratch_store_b128 off, v[8:11], off offset:416
	s_wait_xcnt 0x0
	v_cmpx_lt_u32_e32 25, v1
	s_cbranch_execz .LBB97_167
; %bb.166:
	scratch_load_b128 v[8:11], off, s24
	v_dual_mov_b32 v3, v2 :: v_dual_mov_b32 v4, v2
	v_mov_b32_e32 v5, v2
	scratch_store_b128 off, v[2:5], off offset:400
	s_wait_loadcnt 0x0
	ds_store_b128 v6, v[8:11]
.LBB97_167:
	s_wait_xcnt 0x0
	s_or_b32 exec_lo, exec_lo, s2
	s_wait_storecnt_dscnt 0x0
	s_barrier_signal -1
	s_barrier_wait -1
	s_clause 0x7
	scratch_load_b128 v[8:11], off, off offset:416
	scratch_load_b128 v[82:85], off, off offset:432
	;; [unrolled: 1-line block ×8, first 2 shown]
	ds_load_b128 v[110:113], v2 offset:960
	ds_load_b128 v[114:117], v2 offset:976
	scratch_load_b128 v[118:121], off, off offset:400
	s_mov_b32 s2, exec_lo
	s_wait_loadcnt_dscnt 0x801
	v_mul_f64_e32 v[4:5], v[112:113], v[10:11]
	v_mul_f64_e32 v[12:13], v[110:111], v[10:11]
	s_wait_loadcnt_dscnt 0x700
	v_mul_f64_e32 v[122:123], v[114:115], v[84:85]
	v_mul_f64_e32 v[84:85], v[116:117], v[84:85]
	s_delay_alu instid0(VALU_DEP_4) | instskip(NEXT) | instid1(VALU_DEP_4)
	v_fma_f64 v[4:5], v[110:111], v[8:9], -v[4:5]
	v_fmac_f64_e32 v[12:13], v[112:113], v[8:9]
	ds_load_b128 v[8:11], v2 offset:992
	ds_load_b128 v[110:113], v2 offset:1008
	v_fmac_f64_e32 v[122:123], v[116:117], v[82:83]
	v_fma_f64 v[82:83], v[114:115], v[82:83], -v[84:85]
	s_wait_loadcnt_dscnt 0x601
	v_mul_f64_e32 v[124:125], v[8:9], v[88:89]
	v_mul_f64_e32 v[88:89], v[10:11], v[88:89]
	s_wait_loadcnt_dscnt 0x500
	v_mul_f64_e32 v[114:115], v[110:111], v[92:93]
	v_mul_f64_e32 v[92:93], v[112:113], v[92:93]
	v_add_f64_e32 v[4:5], 0, v[4:5]
	v_add_f64_e32 v[12:13], 0, v[12:13]
	v_fmac_f64_e32 v[124:125], v[10:11], v[86:87]
	v_fma_f64 v[86:87], v[8:9], v[86:87], -v[88:89]
	v_fmac_f64_e32 v[114:115], v[112:113], v[90:91]
	v_fma_f64 v[90:91], v[110:111], v[90:91], -v[92:93]
	v_add_f64_e32 v[4:5], v[4:5], v[82:83]
	v_add_f64_e32 v[12:13], v[12:13], v[122:123]
	ds_load_b128 v[8:11], v2 offset:1024
	ds_load_b128 v[82:85], v2 offset:1040
	s_wait_loadcnt_dscnt 0x401
	v_mul_f64_e32 v[88:89], v[8:9], v[96:97]
	v_mul_f64_e32 v[96:97], v[10:11], v[96:97]
	s_wait_loadcnt_dscnt 0x300
	v_mul_f64_e32 v[92:93], v[84:85], v[100:101]
	v_add_f64_e32 v[4:5], v[4:5], v[86:87]
	v_add_f64_e32 v[12:13], v[12:13], v[124:125]
	v_mul_f64_e32 v[86:87], v[82:83], v[100:101]
	v_fmac_f64_e32 v[88:89], v[10:11], v[94:95]
	v_fma_f64 v[94:95], v[8:9], v[94:95], -v[96:97]
	v_fma_f64 v[82:83], v[82:83], v[98:99], -v[92:93]
	v_add_f64_e32 v[90:91], v[4:5], v[90:91]
	v_add_f64_e32 v[12:13], v[12:13], v[114:115]
	ds_load_b128 v[8:11], v2 offset:1056
	ds_load_b128 v[2:5], v2 offset:1072
	v_fmac_f64_e32 v[86:87], v[84:85], v[98:99]
	s_wait_loadcnt_dscnt 0x201
	v_mul_f64_e32 v[96:97], v[8:9], v[104:105]
	v_mul_f64_e32 v[100:101], v[10:11], v[104:105]
	v_add_f64_e32 v[84:85], v[90:91], v[94:95]
	v_add_f64_e32 v[12:13], v[12:13], v[88:89]
	s_wait_loadcnt_dscnt 0x100
	v_mul_f64_e32 v[88:89], v[2:3], v[108:109]
	v_mul_f64_e32 v[90:91], v[4:5], v[108:109]
	v_fmac_f64_e32 v[96:97], v[10:11], v[102:103]
	v_fma_f64 v[8:9], v[8:9], v[102:103], -v[100:101]
	v_add_f64_e32 v[10:11], v[84:85], v[82:83]
	v_add_f64_e32 v[12:13], v[12:13], v[86:87]
	v_fmac_f64_e32 v[88:89], v[4:5], v[106:107]
	v_fma_f64 v[2:3], v[2:3], v[106:107], -v[90:91]
	s_delay_alu instid0(VALU_DEP_4) | instskip(NEXT) | instid1(VALU_DEP_4)
	v_add_f64_e32 v[4:5], v[10:11], v[8:9]
	v_add_f64_e32 v[8:9], v[12:13], v[96:97]
	s_delay_alu instid0(VALU_DEP_2) | instskip(NEXT) | instid1(VALU_DEP_2)
	v_add_f64_e32 v[2:3], v[4:5], v[2:3]
	v_add_f64_e32 v[4:5], v[8:9], v[88:89]
	s_wait_loadcnt 0x0
	s_delay_alu instid0(VALU_DEP_2) | instskip(NEXT) | instid1(VALU_DEP_2)
	v_add_f64_e64 v[2:3], v[118:119], -v[2:3]
	v_add_f64_e64 v[4:5], v[120:121], -v[4:5]
	scratch_store_b128 off, v[2:5], off offset:400
	s_wait_xcnt 0x0
	v_cmpx_lt_u32_e32 24, v1
	s_cbranch_execz .LBB97_169
; %bb.168:
	scratch_load_b128 v[2:5], off, s25
	v_mov_b32_e32 v8, 0
	s_delay_alu instid0(VALU_DEP_1)
	v_dual_mov_b32 v9, v8 :: v_dual_mov_b32 v10, v8
	v_mov_b32_e32 v11, v8
	scratch_store_b128 off, v[8:11], off offset:384
	s_wait_loadcnt 0x0
	ds_store_b128 v6, v[2:5]
.LBB97_169:
	s_wait_xcnt 0x0
	s_or_b32 exec_lo, exec_lo, s2
	s_wait_storecnt_dscnt 0x0
	s_barrier_signal -1
	s_barrier_wait -1
	s_clause 0x8
	scratch_load_b128 v[8:11], off, off offset:400
	scratch_load_b128 v[82:85], off, off offset:416
	;; [unrolled: 1-line block ×9, first 2 shown]
	v_mov_b32_e32 v2, 0
	scratch_load_b128 v[118:121], off, off offset:384
	s_mov_b32 s2, exec_lo
	ds_load_b128 v[114:117], v2 offset:944
	ds_load_b128 v[122:125], v2 offset:960
	s_wait_loadcnt_dscnt 0x901
	v_mul_f64_e32 v[4:5], v[116:117], v[10:11]
	v_mul_f64_e32 v[12:13], v[114:115], v[10:11]
	s_wait_loadcnt_dscnt 0x800
	v_mul_f64_e32 v[126:127], v[122:123], v[84:85]
	v_mul_f64_e32 v[84:85], v[124:125], v[84:85]
	s_delay_alu instid0(VALU_DEP_4) | instskip(NEXT) | instid1(VALU_DEP_4)
	v_fma_f64 v[4:5], v[114:115], v[8:9], -v[4:5]
	v_fmac_f64_e32 v[12:13], v[116:117], v[8:9]
	ds_load_b128 v[8:11], v2 offset:976
	ds_load_b128 v[114:117], v2 offset:992
	v_fmac_f64_e32 v[126:127], v[124:125], v[82:83]
	v_fma_f64 v[82:83], v[122:123], v[82:83], -v[84:85]
	s_wait_loadcnt_dscnt 0x701
	v_mul_f64_e32 v[128:129], v[8:9], v[88:89]
	v_mul_f64_e32 v[88:89], v[10:11], v[88:89]
	s_wait_loadcnt_dscnt 0x600
	v_mul_f64_e32 v[122:123], v[114:115], v[92:93]
	v_mul_f64_e32 v[92:93], v[116:117], v[92:93]
	v_add_f64_e32 v[4:5], 0, v[4:5]
	v_add_f64_e32 v[12:13], 0, v[12:13]
	v_fmac_f64_e32 v[128:129], v[10:11], v[86:87]
	v_fma_f64 v[86:87], v[8:9], v[86:87], -v[88:89]
	v_fmac_f64_e32 v[122:123], v[116:117], v[90:91]
	v_fma_f64 v[90:91], v[114:115], v[90:91], -v[92:93]
	v_add_f64_e32 v[4:5], v[4:5], v[82:83]
	v_add_f64_e32 v[12:13], v[12:13], v[126:127]
	ds_load_b128 v[8:11], v2 offset:1008
	ds_load_b128 v[82:85], v2 offset:1024
	s_wait_loadcnt_dscnt 0x501
	v_mul_f64_e32 v[124:125], v[8:9], v[96:97]
	v_mul_f64_e32 v[88:89], v[10:11], v[96:97]
	s_wait_loadcnt_dscnt 0x400
	v_mul_f64_e32 v[92:93], v[82:83], v[100:101]
	v_mul_f64_e32 v[96:97], v[84:85], v[100:101]
	v_add_f64_e32 v[4:5], v[4:5], v[86:87]
	v_add_f64_e32 v[12:13], v[12:13], v[128:129]
	v_fmac_f64_e32 v[124:125], v[10:11], v[94:95]
	v_fma_f64 v[94:95], v[8:9], v[94:95], -v[88:89]
	ds_load_b128 v[8:11], v2 offset:1040
	ds_load_b128 v[86:89], v2 offset:1056
	v_fmac_f64_e32 v[92:93], v[84:85], v[98:99]
	v_fma_f64 v[82:83], v[82:83], v[98:99], -v[96:97]
	v_add_f64_e32 v[4:5], v[4:5], v[90:91]
	v_add_f64_e32 v[12:13], v[12:13], v[122:123]
	s_wait_loadcnt_dscnt 0x301
	v_mul_f64_e32 v[90:91], v[8:9], v[104:105]
	v_mul_f64_e32 v[100:101], v[10:11], v[104:105]
	s_wait_loadcnt_dscnt 0x200
	v_mul_f64_e32 v[84:85], v[86:87], v[108:109]
	v_add_f64_e32 v[4:5], v[4:5], v[94:95]
	v_add_f64_e32 v[12:13], v[12:13], v[124:125]
	v_mul_f64_e32 v[94:95], v[88:89], v[108:109]
	v_fmac_f64_e32 v[90:91], v[10:11], v[102:103]
	v_fma_f64 v[96:97], v[8:9], v[102:103], -v[100:101]
	ds_load_b128 v[8:11], v2 offset:1072
	v_fmac_f64_e32 v[84:85], v[88:89], v[106:107]
	v_add_f64_e32 v[4:5], v[4:5], v[82:83]
	v_add_f64_e32 v[12:13], v[12:13], v[92:93]
	s_wait_loadcnt_dscnt 0x100
	v_mul_f64_e32 v[82:83], v[8:9], v[112:113]
	v_mul_f64_e32 v[92:93], v[10:11], v[112:113]
	v_fma_f64 v[86:87], v[86:87], v[106:107], -v[94:95]
	v_add_f64_e32 v[4:5], v[4:5], v[96:97]
	v_add_f64_e32 v[12:13], v[12:13], v[90:91]
	v_fmac_f64_e32 v[82:83], v[10:11], v[110:111]
	v_fma_f64 v[8:9], v[8:9], v[110:111], -v[92:93]
	s_delay_alu instid0(VALU_DEP_4) | instskip(NEXT) | instid1(VALU_DEP_4)
	v_add_f64_e32 v[4:5], v[4:5], v[86:87]
	v_add_f64_e32 v[10:11], v[12:13], v[84:85]
	s_delay_alu instid0(VALU_DEP_2) | instskip(NEXT) | instid1(VALU_DEP_2)
	v_add_f64_e32 v[4:5], v[4:5], v[8:9]
	v_add_f64_e32 v[10:11], v[10:11], v[82:83]
	s_wait_loadcnt 0x0
	s_delay_alu instid0(VALU_DEP_2) | instskip(NEXT) | instid1(VALU_DEP_2)
	v_add_f64_e64 v[8:9], v[118:119], -v[4:5]
	v_add_f64_e64 v[10:11], v[120:121], -v[10:11]
	scratch_store_b128 off, v[8:11], off offset:384
	s_wait_xcnt 0x0
	v_cmpx_lt_u32_e32 23, v1
	s_cbranch_execz .LBB97_171
; %bb.170:
	scratch_load_b128 v[8:11], off, s26
	v_dual_mov_b32 v3, v2 :: v_dual_mov_b32 v4, v2
	v_mov_b32_e32 v5, v2
	scratch_store_b128 off, v[2:5], off offset:368
	s_wait_loadcnt 0x0
	ds_store_b128 v6, v[8:11]
.LBB97_171:
	s_wait_xcnt 0x0
	s_or_b32 exec_lo, exec_lo, s2
	s_wait_storecnt_dscnt 0x0
	s_barrier_signal -1
	s_barrier_wait -1
	s_clause 0x9
	scratch_load_b128 v[8:11], off, off offset:384
	scratch_load_b128 v[82:85], off, off offset:400
	scratch_load_b128 v[86:89], off, off offset:416
	scratch_load_b128 v[90:93], off, off offset:432
	scratch_load_b128 v[94:97], off, off offset:448
	scratch_load_b128 v[98:101], off, off offset:464
	scratch_load_b128 v[102:105], off, off offset:480
	scratch_load_b128 v[106:109], off, off offset:496
	scratch_load_b128 v[110:113], off, off offset:512
	scratch_load_b128 v[114:117], off, off offset:528
	ds_load_b128 v[118:121], v2 offset:928
	ds_load_b128 v[122:125], v2 offset:944
	scratch_load_b128 v[126:129], off, off offset:368
	s_mov_b32 s2, exec_lo
	s_wait_loadcnt_dscnt 0xa01
	v_mul_f64_e32 v[4:5], v[120:121], v[10:11]
	v_mul_f64_e32 v[12:13], v[118:119], v[10:11]
	s_wait_loadcnt_dscnt 0x900
	v_mul_f64_e32 v[130:131], v[122:123], v[84:85]
	v_mul_f64_e32 v[84:85], v[124:125], v[84:85]
	s_delay_alu instid0(VALU_DEP_4) | instskip(NEXT) | instid1(VALU_DEP_4)
	v_fma_f64 v[4:5], v[118:119], v[8:9], -v[4:5]
	v_fmac_f64_e32 v[12:13], v[120:121], v[8:9]
	ds_load_b128 v[8:11], v2 offset:960
	ds_load_b128 v[118:121], v2 offset:976
	v_fmac_f64_e32 v[130:131], v[124:125], v[82:83]
	v_fma_f64 v[82:83], v[122:123], v[82:83], -v[84:85]
	s_wait_loadcnt_dscnt 0x801
	v_mul_f64_e32 v[132:133], v[8:9], v[88:89]
	v_mul_f64_e32 v[88:89], v[10:11], v[88:89]
	s_wait_loadcnt_dscnt 0x700
	v_mul_f64_e32 v[122:123], v[118:119], v[92:93]
	v_mul_f64_e32 v[92:93], v[120:121], v[92:93]
	v_add_f64_e32 v[4:5], 0, v[4:5]
	v_add_f64_e32 v[12:13], 0, v[12:13]
	v_fmac_f64_e32 v[132:133], v[10:11], v[86:87]
	v_fma_f64 v[86:87], v[8:9], v[86:87], -v[88:89]
	v_fmac_f64_e32 v[122:123], v[120:121], v[90:91]
	v_fma_f64 v[90:91], v[118:119], v[90:91], -v[92:93]
	v_add_f64_e32 v[4:5], v[4:5], v[82:83]
	v_add_f64_e32 v[12:13], v[12:13], v[130:131]
	ds_load_b128 v[8:11], v2 offset:992
	ds_load_b128 v[82:85], v2 offset:1008
	s_wait_loadcnt_dscnt 0x601
	v_mul_f64_e32 v[124:125], v[8:9], v[96:97]
	v_mul_f64_e32 v[88:89], v[10:11], v[96:97]
	s_wait_loadcnt_dscnt 0x500
	v_mul_f64_e32 v[92:93], v[82:83], v[100:101]
	v_mul_f64_e32 v[96:97], v[84:85], v[100:101]
	v_add_f64_e32 v[4:5], v[4:5], v[86:87]
	v_add_f64_e32 v[12:13], v[12:13], v[132:133]
	v_fmac_f64_e32 v[124:125], v[10:11], v[94:95]
	v_fma_f64 v[94:95], v[8:9], v[94:95], -v[88:89]
	ds_load_b128 v[8:11], v2 offset:1024
	ds_load_b128 v[86:89], v2 offset:1040
	v_fmac_f64_e32 v[92:93], v[84:85], v[98:99]
	v_fma_f64 v[82:83], v[82:83], v[98:99], -v[96:97]
	v_add_f64_e32 v[4:5], v[4:5], v[90:91]
	v_add_f64_e32 v[12:13], v[12:13], v[122:123]
	s_wait_loadcnt_dscnt 0x401
	v_mul_f64_e32 v[90:91], v[8:9], v[104:105]
	v_mul_f64_e32 v[100:101], v[10:11], v[104:105]
	s_wait_loadcnt_dscnt 0x300
	v_mul_f64_e32 v[84:85], v[86:87], v[108:109]
	v_add_f64_e32 v[4:5], v[4:5], v[94:95]
	v_add_f64_e32 v[12:13], v[12:13], v[124:125]
	v_mul_f64_e32 v[94:95], v[88:89], v[108:109]
	v_fmac_f64_e32 v[90:91], v[10:11], v[102:103]
	v_fma_f64 v[96:97], v[8:9], v[102:103], -v[100:101]
	v_fmac_f64_e32 v[84:85], v[88:89], v[106:107]
	v_add_f64_e32 v[82:83], v[4:5], v[82:83]
	v_add_f64_e32 v[12:13], v[12:13], v[92:93]
	ds_load_b128 v[8:11], v2 offset:1056
	ds_load_b128 v[2:5], v2 offset:1072
	v_fma_f64 v[86:87], v[86:87], v[106:107], -v[94:95]
	s_wait_loadcnt_dscnt 0x201
	v_mul_f64_e32 v[92:93], v[8:9], v[112:113]
	v_mul_f64_e32 v[98:99], v[10:11], v[112:113]
	s_wait_loadcnt_dscnt 0x100
	v_mul_f64_e32 v[88:89], v[2:3], v[116:117]
	v_add_f64_e32 v[82:83], v[82:83], v[96:97]
	v_add_f64_e32 v[12:13], v[12:13], v[90:91]
	v_mul_f64_e32 v[90:91], v[4:5], v[116:117]
	v_fmac_f64_e32 v[92:93], v[10:11], v[110:111]
	v_fma_f64 v[8:9], v[8:9], v[110:111], -v[98:99]
	v_fmac_f64_e32 v[88:89], v[4:5], v[114:115]
	v_add_f64_e32 v[10:11], v[82:83], v[86:87]
	v_add_f64_e32 v[12:13], v[12:13], v[84:85]
	v_fma_f64 v[2:3], v[2:3], v[114:115], -v[90:91]
	s_delay_alu instid0(VALU_DEP_3) | instskip(NEXT) | instid1(VALU_DEP_3)
	v_add_f64_e32 v[4:5], v[10:11], v[8:9]
	v_add_f64_e32 v[8:9], v[12:13], v[92:93]
	s_delay_alu instid0(VALU_DEP_2) | instskip(NEXT) | instid1(VALU_DEP_2)
	v_add_f64_e32 v[2:3], v[4:5], v[2:3]
	v_add_f64_e32 v[4:5], v[8:9], v[88:89]
	s_wait_loadcnt 0x0
	s_delay_alu instid0(VALU_DEP_2) | instskip(NEXT) | instid1(VALU_DEP_2)
	v_add_f64_e64 v[2:3], v[126:127], -v[2:3]
	v_add_f64_e64 v[4:5], v[128:129], -v[4:5]
	scratch_store_b128 off, v[2:5], off offset:368
	s_wait_xcnt 0x0
	v_cmpx_lt_u32_e32 22, v1
	s_cbranch_execz .LBB97_173
; %bb.172:
	scratch_load_b128 v[2:5], off, s27
	v_mov_b32_e32 v8, 0
	s_delay_alu instid0(VALU_DEP_1)
	v_dual_mov_b32 v9, v8 :: v_dual_mov_b32 v10, v8
	v_mov_b32_e32 v11, v8
	scratch_store_b128 off, v[8:11], off offset:352
	s_wait_loadcnt 0x0
	ds_store_b128 v6, v[2:5]
.LBB97_173:
	s_wait_xcnt 0x0
	s_or_b32 exec_lo, exec_lo, s2
	s_wait_storecnt_dscnt 0x0
	s_barrier_signal -1
	s_barrier_wait -1
	s_clause 0x9
	scratch_load_b128 v[8:11], off, off offset:368
	scratch_load_b128 v[82:85], off, off offset:384
	;; [unrolled: 1-line block ×10, first 2 shown]
	v_mov_b32_e32 v2, 0
	s_mov_b32 s2, exec_lo
	ds_load_b128 v[118:121], v2 offset:912
	s_clause 0x1
	scratch_load_b128 v[122:125], off, off offset:528
	scratch_load_b128 v[126:129], off, off offset:352
	s_wait_loadcnt_dscnt 0xb00
	v_mul_f64_e32 v[4:5], v[120:121], v[10:11]
	v_mul_f64_e32 v[12:13], v[118:119], v[10:11]
	ds_load_b128 v[130:133], v2 offset:928
	s_wait_loadcnt_dscnt 0xa00
	v_mul_f64_e32 v[134:135], v[130:131], v[84:85]
	v_mul_f64_e32 v[84:85], v[132:133], v[84:85]
	v_fma_f64 v[4:5], v[118:119], v[8:9], -v[4:5]
	v_fmac_f64_e32 v[12:13], v[120:121], v[8:9]
	ds_load_b128 v[8:11], v2 offset:944
	ds_load_b128 v[118:121], v2 offset:960
	s_wait_loadcnt_dscnt 0x901
	v_mul_f64_e32 v[136:137], v[8:9], v[88:89]
	v_mul_f64_e32 v[88:89], v[10:11], v[88:89]
	v_fmac_f64_e32 v[134:135], v[132:133], v[82:83]
	v_fma_f64 v[82:83], v[130:131], v[82:83], -v[84:85]
	s_wait_loadcnt_dscnt 0x800
	v_mul_f64_e32 v[130:131], v[118:119], v[92:93]
	v_mul_f64_e32 v[92:93], v[120:121], v[92:93]
	v_add_f64_e32 v[4:5], 0, v[4:5]
	v_add_f64_e32 v[12:13], 0, v[12:13]
	v_fmac_f64_e32 v[136:137], v[10:11], v[86:87]
	v_fma_f64 v[86:87], v[8:9], v[86:87], -v[88:89]
	v_fmac_f64_e32 v[130:131], v[120:121], v[90:91]
	v_fma_f64 v[90:91], v[118:119], v[90:91], -v[92:93]
	v_add_f64_e32 v[4:5], v[4:5], v[82:83]
	v_add_f64_e32 v[12:13], v[12:13], v[134:135]
	ds_load_b128 v[8:11], v2 offset:976
	ds_load_b128 v[82:85], v2 offset:992
	s_wait_loadcnt_dscnt 0x701
	v_mul_f64_e32 v[132:133], v[8:9], v[96:97]
	v_mul_f64_e32 v[88:89], v[10:11], v[96:97]
	s_wait_loadcnt_dscnt 0x600
	v_mul_f64_e32 v[92:93], v[82:83], v[100:101]
	v_mul_f64_e32 v[96:97], v[84:85], v[100:101]
	v_add_f64_e32 v[4:5], v[4:5], v[86:87]
	v_add_f64_e32 v[12:13], v[12:13], v[136:137]
	v_fmac_f64_e32 v[132:133], v[10:11], v[94:95]
	v_fma_f64 v[94:95], v[8:9], v[94:95], -v[88:89]
	ds_load_b128 v[8:11], v2 offset:1008
	ds_load_b128 v[86:89], v2 offset:1024
	v_fmac_f64_e32 v[92:93], v[84:85], v[98:99]
	v_fma_f64 v[82:83], v[82:83], v[98:99], -v[96:97]
	v_add_f64_e32 v[4:5], v[4:5], v[90:91]
	v_add_f64_e32 v[12:13], v[12:13], v[130:131]
	s_wait_loadcnt_dscnt 0x501
	v_mul_f64_e32 v[90:91], v[8:9], v[104:105]
	v_mul_f64_e32 v[100:101], v[10:11], v[104:105]
	s_wait_loadcnt_dscnt 0x400
	v_mul_f64_e32 v[96:97], v[88:89], v[108:109]
	v_add_f64_e32 v[4:5], v[4:5], v[94:95]
	v_add_f64_e32 v[12:13], v[12:13], v[132:133]
	v_mul_f64_e32 v[94:95], v[86:87], v[108:109]
	v_fmac_f64_e32 v[90:91], v[10:11], v[102:103]
	v_fma_f64 v[98:99], v[8:9], v[102:103], -v[100:101]
	v_fma_f64 v[86:87], v[86:87], v[106:107], -v[96:97]
	v_add_f64_e32 v[4:5], v[4:5], v[82:83]
	v_add_f64_e32 v[12:13], v[12:13], v[92:93]
	ds_load_b128 v[8:11], v2 offset:1040
	ds_load_b128 v[82:85], v2 offset:1056
	v_fmac_f64_e32 v[94:95], v[88:89], v[106:107]
	s_wait_loadcnt_dscnt 0x301
	v_mul_f64_e32 v[92:93], v[8:9], v[112:113]
	v_mul_f64_e32 v[100:101], v[10:11], v[112:113]
	s_wait_loadcnt_dscnt 0x200
	v_mul_f64_e32 v[88:89], v[82:83], v[116:117]
	v_add_f64_e32 v[4:5], v[4:5], v[98:99]
	v_add_f64_e32 v[12:13], v[12:13], v[90:91]
	v_mul_f64_e32 v[90:91], v[84:85], v[116:117]
	v_fmac_f64_e32 v[92:93], v[10:11], v[110:111]
	v_fma_f64 v[96:97], v[8:9], v[110:111], -v[100:101]
	ds_load_b128 v[8:11], v2 offset:1072
	v_fmac_f64_e32 v[88:89], v[84:85], v[114:115]
	v_add_f64_e32 v[4:5], v[4:5], v[86:87]
	v_add_f64_e32 v[12:13], v[12:13], v[94:95]
	v_fma_f64 v[82:83], v[82:83], v[114:115], -v[90:91]
	s_wait_loadcnt_dscnt 0x100
	v_mul_f64_e32 v[86:87], v[8:9], v[124:125]
	v_mul_f64_e32 v[94:95], v[10:11], v[124:125]
	v_add_f64_e32 v[4:5], v[4:5], v[96:97]
	v_add_f64_e32 v[12:13], v[12:13], v[92:93]
	s_delay_alu instid0(VALU_DEP_4) | instskip(NEXT) | instid1(VALU_DEP_4)
	v_fmac_f64_e32 v[86:87], v[10:11], v[122:123]
	v_fma_f64 v[8:9], v[8:9], v[122:123], -v[94:95]
	s_delay_alu instid0(VALU_DEP_4) | instskip(NEXT) | instid1(VALU_DEP_4)
	v_add_f64_e32 v[4:5], v[4:5], v[82:83]
	v_add_f64_e32 v[10:11], v[12:13], v[88:89]
	s_delay_alu instid0(VALU_DEP_2) | instskip(NEXT) | instid1(VALU_DEP_2)
	v_add_f64_e32 v[4:5], v[4:5], v[8:9]
	v_add_f64_e32 v[10:11], v[10:11], v[86:87]
	s_wait_loadcnt 0x0
	s_delay_alu instid0(VALU_DEP_2) | instskip(NEXT) | instid1(VALU_DEP_2)
	v_add_f64_e64 v[8:9], v[126:127], -v[4:5]
	v_add_f64_e64 v[10:11], v[128:129], -v[10:11]
	scratch_store_b128 off, v[8:11], off offset:352
	s_wait_xcnt 0x0
	v_cmpx_lt_u32_e32 21, v1
	s_cbranch_execz .LBB97_175
; %bb.174:
	scratch_load_b128 v[8:11], off, s28
	v_dual_mov_b32 v3, v2 :: v_dual_mov_b32 v4, v2
	v_mov_b32_e32 v5, v2
	scratch_store_b128 off, v[2:5], off offset:336
	s_wait_loadcnt 0x0
	ds_store_b128 v6, v[8:11]
.LBB97_175:
	s_wait_xcnt 0x0
	s_or_b32 exec_lo, exec_lo, s2
	s_wait_storecnt_dscnt 0x0
	s_barrier_signal -1
	s_barrier_wait -1
	s_clause 0x9
	scratch_load_b128 v[8:11], off, off offset:352
	scratch_load_b128 v[82:85], off, off offset:368
	scratch_load_b128 v[86:89], off, off offset:384
	scratch_load_b128 v[90:93], off, off offset:400
	scratch_load_b128 v[94:97], off, off offset:416
	scratch_load_b128 v[98:101], off, off offset:432
	scratch_load_b128 v[102:105], off, off offset:448
	scratch_load_b128 v[106:109], off, off offset:464
	scratch_load_b128 v[110:113], off, off offset:480
	scratch_load_b128 v[114:117], off, off offset:496
	ds_load_b128 v[118:121], v2 offset:896
	ds_load_b128 v[126:129], v2 offset:912
	s_clause 0x1
	scratch_load_b128 v[122:125], off, off offset:512
	scratch_load_b128 v[130:133], off, off offset:336
	s_mov_b32 s2, exec_lo
	s_wait_loadcnt_dscnt 0xb01
	v_mul_f64_e32 v[4:5], v[120:121], v[10:11]
	v_mul_f64_e32 v[138:139], v[118:119], v[10:11]
	scratch_load_b128 v[10:13], off, off offset:528
	s_wait_loadcnt_dscnt 0xb00
	v_mul_f64_e32 v[140:141], v[126:127], v[84:85]
	v_mul_f64_e32 v[84:85], v[128:129], v[84:85]
	v_fma_f64 v[4:5], v[118:119], v[8:9], -v[4:5]
	v_fmac_f64_e32 v[138:139], v[120:121], v[8:9]
	ds_load_b128 v[118:121], v2 offset:928
	ds_load_b128 v[134:137], v2 offset:944
	v_fmac_f64_e32 v[140:141], v[128:129], v[82:83]
	v_fma_f64 v[82:83], v[126:127], v[82:83], -v[84:85]
	s_wait_loadcnt_dscnt 0xa01
	v_mul_f64_e32 v[8:9], v[118:119], v[88:89]
	v_mul_f64_e32 v[88:89], v[120:121], v[88:89]
	s_wait_loadcnt_dscnt 0x900
	v_mul_f64_e32 v[126:127], v[134:135], v[92:93]
	v_mul_f64_e32 v[92:93], v[136:137], v[92:93]
	v_add_f64_e32 v[4:5], 0, v[4:5]
	v_add_f64_e32 v[84:85], 0, v[138:139]
	v_fmac_f64_e32 v[8:9], v[120:121], v[86:87]
	v_fma_f64 v[118:119], v[118:119], v[86:87], -v[88:89]
	v_fmac_f64_e32 v[126:127], v[136:137], v[90:91]
	v_fma_f64 v[90:91], v[134:135], v[90:91], -v[92:93]
	v_add_f64_e32 v[4:5], v[4:5], v[82:83]
	v_add_f64_e32 v[120:121], v[84:85], v[140:141]
	ds_load_b128 v[82:85], v2 offset:960
	ds_load_b128 v[86:89], v2 offset:976
	s_wait_loadcnt_dscnt 0x801
	v_mul_f64_e32 v[128:129], v[82:83], v[96:97]
	v_mul_f64_e32 v[96:97], v[84:85], v[96:97]
	v_add_f64_e32 v[4:5], v[4:5], v[118:119]
	v_add_f64_e32 v[8:9], v[120:121], v[8:9]
	s_wait_loadcnt_dscnt 0x700
	v_mul_f64_e32 v[118:119], v[86:87], v[100:101]
	v_mul_f64_e32 v[100:101], v[88:89], v[100:101]
	v_fmac_f64_e32 v[128:129], v[84:85], v[94:95]
	v_fma_f64 v[94:95], v[82:83], v[94:95], -v[96:97]
	v_add_f64_e32 v[4:5], v[4:5], v[90:91]
	v_add_f64_e32 v[8:9], v[8:9], v[126:127]
	ds_load_b128 v[82:85], v2 offset:992
	ds_load_b128 v[90:93], v2 offset:1008
	v_fmac_f64_e32 v[118:119], v[88:89], v[98:99]
	v_fma_f64 v[86:87], v[86:87], v[98:99], -v[100:101]
	s_wait_loadcnt_dscnt 0x601
	v_mul_f64_e32 v[96:97], v[82:83], v[104:105]
	v_mul_f64_e32 v[104:105], v[84:85], v[104:105]
	s_wait_loadcnt_dscnt 0x500
	v_mul_f64_e32 v[98:99], v[92:93], v[108:109]
	v_add_f64_e32 v[4:5], v[4:5], v[94:95]
	v_add_f64_e32 v[8:9], v[8:9], v[128:129]
	v_mul_f64_e32 v[94:95], v[90:91], v[108:109]
	v_fmac_f64_e32 v[96:97], v[84:85], v[102:103]
	v_fma_f64 v[100:101], v[82:83], v[102:103], -v[104:105]
	v_fma_f64 v[90:91], v[90:91], v[106:107], -v[98:99]
	v_add_f64_e32 v[4:5], v[4:5], v[86:87]
	v_add_f64_e32 v[8:9], v[8:9], v[118:119]
	ds_load_b128 v[82:85], v2 offset:1024
	ds_load_b128 v[86:89], v2 offset:1040
	v_fmac_f64_e32 v[94:95], v[92:93], v[106:107]
	s_wait_loadcnt_dscnt 0x401
	v_mul_f64_e32 v[102:103], v[82:83], v[112:113]
	v_mul_f64_e32 v[104:105], v[84:85], v[112:113]
	s_wait_loadcnt_dscnt 0x300
	v_mul_f64_e32 v[92:93], v[86:87], v[116:117]
	v_add_f64_e32 v[4:5], v[4:5], v[100:101]
	v_add_f64_e32 v[8:9], v[8:9], v[96:97]
	v_mul_f64_e32 v[96:97], v[88:89], v[116:117]
	v_fmac_f64_e32 v[102:103], v[84:85], v[110:111]
	v_fma_f64 v[98:99], v[82:83], v[110:111], -v[104:105]
	v_fmac_f64_e32 v[92:93], v[88:89], v[114:115]
	v_add_f64_e32 v[90:91], v[4:5], v[90:91]
	v_add_f64_e32 v[8:9], v[8:9], v[94:95]
	ds_load_b128 v[82:85], v2 offset:1056
	ds_load_b128 v[2:5], v2 offset:1072
	v_fma_f64 v[86:87], v[86:87], v[114:115], -v[96:97]
	s_wait_loadcnt_dscnt 0x201
	v_mul_f64_e32 v[94:95], v[82:83], v[124:125]
	v_mul_f64_e32 v[100:101], v[84:85], v[124:125]
	v_add_f64_e32 v[88:89], v[90:91], v[98:99]
	v_add_f64_e32 v[8:9], v[8:9], v[102:103]
	s_wait_loadcnt_dscnt 0x0
	v_mul_f64_e32 v[90:91], v[2:3], v[12:13]
	v_mul_f64_e32 v[12:13], v[4:5], v[12:13]
	v_fmac_f64_e32 v[94:95], v[84:85], v[122:123]
	v_fma_f64 v[82:83], v[82:83], v[122:123], -v[100:101]
	v_add_f64_e32 v[84:85], v[88:89], v[86:87]
	v_add_f64_e32 v[8:9], v[8:9], v[92:93]
	v_fmac_f64_e32 v[90:91], v[4:5], v[10:11]
	v_fma_f64 v[2:3], v[2:3], v[10:11], -v[12:13]
	s_delay_alu instid0(VALU_DEP_4) | instskip(NEXT) | instid1(VALU_DEP_4)
	v_add_f64_e32 v[4:5], v[84:85], v[82:83]
	v_add_f64_e32 v[8:9], v[8:9], v[94:95]
	s_delay_alu instid0(VALU_DEP_2) | instskip(NEXT) | instid1(VALU_DEP_2)
	v_add_f64_e32 v[2:3], v[4:5], v[2:3]
	v_add_f64_e32 v[4:5], v[8:9], v[90:91]
	s_delay_alu instid0(VALU_DEP_2) | instskip(NEXT) | instid1(VALU_DEP_2)
	v_add_f64_e64 v[2:3], v[130:131], -v[2:3]
	v_add_f64_e64 v[4:5], v[132:133], -v[4:5]
	scratch_store_b128 off, v[2:5], off offset:336
	s_wait_xcnt 0x0
	v_cmpx_lt_u32_e32 20, v1
	s_cbranch_execz .LBB97_177
; %bb.176:
	scratch_load_b128 v[2:5], off, s29
	v_mov_b32_e32 v8, 0
	s_delay_alu instid0(VALU_DEP_1)
	v_dual_mov_b32 v9, v8 :: v_dual_mov_b32 v10, v8
	v_mov_b32_e32 v11, v8
	scratch_store_b128 off, v[8:11], off offset:320
	s_wait_loadcnt 0x0
	ds_store_b128 v6, v[2:5]
.LBB97_177:
	s_wait_xcnt 0x0
	s_or_b32 exec_lo, exec_lo, s2
	s_wait_storecnt_dscnt 0x0
	s_barrier_signal -1
	s_barrier_wait -1
	s_clause 0x9
	scratch_load_b128 v[8:11], off, off offset:336
	scratch_load_b128 v[82:85], off, off offset:352
	;; [unrolled: 1-line block ×10, first 2 shown]
	v_mov_b32_e32 v2, 0
	s_mov_b32 s2, exec_lo
	ds_load_b128 v[118:121], v2 offset:880
	s_clause 0x2
	scratch_load_b128 v[122:125], off, off offset:496
	scratch_load_b128 v[126:129], off, off offset:320
	;; [unrolled: 1-line block ×3, first 2 shown]
	s_wait_loadcnt_dscnt 0xc00
	v_mul_f64_e32 v[4:5], v[120:121], v[10:11]
	v_mul_f64_e32 v[142:143], v[118:119], v[10:11]
	ds_load_b128 v[130:133], v2 offset:896
	scratch_load_b128 v[10:13], off, off offset:512
	ds_load_b128 v[138:141], v2 offset:928
	v_fma_f64 v[4:5], v[118:119], v[8:9], -v[4:5]
	v_fmac_f64_e32 v[142:143], v[120:121], v[8:9]
	ds_load_b128 v[118:121], v2 offset:912
	s_wait_loadcnt_dscnt 0xc02
	v_mul_f64_e32 v[144:145], v[130:131], v[84:85]
	v_mul_f64_e32 v[84:85], v[132:133], v[84:85]
	s_wait_loadcnt_dscnt 0xb00
	v_mul_f64_e32 v[8:9], v[118:119], v[88:89]
	v_mul_f64_e32 v[88:89], v[120:121], v[88:89]
	v_add_f64_e32 v[4:5], 0, v[4:5]
	v_fmac_f64_e32 v[144:145], v[132:133], v[82:83]
	v_fma_f64 v[82:83], v[130:131], v[82:83], -v[84:85]
	v_add_f64_e32 v[84:85], 0, v[142:143]
	s_wait_loadcnt 0xa
	v_mul_f64_e32 v[130:131], v[138:139], v[92:93]
	v_mul_f64_e32 v[92:93], v[140:141], v[92:93]
	v_fmac_f64_e32 v[8:9], v[120:121], v[86:87]
	v_fma_f64 v[118:119], v[118:119], v[86:87], -v[88:89]
	v_add_f64_e32 v[4:5], v[4:5], v[82:83]
	v_add_f64_e32 v[120:121], v[84:85], v[144:145]
	ds_load_b128 v[82:85], v2 offset:944
	ds_load_b128 v[86:89], v2 offset:960
	v_fmac_f64_e32 v[130:131], v[140:141], v[90:91]
	v_fma_f64 v[90:91], v[138:139], v[90:91], -v[92:93]
	s_wait_loadcnt_dscnt 0x901
	v_mul_f64_e32 v[132:133], v[82:83], v[96:97]
	v_mul_f64_e32 v[96:97], v[84:85], v[96:97]
	v_add_f64_e32 v[4:5], v[4:5], v[118:119]
	v_add_f64_e32 v[8:9], v[120:121], v[8:9]
	s_wait_loadcnt_dscnt 0x800
	v_mul_f64_e32 v[118:119], v[86:87], v[100:101]
	v_mul_f64_e32 v[100:101], v[88:89], v[100:101]
	v_fmac_f64_e32 v[132:133], v[84:85], v[94:95]
	v_fma_f64 v[94:95], v[82:83], v[94:95], -v[96:97]
	v_add_f64_e32 v[4:5], v[4:5], v[90:91]
	v_add_f64_e32 v[8:9], v[8:9], v[130:131]
	ds_load_b128 v[82:85], v2 offset:976
	ds_load_b128 v[90:93], v2 offset:992
	v_fmac_f64_e32 v[118:119], v[88:89], v[98:99]
	v_fma_f64 v[86:87], v[86:87], v[98:99], -v[100:101]
	s_wait_loadcnt_dscnt 0x701
	v_mul_f64_e32 v[96:97], v[82:83], v[104:105]
	v_mul_f64_e32 v[104:105], v[84:85], v[104:105]
	s_wait_loadcnt_dscnt 0x600
	v_mul_f64_e32 v[98:99], v[92:93], v[108:109]
	v_add_f64_e32 v[4:5], v[4:5], v[94:95]
	v_add_f64_e32 v[8:9], v[8:9], v[132:133]
	v_mul_f64_e32 v[94:95], v[90:91], v[108:109]
	v_fmac_f64_e32 v[96:97], v[84:85], v[102:103]
	v_fma_f64 v[100:101], v[82:83], v[102:103], -v[104:105]
	v_fma_f64 v[90:91], v[90:91], v[106:107], -v[98:99]
	v_add_f64_e32 v[4:5], v[4:5], v[86:87]
	v_add_f64_e32 v[8:9], v[8:9], v[118:119]
	ds_load_b128 v[82:85], v2 offset:1008
	ds_load_b128 v[86:89], v2 offset:1024
	v_fmac_f64_e32 v[94:95], v[92:93], v[106:107]
	s_wait_loadcnt_dscnt 0x501
	v_mul_f64_e32 v[102:103], v[82:83], v[112:113]
	v_mul_f64_e32 v[104:105], v[84:85], v[112:113]
	s_wait_loadcnt_dscnt 0x400
	v_mul_f64_e32 v[98:99], v[88:89], v[116:117]
	v_add_f64_e32 v[4:5], v[4:5], v[100:101]
	v_add_f64_e32 v[8:9], v[8:9], v[96:97]
	v_mul_f64_e32 v[96:97], v[86:87], v[116:117]
	v_fmac_f64_e32 v[102:103], v[84:85], v[110:111]
	v_fma_f64 v[100:101], v[82:83], v[110:111], -v[104:105]
	v_fma_f64 v[86:87], v[86:87], v[114:115], -v[98:99]
	v_add_f64_e32 v[4:5], v[4:5], v[90:91]
	v_add_f64_e32 v[8:9], v[8:9], v[94:95]
	ds_load_b128 v[82:85], v2 offset:1040
	ds_load_b128 v[90:93], v2 offset:1056
	v_fmac_f64_e32 v[96:97], v[88:89], v[114:115]
	s_wait_loadcnt_dscnt 0x301
	v_mul_f64_e32 v[94:95], v[82:83], v[124:125]
	v_mul_f64_e32 v[104:105], v[84:85], v[124:125]
	s_wait_loadcnt_dscnt 0x0
	v_mul_f64_e32 v[88:89], v[90:91], v[12:13]
	v_add_f64_e32 v[4:5], v[4:5], v[100:101]
	v_add_f64_e32 v[8:9], v[8:9], v[102:103]
	v_mul_f64_e32 v[12:13], v[92:93], v[12:13]
	v_fmac_f64_e32 v[94:95], v[84:85], v[122:123]
	v_fma_f64 v[98:99], v[82:83], v[122:123], -v[104:105]
	ds_load_b128 v[82:85], v2 offset:1072
	v_fmac_f64_e32 v[88:89], v[92:93], v[10:11]
	v_add_f64_e32 v[4:5], v[4:5], v[86:87]
	v_add_f64_e32 v[8:9], v[8:9], v[96:97]
	v_fma_f64 v[10:11], v[90:91], v[10:11], -v[12:13]
	s_wait_dscnt 0x0
	v_mul_f64_e32 v[86:87], v[82:83], v[136:137]
	v_mul_f64_e32 v[96:97], v[84:85], v[136:137]
	v_add_f64_e32 v[4:5], v[4:5], v[98:99]
	v_add_f64_e32 v[8:9], v[8:9], v[94:95]
	s_delay_alu instid0(VALU_DEP_4) | instskip(NEXT) | instid1(VALU_DEP_4)
	v_fmac_f64_e32 v[86:87], v[84:85], v[134:135]
	v_fma_f64 v[12:13], v[82:83], v[134:135], -v[96:97]
	s_delay_alu instid0(VALU_DEP_4) | instskip(NEXT) | instid1(VALU_DEP_4)
	v_add_f64_e32 v[4:5], v[4:5], v[10:11]
	v_add_f64_e32 v[8:9], v[8:9], v[88:89]
	s_delay_alu instid0(VALU_DEP_2) | instskip(NEXT) | instid1(VALU_DEP_2)
	v_add_f64_e32 v[4:5], v[4:5], v[12:13]
	v_add_f64_e32 v[10:11], v[8:9], v[86:87]
	s_delay_alu instid0(VALU_DEP_2) | instskip(NEXT) | instid1(VALU_DEP_2)
	v_add_f64_e64 v[8:9], v[126:127], -v[4:5]
	v_add_f64_e64 v[10:11], v[128:129], -v[10:11]
	scratch_store_b128 off, v[8:11], off offset:320
	s_wait_xcnt 0x0
	v_cmpx_lt_u32_e32 19, v1
	s_cbranch_execz .LBB97_179
; %bb.178:
	scratch_load_b128 v[8:11], off, s30
	v_dual_mov_b32 v3, v2 :: v_dual_mov_b32 v4, v2
	v_mov_b32_e32 v5, v2
	scratch_store_b128 off, v[2:5], off offset:304
	s_wait_loadcnt 0x0
	ds_store_b128 v6, v[8:11]
.LBB97_179:
	s_wait_xcnt 0x0
	s_or_b32 exec_lo, exec_lo, s2
	s_wait_storecnt_dscnt 0x0
	s_barrier_signal -1
	s_barrier_wait -1
	s_clause 0x9
	scratch_load_b128 v[8:11], off, off offset:320
	scratch_load_b128 v[82:85], off, off offset:336
	;; [unrolled: 1-line block ×10, first 2 shown]
	ds_load_b128 v[118:121], v2 offset:864
	ds_load_b128 v[126:129], v2 offset:880
	s_clause 0x1
	scratch_load_b128 v[122:125], off, off offset:480
	scratch_load_b128 v[130:133], off, off offset:304
	s_mov_b32 s2, exec_lo
	s_wait_loadcnt_dscnt 0xb01
	v_mul_f64_e32 v[4:5], v[120:121], v[10:11]
	v_mul_f64_e32 v[142:143], v[118:119], v[10:11]
	scratch_load_b128 v[10:13], off, off offset:496
	s_wait_loadcnt_dscnt 0xb00
	v_mul_f64_e32 v[144:145], v[126:127], v[84:85]
	v_mul_f64_e32 v[84:85], v[128:129], v[84:85]
	v_fma_f64 v[4:5], v[118:119], v[8:9], -v[4:5]
	v_fmac_f64_e32 v[142:143], v[120:121], v[8:9]
	ds_load_b128 v[118:121], v2 offset:896
	ds_load_b128 v[134:137], v2 offset:912
	scratch_load_b128 v[138:141], off, off offset:512
	v_fmac_f64_e32 v[144:145], v[128:129], v[82:83]
	v_fma_f64 v[126:127], v[126:127], v[82:83], -v[84:85]
	scratch_load_b128 v[82:85], off, off offset:528
	s_wait_loadcnt_dscnt 0xc01
	v_mul_f64_e32 v[8:9], v[118:119], v[88:89]
	v_mul_f64_e32 v[88:89], v[120:121], v[88:89]
	v_add_f64_e32 v[4:5], 0, v[4:5]
	v_add_f64_e32 v[128:129], 0, v[142:143]
	s_wait_loadcnt_dscnt 0xb00
	v_mul_f64_e32 v[142:143], v[134:135], v[92:93]
	v_mul_f64_e32 v[92:93], v[136:137], v[92:93]
	v_fmac_f64_e32 v[8:9], v[120:121], v[86:87]
	v_fma_f64 v[146:147], v[118:119], v[86:87], -v[88:89]
	ds_load_b128 v[86:89], v2 offset:928
	ds_load_b128 v[118:121], v2 offset:944
	v_add_f64_e32 v[4:5], v[4:5], v[126:127]
	v_add_f64_e32 v[126:127], v[128:129], v[144:145]
	v_fmac_f64_e32 v[142:143], v[136:137], v[90:91]
	v_fma_f64 v[90:91], v[134:135], v[90:91], -v[92:93]
	s_wait_loadcnt_dscnt 0xa01
	v_mul_f64_e32 v[128:129], v[86:87], v[96:97]
	v_mul_f64_e32 v[96:97], v[88:89], v[96:97]
	v_add_f64_e32 v[4:5], v[4:5], v[146:147]
	v_add_f64_e32 v[8:9], v[126:127], v[8:9]
	s_wait_loadcnt_dscnt 0x900
	v_mul_f64_e32 v[126:127], v[118:119], v[100:101]
	v_mul_f64_e32 v[100:101], v[120:121], v[100:101]
	v_fmac_f64_e32 v[128:129], v[88:89], v[94:95]
	v_fma_f64 v[94:95], v[86:87], v[94:95], -v[96:97]
	v_add_f64_e32 v[4:5], v[4:5], v[90:91]
	v_add_f64_e32 v[8:9], v[8:9], v[142:143]
	ds_load_b128 v[86:89], v2 offset:960
	ds_load_b128 v[90:93], v2 offset:976
	v_fmac_f64_e32 v[126:127], v[120:121], v[98:99]
	v_fma_f64 v[98:99], v[118:119], v[98:99], -v[100:101]
	s_wait_loadcnt_dscnt 0x801
	v_mul_f64_e32 v[134:135], v[86:87], v[104:105]
	v_mul_f64_e32 v[96:97], v[88:89], v[104:105]
	s_wait_loadcnt_dscnt 0x700
	v_mul_f64_e32 v[100:101], v[90:91], v[108:109]
	v_mul_f64_e32 v[104:105], v[92:93], v[108:109]
	v_add_f64_e32 v[4:5], v[4:5], v[94:95]
	v_add_f64_e32 v[8:9], v[8:9], v[128:129]
	v_fmac_f64_e32 v[134:135], v[88:89], v[102:103]
	v_fma_f64 v[102:103], v[86:87], v[102:103], -v[96:97]
	ds_load_b128 v[86:89], v2 offset:992
	ds_load_b128 v[94:97], v2 offset:1008
	v_fmac_f64_e32 v[100:101], v[92:93], v[106:107]
	v_fma_f64 v[90:91], v[90:91], v[106:107], -v[104:105]
	v_add_f64_e32 v[4:5], v[4:5], v[98:99]
	v_add_f64_e32 v[8:9], v[8:9], v[126:127]
	s_wait_loadcnt_dscnt 0x601
	v_mul_f64_e32 v[98:99], v[86:87], v[112:113]
	v_mul_f64_e32 v[108:109], v[88:89], v[112:113]
	s_wait_loadcnt_dscnt 0x500
	v_mul_f64_e32 v[104:105], v[96:97], v[116:117]
	v_add_f64_e32 v[4:5], v[4:5], v[102:103]
	v_add_f64_e32 v[8:9], v[8:9], v[134:135]
	v_mul_f64_e32 v[102:103], v[94:95], v[116:117]
	v_fmac_f64_e32 v[98:99], v[88:89], v[110:111]
	v_fma_f64 v[106:107], v[86:87], v[110:111], -v[108:109]
	v_fma_f64 v[94:95], v[94:95], v[114:115], -v[104:105]
	v_add_f64_e32 v[4:5], v[4:5], v[90:91]
	v_add_f64_e32 v[8:9], v[8:9], v[100:101]
	ds_load_b128 v[86:89], v2 offset:1024
	ds_load_b128 v[90:93], v2 offset:1040
	v_fmac_f64_e32 v[102:103], v[96:97], v[114:115]
	s_wait_loadcnt_dscnt 0x401
	v_mul_f64_e32 v[100:101], v[86:87], v[124:125]
	v_mul_f64_e32 v[108:109], v[88:89], v[124:125]
	v_add_f64_e32 v[4:5], v[4:5], v[106:107]
	v_add_f64_e32 v[8:9], v[8:9], v[98:99]
	s_wait_loadcnt_dscnt 0x200
	v_mul_f64_e32 v[96:97], v[90:91], v[12:13]
	v_mul_f64_e32 v[12:13], v[92:93], v[12:13]
	v_fmac_f64_e32 v[100:101], v[88:89], v[122:123]
	v_fma_f64 v[98:99], v[86:87], v[122:123], -v[108:109]
	v_add_f64_e32 v[94:95], v[4:5], v[94:95]
	v_add_f64_e32 v[8:9], v[8:9], v[102:103]
	ds_load_b128 v[86:89], v2 offset:1056
	ds_load_b128 v[2:5], v2 offset:1072
	v_fmac_f64_e32 v[96:97], v[92:93], v[10:11]
	v_fma_f64 v[10:11], v[90:91], v[10:11], -v[12:13]
	s_wait_loadcnt_dscnt 0x101
	v_mul_f64_e32 v[102:103], v[86:87], v[140:141]
	v_mul_f64_e32 v[104:105], v[88:89], v[140:141]
	s_wait_loadcnt_dscnt 0x0
	v_mul_f64_e32 v[90:91], v[2:3], v[84:85]
	v_mul_f64_e32 v[84:85], v[4:5], v[84:85]
	v_add_f64_e32 v[12:13], v[94:95], v[98:99]
	v_add_f64_e32 v[8:9], v[8:9], v[100:101]
	v_fmac_f64_e32 v[102:103], v[88:89], v[138:139]
	v_fma_f64 v[86:87], v[86:87], v[138:139], -v[104:105]
	v_fmac_f64_e32 v[90:91], v[4:5], v[82:83]
	v_fma_f64 v[2:3], v[2:3], v[82:83], -v[84:85]
	v_add_f64_e32 v[10:11], v[12:13], v[10:11]
	v_add_f64_e32 v[8:9], v[8:9], v[96:97]
	s_delay_alu instid0(VALU_DEP_2) | instskip(NEXT) | instid1(VALU_DEP_2)
	v_add_f64_e32 v[4:5], v[10:11], v[86:87]
	v_add_f64_e32 v[8:9], v[8:9], v[102:103]
	s_delay_alu instid0(VALU_DEP_2) | instskip(NEXT) | instid1(VALU_DEP_2)
	;; [unrolled: 3-line block ×3, first 2 shown]
	v_add_f64_e64 v[2:3], v[130:131], -v[2:3]
	v_add_f64_e64 v[4:5], v[132:133], -v[4:5]
	scratch_store_b128 off, v[2:5], off offset:304
	s_wait_xcnt 0x0
	v_cmpx_lt_u32_e32 18, v1
	s_cbranch_execz .LBB97_181
; %bb.180:
	scratch_load_b128 v[2:5], off, s31
	v_mov_b32_e32 v8, 0
	s_delay_alu instid0(VALU_DEP_1)
	v_dual_mov_b32 v9, v8 :: v_dual_mov_b32 v10, v8
	v_mov_b32_e32 v11, v8
	scratch_store_b128 off, v[8:11], off offset:288
	s_wait_loadcnt 0x0
	ds_store_b128 v6, v[2:5]
.LBB97_181:
	s_wait_xcnt 0x0
	s_or_b32 exec_lo, exec_lo, s2
	s_wait_storecnt_dscnt 0x0
	s_barrier_signal -1
	s_barrier_wait -1
	s_clause 0x9
	scratch_load_b128 v[8:11], off, off offset:304
	scratch_load_b128 v[82:85], off, off offset:320
	scratch_load_b128 v[86:89], off, off offset:336
	scratch_load_b128 v[90:93], off, off offset:352
	scratch_load_b128 v[94:97], off, off offset:368
	scratch_load_b128 v[98:101], off, off offset:384
	scratch_load_b128 v[102:105], off, off offset:400
	scratch_load_b128 v[106:109], off, off offset:416
	scratch_load_b128 v[110:113], off, off offset:432
	scratch_load_b128 v[114:117], off, off offset:448
	v_mov_b32_e32 v2, 0
	s_mov_b32 s2, exec_lo
	ds_load_b128 v[118:121], v2 offset:848
	s_clause 0x2
	scratch_load_b128 v[122:125], off, off offset:464
	scratch_load_b128 v[126:129], off, off offset:288
	;; [unrolled: 1-line block ×3, first 2 shown]
	s_wait_loadcnt_dscnt 0xc00
	v_mul_f64_e32 v[4:5], v[120:121], v[10:11]
	v_mul_f64_e32 v[142:143], v[118:119], v[10:11]
	ds_load_b128 v[130:133], v2 offset:864
	scratch_load_b128 v[10:13], off, off offset:480
	ds_load_b128 v[138:141], v2 offset:896
	v_fma_f64 v[4:5], v[118:119], v[8:9], -v[4:5]
	v_fmac_f64_e32 v[142:143], v[120:121], v[8:9]
	ds_load_b128 v[118:121], v2 offset:880
	s_wait_loadcnt_dscnt 0xc02
	v_mul_f64_e32 v[144:145], v[130:131], v[84:85]
	v_mul_f64_e32 v[84:85], v[132:133], v[84:85]
	s_wait_loadcnt_dscnt 0xb00
	v_mul_f64_e32 v[8:9], v[118:119], v[88:89]
	v_mul_f64_e32 v[88:89], v[120:121], v[88:89]
	v_add_f64_e32 v[4:5], 0, v[4:5]
	v_fmac_f64_e32 v[144:145], v[132:133], v[82:83]
	v_fma_f64 v[130:131], v[130:131], v[82:83], -v[84:85]
	v_add_f64_e32 v[132:133], 0, v[142:143]
	scratch_load_b128 v[82:85], off, off offset:512
	v_fmac_f64_e32 v[8:9], v[120:121], v[86:87]
	v_fma_f64 v[146:147], v[118:119], v[86:87], -v[88:89]
	ds_load_b128 v[86:89], v2 offset:912
	s_wait_loadcnt 0xb
	v_mul_f64_e32 v[142:143], v[138:139], v[92:93]
	v_mul_f64_e32 v[92:93], v[140:141], v[92:93]
	scratch_load_b128 v[118:121], off, off offset:528
	v_add_f64_e32 v[4:5], v[4:5], v[130:131]
	v_add_f64_e32 v[144:145], v[132:133], v[144:145]
	ds_load_b128 v[130:133], v2 offset:928
	s_wait_loadcnt_dscnt 0xb01
	v_mul_f64_e32 v[148:149], v[86:87], v[96:97]
	v_mul_f64_e32 v[96:97], v[88:89], v[96:97]
	v_fmac_f64_e32 v[142:143], v[140:141], v[90:91]
	v_fma_f64 v[90:91], v[138:139], v[90:91], -v[92:93]
	s_wait_loadcnt_dscnt 0xa00
	v_mul_f64_e32 v[138:139], v[130:131], v[100:101]
	v_mul_f64_e32 v[100:101], v[132:133], v[100:101]
	v_add_f64_e32 v[4:5], v[4:5], v[146:147]
	v_add_f64_e32 v[8:9], v[144:145], v[8:9]
	v_fmac_f64_e32 v[148:149], v[88:89], v[94:95]
	v_fma_f64 v[94:95], v[86:87], v[94:95], -v[96:97]
	v_fmac_f64_e32 v[138:139], v[132:133], v[98:99]
	v_fma_f64 v[98:99], v[130:131], v[98:99], -v[100:101]
	v_add_f64_e32 v[4:5], v[4:5], v[90:91]
	v_add_f64_e32 v[8:9], v[8:9], v[142:143]
	ds_load_b128 v[86:89], v2 offset:944
	ds_load_b128 v[90:93], v2 offset:960
	s_wait_loadcnt_dscnt 0x901
	v_mul_f64_e32 v[140:141], v[86:87], v[104:105]
	v_mul_f64_e32 v[96:97], v[88:89], v[104:105]
	s_wait_loadcnt_dscnt 0x800
	v_mul_f64_e32 v[100:101], v[90:91], v[108:109]
	v_mul_f64_e32 v[104:105], v[92:93], v[108:109]
	v_add_f64_e32 v[4:5], v[4:5], v[94:95]
	v_add_f64_e32 v[8:9], v[8:9], v[148:149]
	v_fmac_f64_e32 v[140:141], v[88:89], v[102:103]
	v_fma_f64 v[102:103], v[86:87], v[102:103], -v[96:97]
	ds_load_b128 v[86:89], v2 offset:976
	ds_load_b128 v[94:97], v2 offset:992
	v_fmac_f64_e32 v[100:101], v[92:93], v[106:107]
	v_fma_f64 v[90:91], v[90:91], v[106:107], -v[104:105]
	v_add_f64_e32 v[4:5], v[4:5], v[98:99]
	v_add_f64_e32 v[8:9], v[8:9], v[138:139]
	s_wait_loadcnt_dscnt 0x701
	v_mul_f64_e32 v[98:99], v[86:87], v[112:113]
	v_mul_f64_e32 v[108:109], v[88:89], v[112:113]
	s_wait_loadcnt_dscnt 0x600
	v_mul_f64_e32 v[104:105], v[96:97], v[116:117]
	v_add_f64_e32 v[4:5], v[4:5], v[102:103]
	v_add_f64_e32 v[8:9], v[8:9], v[140:141]
	v_mul_f64_e32 v[102:103], v[94:95], v[116:117]
	v_fmac_f64_e32 v[98:99], v[88:89], v[110:111]
	v_fma_f64 v[106:107], v[86:87], v[110:111], -v[108:109]
	v_fma_f64 v[94:95], v[94:95], v[114:115], -v[104:105]
	v_add_f64_e32 v[4:5], v[4:5], v[90:91]
	v_add_f64_e32 v[8:9], v[8:9], v[100:101]
	ds_load_b128 v[86:89], v2 offset:1008
	ds_load_b128 v[90:93], v2 offset:1024
	v_fmac_f64_e32 v[102:103], v[96:97], v[114:115]
	s_wait_loadcnt_dscnt 0x501
	v_mul_f64_e32 v[100:101], v[86:87], v[124:125]
	v_mul_f64_e32 v[108:109], v[88:89], v[124:125]
	v_add_f64_e32 v[4:5], v[4:5], v[106:107]
	v_add_f64_e32 v[8:9], v[8:9], v[98:99]
	s_wait_loadcnt_dscnt 0x200
	v_mul_f64_e32 v[98:99], v[90:91], v[12:13]
	v_mul_f64_e32 v[12:13], v[92:93], v[12:13]
	v_fmac_f64_e32 v[100:101], v[88:89], v[122:123]
	v_fma_f64 v[104:105], v[86:87], v[122:123], -v[108:109]
	v_add_f64_e32 v[4:5], v[4:5], v[94:95]
	v_add_f64_e32 v[8:9], v[8:9], v[102:103]
	ds_load_b128 v[86:89], v2 offset:1040
	ds_load_b128 v[94:97], v2 offset:1056
	v_fmac_f64_e32 v[98:99], v[92:93], v[10:11]
	v_fma_f64 v[10:11], v[90:91], v[10:11], -v[12:13]
	s_wait_dscnt 0x1
	v_mul_f64_e32 v[102:103], v[86:87], v[136:137]
	v_mul_f64_e32 v[106:107], v[88:89], v[136:137]
	v_add_f64_e32 v[4:5], v[4:5], v[104:105]
	v_add_f64_e32 v[8:9], v[8:9], v[100:101]
	s_wait_loadcnt_dscnt 0x100
	v_mul_f64_e32 v[12:13], v[94:95], v[84:85]
	v_mul_f64_e32 v[84:85], v[96:97], v[84:85]
	v_fmac_f64_e32 v[102:103], v[88:89], v[134:135]
	v_fma_f64 v[86:87], v[86:87], v[134:135], -v[106:107]
	v_add_f64_e32 v[4:5], v[4:5], v[10:11]
	v_add_f64_e32 v[88:89], v[8:9], v[98:99]
	ds_load_b128 v[8:11], v2 offset:1072
	v_fmac_f64_e32 v[12:13], v[96:97], v[82:83]
	v_fma_f64 v[82:83], v[94:95], v[82:83], -v[84:85]
	s_wait_loadcnt_dscnt 0x0
	v_mul_f64_e32 v[90:91], v[8:9], v[120:121]
	v_mul_f64_e32 v[92:93], v[10:11], v[120:121]
	v_add_f64_e32 v[4:5], v[4:5], v[86:87]
	v_add_f64_e32 v[84:85], v[88:89], v[102:103]
	s_delay_alu instid0(VALU_DEP_4) | instskip(NEXT) | instid1(VALU_DEP_4)
	v_fmac_f64_e32 v[90:91], v[10:11], v[118:119]
	v_fma_f64 v[8:9], v[8:9], v[118:119], -v[92:93]
	s_delay_alu instid0(VALU_DEP_4) | instskip(NEXT) | instid1(VALU_DEP_4)
	v_add_f64_e32 v[4:5], v[4:5], v[82:83]
	v_add_f64_e32 v[10:11], v[84:85], v[12:13]
	s_delay_alu instid0(VALU_DEP_2) | instskip(NEXT) | instid1(VALU_DEP_2)
	v_add_f64_e32 v[4:5], v[4:5], v[8:9]
	v_add_f64_e32 v[10:11], v[10:11], v[90:91]
	s_delay_alu instid0(VALU_DEP_2) | instskip(NEXT) | instid1(VALU_DEP_2)
	v_add_f64_e64 v[8:9], v[126:127], -v[4:5]
	v_add_f64_e64 v[10:11], v[128:129], -v[10:11]
	scratch_store_b128 off, v[8:11], off offset:288
	s_wait_xcnt 0x0
	v_cmpx_lt_u32_e32 17, v1
	s_cbranch_execz .LBB97_183
; %bb.182:
	scratch_load_b128 v[8:11], off, s33
	v_dual_mov_b32 v3, v2 :: v_dual_mov_b32 v4, v2
	v_mov_b32_e32 v5, v2
	scratch_store_b128 off, v[2:5], off offset:272
	s_wait_loadcnt 0x0
	ds_store_b128 v6, v[8:11]
.LBB97_183:
	s_wait_xcnt 0x0
	s_or_b32 exec_lo, exec_lo, s2
	s_wait_storecnt_dscnt 0x0
	s_barrier_signal -1
	s_barrier_wait -1
	s_clause 0x9
	scratch_load_b128 v[8:11], off, off offset:288
	scratch_load_b128 v[82:85], off, off offset:304
	;; [unrolled: 1-line block ×10, first 2 shown]
	ds_load_b128 v[118:121], v2 offset:832
	ds_load_b128 v[126:129], v2 offset:848
	s_clause 0x1
	scratch_load_b128 v[122:125], off, off offset:448
	scratch_load_b128 v[130:133], off, off offset:272
	s_mov_b32 s2, exec_lo
	s_wait_loadcnt_dscnt 0xb01
	v_mul_f64_e32 v[4:5], v[120:121], v[10:11]
	v_mul_f64_e32 v[142:143], v[118:119], v[10:11]
	scratch_load_b128 v[10:13], off, off offset:464
	s_wait_loadcnt_dscnt 0xb00
	v_mul_f64_e32 v[144:145], v[126:127], v[84:85]
	v_mul_f64_e32 v[84:85], v[128:129], v[84:85]
	v_fma_f64 v[4:5], v[118:119], v[8:9], -v[4:5]
	v_fmac_f64_e32 v[142:143], v[120:121], v[8:9]
	ds_load_b128 v[118:121], v2 offset:864
	ds_load_b128 v[134:137], v2 offset:880
	scratch_load_b128 v[138:141], off, off offset:480
	v_fmac_f64_e32 v[144:145], v[128:129], v[82:83]
	v_fma_f64 v[126:127], v[126:127], v[82:83], -v[84:85]
	scratch_load_b128 v[82:85], off, off offset:496
	s_wait_loadcnt_dscnt 0xc01
	v_mul_f64_e32 v[8:9], v[118:119], v[88:89]
	v_mul_f64_e32 v[88:89], v[120:121], v[88:89]
	v_add_f64_e32 v[4:5], 0, v[4:5]
	v_add_f64_e32 v[128:129], 0, v[142:143]
	s_wait_loadcnt_dscnt 0xb00
	v_mul_f64_e32 v[142:143], v[134:135], v[92:93]
	v_mul_f64_e32 v[92:93], v[136:137], v[92:93]
	v_fmac_f64_e32 v[8:9], v[120:121], v[86:87]
	v_fma_f64 v[146:147], v[118:119], v[86:87], -v[88:89]
	ds_load_b128 v[86:89], v2 offset:896
	ds_load_b128 v[118:121], v2 offset:912
	v_add_f64_e32 v[4:5], v[4:5], v[126:127]
	v_add_f64_e32 v[144:145], v[128:129], v[144:145]
	scratch_load_b128 v[126:129], off, off offset:512
	v_fmac_f64_e32 v[142:143], v[136:137], v[90:91]
	v_fma_f64 v[134:135], v[134:135], v[90:91], -v[92:93]
	scratch_load_b128 v[90:93], off, off offset:528
	s_wait_loadcnt_dscnt 0xc01
	v_mul_f64_e32 v[148:149], v[86:87], v[96:97]
	v_mul_f64_e32 v[96:97], v[88:89], v[96:97]
	s_wait_loadcnt_dscnt 0xb00
	v_mul_f64_e32 v[136:137], v[118:119], v[100:101]
	v_mul_f64_e32 v[100:101], v[120:121], v[100:101]
	v_add_f64_e32 v[4:5], v[4:5], v[146:147]
	v_add_f64_e32 v[8:9], v[144:145], v[8:9]
	v_fmac_f64_e32 v[148:149], v[88:89], v[94:95]
	v_fma_f64 v[144:145], v[86:87], v[94:95], -v[96:97]
	ds_load_b128 v[86:89], v2 offset:928
	ds_load_b128 v[94:97], v2 offset:944
	v_fmac_f64_e32 v[136:137], v[120:121], v[98:99]
	v_fma_f64 v[98:99], v[118:119], v[98:99], -v[100:101]
	s_wait_loadcnt_dscnt 0x900
	v_mul_f64_e32 v[118:119], v[94:95], v[108:109]
	v_add_f64_e32 v[4:5], v[4:5], v[134:135]
	v_add_f64_e32 v[8:9], v[8:9], v[142:143]
	v_mul_f64_e32 v[134:135], v[86:87], v[104:105]
	v_mul_f64_e32 v[104:105], v[88:89], v[104:105]
	;; [unrolled: 1-line block ×3, first 2 shown]
	v_fmac_f64_e32 v[118:119], v[96:97], v[106:107]
	v_add_f64_e32 v[4:5], v[4:5], v[144:145]
	v_add_f64_e32 v[8:9], v[8:9], v[148:149]
	v_fmac_f64_e32 v[134:135], v[88:89], v[102:103]
	v_fma_f64 v[102:103], v[86:87], v[102:103], -v[104:105]
	v_fma_f64 v[94:95], v[94:95], v[106:107], -v[108:109]
	v_add_f64_e32 v[4:5], v[4:5], v[98:99]
	v_add_f64_e32 v[8:9], v[8:9], v[136:137]
	ds_load_b128 v[86:89], v2 offset:960
	ds_load_b128 v[98:101], v2 offset:976
	s_wait_loadcnt_dscnt 0x801
	v_mul_f64_e32 v[104:105], v[86:87], v[112:113]
	v_mul_f64_e32 v[112:113], v[88:89], v[112:113]
	s_wait_loadcnt_dscnt 0x700
	v_mul_f64_e32 v[106:107], v[100:101], v[116:117]
	v_add_f64_e32 v[4:5], v[4:5], v[102:103]
	v_add_f64_e32 v[8:9], v[8:9], v[134:135]
	v_mul_f64_e32 v[102:103], v[98:99], v[116:117]
	v_fmac_f64_e32 v[104:105], v[88:89], v[110:111]
	v_fma_f64 v[108:109], v[86:87], v[110:111], -v[112:113]
	v_fma_f64 v[98:99], v[98:99], v[114:115], -v[106:107]
	v_add_f64_e32 v[4:5], v[4:5], v[94:95]
	v_add_f64_e32 v[8:9], v[8:9], v[118:119]
	ds_load_b128 v[86:89], v2 offset:992
	ds_load_b128 v[94:97], v2 offset:1008
	v_fmac_f64_e32 v[102:103], v[100:101], v[114:115]
	s_wait_loadcnt_dscnt 0x601
	v_mul_f64_e32 v[110:111], v[86:87], v[124:125]
	v_mul_f64_e32 v[112:113], v[88:89], v[124:125]
	v_add_f64_e32 v[4:5], v[4:5], v[108:109]
	v_add_f64_e32 v[8:9], v[8:9], v[104:105]
	s_wait_loadcnt_dscnt 0x400
	v_mul_f64_e32 v[104:105], v[94:95], v[12:13]
	v_mul_f64_e32 v[12:13], v[96:97], v[12:13]
	v_fmac_f64_e32 v[110:111], v[88:89], v[122:123]
	v_fma_f64 v[106:107], v[86:87], v[122:123], -v[112:113]
	v_add_f64_e32 v[4:5], v[4:5], v[98:99]
	v_add_f64_e32 v[8:9], v[8:9], v[102:103]
	ds_load_b128 v[86:89], v2 offset:1024
	ds_load_b128 v[98:101], v2 offset:1040
	v_fmac_f64_e32 v[104:105], v[96:97], v[10:11]
	v_fma_f64 v[10:11], v[94:95], v[10:11], -v[12:13]
	s_wait_loadcnt_dscnt 0x301
	v_mul_f64_e32 v[102:103], v[86:87], v[140:141]
	v_mul_f64_e32 v[108:109], v[88:89], v[140:141]
	s_wait_loadcnt_dscnt 0x200
	v_mul_f64_e32 v[12:13], v[98:99], v[84:85]
	v_mul_f64_e32 v[84:85], v[100:101], v[84:85]
	v_add_f64_e32 v[4:5], v[4:5], v[106:107]
	v_add_f64_e32 v[8:9], v[8:9], v[110:111]
	v_fmac_f64_e32 v[102:103], v[88:89], v[138:139]
	v_fma_f64 v[86:87], v[86:87], v[138:139], -v[108:109]
	v_fmac_f64_e32 v[12:13], v[100:101], v[82:83]
	v_fma_f64 v[82:83], v[98:99], v[82:83], -v[84:85]
	v_add_f64_e32 v[88:89], v[4:5], v[10:11]
	v_add_f64_e32 v[94:95], v[8:9], v[104:105]
	ds_load_b128 v[8:11], v2 offset:1056
	ds_load_b128 v[2:5], v2 offset:1072
	s_wait_loadcnt_dscnt 0x101
	v_mul_f64_e32 v[96:97], v[8:9], v[128:129]
	v_mul_f64_e32 v[104:105], v[10:11], v[128:129]
	v_add_f64_e32 v[84:85], v[88:89], v[86:87]
	v_add_f64_e32 v[86:87], v[94:95], v[102:103]
	s_wait_loadcnt_dscnt 0x0
	v_mul_f64_e32 v[88:89], v[2:3], v[92:93]
	v_mul_f64_e32 v[92:93], v[4:5], v[92:93]
	v_fmac_f64_e32 v[96:97], v[10:11], v[126:127]
	v_fma_f64 v[8:9], v[8:9], v[126:127], -v[104:105]
	v_add_f64_e32 v[10:11], v[84:85], v[82:83]
	v_add_f64_e32 v[12:13], v[86:87], v[12:13]
	v_fmac_f64_e32 v[88:89], v[4:5], v[90:91]
	v_fma_f64 v[2:3], v[2:3], v[90:91], -v[92:93]
	s_delay_alu instid0(VALU_DEP_4) | instskip(NEXT) | instid1(VALU_DEP_4)
	v_add_f64_e32 v[4:5], v[10:11], v[8:9]
	v_add_f64_e32 v[8:9], v[12:13], v[96:97]
	s_delay_alu instid0(VALU_DEP_2) | instskip(NEXT) | instid1(VALU_DEP_2)
	v_add_f64_e32 v[2:3], v[4:5], v[2:3]
	v_add_f64_e32 v[4:5], v[8:9], v[88:89]
	s_delay_alu instid0(VALU_DEP_2) | instskip(NEXT) | instid1(VALU_DEP_2)
	v_add_f64_e64 v[2:3], v[130:131], -v[2:3]
	v_add_f64_e64 v[4:5], v[132:133], -v[4:5]
	scratch_store_b128 off, v[2:5], off offset:272
	s_wait_xcnt 0x0
	v_cmpx_lt_u32_e32 16, v1
	s_cbranch_execz .LBB97_185
; %bb.184:
	scratch_load_b128 v[2:5], off, s34
	v_mov_b32_e32 v8, 0
	s_delay_alu instid0(VALU_DEP_1)
	v_dual_mov_b32 v9, v8 :: v_dual_mov_b32 v10, v8
	v_mov_b32_e32 v11, v8
	scratch_store_b128 off, v[8:11], off offset:256
	s_wait_loadcnt 0x0
	ds_store_b128 v6, v[2:5]
.LBB97_185:
	s_wait_xcnt 0x0
	s_or_b32 exec_lo, exec_lo, s2
	s_wait_storecnt_dscnt 0x0
	s_barrier_signal -1
	s_barrier_wait -1
	s_clause 0x9
	scratch_load_b128 v[8:11], off, off offset:272
	scratch_load_b128 v[82:85], off, off offset:288
	;; [unrolled: 1-line block ×10, first 2 shown]
	v_mov_b32_e32 v2, 0
	s_mov_b32 s2, exec_lo
	ds_load_b128 v[118:121], v2 offset:816
	s_clause 0x2
	scratch_load_b128 v[122:125], off, off offset:432
	scratch_load_b128 v[126:129], off, off offset:256
	;; [unrolled: 1-line block ×3, first 2 shown]
	s_wait_loadcnt_dscnt 0xc00
	v_mul_f64_e32 v[4:5], v[120:121], v[10:11]
	v_mul_f64_e32 v[142:143], v[118:119], v[10:11]
	ds_load_b128 v[130:133], v2 offset:832
	scratch_load_b128 v[10:13], off, off offset:448
	ds_load_b128 v[138:141], v2 offset:864
	v_fma_f64 v[4:5], v[118:119], v[8:9], -v[4:5]
	v_fmac_f64_e32 v[142:143], v[120:121], v[8:9]
	ds_load_b128 v[118:121], v2 offset:848
	s_wait_loadcnt_dscnt 0xc02
	v_mul_f64_e32 v[144:145], v[130:131], v[84:85]
	v_mul_f64_e32 v[84:85], v[132:133], v[84:85]
	s_wait_loadcnt_dscnt 0xb00
	v_mul_f64_e32 v[8:9], v[118:119], v[88:89]
	v_mul_f64_e32 v[88:89], v[120:121], v[88:89]
	v_add_f64_e32 v[4:5], 0, v[4:5]
	v_fmac_f64_e32 v[144:145], v[132:133], v[82:83]
	v_fma_f64 v[130:131], v[130:131], v[82:83], -v[84:85]
	v_add_f64_e32 v[132:133], 0, v[142:143]
	scratch_load_b128 v[82:85], off, off offset:480
	v_fmac_f64_e32 v[8:9], v[120:121], v[86:87]
	v_fma_f64 v[146:147], v[118:119], v[86:87], -v[88:89]
	ds_load_b128 v[86:89], v2 offset:880
	s_wait_loadcnt 0xb
	v_mul_f64_e32 v[142:143], v[138:139], v[92:93]
	v_mul_f64_e32 v[92:93], v[140:141], v[92:93]
	scratch_load_b128 v[118:121], off, off offset:496
	v_add_f64_e32 v[4:5], v[4:5], v[130:131]
	v_add_f64_e32 v[144:145], v[132:133], v[144:145]
	ds_load_b128 v[130:133], v2 offset:896
	s_wait_loadcnt_dscnt 0xb01
	v_mul_f64_e32 v[148:149], v[86:87], v[96:97]
	v_mul_f64_e32 v[96:97], v[88:89], v[96:97]
	v_fmac_f64_e32 v[142:143], v[140:141], v[90:91]
	v_fma_f64 v[138:139], v[138:139], v[90:91], -v[92:93]
	scratch_load_b128 v[90:93], off, off offset:512
	v_add_f64_e32 v[4:5], v[4:5], v[146:147]
	v_add_f64_e32 v[8:9], v[144:145], v[8:9]
	v_fmac_f64_e32 v[148:149], v[88:89], v[94:95]
	v_fma_f64 v[146:147], v[86:87], v[94:95], -v[96:97]
	ds_load_b128 v[86:89], v2 offset:912
	s_wait_loadcnt_dscnt 0xb01
	v_mul_f64_e32 v[144:145], v[130:131], v[100:101]
	v_mul_f64_e32 v[100:101], v[132:133], v[100:101]
	scratch_load_b128 v[94:97], off, off offset:528
	v_add_f64_e32 v[4:5], v[4:5], v[138:139]
	v_add_f64_e32 v[8:9], v[8:9], v[142:143]
	s_wait_loadcnt_dscnt 0xb00
	v_mul_f64_e32 v[142:143], v[86:87], v[104:105]
	v_mul_f64_e32 v[104:105], v[88:89], v[104:105]
	ds_load_b128 v[138:141], v2 offset:928
	v_fmac_f64_e32 v[144:145], v[132:133], v[98:99]
	v_fma_f64 v[98:99], v[130:131], v[98:99], -v[100:101]
	s_wait_loadcnt_dscnt 0xa00
	v_mul_f64_e32 v[130:131], v[138:139], v[108:109]
	v_mul_f64_e32 v[108:109], v[140:141], v[108:109]
	v_add_f64_e32 v[4:5], v[4:5], v[146:147]
	v_add_f64_e32 v[8:9], v[8:9], v[148:149]
	v_fmac_f64_e32 v[142:143], v[88:89], v[102:103]
	v_fma_f64 v[102:103], v[86:87], v[102:103], -v[104:105]
	v_fmac_f64_e32 v[130:131], v[140:141], v[106:107]
	v_fma_f64 v[106:107], v[138:139], v[106:107], -v[108:109]
	v_add_f64_e32 v[4:5], v[4:5], v[98:99]
	v_add_f64_e32 v[8:9], v[8:9], v[144:145]
	ds_load_b128 v[86:89], v2 offset:944
	ds_load_b128 v[98:101], v2 offset:960
	s_wait_loadcnt_dscnt 0x901
	v_mul_f64_e32 v[132:133], v[86:87], v[112:113]
	v_mul_f64_e32 v[104:105], v[88:89], v[112:113]
	s_wait_loadcnt_dscnt 0x800
	v_mul_f64_e32 v[108:109], v[98:99], v[116:117]
	v_mul_f64_e32 v[112:113], v[100:101], v[116:117]
	v_add_f64_e32 v[4:5], v[4:5], v[102:103]
	v_add_f64_e32 v[8:9], v[8:9], v[142:143]
	v_fmac_f64_e32 v[132:133], v[88:89], v[110:111]
	v_fma_f64 v[110:111], v[86:87], v[110:111], -v[104:105]
	ds_load_b128 v[86:89], v2 offset:976
	ds_load_b128 v[102:105], v2 offset:992
	v_fmac_f64_e32 v[108:109], v[100:101], v[114:115]
	v_fma_f64 v[98:99], v[98:99], v[114:115], -v[112:113]
	v_add_f64_e32 v[4:5], v[4:5], v[106:107]
	v_add_f64_e32 v[8:9], v[8:9], v[130:131]
	s_wait_loadcnt_dscnt 0x701
	v_mul_f64_e32 v[106:107], v[86:87], v[124:125]
	v_mul_f64_e32 v[116:117], v[88:89], v[124:125]
	s_delay_alu instid0(VALU_DEP_4) | instskip(NEXT) | instid1(VALU_DEP_4)
	v_add_f64_e32 v[4:5], v[4:5], v[110:111]
	v_add_f64_e32 v[8:9], v[8:9], v[132:133]
	s_wait_loadcnt_dscnt 0x400
	v_mul_f64_e32 v[110:111], v[102:103], v[12:13]
	v_mul_f64_e32 v[12:13], v[104:105], v[12:13]
	v_fmac_f64_e32 v[106:107], v[88:89], v[122:123]
	v_fma_f64 v[112:113], v[86:87], v[122:123], -v[116:117]
	v_add_f64_e32 v[4:5], v[4:5], v[98:99]
	v_add_f64_e32 v[8:9], v[8:9], v[108:109]
	ds_load_b128 v[86:89], v2 offset:1008
	ds_load_b128 v[98:101], v2 offset:1024
	v_fmac_f64_e32 v[110:111], v[104:105], v[10:11]
	v_fma_f64 v[10:11], v[102:103], v[10:11], -v[12:13]
	s_wait_dscnt 0x1
	v_mul_f64_e32 v[108:109], v[86:87], v[136:137]
	v_mul_f64_e32 v[114:115], v[88:89], v[136:137]
	v_add_f64_e32 v[4:5], v[4:5], v[112:113]
	v_add_f64_e32 v[8:9], v[8:9], v[106:107]
	s_wait_loadcnt_dscnt 0x300
	v_mul_f64_e32 v[12:13], v[98:99], v[84:85]
	v_mul_f64_e32 v[102:103], v[100:101], v[84:85]
	v_fmac_f64_e32 v[108:109], v[88:89], v[134:135]
	v_fma_f64 v[88:89], v[86:87], v[134:135], -v[114:115]
	v_add_f64_e32 v[4:5], v[4:5], v[10:11]
	v_add_f64_e32 v[104:105], v[8:9], v[110:111]
	ds_load_b128 v[8:11], v2 offset:1040
	ds_load_b128 v[84:87], v2 offset:1056
	v_fmac_f64_e32 v[12:13], v[100:101], v[82:83]
	v_fma_f64 v[82:83], v[98:99], v[82:83], -v[102:103]
	s_wait_loadcnt_dscnt 0x201
	v_mul_f64_e32 v[106:107], v[8:9], v[120:121]
	v_mul_f64_e32 v[110:111], v[10:11], v[120:121]
	s_wait_loadcnt_dscnt 0x100
	v_mul_f64_e32 v[98:99], v[84:85], v[92:93]
	v_mul_f64_e32 v[92:93], v[86:87], v[92:93]
	v_add_f64_e32 v[4:5], v[4:5], v[88:89]
	v_add_f64_e32 v[88:89], v[104:105], v[108:109]
	v_fmac_f64_e32 v[106:107], v[10:11], v[118:119]
	v_fma_f64 v[100:101], v[8:9], v[118:119], -v[110:111]
	ds_load_b128 v[8:11], v2 offset:1072
	v_fmac_f64_e32 v[98:99], v[86:87], v[90:91]
	v_fma_f64 v[84:85], v[84:85], v[90:91], -v[92:93]
	v_add_f64_e32 v[4:5], v[4:5], v[82:83]
	v_add_f64_e32 v[12:13], v[88:89], v[12:13]
	s_wait_loadcnt_dscnt 0x0
	v_mul_f64_e32 v[82:83], v[8:9], v[96:97]
	v_mul_f64_e32 v[88:89], v[10:11], v[96:97]
	s_delay_alu instid0(VALU_DEP_4) | instskip(NEXT) | instid1(VALU_DEP_4)
	v_add_f64_e32 v[4:5], v[4:5], v[100:101]
	v_add_f64_e32 v[12:13], v[12:13], v[106:107]
	s_delay_alu instid0(VALU_DEP_4) | instskip(NEXT) | instid1(VALU_DEP_4)
	v_fmac_f64_e32 v[82:83], v[10:11], v[94:95]
	v_fma_f64 v[8:9], v[8:9], v[94:95], -v[88:89]
	s_delay_alu instid0(VALU_DEP_4) | instskip(NEXT) | instid1(VALU_DEP_4)
	v_add_f64_e32 v[4:5], v[4:5], v[84:85]
	v_add_f64_e32 v[10:11], v[12:13], v[98:99]
	s_delay_alu instid0(VALU_DEP_2) | instskip(NEXT) | instid1(VALU_DEP_2)
	v_add_f64_e32 v[4:5], v[4:5], v[8:9]
	v_add_f64_e32 v[10:11], v[10:11], v[82:83]
	s_delay_alu instid0(VALU_DEP_2) | instskip(NEXT) | instid1(VALU_DEP_2)
	v_add_f64_e64 v[8:9], v[126:127], -v[4:5]
	v_add_f64_e64 v[10:11], v[128:129], -v[10:11]
	scratch_store_b128 off, v[8:11], off offset:256
	s_wait_xcnt 0x0
	v_cmpx_lt_u32_e32 15, v1
	s_cbranch_execz .LBB97_187
; %bb.186:
	scratch_load_b128 v[8:11], off, s35
	v_dual_mov_b32 v3, v2 :: v_dual_mov_b32 v4, v2
	v_mov_b32_e32 v5, v2
	scratch_store_b128 off, v[2:5], off offset:240
	s_wait_loadcnt 0x0
	ds_store_b128 v6, v[8:11]
.LBB97_187:
	s_wait_xcnt 0x0
	s_or_b32 exec_lo, exec_lo, s2
	s_wait_storecnt_dscnt 0x0
	s_barrier_signal -1
	s_barrier_wait -1
	s_clause 0x9
	scratch_load_b128 v[8:11], off, off offset:256
	scratch_load_b128 v[82:85], off, off offset:272
	;; [unrolled: 1-line block ×10, first 2 shown]
	ds_load_b128 v[118:121], v2 offset:800
	ds_load_b128 v[126:129], v2 offset:816
	s_clause 0x1
	scratch_load_b128 v[122:125], off, off offset:416
	scratch_load_b128 v[130:133], off, off offset:240
	s_mov_b32 s2, exec_lo
	s_wait_loadcnt_dscnt 0xb01
	v_mul_f64_e32 v[4:5], v[120:121], v[10:11]
	v_mul_f64_e32 v[142:143], v[118:119], v[10:11]
	scratch_load_b128 v[10:13], off, off offset:432
	s_wait_loadcnt_dscnt 0xb00
	v_mul_f64_e32 v[144:145], v[126:127], v[84:85]
	v_mul_f64_e32 v[84:85], v[128:129], v[84:85]
	v_fma_f64 v[4:5], v[118:119], v[8:9], -v[4:5]
	v_fmac_f64_e32 v[142:143], v[120:121], v[8:9]
	ds_load_b128 v[118:121], v2 offset:832
	ds_load_b128 v[134:137], v2 offset:848
	scratch_load_b128 v[138:141], off, off offset:448
	v_fmac_f64_e32 v[144:145], v[128:129], v[82:83]
	v_fma_f64 v[126:127], v[126:127], v[82:83], -v[84:85]
	scratch_load_b128 v[82:85], off, off offset:464
	s_wait_loadcnt_dscnt 0xc01
	v_mul_f64_e32 v[8:9], v[118:119], v[88:89]
	v_mul_f64_e32 v[88:89], v[120:121], v[88:89]
	v_add_f64_e32 v[4:5], 0, v[4:5]
	v_add_f64_e32 v[128:129], 0, v[142:143]
	s_wait_loadcnt_dscnt 0xb00
	v_mul_f64_e32 v[142:143], v[134:135], v[92:93]
	v_mul_f64_e32 v[92:93], v[136:137], v[92:93]
	v_fmac_f64_e32 v[8:9], v[120:121], v[86:87]
	v_fma_f64 v[146:147], v[118:119], v[86:87], -v[88:89]
	ds_load_b128 v[86:89], v2 offset:864
	ds_load_b128 v[118:121], v2 offset:880
	v_add_f64_e32 v[4:5], v[4:5], v[126:127]
	v_add_f64_e32 v[144:145], v[128:129], v[144:145]
	scratch_load_b128 v[126:129], off, off offset:480
	v_fmac_f64_e32 v[142:143], v[136:137], v[90:91]
	v_fma_f64 v[134:135], v[134:135], v[90:91], -v[92:93]
	scratch_load_b128 v[90:93], off, off offset:496
	s_wait_loadcnt_dscnt 0xc01
	v_mul_f64_e32 v[148:149], v[86:87], v[96:97]
	v_mul_f64_e32 v[96:97], v[88:89], v[96:97]
	v_add_f64_e32 v[4:5], v[4:5], v[146:147]
	v_add_f64_e32 v[8:9], v[144:145], v[8:9]
	s_wait_loadcnt_dscnt 0xb00
	v_mul_f64_e32 v[144:145], v[118:119], v[100:101]
	v_mul_f64_e32 v[100:101], v[120:121], v[100:101]
	v_fmac_f64_e32 v[148:149], v[88:89], v[94:95]
	v_fma_f64 v[146:147], v[86:87], v[94:95], -v[96:97]
	ds_load_b128 v[86:89], v2 offset:896
	ds_load_b128 v[94:97], v2 offset:912
	v_add_f64_e32 v[4:5], v[4:5], v[134:135]
	v_add_f64_e32 v[8:9], v[8:9], v[142:143]
	scratch_load_b128 v[134:137], off, off offset:512
	s_wait_loadcnt_dscnt 0xb01
	v_mul_f64_e32 v[142:143], v[86:87], v[104:105]
	v_mul_f64_e32 v[104:105], v[88:89], v[104:105]
	v_fmac_f64_e32 v[144:145], v[120:121], v[98:99]
	v_fma_f64 v[118:119], v[118:119], v[98:99], -v[100:101]
	scratch_load_b128 v[98:101], off, off offset:528
	s_wait_loadcnt_dscnt 0xb00
	v_mul_f64_e32 v[120:121], v[94:95], v[108:109]
	v_mul_f64_e32 v[108:109], v[96:97], v[108:109]
	v_add_f64_e32 v[4:5], v[4:5], v[146:147]
	v_add_f64_e32 v[8:9], v[8:9], v[148:149]
	v_fmac_f64_e32 v[142:143], v[88:89], v[102:103]
	v_fma_f64 v[146:147], v[86:87], v[102:103], -v[104:105]
	ds_load_b128 v[86:89], v2 offset:928
	ds_load_b128 v[102:105], v2 offset:944
	v_fmac_f64_e32 v[120:121], v[96:97], v[106:107]
	v_fma_f64 v[94:95], v[94:95], v[106:107], -v[108:109]
	s_wait_loadcnt_dscnt 0x900
	v_mul_f64_e32 v[106:107], v[102:103], v[116:117]
	v_mul_f64_e32 v[108:109], v[104:105], v[116:117]
	v_add_f64_e32 v[4:5], v[4:5], v[118:119]
	v_add_f64_e32 v[8:9], v[8:9], v[144:145]
	v_mul_f64_e32 v[118:119], v[86:87], v[112:113]
	v_mul_f64_e32 v[112:113], v[88:89], v[112:113]
	v_fmac_f64_e32 v[106:107], v[104:105], v[114:115]
	v_fma_f64 v[102:103], v[102:103], v[114:115], -v[108:109]
	v_add_f64_e32 v[4:5], v[4:5], v[146:147]
	v_add_f64_e32 v[8:9], v[8:9], v[142:143]
	v_fmac_f64_e32 v[118:119], v[88:89], v[110:111]
	v_fma_f64 v[110:111], v[86:87], v[110:111], -v[112:113]
	s_delay_alu instid0(VALU_DEP_4) | instskip(NEXT) | instid1(VALU_DEP_4)
	v_add_f64_e32 v[4:5], v[4:5], v[94:95]
	v_add_f64_e32 v[8:9], v[8:9], v[120:121]
	ds_load_b128 v[86:89], v2 offset:960
	ds_load_b128 v[94:97], v2 offset:976
	s_wait_loadcnt_dscnt 0x801
	v_mul_f64_e32 v[112:113], v[86:87], v[124:125]
	v_mul_f64_e32 v[116:117], v[88:89], v[124:125]
	v_add_f64_e32 v[4:5], v[4:5], v[110:111]
	v_add_f64_e32 v[8:9], v[8:9], v[118:119]
	s_wait_loadcnt_dscnt 0x600
	v_mul_f64_e32 v[108:109], v[94:95], v[12:13]
	v_mul_f64_e32 v[12:13], v[96:97], v[12:13]
	v_fmac_f64_e32 v[112:113], v[88:89], v[122:123]
	v_fma_f64 v[110:111], v[86:87], v[122:123], -v[116:117]
	v_add_f64_e32 v[4:5], v[4:5], v[102:103]
	v_add_f64_e32 v[8:9], v[8:9], v[106:107]
	ds_load_b128 v[86:89], v2 offset:992
	ds_load_b128 v[102:105], v2 offset:1008
	v_fmac_f64_e32 v[108:109], v[96:97], v[10:11]
	v_fma_f64 v[10:11], v[94:95], v[10:11], -v[12:13]
	s_wait_loadcnt_dscnt 0x501
	v_mul_f64_e32 v[106:107], v[86:87], v[140:141]
	v_mul_f64_e32 v[114:115], v[88:89], v[140:141]
	s_wait_loadcnt_dscnt 0x400
	v_mul_f64_e32 v[12:13], v[102:103], v[84:85]
	v_mul_f64_e32 v[94:95], v[104:105], v[84:85]
	v_add_f64_e32 v[4:5], v[4:5], v[110:111]
	v_add_f64_e32 v[8:9], v[8:9], v[112:113]
	v_fmac_f64_e32 v[106:107], v[88:89], v[138:139]
	v_fma_f64 v[88:89], v[86:87], v[138:139], -v[114:115]
	v_fmac_f64_e32 v[12:13], v[104:105], v[82:83]
	v_fma_f64 v[82:83], v[102:103], v[82:83], -v[94:95]
	v_add_f64_e32 v[4:5], v[4:5], v[10:11]
	v_add_f64_e32 v[96:97], v[8:9], v[108:109]
	ds_load_b128 v[8:11], v2 offset:1024
	ds_load_b128 v[84:87], v2 offset:1040
	s_wait_loadcnt_dscnt 0x301
	v_mul_f64_e32 v[108:109], v[8:9], v[128:129]
	v_mul_f64_e32 v[110:111], v[10:11], v[128:129]
	s_wait_loadcnt_dscnt 0x200
	v_mul_f64_e32 v[94:95], v[84:85], v[92:93]
	v_mul_f64_e32 v[92:93], v[86:87], v[92:93]
	v_add_f64_e32 v[4:5], v[4:5], v[88:89]
	v_add_f64_e32 v[88:89], v[96:97], v[106:107]
	v_fmac_f64_e32 v[108:109], v[10:11], v[126:127]
	v_fma_f64 v[96:97], v[8:9], v[126:127], -v[110:111]
	v_fmac_f64_e32 v[94:95], v[86:87], v[90:91]
	v_fma_f64 v[84:85], v[84:85], v[90:91], -v[92:93]
	v_add_f64_e32 v[82:83], v[4:5], v[82:83]
	v_add_f64_e32 v[12:13], v[88:89], v[12:13]
	ds_load_b128 v[8:11], v2 offset:1056
	ds_load_b128 v[2:5], v2 offset:1072
	s_wait_loadcnt_dscnt 0x101
	v_mul_f64_e32 v[88:89], v[8:9], v[136:137]
	v_mul_f64_e32 v[102:103], v[10:11], v[136:137]
	s_wait_loadcnt_dscnt 0x0
	v_mul_f64_e32 v[86:87], v[2:3], v[100:101]
	v_mul_f64_e32 v[90:91], v[4:5], v[100:101]
	v_add_f64_e32 v[82:83], v[82:83], v[96:97]
	v_add_f64_e32 v[12:13], v[12:13], v[108:109]
	v_fmac_f64_e32 v[88:89], v[10:11], v[134:135]
	v_fma_f64 v[8:9], v[8:9], v[134:135], -v[102:103]
	v_fmac_f64_e32 v[86:87], v[4:5], v[98:99]
	v_fma_f64 v[2:3], v[2:3], v[98:99], -v[90:91]
	v_add_f64_e32 v[10:11], v[82:83], v[84:85]
	v_add_f64_e32 v[12:13], v[12:13], v[94:95]
	s_delay_alu instid0(VALU_DEP_2) | instskip(NEXT) | instid1(VALU_DEP_2)
	v_add_f64_e32 v[4:5], v[10:11], v[8:9]
	v_add_f64_e32 v[8:9], v[12:13], v[88:89]
	s_delay_alu instid0(VALU_DEP_2) | instskip(NEXT) | instid1(VALU_DEP_2)
	;; [unrolled: 3-line block ×3, first 2 shown]
	v_add_f64_e64 v[2:3], v[130:131], -v[2:3]
	v_add_f64_e64 v[4:5], v[132:133], -v[4:5]
	scratch_store_b128 off, v[2:5], off offset:240
	s_wait_xcnt 0x0
	v_cmpx_lt_u32_e32 14, v1
	s_cbranch_execz .LBB97_189
; %bb.188:
	scratch_load_b128 v[2:5], off, s36
	v_mov_b32_e32 v8, 0
	s_delay_alu instid0(VALU_DEP_1)
	v_dual_mov_b32 v9, v8 :: v_dual_mov_b32 v10, v8
	v_mov_b32_e32 v11, v8
	scratch_store_b128 off, v[8:11], off offset:224
	s_wait_loadcnt 0x0
	ds_store_b128 v6, v[2:5]
.LBB97_189:
	s_wait_xcnt 0x0
	s_or_b32 exec_lo, exec_lo, s2
	s_wait_storecnt_dscnt 0x0
	s_barrier_signal -1
	s_barrier_wait -1
	s_clause 0x9
	scratch_load_b128 v[8:11], off, off offset:240
	scratch_load_b128 v[82:85], off, off offset:256
	scratch_load_b128 v[86:89], off, off offset:272
	scratch_load_b128 v[90:93], off, off offset:288
	scratch_load_b128 v[94:97], off, off offset:304
	scratch_load_b128 v[98:101], off, off offset:320
	scratch_load_b128 v[102:105], off, off offset:336
	scratch_load_b128 v[106:109], off, off offset:352
	scratch_load_b128 v[110:113], off, off offset:368
	scratch_load_b128 v[114:117], off, off offset:384
	v_mov_b32_e32 v2, 0
	s_mov_b32 s2, exec_lo
	ds_load_b128 v[118:121], v2 offset:784
	s_clause 0x2
	scratch_load_b128 v[122:125], off, off offset:400
	scratch_load_b128 v[126:129], off, off offset:224
	;; [unrolled: 1-line block ×3, first 2 shown]
	s_wait_loadcnt_dscnt 0xc00
	v_mul_f64_e32 v[4:5], v[120:121], v[10:11]
	v_mul_f64_e32 v[142:143], v[118:119], v[10:11]
	ds_load_b128 v[130:133], v2 offset:800
	scratch_load_b128 v[10:13], off, off offset:416
	ds_load_b128 v[138:141], v2 offset:832
	v_fma_f64 v[4:5], v[118:119], v[8:9], -v[4:5]
	v_fmac_f64_e32 v[142:143], v[120:121], v[8:9]
	ds_load_b128 v[118:121], v2 offset:816
	s_wait_loadcnt_dscnt 0xc02
	v_mul_f64_e32 v[144:145], v[130:131], v[84:85]
	v_mul_f64_e32 v[84:85], v[132:133], v[84:85]
	s_wait_loadcnt_dscnt 0xb00
	v_mul_f64_e32 v[8:9], v[118:119], v[88:89]
	v_mul_f64_e32 v[88:89], v[120:121], v[88:89]
	v_add_f64_e32 v[4:5], 0, v[4:5]
	v_fmac_f64_e32 v[144:145], v[132:133], v[82:83]
	v_fma_f64 v[130:131], v[130:131], v[82:83], -v[84:85]
	v_add_f64_e32 v[132:133], 0, v[142:143]
	scratch_load_b128 v[82:85], off, off offset:448
	v_fmac_f64_e32 v[8:9], v[120:121], v[86:87]
	v_fma_f64 v[146:147], v[118:119], v[86:87], -v[88:89]
	ds_load_b128 v[86:89], v2 offset:848
	s_wait_loadcnt 0xb
	v_mul_f64_e32 v[142:143], v[138:139], v[92:93]
	v_mul_f64_e32 v[92:93], v[140:141], v[92:93]
	scratch_load_b128 v[118:121], off, off offset:464
	v_add_f64_e32 v[4:5], v[4:5], v[130:131]
	v_add_f64_e32 v[144:145], v[132:133], v[144:145]
	ds_load_b128 v[130:133], v2 offset:864
	s_wait_loadcnt_dscnt 0xb01
	v_mul_f64_e32 v[148:149], v[86:87], v[96:97]
	v_mul_f64_e32 v[96:97], v[88:89], v[96:97]
	v_fmac_f64_e32 v[142:143], v[140:141], v[90:91]
	v_fma_f64 v[138:139], v[138:139], v[90:91], -v[92:93]
	scratch_load_b128 v[90:93], off, off offset:480
	v_add_f64_e32 v[4:5], v[4:5], v[146:147]
	v_add_f64_e32 v[8:9], v[144:145], v[8:9]
	v_fmac_f64_e32 v[148:149], v[88:89], v[94:95]
	v_fma_f64 v[146:147], v[86:87], v[94:95], -v[96:97]
	ds_load_b128 v[86:89], v2 offset:880
	s_wait_loadcnt_dscnt 0xb01
	v_mul_f64_e32 v[144:145], v[130:131], v[100:101]
	v_mul_f64_e32 v[100:101], v[132:133], v[100:101]
	scratch_load_b128 v[94:97], off, off offset:496
	v_add_f64_e32 v[4:5], v[4:5], v[138:139]
	v_add_f64_e32 v[8:9], v[8:9], v[142:143]
	s_wait_loadcnt_dscnt 0xb00
	v_mul_f64_e32 v[142:143], v[86:87], v[104:105]
	v_mul_f64_e32 v[104:105], v[88:89], v[104:105]
	ds_load_b128 v[138:141], v2 offset:896
	v_fmac_f64_e32 v[144:145], v[132:133], v[98:99]
	v_fma_f64 v[130:131], v[130:131], v[98:99], -v[100:101]
	scratch_load_b128 v[98:101], off, off offset:512
	v_add_f64_e32 v[4:5], v[4:5], v[146:147]
	v_add_f64_e32 v[8:9], v[8:9], v[148:149]
	v_fmac_f64_e32 v[142:143], v[88:89], v[102:103]
	v_fma_f64 v[148:149], v[86:87], v[102:103], -v[104:105]
	ds_load_b128 v[86:89], v2 offset:912
	s_wait_loadcnt_dscnt 0xb01
	v_mul_f64_e32 v[146:147], v[138:139], v[108:109]
	v_mul_f64_e32 v[108:109], v[140:141], v[108:109]
	scratch_load_b128 v[102:105], off, off offset:528
	v_add_f64_e32 v[4:5], v[4:5], v[130:131]
	v_add_f64_e32 v[8:9], v[8:9], v[144:145]
	s_wait_loadcnt_dscnt 0xb00
	v_mul_f64_e32 v[144:145], v[86:87], v[112:113]
	v_mul_f64_e32 v[112:113], v[88:89], v[112:113]
	ds_load_b128 v[130:133], v2 offset:928
	v_fmac_f64_e32 v[146:147], v[140:141], v[106:107]
	v_fma_f64 v[106:107], v[138:139], v[106:107], -v[108:109]
	s_wait_loadcnt_dscnt 0xa00
	v_mul_f64_e32 v[138:139], v[130:131], v[116:117]
	v_mul_f64_e32 v[116:117], v[132:133], v[116:117]
	v_add_f64_e32 v[4:5], v[4:5], v[148:149]
	v_add_f64_e32 v[8:9], v[8:9], v[142:143]
	v_fmac_f64_e32 v[144:145], v[88:89], v[110:111]
	v_fma_f64 v[110:111], v[86:87], v[110:111], -v[112:113]
	v_fmac_f64_e32 v[138:139], v[132:133], v[114:115]
	v_fma_f64 v[114:115], v[130:131], v[114:115], -v[116:117]
	v_add_f64_e32 v[4:5], v[4:5], v[106:107]
	v_add_f64_e32 v[8:9], v[8:9], v[146:147]
	ds_load_b128 v[86:89], v2 offset:944
	ds_load_b128 v[106:109], v2 offset:960
	s_wait_loadcnt_dscnt 0x901
	v_mul_f64_e32 v[140:141], v[86:87], v[124:125]
	v_mul_f64_e32 v[112:113], v[88:89], v[124:125]
	s_wait_loadcnt_dscnt 0x600
	v_mul_f64_e32 v[116:117], v[106:107], v[12:13]
	v_add_f64_e32 v[4:5], v[4:5], v[110:111]
	v_add_f64_e32 v[8:9], v[8:9], v[144:145]
	v_mul_f64_e32 v[12:13], v[108:109], v[12:13]
	v_fmac_f64_e32 v[140:141], v[88:89], v[122:123]
	v_fma_f64 v[122:123], v[86:87], v[122:123], -v[112:113]
	ds_load_b128 v[86:89], v2 offset:976
	ds_load_b128 v[110:113], v2 offset:992
	v_fmac_f64_e32 v[116:117], v[108:109], v[10:11]
	v_add_f64_e32 v[4:5], v[4:5], v[114:115]
	v_add_f64_e32 v[8:9], v[8:9], v[138:139]
	v_fma_f64 v[10:11], v[106:107], v[10:11], -v[12:13]
	s_wait_dscnt 0x1
	v_mul_f64_e32 v[114:115], v[86:87], v[136:137]
	v_mul_f64_e32 v[124:125], v[88:89], v[136:137]
	v_add_f64_e32 v[4:5], v[4:5], v[122:123]
	v_add_f64_e32 v[8:9], v[8:9], v[140:141]
	s_wait_loadcnt_dscnt 0x500
	v_mul_f64_e32 v[12:13], v[110:111], v[84:85]
	v_mul_f64_e32 v[106:107], v[112:113], v[84:85]
	v_fmac_f64_e32 v[114:115], v[88:89], v[134:135]
	v_fma_f64 v[88:89], v[86:87], v[134:135], -v[124:125]
	v_add_f64_e32 v[4:5], v[4:5], v[10:11]
	v_add_f64_e32 v[108:109], v[8:9], v[116:117]
	ds_load_b128 v[8:11], v2 offset:1008
	ds_load_b128 v[84:87], v2 offset:1024
	v_fmac_f64_e32 v[12:13], v[112:113], v[82:83]
	v_fma_f64 v[82:83], v[110:111], v[82:83], -v[106:107]
	s_wait_loadcnt_dscnt 0x401
	v_mul_f64_e32 v[116:117], v[8:9], v[120:121]
	v_mul_f64_e32 v[120:121], v[10:11], v[120:121]
	s_wait_loadcnt_dscnt 0x300
	v_mul_f64_e32 v[110:111], v[84:85], v[92:93]
	v_mul_f64_e32 v[92:93], v[86:87], v[92:93]
	v_add_f64_e32 v[4:5], v[4:5], v[88:89]
	v_add_f64_e32 v[88:89], v[108:109], v[114:115]
	v_fmac_f64_e32 v[116:117], v[10:11], v[118:119]
	v_fma_f64 v[112:113], v[8:9], v[118:119], -v[120:121]
	ds_load_b128 v[8:11], v2 offset:1040
	ds_load_b128 v[106:109], v2 offset:1056
	v_fmac_f64_e32 v[110:111], v[86:87], v[90:91]
	v_fma_f64 v[84:85], v[84:85], v[90:91], -v[92:93]
	v_add_f64_e32 v[4:5], v[4:5], v[82:83]
	v_add_f64_e32 v[12:13], v[88:89], v[12:13]
	s_wait_loadcnt_dscnt 0x201
	v_mul_f64_e32 v[82:83], v[8:9], v[96:97]
	v_mul_f64_e32 v[88:89], v[10:11], v[96:97]
	s_wait_loadcnt_dscnt 0x100
	v_mul_f64_e32 v[86:87], v[106:107], v[100:101]
	v_mul_f64_e32 v[90:91], v[108:109], v[100:101]
	v_add_f64_e32 v[4:5], v[4:5], v[112:113]
	v_add_f64_e32 v[12:13], v[12:13], v[116:117]
	v_fmac_f64_e32 v[82:83], v[10:11], v[94:95]
	v_fma_f64 v[88:89], v[8:9], v[94:95], -v[88:89]
	ds_load_b128 v[8:11], v2 offset:1072
	v_fmac_f64_e32 v[86:87], v[108:109], v[98:99]
	v_fma_f64 v[90:91], v[106:107], v[98:99], -v[90:91]
	s_wait_loadcnt_dscnt 0x0
	v_mul_f64_e32 v[92:93], v[10:11], v[104:105]
	v_add_f64_e32 v[4:5], v[4:5], v[84:85]
	v_add_f64_e32 v[12:13], v[12:13], v[110:111]
	v_mul_f64_e32 v[84:85], v[8:9], v[104:105]
	s_delay_alu instid0(VALU_DEP_4) | instskip(NEXT) | instid1(VALU_DEP_4)
	v_fma_f64 v[8:9], v[8:9], v[102:103], -v[92:93]
	v_add_f64_e32 v[4:5], v[4:5], v[88:89]
	s_delay_alu instid0(VALU_DEP_4) | instskip(NEXT) | instid1(VALU_DEP_4)
	v_add_f64_e32 v[12:13], v[12:13], v[82:83]
	v_fmac_f64_e32 v[84:85], v[10:11], v[102:103]
	s_delay_alu instid0(VALU_DEP_3) | instskip(NEXT) | instid1(VALU_DEP_3)
	v_add_f64_e32 v[4:5], v[4:5], v[90:91]
	v_add_f64_e32 v[10:11], v[12:13], v[86:87]
	s_delay_alu instid0(VALU_DEP_2) | instskip(NEXT) | instid1(VALU_DEP_2)
	v_add_f64_e32 v[4:5], v[4:5], v[8:9]
	v_add_f64_e32 v[10:11], v[10:11], v[84:85]
	s_delay_alu instid0(VALU_DEP_2) | instskip(NEXT) | instid1(VALU_DEP_2)
	v_add_f64_e64 v[8:9], v[126:127], -v[4:5]
	v_add_f64_e64 v[10:11], v[128:129], -v[10:11]
	scratch_store_b128 off, v[8:11], off offset:224
	s_wait_xcnt 0x0
	v_cmpx_lt_u32_e32 13, v1
	s_cbranch_execz .LBB97_191
; %bb.190:
	scratch_load_b128 v[8:11], off, s37
	v_dual_mov_b32 v3, v2 :: v_dual_mov_b32 v4, v2
	v_mov_b32_e32 v5, v2
	scratch_store_b128 off, v[2:5], off offset:208
	s_wait_loadcnt 0x0
	ds_store_b128 v6, v[8:11]
.LBB97_191:
	s_wait_xcnt 0x0
	s_or_b32 exec_lo, exec_lo, s2
	s_wait_storecnt_dscnt 0x0
	s_barrier_signal -1
	s_barrier_wait -1
	s_clause 0x9
	scratch_load_b128 v[8:11], off, off offset:224
	scratch_load_b128 v[82:85], off, off offset:240
	;; [unrolled: 1-line block ×10, first 2 shown]
	ds_load_b128 v[118:121], v2 offset:768
	ds_load_b128 v[126:129], v2 offset:784
	s_clause 0x1
	scratch_load_b128 v[122:125], off, off offset:384
	scratch_load_b128 v[130:133], off, off offset:208
	s_mov_b32 s2, exec_lo
	s_wait_loadcnt_dscnt 0xb01
	v_mul_f64_e32 v[4:5], v[120:121], v[10:11]
	v_mul_f64_e32 v[142:143], v[118:119], v[10:11]
	scratch_load_b128 v[10:13], off, off offset:400
	s_wait_loadcnt_dscnt 0xb00
	v_mul_f64_e32 v[144:145], v[126:127], v[84:85]
	v_mul_f64_e32 v[84:85], v[128:129], v[84:85]
	v_fma_f64 v[4:5], v[118:119], v[8:9], -v[4:5]
	v_fmac_f64_e32 v[142:143], v[120:121], v[8:9]
	ds_load_b128 v[118:121], v2 offset:800
	ds_load_b128 v[134:137], v2 offset:816
	scratch_load_b128 v[138:141], off, off offset:416
	v_fmac_f64_e32 v[144:145], v[128:129], v[82:83]
	v_fma_f64 v[126:127], v[126:127], v[82:83], -v[84:85]
	scratch_load_b128 v[82:85], off, off offset:432
	s_wait_loadcnt_dscnt 0xc01
	v_mul_f64_e32 v[8:9], v[118:119], v[88:89]
	v_mul_f64_e32 v[88:89], v[120:121], v[88:89]
	v_add_f64_e32 v[4:5], 0, v[4:5]
	v_add_f64_e32 v[128:129], 0, v[142:143]
	s_wait_loadcnt_dscnt 0xb00
	v_mul_f64_e32 v[142:143], v[134:135], v[92:93]
	v_mul_f64_e32 v[92:93], v[136:137], v[92:93]
	v_fmac_f64_e32 v[8:9], v[120:121], v[86:87]
	v_fma_f64 v[146:147], v[118:119], v[86:87], -v[88:89]
	ds_load_b128 v[86:89], v2 offset:832
	ds_load_b128 v[118:121], v2 offset:848
	v_add_f64_e32 v[4:5], v[4:5], v[126:127]
	v_add_f64_e32 v[144:145], v[128:129], v[144:145]
	scratch_load_b128 v[126:129], off, off offset:448
	v_fmac_f64_e32 v[142:143], v[136:137], v[90:91]
	v_fma_f64 v[134:135], v[134:135], v[90:91], -v[92:93]
	scratch_load_b128 v[90:93], off, off offset:464
	s_wait_loadcnt_dscnt 0xc01
	v_mul_f64_e32 v[148:149], v[86:87], v[96:97]
	v_mul_f64_e32 v[96:97], v[88:89], v[96:97]
	v_add_f64_e32 v[4:5], v[4:5], v[146:147]
	v_add_f64_e32 v[8:9], v[144:145], v[8:9]
	s_wait_loadcnt_dscnt 0xb00
	v_mul_f64_e32 v[144:145], v[118:119], v[100:101]
	v_mul_f64_e32 v[100:101], v[120:121], v[100:101]
	v_fmac_f64_e32 v[148:149], v[88:89], v[94:95]
	v_fma_f64 v[146:147], v[86:87], v[94:95], -v[96:97]
	ds_load_b128 v[86:89], v2 offset:864
	ds_load_b128 v[94:97], v2 offset:880
	v_add_f64_e32 v[4:5], v[4:5], v[134:135]
	v_add_f64_e32 v[8:9], v[8:9], v[142:143]
	scratch_load_b128 v[134:137], off, off offset:480
	s_wait_loadcnt_dscnt 0xb01
	v_mul_f64_e32 v[142:143], v[86:87], v[104:105]
	v_mul_f64_e32 v[104:105], v[88:89], v[104:105]
	v_fmac_f64_e32 v[144:145], v[120:121], v[98:99]
	v_fma_f64 v[118:119], v[118:119], v[98:99], -v[100:101]
	scratch_load_b128 v[98:101], off, off offset:496
	v_add_f64_e32 v[4:5], v[4:5], v[146:147]
	v_add_f64_e32 v[8:9], v[8:9], v[148:149]
	s_wait_loadcnt_dscnt 0xb00
	v_mul_f64_e32 v[146:147], v[94:95], v[108:109]
	v_mul_f64_e32 v[108:109], v[96:97], v[108:109]
	v_fmac_f64_e32 v[142:143], v[88:89], v[102:103]
	v_fma_f64 v[148:149], v[86:87], v[102:103], -v[104:105]
	ds_load_b128 v[86:89], v2 offset:896
	ds_load_b128 v[102:105], v2 offset:912
	v_add_f64_e32 v[4:5], v[4:5], v[118:119]
	v_add_f64_e32 v[8:9], v[8:9], v[144:145]
	scratch_load_b128 v[118:121], off, off offset:512
	s_wait_loadcnt_dscnt 0xb01
	v_mul_f64_e32 v[144:145], v[86:87], v[112:113]
	v_mul_f64_e32 v[112:113], v[88:89], v[112:113]
	v_fmac_f64_e32 v[146:147], v[96:97], v[106:107]
	v_fma_f64 v[106:107], v[94:95], v[106:107], -v[108:109]
	scratch_load_b128 v[94:97], off, off offset:528
	v_add_f64_e32 v[4:5], v[4:5], v[148:149]
	v_add_f64_e32 v[8:9], v[8:9], v[142:143]
	s_wait_loadcnt_dscnt 0xb00
	v_mul_f64_e32 v[142:143], v[102:103], v[116:117]
	v_mul_f64_e32 v[116:117], v[104:105], v[116:117]
	v_fmac_f64_e32 v[144:145], v[88:89], v[110:111]
	v_fma_f64 v[110:111], v[86:87], v[110:111], -v[112:113]
	v_add_f64_e32 v[4:5], v[4:5], v[106:107]
	v_add_f64_e32 v[8:9], v[8:9], v[146:147]
	ds_load_b128 v[86:89], v2 offset:928
	ds_load_b128 v[106:109], v2 offset:944
	v_fmac_f64_e32 v[142:143], v[104:105], v[114:115]
	v_fma_f64 v[102:103], v[102:103], v[114:115], -v[116:117]
	s_wait_loadcnt_dscnt 0xa01
	v_mul_f64_e32 v[112:113], v[86:87], v[124:125]
	v_mul_f64_e32 v[124:125], v[88:89], v[124:125]
	v_add_f64_e32 v[4:5], v[4:5], v[110:111]
	v_add_f64_e32 v[8:9], v[8:9], v[144:145]
	s_wait_loadcnt_dscnt 0x800
	v_mul_f64_e32 v[110:111], v[106:107], v[12:13]
	v_mul_f64_e32 v[12:13], v[108:109], v[12:13]
	v_fmac_f64_e32 v[112:113], v[88:89], v[122:123]
	v_fma_f64 v[114:115], v[86:87], v[122:123], -v[124:125]
	v_add_f64_e32 v[4:5], v[4:5], v[102:103]
	v_add_f64_e32 v[8:9], v[8:9], v[142:143]
	ds_load_b128 v[86:89], v2 offset:960
	ds_load_b128 v[102:105], v2 offset:976
	v_fmac_f64_e32 v[110:111], v[108:109], v[10:11]
	v_fma_f64 v[10:11], v[106:107], v[10:11], -v[12:13]
	s_wait_loadcnt_dscnt 0x701
	v_mul_f64_e32 v[116:117], v[86:87], v[140:141]
	v_mul_f64_e32 v[122:123], v[88:89], v[140:141]
	s_wait_loadcnt_dscnt 0x600
	v_mul_f64_e32 v[12:13], v[102:103], v[84:85]
	v_mul_f64_e32 v[106:107], v[104:105], v[84:85]
	v_add_f64_e32 v[4:5], v[4:5], v[114:115]
	v_add_f64_e32 v[8:9], v[8:9], v[112:113]
	v_fmac_f64_e32 v[116:117], v[88:89], v[138:139]
	v_fma_f64 v[88:89], v[86:87], v[138:139], -v[122:123]
	v_fmac_f64_e32 v[12:13], v[104:105], v[82:83]
	v_fma_f64 v[82:83], v[102:103], v[82:83], -v[106:107]
	v_add_f64_e32 v[4:5], v[4:5], v[10:11]
	v_add_f64_e32 v[108:109], v[8:9], v[110:111]
	ds_load_b128 v[8:11], v2 offset:992
	ds_load_b128 v[84:87], v2 offset:1008
	s_wait_loadcnt_dscnt 0x501
	v_mul_f64_e32 v[110:111], v[8:9], v[128:129]
	v_mul_f64_e32 v[112:113], v[10:11], v[128:129]
	s_wait_loadcnt_dscnt 0x400
	v_mul_f64_e32 v[106:107], v[84:85], v[92:93]
	v_mul_f64_e32 v[92:93], v[86:87], v[92:93]
	v_add_f64_e32 v[4:5], v[4:5], v[88:89]
	v_add_f64_e32 v[88:89], v[108:109], v[116:117]
	v_fmac_f64_e32 v[110:111], v[10:11], v[126:127]
	v_fma_f64 v[108:109], v[8:9], v[126:127], -v[112:113]
	ds_load_b128 v[8:11], v2 offset:1024
	ds_load_b128 v[102:105], v2 offset:1040
	v_fmac_f64_e32 v[106:107], v[86:87], v[90:91]
	v_fma_f64 v[84:85], v[84:85], v[90:91], -v[92:93]
	v_add_f64_e32 v[4:5], v[4:5], v[82:83]
	v_add_f64_e32 v[12:13], v[88:89], v[12:13]
	s_wait_loadcnt_dscnt 0x301
	v_mul_f64_e32 v[82:83], v[8:9], v[136:137]
	v_mul_f64_e32 v[88:89], v[10:11], v[136:137]
	s_wait_loadcnt_dscnt 0x200
	v_mul_f64_e32 v[86:87], v[102:103], v[100:101]
	v_mul_f64_e32 v[90:91], v[104:105], v[100:101]
	v_add_f64_e32 v[4:5], v[4:5], v[108:109]
	v_add_f64_e32 v[12:13], v[12:13], v[110:111]
	v_fmac_f64_e32 v[82:83], v[10:11], v[134:135]
	v_fma_f64 v[88:89], v[8:9], v[134:135], -v[88:89]
	v_fmac_f64_e32 v[86:87], v[104:105], v[98:99]
	v_fma_f64 v[90:91], v[102:103], v[98:99], -v[90:91]
	v_add_f64_e32 v[84:85], v[4:5], v[84:85]
	v_add_f64_e32 v[12:13], v[12:13], v[106:107]
	ds_load_b128 v[8:11], v2 offset:1056
	ds_load_b128 v[2:5], v2 offset:1072
	s_wait_loadcnt_dscnt 0x101
	v_mul_f64_e32 v[92:93], v[8:9], v[120:121]
	v_mul_f64_e32 v[100:101], v[10:11], v[120:121]
	v_add_f64_e32 v[84:85], v[84:85], v[88:89]
	v_add_f64_e32 v[12:13], v[12:13], v[82:83]
	s_wait_loadcnt_dscnt 0x0
	v_mul_f64_e32 v[82:83], v[2:3], v[96:97]
	v_mul_f64_e32 v[88:89], v[4:5], v[96:97]
	v_fmac_f64_e32 v[92:93], v[10:11], v[118:119]
	v_fma_f64 v[8:9], v[8:9], v[118:119], -v[100:101]
	v_add_f64_e32 v[10:11], v[84:85], v[90:91]
	v_add_f64_e32 v[12:13], v[12:13], v[86:87]
	v_fmac_f64_e32 v[82:83], v[4:5], v[94:95]
	v_fma_f64 v[2:3], v[2:3], v[94:95], -v[88:89]
	s_delay_alu instid0(VALU_DEP_4) | instskip(NEXT) | instid1(VALU_DEP_4)
	v_add_f64_e32 v[4:5], v[10:11], v[8:9]
	v_add_f64_e32 v[8:9], v[12:13], v[92:93]
	s_delay_alu instid0(VALU_DEP_2) | instskip(NEXT) | instid1(VALU_DEP_2)
	v_add_f64_e32 v[2:3], v[4:5], v[2:3]
	v_add_f64_e32 v[4:5], v[8:9], v[82:83]
	s_delay_alu instid0(VALU_DEP_2) | instskip(NEXT) | instid1(VALU_DEP_2)
	v_add_f64_e64 v[2:3], v[130:131], -v[2:3]
	v_add_f64_e64 v[4:5], v[132:133], -v[4:5]
	scratch_store_b128 off, v[2:5], off offset:208
	s_wait_xcnt 0x0
	v_cmpx_lt_u32_e32 12, v1
	s_cbranch_execz .LBB97_193
; %bb.192:
	scratch_load_b128 v[2:5], off, s38
	v_mov_b32_e32 v8, 0
	s_delay_alu instid0(VALU_DEP_1)
	v_dual_mov_b32 v9, v8 :: v_dual_mov_b32 v10, v8
	v_mov_b32_e32 v11, v8
	scratch_store_b128 off, v[8:11], off offset:192
	s_wait_loadcnt 0x0
	ds_store_b128 v6, v[2:5]
.LBB97_193:
	s_wait_xcnt 0x0
	s_or_b32 exec_lo, exec_lo, s2
	s_wait_storecnt_dscnt 0x0
	s_barrier_signal -1
	s_barrier_wait -1
	s_clause 0x9
	scratch_load_b128 v[8:11], off, off offset:208
	scratch_load_b128 v[82:85], off, off offset:224
	;; [unrolled: 1-line block ×10, first 2 shown]
	v_mov_b32_e32 v2, 0
	s_mov_b32 s2, exec_lo
	ds_load_b128 v[118:121], v2 offset:752
	s_clause 0x2
	scratch_load_b128 v[122:125], off, off offset:368
	scratch_load_b128 v[126:129], off, off offset:192
	;; [unrolled: 1-line block ×3, first 2 shown]
	s_wait_loadcnt_dscnt 0xc00
	v_mul_f64_e32 v[4:5], v[120:121], v[10:11]
	v_mul_f64_e32 v[142:143], v[118:119], v[10:11]
	ds_load_b128 v[130:133], v2 offset:768
	scratch_load_b128 v[10:13], off, off offset:384
	ds_load_b128 v[138:141], v2 offset:800
	v_fma_f64 v[4:5], v[118:119], v[8:9], -v[4:5]
	v_fmac_f64_e32 v[142:143], v[120:121], v[8:9]
	ds_load_b128 v[118:121], v2 offset:784
	s_wait_loadcnt_dscnt 0xc02
	v_mul_f64_e32 v[144:145], v[130:131], v[84:85]
	v_mul_f64_e32 v[84:85], v[132:133], v[84:85]
	s_wait_loadcnt_dscnt 0xb00
	v_mul_f64_e32 v[8:9], v[118:119], v[88:89]
	v_mul_f64_e32 v[88:89], v[120:121], v[88:89]
	v_add_f64_e32 v[4:5], 0, v[4:5]
	v_fmac_f64_e32 v[144:145], v[132:133], v[82:83]
	v_fma_f64 v[130:131], v[130:131], v[82:83], -v[84:85]
	v_add_f64_e32 v[132:133], 0, v[142:143]
	scratch_load_b128 v[82:85], off, off offset:416
	v_fmac_f64_e32 v[8:9], v[120:121], v[86:87]
	v_fma_f64 v[146:147], v[118:119], v[86:87], -v[88:89]
	ds_load_b128 v[86:89], v2 offset:816
	s_wait_loadcnt 0xb
	v_mul_f64_e32 v[142:143], v[138:139], v[92:93]
	v_mul_f64_e32 v[92:93], v[140:141], v[92:93]
	scratch_load_b128 v[118:121], off, off offset:432
	v_add_f64_e32 v[4:5], v[4:5], v[130:131]
	v_add_f64_e32 v[144:145], v[132:133], v[144:145]
	ds_load_b128 v[130:133], v2 offset:832
	s_wait_loadcnt_dscnt 0xb01
	v_mul_f64_e32 v[148:149], v[86:87], v[96:97]
	v_mul_f64_e32 v[96:97], v[88:89], v[96:97]
	v_fmac_f64_e32 v[142:143], v[140:141], v[90:91]
	v_fma_f64 v[138:139], v[138:139], v[90:91], -v[92:93]
	scratch_load_b128 v[90:93], off, off offset:448
	v_add_f64_e32 v[4:5], v[4:5], v[146:147]
	v_add_f64_e32 v[8:9], v[144:145], v[8:9]
	v_fmac_f64_e32 v[148:149], v[88:89], v[94:95]
	v_fma_f64 v[146:147], v[86:87], v[94:95], -v[96:97]
	ds_load_b128 v[86:89], v2 offset:848
	s_wait_loadcnt_dscnt 0xb01
	v_mul_f64_e32 v[144:145], v[130:131], v[100:101]
	v_mul_f64_e32 v[100:101], v[132:133], v[100:101]
	scratch_load_b128 v[94:97], off, off offset:464
	v_add_f64_e32 v[4:5], v[4:5], v[138:139]
	v_add_f64_e32 v[8:9], v[8:9], v[142:143]
	s_wait_loadcnt_dscnt 0xb00
	v_mul_f64_e32 v[142:143], v[86:87], v[104:105]
	v_mul_f64_e32 v[104:105], v[88:89], v[104:105]
	ds_load_b128 v[138:141], v2 offset:864
	v_fmac_f64_e32 v[144:145], v[132:133], v[98:99]
	v_fma_f64 v[130:131], v[130:131], v[98:99], -v[100:101]
	scratch_load_b128 v[98:101], off, off offset:480
	v_add_f64_e32 v[4:5], v[4:5], v[146:147]
	v_add_f64_e32 v[8:9], v[8:9], v[148:149]
	v_fmac_f64_e32 v[142:143], v[88:89], v[102:103]
	v_fma_f64 v[148:149], v[86:87], v[102:103], -v[104:105]
	ds_load_b128 v[86:89], v2 offset:880
	s_wait_loadcnt_dscnt 0xb01
	v_mul_f64_e32 v[146:147], v[138:139], v[108:109]
	v_mul_f64_e32 v[108:109], v[140:141], v[108:109]
	scratch_load_b128 v[102:105], off, off offset:496
	v_add_f64_e32 v[4:5], v[4:5], v[130:131]
	v_add_f64_e32 v[8:9], v[8:9], v[144:145]
	s_wait_loadcnt_dscnt 0xb00
	v_mul_f64_e32 v[144:145], v[86:87], v[112:113]
	v_mul_f64_e32 v[112:113], v[88:89], v[112:113]
	ds_load_b128 v[130:133], v2 offset:896
	;; [unrolled: 18-line block ×3, first 2 shown]
	v_fmac_f64_e32 v[142:143], v[132:133], v[114:115]
	v_fma_f64 v[114:115], v[130:131], v[114:115], -v[116:117]
	s_wait_loadcnt_dscnt 0x800
	v_mul_f64_e32 v[130:131], v[138:139], v[12:13]
	v_add_f64_e32 v[4:5], v[4:5], v[148:149]
	v_add_f64_e32 v[8:9], v[8:9], v[144:145]
	v_mul_f64_e32 v[12:13], v[140:141], v[12:13]
	v_fmac_f64_e32 v[146:147], v[88:89], v[122:123]
	v_fma_f64 v[122:123], v[86:87], v[122:123], -v[124:125]
	v_fmac_f64_e32 v[130:131], v[140:141], v[10:11]
	v_add_f64_e32 v[4:5], v[4:5], v[114:115]
	v_add_f64_e32 v[8:9], v[8:9], v[142:143]
	ds_load_b128 v[86:89], v2 offset:944
	ds_load_b128 v[114:117], v2 offset:960
	v_fma_f64 v[10:11], v[138:139], v[10:11], -v[12:13]
	s_wait_dscnt 0x1
	v_mul_f64_e32 v[124:125], v[86:87], v[136:137]
	v_mul_f64_e32 v[132:133], v[88:89], v[136:137]
	v_add_f64_e32 v[4:5], v[4:5], v[122:123]
	v_add_f64_e32 v[8:9], v[8:9], v[146:147]
	s_wait_loadcnt_dscnt 0x700
	v_mul_f64_e32 v[12:13], v[114:115], v[84:85]
	v_mul_f64_e32 v[122:123], v[116:117], v[84:85]
	v_fmac_f64_e32 v[124:125], v[88:89], v[134:135]
	v_fma_f64 v[88:89], v[86:87], v[134:135], -v[132:133]
	v_add_f64_e32 v[4:5], v[4:5], v[10:11]
	v_add_f64_e32 v[130:131], v[8:9], v[130:131]
	ds_load_b128 v[8:11], v2 offset:976
	ds_load_b128 v[84:87], v2 offset:992
	v_fmac_f64_e32 v[12:13], v[116:117], v[82:83]
	v_fma_f64 v[82:83], v[114:115], v[82:83], -v[122:123]
	s_wait_loadcnt_dscnt 0x601
	v_mul_f64_e32 v[132:133], v[8:9], v[120:121]
	v_mul_f64_e32 v[120:121], v[10:11], v[120:121]
	s_wait_loadcnt_dscnt 0x500
	v_mul_f64_e32 v[122:123], v[84:85], v[92:93]
	v_mul_f64_e32 v[92:93], v[86:87], v[92:93]
	v_add_f64_e32 v[4:5], v[4:5], v[88:89]
	v_add_f64_e32 v[88:89], v[130:131], v[124:125]
	v_fmac_f64_e32 v[132:133], v[10:11], v[118:119]
	v_fma_f64 v[118:119], v[8:9], v[118:119], -v[120:121]
	ds_load_b128 v[8:11], v2 offset:1008
	ds_load_b128 v[114:117], v2 offset:1024
	v_fmac_f64_e32 v[122:123], v[86:87], v[90:91]
	v_fma_f64 v[84:85], v[84:85], v[90:91], -v[92:93]
	v_add_f64_e32 v[4:5], v[4:5], v[82:83]
	v_add_f64_e32 v[12:13], v[88:89], v[12:13]
	s_wait_loadcnt_dscnt 0x401
	v_mul_f64_e32 v[88:89], v[8:9], v[96:97]
	v_mul_f64_e32 v[82:83], v[10:11], v[96:97]
	s_wait_loadcnt_dscnt 0x300
	v_mul_f64_e32 v[86:87], v[114:115], v[100:101]
	v_mul_f64_e32 v[90:91], v[116:117], v[100:101]
	v_add_f64_e32 v[4:5], v[4:5], v[118:119]
	v_add_f64_e32 v[12:13], v[12:13], v[132:133]
	v_fmac_f64_e32 v[88:89], v[10:11], v[94:95]
	v_fma_f64 v[92:93], v[8:9], v[94:95], -v[82:83]
	v_fmac_f64_e32 v[86:87], v[116:117], v[98:99]
	v_fma_f64 v[90:91], v[114:115], v[98:99], -v[90:91]
	v_add_f64_e32 v[4:5], v[4:5], v[84:85]
	v_add_f64_e32 v[12:13], v[12:13], v[122:123]
	ds_load_b128 v[8:11], v2 offset:1040
	ds_load_b128 v[82:85], v2 offset:1056
	s_wait_loadcnt_dscnt 0x201
	v_mul_f64_e32 v[94:95], v[8:9], v[104:105]
	v_mul_f64_e32 v[96:97], v[10:11], v[104:105]
	v_add_f64_e32 v[4:5], v[4:5], v[92:93]
	v_add_f64_e32 v[12:13], v[12:13], v[88:89]
	s_wait_loadcnt_dscnt 0x100
	v_mul_f64_e32 v[88:89], v[82:83], v[108:109]
	v_mul_f64_e32 v[92:93], v[84:85], v[108:109]
	v_fmac_f64_e32 v[94:95], v[10:11], v[102:103]
	v_fma_f64 v[96:97], v[8:9], v[102:103], -v[96:97]
	ds_load_b128 v[8:11], v2 offset:1072
	v_add_f64_e32 v[4:5], v[4:5], v[90:91]
	v_add_f64_e32 v[12:13], v[12:13], v[86:87]
	v_fmac_f64_e32 v[88:89], v[84:85], v[106:107]
	v_fma_f64 v[82:83], v[82:83], v[106:107], -v[92:93]
	s_wait_loadcnt_dscnt 0x0
	v_mul_f64_e32 v[86:87], v[8:9], v[112:113]
	v_mul_f64_e32 v[90:91], v[10:11], v[112:113]
	v_add_f64_e32 v[4:5], v[4:5], v[96:97]
	v_add_f64_e32 v[12:13], v[12:13], v[94:95]
	s_delay_alu instid0(VALU_DEP_4) | instskip(NEXT) | instid1(VALU_DEP_4)
	v_fmac_f64_e32 v[86:87], v[10:11], v[110:111]
	v_fma_f64 v[8:9], v[8:9], v[110:111], -v[90:91]
	s_delay_alu instid0(VALU_DEP_4) | instskip(NEXT) | instid1(VALU_DEP_4)
	v_add_f64_e32 v[4:5], v[4:5], v[82:83]
	v_add_f64_e32 v[10:11], v[12:13], v[88:89]
	s_delay_alu instid0(VALU_DEP_2) | instskip(NEXT) | instid1(VALU_DEP_2)
	v_add_f64_e32 v[4:5], v[4:5], v[8:9]
	v_add_f64_e32 v[10:11], v[10:11], v[86:87]
	s_delay_alu instid0(VALU_DEP_2) | instskip(NEXT) | instid1(VALU_DEP_2)
	v_add_f64_e64 v[8:9], v[126:127], -v[4:5]
	v_add_f64_e64 v[10:11], v[128:129], -v[10:11]
	scratch_store_b128 off, v[8:11], off offset:192
	s_wait_xcnt 0x0
	v_cmpx_lt_u32_e32 11, v1
	s_cbranch_execz .LBB97_195
; %bb.194:
	scratch_load_b128 v[8:11], off, s39
	v_dual_mov_b32 v3, v2 :: v_dual_mov_b32 v4, v2
	v_mov_b32_e32 v5, v2
	scratch_store_b128 off, v[2:5], off offset:176
	s_wait_loadcnt 0x0
	ds_store_b128 v6, v[8:11]
.LBB97_195:
	s_wait_xcnt 0x0
	s_or_b32 exec_lo, exec_lo, s2
	s_wait_storecnt_dscnt 0x0
	s_barrier_signal -1
	s_barrier_wait -1
	s_clause 0x9
	scratch_load_b128 v[8:11], off, off offset:192
	scratch_load_b128 v[82:85], off, off offset:208
	;; [unrolled: 1-line block ×10, first 2 shown]
	ds_load_b128 v[118:121], v2 offset:736
	ds_load_b128 v[126:129], v2 offset:752
	s_clause 0x1
	scratch_load_b128 v[122:125], off, off offset:352
	scratch_load_b128 v[130:133], off, off offset:176
	s_mov_b32 s2, exec_lo
	s_wait_loadcnt_dscnt 0xb01
	v_mul_f64_e32 v[4:5], v[120:121], v[10:11]
	v_mul_f64_e32 v[142:143], v[118:119], v[10:11]
	scratch_load_b128 v[10:13], off, off offset:368
	s_wait_loadcnt_dscnt 0xb00
	v_mul_f64_e32 v[144:145], v[126:127], v[84:85]
	v_mul_f64_e32 v[84:85], v[128:129], v[84:85]
	v_fma_f64 v[4:5], v[118:119], v[8:9], -v[4:5]
	v_fmac_f64_e32 v[142:143], v[120:121], v[8:9]
	ds_load_b128 v[118:121], v2 offset:768
	ds_load_b128 v[134:137], v2 offset:784
	scratch_load_b128 v[138:141], off, off offset:384
	v_fmac_f64_e32 v[144:145], v[128:129], v[82:83]
	v_fma_f64 v[126:127], v[126:127], v[82:83], -v[84:85]
	scratch_load_b128 v[82:85], off, off offset:400
	s_wait_loadcnt_dscnt 0xc01
	v_mul_f64_e32 v[8:9], v[118:119], v[88:89]
	v_mul_f64_e32 v[88:89], v[120:121], v[88:89]
	v_add_f64_e32 v[4:5], 0, v[4:5]
	v_add_f64_e32 v[128:129], 0, v[142:143]
	s_wait_loadcnt_dscnt 0xb00
	v_mul_f64_e32 v[142:143], v[134:135], v[92:93]
	v_mul_f64_e32 v[92:93], v[136:137], v[92:93]
	v_fmac_f64_e32 v[8:9], v[120:121], v[86:87]
	v_fma_f64 v[146:147], v[118:119], v[86:87], -v[88:89]
	ds_load_b128 v[86:89], v2 offset:800
	ds_load_b128 v[118:121], v2 offset:816
	v_add_f64_e32 v[4:5], v[4:5], v[126:127]
	v_add_f64_e32 v[144:145], v[128:129], v[144:145]
	scratch_load_b128 v[126:129], off, off offset:416
	v_fmac_f64_e32 v[142:143], v[136:137], v[90:91]
	v_fma_f64 v[134:135], v[134:135], v[90:91], -v[92:93]
	scratch_load_b128 v[90:93], off, off offset:432
	s_wait_loadcnt_dscnt 0xc01
	v_mul_f64_e32 v[148:149], v[86:87], v[96:97]
	v_mul_f64_e32 v[96:97], v[88:89], v[96:97]
	v_add_f64_e32 v[4:5], v[4:5], v[146:147]
	v_add_f64_e32 v[8:9], v[144:145], v[8:9]
	s_wait_loadcnt_dscnt 0xb00
	v_mul_f64_e32 v[144:145], v[118:119], v[100:101]
	v_mul_f64_e32 v[100:101], v[120:121], v[100:101]
	v_fmac_f64_e32 v[148:149], v[88:89], v[94:95]
	v_fma_f64 v[146:147], v[86:87], v[94:95], -v[96:97]
	ds_load_b128 v[86:89], v2 offset:832
	ds_load_b128 v[94:97], v2 offset:848
	v_add_f64_e32 v[4:5], v[4:5], v[134:135]
	v_add_f64_e32 v[8:9], v[8:9], v[142:143]
	scratch_load_b128 v[134:137], off, off offset:448
	s_wait_loadcnt_dscnt 0xb01
	v_mul_f64_e32 v[142:143], v[86:87], v[104:105]
	v_mul_f64_e32 v[104:105], v[88:89], v[104:105]
	v_fmac_f64_e32 v[144:145], v[120:121], v[98:99]
	v_fma_f64 v[118:119], v[118:119], v[98:99], -v[100:101]
	scratch_load_b128 v[98:101], off, off offset:464
	v_add_f64_e32 v[4:5], v[4:5], v[146:147]
	v_add_f64_e32 v[8:9], v[8:9], v[148:149]
	s_wait_loadcnt_dscnt 0xb00
	v_mul_f64_e32 v[146:147], v[94:95], v[108:109]
	v_mul_f64_e32 v[108:109], v[96:97], v[108:109]
	v_fmac_f64_e32 v[142:143], v[88:89], v[102:103]
	v_fma_f64 v[148:149], v[86:87], v[102:103], -v[104:105]
	ds_load_b128 v[86:89], v2 offset:864
	ds_load_b128 v[102:105], v2 offset:880
	v_add_f64_e32 v[4:5], v[4:5], v[118:119]
	v_add_f64_e32 v[8:9], v[8:9], v[144:145]
	scratch_load_b128 v[118:121], off, off offset:480
	s_wait_loadcnt_dscnt 0xb01
	v_mul_f64_e32 v[144:145], v[86:87], v[112:113]
	v_mul_f64_e32 v[112:113], v[88:89], v[112:113]
	v_fmac_f64_e32 v[146:147], v[96:97], v[106:107]
	v_fma_f64 v[106:107], v[94:95], v[106:107], -v[108:109]
	scratch_load_b128 v[94:97], off, off offset:496
	v_add_f64_e32 v[4:5], v[4:5], v[148:149]
	v_add_f64_e32 v[8:9], v[8:9], v[142:143]
	s_wait_loadcnt_dscnt 0xb00
	v_mul_f64_e32 v[142:143], v[102:103], v[116:117]
	v_mul_f64_e32 v[116:117], v[104:105], v[116:117]
	v_fmac_f64_e32 v[144:145], v[88:89], v[110:111]
	v_fma_f64 v[148:149], v[86:87], v[110:111], -v[112:113]
	v_add_f64_e32 v[4:5], v[4:5], v[106:107]
	v_add_f64_e32 v[8:9], v[8:9], v[146:147]
	ds_load_b128 v[86:89], v2 offset:896
	ds_load_b128 v[106:109], v2 offset:912
	scratch_load_b128 v[110:113], off, off offset:512
	v_fmac_f64_e32 v[142:143], v[104:105], v[114:115]
	v_fma_f64 v[114:115], v[102:103], v[114:115], -v[116:117]
	scratch_load_b128 v[102:105], off, off offset:528
	s_wait_loadcnt_dscnt 0xc01
	v_mul_f64_e32 v[146:147], v[86:87], v[124:125]
	v_mul_f64_e32 v[124:125], v[88:89], v[124:125]
	v_add_f64_e32 v[4:5], v[4:5], v[148:149]
	v_add_f64_e32 v[8:9], v[8:9], v[144:145]
	s_wait_loadcnt_dscnt 0xa00
	v_mul_f64_e32 v[144:145], v[106:107], v[12:13]
	v_mul_f64_e32 v[12:13], v[108:109], v[12:13]
	v_fmac_f64_e32 v[146:147], v[88:89], v[122:123]
	v_fma_f64 v[122:123], v[86:87], v[122:123], -v[124:125]
	v_add_f64_e32 v[4:5], v[4:5], v[114:115]
	v_add_f64_e32 v[8:9], v[8:9], v[142:143]
	ds_load_b128 v[86:89], v2 offset:928
	ds_load_b128 v[114:117], v2 offset:944
	v_fmac_f64_e32 v[144:145], v[108:109], v[10:11]
	v_fma_f64 v[10:11], v[106:107], v[10:11], -v[12:13]
	s_wait_loadcnt_dscnt 0x901
	v_mul_f64_e32 v[124:125], v[86:87], v[140:141]
	v_mul_f64_e32 v[140:141], v[88:89], v[140:141]
	s_wait_loadcnt_dscnt 0x800
	v_mul_f64_e32 v[12:13], v[114:115], v[84:85]
	v_mul_f64_e32 v[106:107], v[116:117], v[84:85]
	v_add_f64_e32 v[4:5], v[4:5], v[122:123]
	v_add_f64_e32 v[8:9], v[8:9], v[146:147]
	v_fmac_f64_e32 v[124:125], v[88:89], v[138:139]
	v_fma_f64 v[88:89], v[86:87], v[138:139], -v[140:141]
	v_fmac_f64_e32 v[12:13], v[116:117], v[82:83]
	v_fma_f64 v[82:83], v[114:115], v[82:83], -v[106:107]
	v_add_f64_e32 v[4:5], v[4:5], v[10:11]
	v_add_f64_e32 v[108:109], v[8:9], v[144:145]
	ds_load_b128 v[8:11], v2 offset:960
	ds_load_b128 v[84:87], v2 offset:976
	s_wait_loadcnt_dscnt 0x701
	v_mul_f64_e32 v[122:123], v[8:9], v[128:129]
	v_mul_f64_e32 v[128:129], v[10:11], v[128:129]
	s_wait_loadcnt_dscnt 0x600
	v_mul_f64_e32 v[114:115], v[84:85], v[92:93]
	v_mul_f64_e32 v[92:93], v[86:87], v[92:93]
	v_add_f64_e32 v[4:5], v[4:5], v[88:89]
	v_add_f64_e32 v[88:89], v[108:109], v[124:125]
	v_fmac_f64_e32 v[122:123], v[10:11], v[126:127]
	v_fma_f64 v[116:117], v[8:9], v[126:127], -v[128:129]
	ds_load_b128 v[8:11], v2 offset:992
	ds_load_b128 v[106:109], v2 offset:1008
	v_fmac_f64_e32 v[114:115], v[86:87], v[90:91]
	v_fma_f64 v[84:85], v[84:85], v[90:91], -v[92:93]
	v_add_f64_e32 v[4:5], v[4:5], v[82:83]
	v_add_f64_e32 v[12:13], v[88:89], v[12:13]
	s_wait_loadcnt_dscnt 0x501
	v_mul_f64_e32 v[88:89], v[8:9], v[136:137]
	v_mul_f64_e32 v[82:83], v[10:11], v[136:137]
	s_wait_loadcnt_dscnt 0x400
	v_mul_f64_e32 v[86:87], v[106:107], v[100:101]
	v_mul_f64_e32 v[90:91], v[108:109], v[100:101]
	v_add_f64_e32 v[4:5], v[4:5], v[116:117]
	v_add_f64_e32 v[12:13], v[12:13], v[122:123]
	v_fmac_f64_e32 v[88:89], v[10:11], v[134:135]
	v_fma_f64 v[92:93], v[8:9], v[134:135], -v[82:83]
	v_fmac_f64_e32 v[86:87], v[108:109], v[98:99]
	v_fma_f64 v[90:91], v[106:107], v[98:99], -v[90:91]
	v_add_f64_e32 v[4:5], v[4:5], v[84:85]
	v_add_f64_e32 v[12:13], v[12:13], v[114:115]
	ds_load_b128 v[8:11], v2 offset:1024
	ds_load_b128 v[82:85], v2 offset:1040
	s_wait_loadcnt_dscnt 0x301
	v_mul_f64_e32 v[100:101], v[8:9], v[120:121]
	v_mul_f64_e32 v[114:115], v[10:11], v[120:121]
	v_add_f64_e32 v[4:5], v[4:5], v[92:93]
	v_add_f64_e32 v[12:13], v[12:13], v[88:89]
	s_wait_loadcnt_dscnt 0x200
	v_mul_f64_e32 v[88:89], v[82:83], v[96:97]
	v_mul_f64_e32 v[92:93], v[84:85], v[96:97]
	v_fmac_f64_e32 v[100:101], v[10:11], v[118:119]
	v_fma_f64 v[96:97], v[8:9], v[118:119], -v[114:115]
	v_add_f64_e32 v[90:91], v[4:5], v[90:91]
	v_add_f64_e32 v[12:13], v[12:13], v[86:87]
	ds_load_b128 v[8:11], v2 offset:1056
	ds_load_b128 v[2:5], v2 offset:1072
	v_fmac_f64_e32 v[88:89], v[84:85], v[94:95]
	v_fma_f64 v[82:83], v[82:83], v[94:95], -v[92:93]
	s_wait_loadcnt_dscnt 0x101
	v_mul_f64_e32 v[86:87], v[8:9], v[112:113]
	v_mul_f64_e32 v[98:99], v[10:11], v[112:113]
	s_wait_loadcnt_dscnt 0x0
	v_mul_f64_e32 v[92:93], v[4:5], v[104:105]
	v_add_f64_e32 v[84:85], v[90:91], v[96:97]
	v_add_f64_e32 v[12:13], v[12:13], v[100:101]
	v_mul_f64_e32 v[90:91], v[2:3], v[104:105]
	v_fmac_f64_e32 v[86:87], v[10:11], v[110:111]
	v_fma_f64 v[8:9], v[8:9], v[110:111], -v[98:99]
	v_fma_f64 v[2:3], v[2:3], v[102:103], -v[92:93]
	v_add_f64_e32 v[10:11], v[84:85], v[82:83]
	v_add_f64_e32 v[12:13], v[12:13], v[88:89]
	v_fmac_f64_e32 v[90:91], v[4:5], v[102:103]
	s_delay_alu instid0(VALU_DEP_3) | instskip(NEXT) | instid1(VALU_DEP_3)
	v_add_f64_e32 v[4:5], v[10:11], v[8:9]
	v_add_f64_e32 v[8:9], v[12:13], v[86:87]
	s_delay_alu instid0(VALU_DEP_2) | instskip(NEXT) | instid1(VALU_DEP_2)
	v_add_f64_e32 v[2:3], v[4:5], v[2:3]
	v_add_f64_e32 v[4:5], v[8:9], v[90:91]
	s_delay_alu instid0(VALU_DEP_2) | instskip(NEXT) | instid1(VALU_DEP_2)
	v_add_f64_e64 v[2:3], v[130:131], -v[2:3]
	v_add_f64_e64 v[4:5], v[132:133], -v[4:5]
	scratch_store_b128 off, v[2:5], off offset:176
	s_wait_xcnt 0x0
	v_cmpx_lt_u32_e32 10, v1
	s_cbranch_execz .LBB97_197
; %bb.196:
	scratch_load_b128 v[2:5], off, s40
	v_mov_b32_e32 v8, 0
	s_delay_alu instid0(VALU_DEP_1)
	v_dual_mov_b32 v9, v8 :: v_dual_mov_b32 v10, v8
	v_mov_b32_e32 v11, v8
	scratch_store_b128 off, v[8:11], off offset:160
	s_wait_loadcnt 0x0
	ds_store_b128 v6, v[2:5]
.LBB97_197:
	s_wait_xcnt 0x0
	s_or_b32 exec_lo, exec_lo, s2
	s_wait_storecnt_dscnt 0x0
	s_barrier_signal -1
	s_barrier_wait -1
	s_clause 0x9
	scratch_load_b128 v[8:11], off, off offset:176
	scratch_load_b128 v[82:85], off, off offset:192
	;; [unrolled: 1-line block ×10, first 2 shown]
	v_mov_b32_e32 v2, 0
	s_mov_b32 s2, exec_lo
	ds_load_b128 v[118:121], v2 offset:720
	s_clause 0x2
	scratch_load_b128 v[122:125], off, off offset:336
	scratch_load_b128 v[126:129], off, off offset:160
	;; [unrolled: 1-line block ×3, first 2 shown]
	s_wait_loadcnt_dscnt 0xc00
	v_mul_f64_e32 v[4:5], v[120:121], v[10:11]
	v_mul_f64_e32 v[142:143], v[118:119], v[10:11]
	ds_load_b128 v[130:133], v2 offset:736
	scratch_load_b128 v[10:13], off, off offset:352
	ds_load_b128 v[138:141], v2 offset:768
	v_fma_f64 v[4:5], v[118:119], v[8:9], -v[4:5]
	v_fmac_f64_e32 v[142:143], v[120:121], v[8:9]
	ds_load_b128 v[118:121], v2 offset:752
	s_wait_loadcnt_dscnt 0xc02
	v_mul_f64_e32 v[144:145], v[130:131], v[84:85]
	v_mul_f64_e32 v[84:85], v[132:133], v[84:85]
	s_wait_loadcnt_dscnt 0xb00
	v_mul_f64_e32 v[8:9], v[118:119], v[88:89]
	v_mul_f64_e32 v[88:89], v[120:121], v[88:89]
	v_add_f64_e32 v[4:5], 0, v[4:5]
	v_fmac_f64_e32 v[144:145], v[132:133], v[82:83]
	v_fma_f64 v[130:131], v[130:131], v[82:83], -v[84:85]
	v_add_f64_e32 v[132:133], 0, v[142:143]
	scratch_load_b128 v[82:85], off, off offset:384
	v_fmac_f64_e32 v[8:9], v[120:121], v[86:87]
	v_fma_f64 v[146:147], v[118:119], v[86:87], -v[88:89]
	ds_load_b128 v[86:89], v2 offset:784
	s_wait_loadcnt 0xb
	v_mul_f64_e32 v[142:143], v[138:139], v[92:93]
	v_mul_f64_e32 v[92:93], v[140:141], v[92:93]
	scratch_load_b128 v[118:121], off, off offset:400
	v_add_f64_e32 v[4:5], v[4:5], v[130:131]
	v_add_f64_e32 v[144:145], v[132:133], v[144:145]
	ds_load_b128 v[130:133], v2 offset:800
	s_wait_loadcnt_dscnt 0xb01
	v_mul_f64_e32 v[148:149], v[86:87], v[96:97]
	v_mul_f64_e32 v[96:97], v[88:89], v[96:97]
	v_fmac_f64_e32 v[142:143], v[140:141], v[90:91]
	v_fma_f64 v[138:139], v[138:139], v[90:91], -v[92:93]
	scratch_load_b128 v[90:93], off, off offset:416
	v_add_f64_e32 v[4:5], v[4:5], v[146:147]
	v_add_f64_e32 v[8:9], v[144:145], v[8:9]
	v_fmac_f64_e32 v[148:149], v[88:89], v[94:95]
	v_fma_f64 v[146:147], v[86:87], v[94:95], -v[96:97]
	ds_load_b128 v[86:89], v2 offset:816
	s_wait_loadcnt_dscnt 0xb01
	v_mul_f64_e32 v[144:145], v[130:131], v[100:101]
	v_mul_f64_e32 v[100:101], v[132:133], v[100:101]
	scratch_load_b128 v[94:97], off, off offset:432
	v_add_f64_e32 v[4:5], v[4:5], v[138:139]
	v_add_f64_e32 v[8:9], v[8:9], v[142:143]
	s_wait_loadcnt_dscnt 0xb00
	v_mul_f64_e32 v[142:143], v[86:87], v[104:105]
	v_mul_f64_e32 v[104:105], v[88:89], v[104:105]
	ds_load_b128 v[138:141], v2 offset:832
	v_fmac_f64_e32 v[144:145], v[132:133], v[98:99]
	v_fma_f64 v[130:131], v[130:131], v[98:99], -v[100:101]
	scratch_load_b128 v[98:101], off, off offset:448
	v_add_f64_e32 v[4:5], v[4:5], v[146:147]
	v_add_f64_e32 v[8:9], v[8:9], v[148:149]
	v_fmac_f64_e32 v[142:143], v[88:89], v[102:103]
	v_fma_f64 v[148:149], v[86:87], v[102:103], -v[104:105]
	ds_load_b128 v[86:89], v2 offset:848
	s_wait_loadcnt_dscnt 0xb01
	v_mul_f64_e32 v[146:147], v[138:139], v[108:109]
	v_mul_f64_e32 v[108:109], v[140:141], v[108:109]
	scratch_load_b128 v[102:105], off, off offset:464
	v_add_f64_e32 v[4:5], v[4:5], v[130:131]
	v_add_f64_e32 v[8:9], v[8:9], v[144:145]
	s_wait_loadcnt_dscnt 0xb00
	v_mul_f64_e32 v[144:145], v[86:87], v[112:113]
	v_mul_f64_e32 v[112:113], v[88:89], v[112:113]
	ds_load_b128 v[130:133], v2 offset:864
	;; [unrolled: 18-line block ×3, first 2 shown]
	v_fmac_f64_e32 v[142:143], v[132:133], v[114:115]
	v_fma_f64 v[130:131], v[130:131], v[114:115], -v[116:117]
	scratch_load_b128 v[114:117], off, off offset:512
	v_add_f64_e32 v[4:5], v[4:5], v[148:149]
	v_add_f64_e32 v[8:9], v[8:9], v[144:145]
	v_fmac_f64_e32 v[146:147], v[88:89], v[122:123]
	v_fma_f64 v[148:149], v[86:87], v[122:123], -v[124:125]
	ds_load_b128 v[86:89], v2 offset:912
	s_wait_loadcnt_dscnt 0x901
	v_mul_f64_e32 v[144:145], v[138:139], v[12:13]
	v_mul_f64_e32 v[12:13], v[140:141], v[12:13]
	scratch_load_b128 v[122:125], off, off offset:528
	v_add_f64_e32 v[4:5], v[4:5], v[130:131]
	v_add_f64_e32 v[8:9], v[8:9], v[142:143]
	s_wait_dscnt 0x0
	v_mul_f64_e32 v[142:143], v[86:87], v[136:137]
	v_mul_f64_e32 v[136:137], v[88:89], v[136:137]
	ds_load_b128 v[130:133], v2 offset:928
	v_fmac_f64_e32 v[144:145], v[140:141], v[10:11]
	v_fma_f64 v[10:11], v[138:139], v[10:11], -v[12:13]
	v_add_f64_e32 v[4:5], v[4:5], v[148:149]
	v_add_f64_e32 v[8:9], v[8:9], v[146:147]
	s_wait_loadcnt_dscnt 0x900
	v_mul_f64_e32 v[12:13], v[130:131], v[84:85]
	v_mul_f64_e32 v[138:139], v[132:133], v[84:85]
	v_fmac_f64_e32 v[142:143], v[88:89], v[134:135]
	v_fma_f64 v[88:89], v[86:87], v[134:135], -v[136:137]
	v_add_f64_e32 v[4:5], v[4:5], v[10:11]
	v_add_f64_e32 v[134:135], v[8:9], v[144:145]
	ds_load_b128 v[8:11], v2 offset:944
	ds_load_b128 v[84:87], v2 offset:960
	v_fmac_f64_e32 v[12:13], v[132:133], v[82:83]
	v_fma_f64 v[82:83], v[130:131], v[82:83], -v[138:139]
	s_wait_loadcnt_dscnt 0x801
	v_mul_f64_e32 v[136:137], v[8:9], v[120:121]
	v_mul_f64_e32 v[120:121], v[10:11], v[120:121]
	s_wait_loadcnt_dscnt 0x700
	v_mul_f64_e32 v[130:131], v[84:85], v[92:93]
	v_mul_f64_e32 v[92:93], v[86:87], v[92:93]
	v_add_f64_e32 v[4:5], v[4:5], v[88:89]
	v_add_f64_e32 v[88:89], v[134:135], v[142:143]
	v_fmac_f64_e32 v[136:137], v[10:11], v[118:119]
	v_fma_f64 v[132:133], v[8:9], v[118:119], -v[120:121]
	ds_load_b128 v[8:11], v2 offset:976
	ds_load_b128 v[118:121], v2 offset:992
	v_fmac_f64_e32 v[130:131], v[86:87], v[90:91]
	v_fma_f64 v[84:85], v[84:85], v[90:91], -v[92:93]
	v_add_f64_e32 v[4:5], v[4:5], v[82:83]
	v_add_f64_e32 v[12:13], v[88:89], v[12:13]
	s_wait_loadcnt_dscnt 0x601
	v_mul_f64_e32 v[88:89], v[8:9], v[96:97]
	v_mul_f64_e32 v[82:83], v[10:11], v[96:97]
	s_wait_loadcnt_dscnt 0x500
	v_mul_f64_e32 v[86:87], v[118:119], v[100:101]
	v_mul_f64_e32 v[90:91], v[120:121], v[100:101]
	v_add_f64_e32 v[4:5], v[4:5], v[132:133]
	v_add_f64_e32 v[12:13], v[12:13], v[136:137]
	v_fmac_f64_e32 v[88:89], v[10:11], v[94:95]
	v_fma_f64 v[92:93], v[8:9], v[94:95], -v[82:83]
	v_fmac_f64_e32 v[86:87], v[120:121], v[98:99]
	v_fma_f64 v[90:91], v[118:119], v[98:99], -v[90:91]
	v_add_f64_e32 v[4:5], v[4:5], v[84:85]
	v_add_f64_e32 v[12:13], v[12:13], v[130:131]
	ds_load_b128 v[8:11], v2 offset:1008
	ds_load_b128 v[82:85], v2 offset:1024
	s_wait_loadcnt_dscnt 0x401
	v_mul_f64_e32 v[94:95], v[8:9], v[104:105]
	v_mul_f64_e32 v[96:97], v[10:11], v[104:105]
	s_wait_loadcnt_dscnt 0x300
	v_mul_f64_e32 v[98:99], v[84:85], v[108:109]
	v_add_f64_e32 v[4:5], v[4:5], v[92:93]
	v_add_f64_e32 v[12:13], v[12:13], v[88:89]
	v_mul_f64_e32 v[92:93], v[82:83], v[108:109]
	v_fmac_f64_e32 v[94:95], v[10:11], v[102:103]
	v_fma_f64 v[96:97], v[8:9], v[102:103], -v[96:97]
	v_fma_f64 v[82:83], v[82:83], v[106:107], -v[98:99]
	v_add_f64_e32 v[4:5], v[4:5], v[90:91]
	v_add_f64_e32 v[12:13], v[12:13], v[86:87]
	ds_load_b128 v[8:11], v2 offset:1040
	ds_load_b128 v[86:89], v2 offset:1056
	v_fmac_f64_e32 v[92:93], v[84:85], v[106:107]
	s_wait_loadcnt_dscnt 0x201
	v_mul_f64_e32 v[90:91], v[8:9], v[112:113]
	v_mul_f64_e32 v[100:101], v[10:11], v[112:113]
	s_wait_loadcnt_dscnt 0x100
	v_mul_f64_e32 v[84:85], v[86:87], v[116:117]
	v_add_f64_e32 v[4:5], v[4:5], v[96:97]
	v_add_f64_e32 v[12:13], v[12:13], v[94:95]
	v_mul_f64_e32 v[94:95], v[88:89], v[116:117]
	v_fmac_f64_e32 v[90:91], v[10:11], v[110:111]
	v_fma_f64 v[96:97], v[8:9], v[110:111], -v[100:101]
	ds_load_b128 v[8:11], v2 offset:1072
	v_fmac_f64_e32 v[84:85], v[88:89], v[114:115]
	v_add_f64_e32 v[4:5], v[4:5], v[82:83]
	v_add_f64_e32 v[12:13], v[12:13], v[92:93]
	v_fma_f64 v[86:87], v[86:87], v[114:115], -v[94:95]
	s_wait_loadcnt_dscnt 0x0
	v_mul_f64_e32 v[82:83], v[8:9], v[124:125]
	v_mul_f64_e32 v[92:93], v[10:11], v[124:125]
	v_add_f64_e32 v[4:5], v[4:5], v[96:97]
	v_add_f64_e32 v[12:13], v[12:13], v[90:91]
	s_delay_alu instid0(VALU_DEP_4) | instskip(NEXT) | instid1(VALU_DEP_4)
	v_fmac_f64_e32 v[82:83], v[10:11], v[122:123]
	v_fma_f64 v[8:9], v[8:9], v[122:123], -v[92:93]
	s_delay_alu instid0(VALU_DEP_4) | instskip(NEXT) | instid1(VALU_DEP_4)
	v_add_f64_e32 v[4:5], v[4:5], v[86:87]
	v_add_f64_e32 v[10:11], v[12:13], v[84:85]
	s_delay_alu instid0(VALU_DEP_2) | instskip(NEXT) | instid1(VALU_DEP_2)
	v_add_f64_e32 v[4:5], v[4:5], v[8:9]
	v_add_f64_e32 v[10:11], v[10:11], v[82:83]
	s_delay_alu instid0(VALU_DEP_2) | instskip(NEXT) | instid1(VALU_DEP_2)
	v_add_f64_e64 v[8:9], v[126:127], -v[4:5]
	v_add_f64_e64 v[10:11], v[128:129], -v[10:11]
	scratch_store_b128 off, v[8:11], off offset:160
	s_wait_xcnt 0x0
	v_cmpx_lt_u32_e32 9, v1
	s_cbranch_execz .LBB97_199
; %bb.198:
	scratch_load_b128 v[8:11], off, s41
	v_dual_mov_b32 v3, v2 :: v_dual_mov_b32 v4, v2
	v_mov_b32_e32 v5, v2
	scratch_store_b128 off, v[2:5], off offset:144
	s_wait_loadcnt 0x0
	ds_store_b128 v6, v[8:11]
.LBB97_199:
	s_wait_xcnt 0x0
	s_or_b32 exec_lo, exec_lo, s2
	s_wait_storecnt_dscnt 0x0
	s_barrier_signal -1
	s_barrier_wait -1
	s_clause 0x9
	scratch_load_b128 v[8:11], off, off offset:160
	scratch_load_b128 v[82:85], off, off offset:176
	scratch_load_b128 v[86:89], off, off offset:192
	scratch_load_b128 v[90:93], off, off offset:208
	scratch_load_b128 v[94:97], off, off offset:224
	scratch_load_b128 v[98:101], off, off offset:240
	scratch_load_b128 v[102:105], off, off offset:256
	scratch_load_b128 v[106:109], off, off offset:272
	scratch_load_b128 v[110:113], off, off offset:288
	scratch_load_b128 v[114:117], off, off offset:304
	ds_load_b128 v[118:121], v2 offset:704
	ds_load_b128 v[126:129], v2 offset:720
	s_clause 0x1
	scratch_load_b128 v[122:125], off, off offset:320
	scratch_load_b128 v[130:133], off, off offset:144
	s_mov_b32 s2, exec_lo
	s_wait_loadcnt_dscnt 0xb01
	v_mul_f64_e32 v[4:5], v[120:121], v[10:11]
	v_mul_f64_e32 v[142:143], v[118:119], v[10:11]
	scratch_load_b128 v[10:13], off, off offset:336
	s_wait_loadcnt_dscnt 0xb00
	v_mul_f64_e32 v[144:145], v[126:127], v[84:85]
	v_mul_f64_e32 v[84:85], v[128:129], v[84:85]
	v_fma_f64 v[4:5], v[118:119], v[8:9], -v[4:5]
	v_fmac_f64_e32 v[142:143], v[120:121], v[8:9]
	ds_load_b128 v[118:121], v2 offset:736
	ds_load_b128 v[134:137], v2 offset:752
	scratch_load_b128 v[138:141], off, off offset:352
	v_fmac_f64_e32 v[144:145], v[128:129], v[82:83]
	v_fma_f64 v[126:127], v[126:127], v[82:83], -v[84:85]
	scratch_load_b128 v[82:85], off, off offset:368
	s_wait_loadcnt_dscnt 0xc01
	v_mul_f64_e32 v[8:9], v[118:119], v[88:89]
	v_mul_f64_e32 v[88:89], v[120:121], v[88:89]
	v_add_f64_e32 v[4:5], 0, v[4:5]
	v_add_f64_e32 v[128:129], 0, v[142:143]
	s_wait_loadcnt_dscnt 0xb00
	v_mul_f64_e32 v[142:143], v[134:135], v[92:93]
	v_mul_f64_e32 v[92:93], v[136:137], v[92:93]
	v_fmac_f64_e32 v[8:9], v[120:121], v[86:87]
	v_fma_f64 v[146:147], v[118:119], v[86:87], -v[88:89]
	ds_load_b128 v[86:89], v2 offset:768
	ds_load_b128 v[118:121], v2 offset:784
	v_add_f64_e32 v[4:5], v[4:5], v[126:127]
	v_add_f64_e32 v[144:145], v[128:129], v[144:145]
	scratch_load_b128 v[126:129], off, off offset:384
	v_fmac_f64_e32 v[142:143], v[136:137], v[90:91]
	v_fma_f64 v[134:135], v[134:135], v[90:91], -v[92:93]
	scratch_load_b128 v[90:93], off, off offset:400
	s_wait_loadcnt_dscnt 0xc01
	v_mul_f64_e32 v[148:149], v[86:87], v[96:97]
	v_mul_f64_e32 v[96:97], v[88:89], v[96:97]
	v_add_f64_e32 v[4:5], v[4:5], v[146:147]
	v_add_f64_e32 v[8:9], v[144:145], v[8:9]
	s_wait_loadcnt_dscnt 0xb00
	v_mul_f64_e32 v[144:145], v[118:119], v[100:101]
	v_mul_f64_e32 v[100:101], v[120:121], v[100:101]
	v_fmac_f64_e32 v[148:149], v[88:89], v[94:95]
	v_fma_f64 v[146:147], v[86:87], v[94:95], -v[96:97]
	ds_load_b128 v[86:89], v2 offset:800
	ds_load_b128 v[94:97], v2 offset:816
	v_add_f64_e32 v[4:5], v[4:5], v[134:135]
	v_add_f64_e32 v[8:9], v[8:9], v[142:143]
	scratch_load_b128 v[134:137], off, off offset:416
	s_wait_loadcnt_dscnt 0xb01
	v_mul_f64_e32 v[142:143], v[86:87], v[104:105]
	v_mul_f64_e32 v[104:105], v[88:89], v[104:105]
	v_fmac_f64_e32 v[144:145], v[120:121], v[98:99]
	v_fma_f64 v[118:119], v[118:119], v[98:99], -v[100:101]
	scratch_load_b128 v[98:101], off, off offset:432
	v_add_f64_e32 v[4:5], v[4:5], v[146:147]
	v_add_f64_e32 v[8:9], v[8:9], v[148:149]
	s_wait_loadcnt_dscnt 0xb00
	v_mul_f64_e32 v[146:147], v[94:95], v[108:109]
	v_mul_f64_e32 v[108:109], v[96:97], v[108:109]
	v_fmac_f64_e32 v[142:143], v[88:89], v[102:103]
	v_fma_f64 v[148:149], v[86:87], v[102:103], -v[104:105]
	ds_load_b128 v[86:89], v2 offset:832
	ds_load_b128 v[102:105], v2 offset:848
	v_add_f64_e32 v[4:5], v[4:5], v[118:119]
	v_add_f64_e32 v[8:9], v[8:9], v[144:145]
	scratch_load_b128 v[118:121], off, off offset:448
	s_wait_loadcnt_dscnt 0xb01
	v_mul_f64_e32 v[144:145], v[86:87], v[112:113]
	v_mul_f64_e32 v[112:113], v[88:89], v[112:113]
	v_fmac_f64_e32 v[146:147], v[96:97], v[106:107]
	v_fma_f64 v[106:107], v[94:95], v[106:107], -v[108:109]
	scratch_load_b128 v[94:97], off, off offset:464
	v_add_f64_e32 v[4:5], v[4:5], v[148:149]
	v_add_f64_e32 v[8:9], v[8:9], v[142:143]
	s_wait_loadcnt_dscnt 0xb00
	v_mul_f64_e32 v[142:143], v[102:103], v[116:117]
	v_mul_f64_e32 v[116:117], v[104:105], v[116:117]
	v_fmac_f64_e32 v[144:145], v[88:89], v[110:111]
	v_fma_f64 v[148:149], v[86:87], v[110:111], -v[112:113]
	v_add_f64_e32 v[4:5], v[4:5], v[106:107]
	v_add_f64_e32 v[8:9], v[8:9], v[146:147]
	ds_load_b128 v[86:89], v2 offset:864
	ds_load_b128 v[106:109], v2 offset:880
	scratch_load_b128 v[110:113], off, off offset:480
	v_fmac_f64_e32 v[142:143], v[104:105], v[114:115]
	v_fma_f64 v[114:115], v[102:103], v[114:115], -v[116:117]
	scratch_load_b128 v[102:105], off, off offset:496
	s_wait_loadcnt_dscnt 0xc01
	v_mul_f64_e32 v[146:147], v[86:87], v[124:125]
	v_mul_f64_e32 v[124:125], v[88:89], v[124:125]
	v_add_f64_e32 v[4:5], v[4:5], v[148:149]
	v_add_f64_e32 v[8:9], v[8:9], v[144:145]
	s_wait_loadcnt_dscnt 0xa00
	v_mul_f64_e32 v[144:145], v[106:107], v[12:13]
	v_mul_f64_e32 v[12:13], v[108:109], v[12:13]
	v_fmac_f64_e32 v[146:147], v[88:89], v[122:123]
	v_fma_f64 v[148:149], v[86:87], v[122:123], -v[124:125]
	v_add_f64_e32 v[4:5], v[4:5], v[114:115]
	v_add_f64_e32 v[8:9], v[8:9], v[142:143]
	ds_load_b128 v[86:89], v2 offset:896
	ds_load_b128 v[114:117], v2 offset:912
	scratch_load_b128 v[122:125], off, off offset:512
	v_fmac_f64_e32 v[144:145], v[108:109], v[10:11]
	v_fma_f64 v[12:13], v[106:107], v[10:11], -v[12:13]
	s_wait_loadcnt_dscnt 0xa01
	v_mul_f64_e32 v[142:143], v[86:87], v[140:141]
	v_mul_f64_e32 v[140:141], v[88:89], v[140:141]
	v_add_f64_e32 v[4:5], v[4:5], v[148:149]
	v_add_f64_e32 v[106:107], v[8:9], v[146:147]
	scratch_load_b128 v[8:11], off, off offset:528
	s_wait_loadcnt_dscnt 0xa00
	v_mul_f64_e32 v[146:147], v[114:115], v[84:85]
	v_mul_f64_e32 v[148:149], v[116:117], v[84:85]
	v_fmac_f64_e32 v[142:143], v[88:89], v[138:139]
	v_fma_f64 v[88:89], v[86:87], v[138:139], -v[140:141]
	v_add_f64_e32 v[4:5], v[4:5], v[12:13]
	v_add_f64_e32 v[12:13], v[106:107], v[144:145]
	ds_load_b128 v[84:87], v2 offset:928
	ds_load_b128 v[106:109], v2 offset:944
	v_fmac_f64_e32 v[146:147], v[116:117], v[82:83]
	v_fma_f64 v[82:83], v[114:115], v[82:83], -v[148:149]
	s_wait_loadcnt_dscnt 0x901
	v_mul_f64_e32 v[138:139], v[84:85], v[128:129]
	v_mul_f64_e32 v[128:129], v[86:87], v[128:129]
	s_wait_loadcnt_dscnt 0x800
	v_mul_f64_e32 v[114:115], v[106:107], v[92:93]
	v_mul_f64_e32 v[92:93], v[108:109], v[92:93]
	v_add_f64_e32 v[4:5], v[4:5], v[88:89]
	v_add_f64_e32 v[12:13], v[12:13], v[142:143]
	v_fmac_f64_e32 v[138:139], v[86:87], v[126:127]
	v_fma_f64 v[116:117], v[84:85], v[126:127], -v[128:129]
	v_fmac_f64_e32 v[114:115], v[108:109], v[90:91]
	v_fma_f64 v[90:91], v[106:107], v[90:91], -v[92:93]
	v_add_f64_e32 v[4:5], v[4:5], v[82:83]
	v_add_f64_e32 v[12:13], v[12:13], v[146:147]
	ds_load_b128 v[82:85], v2 offset:960
	ds_load_b128 v[86:89], v2 offset:976
	s_wait_loadcnt_dscnt 0x701
	v_mul_f64_e32 v[126:127], v[82:83], v[136:137]
	v_mul_f64_e32 v[128:129], v[84:85], v[136:137]
	s_wait_loadcnt_dscnt 0x600
	v_mul_f64_e32 v[106:107], v[86:87], v[100:101]
	v_mul_f64_e32 v[100:101], v[88:89], v[100:101]
	v_add_f64_e32 v[4:5], v[4:5], v[116:117]
	v_add_f64_e32 v[12:13], v[12:13], v[138:139]
	v_fmac_f64_e32 v[126:127], v[84:85], v[134:135]
	v_fma_f64 v[108:109], v[82:83], v[134:135], -v[128:129]
	v_fmac_f64_e32 v[106:107], v[88:89], v[98:99]
	v_fma_f64 v[86:87], v[86:87], v[98:99], -v[100:101]
	v_add_f64_e32 v[4:5], v[4:5], v[90:91]
	v_add_f64_e32 v[12:13], v[12:13], v[114:115]
	ds_load_b128 v[82:85], v2 offset:992
	ds_load_b128 v[90:93], v2 offset:1008
	;; [unrolled: 16-line block ×4, first 2 shown]
	s_wait_loadcnt_dscnt 0x101
	v_mul_f64_e32 v[98:99], v[82:83], v[124:125]
	v_mul_f64_e32 v[100:101], v[84:85], v[124:125]
	v_add_f64_e32 v[88:89], v[90:91], v[96:97]
	v_add_f64_e32 v[12:13], v[12:13], v[106:107]
	s_wait_loadcnt_dscnt 0x0
	v_mul_f64_e32 v[90:91], v[2:3], v[10:11]
	v_mul_f64_e32 v[10:11], v[4:5], v[10:11]
	v_fmac_f64_e32 v[98:99], v[84:85], v[122:123]
	v_fma_f64 v[82:83], v[82:83], v[122:123], -v[100:101]
	v_add_f64_e32 v[84:85], v[88:89], v[86:87]
	v_add_f64_e32 v[12:13], v[12:13], v[92:93]
	v_fmac_f64_e32 v[90:91], v[4:5], v[8:9]
	v_fma_f64 v[2:3], v[2:3], v[8:9], -v[10:11]
	s_delay_alu instid0(VALU_DEP_4) | instskip(NEXT) | instid1(VALU_DEP_4)
	v_add_f64_e32 v[4:5], v[84:85], v[82:83]
	v_add_f64_e32 v[8:9], v[12:13], v[98:99]
	s_delay_alu instid0(VALU_DEP_2) | instskip(NEXT) | instid1(VALU_DEP_2)
	v_add_f64_e32 v[2:3], v[4:5], v[2:3]
	v_add_f64_e32 v[4:5], v[8:9], v[90:91]
	s_delay_alu instid0(VALU_DEP_2) | instskip(NEXT) | instid1(VALU_DEP_2)
	v_add_f64_e64 v[2:3], v[130:131], -v[2:3]
	v_add_f64_e64 v[4:5], v[132:133], -v[4:5]
	scratch_store_b128 off, v[2:5], off offset:144
	s_wait_xcnt 0x0
	v_cmpx_lt_u32_e32 8, v1
	s_cbranch_execz .LBB97_201
; %bb.200:
	scratch_load_b128 v[2:5], off, s42
	v_mov_b32_e32 v8, 0
	s_delay_alu instid0(VALU_DEP_1)
	v_dual_mov_b32 v9, v8 :: v_dual_mov_b32 v10, v8
	v_mov_b32_e32 v11, v8
	scratch_store_b128 off, v[8:11], off offset:128
	s_wait_loadcnt 0x0
	ds_store_b128 v6, v[2:5]
.LBB97_201:
	s_wait_xcnt 0x0
	s_or_b32 exec_lo, exec_lo, s2
	s_wait_storecnt_dscnt 0x0
	s_barrier_signal -1
	s_barrier_wait -1
	s_clause 0x9
	scratch_load_b128 v[8:11], off, off offset:144
	scratch_load_b128 v[82:85], off, off offset:160
	;; [unrolled: 1-line block ×10, first 2 shown]
	v_mov_b32_e32 v2, 0
	s_mov_b32 s2, exec_lo
	ds_load_b128 v[118:121], v2 offset:688
	s_clause 0x2
	scratch_load_b128 v[122:125], off, off offset:304
	scratch_load_b128 v[126:129], off, off offset:128
	;; [unrolled: 1-line block ×3, first 2 shown]
	s_wait_loadcnt_dscnt 0xc00
	v_mul_f64_e32 v[4:5], v[120:121], v[10:11]
	v_mul_f64_e32 v[142:143], v[118:119], v[10:11]
	ds_load_b128 v[130:133], v2 offset:704
	scratch_load_b128 v[10:13], off, off offset:320
	ds_load_b128 v[138:141], v2 offset:736
	v_fma_f64 v[4:5], v[118:119], v[8:9], -v[4:5]
	v_fmac_f64_e32 v[142:143], v[120:121], v[8:9]
	ds_load_b128 v[118:121], v2 offset:720
	s_wait_loadcnt_dscnt 0xc02
	v_mul_f64_e32 v[144:145], v[130:131], v[84:85]
	v_mul_f64_e32 v[84:85], v[132:133], v[84:85]
	s_wait_loadcnt_dscnt 0xb00
	v_mul_f64_e32 v[8:9], v[118:119], v[88:89]
	v_mul_f64_e32 v[88:89], v[120:121], v[88:89]
	v_add_f64_e32 v[4:5], 0, v[4:5]
	v_fmac_f64_e32 v[144:145], v[132:133], v[82:83]
	v_fma_f64 v[130:131], v[130:131], v[82:83], -v[84:85]
	v_add_f64_e32 v[132:133], 0, v[142:143]
	scratch_load_b128 v[82:85], off, off offset:352
	v_fmac_f64_e32 v[8:9], v[120:121], v[86:87]
	v_fma_f64 v[146:147], v[118:119], v[86:87], -v[88:89]
	ds_load_b128 v[86:89], v2 offset:752
	s_wait_loadcnt 0xb
	v_mul_f64_e32 v[142:143], v[138:139], v[92:93]
	v_mul_f64_e32 v[92:93], v[140:141], v[92:93]
	scratch_load_b128 v[118:121], off, off offset:368
	v_add_f64_e32 v[4:5], v[4:5], v[130:131]
	v_add_f64_e32 v[144:145], v[132:133], v[144:145]
	ds_load_b128 v[130:133], v2 offset:768
	s_wait_loadcnt_dscnt 0xb01
	v_mul_f64_e32 v[148:149], v[86:87], v[96:97]
	v_mul_f64_e32 v[96:97], v[88:89], v[96:97]
	v_fmac_f64_e32 v[142:143], v[140:141], v[90:91]
	v_fma_f64 v[138:139], v[138:139], v[90:91], -v[92:93]
	scratch_load_b128 v[90:93], off, off offset:384
	v_add_f64_e32 v[4:5], v[4:5], v[146:147]
	v_add_f64_e32 v[8:9], v[144:145], v[8:9]
	v_fmac_f64_e32 v[148:149], v[88:89], v[94:95]
	v_fma_f64 v[146:147], v[86:87], v[94:95], -v[96:97]
	ds_load_b128 v[86:89], v2 offset:784
	s_wait_loadcnt_dscnt 0xb01
	v_mul_f64_e32 v[144:145], v[130:131], v[100:101]
	v_mul_f64_e32 v[100:101], v[132:133], v[100:101]
	scratch_load_b128 v[94:97], off, off offset:400
	v_add_f64_e32 v[4:5], v[4:5], v[138:139]
	v_add_f64_e32 v[8:9], v[8:9], v[142:143]
	s_wait_loadcnt_dscnt 0xb00
	v_mul_f64_e32 v[142:143], v[86:87], v[104:105]
	v_mul_f64_e32 v[104:105], v[88:89], v[104:105]
	ds_load_b128 v[138:141], v2 offset:800
	v_fmac_f64_e32 v[144:145], v[132:133], v[98:99]
	v_fma_f64 v[130:131], v[130:131], v[98:99], -v[100:101]
	scratch_load_b128 v[98:101], off, off offset:416
	v_add_f64_e32 v[4:5], v[4:5], v[146:147]
	v_add_f64_e32 v[8:9], v[8:9], v[148:149]
	v_fmac_f64_e32 v[142:143], v[88:89], v[102:103]
	v_fma_f64 v[148:149], v[86:87], v[102:103], -v[104:105]
	ds_load_b128 v[86:89], v2 offset:816
	s_wait_loadcnt_dscnt 0xb01
	v_mul_f64_e32 v[146:147], v[138:139], v[108:109]
	v_mul_f64_e32 v[108:109], v[140:141], v[108:109]
	scratch_load_b128 v[102:105], off, off offset:432
	v_add_f64_e32 v[4:5], v[4:5], v[130:131]
	v_add_f64_e32 v[8:9], v[8:9], v[144:145]
	s_wait_loadcnt_dscnt 0xb00
	v_mul_f64_e32 v[144:145], v[86:87], v[112:113]
	v_mul_f64_e32 v[112:113], v[88:89], v[112:113]
	ds_load_b128 v[130:133], v2 offset:832
	;; [unrolled: 18-line block ×3, first 2 shown]
	v_fmac_f64_e32 v[142:143], v[132:133], v[114:115]
	v_fma_f64 v[130:131], v[130:131], v[114:115], -v[116:117]
	scratch_load_b128 v[114:117], off, off offset:480
	v_add_f64_e32 v[4:5], v[4:5], v[148:149]
	v_add_f64_e32 v[8:9], v[8:9], v[144:145]
	v_fmac_f64_e32 v[146:147], v[88:89], v[122:123]
	v_fma_f64 v[148:149], v[86:87], v[122:123], -v[124:125]
	ds_load_b128 v[86:89], v2 offset:880
	s_wait_loadcnt_dscnt 0x901
	v_mul_f64_e32 v[144:145], v[138:139], v[12:13]
	v_mul_f64_e32 v[12:13], v[140:141], v[12:13]
	scratch_load_b128 v[122:125], off, off offset:496
	v_add_f64_e32 v[4:5], v[4:5], v[130:131]
	v_add_f64_e32 v[8:9], v[8:9], v[142:143]
	s_wait_dscnt 0x0
	v_mul_f64_e32 v[142:143], v[86:87], v[136:137]
	v_mul_f64_e32 v[136:137], v[88:89], v[136:137]
	ds_load_b128 v[130:133], v2 offset:896
	v_fmac_f64_e32 v[144:145], v[140:141], v[10:11]
	v_fma_f64 v[12:13], v[138:139], v[10:11], -v[12:13]
	v_add_f64_e32 v[4:5], v[4:5], v[148:149]
	v_add_f64_e32 v[138:139], v[8:9], v[146:147]
	scratch_load_b128 v[8:11], off, off offset:512
	v_fmac_f64_e32 v[142:143], v[88:89], v[134:135]
	v_fma_f64 v[88:89], v[86:87], v[134:135], -v[136:137]
	scratch_load_b128 v[134:137], off, off offset:528
	v_add_f64_e32 v[4:5], v[4:5], v[12:13]
	v_add_f64_e32 v[12:13], v[138:139], v[144:145]
	ds_load_b128 v[138:141], v2 offset:928
	s_wait_loadcnt_dscnt 0xb01
	v_mul_f64_e32 v[146:147], v[130:131], v[84:85]
	v_mul_f64_e32 v[148:149], v[132:133], v[84:85]
	ds_load_b128 v[84:87], v2 offset:912
	s_wait_loadcnt_dscnt 0xa00
	v_mul_f64_e32 v[144:145], v[84:85], v[120:121]
	v_mul_f64_e32 v[120:121], v[86:87], v[120:121]
	v_add_f64_e32 v[4:5], v[4:5], v[88:89]
	v_add_f64_e32 v[12:13], v[12:13], v[142:143]
	v_fmac_f64_e32 v[146:147], v[132:133], v[82:83]
	v_fma_f64 v[82:83], v[130:131], v[82:83], -v[148:149]
	s_wait_loadcnt 0x9
	v_mul_f64_e32 v[130:131], v[138:139], v[92:93]
	v_mul_f64_e32 v[92:93], v[140:141], v[92:93]
	v_fmac_f64_e32 v[144:145], v[86:87], v[118:119]
	v_fma_f64 v[118:119], v[84:85], v[118:119], -v[120:121]
	v_add_f64_e32 v[12:13], v[12:13], v[146:147]
	v_add_f64_e32 v[4:5], v[4:5], v[82:83]
	ds_load_b128 v[82:85], v2 offset:944
	ds_load_b128 v[86:89], v2 offset:960
	v_fmac_f64_e32 v[130:131], v[140:141], v[90:91]
	v_fma_f64 v[90:91], v[138:139], v[90:91], -v[92:93]
	s_wait_loadcnt_dscnt 0x801
	v_mul_f64_e32 v[120:121], v[82:83], v[96:97]
	v_mul_f64_e32 v[96:97], v[84:85], v[96:97]
	v_add_f64_e32 v[12:13], v[12:13], v[144:145]
	v_add_f64_e32 v[4:5], v[4:5], v[118:119]
	s_wait_loadcnt_dscnt 0x700
	v_mul_f64_e32 v[118:119], v[86:87], v[100:101]
	v_mul_f64_e32 v[100:101], v[88:89], v[100:101]
	v_fmac_f64_e32 v[120:121], v[84:85], v[94:95]
	v_fma_f64 v[94:95], v[82:83], v[94:95], -v[96:97]
	v_add_f64_e32 v[12:13], v[12:13], v[130:131]
	v_add_f64_e32 v[4:5], v[4:5], v[90:91]
	ds_load_b128 v[82:85], v2 offset:976
	ds_load_b128 v[90:93], v2 offset:992
	v_fmac_f64_e32 v[118:119], v[88:89], v[98:99]
	v_fma_f64 v[86:87], v[86:87], v[98:99], -v[100:101]
	s_wait_loadcnt_dscnt 0x601
	v_mul_f64_e32 v[96:97], v[82:83], v[104:105]
	v_mul_f64_e32 v[104:105], v[84:85], v[104:105]
	s_wait_loadcnt_dscnt 0x500
	v_mul_f64_e32 v[98:99], v[92:93], v[108:109]
	v_add_f64_e32 v[12:13], v[12:13], v[120:121]
	v_add_f64_e32 v[4:5], v[4:5], v[94:95]
	v_mul_f64_e32 v[94:95], v[90:91], v[108:109]
	v_fmac_f64_e32 v[96:97], v[84:85], v[102:103]
	v_fma_f64 v[100:101], v[82:83], v[102:103], -v[104:105]
	v_fma_f64 v[90:91], v[90:91], v[106:107], -v[98:99]
	v_add_f64_e32 v[12:13], v[12:13], v[118:119]
	v_add_f64_e32 v[4:5], v[4:5], v[86:87]
	ds_load_b128 v[82:85], v2 offset:1008
	ds_load_b128 v[86:89], v2 offset:1024
	v_fmac_f64_e32 v[94:95], v[92:93], v[106:107]
	s_wait_loadcnt_dscnt 0x401
	v_mul_f64_e32 v[102:103], v[82:83], v[112:113]
	v_mul_f64_e32 v[104:105], v[84:85], v[112:113]
	s_wait_loadcnt_dscnt 0x300
	v_mul_f64_e32 v[98:99], v[88:89], v[116:117]
	v_add_f64_e32 v[12:13], v[12:13], v[96:97]
	v_add_f64_e32 v[4:5], v[4:5], v[100:101]
	v_mul_f64_e32 v[96:97], v[86:87], v[116:117]
	v_fmac_f64_e32 v[102:103], v[84:85], v[110:111]
	v_fma_f64 v[100:101], v[82:83], v[110:111], -v[104:105]
	v_fma_f64 v[86:87], v[86:87], v[114:115], -v[98:99]
	v_add_f64_e32 v[12:13], v[12:13], v[94:95]
	v_add_f64_e32 v[4:5], v[4:5], v[90:91]
	ds_load_b128 v[82:85], v2 offset:1040
	ds_load_b128 v[90:93], v2 offset:1056
	v_fmac_f64_e32 v[96:97], v[88:89], v[114:115]
	s_wait_loadcnt_dscnt 0x201
	v_mul_f64_e32 v[94:95], v[82:83], v[124:125]
	v_mul_f64_e32 v[104:105], v[84:85], v[124:125]
	s_wait_loadcnt_dscnt 0x100
	v_mul_f64_e32 v[88:89], v[90:91], v[10:11]
	v_add_f64_e32 v[12:13], v[12:13], v[102:103]
	v_add_f64_e32 v[4:5], v[4:5], v[100:101]
	v_mul_f64_e32 v[98:99], v[92:93], v[10:11]
	v_fmac_f64_e32 v[94:95], v[84:85], v[122:123]
	v_fma_f64 v[82:83], v[82:83], v[122:123], -v[104:105]
	v_fmac_f64_e32 v[88:89], v[92:93], v[8:9]
	v_add_f64_e32 v[84:85], v[12:13], v[96:97]
	v_add_f64_e32 v[4:5], v[4:5], v[86:87]
	ds_load_b128 v[10:13], v2 offset:1072
	v_fma_f64 v[8:9], v[90:91], v[8:9], -v[98:99]
	s_wait_loadcnt_dscnt 0x0
	v_mul_f64_e32 v[86:87], v[10:11], v[136:137]
	v_mul_f64_e32 v[96:97], v[12:13], v[136:137]
	v_add_f64_e32 v[4:5], v[4:5], v[82:83]
	v_add_f64_e32 v[82:83], v[84:85], v[94:95]
	s_delay_alu instid0(VALU_DEP_4) | instskip(NEXT) | instid1(VALU_DEP_4)
	v_fmac_f64_e32 v[86:87], v[12:13], v[134:135]
	v_fma_f64 v[10:11], v[10:11], v[134:135], -v[96:97]
	s_delay_alu instid0(VALU_DEP_4) | instskip(NEXT) | instid1(VALU_DEP_4)
	v_add_f64_e32 v[4:5], v[4:5], v[8:9]
	v_add_f64_e32 v[8:9], v[82:83], v[88:89]
	s_delay_alu instid0(VALU_DEP_2) | instskip(NEXT) | instid1(VALU_DEP_2)
	v_add_f64_e32 v[4:5], v[4:5], v[10:11]
	v_add_f64_e32 v[10:11], v[8:9], v[86:87]
	s_delay_alu instid0(VALU_DEP_2) | instskip(NEXT) | instid1(VALU_DEP_2)
	v_add_f64_e64 v[8:9], v[126:127], -v[4:5]
	v_add_f64_e64 v[10:11], v[128:129], -v[10:11]
	scratch_store_b128 off, v[8:11], off offset:128
	s_wait_xcnt 0x0
	v_cmpx_lt_u32_e32 7, v1
	s_cbranch_execz .LBB97_203
; %bb.202:
	scratch_load_b128 v[8:11], off, s43
	v_dual_mov_b32 v3, v2 :: v_dual_mov_b32 v4, v2
	v_mov_b32_e32 v5, v2
	scratch_store_b128 off, v[2:5], off offset:112
	s_wait_loadcnt 0x0
	ds_store_b128 v6, v[8:11]
.LBB97_203:
	s_wait_xcnt 0x0
	s_or_b32 exec_lo, exec_lo, s2
	s_wait_storecnt_dscnt 0x0
	s_barrier_signal -1
	s_barrier_wait -1
	s_clause 0x9
	scratch_load_b128 v[8:11], off, off offset:128
	scratch_load_b128 v[82:85], off, off offset:144
	;; [unrolled: 1-line block ×10, first 2 shown]
	ds_load_b128 v[118:121], v2 offset:672
	ds_load_b128 v[126:129], v2 offset:688
	s_clause 0x1
	scratch_load_b128 v[122:125], off, off offset:288
	scratch_load_b128 v[130:133], off, off offset:112
	s_mov_b32 s2, exec_lo
	s_wait_loadcnt_dscnt 0xb01
	v_mul_f64_e32 v[4:5], v[120:121], v[10:11]
	v_mul_f64_e32 v[142:143], v[118:119], v[10:11]
	scratch_load_b128 v[10:13], off, off offset:304
	s_wait_loadcnt_dscnt 0xb00
	v_mul_f64_e32 v[144:145], v[126:127], v[84:85]
	v_mul_f64_e32 v[84:85], v[128:129], v[84:85]
	v_fma_f64 v[4:5], v[118:119], v[8:9], -v[4:5]
	v_fmac_f64_e32 v[142:143], v[120:121], v[8:9]
	ds_load_b128 v[118:121], v2 offset:704
	ds_load_b128 v[134:137], v2 offset:720
	scratch_load_b128 v[138:141], off, off offset:320
	v_fmac_f64_e32 v[144:145], v[128:129], v[82:83]
	v_fma_f64 v[126:127], v[126:127], v[82:83], -v[84:85]
	scratch_load_b128 v[82:85], off, off offset:336
	s_wait_loadcnt_dscnt 0xc01
	v_mul_f64_e32 v[8:9], v[118:119], v[88:89]
	v_mul_f64_e32 v[88:89], v[120:121], v[88:89]
	v_add_f64_e32 v[4:5], 0, v[4:5]
	v_add_f64_e32 v[128:129], 0, v[142:143]
	s_wait_loadcnt_dscnt 0xb00
	v_mul_f64_e32 v[142:143], v[134:135], v[92:93]
	v_mul_f64_e32 v[92:93], v[136:137], v[92:93]
	v_fmac_f64_e32 v[8:9], v[120:121], v[86:87]
	v_fma_f64 v[146:147], v[118:119], v[86:87], -v[88:89]
	ds_load_b128 v[86:89], v2 offset:736
	ds_load_b128 v[118:121], v2 offset:752
	v_add_f64_e32 v[4:5], v[4:5], v[126:127]
	v_add_f64_e32 v[144:145], v[128:129], v[144:145]
	scratch_load_b128 v[126:129], off, off offset:352
	v_fmac_f64_e32 v[142:143], v[136:137], v[90:91]
	v_fma_f64 v[134:135], v[134:135], v[90:91], -v[92:93]
	scratch_load_b128 v[90:93], off, off offset:368
	s_wait_loadcnt_dscnt 0xc01
	v_mul_f64_e32 v[148:149], v[86:87], v[96:97]
	v_mul_f64_e32 v[96:97], v[88:89], v[96:97]
	v_add_f64_e32 v[4:5], v[4:5], v[146:147]
	v_add_f64_e32 v[8:9], v[144:145], v[8:9]
	s_wait_loadcnt_dscnt 0xb00
	v_mul_f64_e32 v[144:145], v[118:119], v[100:101]
	v_mul_f64_e32 v[100:101], v[120:121], v[100:101]
	v_fmac_f64_e32 v[148:149], v[88:89], v[94:95]
	v_fma_f64 v[146:147], v[86:87], v[94:95], -v[96:97]
	ds_load_b128 v[86:89], v2 offset:768
	ds_load_b128 v[94:97], v2 offset:784
	v_add_f64_e32 v[4:5], v[4:5], v[134:135]
	v_add_f64_e32 v[8:9], v[8:9], v[142:143]
	scratch_load_b128 v[134:137], off, off offset:384
	s_wait_loadcnt_dscnt 0xb01
	v_mul_f64_e32 v[142:143], v[86:87], v[104:105]
	v_mul_f64_e32 v[104:105], v[88:89], v[104:105]
	v_fmac_f64_e32 v[144:145], v[120:121], v[98:99]
	v_fma_f64 v[118:119], v[118:119], v[98:99], -v[100:101]
	scratch_load_b128 v[98:101], off, off offset:400
	v_add_f64_e32 v[4:5], v[4:5], v[146:147]
	v_add_f64_e32 v[8:9], v[8:9], v[148:149]
	s_wait_loadcnt_dscnt 0xb00
	v_mul_f64_e32 v[146:147], v[94:95], v[108:109]
	v_mul_f64_e32 v[108:109], v[96:97], v[108:109]
	v_fmac_f64_e32 v[142:143], v[88:89], v[102:103]
	v_fma_f64 v[148:149], v[86:87], v[102:103], -v[104:105]
	ds_load_b128 v[86:89], v2 offset:800
	ds_load_b128 v[102:105], v2 offset:816
	v_add_f64_e32 v[4:5], v[4:5], v[118:119]
	v_add_f64_e32 v[8:9], v[8:9], v[144:145]
	scratch_load_b128 v[118:121], off, off offset:416
	s_wait_loadcnt_dscnt 0xb01
	v_mul_f64_e32 v[144:145], v[86:87], v[112:113]
	v_mul_f64_e32 v[112:113], v[88:89], v[112:113]
	v_fmac_f64_e32 v[146:147], v[96:97], v[106:107]
	v_fma_f64 v[106:107], v[94:95], v[106:107], -v[108:109]
	scratch_load_b128 v[94:97], off, off offset:432
	v_add_f64_e32 v[4:5], v[4:5], v[148:149]
	v_add_f64_e32 v[8:9], v[8:9], v[142:143]
	s_wait_loadcnt_dscnt 0xb00
	v_mul_f64_e32 v[142:143], v[102:103], v[116:117]
	v_mul_f64_e32 v[116:117], v[104:105], v[116:117]
	v_fmac_f64_e32 v[144:145], v[88:89], v[110:111]
	v_fma_f64 v[148:149], v[86:87], v[110:111], -v[112:113]
	v_add_f64_e32 v[4:5], v[4:5], v[106:107]
	v_add_f64_e32 v[8:9], v[8:9], v[146:147]
	ds_load_b128 v[86:89], v2 offset:832
	ds_load_b128 v[106:109], v2 offset:848
	scratch_load_b128 v[110:113], off, off offset:448
	v_fmac_f64_e32 v[142:143], v[104:105], v[114:115]
	v_fma_f64 v[114:115], v[102:103], v[114:115], -v[116:117]
	scratch_load_b128 v[102:105], off, off offset:464
	s_wait_loadcnt_dscnt 0xc01
	v_mul_f64_e32 v[146:147], v[86:87], v[124:125]
	v_mul_f64_e32 v[124:125], v[88:89], v[124:125]
	v_add_f64_e32 v[4:5], v[4:5], v[148:149]
	v_add_f64_e32 v[8:9], v[8:9], v[144:145]
	s_wait_loadcnt_dscnt 0xa00
	v_mul_f64_e32 v[144:145], v[106:107], v[12:13]
	v_mul_f64_e32 v[12:13], v[108:109], v[12:13]
	v_fmac_f64_e32 v[146:147], v[88:89], v[122:123]
	v_fma_f64 v[148:149], v[86:87], v[122:123], -v[124:125]
	v_add_f64_e32 v[4:5], v[4:5], v[114:115]
	v_add_f64_e32 v[8:9], v[8:9], v[142:143]
	ds_load_b128 v[86:89], v2 offset:864
	ds_load_b128 v[114:117], v2 offset:880
	scratch_load_b128 v[122:125], off, off offset:480
	v_fmac_f64_e32 v[144:145], v[108:109], v[10:11]
	v_fma_f64 v[12:13], v[106:107], v[10:11], -v[12:13]
	s_wait_loadcnt_dscnt 0xa01
	v_mul_f64_e32 v[142:143], v[86:87], v[140:141]
	v_mul_f64_e32 v[140:141], v[88:89], v[140:141]
	v_add_f64_e32 v[4:5], v[4:5], v[148:149]
	v_add_f64_e32 v[106:107], v[8:9], v[146:147]
	scratch_load_b128 v[8:11], off, off offset:496
	s_wait_loadcnt_dscnt 0xa00
	v_mul_f64_e32 v[146:147], v[114:115], v[84:85]
	v_mul_f64_e32 v[148:149], v[116:117], v[84:85]
	v_fmac_f64_e32 v[142:143], v[88:89], v[138:139]
	v_fma_f64 v[88:89], v[86:87], v[138:139], -v[140:141]
	v_add_f64_e32 v[4:5], v[4:5], v[12:13]
	v_add_f64_e32 v[12:13], v[106:107], v[144:145]
	ds_load_b128 v[84:87], v2 offset:896
	ds_load_b128 v[106:109], v2 offset:912
	scratch_load_b128 v[138:141], off, off offset:512
	v_fmac_f64_e32 v[146:147], v[116:117], v[82:83]
	v_fma_f64 v[82:83], v[114:115], v[82:83], -v[148:149]
	scratch_load_b128 v[114:117], off, off offset:528
	s_wait_loadcnt_dscnt 0xb01
	v_mul_f64_e32 v[144:145], v[84:85], v[128:129]
	v_mul_f64_e32 v[128:129], v[86:87], v[128:129]
	v_add_f64_e32 v[4:5], v[4:5], v[88:89]
	v_add_f64_e32 v[12:13], v[12:13], v[142:143]
	s_wait_loadcnt_dscnt 0xa00
	v_mul_f64_e32 v[142:143], v[106:107], v[92:93]
	v_mul_f64_e32 v[92:93], v[108:109], v[92:93]
	v_fmac_f64_e32 v[144:145], v[86:87], v[126:127]
	v_fma_f64 v[126:127], v[84:85], v[126:127], -v[128:129]
	v_add_f64_e32 v[4:5], v[4:5], v[82:83]
	v_add_f64_e32 v[12:13], v[12:13], v[146:147]
	ds_load_b128 v[82:85], v2 offset:928
	ds_load_b128 v[86:89], v2 offset:944
	v_fmac_f64_e32 v[142:143], v[108:109], v[90:91]
	v_fma_f64 v[90:91], v[106:107], v[90:91], -v[92:93]
	s_wait_loadcnt_dscnt 0x901
	v_mul_f64_e32 v[128:129], v[82:83], v[136:137]
	v_mul_f64_e32 v[136:137], v[84:85], v[136:137]
	s_wait_loadcnt_dscnt 0x800
	v_mul_f64_e32 v[106:107], v[86:87], v[100:101]
	v_mul_f64_e32 v[100:101], v[88:89], v[100:101]
	v_add_f64_e32 v[4:5], v[4:5], v[126:127]
	v_add_f64_e32 v[12:13], v[12:13], v[144:145]
	v_fmac_f64_e32 v[128:129], v[84:85], v[134:135]
	v_fma_f64 v[108:109], v[82:83], v[134:135], -v[136:137]
	v_fmac_f64_e32 v[106:107], v[88:89], v[98:99]
	v_fma_f64 v[86:87], v[86:87], v[98:99], -v[100:101]
	v_add_f64_e32 v[4:5], v[4:5], v[90:91]
	v_add_f64_e32 v[12:13], v[12:13], v[142:143]
	ds_load_b128 v[82:85], v2 offset:960
	ds_load_b128 v[90:93], v2 offset:976
	s_wait_loadcnt_dscnt 0x701
	v_mul_f64_e32 v[126:127], v[82:83], v[120:121]
	v_mul_f64_e32 v[120:121], v[84:85], v[120:121]
	s_wait_loadcnt_dscnt 0x600
	v_mul_f64_e32 v[98:99], v[90:91], v[96:97]
	v_mul_f64_e32 v[96:97], v[92:93], v[96:97]
	v_add_f64_e32 v[4:5], v[4:5], v[108:109]
	v_add_f64_e32 v[12:13], v[12:13], v[128:129]
	v_fmac_f64_e32 v[126:127], v[84:85], v[118:119]
	v_fma_f64 v[100:101], v[82:83], v[118:119], -v[120:121]
	v_fmac_f64_e32 v[98:99], v[92:93], v[94:95]
	v_fma_f64 v[90:91], v[90:91], v[94:95], -v[96:97]
	v_add_f64_e32 v[4:5], v[4:5], v[86:87]
	v_add_f64_e32 v[12:13], v[12:13], v[106:107]
	ds_load_b128 v[82:85], v2 offset:992
	ds_load_b128 v[86:89], v2 offset:1008
	;; [unrolled: 16-line block ×3, first 2 shown]
	s_wait_loadcnt_dscnt 0x301
	v_mul_f64_e32 v[98:99], v[82:83], v[124:125]
	v_mul_f64_e32 v[104:105], v[84:85], v[124:125]
	v_add_f64_e32 v[4:5], v[4:5], v[100:101]
	v_add_f64_e32 v[12:13], v[12:13], v[106:107]
	s_wait_loadcnt_dscnt 0x200
	v_mul_f64_e32 v[88:89], v[90:91], v[10:11]
	v_mul_f64_e32 v[96:97], v[92:93], v[10:11]
	v_fmac_f64_e32 v[98:99], v[84:85], v[122:123]
	v_fma_f64 v[82:83], v[82:83], v[122:123], -v[104:105]
	v_add_f64_e32 v[84:85], v[4:5], v[86:87]
	v_add_f64_e32 v[86:87], v[12:13], v[94:95]
	ds_load_b128 v[10:13], v2 offset:1056
	ds_load_b128 v[2:5], v2 offset:1072
	v_fmac_f64_e32 v[88:89], v[92:93], v[8:9]
	v_fma_f64 v[8:9], v[90:91], v[8:9], -v[96:97]
	s_wait_loadcnt_dscnt 0x101
	v_mul_f64_e32 v[94:95], v[10:11], v[140:141]
	v_mul_f64_e32 v[100:101], v[12:13], v[140:141]
	s_wait_loadcnt_dscnt 0x0
	v_mul_f64_e32 v[90:91], v[4:5], v[116:117]
	v_add_f64_e32 v[82:83], v[84:85], v[82:83]
	v_add_f64_e32 v[84:85], v[86:87], v[98:99]
	v_mul_f64_e32 v[86:87], v[2:3], v[116:117]
	v_fmac_f64_e32 v[94:95], v[12:13], v[138:139]
	v_fma_f64 v[10:11], v[10:11], v[138:139], -v[100:101]
	v_fma_f64 v[2:3], v[2:3], v[114:115], -v[90:91]
	v_add_f64_e32 v[8:9], v[82:83], v[8:9]
	v_add_f64_e32 v[12:13], v[84:85], v[88:89]
	v_fmac_f64_e32 v[86:87], v[4:5], v[114:115]
	s_delay_alu instid0(VALU_DEP_3) | instskip(NEXT) | instid1(VALU_DEP_3)
	v_add_f64_e32 v[4:5], v[8:9], v[10:11]
	v_add_f64_e32 v[8:9], v[12:13], v[94:95]
	s_delay_alu instid0(VALU_DEP_2) | instskip(NEXT) | instid1(VALU_DEP_2)
	v_add_f64_e32 v[2:3], v[4:5], v[2:3]
	v_add_f64_e32 v[4:5], v[8:9], v[86:87]
	s_delay_alu instid0(VALU_DEP_2) | instskip(NEXT) | instid1(VALU_DEP_2)
	v_add_f64_e64 v[2:3], v[130:131], -v[2:3]
	v_add_f64_e64 v[4:5], v[132:133], -v[4:5]
	scratch_store_b128 off, v[2:5], off offset:112
	s_wait_xcnt 0x0
	v_cmpx_lt_u32_e32 6, v1
	s_cbranch_execz .LBB97_205
; %bb.204:
	scratch_load_b128 v[2:5], off, s44
	v_mov_b32_e32 v8, 0
	s_delay_alu instid0(VALU_DEP_1)
	v_dual_mov_b32 v9, v8 :: v_dual_mov_b32 v10, v8
	v_mov_b32_e32 v11, v8
	scratch_store_b128 off, v[8:11], off offset:96
	s_wait_loadcnt 0x0
	ds_store_b128 v6, v[2:5]
.LBB97_205:
	s_wait_xcnt 0x0
	s_or_b32 exec_lo, exec_lo, s2
	s_wait_storecnt_dscnt 0x0
	s_barrier_signal -1
	s_barrier_wait -1
	s_clause 0x9
	scratch_load_b128 v[8:11], off, off offset:112
	scratch_load_b128 v[82:85], off, off offset:128
	scratch_load_b128 v[86:89], off, off offset:144
	scratch_load_b128 v[90:93], off, off offset:160
	scratch_load_b128 v[94:97], off, off offset:176
	scratch_load_b128 v[98:101], off, off offset:192
	scratch_load_b128 v[102:105], off, off offset:208
	scratch_load_b128 v[106:109], off, off offset:224
	scratch_load_b128 v[110:113], off, off offset:240
	scratch_load_b128 v[114:117], off, off offset:256
	v_mov_b32_e32 v2, 0
	s_mov_b32 s2, exec_lo
	ds_load_b128 v[118:121], v2 offset:656
	s_clause 0x2
	scratch_load_b128 v[122:125], off, off offset:272
	scratch_load_b128 v[126:129], off, off offset:96
	;; [unrolled: 1-line block ×3, first 2 shown]
	s_wait_loadcnt_dscnt 0xc00
	v_mul_f64_e32 v[4:5], v[120:121], v[10:11]
	v_mul_f64_e32 v[142:143], v[118:119], v[10:11]
	ds_load_b128 v[130:133], v2 offset:672
	scratch_load_b128 v[10:13], off, off offset:288
	ds_load_b128 v[138:141], v2 offset:704
	v_fma_f64 v[4:5], v[118:119], v[8:9], -v[4:5]
	v_fmac_f64_e32 v[142:143], v[120:121], v[8:9]
	ds_load_b128 v[118:121], v2 offset:688
	s_wait_loadcnt_dscnt 0xc02
	v_mul_f64_e32 v[144:145], v[130:131], v[84:85]
	v_mul_f64_e32 v[84:85], v[132:133], v[84:85]
	s_wait_loadcnt_dscnt 0xb00
	v_mul_f64_e32 v[8:9], v[118:119], v[88:89]
	v_mul_f64_e32 v[88:89], v[120:121], v[88:89]
	v_add_f64_e32 v[4:5], 0, v[4:5]
	v_fmac_f64_e32 v[144:145], v[132:133], v[82:83]
	v_fma_f64 v[130:131], v[130:131], v[82:83], -v[84:85]
	v_add_f64_e32 v[132:133], 0, v[142:143]
	scratch_load_b128 v[82:85], off, off offset:320
	v_fmac_f64_e32 v[8:9], v[120:121], v[86:87]
	v_fma_f64 v[146:147], v[118:119], v[86:87], -v[88:89]
	ds_load_b128 v[86:89], v2 offset:720
	s_wait_loadcnt 0xb
	v_mul_f64_e32 v[142:143], v[138:139], v[92:93]
	v_mul_f64_e32 v[92:93], v[140:141], v[92:93]
	scratch_load_b128 v[118:121], off, off offset:336
	v_add_f64_e32 v[4:5], v[4:5], v[130:131]
	v_add_f64_e32 v[144:145], v[132:133], v[144:145]
	ds_load_b128 v[130:133], v2 offset:736
	s_wait_loadcnt_dscnt 0xb01
	v_mul_f64_e32 v[148:149], v[86:87], v[96:97]
	v_mul_f64_e32 v[96:97], v[88:89], v[96:97]
	v_fmac_f64_e32 v[142:143], v[140:141], v[90:91]
	v_fma_f64 v[138:139], v[138:139], v[90:91], -v[92:93]
	scratch_load_b128 v[90:93], off, off offset:352
	v_add_f64_e32 v[4:5], v[4:5], v[146:147]
	v_add_f64_e32 v[8:9], v[144:145], v[8:9]
	v_fmac_f64_e32 v[148:149], v[88:89], v[94:95]
	v_fma_f64 v[146:147], v[86:87], v[94:95], -v[96:97]
	ds_load_b128 v[86:89], v2 offset:752
	s_wait_loadcnt_dscnt 0xb01
	v_mul_f64_e32 v[144:145], v[130:131], v[100:101]
	v_mul_f64_e32 v[100:101], v[132:133], v[100:101]
	scratch_load_b128 v[94:97], off, off offset:368
	v_add_f64_e32 v[4:5], v[4:5], v[138:139]
	v_add_f64_e32 v[8:9], v[8:9], v[142:143]
	s_wait_loadcnt_dscnt 0xb00
	v_mul_f64_e32 v[142:143], v[86:87], v[104:105]
	v_mul_f64_e32 v[104:105], v[88:89], v[104:105]
	ds_load_b128 v[138:141], v2 offset:768
	v_fmac_f64_e32 v[144:145], v[132:133], v[98:99]
	v_fma_f64 v[130:131], v[130:131], v[98:99], -v[100:101]
	scratch_load_b128 v[98:101], off, off offset:384
	v_add_f64_e32 v[4:5], v[4:5], v[146:147]
	v_add_f64_e32 v[8:9], v[8:9], v[148:149]
	v_fmac_f64_e32 v[142:143], v[88:89], v[102:103]
	v_fma_f64 v[148:149], v[86:87], v[102:103], -v[104:105]
	ds_load_b128 v[86:89], v2 offset:784
	s_wait_loadcnt_dscnt 0xb01
	v_mul_f64_e32 v[146:147], v[138:139], v[108:109]
	v_mul_f64_e32 v[108:109], v[140:141], v[108:109]
	scratch_load_b128 v[102:105], off, off offset:400
	v_add_f64_e32 v[4:5], v[4:5], v[130:131]
	v_add_f64_e32 v[8:9], v[8:9], v[144:145]
	s_wait_loadcnt_dscnt 0xb00
	v_mul_f64_e32 v[144:145], v[86:87], v[112:113]
	v_mul_f64_e32 v[112:113], v[88:89], v[112:113]
	ds_load_b128 v[130:133], v2 offset:800
	;; [unrolled: 18-line block ×3, first 2 shown]
	v_fmac_f64_e32 v[142:143], v[132:133], v[114:115]
	v_fma_f64 v[130:131], v[130:131], v[114:115], -v[116:117]
	scratch_load_b128 v[114:117], off, off offset:448
	v_add_f64_e32 v[4:5], v[4:5], v[148:149]
	v_add_f64_e32 v[8:9], v[8:9], v[144:145]
	v_fmac_f64_e32 v[146:147], v[88:89], v[122:123]
	v_fma_f64 v[148:149], v[86:87], v[122:123], -v[124:125]
	ds_load_b128 v[86:89], v2 offset:848
	s_wait_loadcnt_dscnt 0x901
	v_mul_f64_e32 v[144:145], v[138:139], v[12:13]
	v_mul_f64_e32 v[12:13], v[140:141], v[12:13]
	scratch_load_b128 v[122:125], off, off offset:464
	v_add_f64_e32 v[4:5], v[4:5], v[130:131]
	v_add_f64_e32 v[8:9], v[8:9], v[142:143]
	s_wait_dscnt 0x0
	v_mul_f64_e32 v[142:143], v[86:87], v[136:137]
	v_mul_f64_e32 v[136:137], v[88:89], v[136:137]
	ds_load_b128 v[130:133], v2 offset:864
	v_fmac_f64_e32 v[144:145], v[140:141], v[10:11]
	v_fma_f64 v[12:13], v[138:139], v[10:11], -v[12:13]
	v_add_f64_e32 v[4:5], v[4:5], v[148:149]
	v_add_f64_e32 v[138:139], v[8:9], v[146:147]
	scratch_load_b128 v[8:11], off, off offset:480
	v_fmac_f64_e32 v[142:143], v[88:89], v[134:135]
	v_fma_f64 v[88:89], v[86:87], v[134:135], -v[136:137]
	scratch_load_b128 v[134:137], off, off offset:496
	v_add_f64_e32 v[4:5], v[4:5], v[12:13]
	v_add_f64_e32 v[12:13], v[138:139], v[144:145]
	ds_load_b128 v[138:141], v2 offset:896
	s_wait_loadcnt_dscnt 0xb01
	v_mul_f64_e32 v[146:147], v[130:131], v[84:85]
	v_mul_f64_e32 v[148:149], v[132:133], v[84:85]
	ds_load_b128 v[84:87], v2 offset:880
	s_wait_loadcnt_dscnt 0xa00
	v_mul_f64_e32 v[144:145], v[84:85], v[120:121]
	v_mul_f64_e32 v[120:121], v[86:87], v[120:121]
	v_add_f64_e32 v[4:5], v[4:5], v[88:89]
	v_add_f64_e32 v[12:13], v[12:13], v[142:143]
	s_wait_loadcnt 0x9
	v_mul_f64_e32 v[142:143], v[138:139], v[92:93]
	v_fmac_f64_e32 v[146:147], v[132:133], v[82:83]
	v_fma_f64 v[82:83], v[130:131], v[82:83], -v[148:149]
	scratch_load_b128 v[130:133], off, off offset:512
	v_mul_f64_e32 v[92:93], v[140:141], v[92:93]
	v_fmac_f64_e32 v[144:145], v[86:87], v[118:119]
	v_fma_f64 v[148:149], v[84:85], v[118:119], -v[120:121]
	scratch_load_b128 v[86:89], off, off offset:528
	ds_load_b128 v[118:121], v2 offset:928
	v_fmac_f64_e32 v[142:143], v[140:141], v[90:91]
	v_add_f64_e32 v[12:13], v[12:13], v[146:147]
	v_add_f64_e32 v[4:5], v[4:5], v[82:83]
	ds_load_b128 v[82:85], v2 offset:912
	v_fma_f64 v[90:91], v[138:139], v[90:91], -v[92:93]
	s_wait_loadcnt_dscnt 0x901
	v_mul_f64_e32 v[138:139], v[118:119], v[100:101]
	v_mul_f64_e32 v[100:101], v[120:121], v[100:101]
	s_wait_dscnt 0x0
	v_mul_f64_e32 v[146:147], v[82:83], v[96:97]
	v_mul_f64_e32 v[96:97], v[84:85], v[96:97]
	v_add_f64_e32 v[12:13], v[12:13], v[144:145]
	v_add_f64_e32 v[4:5], v[4:5], v[148:149]
	v_fmac_f64_e32 v[138:139], v[120:121], v[98:99]
	v_fma_f64 v[98:99], v[118:119], v[98:99], -v[100:101]
	v_fmac_f64_e32 v[146:147], v[84:85], v[94:95]
	v_fma_f64 v[94:95], v[82:83], v[94:95], -v[96:97]
	v_add_f64_e32 v[12:13], v[12:13], v[142:143]
	v_add_f64_e32 v[4:5], v[4:5], v[90:91]
	ds_load_b128 v[82:85], v2 offset:944
	ds_load_b128 v[90:93], v2 offset:960
	s_wait_loadcnt_dscnt 0x801
	v_mul_f64_e32 v[140:141], v[82:83], v[104:105]
	v_mul_f64_e32 v[96:97], v[84:85], v[104:105]
	s_wait_loadcnt_dscnt 0x700
	v_mul_f64_e32 v[100:101], v[90:91], v[108:109]
	v_mul_f64_e32 v[104:105], v[92:93], v[108:109]
	v_add_f64_e32 v[12:13], v[12:13], v[146:147]
	v_add_f64_e32 v[4:5], v[4:5], v[94:95]
	v_fmac_f64_e32 v[140:141], v[84:85], v[102:103]
	v_fma_f64 v[102:103], v[82:83], v[102:103], -v[96:97]
	ds_load_b128 v[82:85], v2 offset:976
	ds_load_b128 v[94:97], v2 offset:992
	v_fmac_f64_e32 v[100:101], v[92:93], v[106:107]
	v_fma_f64 v[90:91], v[90:91], v[106:107], -v[104:105]
	v_add_f64_e32 v[12:13], v[12:13], v[138:139]
	v_add_f64_e32 v[4:5], v[4:5], v[98:99]
	s_wait_loadcnt_dscnt 0x601
	v_mul_f64_e32 v[98:99], v[82:83], v[112:113]
	v_mul_f64_e32 v[108:109], v[84:85], v[112:113]
	s_wait_loadcnt_dscnt 0x500
	v_mul_f64_e32 v[104:105], v[96:97], v[116:117]
	v_add_f64_e32 v[12:13], v[12:13], v[140:141]
	v_add_f64_e32 v[4:5], v[4:5], v[102:103]
	v_mul_f64_e32 v[102:103], v[94:95], v[116:117]
	v_fmac_f64_e32 v[98:99], v[84:85], v[110:111]
	v_fma_f64 v[106:107], v[82:83], v[110:111], -v[108:109]
	v_fma_f64 v[94:95], v[94:95], v[114:115], -v[104:105]
	v_add_f64_e32 v[12:13], v[12:13], v[100:101]
	v_add_f64_e32 v[4:5], v[4:5], v[90:91]
	ds_load_b128 v[82:85], v2 offset:1008
	ds_load_b128 v[90:93], v2 offset:1024
	v_fmac_f64_e32 v[102:103], v[96:97], v[114:115]
	s_wait_loadcnt_dscnt 0x401
	v_mul_f64_e32 v[100:101], v[82:83], v[124:125]
	v_mul_f64_e32 v[108:109], v[84:85], v[124:125]
	s_wait_loadcnt_dscnt 0x300
	v_mul_f64_e32 v[96:97], v[90:91], v[10:11]
	v_add_f64_e32 v[12:13], v[12:13], v[98:99]
	v_add_f64_e32 v[4:5], v[4:5], v[106:107]
	v_mul_f64_e32 v[98:99], v[92:93], v[10:11]
	v_fmac_f64_e32 v[100:101], v[84:85], v[122:123]
	v_fma_f64 v[104:105], v[82:83], v[122:123], -v[108:109]
	v_fmac_f64_e32 v[96:97], v[92:93], v[8:9]
	v_add_f64_e32 v[4:5], v[4:5], v[94:95]
	v_add_f64_e32 v[94:95], v[12:13], v[102:103]
	ds_load_b128 v[10:13], v2 offset:1040
	ds_load_b128 v[82:85], v2 offset:1056
	v_fma_f64 v[8:9], v[90:91], v[8:9], -v[98:99]
	s_wait_loadcnt_dscnt 0x201
	v_mul_f64_e32 v[102:103], v[10:11], v[136:137]
	v_mul_f64_e32 v[106:107], v[12:13], v[136:137]
	v_add_f64_e32 v[4:5], v[4:5], v[104:105]
	v_add_f64_e32 v[90:91], v[94:95], v[100:101]
	s_wait_loadcnt_dscnt 0x100
	v_mul_f64_e32 v[92:93], v[82:83], v[132:133]
	v_mul_f64_e32 v[94:95], v[84:85], v[132:133]
	v_fmac_f64_e32 v[102:103], v[12:13], v[134:135]
	v_fma_f64 v[12:13], v[10:11], v[134:135], -v[106:107]
	v_add_f64_e32 v[4:5], v[4:5], v[8:9]
	v_add_f64_e32 v[90:91], v[90:91], v[96:97]
	ds_load_b128 v[8:11], v2 offset:1072
	v_fmac_f64_e32 v[92:93], v[84:85], v[130:131]
	v_fma_f64 v[82:83], v[82:83], v[130:131], -v[94:95]
	s_wait_loadcnt_dscnt 0x0
	v_mul_f64_e32 v[96:97], v[8:9], v[88:89]
	v_mul_f64_e32 v[88:89], v[10:11], v[88:89]
	v_add_f64_e32 v[4:5], v[4:5], v[12:13]
	v_add_f64_e32 v[12:13], v[90:91], v[102:103]
	s_delay_alu instid0(VALU_DEP_4) | instskip(NEXT) | instid1(VALU_DEP_4)
	v_fmac_f64_e32 v[96:97], v[10:11], v[86:87]
	v_fma_f64 v[8:9], v[8:9], v[86:87], -v[88:89]
	s_delay_alu instid0(VALU_DEP_4) | instskip(NEXT) | instid1(VALU_DEP_4)
	v_add_f64_e32 v[4:5], v[4:5], v[82:83]
	v_add_f64_e32 v[10:11], v[12:13], v[92:93]
	s_delay_alu instid0(VALU_DEP_2) | instskip(NEXT) | instid1(VALU_DEP_2)
	v_add_f64_e32 v[4:5], v[4:5], v[8:9]
	v_add_f64_e32 v[10:11], v[10:11], v[96:97]
	s_delay_alu instid0(VALU_DEP_2) | instskip(NEXT) | instid1(VALU_DEP_2)
	v_add_f64_e64 v[8:9], v[126:127], -v[4:5]
	v_add_f64_e64 v[10:11], v[128:129], -v[10:11]
	scratch_store_b128 off, v[8:11], off offset:96
	s_wait_xcnt 0x0
	v_cmpx_lt_u32_e32 5, v1
	s_cbranch_execz .LBB97_207
; %bb.206:
	scratch_load_b128 v[8:11], off, s45
	v_dual_mov_b32 v3, v2 :: v_dual_mov_b32 v4, v2
	v_mov_b32_e32 v5, v2
	scratch_store_b128 off, v[2:5], off offset:80
	s_wait_loadcnt 0x0
	ds_store_b128 v6, v[8:11]
.LBB97_207:
	s_wait_xcnt 0x0
	s_or_b32 exec_lo, exec_lo, s2
	s_wait_storecnt_dscnt 0x0
	s_barrier_signal -1
	s_barrier_wait -1
	s_clause 0x9
	scratch_load_b128 v[8:11], off, off offset:96
	scratch_load_b128 v[82:85], off, off offset:112
	;; [unrolled: 1-line block ×10, first 2 shown]
	ds_load_b128 v[118:121], v2 offset:640
	ds_load_b128 v[126:129], v2 offset:656
	s_clause 0x1
	scratch_load_b128 v[122:125], off, off offset:256
	scratch_load_b128 v[130:133], off, off offset:80
	s_mov_b32 s2, exec_lo
	s_wait_loadcnt_dscnt 0xb01
	v_mul_f64_e32 v[4:5], v[120:121], v[10:11]
	v_mul_f64_e32 v[142:143], v[118:119], v[10:11]
	scratch_load_b128 v[10:13], off, off offset:272
	s_wait_loadcnt_dscnt 0xb00
	v_mul_f64_e32 v[144:145], v[126:127], v[84:85]
	v_mul_f64_e32 v[84:85], v[128:129], v[84:85]
	v_fma_f64 v[4:5], v[118:119], v[8:9], -v[4:5]
	v_fmac_f64_e32 v[142:143], v[120:121], v[8:9]
	ds_load_b128 v[118:121], v2 offset:672
	ds_load_b128 v[134:137], v2 offset:688
	scratch_load_b128 v[138:141], off, off offset:288
	v_fmac_f64_e32 v[144:145], v[128:129], v[82:83]
	v_fma_f64 v[126:127], v[126:127], v[82:83], -v[84:85]
	scratch_load_b128 v[82:85], off, off offset:304
	s_wait_loadcnt_dscnt 0xc01
	v_mul_f64_e32 v[8:9], v[118:119], v[88:89]
	v_mul_f64_e32 v[88:89], v[120:121], v[88:89]
	v_add_f64_e32 v[4:5], 0, v[4:5]
	v_add_f64_e32 v[128:129], 0, v[142:143]
	s_wait_loadcnt_dscnt 0xb00
	v_mul_f64_e32 v[142:143], v[134:135], v[92:93]
	v_mul_f64_e32 v[92:93], v[136:137], v[92:93]
	v_fmac_f64_e32 v[8:9], v[120:121], v[86:87]
	v_fma_f64 v[146:147], v[118:119], v[86:87], -v[88:89]
	ds_load_b128 v[86:89], v2 offset:704
	ds_load_b128 v[118:121], v2 offset:720
	v_add_f64_e32 v[4:5], v[4:5], v[126:127]
	v_add_f64_e32 v[144:145], v[128:129], v[144:145]
	scratch_load_b128 v[126:129], off, off offset:320
	v_fmac_f64_e32 v[142:143], v[136:137], v[90:91]
	v_fma_f64 v[134:135], v[134:135], v[90:91], -v[92:93]
	scratch_load_b128 v[90:93], off, off offset:336
	s_wait_loadcnt_dscnt 0xc01
	v_mul_f64_e32 v[148:149], v[86:87], v[96:97]
	v_mul_f64_e32 v[96:97], v[88:89], v[96:97]
	v_add_f64_e32 v[4:5], v[4:5], v[146:147]
	v_add_f64_e32 v[8:9], v[144:145], v[8:9]
	s_wait_loadcnt_dscnt 0xb00
	v_mul_f64_e32 v[144:145], v[118:119], v[100:101]
	v_mul_f64_e32 v[100:101], v[120:121], v[100:101]
	v_fmac_f64_e32 v[148:149], v[88:89], v[94:95]
	v_fma_f64 v[146:147], v[86:87], v[94:95], -v[96:97]
	ds_load_b128 v[86:89], v2 offset:736
	ds_load_b128 v[94:97], v2 offset:752
	v_add_f64_e32 v[4:5], v[4:5], v[134:135]
	v_add_f64_e32 v[8:9], v[8:9], v[142:143]
	scratch_load_b128 v[134:137], off, off offset:352
	s_wait_loadcnt_dscnt 0xb01
	v_mul_f64_e32 v[142:143], v[86:87], v[104:105]
	v_mul_f64_e32 v[104:105], v[88:89], v[104:105]
	v_fmac_f64_e32 v[144:145], v[120:121], v[98:99]
	v_fma_f64 v[118:119], v[118:119], v[98:99], -v[100:101]
	scratch_load_b128 v[98:101], off, off offset:368
	v_add_f64_e32 v[4:5], v[4:5], v[146:147]
	v_add_f64_e32 v[8:9], v[8:9], v[148:149]
	s_wait_loadcnt_dscnt 0xb00
	v_mul_f64_e32 v[146:147], v[94:95], v[108:109]
	v_mul_f64_e32 v[108:109], v[96:97], v[108:109]
	v_fmac_f64_e32 v[142:143], v[88:89], v[102:103]
	v_fma_f64 v[148:149], v[86:87], v[102:103], -v[104:105]
	ds_load_b128 v[86:89], v2 offset:768
	ds_load_b128 v[102:105], v2 offset:784
	v_add_f64_e32 v[4:5], v[4:5], v[118:119]
	v_add_f64_e32 v[8:9], v[8:9], v[144:145]
	scratch_load_b128 v[118:121], off, off offset:384
	s_wait_loadcnt_dscnt 0xb01
	v_mul_f64_e32 v[144:145], v[86:87], v[112:113]
	v_mul_f64_e32 v[112:113], v[88:89], v[112:113]
	v_fmac_f64_e32 v[146:147], v[96:97], v[106:107]
	v_fma_f64 v[106:107], v[94:95], v[106:107], -v[108:109]
	scratch_load_b128 v[94:97], off, off offset:400
	v_add_f64_e32 v[4:5], v[4:5], v[148:149]
	v_add_f64_e32 v[8:9], v[8:9], v[142:143]
	s_wait_loadcnt_dscnt 0xb00
	v_mul_f64_e32 v[142:143], v[102:103], v[116:117]
	v_mul_f64_e32 v[116:117], v[104:105], v[116:117]
	v_fmac_f64_e32 v[144:145], v[88:89], v[110:111]
	v_fma_f64 v[148:149], v[86:87], v[110:111], -v[112:113]
	v_add_f64_e32 v[4:5], v[4:5], v[106:107]
	v_add_f64_e32 v[8:9], v[8:9], v[146:147]
	ds_load_b128 v[86:89], v2 offset:800
	ds_load_b128 v[106:109], v2 offset:816
	scratch_load_b128 v[110:113], off, off offset:416
	v_fmac_f64_e32 v[142:143], v[104:105], v[114:115]
	v_fma_f64 v[114:115], v[102:103], v[114:115], -v[116:117]
	scratch_load_b128 v[102:105], off, off offset:432
	s_wait_loadcnt_dscnt 0xc01
	v_mul_f64_e32 v[146:147], v[86:87], v[124:125]
	v_mul_f64_e32 v[124:125], v[88:89], v[124:125]
	v_add_f64_e32 v[4:5], v[4:5], v[148:149]
	v_add_f64_e32 v[8:9], v[8:9], v[144:145]
	s_wait_loadcnt_dscnt 0xa00
	v_mul_f64_e32 v[144:145], v[106:107], v[12:13]
	v_mul_f64_e32 v[12:13], v[108:109], v[12:13]
	v_fmac_f64_e32 v[146:147], v[88:89], v[122:123]
	v_fma_f64 v[148:149], v[86:87], v[122:123], -v[124:125]
	v_add_f64_e32 v[4:5], v[4:5], v[114:115]
	v_add_f64_e32 v[8:9], v[8:9], v[142:143]
	ds_load_b128 v[86:89], v2 offset:832
	ds_load_b128 v[114:117], v2 offset:848
	scratch_load_b128 v[122:125], off, off offset:448
	v_fmac_f64_e32 v[144:145], v[108:109], v[10:11]
	v_fma_f64 v[12:13], v[106:107], v[10:11], -v[12:13]
	s_wait_loadcnt_dscnt 0xa01
	v_mul_f64_e32 v[142:143], v[86:87], v[140:141]
	v_mul_f64_e32 v[140:141], v[88:89], v[140:141]
	v_add_f64_e32 v[4:5], v[4:5], v[148:149]
	v_add_f64_e32 v[106:107], v[8:9], v[146:147]
	scratch_load_b128 v[8:11], off, off offset:464
	s_wait_loadcnt_dscnt 0xa00
	v_mul_f64_e32 v[146:147], v[114:115], v[84:85]
	v_mul_f64_e32 v[148:149], v[116:117], v[84:85]
	v_fmac_f64_e32 v[142:143], v[88:89], v[138:139]
	v_fma_f64 v[88:89], v[86:87], v[138:139], -v[140:141]
	v_add_f64_e32 v[4:5], v[4:5], v[12:13]
	v_add_f64_e32 v[12:13], v[106:107], v[144:145]
	ds_load_b128 v[84:87], v2 offset:864
	ds_load_b128 v[106:109], v2 offset:880
	scratch_load_b128 v[138:141], off, off offset:480
	v_fmac_f64_e32 v[146:147], v[116:117], v[82:83]
	v_fma_f64 v[82:83], v[114:115], v[82:83], -v[148:149]
	scratch_load_b128 v[114:117], off, off offset:496
	s_wait_loadcnt_dscnt 0xb01
	v_mul_f64_e32 v[144:145], v[84:85], v[128:129]
	v_mul_f64_e32 v[128:129], v[86:87], v[128:129]
	v_add_f64_e32 v[4:5], v[4:5], v[88:89]
	v_add_f64_e32 v[12:13], v[12:13], v[142:143]
	s_wait_loadcnt_dscnt 0xa00
	v_mul_f64_e32 v[142:143], v[106:107], v[92:93]
	v_mul_f64_e32 v[92:93], v[108:109], v[92:93]
	v_fmac_f64_e32 v[144:145], v[86:87], v[126:127]
	v_fma_f64 v[148:149], v[84:85], v[126:127], -v[128:129]
	v_add_f64_e32 v[4:5], v[4:5], v[82:83]
	v_add_f64_e32 v[12:13], v[12:13], v[146:147]
	ds_load_b128 v[82:85], v2 offset:896
	ds_load_b128 v[86:89], v2 offset:912
	scratch_load_b128 v[126:129], off, off offset:512
	v_fmac_f64_e32 v[142:143], v[108:109], v[90:91]
	v_fma_f64 v[106:107], v[106:107], v[90:91], -v[92:93]
	scratch_load_b128 v[90:93], off, off offset:528
	s_wait_loadcnt_dscnt 0xb01
	v_mul_f64_e32 v[146:147], v[82:83], v[136:137]
	v_mul_f64_e32 v[136:137], v[84:85], v[136:137]
	v_add_f64_e32 v[4:5], v[4:5], v[148:149]
	v_add_f64_e32 v[12:13], v[12:13], v[144:145]
	s_wait_loadcnt_dscnt 0xa00
	v_mul_f64_e32 v[144:145], v[86:87], v[100:101]
	v_mul_f64_e32 v[100:101], v[88:89], v[100:101]
	v_fmac_f64_e32 v[146:147], v[84:85], v[134:135]
	v_fma_f64 v[134:135], v[82:83], v[134:135], -v[136:137]
	v_add_f64_e32 v[4:5], v[4:5], v[106:107]
	v_add_f64_e32 v[12:13], v[12:13], v[142:143]
	ds_load_b128 v[82:85], v2 offset:928
	ds_load_b128 v[106:109], v2 offset:944
	v_fmac_f64_e32 v[144:145], v[88:89], v[98:99]
	v_fma_f64 v[86:87], v[86:87], v[98:99], -v[100:101]
	s_wait_loadcnt_dscnt 0x901
	v_mul_f64_e32 v[136:137], v[82:83], v[120:121]
	v_mul_f64_e32 v[120:121], v[84:85], v[120:121]
	s_wait_loadcnt_dscnt 0x800
	v_mul_f64_e32 v[98:99], v[106:107], v[96:97]
	v_mul_f64_e32 v[96:97], v[108:109], v[96:97]
	v_add_f64_e32 v[4:5], v[4:5], v[134:135]
	v_add_f64_e32 v[12:13], v[12:13], v[146:147]
	v_fmac_f64_e32 v[136:137], v[84:85], v[118:119]
	v_fma_f64 v[100:101], v[82:83], v[118:119], -v[120:121]
	v_fmac_f64_e32 v[98:99], v[108:109], v[94:95]
	v_fma_f64 v[94:95], v[106:107], v[94:95], -v[96:97]
	v_add_f64_e32 v[4:5], v[4:5], v[86:87]
	v_add_f64_e32 v[12:13], v[12:13], v[144:145]
	ds_load_b128 v[82:85], v2 offset:960
	ds_load_b128 v[86:89], v2 offset:976
	s_wait_loadcnt_dscnt 0x701
	v_mul_f64_e32 v[118:119], v[82:83], v[112:113]
	v_mul_f64_e32 v[112:113], v[84:85], v[112:113]
	v_add_f64_e32 v[4:5], v[4:5], v[100:101]
	v_add_f64_e32 v[12:13], v[12:13], v[136:137]
	s_wait_loadcnt_dscnt 0x600
	v_mul_f64_e32 v[100:101], v[86:87], v[104:105]
	v_mul_f64_e32 v[104:105], v[88:89], v[104:105]
	v_fmac_f64_e32 v[118:119], v[84:85], v[110:111]
	v_fma_f64 v[106:107], v[82:83], v[110:111], -v[112:113]
	v_add_f64_e32 v[4:5], v[4:5], v[94:95]
	v_add_f64_e32 v[12:13], v[12:13], v[98:99]
	ds_load_b128 v[82:85], v2 offset:992
	ds_load_b128 v[94:97], v2 offset:1008
	v_fmac_f64_e32 v[100:101], v[88:89], v[102:103]
	v_fma_f64 v[86:87], v[86:87], v[102:103], -v[104:105]
	s_wait_loadcnt_dscnt 0x501
	v_mul_f64_e32 v[98:99], v[82:83], v[124:125]
	v_mul_f64_e32 v[108:109], v[84:85], v[124:125]
	v_add_f64_e32 v[4:5], v[4:5], v[106:107]
	v_add_f64_e32 v[12:13], v[12:13], v[118:119]
	s_wait_loadcnt_dscnt 0x400
	v_mul_f64_e32 v[88:89], v[94:95], v[10:11]
	v_mul_f64_e32 v[102:103], v[96:97], v[10:11]
	v_fmac_f64_e32 v[98:99], v[84:85], v[122:123]
	v_fma_f64 v[104:105], v[82:83], v[122:123], -v[108:109]
	v_add_f64_e32 v[4:5], v[4:5], v[86:87]
	v_add_f64_e32 v[86:87], v[12:13], v[100:101]
	ds_load_b128 v[10:13], v2 offset:1024
	ds_load_b128 v[82:85], v2 offset:1040
	v_fmac_f64_e32 v[88:89], v[96:97], v[8:9]
	v_fma_f64 v[8:9], v[94:95], v[8:9], -v[102:103]
	s_wait_loadcnt_dscnt 0x301
	v_mul_f64_e32 v[100:101], v[10:11], v[140:141]
	v_mul_f64_e32 v[106:107], v[12:13], v[140:141]
	s_wait_loadcnt_dscnt 0x200
	v_mul_f64_e32 v[94:95], v[82:83], v[116:117]
	v_mul_f64_e32 v[96:97], v[84:85], v[116:117]
	v_add_f64_e32 v[4:5], v[4:5], v[104:105]
	v_add_f64_e32 v[86:87], v[86:87], v[98:99]
	v_fmac_f64_e32 v[100:101], v[12:13], v[138:139]
	v_fma_f64 v[12:13], v[10:11], v[138:139], -v[106:107]
	v_fmac_f64_e32 v[94:95], v[84:85], v[114:115]
	v_fma_f64 v[82:83], v[82:83], v[114:115], -v[96:97]
	v_add_f64_e32 v[98:99], v[4:5], v[8:9]
	v_add_f64_e32 v[86:87], v[86:87], v[88:89]
	ds_load_b128 v[8:11], v2 offset:1056
	ds_load_b128 v[2:5], v2 offset:1072
	s_wait_loadcnt_dscnt 0x101
	v_mul_f64_e32 v[88:89], v[8:9], v[128:129]
	v_mul_f64_e32 v[102:103], v[10:11], v[128:129]
	v_add_f64_e32 v[12:13], v[98:99], v[12:13]
	v_add_f64_e32 v[84:85], v[86:87], v[100:101]
	s_wait_loadcnt_dscnt 0x0
	v_mul_f64_e32 v[86:87], v[2:3], v[92:93]
	v_mul_f64_e32 v[92:93], v[4:5], v[92:93]
	v_fmac_f64_e32 v[88:89], v[10:11], v[126:127]
	v_fma_f64 v[8:9], v[8:9], v[126:127], -v[102:103]
	v_add_f64_e32 v[10:11], v[12:13], v[82:83]
	v_add_f64_e32 v[12:13], v[84:85], v[94:95]
	v_fmac_f64_e32 v[86:87], v[4:5], v[90:91]
	v_fma_f64 v[2:3], v[2:3], v[90:91], -v[92:93]
	s_delay_alu instid0(VALU_DEP_4) | instskip(NEXT) | instid1(VALU_DEP_4)
	v_add_f64_e32 v[4:5], v[10:11], v[8:9]
	v_add_f64_e32 v[8:9], v[12:13], v[88:89]
	s_delay_alu instid0(VALU_DEP_2) | instskip(NEXT) | instid1(VALU_DEP_2)
	v_add_f64_e32 v[2:3], v[4:5], v[2:3]
	v_add_f64_e32 v[4:5], v[8:9], v[86:87]
	s_delay_alu instid0(VALU_DEP_2) | instskip(NEXT) | instid1(VALU_DEP_2)
	v_add_f64_e64 v[2:3], v[130:131], -v[2:3]
	v_add_f64_e64 v[4:5], v[132:133], -v[4:5]
	scratch_store_b128 off, v[2:5], off offset:80
	s_wait_xcnt 0x0
	v_cmpx_lt_u32_e32 4, v1
	s_cbranch_execz .LBB97_209
; %bb.208:
	scratch_load_b128 v[2:5], off, s12
	v_mov_b32_e32 v8, 0
	s_delay_alu instid0(VALU_DEP_1)
	v_dual_mov_b32 v9, v8 :: v_dual_mov_b32 v10, v8
	v_mov_b32_e32 v11, v8
	scratch_store_b128 off, v[8:11], off offset:64
	s_wait_loadcnt 0x0
	ds_store_b128 v6, v[2:5]
.LBB97_209:
	s_wait_xcnt 0x0
	s_or_b32 exec_lo, exec_lo, s2
	s_wait_storecnt_dscnt 0x0
	s_barrier_signal -1
	s_barrier_wait -1
	s_clause 0x9
	scratch_load_b128 v[8:11], off, off offset:80
	scratch_load_b128 v[82:85], off, off offset:96
	;; [unrolled: 1-line block ×10, first 2 shown]
	v_mov_b32_e32 v2, 0
	s_mov_b32 s2, exec_lo
	ds_load_b128 v[118:121], v2 offset:624
	s_clause 0x2
	scratch_load_b128 v[122:125], off, off offset:240
	scratch_load_b128 v[126:129], off, off offset:64
	;; [unrolled: 1-line block ×3, first 2 shown]
	s_wait_loadcnt_dscnt 0xc00
	v_mul_f64_e32 v[4:5], v[120:121], v[10:11]
	v_mul_f64_e32 v[142:143], v[118:119], v[10:11]
	ds_load_b128 v[130:133], v2 offset:640
	scratch_load_b128 v[10:13], off, off offset:256
	ds_load_b128 v[138:141], v2 offset:672
	v_fma_f64 v[4:5], v[118:119], v[8:9], -v[4:5]
	v_fmac_f64_e32 v[142:143], v[120:121], v[8:9]
	ds_load_b128 v[118:121], v2 offset:656
	s_wait_loadcnt_dscnt 0xc02
	v_mul_f64_e32 v[144:145], v[130:131], v[84:85]
	v_mul_f64_e32 v[84:85], v[132:133], v[84:85]
	s_wait_loadcnt_dscnt 0xb00
	v_mul_f64_e32 v[8:9], v[118:119], v[88:89]
	v_mul_f64_e32 v[88:89], v[120:121], v[88:89]
	v_add_f64_e32 v[4:5], 0, v[4:5]
	v_fmac_f64_e32 v[144:145], v[132:133], v[82:83]
	v_fma_f64 v[130:131], v[130:131], v[82:83], -v[84:85]
	v_add_f64_e32 v[132:133], 0, v[142:143]
	scratch_load_b128 v[82:85], off, off offset:288
	v_fmac_f64_e32 v[8:9], v[120:121], v[86:87]
	v_fma_f64 v[146:147], v[118:119], v[86:87], -v[88:89]
	ds_load_b128 v[86:89], v2 offset:688
	s_wait_loadcnt 0xb
	v_mul_f64_e32 v[142:143], v[138:139], v[92:93]
	v_mul_f64_e32 v[92:93], v[140:141], v[92:93]
	scratch_load_b128 v[118:121], off, off offset:304
	v_add_f64_e32 v[4:5], v[4:5], v[130:131]
	v_add_f64_e32 v[144:145], v[132:133], v[144:145]
	ds_load_b128 v[130:133], v2 offset:704
	s_wait_loadcnt_dscnt 0xb01
	v_mul_f64_e32 v[148:149], v[86:87], v[96:97]
	v_mul_f64_e32 v[96:97], v[88:89], v[96:97]
	v_fmac_f64_e32 v[142:143], v[140:141], v[90:91]
	v_fma_f64 v[138:139], v[138:139], v[90:91], -v[92:93]
	scratch_load_b128 v[90:93], off, off offset:320
	v_add_f64_e32 v[4:5], v[4:5], v[146:147]
	v_add_f64_e32 v[8:9], v[144:145], v[8:9]
	v_fmac_f64_e32 v[148:149], v[88:89], v[94:95]
	v_fma_f64 v[146:147], v[86:87], v[94:95], -v[96:97]
	ds_load_b128 v[86:89], v2 offset:720
	s_wait_loadcnt_dscnt 0xb01
	v_mul_f64_e32 v[144:145], v[130:131], v[100:101]
	v_mul_f64_e32 v[100:101], v[132:133], v[100:101]
	scratch_load_b128 v[94:97], off, off offset:336
	v_add_f64_e32 v[4:5], v[4:5], v[138:139]
	v_add_f64_e32 v[8:9], v[8:9], v[142:143]
	s_wait_loadcnt_dscnt 0xb00
	v_mul_f64_e32 v[142:143], v[86:87], v[104:105]
	v_mul_f64_e32 v[104:105], v[88:89], v[104:105]
	ds_load_b128 v[138:141], v2 offset:736
	v_fmac_f64_e32 v[144:145], v[132:133], v[98:99]
	v_fma_f64 v[130:131], v[130:131], v[98:99], -v[100:101]
	scratch_load_b128 v[98:101], off, off offset:352
	v_add_f64_e32 v[4:5], v[4:5], v[146:147]
	v_add_f64_e32 v[8:9], v[8:9], v[148:149]
	v_fmac_f64_e32 v[142:143], v[88:89], v[102:103]
	v_fma_f64 v[148:149], v[86:87], v[102:103], -v[104:105]
	ds_load_b128 v[86:89], v2 offset:752
	s_wait_loadcnt_dscnt 0xb01
	v_mul_f64_e32 v[146:147], v[138:139], v[108:109]
	v_mul_f64_e32 v[108:109], v[140:141], v[108:109]
	scratch_load_b128 v[102:105], off, off offset:368
	v_add_f64_e32 v[4:5], v[4:5], v[130:131]
	v_add_f64_e32 v[8:9], v[8:9], v[144:145]
	s_wait_loadcnt_dscnt 0xb00
	v_mul_f64_e32 v[144:145], v[86:87], v[112:113]
	v_mul_f64_e32 v[112:113], v[88:89], v[112:113]
	ds_load_b128 v[130:133], v2 offset:768
	;; [unrolled: 18-line block ×3, first 2 shown]
	v_fmac_f64_e32 v[142:143], v[132:133], v[114:115]
	v_fma_f64 v[130:131], v[130:131], v[114:115], -v[116:117]
	scratch_load_b128 v[114:117], off, off offset:416
	v_add_f64_e32 v[4:5], v[4:5], v[148:149]
	v_add_f64_e32 v[8:9], v[8:9], v[144:145]
	v_fmac_f64_e32 v[146:147], v[88:89], v[122:123]
	v_fma_f64 v[148:149], v[86:87], v[122:123], -v[124:125]
	ds_load_b128 v[86:89], v2 offset:816
	s_wait_loadcnt_dscnt 0x901
	v_mul_f64_e32 v[144:145], v[138:139], v[12:13]
	v_mul_f64_e32 v[12:13], v[140:141], v[12:13]
	scratch_load_b128 v[122:125], off, off offset:432
	v_add_f64_e32 v[4:5], v[4:5], v[130:131]
	v_add_f64_e32 v[8:9], v[8:9], v[142:143]
	s_wait_dscnt 0x0
	v_mul_f64_e32 v[142:143], v[86:87], v[136:137]
	v_mul_f64_e32 v[136:137], v[88:89], v[136:137]
	ds_load_b128 v[130:133], v2 offset:832
	v_fmac_f64_e32 v[144:145], v[140:141], v[10:11]
	v_fma_f64 v[12:13], v[138:139], v[10:11], -v[12:13]
	v_add_f64_e32 v[4:5], v[4:5], v[148:149]
	v_add_f64_e32 v[138:139], v[8:9], v[146:147]
	scratch_load_b128 v[8:11], off, off offset:448
	v_fmac_f64_e32 v[142:143], v[88:89], v[134:135]
	v_fma_f64 v[88:89], v[86:87], v[134:135], -v[136:137]
	scratch_load_b128 v[134:137], off, off offset:464
	v_add_f64_e32 v[4:5], v[4:5], v[12:13]
	v_add_f64_e32 v[12:13], v[138:139], v[144:145]
	ds_load_b128 v[138:141], v2 offset:864
	s_wait_loadcnt_dscnt 0xb01
	v_mul_f64_e32 v[146:147], v[130:131], v[84:85]
	v_mul_f64_e32 v[148:149], v[132:133], v[84:85]
	ds_load_b128 v[84:87], v2 offset:848
	s_wait_loadcnt_dscnt 0xa00
	v_mul_f64_e32 v[144:145], v[84:85], v[120:121]
	v_mul_f64_e32 v[120:121], v[86:87], v[120:121]
	v_add_f64_e32 v[4:5], v[4:5], v[88:89]
	v_add_f64_e32 v[12:13], v[12:13], v[142:143]
	s_wait_loadcnt 0x9
	v_mul_f64_e32 v[142:143], v[138:139], v[92:93]
	v_fmac_f64_e32 v[146:147], v[132:133], v[82:83]
	v_fma_f64 v[82:83], v[130:131], v[82:83], -v[148:149]
	scratch_load_b128 v[130:133], off, off offset:480
	v_mul_f64_e32 v[92:93], v[140:141], v[92:93]
	v_fmac_f64_e32 v[144:145], v[86:87], v[118:119]
	v_fma_f64 v[148:149], v[84:85], v[118:119], -v[120:121]
	scratch_load_b128 v[86:89], off, off offset:496
	ds_load_b128 v[118:121], v2 offset:896
	v_fmac_f64_e32 v[142:143], v[140:141], v[90:91]
	v_add_f64_e32 v[12:13], v[12:13], v[146:147]
	v_add_f64_e32 v[4:5], v[4:5], v[82:83]
	ds_load_b128 v[82:85], v2 offset:880
	v_fma_f64 v[138:139], v[138:139], v[90:91], -v[92:93]
	scratch_load_b128 v[90:93], off, off offset:512
	s_wait_loadcnt_dscnt 0xb00
	v_mul_f64_e32 v[146:147], v[82:83], v[96:97]
	v_mul_f64_e32 v[96:97], v[84:85], v[96:97]
	v_add_f64_e32 v[12:13], v[12:13], v[144:145]
	v_add_f64_e32 v[4:5], v[4:5], v[148:149]
	s_wait_loadcnt 0xa
	v_mul_f64_e32 v[144:145], v[118:119], v[100:101]
	v_mul_f64_e32 v[100:101], v[120:121], v[100:101]
	v_fmac_f64_e32 v[146:147], v[84:85], v[94:95]
	v_fma_f64 v[148:149], v[82:83], v[94:95], -v[96:97]
	ds_load_b128 v[82:85], v2 offset:912
	scratch_load_b128 v[94:97], off, off offset:528
	v_add_f64_e32 v[12:13], v[12:13], v[142:143]
	v_add_f64_e32 v[4:5], v[4:5], v[138:139]
	ds_load_b128 v[138:141], v2 offset:928
	v_fmac_f64_e32 v[144:145], v[120:121], v[98:99]
	v_fma_f64 v[98:99], v[118:119], v[98:99], -v[100:101]
	s_wait_loadcnt_dscnt 0xa01
	v_mul_f64_e32 v[142:143], v[82:83], v[104:105]
	v_mul_f64_e32 v[104:105], v[84:85], v[104:105]
	s_wait_loadcnt_dscnt 0x900
	v_mul_f64_e32 v[118:119], v[138:139], v[108:109]
	v_mul_f64_e32 v[108:109], v[140:141], v[108:109]
	v_add_f64_e32 v[12:13], v[12:13], v[146:147]
	v_add_f64_e32 v[4:5], v[4:5], v[148:149]
	v_fmac_f64_e32 v[142:143], v[84:85], v[102:103]
	v_fma_f64 v[102:103], v[82:83], v[102:103], -v[104:105]
	v_fmac_f64_e32 v[118:119], v[140:141], v[106:107]
	v_fma_f64 v[106:107], v[138:139], v[106:107], -v[108:109]
	v_add_f64_e32 v[12:13], v[12:13], v[144:145]
	v_add_f64_e32 v[4:5], v[4:5], v[98:99]
	ds_load_b128 v[82:85], v2 offset:944
	ds_load_b128 v[98:101], v2 offset:960
	s_wait_loadcnt_dscnt 0x801
	v_mul_f64_e32 v[120:121], v[82:83], v[112:113]
	v_mul_f64_e32 v[104:105], v[84:85], v[112:113]
	s_wait_loadcnt_dscnt 0x700
	v_mul_f64_e32 v[108:109], v[98:99], v[116:117]
	v_mul_f64_e32 v[112:113], v[100:101], v[116:117]
	v_add_f64_e32 v[12:13], v[12:13], v[142:143]
	v_add_f64_e32 v[4:5], v[4:5], v[102:103]
	v_fmac_f64_e32 v[120:121], v[84:85], v[110:111]
	v_fma_f64 v[110:111], v[82:83], v[110:111], -v[104:105]
	ds_load_b128 v[82:85], v2 offset:976
	ds_load_b128 v[102:105], v2 offset:992
	v_fmac_f64_e32 v[108:109], v[100:101], v[114:115]
	v_fma_f64 v[98:99], v[98:99], v[114:115], -v[112:113]
	v_add_f64_e32 v[12:13], v[12:13], v[118:119]
	v_add_f64_e32 v[4:5], v[4:5], v[106:107]
	s_wait_loadcnt_dscnt 0x601
	v_mul_f64_e32 v[106:107], v[82:83], v[124:125]
	v_mul_f64_e32 v[116:117], v[84:85], v[124:125]
	s_wait_loadcnt_dscnt 0x500
	v_mul_f64_e32 v[100:101], v[102:103], v[10:11]
	v_add_f64_e32 v[12:13], v[12:13], v[120:121]
	v_add_f64_e32 v[4:5], v[4:5], v[110:111]
	v_mul_f64_e32 v[110:111], v[104:105], v[10:11]
	v_fmac_f64_e32 v[106:107], v[84:85], v[122:123]
	v_fma_f64 v[112:113], v[82:83], v[122:123], -v[116:117]
	v_fmac_f64_e32 v[100:101], v[104:105], v[8:9]
	v_add_f64_e32 v[4:5], v[4:5], v[98:99]
	v_add_f64_e32 v[98:99], v[12:13], v[108:109]
	ds_load_b128 v[10:13], v2 offset:1008
	ds_load_b128 v[82:85], v2 offset:1024
	v_fma_f64 v[8:9], v[102:103], v[8:9], -v[110:111]
	s_wait_loadcnt_dscnt 0x401
	v_mul_f64_e32 v[108:109], v[10:11], v[136:137]
	v_mul_f64_e32 v[114:115], v[12:13], v[136:137]
	v_add_f64_e32 v[4:5], v[4:5], v[112:113]
	v_add_f64_e32 v[98:99], v[98:99], v[106:107]
	s_wait_loadcnt_dscnt 0x300
	v_mul_f64_e32 v[102:103], v[82:83], v[132:133]
	v_mul_f64_e32 v[104:105], v[84:85], v[132:133]
	v_fmac_f64_e32 v[108:109], v[12:13], v[134:135]
	v_fma_f64 v[12:13], v[10:11], v[134:135], -v[114:115]
	v_add_f64_e32 v[4:5], v[4:5], v[8:9]
	v_add_f64_e32 v[106:107], v[98:99], v[100:101]
	ds_load_b128 v[8:11], v2 offset:1040
	ds_load_b128 v[98:101], v2 offset:1056
	v_fmac_f64_e32 v[102:103], v[84:85], v[130:131]
	v_fma_f64 v[82:83], v[82:83], v[130:131], -v[104:105]
	s_wait_loadcnt_dscnt 0x201
	v_mul_f64_e32 v[110:111], v[8:9], v[88:89]
	v_mul_f64_e32 v[88:89], v[10:11], v[88:89]
	s_wait_loadcnt_dscnt 0x100
	v_mul_f64_e32 v[84:85], v[98:99], v[92:93]
	v_mul_f64_e32 v[92:93], v[100:101], v[92:93]
	v_add_f64_e32 v[4:5], v[4:5], v[12:13]
	v_add_f64_e32 v[12:13], v[106:107], v[108:109]
	v_fmac_f64_e32 v[110:111], v[10:11], v[86:87]
	v_fma_f64 v[86:87], v[8:9], v[86:87], -v[88:89]
	ds_load_b128 v[8:11], v2 offset:1072
	v_fmac_f64_e32 v[84:85], v[100:101], v[90:91]
	v_fma_f64 v[90:91], v[98:99], v[90:91], -v[92:93]
	v_add_f64_e32 v[4:5], v[4:5], v[82:83]
	v_add_f64_e32 v[12:13], v[12:13], v[102:103]
	s_wait_loadcnt_dscnt 0x0
	v_mul_f64_e32 v[82:83], v[8:9], v[96:97]
	v_mul_f64_e32 v[88:89], v[10:11], v[96:97]
	s_delay_alu instid0(VALU_DEP_4) | instskip(NEXT) | instid1(VALU_DEP_4)
	v_add_f64_e32 v[4:5], v[4:5], v[86:87]
	v_add_f64_e32 v[12:13], v[12:13], v[110:111]
	s_delay_alu instid0(VALU_DEP_4) | instskip(NEXT) | instid1(VALU_DEP_4)
	v_fmac_f64_e32 v[82:83], v[10:11], v[94:95]
	v_fma_f64 v[8:9], v[8:9], v[94:95], -v[88:89]
	s_delay_alu instid0(VALU_DEP_4) | instskip(NEXT) | instid1(VALU_DEP_4)
	v_add_f64_e32 v[4:5], v[4:5], v[90:91]
	v_add_f64_e32 v[10:11], v[12:13], v[84:85]
	s_delay_alu instid0(VALU_DEP_2) | instskip(NEXT) | instid1(VALU_DEP_2)
	v_add_f64_e32 v[4:5], v[4:5], v[8:9]
	v_add_f64_e32 v[10:11], v[10:11], v[82:83]
	s_delay_alu instid0(VALU_DEP_2) | instskip(NEXT) | instid1(VALU_DEP_2)
	v_add_f64_e64 v[8:9], v[126:127], -v[4:5]
	v_add_f64_e64 v[10:11], v[128:129], -v[10:11]
	scratch_store_b128 off, v[8:11], off offset:64
	s_wait_xcnt 0x0
	v_cmpx_lt_u32_e32 3, v1
	s_cbranch_execz .LBB97_211
; %bb.210:
	scratch_load_b128 v[8:11], off, s14
	v_dual_mov_b32 v3, v2 :: v_dual_mov_b32 v4, v2
	v_mov_b32_e32 v5, v2
	scratch_store_b128 off, v[2:5], off offset:48
	s_wait_loadcnt 0x0
	ds_store_b128 v6, v[8:11]
.LBB97_211:
	s_wait_xcnt 0x0
	s_or_b32 exec_lo, exec_lo, s2
	s_wait_storecnt_dscnt 0x0
	s_barrier_signal -1
	s_barrier_wait -1
	s_clause 0x9
	scratch_load_b128 v[8:11], off, off offset:64
	scratch_load_b128 v[82:85], off, off offset:80
	;; [unrolled: 1-line block ×10, first 2 shown]
	ds_load_b128 v[118:121], v2 offset:608
	ds_load_b128 v[126:129], v2 offset:624
	s_clause 0x1
	scratch_load_b128 v[122:125], off, off offset:224
	scratch_load_b128 v[130:133], off, off offset:48
	s_mov_b32 s2, exec_lo
	s_wait_loadcnt_dscnt 0xb01
	v_mul_f64_e32 v[4:5], v[120:121], v[10:11]
	v_mul_f64_e32 v[142:143], v[118:119], v[10:11]
	scratch_load_b128 v[10:13], off, off offset:240
	s_wait_loadcnt_dscnt 0xb00
	v_mul_f64_e32 v[144:145], v[126:127], v[84:85]
	v_mul_f64_e32 v[84:85], v[128:129], v[84:85]
	v_fma_f64 v[4:5], v[118:119], v[8:9], -v[4:5]
	v_fmac_f64_e32 v[142:143], v[120:121], v[8:9]
	ds_load_b128 v[118:121], v2 offset:640
	ds_load_b128 v[134:137], v2 offset:656
	scratch_load_b128 v[138:141], off, off offset:256
	v_fmac_f64_e32 v[144:145], v[128:129], v[82:83]
	v_fma_f64 v[126:127], v[126:127], v[82:83], -v[84:85]
	scratch_load_b128 v[82:85], off, off offset:272
	s_wait_loadcnt_dscnt 0xc01
	v_mul_f64_e32 v[8:9], v[118:119], v[88:89]
	v_mul_f64_e32 v[88:89], v[120:121], v[88:89]
	v_add_f64_e32 v[4:5], 0, v[4:5]
	v_add_f64_e32 v[128:129], 0, v[142:143]
	s_wait_loadcnt_dscnt 0xb00
	v_mul_f64_e32 v[142:143], v[134:135], v[92:93]
	v_mul_f64_e32 v[92:93], v[136:137], v[92:93]
	v_fmac_f64_e32 v[8:9], v[120:121], v[86:87]
	v_fma_f64 v[146:147], v[118:119], v[86:87], -v[88:89]
	ds_load_b128 v[86:89], v2 offset:672
	ds_load_b128 v[118:121], v2 offset:688
	v_add_f64_e32 v[4:5], v[4:5], v[126:127]
	v_add_f64_e32 v[144:145], v[128:129], v[144:145]
	scratch_load_b128 v[126:129], off, off offset:288
	v_fmac_f64_e32 v[142:143], v[136:137], v[90:91]
	v_fma_f64 v[134:135], v[134:135], v[90:91], -v[92:93]
	scratch_load_b128 v[90:93], off, off offset:304
	s_wait_loadcnt_dscnt 0xc01
	v_mul_f64_e32 v[148:149], v[86:87], v[96:97]
	v_mul_f64_e32 v[96:97], v[88:89], v[96:97]
	v_add_f64_e32 v[4:5], v[4:5], v[146:147]
	v_add_f64_e32 v[8:9], v[144:145], v[8:9]
	s_wait_loadcnt_dscnt 0xb00
	v_mul_f64_e32 v[144:145], v[118:119], v[100:101]
	v_mul_f64_e32 v[100:101], v[120:121], v[100:101]
	v_fmac_f64_e32 v[148:149], v[88:89], v[94:95]
	v_fma_f64 v[146:147], v[86:87], v[94:95], -v[96:97]
	ds_load_b128 v[86:89], v2 offset:704
	ds_load_b128 v[94:97], v2 offset:720
	v_add_f64_e32 v[4:5], v[4:5], v[134:135]
	v_add_f64_e32 v[8:9], v[8:9], v[142:143]
	scratch_load_b128 v[134:137], off, off offset:320
	s_wait_loadcnt_dscnt 0xb01
	v_mul_f64_e32 v[142:143], v[86:87], v[104:105]
	v_mul_f64_e32 v[104:105], v[88:89], v[104:105]
	v_fmac_f64_e32 v[144:145], v[120:121], v[98:99]
	v_fma_f64 v[118:119], v[118:119], v[98:99], -v[100:101]
	scratch_load_b128 v[98:101], off, off offset:336
	v_add_f64_e32 v[4:5], v[4:5], v[146:147]
	v_add_f64_e32 v[8:9], v[8:9], v[148:149]
	s_wait_loadcnt_dscnt 0xb00
	v_mul_f64_e32 v[146:147], v[94:95], v[108:109]
	v_mul_f64_e32 v[108:109], v[96:97], v[108:109]
	v_fmac_f64_e32 v[142:143], v[88:89], v[102:103]
	v_fma_f64 v[148:149], v[86:87], v[102:103], -v[104:105]
	ds_load_b128 v[86:89], v2 offset:736
	ds_load_b128 v[102:105], v2 offset:752
	v_add_f64_e32 v[4:5], v[4:5], v[118:119]
	v_add_f64_e32 v[8:9], v[8:9], v[144:145]
	scratch_load_b128 v[118:121], off, off offset:352
	s_wait_loadcnt_dscnt 0xb01
	v_mul_f64_e32 v[144:145], v[86:87], v[112:113]
	v_mul_f64_e32 v[112:113], v[88:89], v[112:113]
	v_fmac_f64_e32 v[146:147], v[96:97], v[106:107]
	v_fma_f64 v[106:107], v[94:95], v[106:107], -v[108:109]
	scratch_load_b128 v[94:97], off, off offset:368
	v_add_f64_e32 v[4:5], v[4:5], v[148:149]
	v_add_f64_e32 v[8:9], v[8:9], v[142:143]
	s_wait_loadcnt_dscnt 0xb00
	v_mul_f64_e32 v[142:143], v[102:103], v[116:117]
	v_mul_f64_e32 v[116:117], v[104:105], v[116:117]
	v_fmac_f64_e32 v[144:145], v[88:89], v[110:111]
	v_fma_f64 v[148:149], v[86:87], v[110:111], -v[112:113]
	v_add_f64_e32 v[4:5], v[4:5], v[106:107]
	v_add_f64_e32 v[8:9], v[8:9], v[146:147]
	ds_load_b128 v[86:89], v2 offset:768
	ds_load_b128 v[106:109], v2 offset:784
	scratch_load_b128 v[110:113], off, off offset:384
	v_fmac_f64_e32 v[142:143], v[104:105], v[114:115]
	v_fma_f64 v[114:115], v[102:103], v[114:115], -v[116:117]
	scratch_load_b128 v[102:105], off, off offset:400
	s_wait_loadcnt_dscnt 0xc01
	v_mul_f64_e32 v[146:147], v[86:87], v[124:125]
	v_mul_f64_e32 v[124:125], v[88:89], v[124:125]
	v_add_f64_e32 v[4:5], v[4:5], v[148:149]
	v_add_f64_e32 v[8:9], v[8:9], v[144:145]
	s_wait_loadcnt_dscnt 0xa00
	v_mul_f64_e32 v[144:145], v[106:107], v[12:13]
	v_mul_f64_e32 v[12:13], v[108:109], v[12:13]
	v_fmac_f64_e32 v[146:147], v[88:89], v[122:123]
	v_fma_f64 v[148:149], v[86:87], v[122:123], -v[124:125]
	v_add_f64_e32 v[4:5], v[4:5], v[114:115]
	v_add_f64_e32 v[8:9], v[8:9], v[142:143]
	ds_load_b128 v[86:89], v2 offset:800
	ds_load_b128 v[114:117], v2 offset:816
	scratch_load_b128 v[122:125], off, off offset:416
	v_fmac_f64_e32 v[144:145], v[108:109], v[10:11]
	v_fma_f64 v[12:13], v[106:107], v[10:11], -v[12:13]
	s_wait_loadcnt_dscnt 0xa01
	v_mul_f64_e32 v[142:143], v[86:87], v[140:141]
	v_mul_f64_e32 v[140:141], v[88:89], v[140:141]
	v_add_f64_e32 v[4:5], v[4:5], v[148:149]
	v_add_f64_e32 v[106:107], v[8:9], v[146:147]
	scratch_load_b128 v[8:11], off, off offset:432
	s_wait_loadcnt_dscnt 0xa00
	v_mul_f64_e32 v[146:147], v[114:115], v[84:85]
	v_mul_f64_e32 v[148:149], v[116:117], v[84:85]
	v_fmac_f64_e32 v[142:143], v[88:89], v[138:139]
	v_fma_f64 v[88:89], v[86:87], v[138:139], -v[140:141]
	v_add_f64_e32 v[4:5], v[4:5], v[12:13]
	v_add_f64_e32 v[12:13], v[106:107], v[144:145]
	ds_load_b128 v[84:87], v2 offset:832
	ds_load_b128 v[106:109], v2 offset:848
	scratch_load_b128 v[138:141], off, off offset:448
	v_fmac_f64_e32 v[146:147], v[116:117], v[82:83]
	v_fma_f64 v[82:83], v[114:115], v[82:83], -v[148:149]
	scratch_load_b128 v[114:117], off, off offset:464
	s_wait_loadcnt_dscnt 0xb01
	v_mul_f64_e32 v[144:145], v[84:85], v[128:129]
	v_mul_f64_e32 v[128:129], v[86:87], v[128:129]
	v_add_f64_e32 v[4:5], v[4:5], v[88:89]
	v_add_f64_e32 v[12:13], v[12:13], v[142:143]
	s_wait_loadcnt_dscnt 0xa00
	v_mul_f64_e32 v[142:143], v[106:107], v[92:93]
	v_mul_f64_e32 v[92:93], v[108:109], v[92:93]
	v_fmac_f64_e32 v[144:145], v[86:87], v[126:127]
	v_fma_f64 v[148:149], v[84:85], v[126:127], -v[128:129]
	v_add_f64_e32 v[4:5], v[4:5], v[82:83]
	v_add_f64_e32 v[12:13], v[12:13], v[146:147]
	ds_load_b128 v[82:85], v2 offset:864
	ds_load_b128 v[86:89], v2 offset:880
	scratch_load_b128 v[126:129], off, off offset:480
	v_fmac_f64_e32 v[142:143], v[108:109], v[90:91]
	v_fma_f64 v[106:107], v[106:107], v[90:91], -v[92:93]
	scratch_load_b128 v[90:93], off, off offset:496
	s_wait_loadcnt_dscnt 0xb01
	v_mul_f64_e32 v[146:147], v[82:83], v[136:137]
	v_mul_f64_e32 v[136:137], v[84:85], v[136:137]
	v_add_f64_e32 v[4:5], v[4:5], v[148:149]
	v_add_f64_e32 v[12:13], v[12:13], v[144:145]
	s_wait_loadcnt_dscnt 0xa00
	v_mul_f64_e32 v[144:145], v[86:87], v[100:101]
	v_mul_f64_e32 v[100:101], v[88:89], v[100:101]
	v_fmac_f64_e32 v[146:147], v[84:85], v[134:135]
	v_fma_f64 v[148:149], v[82:83], v[134:135], -v[136:137]
	v_add_f64_e32 v[4:5], v[4:5], v[106:107]
	v_add_f64_e32 v[12:13], v[12:13], v[142:143]
	ds_load_b128 v[82:85], v2 offset:896
	ds_load_b128 v[106:109], v2 offset:912
	scratch_load_b128 v[134:137], off, off offset:512
	v_fmac_f64_e32 v[144:145], v[88:89], v[98:99]
	v_fma_f64 v[98:99], v[86:87], v[98:99], -v[100:101]
	scratch_load_b128 v[86:89], off, off offset:528
	s_wait_loadcnt_dscnt 0xb01
	v_mul_f64_e32 v[142:143], v[82:83], v[120:121]
	v_mul_f64_e32 v[120:121], v[84:85], v[120:121]
	s_wait_loadcnt_dscnt 0xa00
	v_mul_f64_e32 v[100:101], v[106:107], v[96:97]
	v_add_f64_e32 v[4:5], v[4:5], v[148:149]
	v_add_f64_e32 v[12:13], v[12:13], v[146:147]
	v_mul_f64_e32 v[146:147], v[108:109], v[96:97]
	v_fmac_f64_e32 v[142:143], v[84:85], v[118:119]
	v_fma_f64 v[118:119], v[82:83], v[118:119], -v[120:121]
	v_fmac_f64_e32 v[100:101], v[108:109], v[94:95]
	v_add_f64_e32 v[4:5], v[4:5], v[98:99]
	v_add_f64_e32 v[12:13], v[12:13], v[144:145]
	ds_load_b128 v[82:85], v2 offset:928
	ds_load_b128 v[96:99], v2 offset:944
	v_fma_f64 v[94:95], v[106:107], v[94:95], -v[146:147]
	s_wait_loadcnt_dscnt 0x901
	v_mul_f64_e32 v[120:121], v[82:83], v[112:113]
	v_mul_f64_e32 v[112:113], v[84:85], v[112:113]
	s_wait_loadcnt_dscnt 0x800
	v_mul_f64_e32 v[108:109], v[96:97], v[104:105]
	v_add_f64_e32 v[4:5], v[4:5], v[118:119]
	v_add_f64_e32 v[12:13], v[12:13], v[142:143]
	v_mul_f64_e32 v[118:119], v[98:99], v[104:105]
	v_fmac_f64_e32 v[120:121], v[84:85], v[110:111]
	v_fma_f64 v[110:111], v[82:83], v[110:111], -v[112:113]
	ds_load_b128 v[82:85], v2 offset:960
	ds_load_b128 v[104:107], v2 offset:976
	v_fmac_f64_e32 v[108:109], v[98:99], v[102:103]
	v_add_f64_e32 v[4:5], v[4:5], v[94:95]
	v_add_f64_e32 v[12:13], v[12:13], v[100:101]
	v_fma_f64 v[96:97], v[96:97], v[102:103], -v[118:119]
	s_wait_loadcnt_dscnt 0x701
	v_mul_f64_e32 v[94:95], v[82:83], v[124:125]
	v_mul_f64_e32 v[100:101], v[84:85], v[124:125]
	v_add_f64_e32 v[4:5], v[4:5], v[110:111]
	v_add_f64_e32 v[12:13], v[12:13], v[120:121]
	s_wait_loadcnt_dscnt 0x600
	v_mul_f64_e32 v[98:99], v[104:105], v[10:11]
	v_mul_f64_e32 v[102:103], v[106:107], v[10:11]
	v_fmac_f64_e32 v[94:95], v[84:85], v[122:123]
	v_fma_f64 v[100:101], v[82:83], v[122:123], -v[100:101]
	v_add_f64_e32 v[4:5], v[4:5], v[96:97]
	v_add_f64_e32 v[96:97], v[12:13], v[108:109]
	ds_load_b128 v[10:13], v2 offset:992
	ds_load_b128 v[82:85], v2 offset:1008
	v_fmac_f64_e32 v[98:99], v[106:107], v[8:9]
	v_fma_f64 v[8:9], v[104:105], v[8:9], -v[102:103]
	s_wait_loadcnt_dscnt 0x501
	v_mul_f64_e32 v[108:109], v[10:11], v[140:141]
	v_mul_f64_e32 v[110:111], v[12:13], v[140:141]
	s_wait_loadcnt_dscnt 0x400
	v_mul_f64_e32 v[102:103], v[84:85], v[116:117]
	v_add_f64_e32 v[4:5], v[4:5], v[100:101]
	v_add_f64_e32 v[94:95], v[96:97], v[94:95]
	v_mul_f64_e32 v[100:101], v[82:83], v[116:117]
	v_fmac_f64_e32 v[108:109], v[12:13], v[138:139]
	v_fma_f64 v[12:13], v[10:11], v[138:139], -v[110:111]
	v_fma_f64 v[82:83], v[82:83], v[114:115], -v[102:103]
	v_add_f64_e32 v[4:5], v[4:5], v[8:9]
	v_add_f64_e32 v[98:99], v[94:95], v[98:99]
	ds_load_b128 v[8:11], v2 offset:1024
	ds_load_b128 v[94:97], v2 offset:1040
	v_fmac_f64_e32 v[100:101], v[84:85], v[114:115]
	s_wait_loadcnt_dscnt 0x301
	v_mul_f64_e32 v[104:105], v[8:9], v[128:129]
	v_mul_f64_e32 v[106:107], v[10:11], v[128:129]
	s_wait_loadcnt_dscnt 0x200
	v_mul_f64_e32 v[84:85], v[94:95], v[92:93]
	v_mul_f64_e32 v[92:93], v[96:97], v[92:93]
	v_add_f64_e32 v[4:5], v[4:5], v[12:13]
	v_add_f64_e32 v[12:13], v[98:99], v[108:109]
	v_fmac_f64_e32 v[104:105], v[10:11], v[126:127]
	v_fma_f64 v[98:99], v[8:9], v[126:127], -v[106:107]
	v_fmac_f64_e32 v[84:85], v[96:97], v[90:91]
	v_fma_f64 v[90:91], v[94:95], v[90:91], -v[92:93]
	v_add_f64_e32 v[82:83], v[4:5], v[82:83]
	v_add_f64_e32 v[12:13], v[12:13], v[100:101]
	ds_load_b128 v[8:11], v2 offset:1056
	ds_load_b128 v[2:5], v2 offset:1072
	s_wait_loadcnt_dscnt 0x101
	v_mul_f64_e32 v[100:101], v[8:9], v[136:137]
	v_mul_f64_e32 v[102:103], v[10:11], v[136:137]
	s_wait_loadcnt_dscnt 0x0
	v_mul_f64_e32 v[92:93], v[2:3], v[88:89]
	v_mul_f64_e32 v[88:89], v[4:5], v[88:89]
	v_add_f64_e32 v[82:83], v[82:83], v[98:99]
	v_add_f64_e32 v[12:13], v[12:13], v[104:105]
	v_fmac_f64_e32 v[100:101], v[10:11], v[134:135]
	v_fma_f64 v[8:9], v[8:9], v[134:135], -v[102:103]
	v_fmac_f64_e32 v[92:93], v[4:5], v[86:87]
	v_fma_f64 v[2:3], v[2:3], v[86:87], -v[88:89]
	v_add_f64_e32 v[10:11], v[82:83], v[90:91]
	v_add_f64_e32 v[12:13], v[12:13], v[84:85]
	s_delay_alu instid0(VALU_DEP_2) | instskip(NEXT) | instid1(VALU_DEP_2)
	v_add_f64_e32 v[4:5], v[10:11], v[8:9]
	v_add_f64_e32 v[8:9], v[12:13], v[100:101]
	s_delay_alu instid0(VALU_DEP_2) | instskip(NEXT) | instid1(VALU_DEP_2)
	;; [unrolled: 3-line block ×3, first 2 shown]
	v_add_f64_e64 v[2:3], v[130:131], -v[2:3]
	v_add_f64_e64 v[4:5], v[132:133], -v[4:5]
	scratch_store_b128 off, v[2:5], off offset:48
	s_wait_xcnt 0x0
	v_cmpx_lt_u32_e32 2, v1
	s_cbranch_execz .LBB97_213
; %bb.212:
	scratch_load_b128 v[2:5], off, s16
	v_mov_b32_e32 v8, 0
	s_delay_alu instid0(VALU_DEP_1)
	v_dual_mov_b32 v9, v8 :: v_dual_mov_b32 v10, v8
	v_mov_b32_e32 v11, v8
	scratch_store_b128 off, v[8:11], off offset:32
	s_wait_loadcnt 0x0
	ds_store_b128 v6, v[2:5]
.LBB97_213:
	s_wait_xcnt 0x0
	s_or_b32 exec_lo, exec_lo, s2
	s_wait_storecnt_dscnt 0x0
	s_barrier_signal -1
	s_barrier_wait -1
	s_clause 0x9
	scratch_load_b128 v[8:11], off, off offset:48
	scratch_load_b128 v[82:85], off, off offset:64
	;; [unrolled: 1-line block ×10, first 2 shown]
	v_mov_b32_e32 v2, 0
	ds_load_b128 v[118:121], v2 offset:592
	ds_load_b128 v[122:125], v2 offset:608
	scratch_load_b128 v[126:129], off, off offset:32
	s_mov_b32 s2, exec_lo
	v_dual_ashrrev_i32 v21, 31, v20 :: v_dual_ashrrev_i32 v19, 31, v18
	v_ashrrev_i32_e32 v23, 31, v22
	v_ashrrev_i32_e32 v27, 31, v26
	;; [unrolled: 1-line block ×3, first 2 shown]
	v_dual_ashrrev_i32 v35, 31, v34 :: v_dual_ashrrev_i32 v25, 31, v24
	v_ashrrev_i32_e32 v43, 31, v42
	v_ashrrev_i32_e32 v47, 31, v46
	;; [unrolled: 1-line block ×3, first 2 shown]
	v_dual_ashrrev_i32 v51, 31, v50 :: v_dual_ashrrev_i32 v29, 31, v28
	v_dual_ashrrev_i32 v37, 31, v36 :: v_dual_ashrrev_i32 v55, 31, v54
	;; [unrolled: 1-line block ×6, first 2 shown]
	v_ashrrev_i32_e32 v53, 31, v52
	v_ashrrev_i32_e32 v61, 31, v60
	v_dual_ashrrev_i32 v57, 31, v56 :: v_dual_ashrrev_i32 v75, 31, v74
	v_dual_ashrrev_i32 v79, 31, v78 :: v_dual_ashrrev_i32 v65, 31, v64
	v_ashrrev_i32_e32 v69, 31, v68
	v_ashrrev_i32_e32 v73, 31, v72
	;; [unrolled: 1-line block ×3, first 2 shown]
	s_wait_loadcnt_dscnt 0xa01
	v_dual_mul_f64 v[4:5], v[118:119], v[10:11] :: v_dual_ashrrev_i32 v81, 31, v80
	v_mul_f64_e32 v[134:135], v[120:121], v[10:11]
	scratch_load_b128 v[10:13], off, off offset:208
	s_wait_loadcnt_dscnt 0xa00
	v_mul_f64_e32 v[138:139], v[122:123], v[84:85]
	v_mul_f64_e32 v[84:85], v[124:125], v[84:85]
	ds_load_b128 v[130:133], v2 offset:624
	v_fmac_f64_e32 v[4:5], v[120:121], v[8:9]
	v_fma_f64 v[8:9], v[118:119], v[8:9], -v[134:135]
	scratch_load_b128 v[118:121], off, off offset:224
	ds_load_b128 v[134:137], v2 offset:640
	s_wait_loadcnt_dscnt 0xa01
	v_mul_f64_e32 v[140:141], v[130:131], v[88:89]
	v_fmac_f64_e32 v[138:139], v[124:125], v[82:83]
	v_fma_f64 v[122:123], v[122:123], v[82:83], -v[84:85]
	v_mul_f64_e32 v[88:89], v[132:133], v[88:89]
	scratch_load_b128 v[82:85], off, off offset:240
	s_wait_loadcnt_dscnt 0xa00
	v_mul_f64_e32 v[142:143], v[134:135], v[92:93]
	v_mul_f64_e32 v[92:93], v[136:137], v[92:93]
	v_add_f64_e32 v[4:5], 0, v[4:5]
	v_add_f64_e32 v[8:9], 0, v[8:9]
	v_fmac_f64_e32 v[140:141], v[132:133], v[86:87]
	v_fma_f64 v[130:131], v[130:131], v[86:87], -v[88:89]
	ds_load_b128 v[86:89], v2 offset:656
	v_fmac_f64_e32 v[142:143], v[136:137], v[90:91]
	v_fma_f64 v[134:135], v[134:135], v[90:91], -v[92:93]
	ds_load_b128 v[90:93], v2 offset:672
	s_wait_loadcnt_dscnt 0x901
	v_mul_f64_e32 v[136:137], v[86:87], v[96:97]
	v_mul_f64_e32 v[96:97], v[88:89], v[96:97]
	v_add_f64_e32 v[4:5], v[4:5], v[138:139]
	v_add_f64_e32 v[8:9], v[8:9], v[122:123]
	scratch_load_b128 v[122:125], off, off offset:256
	s_wait_loadcnt_dscnt 0x900
	v_mul_f64_e32 v[144:145], v[90:91], v[100:101]
	v_mul_f64_e32 v[100:101], v[92:93], v[100:101]
	v_fmac_f64_e32 v[136:137], v[88:89], v[94:95]
	v_fma_f64 v[138:139], v[86:87], v[94:95], -v[96:97]
	scratch_load_b128 v[94:97], off, off offset:288
	ds_load_b128 v[86:89], v2 offset:688
	v_add_f64_e32 v[4:5], v[4:5], v[140:141]
	v_add_f64_e32 v[8:9], v[8:9], v[130:131]
	scratch_load_b128 v[130:133], off, off offset:272
	v_fmac_f64_e32 v[144:145], v[92:93], v[98:99]
	v_add_f64_e32 v[4:5], v[4:5], v[142:143]
	v_add_f64_e32 v[8:9], v[8:9], v[134:135]
	v_fma_f64 v[134:135], v[90:91], v[98:99], -v[100:101]
	ds_load_b128 v[90:93], v2 offset:704
	s_wait_loadcnt_dscnt 0xa01
	v_mul_f64_e32 v[140:141], v[86:87], v[104:105]
	v_mul_f64_e32 v[104:105], v[88:89], v[104:105]
	scratch_load_b128 v[98:101], off, off offset:304
	s_wait_loadcnt_dscnt 0xa00
	v_mul_f64_e32 v[142:143], v[90:91], v[108:109]
	v_mul_f64_e32 v[108:109], v[92:93], v[108:109]
	v_add_f64_e32 v[4:5], v[4:5], v[136:137]
	v_add_f64_e32 v[8:9], v[8:9], v[138:139]
	v_fmac_f64_e32 v[140:141], v[88:89], v[102:103]
	v_fma_f64 v[138:139], v[86:87], v[102:103], -v[104:105]
	scratch_load_b128 v[102:105], off, off offset:320
	ds_load_b128 v[86:89], v2 offset:720
	v_fmac_f64_e32 v[142:143], v[92:93], v[106:107]
	v_add_f64_e32 v[4:5], v[4:5], v[144:145]
	v_add_f64_e32 v[8:9], v[8:9], v[134:135]
	v_fma_f64 v[134:135], v[90:91], v[106:107], -v[108:109]
	ds_load_b128 v[90:93], v2 offset:736
	s_wait_loadcnt_dscnt 0xa01
	v_mul_f64_e32 v[136:137], v[86:87], v[112:113]
	v_mul_f64_e32 v[112:113], v[88:89], v[112:113]
	scratch_load_b128 v[106:109], off, off offset:336
	v_add_f64_e32 v[4:5], v[4:5], v[140:141]
	v_add_f64_e32 v[8:9], v[8:9], v[138:139]
	s_wait_loadcnt_dscnt 0xa00
	v_mul_f64_e32 v[138:139], v[90:91], v[116:117]
	v_mul_f64_e32 v[116:117], v[92:93], v[116:117]
	v_fmac_f64_e32 v[136:137], v[88:89], v[110:111]
	v_fma_f64 v[140:141], v[86:87], v[110:111], -v[112:113]
	scratch_load_b128 v[110:113], off, off offset:352
	ds_load_b128 v[86:89], v2 offset:752
	v_add_f64_e32 v[4:5], v[4:5], v[142:143]
	v_add_f64_e32 v[8:9], v[8:9], v[134:135]
	v_fmac_f64_e32 v[138:139], v[92:93], v[114:115]
	v_fma_f64 v[134:135], v[90:91], v[114:115], -v[116:117]
	ds_load_b128 v[90:93], v2 offset:768
	scratch_load_b128 v[114:117], off, off offset:368
	v_add_f64_e32 v[4:5], v[4:5], v[136:137]
	v_add_f64_e32 v[140:141], v[8:9], v[140:141]
	s_wait_loadcnt_dscnt 0xa01
	v_mul_f64_e32 v[142:143], v[86:87], v[12:13]
	v_mul_f64_e32 v[12:13], v[88:89], v[12:13]
	s_delay_alu instid0(VALU_DEP_4) | instskip(NEXT) | instid1(VALU_DEP_4)
	v_add_f64_e32 v[4:5], v[4:5], v[138:139]
	v_add_f64_e32 v[134:135], v[140:141], v[134:135]
	s_wait_loadcnt_dscnt 0x900
	v_mul_f64_e32 v[136:137], v[90:91], v[120:121]
	v_fmac_f64_e32 v[142:143], v[88:89], v[10:11]
	v_fma_f64 v[12:13], v[86:87], v[10:11], -v[12:13]
	v_mul_f64_e32 v[120:121], v[92:93], v[120:121]
	scratch_load_b128 v[86:89], off, off offset:384
	ds_load_b128 v[8:11], v2 offset:784
	v_fmac_f64_e32 v[136:137], v[92:93], v[118:119]
	v_add_f64_e32 v[4:5], v[4:5], v[142:143]
	v_add_f64_e32 v[12:13], v[134:135], v[12:13]
	v_fma_f64 v[138:139], v[90:91], v[118:119], -v[120:121]
	ds_load_b128 v[90:93], v2 offset:800
	s_wait_loadcnt_dscnt 0x901
	v_mul_f64_e32 v[140:141], v[8:9], v[84:85]
	v_mul_f64_e32 v[84:85], v[10:11], v[84:85]
	scratch_load_b128 v[118:121], off, off offset:400
	s_wait_loadcnt_dscnt 0x900
	v_mul_f64_e32 v[134:135], v[90:91], v[124:125]
	v_mul_f64_e32 v[124:125], v[92:93], v[124:125]
	v_add_f64_e32 v[4:5], v[4:5], v[136:137]
	v_add_f64_e32 v[12:13], v[12:13], v[138:139]
	v_fmac_f64_e32 v[140:141], v[10:11], v[82:83]
	v_fma_f64 v[142:143], v[8:9], v[82:83], -v[84:85]
	scratch_load_b128 v[82:85], off, off offset:416
	ds_load_b128 v[8:11], v2 offset:816
	v_fmac_f64_e32 v[134:135], v[92:93], v[122:123]
	v_fma_f64 v[136:137], v[90:91], v[122:123], -v[124:125]
	ds_load_b128 v[90:93], v2 offset:832
	s_wait_loadcnt_dscnt 0x801
	v_mul_f64_e32 v[138:139], v[8:9], v[132:133]
	v_mul_f64_e32 v[132:133], v[10:11], v[132:133]
	scratch_load_b128 v[122:125], off, off offset:432
	v_add_f64_e32 v[12:13], v[12:13], v[142:143]
	v_add_f64_e32 v[4:5], v[4:5], v[140:141]
	s_wait_dscnt 0x0
	v_mul_f64_e32 v[140:141], v[90:91], v[96:97]
	v_mul_f64_e32 v[96:97], v[92:93], v[96:97]
	v_fmac_f64_e32 v[138:139], v[10:11], v[130:131]
	v_fma_f64 v[142:143], v[8:9], v[130:131], -v[132:133]
	scratch_load_b128 v[8:11], off, off offset:448
	v_add_f64_e32 v[12:13], v[12:13], v[136:137]
	v_add_f64_e32 v[4:5], v[4:5], v[134:135]
	ds_load_b128 v[130:133], v2 offset:848
	v_fmac_f64_e32 v[140:141], v[92:93], v[94:95]
	v_fma_f64 v[134:135], v[90:91], v[94:95], -v[96:97]
	ds_load_b128 v[90:93], v2 offset:864
	scratch_load_b128 v[94:97], off, off offset:464
	s_wait_loadcnt_dscnt 0xa01
	v_mul_f64_e32 v[136:137], v[130:131], v[100:101]
	v_mul_f64_e32 v[100:101], v[132:133], v[100:101]
	v_add_f64_e32 v[12:13], v[12:13], v[142:143]
	v_add_f64_e32 v[4:5], v[4:5], v[138:139]
	s_wait_loadcnt_dscnt 0x900
	v_mul_f64_e32 v[138:139], v[90:91], v[104:105]
	v_mul_f64_e32 v[104:105], v[92:93], v[104:105]
	v_fmac_f64_e32 v[136:137], v[132:133], v[98:99]
	v_fma_f64 v[142:143], v[130:131], v[98:99], -v[100:101]
	scratch_load_b128 v[98:101], off, off offset:480
	ds_load_b128 v[130:133], v2 offset:880
	v_add_f64_e32 v[12:13], v[12:13], v[134:135]
	v_add_f64_e32 v[4:5], v[4:5], v[140:141]
	v_fmac_f64_e32 v[138:139], v[92:93], v[102:103]
	v_fma_f64 v[134:135], v[90:91], v[102:103], -v[104:105]
	ds_load_b128 v[90:93], v2 offset:896
	scratch_load_b128 v[102:105], off, off offset:496
	s_wait_loadcnt_dscnt 0xa01
	v_mul_f64_e32 v[140:141], v[130:131], v[108:109]
	v_mul_f64_e32 v[108:109], v[132:133], v[108:109]
	v_add_f64_e32 v[12:13], v[12:13], v[142:143]
	v_add_f64_e32 v[4:5], v[4:5], v[136:137]
	s_wait_loadcnt_dscnt 0x900
	v_mul_f64_e32 v[136:137], v[90:91], v[112:113]
	v_mul_f64_e32 v[112:113], v[92:93], v[112:113]
	v_fmac_f64_e32 v[140:141], v[132:133], v[106:107]
	v_fma_f64 v[142:143], v[130:131], v[106:107], -v[108:109]
	scratch_load_b128 v[106:109], off, off offset:512
	ds_load_b128 v[130:133], v2 offset:912
	v_add_f64_e32 v[12:13], v[12:13], v[134:135]
	v_add_f64_e32 v[4:5], v[4:5], v[138:139]
	v_fmac_f64_e32 v[136:137], v[92:93], v[110:111]
	v_fma_f64 v[134:135], v[90:91], v[110:111], -v[112:113]
	scratch_load_b128 v[90:93], off, off offset:528
	ds_load_b128 v[110:113], v2 offset:928
	s_wait_loadcnt_dscnt 0xa01
	v_mul_f64_e32 v[138:139], v[130:131], v[116:117]
	v_mul_f64_e32 v[116:117], v[132:133], v[116:117]
	v_add_f64_e32 v[12:13], v[12:13], v[142:143]
	v_add_f64_e32 v[4:5], v[4:5], v[140:141]
	s_delay_alu instid0(VALU_DEP_4) | instskip(NEXT) | instid1(VALU_DEP_4)
	v_fmac_f64_e32 v[138:139], v[132:133], v[114:115]
	v_fma_f64 v[142:143], v[130:131], v[114:115], -v[116:117]
	ds_load_b128 v[114:117], v2 offset:944
	ds_load_b128 v[130:133], v2 offset:960
	s_wait_loadcnt_dscnt 0x902
	v_mul_f64_e32 v[140:141], v[110:111], v[88:89]
	v_mul_f64_e32 v[88:89], v[112:113], v[88:89]
	v_add_f64_e32 v[12:13], v[12:13], v[134:135]
	v_add_f64_e32 v[4:5], v[4:5], v[136:137]
	s_delay_alu instid0(VALU_DEP_4) | instskip(NEXT) | instid1(VALU_DEP_4)
	v_fmac_f64_e32 v[140:141], v[112:113], v[86:87]
	v_fma_f64 v[86:87], v[110:111], v[86:87], -v[88:89]
	s_delay_alu instid0(VALU_DEP_4) | instskip(SKIP_4) | instid1(VALU_DEP_4)
	v_add_f64_e32 v[12:13], v[12:13], v[142:143]
	s_wait_loadcnt_dscnt 0x801
	v_mul_f64_e32 v[134:135], v[114:115], v[120:121]
	v_mul_f64_e32 v[88:89], v[116:117], v[120:121]
	v_add_f64_e32 v[4:5], v[4:5], v[138:139]
	v_add_f64_e32 v[12:13], v[12:13], v[86:87]
	s_wait_loadcnt_dscnt 0x700
	v_mul_f64_e32 v[120:121], v[130:131], v[84:85]
	v_mul_f64_e32 v[136:137], v[132:133], v[84:85]
	v_fmac_f64_e32 v[134:135], v[116:117], v[118:119]
	v_fma_f64 v[88:89], v[114:115], v[118:119], -v[88:89]
	v_add_f64_e32 v[4:5], v[4:5], v[140:141]
	ds_load_b128 v[84:87], v2 offset:976
	ds_load_b128 v[110:113], v2 offset:992
	s_wait_loadcnt_dscnt 0x601
	v_mul_f64_e32 v[114:115], v[84:85], v[124:125]
	v_mul_f64_e32 v[116:117], v[86:87], v[124:125]
	v_fmac_f64_e32 v[120:121], v[132:133], v[82:83]
	v_fma_f64 v[82:83], v[130:131], v[82:83], -v[136:137]
	v_add_f64_e32 v[12:13], v[12:13], v[88:89]
	v_add_f64_e32 v[4:5], v[4:5], v[134:135]
	s_wait_loadcnt_dscnt 0x500
	v_mul_f64_e32 v[88:89], v[110:111], v[10:11]
	v_mul_f64_e32 v[118:119], v[112:113], v[10:11]
	v_fmac_f64_e32 v[114:115], v[86:87], v[122:123]
	v_fma_f64 v[86:87], v[84:85], v[122:123], -v[116:117]
	v_add_f64_e32 v[116:117], v[12:13], v[82:83]
	v_add_f64_e32 v[4:5], v[4:5], v[120:121]
	ds_load_b128 v[10:13], v2 offset:1008
	ds_load_b128 v[82:85], v2 offset:1024
	s_wait_loadcnt_dscnt 0x401
	v_mul_f64_e32 v[120:121], v[10:11], v[96:97]
	v_mul_f64_e32 v[96:97], v[12:13], v[96:97]
	v_fmac_f64_e32 v[88:89], v[112:113], v[8:9]
	v_fma_f64 v[8:9], v[110:111], v[8:9], -v[118:119]
	v_add_f64_e32 v[86:87], v[116:117], v[86:87]
	v_add_f64_e32 v[4:5], v[4:5], v[114:115]
	s_wait_loadcnt_dscnt 0x300
	v_mul_f64_e32 v[110:111], v[82:83], v[100:101]
	v_mul_f64_e32 v[100:101], v[84:85], v[100:101]
	v_fmac_f64_e32 v[120:121], v[12:13], v[94:95]
	v_fma_f64 v[12:13], v[10:11], v[94:95], -v[96:97]
	v_add_f64_e32 v[94:95], v[86:87], v[8:9]
	v_add_f64_e32 v[4:5], v[4:5], v[88:89]
	ds_load_b128 v[8:11], v2 offset:1040
	ds_load_b128 v[86:89], v2 offset:1056
	v_fmac_f64_e32 v[110:111], v[84:85], v[98:99]
	s_wait_loadcnt_dscnt 0x201
	v_mul_f64_e32 v[96:97], v[8:9], v[104:105]
	v_mul_f64_e32 v[104:105], v[10:11], v[104:105]
	v_fma_f64 v[82:83], v[82:83], v[98:99], -v[100:101]
	v_add_f64_e32 v[12:13], v[94:95], v[12:13]
	v_add_f64_e32 v[4:5], v[4:5], v[120:121]
	s_wait_loadcnt_dscnt 0x100
	v_mul_f64_e32 v[84:85], v[86:87], v[108:109]
	v_mul_f64_e32 v[94:95], v[88:89], v[108:109]
	v_fmac_f64_e32 v[96:97], v[10:11], v[102:103]
	v_fma_f64 v[98:99], v[8:9], v[102:103], -v[104:105]
	ds_load_b128 v[8:11], v2 offset:1072
	v_add_f64_e32 v[12:13], v[12:13], v[82:83]
	v_add_f64_e32 v[4:5], v[4:5], v[110:111]
	s_wait_loadcnt_dscnt 0x0
	v_mul_f64_e32 v[82:83], v[8:9], v[92:93]
	v_mul_f64_e32 v[92:93], v[10:11], v[92:93]
	v_fmac_f64_e32 v[84:85], v[88:89], v[106:107]
	v_fma_f64 v[86:87], v[86:87], v[106:107], -v[94:95]
	v_add_f64_e32 v[12:13], v[12:13], v[98:99]
	v_add_f64_e32 v[4:5], v[4:5], v[96:97]
	v_fmac_f64_e32 v[82:83], v[10:11], v[90:91]
	v_fma_f64 v[8:9], v[8:9], v[90:91], -v[92:93]
	s_delay_alu instid0(VALU_DEP_4) | instskip(NEXT) | instid1(VALU_DEP_4)
	v_add_f64_e32 v[10:11], v[12:13], v[86:87]
	v_add_f64_e32 v[4:5], v[4:5], v[84:85]
	s_delay_alu instid0(VALU_DEP_2) | instskip(NEXT) | instid1(VALU_DEP_2)
	v_add_f64_e32 v[8:9], v[10:11], v[8:9]
	v_add_f64_e32 v[4:5], v[4:5], v[82:83]
	s_delay_alu instid0(VALU_DEP_2) | instskip(NEXT) | instid1(VALU_DEP_2)
	v_add_f64_e64 v[8:9], v[126:127], -v[8:9]
	v_add_f64_e64 v[10:11], v[128:129], -v[4:5]
	scratch_store_b128 off, v[8:11], off offset:32
	s_wait_xcnt 0x0
	v_cmpx_lt_u32_e32 1, v1
	s_cbranch_execz .LBB97_215
; %bb.214:
	scratch_load_b128 v[8:11], off, s18
	v_dual_mov_b32 v3, v2 :: v_dual_mov_b32 v4, v2
	v_mov_b32_e32 v5, v2
	scratch_store_b128 off, v[2:5], off offset:16
	s_wait_loadcnt 0x0
	ds_store_b128 v6, v[8:11]
.LBB97_215:
	s_wait_xcnt 0x0
	s_or_b32 exec_lo, exec_lo, s2
	s_wait_storecnt_dscnt 0x0
	s_barrier_signal -1
	s_barrier_wait -1
	s_clause 0x9
	scratch_load_b128 v[8:11], off, off offset:32
	scratch_load_b128 v[82:85], off, off offset:48
	;; [unrolled: 1-line block ×10, first 2 shown]
	ds_load_b128 v[118:121], v2 offset:576
	s_clause 0x2
	scratch_load_b128 v[122:125], off, off offset:192
	scratch_load_b128 v[126:129], off, off offset:208
	;; [unrolled: 1-line block ×3, first 2 shown]
	s_mov_b32 s2, exec_lo
	s_wait_loadcnt_dscnt 0xc00
	v_mul_f64_e32 v[4:5], v[120:121], v[10:11]
	v_mul_f64_e32 v[134:135], v[118:119], v[10:11]
	ds_load_b128 v[10:13], v2 offset:592
	v_fma_f64 v[4:5], v[118:119], v[8:9], -v[4:5]
	v_fmac_f64_e32 v[134:135], v[120:121], v[8:9]
	ds_load_b128 v[118:121], v2 offset:608
	s_wait_loadcnt_dscnt 0xb01
	v_mul_f64_e32 v[136:137], v[10:11], v[84:85]
	v_mul_f64_e32 v[84:85], v[12:13], v[84:85]
	s_wait_loadcnt_dscnt 0xa00
	v_mul_f64_e32 v[138:139], v[118:119], v[88:89]
	v_mul_f64_e32 v[88:89], v[120:121], v[88:89]
	v_add_f64_e32 v[4:5], 0, v[4:5]
	v_add_f64_e32 v[134:135], 0, v[134:135]
	v_fmac_f64_e32 v[136:137], v[12:13], v[82:83]
	v_fma_f64 v[12:13], v[10:11], v[82:83], -v[84:85]
	ds_load_b128 v[8:11], v2 offset:624
	scratch_load_b128 v[82:85], off, off offset:240
	v_fmac_f64_e32 v[138:139], v[120:121], v[86:87]
	v_fma_f64 v[142:143], v[118:119], v[86:87], -v[88:89]
	ds_load_b128 v[86:89], v2 offset:640
	s_wait_loadcnt_dscnt 0xa01
	v_mul_f64_e32 v[140:141], v[8:9], v[92:93]
	v_mul_f64_e32 v[92:93], v[10:11], v[92:93]
	scratch_load_b128 v[118:121], off, off offset:256
	v_add_f64_e32 v[4:5], v[4:5], v[12:13]
	v_add_f64_e32 v[12:13], v[134:135], v[136:137]
	s_wait_loadcnt_dscnt 0xa00
	v_mul_f64_e32 v[134:135], v[86:87], v[96:97]
	v_mul_f64_e32 v[96:97], v[88:89], v[96:97]
	v_fmac_f64_e32 v[140:141], v[10:11], v[90:91]
	v_fma_f64 v[136:137], v[8:9], v[90:91], -v[92:93]
	ds_load_b128 v[8:11], v2 offset:656
	scratch_load_b128 v[90:93], off, off offset:272
	v_add_f64_e32 v[4:5], v[4:5], v[142:143]
	v_add_f64_e32 v[12:13], v[12:13], v[138:139]
	v_fmac_f64_e32 v[134:135], v[88:89], v[94:95]
	v_fma_f64 v[142:143], v[86:87], v[94:95], -v[96:97]
	ds_load_b128 v[86:89], v2 offset:672
	s_wait_loadcnt_dscnt 0xa01
	v_mul_f64_e32 v[138:139], v[8:9], v[100:101]
	v_mul_f64_e32 v[100:101], v[10:11], v[100:101]
	scratch_load_b128 v[94:97], off, off offset:288
	v_add_f64_e32 v[4:5], v[4:5], v[136:137]
	v_add_f64_e32 v[12:13], v[12:13], v[140:141]
	s_wait_loadcnt_dscnt 0xa00
	v_mul_f64_e32 v[136:137], v[86:87], v[104:105]
	v_mul_f64_e32 v[104:105], v[88:89], v[104:105]
	v_fmac_f64_e32 v[138:139], v[10:11], v[98:99]
	v_fma_f64 v[140:141], v[8:9], v[98:99], -v[100:101]
	ds_load_b128 v[8:11], v2 offset:688
	scratch_load_b128 v[98:101], off, off offset:304
	v_add_f64_e32 v[4:5], v[4:5], v[142:143]
	v_add_f64_e32 v[12:13], v[12:13], v[134:135]
	;; [unrolled: 18-line block ×5, first 2 shown]
	s_wait_loadcnt_dscnt 0xa00
	v_mul_f64_e32 v[142:143], v[8:9], v[84:85]
	v_mul_f64_e32 v[134:135], v[10:11], v[84:85]
	v_fmac_f64_e32 v[136:137], v[88:89], v[130:131]
	v_fma_f64 v[88:89], v[86:87], v[130:131], -v[132:133]
	ds_load_b128 v[84:87], v2 offset:800
	scratch_load_b128 v[130:133], off, off offset:416
	v_add_f64_e32 v[4:5], v[4:5], v[140:141]
	v_add_f64_e32 v[12:13], v[12:13], v[138:139]
	v_fmac_f64_e32 v[142:143], v[10:11], v[82:83]
	v_fma_f64 v[82:83], v[8:9], v[82:83], -v[134:135]
	ds_load_b128 v[8:11], v2 offset:816
	s_wait_loadcnt_dscnt 0xa01
	v_mul_f64_e32 v[138:139], v[84:85], v[120:121]
	v_mul_f64_e32 v[120:121], v[86:87], v[120:121]
	s_wait_loadcnt_dscnt 0x900
	v_mul_f64_e32 v[140:141], v[8:9], v[92:93]
	v_mul_f64_e32 v[92:93], v[10:11], v[92:93]
	v_add_f64_e32 v[4:5], v[4:5], v[88:89]
	v_add_f64_e32 v[12:13], v[12:13], v[136:137]
	scratch_load_b128 v[134:137], off, off offset:432
	v_fmac_f64_e32 v[138:139], v[86:87], v[118:119]
	v_fma_f64 v[118:119], v[84:85], v[118:119], -v[120:121]
	scratch_load_b128 v[86:89], off, off offset:448
	v_fmac_f64_e32 v[140:141], v[10:11], v[90:91]
	v_add_f64_e32 v[4:5], v[4:5], v[82:83]
	v_add_f64_e32 v[12:13], v[12:13], v[142:143]
	ds_load_b128 v[82:85], v2 offset:832
	v_fma_f64 v[142:143], v[8:9], v[90:91], -v[92:93]
	ds_load_b128 v[8:11], v2 offset:848
	scratch_load_b128 v[90:93], off, off offset:464
	s_wait_loadcnt_dscnt 0xb01
	v_mul_f64_e32 v[120:121], v[82:83], v[96:97]
	v_mul_f64_e32 v[96:97], v[84:85], v[96:97]
	v_add_f64_e32 v[4:5], v[4:5], v[118:119]
	v_add_f64_e32 v[12:13], v[12:13], v[138:139]
	s_wait_loadcnt_dscnt 0xa00
	v_mul_f64_e32 v[118:119], v[8:9], v[100:101]
	v_mul_f64_e32 v[100:101], v[10:11], v[100:101]
	v_fmac_f64_e32 v[120:121], v[84:85], v[94:95]
	v_fma_f64 v[138:139], v[82:83], v[94:95], -v[96:97]
	ds_load_b128 v[82:85], v2 offset:864
	scratch_load_b128 v[94:97], off, off offset:480
	v_add_f64_e32 v[4:5], v[4:5], v[142:143]
	v_add_f64_e32 v[12:13], v[12:13], v[140:141]
	v_fmac_f64_e32 v[118:119], v[10:11], v[98:99]
	v_fma_f64 v[142:143], v[8:9], v[98:99], -v[100:101]
	ds_load_b128 v[8:11], v2 offset:880
	scratch_load_b128 v[98:101], off, off offset:496
	s_wait_loadcnt_dscnt 0xb01
	v_mul_f64_e32 v[140:141], v[82:83], v[104:105]
	v_mul_f64_e32 v[104:105], v[84:85], v[104:105]
	v_add_f64_e32 v[4:5], v[4:5], v[138:139]
	v_add_f64_e32 v[12:13], v[12:13], v[120:121]
	s_wait_loadcnt_dscnt 0xa00
	v_mul_f64_e32 v[120:121], v[8:9], v[108:109]
	v_mul_f64_e32 v[108:109], v[10:11], v[108:109]
	v_fmac_f64_e32 v[140:141], v[84:85], v[102:103]
	v_fma_f64 v[138:139], v[82:83], v[102:103], -v[104:105]
	ds_load_b128 v[82:85], v2 offset:896
	scratch_load_b128 v[102:105], off, off offset:512
	v_add_f64_e32 v[4:5], v[4:5], v[142:143]
	v_add_f64_e32 v[12:13], v[12:13], v[118:119]
	v_fmac_f64_e32 v[120:121], v[10:11], v[106:107]
	v_fma_f64 v[142:143], v[8:9], v[106:107], -v[108:109]
	ds_load_b128 v[8:11], v2 offset:912
	s_wait_loadcnt_dscnt 0xa01
	v_mul_f64_e32 v[118:119], v[82:83], v[112:113]
	v_mul_f64_e32 v[112:113], v[84:85], v[112:113]
	scratch_load_b128 v[106:109], off, off offset:528
	v_add_f64_e32 v[4:5], v[4:5], v[138:139]
	v_add_f64_e32 v[12:13], v[12:13], v[140:141]
	v_fmac_f64_e32 v[118:119], v[84:85], v[110:111]
	v_fma_f64 v[110:111], v[82:83], v[110:111], -v[112:113]
	ds_load_b128 v[82:85], v2 offset:928
	s_wait_loadcnt_dscnt 0x900
	v_mul_f64_e32 v[112:113], v[84:85], v[124:125]
	v_add_f64_e32 v[4:5], v[4:5], v[142:143]
	v_add_f64_e32 v[12:13], v[12:13], v[120:121]
	v_mul_f64_e32 v[120:121], v[82:83], v[124:125]
	s_delay_alu instid0(VALU_DEP_3) | instskip(NEXT) | instid1(VALU_DEP_3)
	v_add_f64_e32 v[4:5], v[4:5], v[110:111]
	v_add_f64_e32 v[12:13], v[12:13], v[118:119]
	s_delay_alu instid0(VALU_DEP_3)
	v_fmac_f64_e32 v[120:121], v[84:85], v[122:123]
	v_fma_f64 v[122:123], v[82:83], v[122:123], -v[112:113]
	scratch_load_b128 v[110:113], off, off offset:16
	v_mul_f64_e32 v[138:139], v[8:9], v[116:117]
	v_mul_f64_e32 v[116:117], v[10:11], v[116:117]
	ds_load_b128 v[82:85], v2 offset:960
	s_wait_loadcnt_dscnt 0x800
	v_mul_f64_e32 v[124:125], v[84:85], v[132:133]
	v_fmac_f64_e32 v[138:139], v[10:11], v[114:115]
	v_fma_f64 v[114:115], v[8:9], v[114:115], -v[116:117]
	ds_load_b128 v[8:11], v2 offset:944
	s_wait_dscnt 0x0
	v_mul_f64_e32 v[116:117], v[8:9], v[128:129]
	v_mul_f64_e32 v[118:119], v[10:11], v[128:129]
	v_fma_f64 v[124:125], v[82:83], v[130:131], -v[124:125]
	v_add_f64_e32 v[12:13], v[12:13], v[138:139]
	v_add_f64_e32 v[4:5], v[4:5], v[114:115]
	v_mul_f64_e32 v[114:115], v[82:83], v[132:133]
	v_fmac_f64_e32 v[116:117], v[10:11], v[126:127]
	v_fma_f64 v[118:119], v[8:9], v[126:127], -v[118:119]
	ds_load_b128 v[8:11], v2 offset:976
	v_add_f64_e32 v[12:13], v[12:13], v[120:121]
	v_add_f64_e32 v[4:5], v[4:5], v[122:123]
	v_fmac_f64_e32 v[114:115], v[84:85], v[130:131]
	ds_load_b128 v[82:85], v2 offset:992
	s_wait_loadcnt_dscnt 0x701
	v_mul_f64_e32 v[120:121], v[8:9], v[136:137]
	v_mul_f64_e32 v[122:123], v[10:11], v[136:137]
	v_add_f64_e32 v[12:13], v[12:13], v[116:117]
	v_add_f64_e32 v[4:5], v[4:5], v[118:119]
	s_wait_loadcnt_dscnt 0x600
	v_mul_f64_e32 v[116:117], v[82:83], v[88:89]
	v_mul_f64_e32 v[88:89], v[84:85], v[88:89]
	v_fmac_f64_e32 v[120:121], v[10:11], v[134:135]
	v_fma_f64 v[118:119], v[8:9], v[134:135], -v[122:123]
	ds_load_b128 v[8:11], v2 offset:1008
	v_add_f64_e32 v[12:13], v[12:13], v[114:115]
	v_add_f64_e32 v[4:5], v[4:5], v[124:125]
	v_fmac_f64_e32 v[116:117], v[84:85], v[86:87]
	v_fma_f64 v[86:87], v[82:83], v[86:87], -v[88:89]
	ds_load_b128 v[82:85], v2 offset:1024
	s_wait_loadcnt_dscnt 0x501
	v_mul_f64_e32 v[114:115], v[8:9], v[92:93]
	v_mul_f64_e32 v[92:93], v[10:11], v[92:93]
	s_wait_loadcnt_dscnt 0x400
	v_mul_f64_e32 v[88:89], v[82:83], v[96:97]
	v_mul_f64_e32 v[96:97], v[84:85], v[96:97]
	v_add_f64_e32 v[12:13], v[12:13], v[120:121]
	v_add_f64_e32 v[4:5], v[4:5], v[118:119]
	v_fmac_f64_e32 v[114:115], v[10:11], v[90:91]
	v_fma_f64 v[90:91], v[8:9], v[90:91], -v[92:93]
	ds_load_b128 v[8:11], v2 offset:1040
	v_fmac_f64_e32 v[88:89], v[84:85], v[94:95]
	v_fma_f64 v[94:95], v[82:83], v[94:95], -v[96:97]
	ds_load_b128 v[82:85], v2 offset:1056
	s_wait_loadcnt_dscnt 0x301
	v_mul_f64_e32 v[92:93], v[10:11], v[100:101]
	v_add_f64_e32 v[12:13], v[12:13], v[116:117]
	v_add_f64_e32 v[4:5], v[4:5], v[86:87]
	v_mul_f64_e32 v[86:87], v[8:9], v[100:101]
	s_wait_loadcnt_dscnt 0x200
	v_mul_f64_e32 v[96:97], v[84:85], v[104:105]
	v_fma_f64 v[8:9], v[8:9], v[98:99], -v[92:93]
	v_add_f64_e32 v[12:13], v[12:13], v[114:115]
	v_add_f64_e32 v[4:5], v[4:5], v[90:91]
	v_mul_f64_e32 v[90:91], v[82:83], v[104:105]
	v_fmac_f64_e32 v[86:87], v[10:11], v[98:99]
	v_fma_f64 v[82:83], v[82:83], v[102:103], -v[96:97]
	v_add_f64_e32 v[12:13], v[12:13], v[88:89]
	v_add_f64_e32 v[10:11], v[4:5], v[94:95]
	ds_load_b128 v[2:5], v2 offset:1072
	v_fmac_f64_e32 v[90:91], v[84:85], v[102:103]
	s_wait_loadcnt_dscnt 0x100
	v_mul_f64_e32 v[88:89], v[2:3], v[108:109]
	v_mul_f64_e32 v[92:93], v[4:5], v[108:109]
	v_add_f64_e32 v[8:9], v[10:11], v[8:9]
	v_add_f64_e32 v[10:11], v[12:13], v[86:87]
	s_delay_alu instid0(VALU_DEP_4) | instskip(NEXT) | instid1(VALU_DEP_4)
	v_fmac_f64_e32 v[88:89], v[4:5], v[106:107]
	v_fma_f64 v[2:3], v[2:3], v[106:107], -v[92:93]
	s_delay_alu instid0(VALU_DEP_4) | instskip(NEXT) | instid1(VALU_DEP_4)
	v_add_f64_e32 v[4:5], v[8:9], v[82:83]
	v_add_f64_e32 v[8:9], v[10:11], v[90:91]
	s_delay_alu instid0(VALU_DEP_2) | instskip(NEXT) | instid1(VALU_DEP_2)
	v_add_f64_e32 v[2:3], v[4:5], v[2:3]
	v_add_f64_e32 v[4:5], v[8:9], v[88:89]
	s_wait_loadcnt 0x0
	s_delay_alu instid0(VALU_DEP_2) | instskip(NEXT) | instid1(VALU_DEP_2)
	v_add_f64_e64 v[2:3], v[110:111], -v[2:3]
	v_add_f64_e64 v[4:5], v[112:113], -v[4:5]
	scratch_store_b128 off, v[2:5], off offset:16
	s_wait_xcnt 0x0
	v_cmpx_ne_u32_e32 0, v1
	s_cbranch_execz .LBB97_217
; %bb.216:
	scratch_load_b128 v[2:5], off, off
	v_mov_b32_e32 v8, 0
	s_delay_alu instid0(VALU_DEP_1)
	v_dual_mov_b32 v9, v8 :: v_dual_mov_b32 v10, v8
	v_mov_b32_e32 v11, v8
	scratch_store_b128 off, v[8:11], off
	s_wait_loadcnt 0x0
	ds_store_b128 v6, v[2:5]
.LBB97_217:
	s_wait_xcnt 0x0
	s_or_b32 exec_lo, exec_lo, s2
	s_wait_storecnt_dscnt 0x0
	s_barrier_signal -1
	s_barrier_wait -1
	s_clause 0x9
	scratch_load_b128 v[2:5], off, off offset:16
	scratch_load_b128 v[6:9], off, off offset:32
	;; [unrolled: 1-line block ×10, first 2 shown]
	v_mov_b32_e32 v108, 0
	s_and_b32 vcc_lo, exec_lo, s46
	ds_load_b128 v[114:117], v108 offset:560
	s_clause 0x2
	scratch_load_b128 v[118:121], off, off offset:176
	scratch_load_b128 v[122:125], off, off
	scratch_load_b128 v[130:133], off, off offset:192
	s_wait_loadcnt_dscnt 0xc00
	v_mul_f64_e32 v[106:107], v[116:117], v[4:5]
	v_mul_f64_e32 v[138:139], v[114:115], v[4:5]
	ds_load_b128 v[126:129], v108 offset:576
	ds_load_b128 v[134:137], v108 offset:592
	s_wait_loadcnt_dscnt 0xb01
	v_mul_f64_e32 v[140:141], v[126:127], v[8:9]
	v_mul_f64_e32 v[8:9], v[128:129], v[8:9]
	s_wait_loadcnt_dscnt 0xa00
	v_mul_f64_e32 v[142:143], v[134:135], v[12:13]
	v_mul_f64_e32 v[12:13], v[136:137], v[12:13]
	v_fma_f64 v[106:107], v[114:115], v[2:3], -v[106:107]
	v_fmac_f64_e32 v[138:139], v[116:117], v[2:3]
	ds_load_b128 v[2:5], v108 offset:608
	ds_load_b128 v[114:117], v108 offset:624
	v_fmac_f64_e32 v[140:141], v[128:129], v[6:7]
	v_fma_f64 v[126:127], v[126:127], v[6:7], -v[8:9]
	scratch_load_b128 v[6:9], off, off offset:208
	v_fmac_f64_e32 v[142:143], v[136:137], v[10:11]
	v_fma_f64 v[134:135], v[134:135], v[10:11], -v[12:13]
	scratch_load_b128 v[10:13], off, off offset:224
	v_add_f64_e32 v[106:107], 0, v[106:107]
	v_add_f64_e32 v[128:129], 0, v[138:139]
	s_wait_loadcnt_dscnt 0xb01
	v_mul_f64_e32 v[138:139], v[2:3], v[84:85]
	v_mul_f64_e32 v[84:85], v[4:5], v[84:85]
	s_delay_alu instid0(VALU_DEP_4) | instskip(NEXT) | instid1(VALU_DEP_4)
	v_add_f64_e32 v[106:107], v[106:107], v[126:127]
	v_add_f64_e32 v[136:137], v[128:129], v[140:141]
	s_wait_loadcnt_dscnt 0xa00
	v_mul_f64_e32 v[140:141], v[114:115], v[88:89]
	v_fmac_f64_e32 v[138:139], v[4:5], v[82:83]
	v_fma_f64 v[144:145], v[2:3], v[82:83], -v[84:85]
	v_mul_f64_e32 v[82:83], v[116:117], v[88:89]
	scratch_load_b128 v[2:5], off, off offset:240
	ds_load_b128 v[126:129], v108 offset:640
	v_add_f64_e32 v[106:107], v[106:107], v[134:135]
	v_add_f64_e32 v[134:135], v[136:137], v[142:143]
	v_fmac_f64_e32 v[140:141], v[116:117], v[86:87]
	v_fma_f64 v[142:143], v[114:115], v[86:87], -v[82:83]
	scratch_load_b128 v[82:85], off, off offset:256
	ds_load_b128 v[86:89], v108 offset:656
	s_wait_loadcnt_dscnt 0xb01
	v_mul_f64_e32 v[136:137], v[126:127], v[92:93]
	v_mul_f64_e32 v[92:93], v[128:129], v[92:93]
	ds_load_b128 v[114:117], v108 offset:672
	v_add_f64_e32 v[106:107], v[106:107], v[144:145]
	v_add_f64_e32 v[134:135], v[134:135], v[138:139]
	s_wait_loadcnt_dscnt 0xa01
	v_mul_f64_e32 v[138:139], v[86:87], v[96:97]
	v_mul_f64_e32 v[96:97], v[88:89], v[96:97]
	v_fmac_f64_e32 v[136:137], v[128:129], v[90:91]
	v_fma_f64 v[126:127], v[126:127], v[90:91], -v[92:93]
	scratch_load_b128 v[90:93], off, off offset:272
	v_add_f64_e32 v[106:107], v[106:107], v[142:143]
	v_add_f64_e32 v[128:129], v[134:135], v[140:141]
	v_fmac_f64_e32 v[138:139], v[88:89], v[94:95]
	v_fma_f64 v[140:141], v[86:87], v[94:95], -v[96:97]
	scratch_load_b128 v[86:89], off, off offset:288
	ds_load_b128 v[94:97], v108 offset:688
	s_wait_loadcnt_dscnt 0xb01
	v_mul_f64_e32 v[134:135], v[114:115], v[100:101]
	v_mul_f64_e32 v[100:101], v[116:117], v[100:101]
	s_wait_loadcnt_dscnt 0xa00
	v_mul_f64_e32 v[142:143], v[94:95], v[104:105]
	v_mul_f64_e32 v[104:105], v[96:97], v[104:105]
	v_add_f64_e32 v[106:107], v[106:107], v[126:127]
	v_add_f64_e32 v[136:137], v[128:129], v[136:137]
	ds_load_b128 v[126:129], v108 offset:704
	v_fmac_f64_e32 v[134:135], v[116:117], v[98:99]
	v_fma_f64 v[114:115], v[114:115], v[98:99], -v[100:101]
	scratch_load_b128 v[98:101], off, off offset:304
	v_fmac_f64_e32 v[142:143], v[96:97], v[102:103]
	v_add_f64_e32 v[106:107], v[106:107], v[140:141]
	v_add_f64_e32 v[116:117], v[136:137], v[138:139]
	v_fma_f64 v[140:141], v[94:95], v[102:103], -v[104:105]
	scratch_load_b128 v[94:97], off, off offset:320
	ds_load_b128 v[102:105], v108 offset:720
	s_wait_loadcnt_dscnt 0xb01
	v_mul_f64_e32 v[138:139], v[126:127], v[112:113]
	v_mul_f64_e32 v[136:137], v[128:129], v[112:113]
	s_wait_loadcnt_dscnt 0xa00
	v_mul_f64_e32 v[144:145], v[102:103], v[120:121]
	v_mul_f64_e32 v[120:121], v[104:105], v[120:121]
	v_add_f64_e32 v[106:107], v[106:107], v[114:115]
	v_add_f64_e32 v[116:117], v[116:117], v[134:135]
	scratch_load_b128 v[112:115], off, off offset:336
	v_fmac_f64_e32 v[138:139], v[128:129], v[110:111]
	v_fma_f64 v[110:111], v[126:127], v[110:111], -v[136:137]
	ds_load_b128 v[126:129], v108 offset:736
	scratch_load_b128 v[134:137], off, off offset:352
	v_fmac_f64_e32 v[144:145], v[104:105], v[118:119]
	v_fma_f64 v[120:121], v[102:103], v[118:119], -v[120:121]
	v_add_f64_e32 v[106:107], v[106:107], v[140:141]
	v_add_f64_e32 v[116:117], v[116:117], v[142:143]
	s_wait_loadcnt_dscnt 0xa00
	v_mul_f64_e32 v[140:141], v[126:127], v[132:133]
	v_mul_f64_e32 v[132:133], v[128:129], v[132:133]
	s_delay_alu instid0(VALU_DEP_4) | instskip(NEXT) | instid1(VALU_DEP_4)
	v_add_f64_e32 v[106:107], v[106:107], v[110:111]
	v_add_f64_e32 v[110:111], v[116:117], v[138:139]
	ds_load_b128 v[102:105], v108 offset:752
	ds_load_b128 v[116:119], v108 offset:768
	v_fmac_f64_e32 v[140:141], v[128:129], v[130:131]
	v_fma_f64 v[130:131], v[126:127], v[130:131], -v[132:133]
	scratch_load_b128 v[126:129], off, off offset:368
	s_wait_loadcnt_dscnt 0xa01
	v_mul_f64_e32 v[138:139], v[102:103], v[8:9]
	v_mul_f64_e32 v[8:9], v[104:105], v[8:9]
	v_add_f64_e32 v[106:107], v[106:107], v[120:121]
	v_add_f64_e32 v[110:111], v[110:111], v[144:145]
	s_wait_loadcnt_dscnt 0x900
	v_mul_f64_e32 v[120:121], v[116:117], v[12:13]
	v_mul_f64_e32 v[12:13], v[118:119], v[12:13]
	v_fmac_f64_e32 v[138:139], v[104:105], v[6:7]
	v_fma_f64 v[142:143], v[102:103], v[6:7], -v[8:9]
	scratch_load_b128 v[6:9], off, off offset:384
	v_add_f64_e32 v[106:107], v[106:107], v[130:131]
	v_add_f64_e32 v[110:111], v[110:111], v[140:141]
	ds_load_b128 v[102:105], v108 offset:784
	ds_load_b128 v[130:133], v108 offset:800
	v_fmac_f64_e32 v[120:121], v[118:119], v[10:11]
	v_fma_f64 v[116:117], v[116:117], v[10:11], -v[12:13]
	scratch_load_b128 v[10:13], off, off offset:400
	s_wait_loadcnt_dscnt 0xa01
	v_mul_f64_e32 v[140:141], v[102:103], v[4:5]
	v_mul_f64_e32 v[4:5], v[104:105], v[4:5]
	v_add_f64_e32 v[106:107], v[106:107], v[142:143]
	v_add_f64_e32 v[110:111], v[110:111], v[138:139]
	s_wait_loadcnt_dscnt 0x900
	v_mul_f64_e32 v[138:139], v[130:131], v[84:85]
	v_mul_f64_e32 v[84:85], v[132:133], v[84:85]
	v_fmac_f64_e32 v[140:141], v[104:105], v[2:3]
	v_fma_f64 v[142:143], v[102:103], v[2:3], -v[4:5]
	scratch_load_b128 v[2:5], off, off offset:416
	;; [unrolled: 18-line block ×4, first 2 shown]
	v_add_f64_e32 v[86:87], v[92:93], v[86:87]
	v_add_f64_e32 v[140:141], v[106:107], v[140:141]
	ds_load_b128 v[100:103], v108 offset:880
	ds_load_b128 v[104:107], v108 offset:896
	v_fmac_f64_e32 v[110:111], v[132:133], v[94:95]
	v_fma_f64 v[120:121], v[130:131], v[94:95], -v[120:121]
	s_clause 0x1
	scratch_load_b128 v[92:95], off, off offset:496
	scratch_load_b128 v[130:133], off, off offset:512
	s_wait_loadcnt_dscnt 0xb01
	v_mul_f64_e32 v[144:145], v[100:101], v[114:115]
	v_mul_f64_e32 v[114:115], v[102:103], v[114:115]
	v_add_f64_e32 v[86:87], v[86:87], v[142:143]
	v_add_f64_e32 v[138:139], v[140:141], v[138:139]
	s_wait_loadcnt_dscnt 0xa00
	v_mul_f64_e32 v[140:141], v[104:105], v[136:137]
	v_mul_f64_e32 v[136:137], v[106:107], v[136:137]
	v_fmac_f64_e32 v[144:145], v[102:103], v[112:113]
	v_fma_f64 v[114:115], v[100:101], v[112:113], -v[114:115]
	ds_load_b128 v[100:103], v108 offset:912
	v_add_f64_e32 v[86:87], v[86:87], v[120:121]
	v_add_f64_e32 v[120:121], v[138:139], v[110:111]
	scratch_load_b128 v[110:113], off, off offset:528
	v_fmac_f64_e32 v[140:141], v[106:107], v[134:135]
	v_fma_f64 v[134:135], v[104:105], v[134:135], -v[136:137]
	ds_load_b128 v[104:107], v108 offset:928
	s_wait_loadcnt_dscnt 0xa01
	v_mul_f64_e32 v[136:137], v[100:101], v[128:129]
	v_mul_f64_e32 v[128:129], v[102:103], v[128:129]
	v_add_f64_e32 v[86:87], v[86:87], v[114:115]
	v_add_f64_e32 v[114:115], v[120:121], v[144:145]
	s_delay_alu instid0(VALU_DEP_4) | instskip(NEXT) | instid1(VALU_DEP_4)
	v_fmac_f64_e32 v[136:137], v[102:103], v[126:127]
	v_fma_f64 v[138:139], v[100:101], v[126:127], -v[128:129]
	ds_load_b128 v[100:103], v108 offset:944
	ds_load_b128 v[126:129], v108 offset:960
	s_wait_loadcnt_dscnt 0x902
	v_mul_f64_e32 v[120:121], v[104:105], v[8:9]
	v_mul_f64_e32 v[8:9], v[106:107], v[8:9]
	v_add_f64_e32 v[86:87], v[86:87], v[134:135]
	v_add_f64_e32 v[114:115], v[114:115], v[140:141]
	s_wait_loadcnt_dscnt 0x801
	v_mul_f64_e32 v[134:135], v[100:101], v[12:13]
	v_mul_f64_e32 v[12:13], v[102:103], v[12:13]
	v_fmac_f64_e32 v[120:121], v[106:107], v[6:7]
	v_fma_f64 v[6:7], v[104:105], v[6:7], -v[8:9]
	v_add_f64_e32 v[8:9], v[86:87], v[138:139]
	v_add_f64_e32 v[86:87], v[114:115], v[136:137]
	v_fmac_f64_e32 v[134:135], v[102:103], v[10:11]
	v_fma_f64 v[12:13], v[100:101], v[10:11], -v[12:13]
	s_wait_loadcnt_dscnt 0x700
	v_mul_f64_e32 v[104:105], v[126:127], v[4:5]
	v_mul_f64_e32 v[106:107], v[128:129], v[4:5]
	v_add_f64_e32 v[100:101], v[8:9], v[6:7]
	v_add_f64_e32 v[86:87], v[86:87], v[120:121]
	ds_load_b128 v[4:7], v108 offset:976
	ds_load_b128 v[8:11], v108 offset:992
	s_wait_loadcnt_dscnt 0x601
	v_mul_f64_e32 v[102:103], v[4:5], v[84:85]
	v_mul_f64_e32 v[84:85], v[6:7], v[84:85]
	v_fmac_f64_e32 v[104:105], v[128:129], v[2:3]
	v_fma_f64 v[2:3], v[126:127], v[2:3], -v[106:107]
	v_add_f64_e32 v[12:13], v[100:101], v[12:13]
	v_add_f64_e32 v[86:87], v[86:87], v[134:135]
	v_fmac_f64_e32 v[102:103], v[6:7], v[82:83]
	v_fma_f64 v[6:7], v[4:5], v[82:83], -v[84:85]
	s_wait_loadcnt_dscnt 0x500
	v_mul_f64_e32 v[100:101], v[8:9], v[90:91]
	v_mul_f64_e32 v[90:91], v[10:11], v[90:91]
	v_add_f64_e32 v[12:13], v[12:13], v[2:3]
	v_add_f64_e32 v[86:87], v[86:87], v[104:105]
	ds_load_b128 v[2:5], v108 offset:1008
	ds_load_b128 v[82:85], v108 offset:1024
	s_wait_loadcnt_dscnt 0x401
	v_mul_f64_e32 v[104:105], v[2:3], v[118:119]
	v_mul_f64_e32 v[106:107], v[4:5], v[118:119]
	v_fmac_f64_e32 v[100:101], v[10:11], v[88:89]
	v_fma_f64 v[8:9], v[8:9], v[88:89], -v[90:91]
	v_add_f64_e32 v[6:7], v[12:13], v[6:7]
	v_add_f64_e32 v[10:11], v[86:87], v[102:103]
	v_lshl_add_u64 v[102:103], v[26:27], 4, s[4:5]
	v_lshl_add_u64 v[26:27], v[60:61], 4, s[4:5]
	v_fmac_f64_e32 v[104:105], v[4:5], v[116:117]
	v_fma_f64 v[88:89], v[2:3], v[116:117], -v[106:107]
	s_wait_loadcnt_dscnt 0x300
	v_mul_f64_e32 v[12:13], v[82:83], v[98:99]
	v_mul_f64_e32 v[86:87], v[84:85], v[98:99]
	v_lshl_add_u64 v[106:107], v[20:21], 4, s[4:5]
	v_lshl_add_u64 v[20:21], v[66:67], 4, s[4:5]
	v_add_f64_e32 v[90:91], v[6:7], v[8:9]
	v_add_f64_e32 v[10:11], v[10:11], v[100:101]
	ds_load_b128 v[2:5], v108 offset:1040
	ds_load_b128 v[6:9], v108 offset:1056
	v_lshl_add_u64 v[100:101], v[28:29], 4, s[4:5]
	v_lshl_add_u64 v[28:29], v[58:59], 4, s[4:5]
	s_wait_loadcnt_dscnt 0x201
	v_mul_f64_e32 v[98:99], v[2:3], v[94:95]
	v_mul_f64_e32 v[94:95], v[4:5], v[94:95]
	v_fmac_f64_e32 v[12:13], v[84:85], v[96:97]
	v_fma_f64 v[82:83], v[82:83], v[96:97], -v[86:87]
	s_wait_loadcnt_dscnt 0x100
	v_mul_f64_e32 v[86:87], v[6:7], v[132:133]
	v_lshl_add_u64 v[96:97], v[18:19], 4, s[4:5]
	v_lshl_add_u64 v[18:19], v[68:69], 4, s[4:5]
	v_add_f64_e32 v[84:85], v[90:91], v[88:89]
	v_add_f64_e32 v[10:11], v[10:11], v[104:105]
	v_mul_f64_e32 v[88:89], v[8:9], v[132:133]
	v_lshl_add_u64 v[104:105], v[24:25], 4, s[4:5]
	v_lshl_add_u64 v[24:25], v[62:63], 4, s[4:5]
	v_fmac_f64_e32 v[98:99], v[4:5], v[92:93]
	v_fma_f64 v[90:91], v[2:3], v[92:93], -v[94:95]
	ds_load_b128 v[2:5], v108 offset:1072
	v_lshl_add_u64 v[92:93], v[22:23], 4, s[4:5]
	v_fmac_f64_e32 v[86:87], v[8:9], v[130:131]
	v_lshl_add_u64 v[94:95], v[32:33], 4, s[4:5]
	v_lshl_add_u64 v[32:33], v[54:55], 4, s[4:5]
	;; [unrolled: 1-line block ×3, first 2 shown]
	v_add_f64_e32 v[82:83], v[84:85], v[82:83]
	v_add_f64_e32 v[10:11], v[10:11], v[12:13]
	v_fma_f64 v[6:7], v[6:7], v[130:131], -v[88:89]
	v_lshl_add_u64 v[88:89], v[36:37], 4, s[4:5]
	v_lshl_add_u64 v[36:37], v[50:51], 4, s[4:5]
	s_wait_loadcnt_dscnt 0x0
	v_mul_f64_e32 v[12:13], v[2:3], v[112:113]
	v_mul_f64_e32 v[84:85], v[4:5], v[112:113]
	v_add_f64_e32 v[8:9], v[82:83], v[90:91]
	v_add_f64_e32 v[10:11], v[10:11], v[98:99]
	v_lshl_add_u64 v[98:99], v[30:31], 4, s[4:5]
	v_lshl_add_u64 v[90:91], v[34:35], 4, s[4:5]
	;; [unrolled: 1-line block ×6, first 2 shown]
	v_fmac_f64_e32 v[12:13], v[4:5], v[110:111]
	v_fma_f64 v[2:3], v[2:3], v[110:111], -v[84:85]
	v_lshl_add_u64 v[84:85], v[40:41], 4, s[4:5]
	v_lshl_add_u64 v[40:41], v[46:47], 4, s[4:5]
	v_add_f64_e32 v[4:5], v[8:9], v[6:7]
	v_add_f64_e32 v[6:7], v[10:11], v[86:87]
	v_lshl_add_u64 v[86:87], v[38:39], 4, s[4:5]
	v_lshl_add_u64 v[38:39], v[48:49], 4, s[4:5]
	;; [unrolled: 1-line block ×4, first 2 shown]
	v_add_f64_e32 v[2:3], v[4:5], v[2:3]
	v_add_f64_e32 v[4:5], v[6:7], v[12:13]
	v_lshl_add_u64 v[12:13], v[70:71], 4, s[4:5]
	v_lshl_add_u64 v[6:7], v[76:77], 4, s[4:5]
	s_delay_alu instid0(VALU_DEP_4) | instskip(NEXT) | instid1(VALU_DEP_4)
	v_add_f64_e64 v[110:111], v[122:123], -v[2:3]
	v_add_f64_e64 v[112:113], v[124:125], -v[4:5]
	v_lshl_add_u64 v[4:5], v[78:79], 4, s[4:5]
	v_lshl_add_u64 v[2:3], v[80:81], 4, s[4:5]
	scratch_store_b128 off, v[110:113], off
	s_cbranch_vccz .LBB97_284
; %bb.218:
	global_load_b32 v44, v108, s[8:9] offset:128
	s_load_b64 s[2:3], s[0:1], 0x4
	v_bfe_u32 v45, v0, 10, 10
	v_bfe_u32 v0, v0, 20, 10
	s_wait_kmcnt 0x0
	s_lshr_b32 s0, s2, 16
	s_delay_alu instid0(VALU_DEP_2) | instskip(SKIP_1) | instid1(SALU_CYCLE_1)
	v_mul_u32_u24_e32 v45, s3, v45
	s_mul_i32 s0, s0, s3
	v_mul_u32_u24_e32 v1, s0, v1
	s_delay_alu instid0(VALU_DEP_1) | instskip(NEXT) | instid1(VALU_DEP_1)
	v_add3_u32 v0, v1, v45, v0
	v_lshl_add_u32 v0, v0, 4, 0x448
	s_wait_loadcnt 0x0
	v_cmp_ne_u32_e32 vcc_lo, 33, v44
	s_cbranch_vccz .LBB97_220
; %bb.219:
	v_lshlrev_b32_e32 v1, 4, v44
	s_clause 0x1
	scratch_load_b128 v[44:47], off, s15
	scratch_load_b128 v[48:51], v1, off offset:-16
	s_wait_loadcnt 0x1
	ds_store_2addr_b64 v0, v[44:45], v[46:47] offset1:1
	s_wait_loadcnt 0x0
	s_clause 0x1
	scratch_store_b128 off, v[48:51], s15
	scratch_store_b128 v1, v[44:47], off offset:-16
.LBB97_220:
	s_wait_xcnt 0x0
	v_mov_b32_e32 v1, 0
	global_load_b32 v44, v1, s[8:9] offset:124
	s_wait_loadcnt 0x0
	v_cmp_eq_u32_e32 vcc_lo, 32, v44
	s_cbranch_vccnz .LBB97_222
; %bb.221:
	v_lshlrev_b32_e32 v44, 4, v44
	s_delay_alu instid0(VALU_DEP_1)
	v_mov_b32_e32 v52, v44
	s_clause 0x1
	scratch_load_b128 v[44:47], off, s17
	scratch_load_b128 v[48:51], v52, off offset:-16
	s_wait_loadcnt 0x1
	ds_store_2addr_b64 v0, v[44:45], v[46:47] offset1:1
	s_wait_loadcnt 0x0
	s_clause 0x1
	scratch_store_b128 off, v[48:51], s17
	scratch_store_b128 v52, v[44:47], off offset:-16
.LBB97_222:
	global_load_b32 v1, v1, s[8:9] offset:120
	s_wait_loadcnt 0x0
	v_cmp_eq_u32_e32 vcc_lo, 31, v1
	s_cbranch_vccnz .LBB97_224
; %bb.223:
	s_wait_xcnt 0x0
	v_lshlrev_b32_e32 v1, 4, v1
	s_clause 0x1
	scratch_load_b128 v[44:47], off, s19
	scratch_load_b128 v[48:51], v1, off offset:-16
	s_wait_loadcnt 0x1
	ds_store_2addr_b64 v0, v[44:45], v[46:47] offset1:1
	s_wait_loadcnt 0x0
	s_clause 0x1
	scratch_store_b128 off, v[48:51], s19
	scratch_store_b128 v1, v[44:47], off offset:-16
.LBB97_224:
	s_wait_xcnt 0x0
	v_mov_b32_e32 v1, 0
	global_load_b32 v44, v1, s[8:9] offset:116
	s_wait_loadcnt 0x0
	v_cmp_eq_u32_e32 vcc_lo, 30, v44
	s_cbranch_vccnz .LBB97_226
; %bb.225:
	v_lshlrev_b32_e32 v44, 4, v44
	s_delay_alu instid0(VALU_DEP_1)
	v_mov_b32_e32 v52, v44
	s_clause 0x1
	scratch_load_b128 v[44:47], off, s20
	scratch_load_b128 v[48:51], v52, off offset:-16
	s_wait_loadcnt 0x1
	ds_store_2addr_b64 v0, v[44:45], v[46:47] offset1:1
	s_wait_loadcnt 0x0
	s_clause 0x1
	scratch_store_b128 off, v[48:51], s20
	scratch_store_b128 v52, v[44:47], off offset:-16
.LBB97_226:
	global_load_b32 v1, v1, s[8:9] offset:112
	s_wait_loadcnt 0x0
	v_cmp_eq_u32_e32 vcc_lo, 29, v1
	s_cbranch_vccnz .LBB97_228
; %bb.227:
	s_wait_xcnt 0x0
	v_lshlrev_b32_e32 v1, 4, v1
	s_clause 0x1
	scratch_load_b128 v[44:47], off, s21
	scratch_load_b128 v[48:51], v1, off offset:-16
	s_wait_loadcnt 0x1
	ds_store_2addr_b64 v0, v[44:45], v[46:47] offset1:1
	s_wait_loadcnt 0x0
	s_clause 0x1
	scratch_store_b128 off, v[48:51], s21
	scratch_store_b128 v1, v[44:47], off offset:-16
.LBB97_228:
	;; [unrolled: 37-line block ×15, first 2 shown]
	s_wait_xcnt 0x0
	v_mov_b32_e32 v1, 0
	global_load_b32 v44, v1, s[8:9] offset:4
	s_wait_loadcnt 0x0
	v_cmp_eq_u32_e32 vcc_lo, 2, v44
	s_cbranch_vccnz .LBB97_282
; %bb.281:
	v_lshlrev_b32_e32 v44, 4, v44
	s_delay_alu instid0(VALU_DEP_1)
	v_mov_b32_e32 v52, v44
	s_clause 0x1
	scratch_load_b128 v[44:47], off, s18
	scratch_load_b128 v[48:51], v52, off offset:-16
	s_wait_loadcnt 0x1
	ds_store_2addr_b64 v0, v[44:45], v[46:47] offset1:1
	s_wait_loadcnt 0x0
	s_clause 0x1
	scratch_store_b128 off, v[48:51], s18
	scratch_store_b128 v52, v[44:47], off offset:-16
.LBB97_282:
	global_load_b32 v1, v1, s[8:9]
	s_wait_loadcnt 0x0
	v_cmp_eq_u32_e32 vcc_lo, 1, v1
	s_cbranch_vccnz .LBB97_284
; %bb.283:
	s_wait_xcnt 0x0
	v_lshlrev_b32_e32 v1, 4, v1
	scratch_load_b128 v[44:47], off, off
	scratch_load_b128 v[48:51], v1, off offset:-16
	s_wait_loadcnt 0x1
	ds_store_2addr_b64 v0, v[44:45], v[46:47] offset1:1
	s_wait_loadcnt 0x0
	scratch_store_b128 off, v[48:51], off
	scratch_store_b128 v1, v[44:47], off offset:-16
.LBB97_284:
	scratch_load_b128 v[44:47], off, off
	s_wait_loadcnt 0x0
	flat_store_b128 v[14:15], v[44:47]
	scratch_load_b128 v[44:47], off, s18
	s_wait_loadcnt 0x0
	flat_store_b128 v[16:17], v[44:47]
	scratch_load_b128 v[14:17], off, s16
	;; [unrolled: 3-line block ×33, first 2 shown]
	s_wait_loadcnt 0x0
	flat_store_b128 v[2:3], v[4:7]
	s_sendmsg sendmsg(MSG_DEALLOC_VGPRS)
	s_endpgm
	.section	.rodata,"a",@progbits
	.p2align	6, 0x0
	.amdhsa_kernel _ZN9rocsolver6v33100L18getri_kernel_smallILi34E19rocblas_complex_numIdEPKPS3_EEvT1_iilPiilS8_bb
		.amdhsa_group_segment_fixed_size 2120
		.amdhsa_private_segment_fixed_size 560
		.amdhsa_kernarg_size 60
		.amdhsa_user_sgpr_count 4
		.amdhsa_user_sgpr_dispatch_ptr 1
		.amdhsa_user_sgpr_queue_ptr 0
		.amdhsa_user_sgpr_kernarg_segment_ptr 1
		.amdhsa_user_sgpr_dispatch_id 0
		.amdhsa_user_sgpr_kernarg_preload_length 0
		.amdhsa_user_sgpr_kernarg_preload_offset 0
		.amdhsa_user_sgpr_private_segment_size 0
		.amdhsa_wavefront_size32 1
		.amdhsa_uses_dynamic_stack 0
		.amdhsa_enable_private_segment 1
		.amdhsa_system_sgpr_workgroup_id_x 1
		.amdhsa_system_sgpr_workgroup_id_y 0
		.amdhsa_system_sgpr_workgroup_id_z 0
		.amdhsa_system_sgpr_workgroup_info 0
		.amdhsa_system_vgpr_workitem_id 2
		.amdhsa_next_free_vgpr 150
		.amdhsa_next_free_sgpr 61
		.amdhsa_named_barrier_count 0
		.amdhsa_reserve_vcc 1
		.amdhsa_float_round_mode_32 0
		.amdhsa_float_round_mode_16_64 0
		.amdhsa_float_denorm_mode_32 3
		.amdhsa_float_denorm_mode_16_64 3
		.amdhsa_fp16_overflow 0
		.amdhsa_memory_ordered 1
		.amdhsa_forward_progress 1
		.amdhsa_inst_pref_size 255
		.amdhsa_round_robin_scheduling 0
		.amdhsa_exception_fp_ieee_invalid_op 0
		.amdhsa_exception_fp_denorm_src 0
		.amdhsa_exception_fp_ieee_div_zero 0
		.amdhsa_exception_fp_ieee_overflow 0
		.amdhsa_exception_fp_ieee_underflow 0
		.amdhsa_exception_fp_ieee_inexact 0
		.amdhsa_exception_int_div_zero 0
	.end_amdhsa_kernel
	.section	.text._ZN9rocsolver6v33100L18getri_kernel_smallILi34E19rocblas_complex_numIdEPKPS3_EEvT1_iilPiilS8_bb,"axG",@progbits,_ZN9rocsolver6v33100L18getri_kernel_smallILi34E19rocblas_complex_numIdEPKPS3_EEvT1_iilPiilS8_bb,comdat
.Lfunc_end97:
	.size	_ZN9rocsolver6v33100L18getri_kernel_smallILi34E19rocblas_complex_numIdEPKPS3_EEvT1_iilPiilS8_bb, .Lfunc_end97-_ZN9rocsolver6v33100L18getri_kernel_smallILi34E19rocblas_complex_numIdEPKPS3_EEvT1_iilPiilS8_bb
                                        ; -- End function
	.set _ZN9rocsolver6v33100L18getri_kernel_smallILi34E19rocblas_complex_numIdEPKPS3_EEvT1_iilPiilS8_bb.num_vgpr, 150
	.set _ZN9rocsolver6v33100L18getri_kernel_smallILi34E19rocblas_complex_numIdEPKPS3_EEvT1_iilPiilS8_bb.num_agpr, 0
	.set _ZN9rocsolver6v33100L18getri_kernel_smallILi34E19rocblas_complex_numIdEPKPS3_EEvT1_iilPiilS8_bb.numbered_sgpr, 61
	.set _ZN9rocsolver6v33100L18getri_kernel_smallILi34E19rocblas_complex_numIdEPKPS3_EEvT1_iilPiilS8_bb.num_named_barrier, 0
	.set _ZN9rocsolver6v33100L18getri_kernel_smallILi34E19rocblas_complex_numIdEPKPS3_EEvT1_iilPiilS8_bb.private_seg_size, 560
	.set _ZN9rocsolver6v33100L18getri_kernel_smallILi34E19rocblas_complex_numIdEPKPS3_EEvT1_iilPiilS8_bb.uses_vcc, 1
	.set _ZN9rocsolver6v33100L18getri_kernel_smallILi34E19rocblas_complex_numIdEPKPS3_EEvT1_iilPiilS8_bb.uses_flat_scratch, 1
	.set _ZN9rocsolver6v33100L18getri_kernel_smallILi34E19rocblas_complex_numIdEPKPS3_EEvT1_iilPiilS8_bb.has_dyn_sized_stack, 0
	.set _ZN9rocsolver6v33100L18getri_kernel_smallILi34E19rocblas_complex_numIdEPKPS3_EEvT1_iilPiilS8_bb.has_recursion, 0
	.set _ZN9rocsolver6v33100L18getri_kernel_smallILi34E19rocblas_complex_numIdEPKPS3_EEvT1_iilPiilS8_bb.has_indirect_call, 0
	.section	.AMDGPU.csdata,"",@progbits
; Kernel info:
; codeLenInByte = 50480
; TotalNumSgprs: 63
; NumVgprs: 150
; ScratchSize: 560
; MemoryBound: 0
; FloatMode: 240
; IeeeMode: 1
; LDSByteSize: 2120 bytes/workgroup (compile time only)
; SGPRBlocks: 0
; VGPRBlocks: 9
; NumSGPRsForWavesPerEU: 63
; NumVGPRsForWavesPerEU: 150
; NamedBarCnt: 0
; Occupancy: 6
; WaveLimiterHint : 1
; COMPUTE_PGM_RSRC2:SCRATCH_EN: 1
; COMPUTE_PGM_RSRC2:USER_SGPR: 4
; COMPUTE_PGM_RSRC2:TRAP_HANDLER: 0
; COMPUTE_PGM_RSRC2:TGID_X_EN: 1
; COMPUTE_PGM_RSRC2:TGID_Y_EN: 0
; COMPUTE_PGM_RSRC2:TGID_Z_EN: 0
; COMPUTE_PGM_RSRC2:TIDIG_COMP_CNT: 2
	.section	.text._ZN9rocsolver6v33100L18getri_kernel_smallILi35E19rocblas_complex_numIdEPKPS3_EEvT1_iilPiilS8_bb,"axG",@progbits,_ZN9rocsolver6v33100L18getri_kernel_smallILi35E19rocblas_complex_numIdEPKPS3_EEvT1_iilPiilS8_bb,comdat
	.globl	_ZN9rocsolver6v33100L18getri_kernel_smallILi35E19rocblas_complex_numIdEPKPS3_EEvT1_iilPiilS8_bb ; -- Begin function _ZN9rocsolver6v33100L18getri_kernel_smallILi35E19rocblas_complex_numIdEPKPS3_EEvT1_iilPiilS8_bb
	.p2align	8
	.type	_ZN9rocsolver6v33100L18getri_kernel_smallILi35E19rocblas_complex_numIdEPKPS3_EEvT1_iilPiilS8_bb,@function
_ZN9rocsolver6v33100L18getri_kernel_smallILi35E19rocblas_complex_numIdEPKPS3_EEvT1_iilPiilS8_bb: ; @_ZN9rocsolver6v33100L18getri_kernel_smallILi35E19rocblas_complex_numIdEPKPS3_EEvT1_iilPiilS8_bb
; %bb.0:
	v_and_b32_e32 v1, 0x3ff, v0
	s_mov_b32 s4, exec_lo
	s_delay_alu instid0(VALU_DEP_1)
	v_cmpx_gt_u32_e32 35, v1
	s_cbranch_execz .LBB98_154
; %bb.1:
	s_clause 0x1
	s_load_b32 s16, s[2:3], 0x38
	s_load_b64 s[8:9], s[2:3], 0x0
	s_getreg_b32 s6, hwreg(HW_REG_IB_STS2, 6, 4)
	s_wait_kmcnt 0x0
	s_bitcmp1_b32 s16, 8
	s_cselect_b32 s47, -1, 0
	s_bfe_u32 s4, ttmp6, 0x4000c
	s_and_b32 s5, ttmp6, 15
	s_add_co_i32 s4, s4, 1
	s_delay_alu instid0(SALU_CYCLE_1) | instskip(NEXT) | instid1(SALU_CYCLE_1)
	s_mul_i32 s4, ttmp9, s4
	s_add_co_i32 s5, s5, s4
	s_cmp_eq_u32 s6, 0
	s_cselect_b32 s10, ttmp9, s5
	s_load_b128 s[4:7], s[2:3], 0x28
	s_ashr_i32 s11, s10, 31
	s_delay_alu instid0(SALU_CYCLE_1) | instskip(NEXT) | instid1(SALU_CYCLE_1)
	s_lshl_b64 s[12:13], s[10:11], 3
	s_add_nc_u64 s[8:9], s[8:9], s[12:13]
	s_load_b64 s[14:15], s[8:9], 0x0
	s_wait_xcnt 0x0
	s_bfe_u32 s8, s16, 0x10008
	s_delay_alu instid0(SALU_CYCLE_1)
	s_cmp_eq_u32 s8, 0
                                        ; implicit-def: $sgpr8_sgpr9
	s_cbranch_scc1 .LBB98_3
; %bb.2:
	s_load_b96 s[16:18], s[2:3], 0x18
	s_wait_kmcnt 0x0
	s_mul_u64 s[4:5], s[4:5], s[10:11]
	s_delay_alu instid0(SALU_CYCLE_1) | instskip(SKIP_4) | instid1(SALU_CYCLE_1)
	s_lshl_b64 s[4:5], s[4:5], 2
	s_ashr_i32 s9, s18, 31
	s_mov_b32 s8, s18
	s_add_nc_u64 s[4:5], s[16:17], s[4:5]
	s_lshl_b64 s[8:9], s[8:9], 2
	s_add_nc_u64 s[8:9], s[4:5], s[8:9]
.LBB98_3:
	s_clause 0x1
	s_load_b64 s[12:13], s[2:3], 0x8
	s_load_b32 s48, s[2:3], 0x38
	v_dual_mov_b32 v85, 0 :: v_dual_lshlrev_b32 v84, 4, v1
	s_movk_i32 s49, 0x150
	s_movk_i32 s50, 0x160
	;; [unrolled: 1-line block ×14, first 2 shown]
	s_mov_b32 s18, 16
	s_mov_b32 s16, 32
	s_wait_kmcnt 0x0
	s_ashr_i32 s3, s12, 31
	s_mov_b32 s2, s12
	v_add3_u32 v18, s13, s13, v1
	s_lshl_b64 s[2:3], s[2:3], 4
	s_mov_b32 s12, 64
	s_add_nc_u64 s[4:5], s[14:15], s[2:3]
	s_ashr_i32 s3, s13, 31
	flat_load_b128 v[2:5], v1, s[4:5] scale_offset
	v_add_nc_u64_e32 v[14:15], s[4:5], v[84:85]
	s_mov_b32 s2, s13
	v_add_nc_u32_e32 v20, s13, v18
	s_mov_b32 s14, 48
	s_movk_i32 s46, 0x50
	s_movk_i32 s45, 0x60
	;; [unrolled: 1-line block ×3, first 2 shown]
	v_lshl_add_u64 v[16:17], s[2:3], 4, v[14:15]
	v_add_nc_u32_e32 v24, s13, v20
	s_movk_i32 s43, 0x80
	s_movk_i32 s42, 0x90
	s_movk_i32 s41, 0xa0
	s_movk_i32 s40, 0xb0
	v_add_nc_u32_e32 v22, s13, v24
	s_movk_i32 s39, 0xc0
	s_movk_i32 s38, 0xd0
	s_movk_i32 s37, 0xe0
	s_movk_i32 s36, 0xf0
	;; [unrolled: 5-line block ×3, first 2 shown]
	v_add_nc_u32_e32 v28, s13, v26
	s_movk_i32 s30, 0x140
	s_mov_b32 s29, s49
	s_mov_b32 s28, s50
	s_mov_b32 s27, s51
	v_add_nc_u32_e32 v30, s13, v28
	s_mov_b32 s26, s52
	s_mov_b32 s25, s53
	s_mov_b32 s24, s54
	s_mov_b32 s23, s55
	v_add_nc_u32_e32 v32, s13, v30
	s_mov_b32 s22, s56
	s_mov_b32 s21, s57
	s_mov_b32 s20, s58
	s_mov_b32 s19, s59
	v_add_nc_u32_e32 v34, s13, v32
	s_mov_b32 s17, s60
	s_mov_b32 s15, s61
	s_bitcmp0_b32 s48, 0
	s_mov_b32 s3, -1
	v_add_nc_u32_e32 v36, s13, v34
	s_delay_alu instid0(VALU_DEP_1) | instskip(NEXT) | instid1(VALU_DEP_1)
	v_add_nc_u32_e32 v38, s13, v36
	v_add_nc_u32_e32 v40, s13, v38
	s_delay_alu instid0(VALU_DEP_1) | instskip(NEXT) | instid1(VALU_DEP_1)
	v_add_nc_u32_e32 v42, s13, v40
	;; [unrolled: 3-line block ×11, first 2 shown]
	v_add_nc_u32_e32 v80, s13, v78
	s_delay_alu instid0(VALU_DEP_1)
	v_add_nc_u32_e32 v82, s13, v80
	s_mov_b32 s13, s62
	s_wait_loadcnt_dscnt 0x0
	scratch_store_b128 off, v[2:5], off
	flat_load_b128 v[2:5], v[16:17]
	s_wait_loadcnt_dscnt 0x0
	scratch_store_b128 off, v[2:5], off offset:16
	flat_load_b128 v[2:5], v18, s[4:5] scale_offset
	s_wait_loadcnt_dscnt 0x0
	scratch_store_b128 off, v[2:5], off offset:32
	flat_load_b128 v[2:5], v20, s[4:5] scale_offset
	;; [unrolled: 3-line block ×33, first 2 shown]
	s_wait_loadcnt_dscnt 0x0
	scratch_store_b128 off, v[2:5], off offset:544
	s_cbranch_scc1 .LBB98_152
; %bb.4:
	v_cmp_eq_u32_e64 s2, 0, v1
	s_wait_xcnt 0x0
	s_and_saveexec_b32 s3, s2
; %bb.5:
	v_mov_b32_e32 v2, 0
	ds_store_b32 v2, v2 offset:1120
; %bb.6:
	s_or_b32 exec_lo, exec_lo, s3
	s_wait_storecnt_dscnt 0x0
	s_barrier_signal -1
	s_barrier_wait -1
	scratch_load_b128 v[2:5], v1, off scale_offset
	s_wait_loadcnt 0x0
	v_cmp_eq_f64_e32 vcc_lo, 0, v[2:3]
	v_cmp_eq_f64_e64 s3, 0, v[4:5]
	s_and_b32 s3, vcc_lo, s3
	s_delay_alu instid0(SALU_CYCLE_1)
	s_and_saveexec_b32 s48, s3
	s_cbranch_execz .LBB98_10
; %bb.7:
	v_mov_b32_e32 v2, 0
	s_mov_b32 s49, 0
	ds_load_b32 v3, v2 offset:1120
	s_wait_dscnt 0x0
	v_readfirstlane_b32 s3, v3
	v_add_nc_u32_e32 v3, 1, v1
	s_cmp_eq_u32 s3, 0
	s_delay_alu instid0(VALU_DEP_1) | instskip(SKIP_1) | instid1(SALU_CYCLE_1)
	v_cmp_gt_i32_e32 vcc_lo, s3, v3
	s_cselect_b32 s50, -1, 0
	s_or_b32 s50, s50, vcc_lo
	s_delay_alu instid0(SALU_CYCLE_1)
	s_and_b32 exec_lo, exec_lo, s50
	s_cbranch_execz .LBB98_10
; %bb.8:
	v_mov_b32_e32 v4, s3
.LBB98_9:                               ; =>This Inner Loop Header: Depth=1
	ds_cmpstore_rtn_b32 v4, v2, v3, v4 offset:1120
	s_wait_dscnt 0x0
	v_cmp_ne_u32_e32 vcc_lo, 0, v4
	v_cmp_le_i32_e64 s3, v4, v3
	s_and_b32 s3, vcc_lo, s3
	s_delay_alu instid0(SALU_CYCLE_1) | instskip(NEXT) | instid1(SALU_CYCLE_1)
	s_and_b32 s3, exec_lo, s3
	s_or_b32 s49, s3, s49
	s_delay_alu instid0(SALU_CYCLE_1)
	s_and_not1_b32 exec_lo, exec_lo, s49
	s_cbranch_execnz .LBB98_9
.LBB98_10:
	s_or_b32 exec_lo, exec_lo, s48
	v_mov_b32_e32 v2, 0
	s_barrier_signal -1
	s_barrier_wait -1
	ds_load_b32 v3, v2 offset:1120
	s_and_saveexec_b32 s3, s2
	s_cbranch_execz .LBB98_12
; %bb.11:
	s_lshl_b64 s[48:49], s[10:11], 2
	s_delay_alu instid0(SALU_CYCLE_1)
	s_add_nc_u64 s[48:49], s[6:7], s[48:49]
	s_wait_dscnt 0x0
	global_store_b32 v2, v3, s[48:49]
.LBB98_12:
	s_wait_xcnt 0x0
	s_or_b32 exec_lo, exec_lo, s3
	s_wait_dscnt 0x0
	v_cmp_ne_u32_e32 vcc_lo, 0, v3
	s_mov_b32 s3, 0
	s_cbranch_vccnz .LBB98_152
; %bb.13:
	v_lshl_add_u32 v19, v1, 4, 0
                                        ; implicit-def: $vgpr6_vgpr7
                                        ; implicit-def: $vgpr10_vgpr11
	scratch_load_b128 v[2:5], v19, off
	s_wait_loadcnt 0x0
	v_cmp_ngt_f64_e64 s3, |v[2:3]|, |v[4:5]|
	s_wait_xcnt 0x0
	s_and_saveexec_b32 s48, s3
	s_delay_alu instid0(SALU_CYCLE_1)
	s_xor_b32 s3, exec_lo, s48
	s_cbranch_execz .LBB98_15
; %bb.14:
	v_div_scale_f64 v[6:7], null, v[4:5], v[4:5], v[2:3]
	v_div_scale_f64 v[12:13], vcc_lo, v[2:3], v[4:5], v[2:3]
	s_delay_alu instid0(VALU_DEP_2) | instskip(SKIP_1) | instid1(TRANS32_DEP_1)
	v_rcp_f64_e32 v[8:9], v[6:7]
	v_nop
	v_fma_f64 v[10:11], -v[6:7], v[8:9], 1.0
	s_delay_alu instid0(VALU_DEP_1) | instskip(NEXT) | instid1(VALU_DEP_1)
	v_fmac_f64_e32 v[8:9], v[8:9], v[10:11]
	v_fma_f64 v[10:11], -v[6:7], v[8:9], 1.0
	s_delay_alu instid0(VALU_DEP_1) | instskip(NEXT) | instid1(VALU_DEP_1)
	v_fmac_f64_e32 v[8:9], v[8:9], v[10:11]
	v_mul_f64_e32 v[10:11], v[12:13], v[8:9]
	s_delay_alu instid0(VALU_DEP_1) | instskip(NEXT) | instid1(VALU_DEP_1)
	v_fma_f64 v[6:7], -v[6:7], v[10:11], v[12:13]
	v_div_fmas_f64 v[6:7], v[6:7], v[8:9], v[10:11]
	s_delay_alu instid0(VALU_DEP_1) | instskip(NEXT) | instid1(VALU_DEP_1)
	v_div_fixup_f64 v[6:7], v[6:7], v[4:5], v[2:3]
	v_fmac_f64_e32 v[4:5], v[2:3], v[6:7]
	s_delay_alu instid0(VALU_DEP_1) | instskip(SKIP_1) | instid1(VALU_DEP_2)
	v_div_scale_f64 v[2:3], null, v[4:5], v[4:5], 1.0
	v_div_scale_f64 v[12:13], vcc_lo, 1.0, v[4:5], 1.0
	v_rcp_f64_e32 v[8:9], v[2:3]
	v_nop
	s_delay_alu instid0(TRANS32_DEP_1) | instskip(NEXT) | instid1(VALU_DEP_1)
	v_fma_f64 v[10:11], -v[2:3], v[8:9], 1.0
	v_fmac_f64_e32 v[8:9], v[8:9], v[10:11]
	s_delay_alu instid0(VALU_DEP_1) | instskip(NEXT) | instid1(VALU_DEP_1)
	v_fma_f64 v[10:11], -v[2:3], v[8:9], 1.0
	v_fmac_f64_e32 v[8:9], v[8:9], v[10:11]
	s_delay_alu instid0(VALU_DEP_1) | instskip(NEXT) | instid1(VALU_DEP_1)
	v_mul_f64_e32 v[10:11], v[12:13], v[8:9]
	v_fma_f64 v[2:3], -v[2:3], v[10:11], v[12:13]
	s_delay_alu instid0(VALU_DEP_1) | instskip(NEXT) | instid1(VALU_DEP_1)
	v_div_fmas_f64 v[2:3], v[2:3], v[8:9], v[10:11]
	v_div_fixup_f64 v[8:9], v[2:3], v[4:5], 1.0
                                        ; implicit-def: $vgpr2_vgpr3
	s_delay_alu instid0(VALU_DEP_1) | instskip(SKIP_1) | instid1(VALU_DEP_2)
	v_mul_f64_e32 v[6:7], v[6:7], v[8:9]
	v_xor_b32_e32 v9, 0x80000000, v9
	v_xor_b32_e32 v11, 0x80000000, v7
	s_delay_alu instid0(VALU_DEP_3)
	v_mov_b32_e32 v10, v6
.LBB98_15:
	s_and_not1_saveexec_b32 s3, s3
	s_cbranch_execz .LBB98_17
; %bb.16:
	v_div_scale_f64 v[6:7], null, v[2:3], v[2:3], v[4:5]
	v_div_scale_f64 v[12:13], vcc_lo, v[4:5], v[2:3], v[4:5]
	s_delay_alu instid0(VALU_DEP_2) | instskip(SKIP_1) | instid1(TRANS32_DEP_1)
	v_rcp_f64_e32 v[8:9], v[6:7]
	v_nop
	v_fma_f64 v[10:11], -v[6:7], v[8:9], 1.0
	s_delay_alu instid0(VALU_DEP_1) | instskip(NEXT) | instid1(VALU_DEP_1)
	v_fmac_f64_e32 v[8:9], v[8:9], v[10:11]
	v_fma_f64 v[10:11], -v[6:7], v[8:9], 1.0
	s_delay_alu instid0(VALU_DEP_1) | instskip(NEXT) | instid1(VALU_DEP_1)
	v_fmac_f64_e32 v[8:9], v[8:9], v[10:11]
	v_mul_f64_e32 v[10:11], v[12:13], v[8:9]
	s_delay_alu instid0(VALU_DEP_1) | instskip(NEXT) | instid1(VALU_DEP_1)
	v_fma_f64 v[6:7], -v[6:7], v[10:11], v[12:13]
	v_div_fmas_f64 v[6:7], v[6:7], v[8:9], v[10:11]
	s_delay_alu instid0(VALU_DEP_1) | instskip(NEXT) | instid1(VALU_DEP_1)
	v_div_fixup_f64 v[8:9], v[6:7], v[2:3], v[4:5]
	v_fmac_f64_e32 v[2:3], v[4:5], v[8:9]
	s_delay_alu instid0(VALU_DEP_1) | instskip(NEXT) | instid1(VALU_DEP_1)
	v_div_scale_f64 v[4:5], null, v[2:3], v[2:3], 1.0
	v_rcp_f64_e32 v[6:7], v[4:5]
	v_nop
	s_delay_alu instid0(TRANS32_DEP_1) | instskip(NEXT) | instid1(VALU_DEP_1)
	v_fma_f64 v[10:11], -v[4:5], v[6:7], 1.0
	v_fmac_f64_e32 v[6:7], v[6:7], v[10:11]
	s_delay_alu instid0(VALU_DEP_1) | instskip(NEXT) | instid1(VALU_DEP_1)
	v_fma_f64 v[10:11], -v[4:5], v[6:7], 1.0
	v_fmac_f64_e32 v[6:7], v[6:7], v[10:11]
	v_div_scale_f64 v[10:11], vcc_lo, 1.0, v[2:3], 1.0
	s_delay_alu instid0(VALU_DEP_1) | instskip(NEXT) | instid1(VALU_DEP_1)
	v_mul_f64_e32 v[12:13], v[10:11], v[6:7]
	v_fma_f64 v[4:5], -v[4:5], v[12:13], v[10:11]
	s_delay_alu instid0(VALU_DEP_1) | instskip(NEXT) | instid1(VALU_DEP_1)
	v_div_fmas_f64 v[4:5], v[4:5], v[6:7], v[12:13]
	v_div_fixup_f64 v[6:7], v[4:5], v[2:3], 1.0
	s_delay_alu instid0(VALU_DEP_1)
	v_mul_f64_e64 v[8:9], v[8:9], -v[6:7]
	v_xor_b32_e32 v11, 0x80000000, v7
	v_mov_b32_e32 v10, v6
.LBB98_17:
	s_or_b32 exec_lo, exec_lo, s3
	s_clause 0x1
	scratch_store_b128 v19, v[6:9], off
	scratch_load_b128 v[2:5], off, s18
	v_xor_b32_e32 v13, 0x80000000, v9
	v_mov_b32_e32 v12, v8
	s_wait_xcnt 0x1
	v_add_nc_u32_e32 v6, 0x230, v84
	ds_store_b128 v84, v[10:13]
	s_wait_loadcnt 0x0
	ds_store_b128 v84, v[2:5] offset:560
	s_wait_storecnt_dscnt 0x0
	s_barrier_signal -1
	s_barrier_wait -1
	s_wait_xcnt 0x0
	s_and_saveexec_b32 s3, s2
	s_cbranch_execz .LBB98_19
; %bb.18:
	scratch_load_b128 v[2:5], v19, off
	ds_load_b128 v[8:11], v6
	v_mov_b32_e32 v7, 0
	ds_load_b128 v[86:89], v7 offset:16
	s_wait_loadcnt_dscnt 0x1
	v_mul_f64_e32 v[12:13], v[8:9], v[4:5]
	v_mul_f64_e32 v[4:5], v[10:11], v[4:5]
	s_delay_alu instid0(VALU_DEP_2) | instskip(NEXT) | instid1(VALU_DEP_2)
	v_fmac_f64_e32 v[12:13], v[10:11], v[2:3]
	v_fma_f64 v[2:3], v[8:9], v[2:3], -v[4:5]
	s_delay_alu instid0(VALU_DEP_2) | instskip(NEXT) | instid1(VALU_DEP_2)
	v_add_f64_e32 v[8:9], 0, v[12:13]
	v_add_f64_e32 v[2:3], 0, v[2:3]
	s_wait_dscnt 0x0
	s_delay_alu instid0(VALU_DEP_2) | instskip(NEXT) | instid1(VALU_DEP_2)
	v_mul_f64_e32 v[10:11], v[8:9], v[88:89]
	v_mul_f64_e32 v[4:5], v[2:3], v[88:89]
	s_delay_alu instid0(VALU_DEP_2) | instskip(NEXT) | instid1(VALU_DEP_2)
	v_fma_f64 v[2:3], v[2:3], v[86:87], -v[10:11]
	v_fmac_f64_e32 v[4:5], v[8:9], v[86:87]
	scratch_store_b128 off, v[2:5], off offset:16
.LBB98_19:
	s_wait_xcnt 0x0
	s_or_b32 exec_lo, exec_lo, s3
	s_wait_storecnt 0x0
	s_barrier_signal -1
	s_barrier_wait -1
	scratch_load_b128 v[2:5], off, s16
	s_mov_b32 s3, exec_lo
	s_wait_loadcnt 0x0
	ds_store_b128 v6, v[2:5]
	s_wait_dscnt 0x0
	s_barrier_signal -1
	s_barrier_wait -1
	v_cmpx_gt_u32_e32 2, v1
	s_cbranch_execz .LBB98_23
; %bb.20:
	scratch_load_b128 v[2:5], v19, off
	ds_load_b128 v[8:11], v6
	s_wait_loadcnt_dscnt 0x0
	v_mul_f64_e32 v[12:13], v[10:11], v[4:5]
	v_mul_f64_e32 v[86:87], v[8:9], v[4:5]
	s_delay_alu instid0(VALU_DEP_2) | instskip(NEXT) | instid1(VALU_DEP_2)
	v_fma_f64 v[4:5], v[8:9], v[2:3], -v[12:13]
	v_fmac_f64_e32 v[86:87], v[10:11], v[2:3]
	s_delay_alu instid0(VALU_DEP_2) | instskip(NEXT) | instid1(VALU_DEP_2)
	v_add_f64_e32 v[4:5], 0, v[4:5]
	v_add_f64_e32 v[2:3], 0, v[86:87]
	s_and_saveexec_b32 s48, s2
	s_cbranch_execz .LBB98_22
; %bb.21:
	scratch_load_b128 v[8:11], off, off offset:16
	v_mov_b32_e32 v7, 0
	ds_load_b128 v[86:89], v7 offset:576
	s_wait_loadcnt_dscnt 0x0
	v_mul_f64_e32 v[12:13], v[86:87], v[10:11]
	v_mul_f64_e32 v[10:11], v[88:89], v[10:11]
	s_delay_alu instid0(VALU_DEP_2) | instskip(NEXT) | instid1(VALU_DEP_2)
	v_fmac_f64_e32 v[12:13], v[88:89], v[8:9]
	v_fma_f64 v[8:9], v[86:87], v[8:9], -v[10:11]
	s_delay_alu instid0(VALU_DEP_2) | instskip(NEXT) | instid1(VALU_DEP_2)
	v_add_f64_e32 v[2:3], v[2:3], v[12:13]
	v_add_f64_e32 v[4:5], v[4:5], v[8:9]
.LBB98_22:
	s_or_b32 exec_lo, exec_lo, s48
	v_mov_b32_e32 v7, 0
	ds_load_b128 v[8:11], v7 offset:32
	s_wait_dscnt 0x0
	v_mul_f64_e32 v[86:87], v[2:3], v[10:11]
	v_mul_f64_e32 v[12:13], v[4:5], v[10:11]
	s_delay_alu instid0(VALU_DEP_2) | instskip(NEXT) | instid1(VALU_DEP_2)
	v_fma_f64 v[10:11], v[4:5], v[8:9], -v[86:87]
	v_fmac_f64_e32 v[12:13], v[2:3], v[8:9]
	scratch_store_b128 off, v[10:13], off offset:32
.LBB98_23:
	s_wait_xcnt 0x0
	s_or_b32 exec_lo, exec_lo, s3
	s_wait_storecnt 0x0
	s_barrier_signal -1
	s_barrier_wait -1
	scratch_load_b128 v[2:5], off, s14
	v_add_nc_u32_e32 v7, -1, v1
	s_mov_b32 s2, exec_lo
	s_wait_loadcnt 0x0
	ds_store_b128 v6, v[2:5]
	s_wait_dscnt 0x0
	s_barrier_signal -1
	s_barrier_wait -1
	v_cmpx_gt_u32_e32 3, v1
	s_cbranch_execz .LBB98_27
; %bb.24:
	v_dual_mov_b32 v10, v84 :: v_dual_add_nc_u32 v8, -1, v1
	v_mov_b64_e32 v[2:3], 0
	v_mov_b64_e32 v[4:5], 0
	v_add_nc_u32_e32 v9, 0x230, v84
	s_delay_alu instid0(VALU_DEP_4)
	v_or_b32_e32 v10, 8, v10
	s_mov_b32 s3, 0
.LBB98_25:                              ; =>This Inner Loop Header: Depth=1
	scratch_load_b128 v[86:89], v10, off offset:-8
	ds_load_b128 v[90:93], v9
	s_wait_xcnt 0x0
	v_dual_add_nc_u32 v9, 16, v9 :: v_dual_add_nc_u32 v10, 16, v10
	v_add_nc_u32_e32 v8, 1, v8
	s_delay_alu instid0(VALU_DEP_1) | instskip(SKIP_4) | instid1(VALU_DEP_2)
	v_cmp_lt_u32_e32 vcc_lo, 1, v8
	s_or_b32 s3, vcc_lo, s3
	s_wait_loadcnt_dscnt 0x0
	v_mul_f64_e32 v[12:13], v[92:93], v[88:89]
	v_mul_f64_e32 v[88:89], v[90:91], v[88:89]
	v_fma_f64 v[12:13], v[90:91], v[86:87], -v[12:13]
	s_delay_alu instid0(VALU_DEP_2) | instskip(NEXT) | instid1(VALU_DEP_2)
	v_fmac_f64_e32 v[88:89], v[92:93], v[86:87]
	v_add_f64_e32 v[4:5], v[4:5], v[12:13]
	s_delay_alu instid0(VALU_DEP_2)
	v_add_f64_e32 v[2:3], v[2:3], v[88:89]
	s_and_not1_b32 exec_lo, exec_lo, s3
	s_cbranch_execnz .LBB98_25
; %bb.26:
	s_or_b32 exec_lo, exec_lo, s3
	v_mov_b32_e32 v8, 0
	ds_load_b128 v[8:11], v8 offset:48
	s_wait_dscnt 0x0
	v_mul_f64_e32 v[86:87], v[2:3], v[10:11]
	v_mul_f64_e32 v[12:13], v[4:5], v[10:11]
	s_delay_alu instid0(VALU_DEP_2) | instskip(NEXT) | instid1(VALU_DEP_2)
	v_fma_f64 v[10:11], v[4:5], v[8:9], -v[86:87]
	v_fmac_f64_e32 v[12:13], v[2:3], v[8:9]
	scratch_store_b128 off, v[10:13], off offset:48
.LBB98_27:
	s_wait_xcnt 0x0
	s_or_b32 exec_lo, exec_lo, s2
	s_wait_storecnt 0x0
	s_barrier_signal -1
	s_barrier_wait -1
	scratch_load_b128 v[2:5], off, s12
	s_mov_b32 s2, exec_lo
	s_wait_loadcnt 0x0
	ds_store_b128 v6, v[2:5]
	s_wait_dscnt 0x0
	s_barrier_signal -1
	s_barrier_wait -1
	v_cmpx_gt_u32_e32 4, v1
	s_cbranch_execz .LBB98_31
; %bb.28:
	v_dual_mov_b32 v10, v84 :: v_dual_add_nc_u32 v8, -1, v1
	v_mov_b64_e32 v[2:3], 0
	v_mov_b64_e32 v[4:5], 0
	v_add_nc_u32_e32 v9, 0x230, v84
	s_delay_alu instid0(VALU_DEP_4)
	v_or_b32_e32 v10, 8, v10
	s_mov_b32 s3, 0
.LBB98_29:                              ; =>This Inner Loop Header: Depth=1
	scratch_load_b128 v[86:89], v10, off offset:-8
	ds_load_b128 v[90:93], v9
	s_wait_xcnt 0x0
	v_dual_add_nc_u32 v9, 16, v9 :: v_dual_add_nc_u32 v10, 16, v10
	v_add_nc_u32_e32 v8, 1, v8
	s_delay_alu instid0(VALU_DEP_1) | instskip(SKIP_4) | instid1(VALU_DEP_2)
	v_cmp_lt_u32_e32 vcc_lo, 2, v8
	s_or_b32 s3, vcc_lo, s3
	s_wait_loadcnt_dscnt 0x0
	v_mul_f64_e32 v[12:13], v[92:93], v[88:89]
	v_mul_f64_e32 v[88:89], v[90:91], v[88:89]
	v_fma_f64 v[12:13], v[90:91], v[86:87], -v[12:13]
	s_delay_alu instid0(VALU_DEP_2) | instskip(NEXT) | instid1(VALU_DEP_2)
	v_fmac_f64_e32 v[88:89], v[92:93], v[86:87]
	v_add_f64_e32 v[4:5], v[4:5], v[12:13]
	s_delay_alu instid0(VALU_DEP_2)
	v_add_f64_e32 v[2:3], v[2:3], v[88:89]
	s_and_not1_b32 exec_lo, exec_lo, s3
	s_cbranch_execnz .LBB98_29
; %bb.30:
	s_or_b32 exec_lo, exec_lo, s3
	v_mov_b32_e32 v8, 0
	ds_load_b128 v[8:11], v8 offset:64
	s_wait_dscnt 0x0
	v_mul_f64_e32 v[86:87], v[2:3], v[10:11]
	v_mul_f64_e32 v[12:13], v[4:5], v[10:11]
	s_delay_alu instid0(VALU_DEP_2) | instskip(NEXT) | instid1(VALU_DEP_2)
	v_fma_f64 v[10:11], v[4:5], v[8:9], -v[86:87]
	v_fmac_f64_e32 v[12:13], v[2:3], v[8:9]
	scratch_store_b128 off, v[10:13], off offset:64
.LBB98_31:
	s_wait_xcnt 0x0
	s_or_b32 exec_lo, exec_lo, s2
	s_wait_storecnt 0x0
	s_barrier_signal -1
	s_barrier_wait -1
	scratch_load_b128 v[2:5], off, s46
	;; [unrolled: 54-line block ×19, first 2 shown]
	s_mov_b32 s2, exec_lo
	s_wait_loadcnt 0x0
	ds_store_b128 v6, v[2:5]
	s_wait_dscnt 0x0
	s_barrier_signal -1
	s_barrier_wait -1
	v_cmpx_gt_u32_e32 22, v1
	s_cbranch_execz .LBB98_103
; %bb.100:
	v_dual_mov_b32 v10, v84 :: v_dual_add_nc_u32 v8, -1, v1
	v_mov_b64_e32 v[2:3], 0
	v_mov_b64_e32 v[4:5], 0
	v_add_nc_u32_e32 v9, 0x230, v84
	s_delay_alu instid0(VALU_DEP_4)
	v_or_b32_e32 v10, 8, v10
	s_mov_b32 s3, 0
.LBB98_101:                             ; =>This Inner Loop Header: Depth=1
	scratch_load_b128 v[86:89], v10, off offset:-8
	ds_load_b128 v[90:93], v9
	s_wait_xcnt 0x0
	v_dual_add_nc_u32 v9, 16, v9 :: v_dual_add_nc_u32 v10, 16, v10
	v_add_nc_u32_e32 v8, 1, v8
	s_delay_alu instid0(VALU_DEP_1) | instskip(SKIP_4) | instid1(VALU_DEP_2)
	v_cmp_lt_u32_e32 vcc_lo, 20, v8
	s_or_b32 s3, vcc_lo, s3
	s_wait_loadcnt_dscnt 0x0
	v_mul_f64_e32 v[12:13], v[92:93], v[88:89]
	v_mul_f64_e32 v[88:89], v[90:91], v[88:89]
	v_fma_f64 v[12:13], v[90:91], v[86:87], -v[12:13]
	s_delay_alu instid0(VALU_DEP_2) | instskip(NEXT) | instid1(VALU_DEP_2)
	v_fmac_f64_e32 v[88:89], v[92:93], v[86:87]
	v_add_f64_e32 v[4:5], v[4:5], v[12:13]
	s_delay_alu instid0(VALU_DEP_2)
	v_add_f64_e32 v[2:3], v[2:3], v[88:89]
	s_and_not1_b32 exec_lo, exec_lo, s3
	s_cbranch_execnz .LBB98_101
; %bb.102:
	s_or_b32 exec_lo, exec_lo, s3
	v_mov_b32_e32 v8, 0
	ds_load_b128 v[8:11], v8 offset:352
	s_wait_dscnt 0x0
	v_mul_f64_e32 v[86:87], v[2:3], v[10:11]
	v_mul_f64_e32 v[12:13], v[4:5], v[10:11]
	s_delay_alu instid0(VALU_DEP_2) | instskip(NEXT) | instid1(VALU_DEP_2)
	v_fma_f64 v[10:11], v[4:5], v[8:9], -v[86:87]
	v_fmac_f64_e32 v[12:13], v[2:3], v[8:9]
	scratch_store_b128 off, v[10:13], off offset:352
.LBB98_103:
	s_wait_xcnt 0x0
	s_or_b32 exec_lo, exec_lo, s2
	s_wait_storecnt 0x0
	s_barrier_signal -1
	s_barrier_wait -1
	scratch_load_b128 v[2:5], off, s27
	s_mov_b32 s2, exec_lo
	s_wait_loadcnt 0x0
	ds_store_b128 v6, v[2:5]
	s_wait_dscnt 0x0
	s_barrier_signal -1
	s_barrier_wait -1
	v_cmpx_gt_u32_e32 23, v1
	s_cbranch_execz .LBB98_107
; %bb.104:
	v_dual_mov_b32 v10, v84 :: v_dual_add_nc_u32 v8, -1, v1
	v_mov_b64_e32 v[2:3], 0
	v_mov_b64_e32 v[4:5], 0
	v_add_nc_u32_e32 v9, 0x230, v84
	s_delay_alu instid0(VALU_DEP_4)
	v_or_b32_e32 v10, 8, v10
	s_mov_b32 s3, 0
.LBB98_105:                             ; =>This Inner Loop Header: Depth=1
	scratch_load_b128 v[86:89], v10, off offset:-8
	ds_load_b128 v[90:93], v9
	s_wait_xcnt 0x0
	v_dual_add_nc_u32 v9, 16, v9 :: v_dual_add_nc_u32 v10, 16, v10
	v_add_nc_u32_e32 v8, 1, v8
	s_delay_alu instid0(VALU_DEP_1) | instskip(SKIP_4) | instid1(VALU_DEP_2)
	v_cmp_lt_u32_e32 vcc_lo, 21, v8
	s_or_b32 s3, vcc_lo, s3
	s_wait_loadcnt_dscnt 0x0
	v_mul_f64_e32 v[12:13], v[92:93], v[88:89]
	v_mul_f64_e32 v[88:89], v[90:91], v[88:89]
	v_fma_f64 v[12:13], v[90:91], v[86:87], -v[12:13]
	s_delay_alu instid0(VALU_DEP_2) | instskip(NEXT) | instid1(VALU_DEP_2)
	v_fmac_f64_e32 v[88:89], v[92:93], v[86:87]
	v_add_f64_e32 v[4:5], v[4:5], v[12:13]
	s_delay_alu instid0(VALU_DEP_2)
	v_add_f64_e32 v[2:3], v[2:3], v[88:89]
	s_and_not1_b32 exec_lo, exec_lo, s3
	s_cbranch_execnz .LBB98_105
; %bb.106:
	s_or_b32 exec_lo, exec_lo, s3
	v_mov_b32_e32 v8, 0
	ds_load_b128 v[8:11], v8 offset:368
	s_wait_dscnt 0x0
	v_mul_f64_e32 v[86:87], v[2:3], v[10:11]
	v_mul_f64_e32 v[12:13], v[4:5], v[10:11]
	s_delay_alu instid0(VALU_DEP_2) | instskip(NEXT) | instid1(VALU_DEP_2)
	v_fma_f64 v[10:11], v[4:5], v[8:9], -v[86:87]
	v_fmac_f64_e32 v[12:13], v[2:3], v[8:9]
	scratch_store_b128 off, v[10:13], off offset:368
.LBB98_107:
	s_wait_xcnt 0x0
	s_or_b32 exec_lo, exec_lo, s2
	s_wait_storecnt 0x0
	s_barrier_signal -1
	s_barrier_wait -1
	scratch_load_b128 v[2:5], off, s26
	;; [unrolled: 54-line block ×12, first 2 shown]
	s_mov_b32 s2, exec_lo
	s_wait_loadcnt 0x0
	ds_store_b128 v6, v[2:5]
	s_wait_dscnt 0x0
	s_barrier_signal -1
	s_barrier_wait -1
	v_cmpx_ne_u32_e32 34, v1
	s_cbranch_execz .LBB98_151
; %bb.148:
	v_mov_b32_e32 v8, v84
	v_mov_b64_e32 v[2:3], 0
	v_mov_b64_e32 v[4:5], 0
	s_mov_b32 s3, 0
	s_delay_alu instid0(VALU_DEP_3)
	v_or_b32_e32 v8, 8, v8
.LBB98_149:                             ; =>This Inner Loop Header: Depth=1
	scratch_load_b128 v[10:13], v8, off offset:-8
	ds_load_b128 v[84:87], v6
	v_dual_add_nc_u32 v7, 1, v7 :: v_dual_add_nc_u32 v6, 16, v6
	s_wait_xcnt 0x0
	v_add_nc_u32_e32 v8, 16, v8
	s_delay_alu instid0(VALU_DEP_2) | instskip(SKIP_4) | instid1(VALU_DEP_2)
	v_cmp_lt_u32_e32 vcc_lo, 32, v7
	s_or_b32 s3, vcc_lo, s3
	s_wait_loadcnt_dscnt 0x0
	v_mul_f64_e32 v[88:89], v[86:87], v[12:13]
	v_mul_f64_e32 v[12:13], v[84:85], v[12:13]
	v_fma_f64 v[84:85], v[84:85], v[10:11], -v[88:89]
	s_delay_alu instid0(VALU_DEP_2) | instskip(NEXT) | instid1(VALU_DEP_2)
	v_fmac_f64_e32 v[12:13], v[86:87], v[10:11]
	v_add_f64_e32 v[4:5], v[4:5], v[84:85]
	s_delay_alu instid0(VALU_DEP_2)
	v_add_f64_e32 v[2:3], v[2:3], v[12:13]
	s_and_not1_b32 exec_lo, exec_lo, s3
	s_cbranch_execnz .LBB98_149
; %bb.150:
	s_or_b32 exec_lo, exec_lo, s3
	v_mov_b32_e32 v6, 0
	ds_load_b128 v[6:9], v6 offset:544
	s_wait_dscnt 0x0
	v_mul_f64_e32 v[12:13], v[2:3], v[8:9]
	v_mul_f64_e32 v[10:11], v[4:5], v[8:9]
	s_delay_alu instid0(VALU_DEP_2) | instskip(NEXT) | instid1(VALU_DEP_2)
	v_fma_f64 v[8:9], v[4:5], v[6:7], -v[12:13]
	v_fmac_f64_e32 v[10:11], v[2:3], v[6:7]
	scratch_store_b128 off, v[8:11], off offset:544
.LBB98_151:
	s_wait_xcnt 0x0
	s_or_b32 exec_lo, exec_lo, s2
	s_mov_b32 s3, -1
	s_wait_storecnt 0x0
	s_barrier_signal -1
	s_barrier_wait -1
.LBB98_152:
	s_and_b32 vcc_lo, exec_lo, s3
	s_cbranch_vccz .LBB98_154
; %bb.153:
	s_wait_xcnt 0x0
	v_mov_b32_e32 v2, 0
	s_lshl_b64 s[2:3], s[10:11], 2
	s_delay_alu instid0(SALU_CYCLE_1)
	s_add_nc_u64 s[2:3], s[6:7], s[2:3]
	global_load_b32 v2, v2, s[2:3]
	s_wait_loadcnt 0x0
	v_cmp_ne_u32_e32 vcc_lo, 0, v2
	s_cbranch_vccz .LBB98_155
.LBB98_154:
	s_sendmsg sendmsg(MSG_DEALLOC_VGPRS)
	s_endpgm
.LBB98_155:
	v_lshl_add_u32 v6, v1, 4, 0x230
	s_wait_xcnt 0x0
	s_mov_b32 s2, exec_lo
	v_cmpx_eq_u32_e32 34, v1
	s_cbranch_execz .LBB98_157
; %bb.156:
	scratch_load_b128 v[2:5], off, s15
	v_mov_b32_e32 v8, 0
	s_delay_alu instid0(VALU_DEP_1)
	v_dual_mov_b32 v9, v8 :: v_dual_mov_b32 v10, v8
	v_mov_b32_e32 v11, v8
	scratch_store_b128 off, v[8:11], off offset:528
	s_wait_loadcnt 0x0
	ds_store_b128 v6, v[2:5]
.LBB98_157:
	s_wait_xcnt 0x0
	s_or_b32 exec_lo, exec_lo, s2
	s_wait_storecnt_dscnt 0x0
	s_barrier_signal -1
	s_barrier_wait -1
	s_clause 0x1
	scratch_load_b128 v[8:11], off, off offset:544
	scratch_load_b128 v[84:87], off, off offset:528
	v_mov_b32_e32 v2, 0
	s_mov_b32 s2, exec_lo
	ds_load_b128 v[88:91], v2 offset:1104
	s_wait_loadcnt_dscnt 0x100
	v_mul_f64_e32 v[4:5], v[90:91], v[10:11]
	v_mul_f64_e32 v[10:11], v[88:89], v[10:11]
	s_delay_alu instid0(VALU_DEP_2) | instskip(NEXT) | instid1(VALU_DEP_2)
	v_fma_f64 v[4:5], v[88:89], v[8:9], -v[4:5]
	v_fmac_f64_e32 v[10:11], v[90:91], v[8:9]
	s_delay_alu instid0(VALU_DEP_2) | instskip(NEXT) | instid1(VALU_DEP_2)
	v_add_f64_e32 v[4:5], 0, v[4:5]
	v_add_f64_e32 v[10:11], 0, v[10:11]
	s_wait_loadcnt 0x0
	s_delay_alu instid0(VALU_DEP_2) | instskip(NEXT) | instid1(VALU_DEP_2)
	v_add_f64_e64 v[8:9], v[84:85], -v[4:5]
	v_add_f64_e64 v[10:11], v[86:87], -v[10:11]
	scratch_store_b128 off, v[8:11], off offset:528
	s_wait_xcnt 0x0
	v_cmpx_lt_u32_e32 32, v1
	s_cbranch_execz .LBB98_159
; %bb.158:
	scratch_load_b128 v[8:11], off, s17
	v_dual_mov_b32 v3, v2 :: v_dual_mov_b32 v4, v2
	v_mov_b32_e32 v5, v2
	scratch_store_b128 off, v[2:5], off offset:512
	s_wait_loadcnt 0x0
	ds_store_b128 v6, v[8:11]
.LBB98_159:
	s_wait_xcnt 0x0
	s_or_b32 exec_lo, exec_lo, s2
	s_wait_storecnt_dscnt 0x0
	s_barrier_signal -1
	s_barrier_wait -1
	s_clause 0x2
	scratch_load_b128 v[8:11], off, off offset:528
	scratch_load_b128 v[84:87], off, off offset:544
	;; [unrolled: 1-line block ×3, first 2 shown]
	ds_load_b128 v[92:95], v2 offset:1088
	ds_load_b128 v[2:5], v2 offset:1104
	s_mov_b32 s2, exec_lo
	s_wait_loadcnt_dscnt 0x201
	v_mul_f64_e32 v[12:13], v[94:95], v[10:11]
	v_mul_f64_e32 v[10:11], v[92:93], v[10:11]
	s_wait_loadcnt_dscnt 0x100
	v_mul_f64_e32 v[96:97], v[2:3], v[86:87]
	v_mul_f64_e32 v[86:87], v[4:5], v[86:87]
	s_delay_alu instid0(VALU_DEP_4) | instskip(NEXT) | instid1(VALU_DEP_4)
	v_fma_f64 v[12:13], v[92:93], v[8:9], -v[12:13]
	v_fmac_f64_e32 v[10:11], v[94:95], v[8:9]
	s_delay_alu instid0(VALU_DEP_4) | instskip(NEXT) | instid1(VALU_DEP_4)
	v_fmac_f64_e32 v[96:97], v[4:5], v[84:85]
	v_fma_f64 v[2:3], v[2:3], v[84:85], -v[86:87]
	s_delay_alu instid0(VALU_DEP_4) | instskip(NEXT) | instid1(VALU_DEP_4)
	v_add_f64_e32 v[4:5], 0, v[12:13]
	v_add_f64_e32 v[8:9], 0, v[10:11]
	s_delay_alu instid0(VALU_DEP_2) | instskip(NEXT) | instid1(VALU_DEP_2)
	v_add_f64_e32 v[2:3], v[4:5], v[2:3]
	v_add_f64_e32 v[4:5], v[8:9], v[96:97]
	s_wait_loadcnt 0x0
	s_delay_alu instid0(VALU_DEP_2) | instskip(NEXT) | instid1(VALU_DEP_2)
	v_add_f64_e64 v[2:3], v[88:89], -v[2:3]
	v_add_f64_e64 v[4:5], v[90:91], -v[4:5]
	scratch_store_b128 off, v[2:5], off offset:512
	s_wait_xcnt 0x0
	v_cmpx_lt_u32_e32 31, v1
	s_cbranch_execz .LBB98_161
; %bb.160:
	scratch_load_b128 v[2:5], off, s19
	v_mov_b32_e32 v8, 0
	s_delay_alu instid0(VALU_DEP_1)
	v_dual_mov_b32 v9, v8 :: v_dual_mov_b32 v10, v8
	v_mov_b32_e32 v11, v8
	scratch_store_b128 off, v[8:11], off offset:496
	s_wait_loadcnt 0x0
	ds_store_b128 v6, v[2:5]
.LBB98_161:
	s_wait_xcnt 0x0
	s_or_b32 exec_lo, exec_lo, s2
	s_wait_storecnt_dscnt 0x0
	s_barrier_signal -1
	s_barrier_wait -1
	s_clause 0x3
	scratch_load_b128 v[8:11], off, off offset:512
	scratch_load_b128 v[84:87], off, off offset:528
	;; [unrolled: 1-line block ×4, first 2 shown]
	v_mov_b32_e32 v2, 0
	ds_load_b128 v[96:99], v2 offset:1072
	ds_load_b128 v[100:103], v2 offset:1088
	s_mov_b32 s2, exec_lo
	s_wait_loadcnt_dscnt 0x301
	v_mul_f64_e32 v[4:5], v[98:99], v[10:11]
	v_mul_f64_e32 v[12:13], v[96:97], v[10:11]
	s_wait_loadcnt_dscnt 0x200
	v_mul_f64_e32 v[104:105], v[100:101], v[86:87]
	v_mul_f64_e32 v[86:87], v[102:103], v[86:87]
	s_delay_alu instid0(VALU_DEP_4) | instskip(NEXT) | instid1(VALU_DEP_4)
	v_fma_f64 v[4:5], v[96:97], v[8:9], -v[4:5]
	v_fmac_f64_e32 v[12:13], v[98:99], v[8:9]
	ds_load_b128 v[8:11], v2 offset:1104
	v_fmac_f64_e32 v[104:105], v[102:103], v[84:85]
	v_fma_f64 v[84:85], v[100:101], v[84:85], -v[86:87]
	s_wait_loadcnt_dscnt 0x100
	v_mul_f64_e32 v[96:97], v[8:9], v[90:91]
	v_mul_f64_e32 v[90:91], v[10:11], v[90:91]
	v_add_f64_e32 v[4:5], 0, v[4:5]
	v_add_f64_e32 v[12:13], 0, v[12:13]
	s_delay_alu instid0(VALU_DEP_4) | instskip(NEXT) | instid1(VALU_DEP_4)
	v_fmac_f64_e32 v[96:97], v[10:11], v[88:89]
	v_fma_f64 v[8:9], v[8:9], v[88:89], -v[90:91]
	s_delay_alu instid0(VALU_DEP_4) | instskip(NEXT) | instid1(VALU_DEP_4)
	v_add_f64_e32 v[4:5], v[4:5], v[84:85]
	v_add_f64_e32 v[10:11], v[12:13], v[104:105]
	s_delay_alu instid0(VALU_DEP_2) | instskip(NEXT) | instid1(VALU_DEP_2)
	v_add_f64_e32 v[4:5], v[4:5], v[8:9]
	v_add_f64_e32 v[10:11], v[10:11], v[96:97]
	s_wait_loadcnt 0x0
	s_delay_alu instid0(VALU_DEP_2) | instskip(NEXT) | instid1(VALU_DEP_2)
	v_add_f64_e64 v[8:9], v[92:93], -v[4:5]
	v_add_f64_e64 v[10:11], v[94:95], -v[10:11]
	scratch_store_b128 off, v[8:11], off offset:496
	s_wait_xcnt 0x0
	v_cmpx_lt_u32_e32 30, v1
	s_cbranch_execz .LBB98_163
; %bb.162:
	scratch_load_b128 v[8:11], off, s20
	v_dual_mov_b32 v3, v2 :: v_dual_mov_b32 v4, v2
	v_mov_b32_e32 v5, v2
	scratch_store_b128 off, v[2:5], off offset:480
	s_wait_loadcnt 0x0
	ds_store_b128 v6, v[8:11]
.LBB98_163:
	s_wait_xcnt 0x0
	s_or_b32 exec_lo, exec_lo, s2
	s_wait_storecnt_dscnt 0x0
	s_barrier_signal -1
	s_barrier_wait -1
	s_clause 0x4
	scratch_load_b128 v[8:11], off, off offset:496
	scratch_load_b128 v[84:87], off, off offset:512
	;; [unrolled: 1-line block ×5, first 2 shown]
	ds_load_b128 v[100:103], v2 offset:1056
	ds_load_b128 v[104:107], v2 offset:1072
	s_mov_b32 s2, exec_lo
	s_wait_loadcnt_dscnt 0x401
	v_mul_f64_e32 v[4:5], v[102:103], v[10:11]
	v_mul_f64_e32 v[12:13], v[100:101], v[10:11]
	s_wait_loadcnt_dscnt 0x300
	v_mul_f64_e32 v[108:109], v[104:105], v[86:87]
	v_mul_f64_e32 v[86:87], v[106:107], v[86:87]
	s_delay_alu instid0(VALU_DEP_4) | instskip(NEXT) | instid1(VALU_DEP_4)
	v_fma_f64 v[100:101], v[100:101], v[8:9], -v[4:5]
	v_fmac_f64_e32 v[12:13], v[102:103], v[8:9]
	ds_load_b128 v[8:11], v2 offset:1088
	ds_load_b128 v[2:5], v2 offset:1104
	v_fmac_f64_e32 v[108:109], v[106:107], v[84:85]
	v_fma_f64 v[84:85], v[104:105], v[84:85], -v[86:87]
	s_wait_loadcnt_dscnt 0x201
	v_mul_f64_e32 v[102:103], v[8:9], v[90:91]
	v_mul_f64_e32 v[90:91], v[10:11], v[90:91]
	v_add_f64_e32 v[86:87], 0, v[100:101]
	v_add_f64_e32 v[12:13], 0, v[12:13]
	s_wait_loadcnt_dscnt 0x100
	v_mul_f64_e32 v[100:101], v[2:3], v[94:95]
	v_mul_f64_e32 v[94:95], v[4:5], v[94:95]
	v_fmac_f64_e32 v[102:103], v[10:11], v[88:89]
	v_fma_f64 v[8:9], v[8:9], v[88:89], -v[90:91]
	v_add_f64_e32 v[10:11], v[86:87], v[84:85]
	v_add_f64_e32 v[12:13], v[12:13], v[108:109]
	v_fmac_f64_e32 v[100:101], v[4:5], v[92:93]
	v_fma_f64 v[2:3], v[2:3], v[92:93], -v[94:95]
	s_delay_alu instid0(VALU_DEP_4) | instskip(NEXT) | instid1(VALU_DEP_4)
	v_add_f64_e32 v[4:5], v[10:11], v[8:9]
	v_add_f64_e32 v[8:9], v[12:13], v[102:103]
	s_delay_alu instid0(VALU_DEP_2) | instskip(NEXT) | instid1(VALU_DEP_2)
	v_add_f64_e32 v[2:3], v[4:5], v[2:3]
	v_add_f64_e32 v[4:5], v[8:9], v[100:101]
	s_wait_loadcnt 0x0
	s_delay_alu instid0(VALU_DEP_2) | instskip(NEXT) | instid1(VALU_DEP_2)
	v_add_f64_e64 v[2:3], v[96:97], -v[2:3]
	v_add_f64_e64 v[4:5], v[98:99], -v[4:5]
	scratch_store_b128 off, v[2:5], off offset:480
	s_wait_xcnt 0x0
	v_cmpx_lt_u32_e32 29, v1
	s_cbranch_execz .LBB98_165
; %bb.164:
	scratch_load_b128 v[2:5], off, s21
	v_mov_b32_e32 v8, 0
	s_delay_alu instid0(VALU_DEP_1)
	v_dual_mov_b32 v9, v8 :: v_dual_mov_b32 v10, v8
	v_mov_b32_e32 v11, v8
	scratch_store_b128 off, v[8:11], off offset:464
	s_wait_loadcnt 0x0
	ds_store_b128 v6, v[2:5]
.LBB98_165:
	s_wait_xcnt 0x0
	s_or_b32 exec_lo, exec_lo, s2
	s_wait_storecnt_dscnt 0x0
	s_barrier_signal -1
	s_barrier_wait -1
	s_clause 0x5
	scratch_load_b128 v[8:11], off, off offset:480
	scratch_load_b128 v[84:87], off, off offset:496
	;; [unrolled: 1-line block ×6, first 2 shown]
	v_mov_b32_e32 v2, 0
	ds_load_b128 v[104:107], v2 offset:1040
	ds_load_b128 v[108:111], v2 offset:1056
	s_mov_b32 s2, exec_lo
	s_wait_loadcnt_dscnt 0x501
	v_mul_f64_e32 v[4:5], v[106:107], v[10:11]
	v_mul_f64_e32 v[12:13], v[104:105], v[10:11]
	s_wait_loadcnt_dscnt 0x400
	v_mul_f64_e32 v[112:113], v[108:109], v[86:87]
	v_mul_f64_e32 v[86:87], v[110:111], v[86:87]
	s_delay_alu instid0(VALU_DEP_4) | instskip(NEXT) | instid1(VALU_DEP_4)
	v_fma_f64 v[4:5], v[104:105], v[8:9], -v[4:5]
	v_fmac_f64_e32 v[12:13], v[106:107], v[8:9]
	ds_load_b128 v[8:11], v2 offset:1072
	ds_load_b128 v[104:107], v2 offset:1088
	v_fmac_f64_e32 v[112:113], v[110:111], v[84:85]
	v_fma_f64 v[84:85], v[108:109], v[84:85], -v[86:87]
	s_wait_loadcnt_dscnt 0x301
	v_mul_f64_e32 v[114:115], v[8:9], v[90:91]
	v_mul_f64_e32 v[90:91], v[10:11], v[90:91]
	s_wait_loadcnt_dscnt 0x200
	v_mul_f64_e32 v[86:87], v[104:105], v[94:95]
	v_mul_f64_e32 v[94:95], v[106:107], v[94:95]
	v_add_f64_e32 v[4:5], 0, v[4:5]
	v_add_f64_e32 v[12:13], 0, v[12:13]
	v_fmac_f64_e32 v[114:115], v[10:11], v[88:89]
	v_fma_f64 v[88:89], v[8:9], v[88:89], -v[90:91]
	ds_load_b128 v[8:11], v2 offset:1104
	v_fmac_f64_e32 v[86:87], v[106:107], v[92:93]
	v_fma_f64 v[92:93], v[104:105], v[92:93], -v[94:95]
	v_add_f64_e32 v[4:5], v[4:5], v[84:85]
	v_add_f64_e32 v[12:13], v[12:13], v[112:113]
	s_wait_loadcnt_dscnt 0x100
	v_mul_f64_e32 v[84:85], v[8:9], v[98:99]
	v_mul_f64_e32 v[90:91], v[10:11], v[98:99]
	s_delay_alu instid0(VALU_DEP_4) | instskip(NEXT) | instid1(VALU_DEP_4)
	v_add_f64_e32 v[4:5], v[4:5], v[88:89]
	v_add_f64_e32 v[12:13], v[12:13], v[114:115]
	s_delay_alu instid0(VALU_DEP_4) | instskip(NEXT) | instid1(VALU_DEP_4)
	v_fmac_f64_e32 v[84:85], v[10:11], v[96:97]
	v_fma_f64 v[8:9], v[8:9], v[96:97], -v[90:91]
	s_delay_alu instid0(VALU_DEP_4) | instskip(NEXT) | instid1(VALU_DEP_4)
	v_add_f64_e32 v[4:5], v[4:5], v[92:93]
	v_add_f64_e32 v[10:11], v[12:13], v[86:87]
	s_delay_alu instid0(VALU_DEP_2) | instskip(NEXT) | instid1(VALU_DEP_2)
	v_add_f64_e32 v[4:5], v[4:5], v[8:9]
	v_add_f64_e32 v[10:11], v[10:11], v[84:85]
	s_wait_loadcnt 0x0
	s_delay_alu instid0(VALU_DEP_2) | instskip(NEXT) | instid1(VALU_DEP_2)
	v_add_f64_e64 v[8:9], v[100:101], -v[4:5]
	v_add_f64_e64 v[10:11], v[102:103], -v[10:11]
	scratch_store_b128 off, v[8:11], off offset:464
	s_wait_xcnt 0x0
	v_cmpx_lt_u32_e32 28, v1
	s_cbranch_execz .LBB98_167
; %bb.166:
	scratch_load_b128 v[8:11], off, s22
	v_dual_mov_b32 v3, v2 :: v_dual_mov_b32 v4, v2
	v_mov_b32_e32 v5, v2
	scratch_store_b128 off, v[2:5], off offset:448
	s_wait_loadcnt 0x0
	ds_store_b128 v6, v[8:11]
.LBB98_167:
	s_wait_xcnt 0x0
	s_or_b32 exec_lo, exec_lo, s2
	s_wait_storecnt_dscnt 0x0
	s_barrier_signal -1
	s_barrier_wait -1
	s_clause 0x6
	scratch_load_b128 v[8:11], off, off offset:464
	scratch_load_b128 v[84:87], off, off offset:480
	;; [unrolled: 1-line block ×7, first 2 shown]
	ds_load_b128 v[108:111], v2 offset:1024
	ds_load_b128 v[112:115], v2 offset:1040
	s_mov_b32 s2, exec_lo
	s_wait_loadcnt_dscnt 0x601
	v_mul_f64_e32 v[4:5], v[110:111], v[10:11]
	v_mul_f64_e32 v[12:13], v[108:109], v[10:11]
	s_wait_loadcnt_dscnt 0x500
	v_mul_f64_e32 v[116:117], v[112:113], v[86:87]
	v_mul_f64_e32 v[86:87], v[114:115], v[86:87]
	s_delay_alu instid0(VALU_DEP_4) | instskip(NEXT) | instid1(VALU_DEP_4)
	v_fma_f64 v[4:5], v[108:109], v[8:9], -v[4:5]
	v_fmac_f64_e32 v[12:13], v[110:111], v[8:9]
	ds_load_b128 v[8:11], v2 offset:1056
	ds_load_b128 v[108:111], v2 offset:1072
	v_fmac_f64_e32 v[116:117], v[114:115], v[84:85]
	v_fma_f64 v[84:85], v[112:113], v[84:85], -v[86:87]
	s_wait_loadcnt_dscnt 0x401
	v_mul_f64_e32 v[118:119], v[8:9], v[90:91]
	v_mul_f64_e32 v[90:91], v[10:11], v[90:91]
	s_wait_loadcnt_dscnt 0x300
	v_mul_f64_e32 v[86:87], v[108:109], v[94:95]
	v_mul_f64_e32 v[94:95], v[110:111], v[94:95]
	v_add_f64_e32 v[4:5], 0, v[4:5]
	v_add_f64_e32 v[12:13], 0, v[12:13]
	v_fmac_f64_e32 v[118:119], v[10:11], v[88:89]
	v_fma_f64 v[88:89], v[8:9], v[88:89], -v[90:91]
	v_fmac_f64_e32 v[86:87], v[110:111], v[92:93]
	v_fma_f64 v[92:93], v[108:109], v[92:93], -v[94:95]
	v_add_f64_e32 v[84:85], v[4:5], v[84:85]
	v_add_f64_e32 v[12:13], v[12:13], v[116:117]
	ds_load_b128 v[8:11], v2 offset:1088
	ds_load_b128 v[2:5], v2 offset:1104
	s_wait_loadcnt_dscnt 0x201
	v_mul_f64_e32 v[90:91], v[8:9], v[98:99]
	v_mul_f64_e32 v[98:99], v[10:11], v[98:99]
	s_wait_loadcnt_dscnt 0x100
	v_mul_f64_e32 v[94:95], v[4:5], v[102:103]
	v_add_f64_e32 v[84:85], v[84:85], v[88:89]
	v_add_f64_e32 v[12:13], v[12:13], v[118:119]
	v_mul_f64_e32 v[88:89], v[2:3], v[102:103]
	v_fmac_f64_e32 v[90:91], v[10:11], v[96:97]
	v_fma_f64 v[8:9], v[8:9], v[96:97], -v[98:99]
	v_fma_f64 v[2:3], v[2:3], v[100:101], -v[94:95]
	v_add_f64_e32 v[10:11], v[84:85], v[92:93]
	v_add_f64_e32 v[12:13], v[12:13], v[86:87]
	v_fmac_f64_e32 v[88:89], v[4:5], v[100:101]
	s_delay_alu instid0(VALU_DEP_3) | instskip(NEXT) | instid1(VALU_DEP_3)
	v_add_f64_e32 v[4:5], v[10:11], v[8:9]
	v_add_f64_e32 v[8:9], v[12:13], v[90:91]
	s_delay_alu instid0(VALU_DEP_2) | instskip(NEXT) | instid1(VALU_DEP_2)
	v_add_f64_e32 v[2:3], v[4:5], v[2:3]
	v_add_f64_e32 v[4:5], v[8:9], v[88:89]
	s_wait_loadcnt 0x0
	s_delay_alu instid0(VALU_DEP_2) | instskip(NEXT) | instid1(VALU_DEP_2)
	v_add_f64_e64 v[2:3], v[104:105], -v[2:3]
	v_add_f64_e64 v[4:5], v[106:107], -v[4:5]
	scratch_store_b128 off, v[2:5], off offset:448
	s_wait_xcnt 0x0
	v_cmpx_lt_u32_e32 27, v1
	s_cbranch_execz .LBB98_169
; %bb.168:
	scratch_load_b128 v[2:5], off, s23
	v_mov_b32_e32 v8, 0
	s_delay_alu instid0(VALU_DEP_1)
	v_dual_mov_b32 v9, v8 :: v_dual_mov_b32 v10, v8
	v_mov_b32_e32 v11, v8
	scratch_store_b128 off, v[8:11], off offset:432
	s_wait_loadcnt 0x0
	ds_store_b128 v6, v[2:5]
.LBB98_169:
	s_wait_xcnt 0x0
	s_or_b32 exec_lo, exec_lo, s2
	s_wait_storecnt_dscnt 0x0
	s_barrier_signal -1
	s_barrier_wait -1
	s_clause 0x7
	scratch_load_b128 v[8:11], off, off offset:448
	scratch_load_b128 v[84:87], off, off offset:464
	;; [unrolled: 1-line block ×8, first 2 shown]
	v_mov_b32_e32 v2, 0
	ds_load_b128 v[112:115], v2 offset:1008
	ds_load_b128 v[116:119], v2 offset:1024
	s_mov_b32 s2, exec_lo
	s_wait_loadcnt_dscnt 0x701
	v_mul_f64_e32 v[4:5], v[114:115], v[10:11]
	v_mul_f64_e32 v[12:13], v[112:113], v[10:11]
	s_wait_loadcnt_dscnt 0x600
	v_mul_f64_e32 v[120:121], v[116:117], v[86:87]
	v_mul_f64_e32 v[86:87], v[118:119], v[86:87]
	s_delay_alu instid0(VALU_DEP_4) | instskip(NEXT) | instid1(VALU_DEP_4)
	v_fma_f64 v[4:5], v[112:113], v[8:9], -v[4:5]
	v_fmac_f64_e32 v[12:13], v[114:115], v[8:9]
	ds_load_b128 v[8:11], v2 offset:1040
	ds_load_b128 v[112:115], v2 offset:1056
	v_fmac_f64_e32 v[120:121], v[118:119], v[84:85]
	v_fma_f64 v[84:85], v[116:117], v[84:85], -v[86:87]
	s_wait_loadcnt_dscnt 0x501
	v_mul_f64_e32 v[122:123], v[8:9], v[90:91]
	v_mul_f64_e32 v[90:91], v[10:11], v[90:91]
	s_wait_loadcnt_dscnt 0x400
	v_mul_f64_e32 v[116:117], v[112:113], v[94:95]
	v_mul_f64_e32 v[94:95], v[114:115], v[94:95]
	v_add_f64_e32 v[4:5], 0, v[4:5]
	v_add_f64_e32 v[12:13], 0, v[12:13]
	v_fmac_f64_e32 v[122:123], v[10:11], v[88:89]
	v_fma_f64 v[88:89], v[8:9], v[88:89], -v[90:91]
	v_fmac_f64_e32 v[116:117], v[114:115], v[92:93]
	v_fma_f64 v[92:93], v[112:113], v[92:93], -v[94:95]
	v_add_f64_e32 v[4:5], v[4:5], v[84:85]
	v_add_f64_e32 v[12:13], v[12:13], v[120:121]
	ds_load_b128 v[8:11], v2 offset:1072
	ds_load_b128 v[84:87], v2 offset:1088
	s_wait_loadcnt_dscnt 0x301
	v_mul_f64_e32 v[90:91], v[8:9], v[98:99]
	v_mul_f64_e32 v[98:99], v[10:11], v[98:99]
	s_wait_loadcnt_dscnt 0x200
	v_mul_f64_e32 v[94:95], v[86:87], v[102:103]
	v_add_f64_e32 v[4:5], v[4:5], v[88:89]
	v_add_f64_e32 v[12:13], v[12:13], v[122:123]
	v_mul_f64_e32 v[88:89], v[84:85], v[102:103]
	v_fmac_f64_e32 v[90:91], v[10:11], v[96:97]
	v_fma_f64 v[96:97], v[8:9], v[96:97], -v[98:99]
	ds_load_b128 v[8:11], v2 offset:1104
	v_fma_f64 v[84:85], v[84:85], v[100:101], -v[94:95]
	v_add_f64_e32 v[4:5], v[4:5], v[92:93]
	v_add_f64_e32 v[12:13], v[12:13], v[116:117]
	v_fmac_f64_e32 v[88:89], v[86:87], v[100:101]
	s_wait_loadcnt_dscnt 0x100
	v_mul_f64_e32 v[92:93], v[8:9], v[106:107]
	v_mul_f64_e32 v[98:99], v[10:11], v[106:107]
	v_add_f64_e32 v[4:5], v[4:5], v[96:97]
	v_add_f64_e32 v[12:13], v[12:13], v[90:91]
	s_delay_alu instid0(VALU_DEP_4) | instskip(NEXT) | instid1(VALU_DEP_4)
	v_fmac_f64_e32 v[92:93], v[10:11], v[104:105]
	v_fma_f64 v[8:9], v[8:9], v[104:105], -v[98:99]
	s_delay_alu instid0(VALU_DEP_4) | instskip(NEXT) | instid1(VALU_DEP_4)
	v_add_f64_e32 v[4:5], v[4:5], v[84:85]
	v_add_f64_e32 v[10:11], v[12:13], v[88:89]
	s_delay_alu instid0(VALU_DEP_2) | instskip(NEXT) | instid1(VALU_DEP_2)
	v_add_f64_e32 v[4:5], v[4:5], v[8:9]
	v_add_f64_e32 v[10:11], v[10:11], v[92:93]
	s_wait_loadcnt 0x0
	s_delay_alu instid0(VALU_DEP_2) | instskip(NEXT) | instid1(VALU_DEP_2)
	v_add_f64_e64 v[8:9], v[108:109], -v[4:5]
	v_add_f64_e64 v[10:11], v[110:111], -v[10:11]
	scratch_store_b128 off, v[8:11], off offset:432
	s_wait_xcnt 0x0
	v_cmpx_lt_u32_e32 26, v1
	s_cbranch_execz .LBB98_171
; %bb.170:
	scratch_load_b128 v[8:11], off, s24
	v_dual_mov_b32 v3, v2 :: v_dual_mov_b32 v4, v2
	v_mov_b32_e32 v5, v2
	scratch_store_b128 off, v[2:5], off offset:416
	s_wait_loadcnt 0x0
	ds_store_b128 v6, v[8:11]
.LBB98_171:
	s_wait_xcnt 0x0
	s_or_b32 exec_lo, exec_lo, s2
	s_wait_storecnt_dscnt 0x0
	s_barrier_signal -1
	s_barrier_wait -1
	s_clause 0x7
	scratch_load_b128 v[8:11], off, off offset:432
	scratch_load_b128 v[84:87], off, off offset:448
	scratch_load_b128 v[88:91], off, off offset:464
	scratch_load_b128 v[92:95], off, off offset:480
	scratch_load_b128 v[96:99], off, off offset:496
	scratch_load_b128 v[100:103], off, off offset:512
	scratch_load_b128 v[104:107], off, off offset:528
	scratch_load_b128 v[108:111], off, off offset:544
	ds_load_b128 v[112:115], v2 offset:992
	ds_load_b128 v[116:119], v2 offset:1008
	scratch_load_b128 v[120:123], off, off offset:416
	s_mov_b32 s2, exec_lo
	s_wait_loadcnt_dscnt 0x801
	v_mul_f64_e32 v[4:5], v[114:115], v[10:11]
	v_mul_f64_e32 v[12:13], v[112:113], v[10:11]
	s_wait_loadcnt_dscnt 0x700
	v_mul_f64_e32 v[124:125], v[116:117], v[86:87]
	v_mul_f64_e32 v[86:87], v[118:119], v[86:87]
	s_delay_alu instid0(VALU_DEP_4) | instskip(NEXT) | instid1(VALU_DEP_4)
	v_fma_f64 v[4:5], v[112:113], v[8:9], -v[4:5]
	v_fmac_f64_e32 v[12:13], v[114:115], v[8:9]
	ds_load_b128 v[8:11], v2 offset:1024
	ds_load_b128 v[112:115], v2 offset:1040
	v_fmac_f64_e32 v[124:125], v[118:119], v[84:85]
	v_fma_f64 v[84:85], v[116:117], v[84:85], -v[86:87]
	s_wait_loadcnt_dscnt 0x601
	v_mul_f64_e32 v[126:127], v[8:9], v[90:91]
	v_mul_f64_e32 v[90:91], v[10:11], v[90:91]
	s_wait_loadcnt_dscnt 0x500
	v_mul_f64_e32 v[116:117], v[112:113], v[94:95]
	v_mul_f64_e32 v[94:95], v[114:115], v[94:95]
	v_add_f64_e32 v[4:5], 0, v[4:5]
	v_add_f64_e32 v[12:13], 0, v[12:13]
	v_fmac_f64_e32 v[126:127], v[10:11], v[88:89]
	v_fma_f64 v[88:89], v[8:9], v[88:89], -v[90:91]
	v_fmac_f64_e32 v[116:117], v[114:115], v[92:93]
	v_fma_f64 v[92:93], v[112:113], v[92:93], -v[94:95]
	v_add_f64_e32 v[4:5], v[4:5], v[84:85]
	v_add_f64_e32 v[12:13], v[12:13], v[124:125]
	ds_load_b128 v[8:11], v2 offset:1056
	ds_load_b128 v[84:87], v2 offset:1072
	s_wait_loadcnt_dscnt 0x401
	v_mul_f64_e32 v[90:91], v[8:9], v[98:99]
	v_mul_f64_e32 v[98:99], v[10:11], v[98:99]
	s_wait_loadcnt_dscnt 0x300
	v_mul_f64_e32 v[94:95], v[86:87], v[102:103]
	v_add_f64_e32 v[4:5], v[4:5], v[88:89]
	v_add_f64_e32 v[12:13], v[12:13], v[126:127]
	v_mul_f64_e32 v[88:89], v[84:85], v[102:103]
	v_fmac_f64_e32 v[90:91], v[10:11], v[96:97]
	v_fma_f64 v[96:97], v[8:9], v[96:97], -v[98:99]
	v_fma_f64 v[84:85], v[84:85], v[100:101], -v[94:95]
	v_add_f64_e32 v[92:93], v[4:5], v[92:93]
	v_add_f64_e32 v[12:13], v[12:13], v[116:117]
	ds_load_b128 v[8:11], v2 offset:1088
	ds_load_b128 v[2:5], v2 offset:1104
	v_fmac_f64_e32 v[88:89], v[86:87], v[100:101]
	s_wait_loadcnt_dscnt 0x201
	v_mul_f64_e32 v[98:99], v[8:9], v[106:107]
	v_mul_f64_e32 v[102:103], v[10:11], v[106:107]
	v_add_f64_e32 v[86:87], v[92:93], v[96:97]
	v_add_f64_e32 v[12:13], v[12:13], v[90:91]
	s_wait_loadcnt_dscnt 0x100
	v_mul_f64_e32 v[90:91], v[2:3], v[110:111]
	v_mul_f64_e32 v[92:93], v[4:5], v[110:111]
	v_fmac_f64_e32 v[98:99], v[10:11], v[104:105]
	v_fma_f64 v[8:9], v[8:9], v[104:105], -v[102:103]
	v_add_f64_e32 v[10:11], v[86:87], v[84:85]
	v_add_f64_e32 v[12:13], v[12:13], v[88:89]
	v_fmac_f64_e32 v[90:91], v[4:5], v[108:109]
	v_fma_f64 v[2:3], v[2:3], v[108:109], -v[92:93]
	s_delay_alu instid0(VALU_DEP_4) | instskip(NEXT) | instid1(VALU_DEP_4)
	v_add_f64_e32 v[4:5], v[10:11], v[8:9]
	v_add_f64_e32 v[8:9], v[12:13], v[98:99]
	s_delay_alu instid0(VALU_DEP_2) | instskip(NEXT) | instid1(VALU_DEP_2)
	v_add_f64_e32 v[2:3], v[4:5], v[2:3]
	v_add_f64_e32 v[4:5], v[8:9], v[90:91]
	s_wait_loadcnt 0x0
	s_delay_alu instid0(VALU_DEP_2) | instskip(NEXT) | instid1(VALU_DEP_2)
	v_add_f64_e64 v[2:3], v[120:121], -v[2:3]
	v_add_f64_e64 v[4:5], v[122:123], -v[4:5]
	scratch_store_b128 off, v[2:5], off offset:416
	s_wait_xcnt 0x0
	v_cmpx_lt_u32_e32 25, v1
	s_cbranch_execz .LBB98_173
; %bb.172:
	scratch_load_b128 v[2:5], off, s25
	v_mov_b32_e32 v8, 0
	s_delay_alu instid0(VALU_DEP_1)
	v_dual_mov_b32 v9, v8 :: v_dual_mov_b32 v10, v8
	v_mov_b32_e32 v11, v8
	scratch_store_b128 off, v[8:11], off offset:400
	s_wait_loadcnt 0x0
	ds_store_b128 v6, v[2:5]
.LBB98_173:
	s_wait_xcnt 0x0
	s_or_b32 exec_lo, exec_lo, s2
	s_wait_storecnt_dscnt 0x0
	s_barrier_signal -1
	s_barrier_wait -1
	s_clause 0x8
	scratch_load_b128 v[8:11], off, off offset:416
	scratch_load_b128 v[84:87], off, off offset:432
	;; [unrolled: 1-line block ×9, first 2 shown]
	v_mov_b32_e32 v2, 0
	scratch_load_b128 v[120:123], off, off offset:400
	s_mov_b32 s2, exec_lo
	ds_load_b128 v[116:119], v2 offset:976
	ds_load_b128 v[124:127], v2 offset:992
	s_wait_loadcnt_dscnt 0x901
	v_mul_f64_e32 v[4:5], v[118:119], v[10:11]
	v_mul_f64_e32 v[12:13], v[116:117], v[10:11]
	s_wait_loadcnt_dscnt 0x800
	v_mul_f64_e32 v[128:129], v[124:125], v[86:87]
	v_mul_f64_e32 v[86:87], v[126:127], v[86:87]
	s_delay_alu instid0(VALU_DEP_4) | instskip(NEXT) | instid1(VALU_DEP_4)
	v_fma_f64 v[4:5], v[116:117], v[8:9], -v[4:5]
	v_fmac_f64_e32 v[12:13], v[118:119], v[8:9]
	ds_load_b128 v[8:11], v2 offset:1008
	ds_load_b128 v[116:119], v2 offset:1024
	v_fmac_f64_e32 v[128:129], v[126:127], v[84:85]
	v_fma_f64 v[84:85], v[124:125], v[84:85], -v[86:87]
	s_wait_loadcnt_dscnt 0x701
	v_mul_f64_e32 v[130:131], v[8:9], v[90:91]
	v_mul_f64_e32 v[90:91], v[10:11], v[90:91]
	s_wait_loadcnt_dscnt 0x600
	v_mul_f64_e32 v[124:125], v[116:117], v[94:95]
	v_mul_f64_e32 v[94:95], v[118:119], v[94:95]
	v_add_f64_e32 v[4:5], 0, v[4:5]
	v_add_f64_e32 v[12:13], 0, v[12:13]
	v_fmac_f64_e32 v[130:131], v[10:11], v[88:89]
	v_fma_f64 v[88:89], v[8:9], v[88:89], -v[90:91]
	v_fmac_f64_e32 v[124:125], v[118:119], v[92:93]
	v_fma_f64 v[92:93], v[116:117], v[92:93], -v[94:95]
	v_add_f64_e32 v[4:5], v[4:5], v[84:85]
	v_add_f64_e32 v[12:13], v[12:13], v[128:129]
	ds_load_b128 v[8:11], v2 offset:1040
	ds_load_b128 v[84:87], v2 offset:1056
	s_wait_loadcnt_dscnt 0x501
	v_mul_f64_e32 v[126:127], v[8:9], v[98:99]
	v_mul_f64_e32 v[90:91], v[10:11], v[98:99]
	s_wait_loadcnt_dscnt 0x400
	v_mul_f64_e32 v[94:95], v[84:85], v[102:103]
	v_mul_f64_e32 v[98:99], v[86:87], v[102:103]
	v_add_f64_e32 v[4:5], v[4:5], v[88:89]
	v_add_f64_e32 v[12:13], v[12:13], v[130:131]
	v_fmac_f64_e32 v[126:127], v[10:11], v[96:97]
	v_fma_f64 v[96:97], v[8:9], v[96:97], -v[90:91]
	ds_load_b128 v[8:11], v2 offset:1072
	ds_load_b128 v[88:91], v2 offset:1088
	v_fmac_f64_e32 v[94:95], v[86:87], v[100:101]
	v_fma_f64 v[84:85], v[84:85], v[100:101], -v[98:99]
	v_add_f64_e32 v[4:5], v[4:5], v[92:93]
	v_add_f64_e32 v[12:13], v[12:13], v[124:125]
	s_wait_loadcnt_dscnt 0x301
	v_mul_f64_e32 v[92:93], v[8:9], v[106:107]
	v_mul_f64_e32 v[102:103], v[10:11], v[106:107]
	s_wait_loadcnt_dscnt 0x200
	v_mul_f64_e32 v[86:87], v[88:89], v[110:111]
	v_add_f64_e32 v[4:5], v[4:5], v[96:97]
	v_add_f64_e32 v[12:13], v[12:13], v[126:127]
	v_mul_f64_e32 v[96:97], v[90:91], v[110:111]
	v_fmac_f64_e32 v[92:93], v[10:11], v[104:105]
	v_fma_f64 v[98:99], v[8:9], v[104:105], -v[102:103]
	ds_load_b128 v[8:11], v2 offset:1104
	v_fmac_f64_e32 v[86:87], v[90:91], v[108:109]
	v_add_f64_e32 v[4:5], v[4:5], v[84:85]
	v_add_f64_e32 v[12:13], v[12:13], v[94:95]
	s_wait_loadcnt_dscnt 0x100
	v_mul_f64_e32 v[84:85], v[8:9], v[114:115]
	v_mul_f64_e32 v[94:95], v[10:11], v[114:115]
	v_fma_f64 v[88:89], v[88:89], v[108:109], -v[96:97]
	v_add_f64_e32 v[4:5], v[4:5], v[98:99]
	v_add_f64_e32 v[12:13], v[12:13], v[92:93]
	v_fmac_f64_e32 v[84:85], v[10:11], v[112:113]
	v_fma_f64 v[8:9], v[8:9], v[112:113], -v[94:95]
	s_delay_alu instid0(VALU_DEP_4) | instskip(NEXT) | instid1(VALU_DEP_4)
	v_add_f64_e32 v[4:5], v[4:5], v[88:89]
	v_add_f64_e32 v[10:11], v[12:13], v[86:87]
	s_delay_alu instid0(VALU_DEP_2) | instskip(NEXT) | instid1(VALU_DEP_2)
	v_add_f64_e32 v[4:5], v[4:5], v[8:9]
	v_add_f64_e32 v[10:11], v[10:11], v[84:85]
	s_wait_loadcnt 0x0
	s_delay_alu instid0(VALU_DEP_2) | instskip(NEXT) | instid1(VALU_DEP_2)
	v_add_f64_e64 v[8:9], v[120:121], -v[4:5]
	v_add_f64_e64 v[10:11], v[122:123], -v[10:11]
	scratch_store_b128 off, v[8:11], off offset:400
	s_wait_xcnt 0x0
	v_cmpx_lt_u32_e32 24, v1
	s_cbranch_execz .LBB98_175
; %bb.174:
	scratch_load_b128 v[8:11], off, s26
	v_dual_mov_b32 v3, v2 :: v_dual_mov_b32 v4, v2
	v_mov_b32_e32 v5, v2
	scratch_store_b128 off, v[2:5], off offset:384
	s_wait_loadcnt 0x0
	ds_store_b128 v6, v[8:11]
.LBB98_175:
	s_wait_xcnt 0x0
	s_or_b32 exec_lo, exec_lo, s2
	s_wait_storecnt_dscnt 0x0
	s_barrier_signal -1
	s_barrier_wait -1
	s_clause 0x9
	scratch_load_b128 v[8:11], off, off offset:400
	scratch_load_b128 v[84:87], off, off offset:416
	;; [unrolled: 1-line block ×10, first 2 shown]
	ds_load_b128 v[120:123], v2 offset:960
	ds_load_b128 v[124:127], v2 offset:976
	scratch_load_b128 v[128:131], off, off offset:384
	s_mov_b32 s2, exec_lo
	s_wait_loadcnt_dscnt 0xa01
	v_mul_f64_e32 v[4:5], v[122:123], v[10:11]
	v_mul_f64_e32 v[12:13], v[120:121], v[10:11]
	s_wait_loadcnt_dscnt 0x900
	v_mul_f64_e32 v[132:133], v[124:125], v[86:87]
	v_mul_f64_e32 v[86:87], v[126:127], v[86:87]
	s_delay_alu instid0(VALU_DEP_4) | instskip(NEXT) | instid1(VALU_DEP_4)
	v_fma_f64 v[4:5], v[120:121], v[8:9], -v[4:5]
	v_fmac_f64_e32 v[12:13], v[122:123], v[8:9]
	ds_load_b128 v[8:11], v2 offset:992
	ds_load_b128 v[120:123], v2 offset:1008
	v_fmac_f64_e32 v[132:133], v[126:127], v[84:85]
	v_fma_f64 v[84:85], v[124:125], v[84:85], -v[86:87]
	s_wait_loadcnt_dscnt 0x801
	v_mul_f64_e32 v[134:135], v[8:9], v[90:91]
	v_mul_f64_e32 v[90:91], v[10:11], v[90:91]
	s_wait_loadcnt_dscnt 0x700
	v_mul_f64_e32 v[124:125], v[120:121], v[94:95]
	v_mul_f64_e32 v[94:95], v[122:123], v[94:95]
	v_add_f64_e32 v[4:5], 0, v[4:5]
	v_add_f64_e32 v[12:13], 0, v[12:13]
	v_fmac_f64_e32 v[134:135], v[10:11], v[88:89]
	v_fma_f64 v[88:89], v[8:9], v[88:89], -v[90:91]
	v_fmac_f64_e32 v[124:125], v[122:123], v[92:93]
	v_fma_f64 v[92:93], v[120:121], v[92:93], -v[94:95]
	v_add_f64_e32 v[4:5], v[4:5], v[84:85]
	v_add_f64_e32 v[12:13], v[12:13], v[132:133]
	ds_load_b128 v[8:11], v2 offset:1024
	ds_load_b128 v[84:87], v2 offset:1040
	s_wait_loadcnt_dscnt 0x601
	v_mul_f64_e32 v[126:127], v[8:9], v[98:99]
	v_mul_f64_e32 v[90:91], v[10:11], v[98:99]
	s_wait_loadcnt_dscnt 0x500
	v_mul_f64_e32 v[94:95], v[84:85], v[102:103]
	v_mul_f64_e32 v[98:99], v[86:87], v[102:103]
	v_add_f64_e32 v[4:5], v[4:5], v[88:89]
	v_add_f64_e32 v[12:13], v[12:13], v[134:135]
	v_fmac_f64_e32 v[126:127], v[10:11], v[96:97]
	v_fma_f64 v[96:97], v[8:9], v[96:97], -v[90:91]
	ds_load_b128 v[8:11], v2 offset:1056
	ds_load_b128 v[88:91], v2 offset:1072
	v_fmac_f64_e32 v[94:95], v[86:87], v[100:101]
	v_fma_f64 v[84:85], v[84:85], v[100:101], -v[98:99]
	v_add_f64_e32 v[4:5], v[4:5], v[92:93]
	v_add_f64_e32 v[12:13], v[12:13], v[124:125]
	s_wait_loadcnt_dscnt 0x401
	v_mul_f64_e32 v[92:93], v[8:9], v[106:107]
	v_mul_f64_e32 v[102:103], v[10:11], v[106:107]
	s_wait_loadcnt_dscnt 0x300
	v_mul_f64_e32 v[86:87], v[88:89], v[110:111]
	v_add_f64_e32 v[4:5], v[4:5], v[96:97]
	v_add_f64_e32 v[12:13], v[12:13], v[126:127]
	v_mul_f64_e32 v[96:97], v[90:91], v[110:111]
	v_fmac_f64_e32 v[92:93], v[10:11], v[104:105]
	v_fma_f64 v[98:99], v[8:9], v[104:105], -v[102:103]
	v_fmac_f64_e32 v[86:87], v[90:91], v[108:109]
	v_add_f64_e32 v[84:85], v[4:5], v[84:85]
	v_add_f64_e32 v[12:13], v[12:13], v[94:95]
	ds_load_b128 v[8:11], v2 offset:1088
	ds_load_b128 v[2:5], v2 offset:1104
	v_fma_f64 v[88:89], v[88:89], v[108:109], -v[96:97]
	s_wait_loadcnt_dscnt 0x201
	v_mul_f64_e32 v[94:95], v[8:9], v[114:115]
	v_mul_f64_e32 v[100:101], v[10:11], v[114:115]
	s_wait_loadcnt_dscnt 0x100
	v_mul_f64_e32 v[90:91], v[2:3], v[118:119]
	v_add_f64_e32 v[84:85], v[84:85], v[98:99]
	v_add_f64_e32 v[12:13], v[12:13], v[92:93]
	v_mul_f64_e32 v[92:93], v[4:5], v[118:119]
	v_fmac_f64_e32 v[94:95], v[10:11], v[112:113]
	v_fma_f64 v[8:9], v[8:9], v[112:113], -v[100:101]
	v_fmac_f64_e32 v[90:91], v[4:5], v[116:117]
	v_add_f64_e32 v[10:11], v[84:85], v[88:89]
	v_add_f64_e32 v[12:13], v[12:13], v[86:87]
	v_fma_f64 v[2:3], v[2:3], v[116:117], -v[92:93]
	s_delay_alu instid0(VALU_DEP_3) | instskip(NEXT) | instid1(VALU_DEP_3)
	v_add_f64_e32 v[4:5], v[10:11], v[8:9]
	v_add_f64_e32 v[8:9], v[12:13], v[94:95]
	s_delay_alu instid0(VALU_DEP_2) | instskip(NEXT) | instid1(VALU_DEP_2)
	v_add_f64_e32 v[2:3], v[4:5], v[2:3]
	v_add_f64_e32 v[4:5], v[8:9], v[90:91]
	s_wait_loadcnt 0x0
	s_delay_alu instid0(VALU_DEP_2) | instskip(NEXT) | instid1(VALU_DEP_2)
	v_add_f64_e64 v[2:3], v[128:129], -v[2:3]
	v_add_f64_e64 v[4:5], v[130:131], -v[4:5]
	scratch_store_b128 off, v[2:5], off offset:384
	s_wait_xcnt 0x0
	v_cmpx_lt_u32_e32 23, v1
	s_cbranch_execz .LBB98_177
; %bb.176:
	scratch_load_b128 v[2:5], off, s27
	v_mov_b32_e32 v8, 0
	s_delay_alu instid0(VALU_DEP_1)
	v_dual_mov_b32 v9, v8 :: v_dual_mov_b32 v10, v8
	v_mov_b32_e32 v11, v8
	scratch_store_b128 off, v[8:11], off offset:368
	s_wait_loadcnt 0x0
	ds_store_b128 v6, v[2:5]
.LBB98_177:
	s_wait_xcnt 0x0
	s_or_b32 exec_lo, exec_lo, s2
	s_wait_storecnt_dscnt 0x0
	s_barrier_signal -1
	s_barrier_wait -1
	s_clause 0x9
	scratch_load_b128 v[8:11], off, off offset:384
	scratch_load_b128 v[84:87], off, off offset:400
	;; [unrolled: 1-line block ×10, first 2 shown]
	v_mov_b32_e32 v2, 0
	s_mov_b32 s2, exec_lo
	ds_load_b128 v[120:123], v2 offset:944
	s_clause 0x1
	scratch_load_b128 v[124:127], off, off offset:544
	scratch_load_b128 v[128:131], off, off offset:368
	s_wait_loadcnt_dscnt 0xb00
	v_mul_f64_e32 v[4:5], v[122:123], v[10:11]
	v_mul_f64_e32 v[12:13], v[120:121], v[10:11]
	ds_load_b128 v[132:135], v2 offset:960
	s_wait_loadcnt_dscnt 0xa00
	v_mul_f64_e32 v[136:137], v[132:133], v[86:87]
	v_mul_f64_e32 v[86:87], v[134:135], v[86:87]
	v_fma_f64 v[4:5], v[120:121], v[8:9], -v[4:5]
	v_fmac_f64_e32 v[12:13], v[122:123], v[8:9]
	ds_load_b128 v[8:11], v2 offset:976
	ds_load_b128 v[120:123], v2 offset:992
	s_wait_loadcnt_dscnt 0x901
	v_mul_f64_e32 v[138:139], v[8:9], v[90:91]
	v_mul_f64_e32 v[90:91], v[10:11], v[90:91]
	v_fmac_f64_e32 v[136:137], v[134:135], v[84:85]
	v_fma_f64 v[84:85], v[132:133], v[84:85], -v[86:87]
	s_wait_loadcnt_dscnt 0x800
	v_mul_f64_e32 v[132:133], v[120:121], v[94:95]
	v_mul_f64_e32 v[94:95], v[122:123], v[94:95]
	v_add_f64_e32 v[4:5], 0, v[4:5]
	v_add_f64_e32 v[12:13], 0, v[12:13]
	v_fmac_f64_e32 v[138:139], v[10:11], v[88:89]
	v_fma_f64 v[88:89], v[8:9], v[88:89], -v[90:91]
	v_fmac_f64_e32 v[132:133], v[122:123], v[92:93]
	v_fma_f64 v[92:93], v[120:121], v[92:93], -v[94:95]
	v_add_f64_e32 v[4:5], v[4:5], v[84:85]
	v_add_f64_e32 v[12:13], v[12:13], v[136:137]
	ds_load_b128 v[8:11], v2 offset:1008
	ds_load_b128 v[84:87], v2 offset:1024
	s_wait_loadcnt_dscnt 0x701
	v_mul_f64_e32 v[134:135], v[8:9], v[98:99]
	v_mul_f64_e32 v[90:91], v[10:11], v[98:99]
	s_wait_loadcnt_dscnt 0x600
	v_mul_f64_e32 v[94:95], v[84:85], v[102:103]
	v_mul_f64_e32 v[98:99], v[86:87], v[102:103]
	v_add_f64_e32 v[4:5], v[4:5], v[88:89]
	v_add_f64_e32 v[12:13], v[12:13], v[138:139]
	v_fmac_f64_e32 v[134:135], v[10:11], v[96:97]
	v_fma_f64 v[96:97], v[8:9], v[96:97], -v[90:91]
	ds_load_b128 v[8:11], v2 offset:1040
	ds_load_b128 v[88:91], v2 offset:1056
	v_fmac_f64_e32 v[94:95], v[86:87], v[100:101]
	v_fma_f64 v[84:85], v[84:85], v[100:101], -v[98:99]
	v_add_f64_e32 v[4:5], v[4:5], v[92:93]
	v_add_f64_e32 v[12:13], v[12:13], v[132:133]
	s_wait_loadcnt_dscnt 0x501
	v_mul_f64_e32 v[92:93], v[8:9], v[106:107]
	v_mul_f64_e32 v[102:103], v[10:11], v[106:107]
	s_wait_loadcnt_dscnt 0x400
	v_mul_f64_e32 v[98:99], v[90:91], v[110:111]
	v_add_f64_e32 v[4:5], v[4:5], v[96:97]
	v_add_f64_e32 v[12:13], v[12:13], v[134:135]
	v_mul_f64_e32 v[96:97], v[88:89], v[110:111]
	v_fmac_f64_e32 v[92:93], v[10:11], v[104:105]
	v_fma_f64 v[100:101], v[8:9], v[104:105], -v[102:103]
	v_fma_f64 v[88:89], v[88:89], v[108:109], -v[98:99]
	v_add_f64_e32 v[4:5], v[4:5], v[84:85]
	v_add_f64_e32 v[12:13], v[12:13], v[94:95]
	ds_load_b128 v[8:11], v2 offset:1072
	ds_load_b128 v[84:87], v2 offset:1088
	v_fmac_f64_e32 v[96:97], v[90:91], v[108:109]
	s_wait_loadcnt_dscnt 0x301
	v_mul_f64_e32 v[94:95], v[8:9], v[114:115]
	v_mul_f64_e32 v[102:103], v[10:11], v[114:115]
	s_wait_loadcnt_dscnt 0x200
	v_mul_f64_e32 v[90:91], v[84:85], v[118:119]
	v_add_f64_e32 v[4:5], v[4:5], v[100:101]
	v_add_f64_e32 v[12:13], v[12:13], v[92:93]
	v_mul_f64_e32 v[92:93], v[86:87], v[118:119]
	v_fmac_f64_e32 v[94:95], v[10:11], v[112:113]
	v_fma_f64 v[98:99], v[8:9], v[112:113], -v[102:103]
	ds_load_b128 v[8:11], v2 offset:1104
	v_fmac_f64_e32 v[90:91], v[86:87], v[116:117]
	v_add_f64_e32 v[4:5], v[4:5], v[88:89]
	v_add_f64_e32 v[12:13], v[12:13], v[96:97]
	v_fma_f64 v[84:85], v[84:85], v[116:117], -v[92:93]
	s_wait_loadcnt_dscnt 0x100
	v_mul_f64_e32 v[88:89], v[8:9], v[126:127]
	v_mul_f64_e32 v[96:97], v[10:11], v[126:127]
	v_add_f64_e32 v[4:5], v[4:5], v[98:99]
	v_add_f64_e32 v[12:13], v[12:13], v[94:95]
	s_delay_alu instid0(VALU_DEP_4) | instskip(NEXT) | instid1(VALU_DEP_4)
	v_fmac_f64_e32 v[88:89], v[10:11], v[124:125]
	v_fma_f64 v[8:9], v[8:9], v[124:125], -v[96:97]
	s_delay_alu instid0(VALU_DEP_4) | instskip(NEXT) | instid1(VALU_DEP_4)
	v_add_f64_e32 v[4:5], v[4:5], v[84:85]
	v_add_f64_e32 v[10:11], v[12:13], v[90:91]
	s_delay_alu instid0(VALU_DEP_2) | instskip(NEXT) | instid1(VALU_DEP_2)
	v_add_f64_e32 v[4:5], v[4:5], v[8:9]
	v_add_f64_e32 v[10:11], v[10:11], v[88:89]
	s_wait_loadcnt 0x0
	s_delay_alu instid0(VALU_DEP_2) | instskip(NEXT) | instid1(VALU_DEP_2)
	v_add_f64_e64 v[8:9], v[128:129], -v[4:5]
	v_add_f64_e64 v[10:11], v[130:131], -v[10:11]
	scratch_store_b128 off, v[8:11], off offset:368
	s_wait_xcnt 0x0
	v_cmpx_lt_u32_e32 22, v1
	s_cbranch_execz .LBB98_179
; %bb.178:
	scratch_load_b128 v[8:11], off, s28
	v_dual_mov_b32 v3, v2 :: v_dual_mov_b32 v4, v2
	v_mov_b32_e32 v5, v2
	scratch_store_b128 off, v[2:5], off offset:352
	s_wait_loadcnt 0x0
	ds_store_b128 v6, v[8:11]
.LBB98_179:
	s_wait_xcnt 0x0
	s_or_b32 exec_lo, exec_lo, s2
	s_wait_storecnt_dscnt 0x0
	s_barrier_signal -1
	s_barrier_wait -1
	s_clause 0x9
	scratch_load_b128 v[8:11], off, off offset:368
	scratch_load_b128 v[84:87], off, off offset:384
	;; [unrolled: 1-line block ×10, first 2 shown]
	ds_load_b128 v[120:123], v2 offset:928
	ds_load_b128 v[128:131], v2 offset:944
	s_clause 0x1
	scratch_load_b128 v[124:127], off, off offset:528
	scratch_load_b128 v[132:135], off, off offset:352
	s_mov_b32 s2, exec_lo
	s_wait_loadcnt_dscnt 0xb01
	v_mul_f64_e32 v[4:5], v[122:123], v[10:11]
	v_mul_f64_e32 v[140:141], v[120:121], v[10:11]
	scratch_load_b128 v[10:13], off, off offset:544
	s_wait_loadcnt_dscnt 0xb00
	v_mul_f64_e32 v[142:143], v[128:129], v[86:87]
	v_mul_f64_e32 v[86:87], v[130:131], v[86:87]
	v_fma_f64 v[4:5], v[120:121], v[8:9], -v[4:5]
	v_fmac_f64_e32 v[140:141], v[122:123], v[8:9]
	ds_load_b128 v[120:123], v2 offset:960
	ds_load_b128 v[136:139], v2 offset:976
	v_fmac_f64_e32 v[142:143], v[130:131], v[84:85]
	v_fma_f64 v[84:85], v[128:129], v[84:85], -v[86:87]
	s_wait_loadcnt_dscnt 0xa01
	v_mul_f64_e32 v[8:9], v[120:121], v[90:91]
	v_mul_f64_e32 v[90:91], v[122:123], v[90:91]
	s_wait_loadcnt_dscnt 0x900
	v_mul_f64_e32 v[128:129], v[136:137], v[94:95]
	v_mul_f64_e32 v[94:95], v[138:139], v[94:95]
	v_add_f64_e32 v[4:5], 0, v[4:5]
	v_add_f64_e32 v[86:87], 0, v[140:141]
	v_fmac_f64_e32 v[8:9], v[122:123], v[88:89]
	v_fma_f64 v[120:121], v[120:121], v[88:89], -v[90:91]
	v_fmac_f64_e32 v[128:129], v[138:139], v[92:93]
	v_fma_f64 v[92:93], v[136:137], v[92:93], -v[94:95]
	v_add_f64_e32 v[4:5], v[4:5], v[84:85]
	v_add_f64_e32 v[122:123], v[86:87], v[142:143]
	ds_load_b128 v[84:87], v2 offset:992
	ds_load_b128 v[88:91], v2 offset:1008
	s_wait_loadcnt_dscnt 0x801
	v_mul_f64_e32 v[130:131], v[84:85], v[98:99]
	v_mul_f64_e32 v[98:99], v[86:87], v[98:99]
	v_add_f64_e32 v[4:5], v[4:5], v[120:121]
	v_add_f64_e32 v[8:9], v[122:123], v[8:9]
	s_wait_loadcnt_dscnt 0x700
	v_mul_f64_e32 v[120:121], v[88:89], v[102:103]
	v_mul_f64_e32 v[102:103], v[90:91], v[102:103]
	v_fmac_f64_e32 v[130:131], v[86:87], v[96:97]
	v_fma_f64 v[96:97], v[84:85], v[96:97], -v[98:99]
	v_add_f64_e32 v[4:5], v[4:5], v[92:93]
	v_add_f64_e32 v[8:9], v[8:9], v[128:129]
	ds_load_b128 v[84:87], v2 offset:1024
	ds_load_b128 v[92:95], v2 offset:1040
	v_fmac_f64_e32 v[120:121], v[90:91], v[100:101]
	v_fma_f64 v[88:89], v[88:89], v[100:101], -v[102:103]
	s_wait_loadcnt_dscnt 0x601
	v_mul_f64_e32 v[98:99], v[84:85], v[106:107]
	v_mul_f64_e32 v[106:107], v[86:87], v[106:107]
	s_wait_loadcnt_dscnt 0x500
	v_mul_f64_e32 v[100:101], v[94:95], v[110:111]
	v_add_f64_e32 v[4:5], v[4:5], v[96:97]
	v_add_f64_e32 v[8:9], v[8:9], v[130:131]
	v_mul_f64_e32 v[96:97], v[92:93], v[110:111]
	v_fmac_f64_e32 v[98:99], v[86:87], v[104:105]
	v_fma_f64 v[102:103], v[84:85], v[104:105], -v[106:107]
	v_fma_f64 v[92:93], v[92:93], v[108:109], -v[100:101]
	v_add_f64_e32 v[4:5], v[4:5], v[88:89]
	v_add_f64_e32 v[8:9], v[8:9], v[120:121]
	ds_load_b128 v[84:87], v2 offset:1056
	ds_load_b128 v[88:91], v2 offset:1072
	v_fmac_f64_e32 v[96:97], v[94:95], v[108:109]
	s_wait_loadcnt_dscnt 0x401
	v_mul_f64_e32 v[104:105], v[84:85], v[114:115]
	v_mul_f64_e32 v[106:107], v[86:87], v[114:115]
	s_wait_loadcnt_dscnt 0x300
	v_mul_f64_e32 v[94:95], v[88:89], v[118:119]
	v_add_f64_e32 v[4:5], v[4:5], v[102:103]
	v_add_f64_e32 v[8:9], v[8:9], v[98:99]
	v_mul_f64_e32 v[98:99], v[90:91], v[118:119]
	v_fmac_f64_e32 v[104:105], v[86:87], v[112:113]
	v_fma_f64 v[100:101], v[84:85], v[112:113], -v[106:107]
	v_fmac_f64_e32 v[94:95], v[90:91], v[116:117]
	v_add_f64_e32 v[92:93], v[4:5], v[92:93]
	v_add_f64_e32 v[8:9], v[8:9], v[96:97]
	ds_load_b128 v[84:87], v2 offset:1088
	ds_load_b128 v[2:5], v2 offset:1104
	v_fma_f64 v[88:89], v[88:89], v[116:117], -v[98:99]
	s_wait_loadcnt_dscnt 0x201
	v_mul_f64_e32 v[96:97], v[84:85], v[126:127]
	v_mul_f64_e32 v[102:103], v[86:87], v[126:127]
	v_add_f64_e32 v[90:91], v[92:93], v[100:101]
	v_add_f64_e32 v[8:9], v[8:9], v[104:105]
	s_wait_loadcnt_dscnt 0x0
	v_mul_f64_e32 v[92:93], v[2:3], v[12:13]
	v_mul_f64_e32 v[12:13], v[4:5], v[12:13]
	v_fmac_f64_e32 v[96:97], v[86:87], v[124:125]
	v_fma_f64 v[84:85], v[84:85], v[124:125], -v[102:103]
	v_add_f64_e32 v[86:87], v[90:91], v[88:89]
	v_add_f64_e32 v[8:9], v[8:9], v[94:95]
	v_fmac_f64_e32 v[92:93], v[4:5], v[10:11]
	v_fma_f64 v[2:3], v[2:3], v[10:11], -v[12:13]
	s_delay_alu instid0(VALU_DEP_4) | instskip(NEXT) | instid1(VALU_DEP_4)
	v_add_f64_e32 v[4:5], v[86:87], v[84:85]
	v_add_f64_e32 v[8:9], v[8:9], v[96:97]
	s_delay_alu instid0(VALU_DEP_2) | instskip(NEXT) | instid1(VALU_DEP_2)
	v_add_f64_e32 v[2:3], v[4:5], v[2:3]
	v_add_f64_e32 v[4:5], v[8:9], v[92:93]
	s_delay_alu instid0(VALU_DEP_2) | instskip(NEXT) | instid1(VALU_DEP_2)
	v_add_f64_e64 v[2:3], v[132:133], -v[2:3]
	v_add_f64_e64 v[4:5], v[134:135], -v[4:5]
	scratch_store_b128 off, v[2:5], off offset:352
	s_wait_xcnt 0x0
	v_cmpx_lt_u32_e32 21, v1
	s_cbranch_execz .LBB98_181
; %bb.180:
	scratch_load_b128 v[2:5], off, s29
	v_mov_b32_e32 v8, 0
	s_delay_alu instid0(VALU_DEP_1)
	v_dual_mov_b32 v9, v8 :: v_dual_mov_b32 v10, v8
	v_mov_b32_e32 v11, v8
	scratch_store_b128 off, v[8:11], off offset:336
	s_wait_loadcnt 0x0
	ds_store_b128 v6, v[2:5]
.LBB98_181:
	s_wait_xcnt 0x0
	s_or_b32 exec_lo, exec_lo, s2
	s_wait_storecnt_dscnt 0x0
	s_barrier_signal -1
	s_barrier_wait -1
	s_clause 0x9
	scratch_load_b128 v[8:11], off, off offset:352
	scratch_load_b128 v[84:87], off, off offset:368
	;; [unrolled: 1-line block ×10, first 2 shown]
	v_mov_b32_e32 v2, 0
	s_mov_b32 s2, exec_lo
	ds_load_b128 v[120:123], v2 offset:912
	s_clause 0x2
	scratch_load_b128 v[124:127], off, off offset:512
	scratch_load_b128 v[128:131], off, off offset:336
	;; [unrolled: 1-line block ×3, first 2 shown]
	s_wait_loadcnt_dscnt 0xc00
	v_mul_f64_e32 v[4:5], v[122:123], v[10:11]
	v_mul_f64_e32 v[144:145], v[120:121], v[10:11]
	ds_load_b128 v[132:135], v2 offset:928
	scratch_load_b128 v[10:13], off, off offset:528
	ds_load_b128 v[140:143], v2 offset:960
	v_fma_f64 v[4:5], v[120:121], v[8:9], -v[4:5]
	v_fmac_f64_e32 v[144:145], v[122:123], v[8:9]
	ds_load_b128 v[120:123], v2 offset:944
	s_wait_loadcnt_dscnt 0xc02
	v_mul_f64_e32 v[146:147], v[132:133], v[86:87]
	v_mul_f64_e32 v[86:87], v[134:135], v[86:87]
	s_wait_loadcnt_dscnt 0xb00
	v_mul_f64_e32 v[8:9], v[120:121], v[90:91]
	v_mul_f64_e32 v[90:91], v[122:123], v[90:91]
	v_add_f64_e32 v[4:5], 0, v[4:5]
	v_fmac_f64_e32 v[146:147], v[134:135], v[84:85]
	v_fma_f64 v[84:85], v[132:133], v[84:85], -v[86:87]
	v_add_f64_e32 v[86:87], 0, v[144:145]
	s_wait_loadcnt 0xa
	v_mul_f64_e32 v[132:133], v[140:141], v[94:95]
	v_mul_f64_e32 v[94:95], v[142:143], v[94:95]
	v_fmac_f64_e32 v[8:9], v[122:123], v[88:89]
	v_fma_f64 v[120:121], v[120:121], v[88:89], -v[90:91]
	v_add_f64_e32 v[4:5], v[4:5], v[84:85]
	v_add_f64_e32 v[122:123], v[86:87], v[146:147]
	ds_load_b128 v[84:87], v2 offset:976
	ds_load_b128 v[88:91], v2 offset:992
	v_fmac_f64_e32 v[132:133], v[142:143], v[92:93]
	v_fma_f64 v[92:93], v[140:141], v[92:93], -v[94:95]
	s_wait_loadcnt_dscnt 0x901
	v_mul_f64_e32 v[134:135], v[84:85], v[98:99]
	v_mul_f64_e32 v[98:99], v[86:87], v[98:99]
	v_add_f64_e32 v[4:5], v[4:5], v[120:121]
	v_add_f64_e32 v[8:9], v[122:123], v[8:9]
	s_wait_loadcnt_dscnt 0x800
	v_mul_f64_e32 v[120:121], v[88:89], v[102:103]
	v_mul_f64_e32 v[102:103], v[90:91], v[102:103]
	v_fmac_f64_e32 v[134:135], v[86:87], v[96:97]
	v_fma_f64 v[96:97], v[84:85], v[96:97], -v[98:99]
	v_add_f64_e32 v[4:5], v[4:5], v[92:93]
	v_add_f64_e32 v[8:9], v[8:9], v[132:133]
	ds_load_b128 v[84:87], v2 offset:1008
	ds_load_b128 v[92:95], v2 offset:1024
	v_fmac_f64_e32 v[120:121], v[90:91], v[100:101]
	v_fma_f64 v[88:89], v[88:89], v[100:101], -v[102:103]
	s_wait_loadcnt_dscnt 0x701
	v_mul_f64_e32 v[98:99], v[84:85], v[106:107]
	v_mul_f64_e32 v[106:107], v[86:87], v[106:107]
	s_wait_loadcnt_dscnt 0x600
	v_mul_f64_e32 v[100:101], v[94:95], v[110:111]
	v_add_f64_e32 v[4:5], v[4:5], v[96:97]
	v_add_f64_e32 v[8:9], v[8:9], v[134:135]
	v_mul_f64_e32 v[96:97], v[92:93], v[110:111]
	v_fmac_f64_e32 v[98:99], v[86:87], v[104:105]
	v_fma_f64 v[102:103], v[84:85], v[104:105], -v[106:107]
	v_fma_f64 v[92:93], v[92:93], v[108:109], -v[100:101]
	v_add_f64_e32 v[4:5], v[4:5], v[88:89]
	v_add_f64_e32 v[8:9], v[8:9], v[120:121]
	ds_load_b128 v[84:87], v2 offset:1040
	ds_load_b128 v[88:91], v2 offset:1056
	v_fmac_f64_e32 v[96:97], v[94:95], v[108:109]
	s_wait_loadcnt_dscnt 0x501
	v_mul_f64_e32 v[104:105], v[84:85], v[114:115]
	v_mul_f64_e32 v[106:107], v[86:87], v[114:115]
	s_wait_loadcnt_dscnt 0x400
	v_mul_f64_e32 v[100:101], v[90:91], v[118:119]
	v_add_f64_e32 v[4:5], v[4:5], v[102:103]
	v_add_f64_e32 v[8:9], v[8:9], v[98:99]
	v_mul_f64_e32 v[98:99], v[88:89], v[118:119]
	v_fmac_f64_e32 v[104:105], v[86:87], v[112:113]
	v_fma_f64 v[102:103], v[84:85], v[112:113], -v[106:107]
	v_fma_f64 v[88:89], v[88:89], v[116:117], -v[100:101]
	v_add_f64_e32 v[4:5], v[4:5], v[92:93]
	v_add_f64_e32 v[8:9], v[8:9], v[96:97]
	ds_load_b128 v[84:87], v2 offset:1072
	ds_load_b128 v[92:95], v2 offset:1088
	v_fmac_f64_e32 v[98:99], v[90:91], v[116:117]
	s_wait_loadcnt_dscnt 0x301
	v_mul_f64_e32 v[96:97], v[84:85], v[126:127]
	v_mul_f64_e32 v[106:107], v[86:87], v[126:127]
	s_wait_loadcnt_dscnt 0x0
	v_mul_f64_e32 v[90:91], v[92:93], v[12:13]
	v_add_f64_e32 v[4:5], v[4:5], v[102:103]
	v_add_f64_e32 v[8:9], v[8:9], v[104:105]
	v_mul_f64_e32 v[12:13], v[94:95], v[12:13]
	v_fmac_f64_e32 v[96:97], v[86:87], v[124:125]
	v_fma_f64 v[100:101], v[84:85], v[124:125], -v[106:107]
	ds_load_b128 v[84:87], v2 offset:1104
	v_fmac_f64_e32 v[90:91], v[94:95], v[10:11]
	v_add_f64_e32 v[4:5], v[4:5], v[88:89]
	v_add_f64_e32 v[8:9], v[8:9], v[98:99]
	v_fma_f64 v[10:11], v[92:93], v[10:11], -v[12:13]
	s_wait_dscnt 0x0
	v_mul_f64_e32 v[88:89], v[84:85], v[138:139]
	v_mul_f64_e32 v[98:99], v[86:87], v[138:139]
	v_add_f64_e32 v[4:5], v[4:5], v[100:101]
	v_add_f64_e32 v[8:9], v[8:9], v[96:97]
	s_delay_alu instid0(VALU_DEP_4) | instskip(NEXT) | instid1(VALU_DEP_4)
	v_fmac_f64_e32 v[88:89], v[86:87], v[136:137]
	v_fma_f64 v[12:13], v[84:85], v[136:137], -v[98:99]
	s_delay_alu instid0(VALU_DEP_4) | instskip(NEXT) | instid1(VALU_DEP_4)
	v_add_f64_e32 v[4:5], v[4:5], v[10:11]
	v_add_f64_e32 v[8:9], v[8:9], v[90:91]
	s_delay_alu instid0(VALU_DEP_2) | instskip(NEXT) | instid1(VALU_DEP_2)
	v_add_f64_e32 v[4:5], v[4:5], v[12:13]
	v_add_f64_e32 v[10:11], v[8:9], v[88:89]
	s_delay_alu instid0(VALU_DEP_2) | instskip(NEXT) | instid1(VALU_DEP_2)
	v_add_f64_e64 v[8:9], v[128:129], -v[4:5]
	v_add_f64_e64 v[10:11], v[130:131], -v[10:11]
	scratch_store_b128 off, v[8:11], off offset:336
	s_wait_xcnt 0x0
	v_cmpx_lt_u32_e32 20, v1
	s_cbranch_execz .LBB98_183
; %bb.182:
	scratch_load_b128 v[8:11], off, s30
	v_dual_mov_b32 v3, v2 :: v_dual_mov_b32 v4, v2
	v_mov_b32_e32 v5, v2
	scratch_store_b128 off, v[2:5], off offset:320
	s_wait_loadcnt 0x0
	ds_store_b128 v6, v[8:11]
.LBB98_183:
	s_wait_xcnt 0x0
	s_or_b32 exec_lo, exec_lo, s2
	s_wait_storecnt_dscnt 0x0
	s_barrier_signal -1
	s_barrier_wait -1
	s_clause 0x9
	scratch_load_b128 v[8:11], off, off offset:336
	scratch_load_b128 v[84:87], off, off offset:352
	;; [unrolled: 1-line block ×10, first 2 shown]
	ds_load_b128 v[120:123], v2 offset:896
	ds_load_b128 v[128:131], v2 offset:912
	s_clause 0x1
	scratch_load_b128 v[124:127], off, off offset:496
	scratch_load_b128 v[132:135], off, off offset:320
	s_mov_b32 s2, exec_lo
	s_wait_loadcnt_dscnt 0xb01
	v_mul_f64_e32 v[4:5], v[122:123], v[10:11]
	v_mul_f64_e32 v[144:145], v[120:121], v[10:11]
	scratch_load_b128 v[10:13], off, off offset:512
	s_wait_loadcnt_dscnt 0xb00
	v_mul_f64_e32 v[146:147], v[128:129], v[86:87]
	v_mul_f64_e32 v[86:87], v[130:131], v[86:87]
	v_fma_f64 v[4:5], v[120:121], v[8:9], -v[4:5]
	v_fmac_f64_e32 v[144:145], v[122:123], v[8:9]
	ds_load_b128 v[120:123], v2 offset:928
	ds_load_b128 v[136:139], v2 offset:944
	scratch_load_b128 v[140:143], off, off offset:528
	v_fmac_f64_e32 v[146:147], v[130:131], v[84:85]
	v_fma_f64 v[128:129], v[128:129], v[84:85], -v[86:87]
	scratch_load_b128 v[84:87], off, off offset:544
	s_wait_loadcnt_dscnt 0xc01
	v_mul_f64_e32 v[8:9], v[120:121], v[90:91]
	v_mul_f64_e32 v[90:91], v[122:123], v[90:91]
	v_add_f64_e32 v[4:5], 0, v[4:5]
	v_add_f64_e32 v[130:131], 0, v[144:145]
	s_wait_loadcnt_dscnt 0xb00
	v_mul_f64_e32 v[144:145], v[136:137], v[94:95]
	v_mul_f64_e32 v[94:95], v[138:139], v[94:95]
	v_fmac_f64_e32 v[8:9], v[122:123], v[88:89]
	v_fma_f64 v[148:149], v[120:121], v[88:89], -v[90:91]
	ds_load_b128 v[88:91], v2 offset:960
	ds_load_b128 v[120:123], v2 offset:976
	v_add_f64_e32 v[4:5], v[4:5], v[128:129]
	v_add_f64_e32 v[128:129], v[130:131], v[146:147]
	v_fmac_f64_e32 v[144:145], v[138:139], v[92:93]
	v_fma_f64 v[92:93], v[136:137], v[92:93], -v[94:95]
	s_wait_loadcnt_dscnt 0xa01
	v_mul_f64_e32 v[130:131], v[88:89], v[98:99]
	v_mul_f64_e32 v[98:99], v[90:91], v[98:99]
	v_add_f64_e32 v[4:5], v[4:5], v[148:149]
	v_add_f64_e32 v[8:9], v[128:129], v[8:9]
	s_wait_loadcnt_dscnt 0x900
	v_mul_f64_e32 v[128:129], v[120:121], v[102:103]
	v_mul_f64_e32 v[102:103], v[122:123], v[102:103]
	v_fmac_f64_e32 v[130:131], v[90:91], v[96:97]
	v_fma_f64 v[96:97], v[88:89], v[96:97], -v[98:99]
	v_add_f64_e32 v[4:5], v[4:5], v[92:93]
	v_add_f64_e32 v[8:9], v[8:9], v[144:145]
	ds_load_b128 v[88:91], v2 offset:992
	ds_load_b128 v[92:95], v2 offset:1008
	v_fmac_f64_e32 v[128:129], v[122:123], v[100:101]
	v_fma_f64 v[100:101], v[120:121], v[100:101], -v[102:103]
	s_wait_loadcnt_dscnt 0x801
	v_mul_f64_e32 v[136:137], v[88:89], v[106:107]
	v_mul_f64_e32 v[98:99], v[90:91], v[106:107]
	s_wait_loadcnt_dscnt 0x700
	v_mul_f64_e32 v[102:103], v[92:93], v[110:111]
	v_mul_f64_e32 v[106:107], v[94:95], v[110:111]
	v_add_f64_e32 v[4:5], v[4:5], v[96:97]
	v_add_f64_e32 v[8:9], v[8:9], v[130:131]
	v_fmac_f64_e32 v[136:137], v[90:91], v[104:105]
	v_fma_f64 v[104:105], v[88:89], v[104:105], -v[98:99]
	ds_load_b128 v[88:91], v2 offset:1024
	ds_load_b128 v[96:99], v2 offset:1040
	v_fmac_f64_e32 v[102:103], v[94:95], v[108:109]
	v_fma_f64 v[92:93], v[92:93], v[108:109], -v[106:107]
	v_add_f64_e32 v[4:5], v[4:5], v[100:101]
	v_add_f64_e32 v[8:9], v[8:9], v[128:129]
	s_wait_loadcnt_dscnt 0x601
	v_mul_f64_e32 v[100:101], v[88:89], v[114:115]
	v_mul_f64_e32 v[110:111], v[90:91], v[114:115]
	s_wait_loadcnt_dscnt 0x500
	v_mul_f64_e32 v[106:107], v[98:99], v[118:119]
	v_add_f64_e32 v[4:5], v[4:5], v[104:105]
	v_add_f64_e32 v[8:9], v[8:9], v[136:137]
	v_mul_f64_e32 v[104:105], v[96:97], v[118:119]
	v_fmac_f64_e32 v[100:101], v[90:91], v[112:113]
	v_fma_f64 v[108:109], v[88:89], v[112:113], -v[110:111]
	v_fma_f64 v[96:97], v[96:97], v[116:117], -v[106:107]
	v_add_f64_e32 v[4:5], v[4:5], v[92:93]
	v_add_f64_e32 v[8:9], v[8:9], v[102:103]
	ds_load_b128 v[88:91], v2 offset:1056
	ds_load_b128 v[92:95], v2 offset:1072
	v_fmac_f64_e32 v[104:105], v[98:99], v[116:117]
	s_wait_loadcnt_dscnt 0x401
	v_mul_f64_e32 v[102:103], v[88:89], v[126:127]
	v_mul_f64_e32 v[110:111], v[90:91], v[126:127]
	v_add_f64_e32 v[4:5], v[4:5], v[108:109]
	v_add_f64_e32 v[8:9], v[8:9], v[100:101]
	s_wait_loadcnt_dscnt 0x200
	v_mul_f64_e32 v[98:99], v[92:93], v[12:13]
	v_mul_f64_e32 v[12:13], v[94:95], v[12:13]
	v_fmac_f64_e32 v[102:103], v[90:91], v[124:125]
	v_fma_f64 v[100:101], v[88:89], v[124:125], -v[110:111]
	v_add_f64_e32 v[96:97], v[4:5], v[96:97]
	v_add_f64_e32 v[8:9], v[8:9], v[104:105]
	ds_load_b128 v[88:91], v2 offset:1088
	ds_load_b128 v[2:5], v2 offset:1104
	v_fmac_f64_e32 v[98:99], v[94:95], v[10:11]
	v_fma_f64 v[10:11], v[92:93], v[10:11], -v[12:13]
	s_wait_loadcnt_dscnt 0x101
	v_mul_f64_e32 v[104:105], v[88:89], v[142:143]
	v_mul_f64_e32 v[106:107], v[90:91], v[142:143]
	s_wait_loadcnt_dscnt 0x0
	v_mul_f64_e32 v[92:93], v[2:3], v[86:87]
	v_mul_f64_e32 v[86:87], v[4:5], v[86:87]
	v_add_f64_e32 v[12:13], v[96:97], v[100:101]
	v_add_f64_e32 v[8:9], v[8:9], v[102:103]
	v_fmac_f64_e32 v[104:105], v[90:91], v[140:141]
	v_fma_f64 v[88:89], v[88:89], v[140:141], -v[106:107]
	v_fmac_f64_e32 v[92:93], v[4:5], v[84:85]
	v_fma_f64 v[2:3], v[2:3], v[84:85], -v[86:87]
	v_add_f64_e32 v[10:11], v[12:13], v[10:11]
	v_add_f64_e32 v[8:9], v[8:9], v[98:99]
	s_delay_alu instid0(VALU_DEP_2) | instskip(NEXT) | instid1(VALU_DEP_2)
	v_add_f64_e32 v[4:5], v[10:11], v[88:89]
	v_add_f64_e32 v[8:9], v[8:9], v[104:105]
	s_delay_alu instid0(VALU_DEP_2) | instskip(NEXT) | instid1(VALU_DEP_2)
	;; [unrolled: 3-line block ×3, first 2 shown]
	v_add_f64_e64 v[2:3], v[132:133], -v[2:3]
	v_add_f64_e64 v[4:5], v[134:135], -v[4:5]
	scratch_store_b128 off, v[2:5], off offset:320
	s_wait_xcnt 0x0
	v_cmpx_lt_u32_e32 19, v1
	s_cbranch_execz .LBB98_185
; %bb.184:
	scratch_load_b128 v[2:5], off, s31
	v_mov_b32_e32 v8, 0
	s_delay_alu instid0(VALU_DEP_1)
	v_dual_mov_b32 v9, v8 :: v_dual_mov_b32 v10, v8
	v_mov_b32_e32 v11, v8
	scratch_store_b128 off, v[8:11], off offset:304
	s_wait_loadcnt 0x0
	ds_store_b128 v6, v[2:5]
.LBB98_185:
	s_wait_xcnt 0x0
	s_or_b32 exec_lo, exec_lo, s2
	s_wait_storecnt_dscnt 0x0
	s_barrier_signal -1
	s_barrier_wait -1
	s_clause 0x9
	scratch_load_b128 v[8:11], off, off offset:320
	scratch_load_b128 v[84:87], off, off offset:336
	;; [unrolled: 1-line block ×10, first 2 shown]
	v_mov_b32_e32 v2, 0
	s_mov_b32 s2, exec_lo
	ds_load_b128 v[120:123], v2 offset:880
	s_clause 0x2
	scratch_load_b128 v[124:127], off, off offset:480
	scratch_load_b128 v[128:131], off, off offset:304
	;; [unrolled: 1-line block ×3, first 2 shown]
	s_wait_loadcnt_dscnt 0xc00
	v_mul_f64_e32 v[4:5], v[122:123], v[10:11]
	v_mul_f64_e32 v[144:145], v[120:121], v[10:11]
	ds_load_b128 v[132:135], v2 offset:896
	scratch_load_b128 v[10:13], off, off offset:496
	ds_load_b128 v[140:143], v2 offset:928
	v_fma_f64 v[4:5], v[120:121], v[8:9], -v[4:5]
	v_fmac_f64_e32 v[144:145], v[122:123], v[8:9]
	ds_load_b128 v[120:123], v2 offset:912
	s_wait_loadcnt_dscnt 0xc02
	v_mul_f64_e32 v[146:147], v[132:133], v[86:87]
	v_mul_f64_e32 v[86:87], v[134:135], v[86:87]
	s_wait_loadcnt_dscnt 0xb00
	v_mul_f64_e32 v[8:9], v[120:121], v[90:91]
	v_mul_f64_e32 v[90:91], v[122:123], v[90:91]
	v_add_f64_e32 v[4:5], 0, v[4:5]
	v_fmac_f64_e32 v[146:147], v[134:135], v[84:85]
	v_fma_f64 v[132:133], v[132:133], v[84:85], -v[86:87]
	v_add_f64_e32 v[134:135], 0, v[144:145]
	scratch_load_b128 v[84:87], off, off offset:528
	v_fmac_f64_e32 v[8:9], v[122:123], v[88:89]
	v_fma_f64 v[148:149], v[120:121], v[88:89], -v[90:91]
	ds_load_b128 v[88:91], v2 offset:944
	s_wait_loadcnt 0xb
	v_mul_f64_e32 v[144:145], v[140:141], v[94:95]
	v_mul_f64_e32 v[94:95], v[142:143], v[94:95]
	scratch_load_b128 v[120:123], off, off offset:544
	v_add_f64_e32 v[4:5], v[4:5], v[132:133]
	v_add_f64_e32 v[146:147], v[134:135], v[146:147]
	ds_load_b128 v[132:135], v2 offset:960
	s_wait_loadcnt_dscnt 0xb01
	v_mul_f64_e32 v[150:151], v[88:89], v[98:99]
	v_mul_f64_e32 v[98:99], v[90:91], v[98:99]
	v_fmac_f64_e32 v[144:145], v[142:143], v[92:93]
	v_fma_f64 v[92:93], v[140:141], v[92:93], -v[94:95]
	s_wait_loadcnt_dscnt 0xa00
	v_mul_f64_e32 v[140:141], v[132:133], v[102:103]
	v_mul_f64_e32 v[102:103], v[134:135], v[102:103]
	v_add_f64_e32 v[4:5], v[4:5], v[148:149]
	v_add_f64_e32 v[8:9], v[146:147], v[8:9]
	v_fmac_f64_e32 v[150:151], v[90:91], v[96:97]
	v_fma_f64 v[96:97], v[88:89], v[96:97], -v[98:99]
	v_fmac_f64_e32 v[140:141], v[134:135], v[100:101]
	v_fma_f64 v[100:101], v[132:133], v[100:101], -v[102:103]
	v_add_f64_e32 v[4:5], v[4:5], v[92:93]
	v_add_f64_e32 v[8:9], v[8:9], v[144:145]
	ds_load_b128 v[88:91], v2 offset:976
	ds_load_b128 v[92:95], v2 offset:992
	s_wait_loadcnt_dscnt 0x901
	v_mul_f64_e32 v[142:143], v[88:89], v[106:107]
	v_mul_f64_e32 v[98:99], v[90:91], v[106:107]
	s_wait_loadcnt_dscnt 0x800
	v_mul_f64_e32 v[102:103], v[92:93], v[110:111]
	v_mul_f64_e32 v[106:107], v[94:95], v[110:111]
	v_add_f64_e32 v[4:5], v[4:5], v[96:97]
	v_add_f64_e32 v[8:9], v[8:9], v[150:151]
	v_fmac_f64_e32 v[142:143], v[90:91], v[104:105]
	v_fma_f64 v[104:105], v[88:89], v[104:105], -v[98:99]
	ds_load_b128 v[88:91], v2 offset:1008
	ds_load_b128 v[96:99], v2 offset:1024
	v_fmac_f64_e32 v[102:103], v[94:95], v[108:109]
	v_fma_f64 v[92:93], v[92:93], v[108:109], -v[106:107]
	v_add_f64_e32 v[4:5], v[4:5], v[100:101]
	v_add_f64_e32 v[8:9], v[8:9], v[140:141]
	s_wait_loadcnt_dscnt 0x701
	v_mul_f64_e32 v[100:101], v[88:89], v[114:115]
	v_mul_f64_e32 v[110:111], v[90:91], v[114:115]
	s_wait_loadcnt_dscnt 0x600
	v_mul_f64_e32 v[106:107], v[98:99], v[118:119]
	v_add_f64_e32 v[4:5], v[4:5], v[104:105]
	v_add_f64_e32 v[8:9], v[8:9], v[142:143]
	v_mul_f64_e32 v[104:105], v[96:97], v[118:119]
	v_fmac_f64_e32 v[100:101], v[90:91], v[112:113]
	v_fma_f64 v[108:109], v[88:89], v[112:113], -v[110:111]
	v_fma_f64 v[96:97], v[96:97], v[116:117], -v[106:107]
	v_add_f64_e32 v[4:5], v[4:5], v[92:93]
	v_add_f64_e32 v[8:9], v[8:9], v[102:103]
	ds_load_b128 v[88:91], v2 offset:1040
	ds_load_b128 v[92:95], v2 offset:1056
	v_fmac_f64_e32 v[104:105], v[98:99], v[116:117]
	s_wait_loadcnt_dscnt 0x501
	v_mul_f64_e32 v[102:103], v[88:89], v[126:127]
	v_mul_f64_e32 v[110:111], v[90:91], v[126:127]
	v_add_f64_e32 v[4:5], v[4:5], v[108:109]
	v_add_f64_e32 v[8:9], v[8:9], v[100:101]
	s_wait_loadcnt_dscnt 0x200
	v_mul_f64_e32 v[100:101], v[92:93], v[12:13]
	v_mul_f64_e32 v[12:13], v[94:95], v[12:13]
	v_fmac_f64_e32 v[102:103], v[90:91], v[124:125]
	v_fma_f64 v[106:107], v[88:89], v[124:125], -v[110:111]
	v_add_f64_e32 v[4:5], v[4:5], v[96:97]
	v_add_f64_e32 v[8:9], v[8:9], v[104:105]
	ds_load_b128 v[88:91], v2 offset:1072
	ds_load_b128 v[96:99], v2 offset:1088
	v_fmac_f64_e32 v[100:101], v[94:95], v[10:11]
	v_fma_f64 v[10:11], v[92:93], v[10:11], -v[12:13]
	s_wait_dscnt 0x1
	v_mul_f64_e32 v[104:105], v[88:89], v[138:139]
	v_mul_f64_e32 v[108:109], v[90:91], v[138:139]
	v_add_f64_e32 v[4:5], v[4:5], v[106:107]
	v_add_f64_e32 v[8:9], v[8:9], v[102:103]
	s_wait_loadcnt_dscnt 0x100
	v_mul_f64_e32 v[12:13], v[96:97], v[86:87]
	v_mul_f64_e32 v[86:87], v[98:99], v[86:87]
	v_fmac_f64_e32 v[104:105], v[90:91], v[136:137]
	v_fma_f64 v[88:89], v[88:89], v[136:137], -v[108:109]
	v_add_f64_e32 v[4:5], v[4:5], v[10:11]
	v_add_f64_e32 v[90:91], v[8:9], v[100:101]
	ds_load_b128 v[8:11], v2 offset:1104
	v_fmac_f64_e32 v[12:13], v[98:99], v[84:85]
	v_fma_f64 v[84:85], v[96:97], v[84:85], -v[86:87]
	s_wait_loadcnt_dscnt 0x0
	v_mul_f64_e32 v[92:93], v[8:9], v[122:123]
	v_mul_f64_e32 v[94:95], v[10:11], v[122:123]
	v_add_f64_e32 v[4:5], v[4:5], v[88:89]
	v_add_f64_e32 v[86:87], v[90:91], v[104:105]
	s_delay_alu instid0(VALU_DEP_4) | instskip(NEXT) | instid1(VALU_DEP_4)
	v_fmac_f64_e32 v[92:93], v[10:11], v[120:121]
	v_fma_f64 v[8:9], v[8:9], v[120:121], -v[94:95]
	s_delay_alu instid0(VALU_DEP_4) | instskip(NEXT) | instid1(VALU_DEP_4)
	v_add_f64_e32 v[4:5], v[4:5], v[84:85]
	v_add_f64_e32 v[10:11], v[86:87], v[12:13]
	s_delay_alu instid0(VALU_DEP_2) | instskip(NEXT) | instid1(VALU_DEP_2)
	v_add_f64_e32 v[4:5], v[4:5], v[8:9]
	v_add_f64_e32 v[10:11], v[10:11], v[92:93]
	s_delay_alu instid0(VALU_DEP_2) | instskip(NEXT) | instid1(VALU_DEP_2)
	v_add_f64_e64 v[8:9], v[128:129], -v[4:5]
	v_add_f64_e64 v[10:11], v[130:131], -v[10:11]
	scratch_store_b128 off, v[8:11], off offset:304
	s_wait_xcnt 0x0
	v_cmpx_lt_u32_e32 18, v1
	s_cbranch_execz .LBB98_187
; %bb.186:
	scratch_load_b128 v[8:11], off, s33
	v_dual_mov_b32 v3, v2 :: v_dual_mov_b32 v4, v2
	v_mov_b32_e32 v5, v2
	scratch_store_b128 off, v[2:5], off offset:288
	s_wait_loadcnt 0x0
	ds_store_b128 v6, v[8:11]
.LBB98_187:
	s_wait_xcnt 0x0
	s_or_b32 exec_lo, exec_lo, s2
	s_wait_storecnt_dscnt 0x0
	s_barrier_signal -1
	s_barrier_wait -1
	s_clause 0x9
	scratch_load_b128 v[8:11], off, off offset:304
	scratch_load_b128 v[84:87], off, off offset:320
	;; [unrolled: 1-line block ×10, first 2 shown]
	ds_load_b128 v[120:123], v2 offset:864
	ds_load_b128 v[128:131], v2 offset:880
	s_clause 0x1
	scratch_load_b128 v[124:127], off, off offset:464
	scratch_load_b128 v[132:135], off, off offset:288
	s_mov_b32 s2, exec_lo
	s_wait_loadcnt_dscnt 0xb01
	v_mul_f64_e32 v[4:5], v[122:123], v[10:11]
	v_mul_f64_e32 v[144:145], v[120:121], v[10:11]
	scratch_load_b128 v[10:13], off, off offset:480
	s_wait_loadcnt_dscnt 0xb00
	v_mul_f64_e32 v[146:147], v[128:129], v[86:87]
	v_mul_f64_e32 v[86:87], v[130:131], v[86:87]
	v_fma_f64 v[4:5], v[120:121], v[8:9], -v[4:5]
	v_fmac_f64_e32 v[144:145], v[122:123], v[8:9]
	ds_load_b128 v[120:123], v2 offset:896
	ds_load_b128 v[136:139], v2 offset:912
	scratch_load_b128 v[140:143], off, off offset:496
	v_fmac_f64_e32 v[146:147], v[130:131], v[84:85]
	v_fma_f64 v[128:129], v[128:129], v[84:85], -v[86:87]
	scratch_load_b128 v[84:87], off, off offset:512
	s_wait_loadcnt_dscnt 0xc01
	v_mul_f64_e32 v[8:9], v[120:121], v[90:91]
	v_mul_f64_e32 v[90:91], v[122:123], v[90:91]
	v_add_f64_e32 v[4:5], 0, v[4:5]
	v_add_f64_e32 v[130:131], 0, v[144:145]
	s_wait_loadcnt_dscnt 0xb00
	v_mul_f64_e32 v[144:145], v[136:137], v[94:95]
	v_mul_f64_e32 v[94:95], v[138:139], v[94:95]
	v_fmac_f64_e32 v[8:9], v[122:123], v[88:89]
	v_fma_f64 v[148:149], v[120:121], v[88:89], -v[90:91]
	ds_load_b128 v[88:91], v2 offset:928
	ds_load_b128 v[120:123], v2 offset:944
	v_add_f64_e32 v[4:5], v[4:5], v[128:129]
	v_add_f64_e32 v[146:147], v[130:131], v[146:147]
	scratch_load_b128 v[128:131], off, off offset:528
	v_fmac_f64_e32 v[144:145], v[138:139], v[92:93]
	v_fma_f64 v[136:137], v[136:137], v[92:93], -v[94:95]
	scratch_load_b128 v[92:95], off, off offset:544
	s_wait_loadcnt_dscnt 0xc01
	v_mul_f64_e32 v[150:151], v[88:89], v[98:99]
	v_mul_f64_e32 v[98:99], v[90:91], v[98:99]
	s_wait_loadcnt_dscnt 0xb00
	v_mul_f64_e32 v[138:139], v[120:121], v[102:103]
	v_mul_f64_e32 v[102:103], v[122:123], v[102:103]
	v_add_f64_e32 v[4:5], v[4:5], v[148:149]
	v_add_f64_e32 v[8:9], v[146:147], v[8:9]
	v_fmac_f64_e32 v[150:151], v[90:91], v[96:97]
	v_fma_f64 v[146:147], v[88:89], v[96:97], -v[98:99]
	ds_load_b128 v[88:91], v2 offset:960
	ds_load_b128 v[96:99], v2 offset:976
	v_fmac_f64_e32 v[138:139], v[122:123], v[100:101]
	v_fma_f64 v[100:101], v[120:121], v[100:101], -v[102:103]
	s_wait_loadcnt_dscnt 0x900
	v_mul_f64_e32 v[120:121], v[96:97], v[110:111]
	v_add_f64_e32 v[4:5], v[4:5], v[136:137]
	v_add_f64_e32 v[8:9], v[8:9], v[144:145]
	v_mul_f64_e32 v[136:137], v[88:89], v[106:107]
	v_mul_f64_e32 v[106:107], v[90:91], v[106:107]
	;; [unrolled: 1-line block ×3, first 2 shown]
	v_fmac_f64_e32 v[120:121], v[98:99], v[108:109]
	v_add_f64_e32 v[4:5], v[4:5], v[146:147]
	v_add_f64_e32 v[8:9], v[8:9], v[150:151]
	v_fmac_f64_e32 v[136:137], v[90:91], v[104:105]
	v_fma_f64 v[104:105], v[88:89], v[104:105], -v[106:107]
	v_fma_f64 v[96:97], v[96:97], v[108:109], -v[110:111]
	v_add_f64_e32 v[4:5], v[4:5], v[100:101]
	v_add_f64_e32 v[8:9], v[8:9], v[138:139]
	ds_load_b128 v[88:91], v2 offset:992
	ds_load_b128 v[100:103], v2 offset:1008
	s_wait_loadcnt_dscnt 0x801
	v_mul_f64_e32 v[106:107], v[88:89], v[114:115]
	v_mul_f64_e32 v[114:115], v[90:91], v[114:115]
	s_wait_loadcnt_dscnt 0x700
	v_mul_f64_e32 v[108:109], v[102:103], v[118:119]
	v_add_f64_e32 v[4:5], v[4:5], v[104:105]
	v_add_f64_e32 v[8:9], v[8:9], v[136:137]
	v_mul_f64_e32 v[104:105], v[100:101], v[118:119]
	v_fmac_f64_e32 v[106:107], v[90:91], v[112:113]
	v_fma_f64 v[110:111], v[88:89], v[112:113], -v[114:115]
	v_fma_f64 v[100:101], v[100:101], v[116:117], -v[108:109]
	v_add_f64_e32 v[4:5], v[4:5], v[96:97]
	v_add_f64_e32 v[8:9], v[8:9], v[120:121]
	ds_load_b128 v[88:91], v2 offset:1024
	ds_load_b128 v[96:99], v2 offset:1040
	v_fmac_f64_e32 v[104:105], v[102:103], v[116:117]
	s_wait_loadcnt_dscnt 0x601
	v_mul_f64_e32 v[112:113], v[88:89], v[126:127]
	v_mul_f64_e32 v[114:115], v[90:91], v[126:127]
	v_add_f64_e32 v[4:5], v[4:5], v[110:111]
	v_add_f64_e32 v[8:9], v[8:9], v[106:107]
	s_wait_loadcnt_dscnt 0x400
	v_mul_f64_e32 v[106:107], v[96:97], v[12:13]
	v_mul_f64_e32 v[12:13], v[98:99], v[12:13]
	v_fmac_f64_e32 v[112:113], v[90:91], v[124:125]
	v_fma_f64 v[108:109], v[88:89], v[124:125], -v[114:115]
	v_add_f64_e32 v[4:5], v[4:5], v[100:101]
	v_add_f64_e32 v[8:9], v[8:9], v[104:105]
	ds_load_b128 v[88:91], v2 offset:1056
	ds_load_b128 v[100:103], v2 offset:1072
	v_fmac_f64_e32 v[106:107], v[98:99], v[10:11]
	v_fma_f64 v[10:11], v[96:97], v[10:11], -v[12:13]
	s_wait_loadcnt_dscnt 0x301
	v_mul_f64_e32 v[104:105], v[88:89], v[142:143]
	v_mul_f64_e32 v[110:111], v[90:91], v[142:143]
	s_wait_loadcnt_dscnt 0x200
	v_mul_f64_e32 v[12:13], v[100:101], v[86:87]
	v_mul_f64_e32 v[86:87], v[102:103], v[86:87]
	v_add_f64_e32 v[4:5], v[4:5], v[108:109]
	v_add_f64_e32 v[8:9], v[8:9], v[112:113]
	v_fmac_f64_e32 v[104:105], v[90:91], v[140:141]
	v_fma_f64 v[88:89], v[88:89], v[140:141], -v[110:111]
	v_fmac_f64_e32 v[12:13], v[102:103], v[84:85]
	v_fma_f64 v[84:85], v[100:101], v[84:85], -v[86:87]
	v_add_f64_e32 v[90:91], v[4:5], v[10:11]
	v_add_f64_e32 v[96:97], v[8:9], v[106:107]
	ds_load_b128 v[8:11], v2 offset:1088
	ds_load_b128 v[2:5], v2 offset:1104
	s_wait_loadcnt_dscnt 0x101
	v_mul_f64_e32 v[98:99], v[8:9], v[130:131]
	v_mul_f64_e32 v[106:107], v[10:11], v[130:131]
	v_add_f64_e32 v[86:87], v[90:91], v[88:89]
	v_add_f64_e32 v[88:89], v[96:97], v[104:105]
	s_wait_loadcnt_dscnt 0x0
	v_mul_f64_e32 v[90:91], v[2:3], v[94:95]
	v_mul_f64_e32 v[94:95], v[4:5], v[94:95]
	v_fmac_f64_e32 v[98:99], v[10:11], v[128:129]
	v_fma_f64 v[8:9], v[8:9], v[128:129], -v[106:107]
	v_add_f64_e32 v[10:11], v[86:87], v[84:85]
	v_add_f64_e32 v[12:13], v[88:89], v[12:13]
	v_fmac_f64_e32 v[90:91], v[4:5], v[92:93]
	v_fma_f64 v[2:3], v[2:3], v[92:93], -v[94:95]
	s_delay_alu instid0(VALU_DEP_4) | instskip(NEXT) | instid1(VALU_DEP_4)
	v_add_f64_e32 v[4:5], v[10:11], v[8:9]
	v_add_f64_e32 v[8:9], v[12:13], v[98:99]
	s_delay_alu instid0(VALU_DEP_2) | instskip(NEXT) | instid1(VALU_DEP_2)
	v_add_f64_e32 v[2:3], v[4:5], v[2:3]
	v_add_f64_e32 v[4:5], v[8:9], v[90:91]
	s_delay_alu instid0(VALU_DEP_2) | instskip(NEXT) | instid1(VALU_DEP_2)
	v_add_f64_e64 v[2:3], v[132:133], -v[2:3]
	v_add_f64_e64 v[4:5], v[134:135], -v[4:5]
	scratch_store_b128 off, v[2:5], off offset:288
	s_wait_xcnt 0x0
	v_cmpx_lt_u32_e32 17, v1
	s_cbranch_execz .LBB98_189
; %bb.188:
	scratch_load_b128 v[2:5], off, s34
	v_mov_b32_e32 v8, 0
	s_delay_alu instid0(VALU_DEP_1)
	v_dual_mov_b32 v9, v8 :: v_dual_mov_b32 v10, v8
	v_mov_b32_e32 v11, v8
	scratch_store_b128 off, v[8:11], off offset:272
	s_wait_loadcnt 0x0
	ds_store_b128 v6, v[2:5]
.LBB98_189:
	s_wait_xcnt 0x0
	s_or_b32 exec_lo, exec_lo, s2
	s_wait_storecnt_dscnt 0x0
	s_barrier_signal -1
	s_barrier_wait -1
	s_clause 0x9
	scratch_load_b128 v[8:11], off, off offset:288
	scratch_load_b128 v[84:87], off, off offset:304
	;; [unrolled: 1-line block ×10, first 2 shown]
	v_mov_b32_e32 v2, 0
	s_mov_b32 s2, exec_lo
	ds_load_b128 v[120:123], v2 offset:848
	s_clause 0x2
	scratch_load_b128 v[124:127], off, off offset:448
	scratch_load_b128 v[128:131], off, off offset:272
	;; [unrolled: 1-line block ×3, first 2 shown]
	s_wait_loadcnt_dscnt 0xc00
	v_mul_f64_e32 v[4:5], v[122:123], v[10:11]
	v_mul_f64_e32 v[144:145], v[120:121], v[10:11]
	ds_load_b128 v[132:135], v2 offset:864
	scratch_load_b128 v[10:13], off, off offset:464
	ds_load_b128 v[140:143], v2 offset:896
	v_fma_f64 v[4:5], v[120:121], v[8:9], -v[4:5]
	v_fmac_f64_e32 v[144:145], v[122:123], v[8:9]
	ds_load_b128 v[120:123], v2 offset:880
	s_wait_loadcnt_dscnt 0xc02
	v_mul_f64_e32 v[146:147], v[132:133], v[86:87]
	v_mul_f64_e32 v[86:87], v[134:135], v[86:87]
	s_wait_loadcnt_dscnt 0xb00
	v_mul_f64_e32 v[8:9], v[120:121], v[90:91]
	v_mul_f64_e32 v[90:91], v[122:123], v[90:91]
	v_add_f64_e32 v[4:5], 0, v[4:5]
	v_fmac_f64_e32 v[146:147], v[134:135], v[84:85]
	v_fma_f64 v[132:133], v[132:133], v[84:85], -v[86:87]
	v_add_f64_e32 v[134:135], 0, v[144:145]
	scratch_load_b128 v[84:87], off, off offset:496
	v_fmac_f64_e32 v[8:9], v[122:123], v[88:89]
	v_fma_f64 v[148:149], v[120:121], v[88:89], -v[90:91]
	ds_load_b128 v[88:91], v2 offset:912
	s_wait_loadcnt 0xb
	v_mul_f64_e32 v[144:145], v[140:141], v[94:95]
	v_mul_f64_e32 v[94:95], v[142:143], v[94:95]
	scratch_load_b128 v[120:123], off, off offset:512
	v_add_f64_e32 v[4:5], v[4:5], v[132:133]
	v_add_f64_e32 v[146:147], v[134:135], v[146:147]
	ds_load_b128 v[132:135], v2 offset:928
	s_wait_loadcnt_dscnt 0xb01
	v_mul_f64_e32 v[150:151], v[88:89], v[98:99]
	v_mul_f64_e32 v[98:99], v[90:91], v[98:99]
	v_fmac_f64_e32 v[144:145], v[142:143], v[92:93]
	v_fma_f64 v[140:141], v[140:141], v[92:93], -v[94:95]
	scratch_load_b128 v[92:95], off, off offset:528
	v_add_f64_e32 v[4:5], v[4:5], v[148:149]
	v_add_f64_e32 v[8:9], v[146:147], v[8:9]
	v_fmac_f64_e32 v[150:151], v[90:91], v[96:97]
	v_fma_f64 v[148:149], v[88:89], v[96:97], -v[98:99]
	ds_load_b128 v[88:91], v2 offset:944
	s_wait_loadcnt_dscnt 0xb01
	v_mul_f64_e32 v[146:147], v[132:133], v[102:103]
	v_mul_f64_e32 v[102:103], v[134:135], v[102:103]
	scratch_load_b128 v[96:99], off, off offset:544
	v_add_f64_e32 v[4:5], v[4:5], v[140:141]
	v_add_f64_e32 v[8:9], v[8:9], v[144:145]
	s_wait_loadcnt_dscnt 0xb00
	v_mul_f64_e32 v[144:145], v[88:89], v[106:107]
	v_mul_f64_e32 v[106:107], v[90:91], v[106:107]
	ds_load_b128 v[140:143], v2 offset:960
	v_fmac_f64_e32 v[146:147], v[134:135], v[100:101]
	v_fma_f64 v[100:101], v[132:133], v[100:101], -v[102:103]
	s_wait_loadcnt_dscnt 0xa00
	v_mul_f64_e32 v[132:133], v[140:141], v[110:111]
	v_mul_f64_e32 v[110:111], v[142:143], v[110:111]
	v_add_f64_e32 v[4:5], v[4:5], v[148:149]
	v_add_f64_e32 v[8:9], v[8:9], v[150:151]
	v_fmac_f64_e32 v[144:145], v[90:91], v[104:105]
	v_fma_f64 v[104:105], v[88:89], v[104:105], -v[106:107]
	v_fmac_f64_e32 v[132:133], v[142:143], v[108:109]
	v_fma_f64 v[108:109], v[140:141], v[108:109], -v[110:111]
	v_add_f64_e32 v[4:5], v[4:5], v[100:101]
	v_add_f64_e32 v[8:9], v[8:9], v[146:147]
	ds_load_b128 v[88:91], v2 offset:976
	ds_load_b128 v[100:103], v2 offset:992
	s_wait_loadcnt_dscnt 0x901
	v_mul_f64_e32 v[134:135], v[88:89], v[114:115]
	v_mul_f64_e32 v[106:107], v[90:91], v[114:115]
	s_wait_loadcnt_dscnt 0x800
	v_mul_f64_e32 v[110:111], v[100:101], v[118:119]
	v_mul_f64_e32 v[114:115], v[102:103], v[118:119]
	v_add_f64_e32 v[4:5], v[4:5], v[104:105]
	v_add_f64_e32 v[8:9], v[8:9], v[144:145]
	v_fmac_f64_e32 v[134:135], v[90:91], v[112:113]
	v_fma_f64 v[112:113], v[88:89], v[112:113], -v[106:107]
	ds_load_b128 v[88:91], v2 offset:1008
	ds_load_b128 v[104:107], v2 offset:1024
	v_fmac_f64_e32 v[110:111], v[102:103], v[116:117]
	v_fma_f64 v[100:101], v[100:101], v[116:117], -v[114:115]
	v_add_f64_e32 v[4:5], v[4:5], v[108:109]
	v_add_f64_e32 v[8:9], v[8:9], v[132:133]
	s_wait_loadcnt_dscnt 0x701
	v_mul_f64_e32 v[108:109], v[88:89], v[126:127]
	v_mul_f64_e32 v[118:119], v[90:91], v[126:127]
	s_delay_alu instid0(VALU_DEP_4) | instskip(NEXT) | instid1(VALU_DEP_4)
	v_add_f64_e32 v[4:5], v[4:5], v[112:113]
	v_add_f64_e32 v[8:9], v[8:9], v[134:135]
	s_wait_loadcnt_dscnt 0x400
	v_mul_f64_e32 v[112:113], v[104:105], v[12:13]
	v_mul_f64_e32 v[12:13], v[106:107], v[12:13]
	v_fmac_f64_e32 v[108:109], v[90:91], v[124:125]
	v_fma_f64 v[114:115], v[88:89], v[124:125], -v[118:119]
	v_add_f64_e32 v[4:5], v[4:5], v[100:101]
	v_add_f64_e32 v[8:9], v[8:9], v[110:111]
	ds_load_b128 v[88:91], v2 offset:1040
	ds_load_b128 v[100:103], v2 offset:1056
	v_fmac_f64_e32 v[112:113], v[106:107], v[10:11]
	v_fma_f64 v[10:11], v[104:105], v[10:11], -v[12:13]
	s_wait_dscnt 0x1
	v_mul_f64_e32 v[110:111], v[88:89], v[138:139]
	v_mul_f64_e32 v[116:117], v[90:91], v[138:139]
	v_add_f64_e32 v[4:5], v[4:5], v[114:115]
	v_add_f64_e32 v[8:9], v[8:9], v[108:109]
	s_wait_loadcnt_dscnt 0x300
	v_mul_f64_e32 v[12:13], v[100:101], v[86:87]
	v_mul_f64_e32 v[104:105], v[102:103], v[86:87]
	v_fmac_f64_e32 v[110:111], v[90:91], v[136:137]
	v_fma_f64 v[90:91], v[88:89], v[136:137], -v[116:117]
	v_add_f64_e32 v[4:5], v[4:5], v[10:11]
	v_add_f64_e32 v[106:107], v[8:9], v[112:113]
	ds_load_b128 v[8:11], v2 offset:1072
	ds_load_b128 v[86:89], v2 offset:1088
	v_fmac_f64_e32 v[12:13], v[102:103], v[84:85]
	v_fma_f64 v[84:85], v[100:101], v[84:85], -v[104:105]
	s_wait_loadcnt_dscnt 0x201
	v_mul_f64_e32 v[108:109], v[8:9], v[122:123]
	v_mul_f64_e32 v[112:113], v[10:11], v[122:123]
	s_wait_loadcnt_dscnt 0x100
	v_mul_f64_e32 v[100:101], v[86:87], v[94:95]
	v_mul_f64_e32 v[94:95], v[88:89], v[94:95]
	v_add_f64_e32 v[4:5], v[4:5], v[90:91]
	v_add_f64_e32 v[90:91], v[106:107], v[110:111]
	v_fmac_f64_e32 v[108:109], v[10:11], v[120:121]
	v_fma_f64 v[102:103], v[8:9], v[120:121], -v[112:113]
	ds_load_b128 v[8:11], v2 offset:1104
	v_fmac_f64_e32 v[100:101], v[88:89], v[92:93]
	v_fma_f64 v[86:87], v[86:87], v[92:93], -v[94:95]
	v_add_f64_e32 v[4:5], v[4:5], v[84:85]
	v_add_f64_e32 v[12:13], v[90:91], v[12:13]
	s_wait_loadcnt_dscnt 0x0
	v_mul_f64_e32 v[84:85], v[8:9], v[98:99]
	v_mul_f64_e32 v[90:91], v[10:11], v[98:99]
	s_delay_alu instid0(VALU_DEP_4) | instskip(NEXT) | instid1(VALU_DEP_4)
	v_add_f64_e32 v[4:5], v[4:5], v[102:103]
	v_add_f64_e32 v[12:13], v[12:13], v[108:109]
	s_delay_alu instid0(VALU_DEP_4) | instskip(NEXT) | instid1(VALU_DEP_4)
	v_fmac_f64_e32 v[84:85], v[10:11], v[96:97]
	v_fma_f64 v[8:9], v[8:9], v[96:97], -v[90:91]
	s_delay_alu instid0(VALU_DEP_4) | instskip(NEXT) | instid1(VALU_DEP_4)
	v_add_f64_e32 v[4:5], v[4:5], v[86:87]
	v_add_f64_e32 v[10:11], v[12:13], v[100:101]
	s_delay_alu instid0(VALU_DEP_2) | instskip(NEXT) | instid1(VALU_DEP_2)
	v_add_f64_e32 v[4:5], v[4:5], v[8:9]
	v_add_f64_e32 v[10:11], v[10:11], v[84:85]
	s_delay_alu instid0(VALU_DEP_2) | instskip(NEXT) | instid1(VALU_DEP_2)
	v_add_f64_e64 v[8:9], v[128:129], -v[4:5]
	v_add_f64_e64 v[10:11], v[130:131], -v[10:11]
	scratch_store_b128 off, v[8:11], off offset:272
	s_wait_xcnt 0x0
	v_cmpx_lt_u32_e32 16, v1
	s_cbranch_execz .LBB98_191
; %bb.190:
	scratch_load_b128 v[8:11], off, s35
	v_dual_mov_b32 v3, v2 :: v_dual_mov_b32 v4, v2
	v_mov_b32_e32 v5, v2
	scratch_store_b128 off, v[2:5], off offset:256
	s_wait_loadcnt 0x0
	ds_store_b128 v6, v[8:11]
.LBB98_191:
	s_wait_xcnt 0x0
	s_or_b32 exec_lo, exec_lo, s2
	s_wait_storecnt_dscnt 0x0
	s_barrier_signal -1
	s_barrier_wait -1
	s_clause 0x9
	scratch_load_b128 v[8:11], off, off offset:272
	scratch_load_b128 v[84:87], off, off offset:288
	;; [unrolled: 1-line block ×10, first 2 shown]
	ds_load_b128 v[120:123], v2 offset:832
	ds_load_b128 v[128:131], v2 offset:848
	s_clause 0x1
	scratch_load_b128 v[124:127], off, off offset:432
	scratch_load_b128 v[132:135], off, off offset:256
	s_mov_b32 s2, exec_lo
	s_wait_loadcnt_dscnt 0xb01
	v_mul_f64_e32 v[4:5], v[122:123], v[10:11]
	v_mul_f64_e32 v[144:145], v[120:121], v[10:11]
	scratch_load_b128 v[10:13], off, off offset:448
	s_wait_loadcnt_dscnt 0xb00
	v_mul_f64_e32 v[146:147], v[128:129], v[86:87]
	v_mul_f64_e32 v[86:87], v[130:131], v[86:87]
	v_fma_f64 v[4:5], v[120:121], v[8:9], -v[4:5]
	v_fmac_f64_e32 v[144:145], v[122:123], v[8:9]
	ds_load_b128 v[120:123], v2 offset:864
	ds_load_b128 v[136:139], v2 offset:880
	scratch_load_b128 v[140:143], off, off offset:464
	v_fmac_f64_e32 v[146:147], v[130:131], v[84:85]
	v_fma_f64 v[128:129], v[128:129], v[84:85], -v[86:87]
	scratch_load_b128 v[84:87], off, off offset:480
	s_wait_loadcnt_dscnt 0xc01
	v_mul_f64_e32 v[8:9], v[120:121], v[90:91]
	v_mul_f64_e32 v[90:91], v[122:123], v[90:91]
	v_add_f64_e32 v[4:5], 0, v[4:5]
	v_add_f64_e32 v[130:131], 0, v[144:145]
	s_wait_loadcnt_dscnt 0xb00
	v_mul_f64_e32 v[144:145], v[136:137], v[94:95]
	v_mul_f64_e32 v[94:95], v[138:139], v[94:95]
	v_fmac_f64_e32 v[8:9], v[122:123], v[88:89]
	v_fma_f64 v[148:149], v[120:121], v[88:89], -v[90:91]
	ds_load_b128 v[88:91], v2 offset:896
	ds_load_b128 v[120:123], v2 offset:912
	v_add_f64_e32 v[4:5], v[4:5], v[128:129]
	v_add_f64_e32 v[146:147], v[130:131], v[146:147]
	scratch_load_b128 v[128:131], off, off offset:496
	v_fmac_f64_e32 v[144:145], v[138:139], v[92:93]
	v_fma_f64 v[136:137], v[136:137], v[92:93], -v[94:95]
	scratch_load_b128 v[92:95], off, off offset:512
	s_wait_loadcnt_dscnt 0xc01
	v_mul_f64_e32 v[150:151], v[88:89], v[98:99]
	v_mul_f64_e32 v[98:99], v[90:91], v[98:99]
	v_add_f64_e32 v[4:5], v[4:5], v[148:149]
	v_add_f64_e32 v[8:9], v[146:147], v[8:9]
	s_wait_loadcnt_dscnt 0xb00
	v_mul_f64_e32 v[146:147], v[120:121], v[102:103]
	v_mul_f64_e32 v[102:103], v[122:123], v[102:103]
	v_fmac_f64_e32 v[150:151], v[90:91], v[96:97]
	v_fma_f64 v[148:149], v[88:89], v[96:97], -v[98:99]
	ds_load_b128 v[88:91], v2 offset:928
	ds_load_b128 v[96:99], v2 offset:944
	v_add_f64_e32 v[4:5], v[4:5], v[136:137]
	v_add_f64_e32 v[8:9], v[8:9], v[144:145]
	scratch_load_b128 v[136:139], off, off offset:528
	s_wait_loadcnt_dscnt 0xb01
	v_mul_f64_e32 v[144:145], v[88:89], v[106:107]
	v_mul_f64_e32 v[106:107], v[90:91], v[106:107]
	v_fmac_f64_e32 v[146:147], v[122:123], v[100:101]
	v_fma_f64 v[120:121], v[120:121], v[100:101], -v[102:103]
	scratch_load_b128 v[100:103], off, off offset:544
	s_wait_loadcnt_dscnt 0xb00
	v_mul_f64_e32 v[122:123], v[96:97], v[110:111]
	v_mul_f64_e32 v[110:111], v[98:99], v[110:111]
	v_add_f64_e32 v[4:5], v[4:5], v[148:149]
	v_add_f64_e32 v[8:9], v[8:9], v[150:151]
	v_fmac_f64_e32 v[144:145], v[90:91], v[104:105]
	v_fma_f64 v[148:149], v[88:89], v[104:105], -v[106:107]
	ds_load_b128 v[88:91], v2 offset:960
	ds_load_b128 v[104:107], v2 offset:976
	v_fmac_f64_e32 v[122:123], v[98:99], v[108:109]
	v_fma_f64 v[96:97], v[96:97], v[108:109], -v[110:111]
	s_wait_loadcnt_dscnt 0x900
	v_mul_f64_e32 v[108:109], v[104:105], v[118:119]
	v_mul_f64_e32 v[110:111], v[106:107], v[118:119]
	v_add_f64_e32 v[4:5], v[4:5], v[120:121]
	v_add_f64_e32 v[8:9], v[8:9], v[146:147]
	v_mul_f64_e32 v[120:121], v[88:89], v[114:115]
	v_mul_f64_e32 v[114:115], v[90:91], v[114:115]
	v_fmac_f64_e32 v[108:109], v[106:107], v[116:117]
	v_fma_f64 v[104:105], v[104:105], v[116:117], -v[110:111]
	v_add_f64_e32 v[4:5], v[4:5], v[148:149]
	v_add_f64_e32 v[8:9], v[8:9], v[144:145]
	v_fmac_f64_e32 v[120:121], v[90:91], v[112:113]
	v_fma_f64 v[112:113], v[88:89], v[112:113], -v[114:115]
	s_delay_alu instid0(VALU_DEP_4) | instskip(NEXT) | instid1(VALU_DEP_4)
	v_add_f64_e32 v[4:5], v[4:5], v[96:97]
	v_add_f64_e32 v[8:9], v[8:9], v[122:123]
	ds_load_b128 v[88:91], v2 offset:992
	ds_load_b128 v[96:99], v2 offset:1008
	s_wait_loadcnt_dscnt 0x801
	v_mul_f64_e32 v[114:115], v[88:89], v[126:127]
	v_mul_f64_e32 v[118:119], v[90:91], v[126:127]
	v_add_f64_e32 v[4:5], v[4:5], v[112:113]
	v_add_f64_e32 v[8:9], v[8:9], v[120:121]
	s_wait_loadcnt_dscnt 0x600
	v_mul_f64_e32 v[110:111], v[96:97], v[12:13]
	v_mul_f64_e32 v[12:13], v[98:99], v[12:13]
	v_fmac_f64_e32 v[114:115], v[90:91], v[124:125]
	v_fma_f64 v[112:113], v[88:89], v[124:125], -v[118:119]
	v_add_f64_e32 v[4:5], v[4:5], v[104:105]
	v_add_f64_e32 v[8:9], v[8:9], v[108:109]
	ds_load_b128 v[88:91], v2 offset:1024
	ds_load_b128 v[104:107], v2 offset:1040
	v_fmac_f64_e32 v[110:111], v[98:99], v[10:11]
	v_fma_f64 v[10:11], v[96:97], v[10:11], -v[12:13]
	s_wait_loadcnt_dscnt 0x501
	v_mul_f64_e32 v[108:109], v[88:89], v[142:143]
	v_mul_f64_e32 v[116:117], v[90:91], v[142:143]
	s_wait_loadcnt_dscnt 0x400
	v_mul_f64_e32 v[12:13], v[104:105], v[86:87]
	v_mul_f64_e32 v[96:97], v[106:107], v[86:87]
	v_add_f64_e32 v[4:5], v[4:5], v[112:113]
	v_add_f64_e32 v[8:9], v[8:9], v[114:115]
	v_fmac_f64_e32 v[108:109], v[90:91], v[140:141]
	v_fma_f64 v[90:91], v[88:89], v[140:141], -v[116:117]
	v_fmac_f64_e32 v[12:13], v[106:107], v[84:85]
	v_fma_f64 v[84:85], v[104:105], v[84:85], -v[96:97]
	v_add_f64_e32 v[4:5], v[4:5], v[10:11]
	v_add_f64_e32 v[98:99], v[8:9], v[110:111]
	ds_load_b128 v[8:11], v2 offset:1056
	ds_load_b128 v[86:89], v2 offset:1072
	s_wait_loadcnt_dscnt 0x301
	v_mul_f64_e32 v[110:111], v[8:9], v[130:131]
	v_mul_f64_e32 v[112:113], v[10:11], v[130:131]
	s_wait_loadcnt_dscnt 0x200
	v_mul_f64_e32 v[96:97], v[86:87], v[94:95]
	v_mul_f64_e32 v[94:95], v[88:89], v[94:95]
	v_add_f64_e32 v[4:5], v[4:5], v[90:91]
	v_add_f64_e32 v[90:91], v[98:99], v[108:109]
	v_fmac_f64_e32 v[110:111], v[10:11], v[128:129]
	v_fma_f64 v[98:99], v[8:9], v[128:129], -v[112:113]
	v_fmac_f64_e32 v[96:97], v[88:89], v[92:93]
	v_fma_f64 v[86:87], v[86:87], v[92:93], -v[94:95]
	v_add_f64_e32 v[84:85], v[4:5], v[84:85]
	v_add_f64_e32 v[12:13], v[90:91], v[12:13]
	ds_load_b128 v[8:11], v2 offset:1088
	ds_load_b128 v[2:5], v2 offset:1104
	s_wait_loadcnt_dscnt 0x101
	v_mul_f64_e32 v[90:91], v[8:9], v[138:139]
	v_mul_f64_e32 v[104:105], v[10:11], v[138:139]
	s_wait_loadcnt_dscnt 0x0
	v_mul_f64_e32 v[88:89], v[2:3], v[102:103]
	v_mul_f64_e32 v[92:93], v[4:5], v[102:103]
	v_add_f64_e32 v[84:85], v[84:85], v[98:99]
	v_add_f64_e32 v[12:13], v[12:13], v[110:111]
	v_fmac_f64_e32 v[90:91], v[10:11], v[136:137]
	v_fma_f64 v[8:9], v[8:9], v[136:137], -v[104:105]
	v_fmac_f64_e32 v[88:89], v[4:5], v[100:101]
	v_fma_f64 v[2:3], v[2:3], v[100:101], -v[92:93]
	v_add_f64_e32 v[10:11], v[84:85], v[86:87]
	v_add_f64_e32 v[12:13], v[12:13], v[96:97]
	s_delay_alu instid0(VALU_DEP_2) | instskip(NEXT) | instid1(VALU_DEP_2)
	v_add_f64_e32 v[4:5], v[10:11], v[8:9]
	v_add_f64_e32 v[8:9], v[12:13], v[90:91]
	s_delay_alu instid0(VALU_DEP_2) | instskip(NEXT) | instid1(VALU_DEP_2)
	;; [unrolled: 3-line block ×3, first 2 shown]
	v_add_f64_e64 v[2:3], v[132:133], -v[2:3]
	v_add_f64_e64 v[4:5], v[134:135], -v[4:5]
	scratch_store_b128 off, v[2:5], off offset:256
	s_wait_xcnt 0x0
	v_cmpx_lt_u32_e32 15, v1
	s_cbranch_execz .LBB98_193
; %bb.192:
	scratch_load_b128 v[2:5], off, s36
	v_mov_b32_e32 v8, 0
	s_delay_alu instid0(VALU_DEP_1)
	v_dual_mov_b32 v9, v8 :: v_dual_mov_b32 v10, v8
	v_mov_b32_e32 v11, v8
	scratch_store_b128 off, v[8:11], off offset:240
	s_wait_loadcnt 0x0
	ds_store_b128 v6, v[2:5]
.LBB98_193:
	s_wait_xcnt 0x0
	s_or_b32 exec_lo, exec_lo, s2
	s_wait_storecnt_dscnt 0x0
	s_barrier_signal -1
	s_barrier_wait -1
	s_clause 0x9
	scratch_load_b128 v[8:11], off, off offset:256
	scratch_load_b128 v[84:87], off, off offset:272
	;; [unrolled: 1-line block ×10, first 2 shown]
	v_mov_b32_e32 v2, 0
	s_mov_b32 s2, exec_lo
	ds_load_b128 v[120:123], v2 offset:816
	s_clause 0x2
	scratch_load_b128 v[124:127], off, off offset:416
	scratch_load_b128 v[128:131], off, off offset:240
	;; [unrolled: 1-line block ×3, first 2 shown]
	s_wait_loadcnt_dscnt 0xc00
	v_mul_f64_e32 v[4:5], v[122:123], v[10:11]
	v_mul_f64_e32 v[144:145], v[120:121], v[10:11]
	ds_load_b128 v[132:135], v2 offset:832
	scratch_load_b128 v[10:13], off, off offset:432
	ds_load_b128 v[140:143], v2 offset:864
	v_fma_f64 v[4:5], v[120:121], v[8:9], -v[4:5]
	v_fmac_f64_e32 v[144:145], v[122:123], v[8:9]
	ds_load_b128 v[120:123], v2 offset:848
	s_wait_loadcnt_dscnt 0xc02
	v_mul_f64_e32 v[146:147], v[132:133], v[86:87]
	v_mul_f64_e32 v[86:87], v[134:135], v[86:87]
	s_wait_loadcnt_dscnt 0xb00
	v_mul_f64_e32 v[8:9], v[120:121], v[90:91]
	v_mul_f64_e32 v[90:91], v[122:123], v[90:91]
	v_add_f64_e32 v[4:5], 0, v[4:5]
	v_fmac_f64_e32 v[146:147], v[134:135], v[84:85]
	v_fma_f64 v[132:133], v[132:133], v[84:85], -v[86:87]
	v_add_f64_e32 v[134:135], 0, v[144:145]
	scratch_load_b128 v[84:87], off, off offset:464
	v_fmac_f64_e32 v[8:9], v[122:123], v[88:89]
	v_fma_f64 v[148:149], v[120:121], v[88:89], -v[90:91]
	ds_load_b128 v[88:91], v2 offset:880
	s_wait_loadcnt 0xb
	v_mul_f64_e32 v[144:145], v[140:141], v[94:95]
	v_mul_f64_e32 v[94:95], v[142:143], v[94:95]
	scratch_load_b128 v[120:123], off, off offset:480
	v_add_f64_e32 v[4:5], v[4:5], v[132:133]
	v_add_f64_e32 v[146:147], v[134:135], v[146:147]
	ds_load_b128 v[132:135], v2 offset:896
	s_wait_loadcnt_dscnt 0xb01
	v_mul_f64_e32 v[150:151], v[88:89], v[98:99]
	v_mul_f64_e32 v[98:99], v[90:91], v[98:99]
	v_fmac_f64_e32 v[144:145], v[142:143], v[92:93]
	v_fma_f64 v[140:141], v[140:141], v[92:93], -v[94:95]
	scratch_load_b128 v[92:95], off, off offset:496
	v_add_f64_e32 v[4:5], v[4:5], v[148:149]
	v_add_f64_e32 v[8:9], v[146:147], v[8:9]
	v_fmac_f64_e32 v[150:151], v[90:91], v[96:97]
	v_fma_f64 v[148:149], v[88:89], v[96:97], -v[98:99]
	ds_load_b128 v[88:91], v2 offset:912
	s_wait_loadcnt_dscnt 0xb01
	v_mul_f64_e32 v[146:147], v[132:133], v[102:103]
	v_mul_f64_e32 v[102:103], v[134:135], v[102:103]
	scratch_load_b128 v[96:99], off, off offset:512
	v_add_f64_e32 v[4:5], v[4:5], v[140:141]
	v_add_f64_e32 v[8:9], v[8:9], v[144:145]
	s_wait_loadcnt_dscnt 0xb00
	v_mul_f64_e32 v[144:145], v[88:89], v[106:107]
	v_mul_f64_e32 v[106:107], v[90:91], v[106:107]
	ds_load_b128 v[140:143], v2 offset:928
	v_fmac_f64_e32 v[146:147], v[134:135], v[100:101]
	v_fma_f64 v[132:133], v[132:133], v[100:101], -v[102:103]
	scratch_load_b128 v[100:103], off, off offset:528
	v_add_f64_e32 v[4:5], v[4:5], v[148:149]
	v_add_f64_e32 v[8:9], v[8:9], v[150:151]
	v_fmac_f64_e32 v[144:145], v[90:91], v[104:105]
	v_fma_f64 v[150:151], v[88:89], v[104:105], -v[106:107]
	ds_load_b128 v[88:91], v2 offset:944
	s_wait_loadcnt_dscnt 0xb01
	v_mul_f64_e32 v[148:149], v[140:141], v[110:111]
	v_mul_f64_e32 v[110:111], v[142:143], v[110:111]
	scratch_load_b128 v[104:107], off, off offset:544
	v_add_f64_e32 v[4:5], v[4:5], v[132:133]
	v_add_f64_e32 v[8:9], v[8:9], v[146:147]
	s_wait_loadcnt_dscnt 0xb00
	v_mul_f64_e32 v[146:147], v[88:89], v[114:115]
	v_mul_f64_e32 v[114:115], v[90:91], v[114:115]
	ds_load_b128 v[132:135], v2 offset:960
	v_fmac_f64_e32 v[148:149], v[142:143], v[108:109]
	v_fma_f64 v[108:109], v[140:141], v[108:109], -v[110:111]
	s_wait_loadcnt_dscnt 0xa00
	v_mul_f64_e32 v[140:141], v[132:133], v[118:119]
	v_mul_f64_e32 v[118:119], v[134:135], v[118:119]
	v_add_f64_e32 v[4:5], v[4:5], v[150:151]
	v_add_f64_e32 v[8:9], v[8:9], v[144:145]
	v_fmac_f64_e32 v[146:147], v[90:91], v[112:113]
	v_fma_f64 v[112:113], v[88:89], v[112:113], -v[114:115]
	v_fmac_f64_e32 v[140:141], v[134:135], v[116:117]
	v_fma_f64 v[116:117], v[132:133], v[116:117], -v[118:119]
	v_add_f64_e32 v[4:5], v[4:5], v[108:109]
	v_add_f64_e32 v[8:9], v[8:9], v[148:149]
	ds_load_b128 v[88:91], v2 offset:976
	ds_load_b128 v[108:111], v2 offset:992
	s_wait_loadcnt_dscnt 0x901
	v_mul_f64_e32 v[142:143], v[88:89], v[126:127]
	v_mul_f64_e32 v[114:115], v[90:91], v[126:127]
	s_wait_loadcnt_dscnt 0x600
	v_mul_f64_e32 v[118:119], v[108:109], v[12:13]
	v_add_f64_e32 v[4:5], v[4:5], v[112:113]
	v_add_f64_e32 v[8:9], v[8:9], v[146:147]
	v_mul_f64_e32 v[12:13], v[110:111], v[12:13]
	v_fmac_f64_e32 v[142:143], v[90:91], v[124:125]
	v_fma_f64 v[124:125], v[88:89], v[124:125], -v[114:115]
	ds_load_b128 v[88:91], v2 offset:1008
	ds_load_b128 v[112:115], v2 offset:1024
	v_fmac_f64_e32 v[118:119], v[110:111], v[10:11]
	v_add_f64_e32 v[4:5], v[4:5], v[116:117]
	v_add_f64_e32 v[8:9], v[8:9], v[140:141]
	v_fma_f64 v[10:11], v[108:109], v[10:11], -v[12:13]
	s_wait_dscnt 0x1
	v_mul_f64_e32 v[116:117], v[88:89], v[138:139]
	v_mul_f64_e32 v[126:127], v[90:91], v[138:139]
	v_add_f64_e32 v[4:5], v[4:5], v[124:125]
	v_add_f64_e32 v[8:9], v[8:9], v[142:143]
	s_wait_loadcnt_dscnt 0x500
	v_mul_f64_e32 v[12:13], v[112:113], v[86:87]
	v_mul_f64_e32 v[108:109], v[114:115], v[86:87]
	v_fmac_f64_e32 v[116:117], v[90:91], v[136:137]
	v_fma_f64 v[90:91], v[88:89], v[136:137], -v[126:127]
	v_add_f64_e32 v[4:5], v[4:5], v[10:11]
	v_add_f64_e32 v[110:111], v[8:9], v[118:119]
	ds_load_b128 v[8:11], v2 offset:1040
	ds_load_b128 v[86:89], v2 offset:1056
	v_fmac_f64_e32 v[12:13], v[114:115], v[84:85]
	v_fma_f64 v[84:85], v[112:113], v[84:85], -v[108:109]
	s_wait_loadcnt_dscnt 0x401
	v_mul_f64_e32 v[118:119], v[8:9], v[122:123]
	v_mul_f64_e32 v[122:123], v[10:11], v[122:123]
	s_wait_loadcnt_dscnt 0x300
	v_mul_f64_e32 v[112:113], v[86:87], v[94:95]
	v_mul_f64_e32 v[94:95], v[88:89], v[94:95]
	v_add_f64_e32 v[4:5], v[4:5], v[90:91]
	v_add_f64_e32 v[90:91], v[110:111], v[116:117]
	v_fmac_f64_e32 v[118:119], v[10:11], v[120:121]
	v_fma_f64 v[114:115], v[8:9], v[120:121], -v[122:123]
	ds_load_b128 v[8:11], v2 offset:1072
	ds_load_b128 v[108:111], v2 offset:1088
	v_fmac_f64_e32 v[112:113], v[88:89], v[92:93]
	v_fma_f64 v[86:87], v[86:87], v[92:93], -v[94:95]
	v_add_f64_e32 v[4:5], v[4:5], v[84:85]
	v_add_f64_e32 v[12:13], v[90:91], v[12:13]
	s_wait_loadcnt_dscnt 0x201
	v_mul_f64_e32 v[84:85], v[8:9], v[98:99]
	v_mul_f64_e32 v[90:91], v[10:11], v[98:99]
	s_wait_loadcnt_dscnt 0x100
	v_mul_f64_e32 v[88:89], v[108:109], v[102:103]
	v_mul_f64_e32 v[92:93], v[110:111], v[102:103]
	v_add_f64_e32 v[4:5], v[4:5], v[114:115]
	v_add_f64_e32 v[12:13], v[12:13], v[118:119]
	v_fmac_f64_e32 v[84:85], v[10:11], v[96:97]
	v_fma_f64 v[90:91], v[8:9], v[96:97], -v[90:91]
	ds_load_b128 v[8:11], v2 offset:1104
	v_fmac_f64_e32 v[88:89], v[110:111], v[100:101]
	v_fma_f64 v[92:93], v[108:109], v[100:101], -v[92:93]
	s_wait_loadcnt_dscnt 0x0
	v_mul_f64_e32 v[94:95], v[10:11], v[106:107]
	v_add_f64_e32 v[4:5], v[4:5], v[86:87]
	v_add_f64_e32 v[12:13], v[12:13], v[112:113]
	v_mul_f64_e32 v[86:87], v[8:9], v[106:107]
	s_delay_alu instid0(VALU_DEP_4) | instskip(NEXT) | instid1(VALU_DEP_4)
	v_fma_f64 v[8:9], v[8:9], v[104:105], -v[94:95]
	v_add_f64_e32 v[4:5], v[4:5], v[90:91]
	s_delay_alu instid0(VALU_DEP_4) | instskip(NEXT) | instid1(VALU_DEP_4)
	v_add_f64_e32 v[12:13], v[12:13], v[84:85]
	v_fmac_f64_e32 v[86:87], v[10:11], v[104:105]
	s_delay_alu instid0(VALU_DEP_3) | instskip(NEXT) | instid1(VALU_DEP_3)
	v_add_f64_e32 v[4:5], v[4:5], v[92:93]
	v_add_f64_e32 v[10:11], v[12:13], v[88:89]
	s_delay_alu instid0(VALU_DEP_2) | instskip(NEXT) | instid1(VALU_DEP_2)
	v_add_f64_e32 v[4:5], v[4:5], v[8:9]
	v_add_f64_e32 v[10:11], v[10:11], v[86:87]
	s_delay_alu instid0(VALU_DEP_2) | instskip(NEXT) | instid1(VALU_DEP_2)
	v_add_f64_e64 v[8:9], v[128:129], -v[4:5]
	v_add_f64_e64 v[10:11], v[130:131], -v[10:11]
	scratch_store_b128 off, v[8:11], off offset:240
	s_wait_xcnt 0x0
	v_cmpx_lt_u32_e32 14, v1
	s_cbranch_execz .LBB98_195
; %bb.194:
	scratch_load_b128 v[8:11], off, s37
	v_dual_mov_b32 v3, v2 :: v_dual_mov_b32 v4, v2
	v_mov_b32_e32 v5, v2
	scratch_store_b128 off, v[2:5], off offset:224
	s_wait_loadcnt 0x0
	ds_store_b128 v6, v[8:11]
.LBB98_195:
	s_wait_xcnt 0x0
	s_or_b32 exec_lo, exec_lo, s2
	s_wait_storecnt_dscnt 0x0
	s_barrier_signal -1
	s_barrier_wait -1
	s_clause 0x9
	scratch_load_b128 v[8:11], off, off offset:240
	scratch_load_b128 v[84:87], off, off offset:256
	;; [unrolled: 1-line block ×10, first 2 shown]
	ds_load_b128 v[120:123], v2 offset:800
	ds_load_b128 v[128:131], v2 offset:816
	s_clause 0x1
	scratch_load_b128 v[124:127], off, off offset:400
	scratch_load_b128 v[132:135], off, off offset:224
	s_mov_b32 s2, exec_lo
	s_wait_loadcnt_dscnt 0xb01
	v_mul_f64_e32 v[4:5], v[122:123], v[10:11]
	v_mul_f64_e32 v[144:145], v[120:121], v[10:11]
	scratch_load_b128 v[10:13], off, off offset:416
	s_wait_loadcnt_dscnt 0xb00
	v_mul_f64_e32 v[146:147], v[128:129], v[86:87]
	v_mul_f64_e32 v[86:87], v[130:131], v[86:87]
	v_fma_f64 v[4:5], v[120:121], v[8:9], -v[4:5]
	v_fmac_f64_e32 v[144:145], v[122:123], v[8:9]
	ds_load_b128 v[120:123], v2 offset:832
	ds_load_b128 v[136:139], v2 offset:848
	scratch_load_b128 v[140:143], off, off offset:432
	v_fmac_f64_e32 v[146:147], v[130:131], v[84:85]
	v_fma_f64 v[128:129], v[128:129], v[84:85], -v[86:87]
	scratch_load_b128 v[84:87], off, off offset:448
	s_wait_loadcnt_dscnt 0xc01
	v_mul_f64_e32 v[8:9], v[120:121], v[90:91]
	v_mul_f64_e32 v[90:91], v[122:123], v[90:91]
	v_add_f64_e32 v[4:5], 0, v[4:5]
	v_add_f64_e32 v[130:131], 0, v[144:145]
	s_wait_loadcnt_dscnt 0xb00
	v_mul_f64_e32 v[144:145], v[136:137], v[94:95]
	v_mul_f64_e32 v[94:95], v[138:139], v[94:95]
	v_fmac_f64_e32 v[8:9], v[122:123], v[88:89]
	v_fma_f64 v[148:149], v[120:121], v[88:89], -v[90:91]
	ds_load_b128 v[88:91], v2 offset:864
	ds_load_b128 v[120:123], v2 offset:880
	v_add_f64_e32 v[4:5], v[4:5], v[128:129]
	v_add_f64_e32 v[146:147], v[130:131], v[146:147]
	scratch_load_b128 v[128:131], off, off offset:464
	v_fmac_f64_e32 v[144:145], v[138:139], v[92:93]
	v_fma_f64 v[136:137], v[136:137], v[92:93], -v[94:95]
	scratch_load_b128 v[92:95], off, off offset:480
	s_wait_loadcnt_dscnt 0xc01
	v_mul_f64_e32 v[150:151], v[88:89], v[98:99]
	v_mul_f64_e32 v[98:99], v[90:91], v[98:99]
	v_add_f64_e32 v[4:5], v[4:5], v[148:149]
	v_add_f64_e32 v[8:9], v[146:147], v[8:9]
	s_wait_loadcnt_dscnt 0xb00
	v_mul_f64_e32 v[146:147], v[120:121], v[102:103]
	v_mul_f64_e32 v[102:103], v[122:123], v[102:103]
	v_fmac_f64_e32 v[150:151], v[90:91], v[96:97]
	v_fma_f64 v[148:149], v[88:89], v[96:97], -v[98:99]
	ds_load_b128 v[88:91], v2 offset:896
	ds_load_b128 v[96:99], v2 offset:912
	v_add_f64_e32 v[4:5], v[4:5], v[136:137]
	v_add_f64_e32 v[8:9], v[8:9], v[144:145]
	scratch_load_b128 v[136:139], off, off offset:496
	s_wait_loadcnt_dscnt 0xb01
	v_mul_f64_e32 v[144:145], v[88:89], v[106:107]
	v_mul_f64_e32 v[106:107], v[90:91], v[106:107]
	v_fmac_f64_e32 v[146:147], v[122:123], v[100:101]
	v_fma_f64 v[120:121], v[120:121], v[100:101], -v[102:103]
	scratch_load_b128 v[100:103], off, off offset:512
	v_add_f64_e32 v[4:5], v[4:5], v[148:149]
	v_add_f64_e32 v[8:9], v[8:9], v[150:151]
	s_wait_loadcnt_dscnt 0xb00
	v_mul_f64_e32 v[148:149], v[96:97], v[110:111]
	v_mul_f64_e32 v[110:111], v[98:99], v[110:111]
	v_fmac_f64_e32 v[144:145], v[90:91], v[104:105]
	v_fma_f64 v[150:151], v[88:89], v[104:105], -v[106:107]
	ds_load_b128 v[88:91], v2 offset:928
	ds_load_b128 v[104:107], v2 offset:944
	v_add_f64_e32 v[4:5], v[4:5], v[120:121]
	v_add_f64_e32 v[8:9], v[8:9], v[146:147]
	scratch_load_b128 v[120:123], off, off offset:528
	s_wait_loadcnt_dscnt 0xb01
	v_mul_f64_e32 v[146:147], v[88:89], v[114:115]
	v_mul_f64_e32 v[114:115], v[90:91], v[114:115]
	v_fmac_f64_e32 v[148:149], v[98:99], v[108:109]
	v_fma_f64 v[108:109], v[96:97], v[108:109], -v[110:111]
	scratch_load_b128 v[96:99], off, off offset:544
	v_add_f64_e32 v[4:5], v[4:5], v[150:151]
	v_add_f64_e32 v[8:9], v[8:9], v[144:145]
	s_wait_loadcnt_dscnt 0xb00
	v_mul_f64_e32 v[144:145], v[104:105], v[118:119]
	v_mul_f64_e32 v[118:119], v[106:107], v[118:119]
	v_fmac_f64_e32 v[146:147], v[90:91], v[112:113]
	v_fma_f64 v[112:113], v[88:89], v[112:113], -v[114:115]
	v_add_f64_e32 v[4:5], v[4:5], v[108:109]
	v_add_f64_e32 v[8:9], v[8:9], v[148:149]
	ds_load_b128 v[88:91], v2 offset:960
	ds_load_b128 v[108:111], v2 offset:976
	v_fmac_f64_e32 v[144:145], v[106:107], v[116:117]
	v_fma_f64 v[104:105], v[104:105], v[116:117], -v[118:119]
	s_wait_loadcnt_dscnt 0xa01
	v_mul_f64_e32 v[114:115], v[88:89], v[126:127]
	v_mul_f64_e32 v[126:127], v[90:91], v[126:127]
	v_add_f64_e32 v[4:5], v[4:5], v[112:113]
	v_add_f64_e32 v[8:9], v[8:9], v[146:147]
	s_wait_loadcnt_dscnt 0x800
	v_mul_f64_e32 v[112:113], v[108:109], v[12:13]
	v_mul_f64_e32 v[12:13], v[110:111], v[12:13]
	v_fmac_f64_e32 v[114:115], v[90:91], v[124:125]
	v_fma_f64 v[116:117], v[88:89], v[124:125], -v[126:127]
	v_add_f64_e32 v[4:5], v[4:5], v[104:105]
	v_add_f64_e32 v[8:9], v[8:9], v[144:145]
	ds_load_b128 v[88:91], v2 offset:992
	ds_load_b128 v[104:107], v2 offset:1008
	v_fmac_f64_e32 v[112:113], v[110:111], v[10:11]
	v_fma_f64 v[10:11], v[108:109], v[10:11], -v[12:13]
	s_wait_loadcnt_dscnt 0x701
	v_mul_f64_e32 v[118:119], v[88:89], v[142:143]
	v_mul_f64_e32 v[124:125], v[90:91], v[142:143]
	s_wait_loadcnt_dscnt 0x600
	v_mul_f64_e32 v[12:13], v[104:105], v[86:87]
	v_mul_f64_e32 v[108:109], v[106:107], v[86:87]
	v_add_f64_e32 v[4:5], v[4:5], v[116:117]
	v_add_f64_e32 v[8:9], v[8:9], v[114:115]
	v_fmac_f64_e32 v[118:119], v[90:91], v[140:141]
	v_fma_f64 v[90:91], v[88:89], v[140:141], -v[124:125]
	v_fmac_f64_e32 v[12:13], v[106:107], v[84:85]
	v_fma_f64 v[84:85], v[104:105], v[84:85], -v[108:109]
	v_add_f64_e32 v[4:5], v[4:5], v[10:11]
	v_add_f64_e32 v[110:111], v[8:9], v[112:113]
	ds_load_b128 v[8:11], v2 offset:1024
	ds_load_b128 v[86:89], v2 offset:1040
	s_wait_loadcnt_dscnt 0x501
	v_mul_f64_e32 v[112:113], v[8:9], v[130:131]
	v_mul_f64_e32 v[114:115], v[10:11], v[130:131]
	s_wait_loadcnt_dscnt 0x400
	v_mul_f64_e32 v[108:109], v[86:87], v[94:95]
	v_mul_f64_e32 v[94:95], v[88:89], v[94:95]
	v_add_f64_e32 v[4:5], v[4:5], v[90:91]
	v_add_f64_e32 v[90:91], v[110:111], v[118:119]
	v_fmac_f64_e32 v[112:113], v[10:11], v[128:129]
	v_fma_f64 v[110:111], v[8:9], v[128:129], -v[114:115]
	ds_load_b128 v[8:11], v2 offset:1056
	ds_load_b128 v[104:107], v2 offset:1072
	v_fmac_f64_e32 v[108:109], v[88:89], v[92:93]
	v_fma_f64 v[86:87], v[86:87], v[92:93], -v[94:95]
	v_add_f64_e32 v[4:5], v[4:5], v[84:85]
	v_add_f64_e32 v[12:13], v[90:91], v[12:13]
	s_wait_loadcnt_dscnt 0x301
	v_mul_f64_e32 v[84:85], v[8:9], v[138:139]
	v_mul_f64_e32 v[90:91], v[10:11], v[138:139]
	s_wait_loadcnt_dscnt 0x200
	v_mul_f64_e32 v[88:89], v[104:105], v[102:103]
	v_mul_f64_e32 v[92:93], v[106:107], v[102:103]
	v_add_f64_e32 v[4:5], v[4:5], v[110:111]
	v_add_f64_e32 v[12:13], v[12:13], v[112:113]
	v_fmac_f64_e32 v[84:85], v[10:11], v[136:137]
	v_fma_f64 v[90:91], v[8:9], v[136:137], -v[90:91]
	v_fmac_f64_e32 v[88:89], v[106:107], v[100:101]
	v_fma_f64 v[92:93], v[104:105], v[100:101], -v[92:93]
	v_add_f64_e32 v[86:87], v[4:5], v[86:87]
	v_add_f64_e32 v[12:13], v[12:13], v[108:109]
	ds_load_b128 v[8:11], v2 offset:1088
	ds_load_b128 v[2:5], v2 offset:1104
	s_wait_loadcnt_dscnt 0x101
	v_mul_f64_e32 v[94:95], v[8:9], v[122:123]
	v_mul_f64_e32 v[102:103], v[10:11], v[122:123]
	v_add_f64_e32 v[86:87], v[86:87], v[90:91]
	v_add_f64_e32 v[12:13], v[12:13], v[84:85]
	s_wait_loadcnt_dscnt 0x0
	v_mul_f64_e32 v[84:85], v[2:3], v[98:99]
	v_mul_f64_e32 v[90:91], v[4:5], v[98:99]
	v_fmac_f64_e32 v[94:95], v[10:11], v[120:121]
	v_fma_f64 v[8:9], v[8:9], v[120:121], -v[102:103]
	v_add_f64_e32 v[10:11], v[86:87], v[92:93]
	v_add_f64_e32 v[12:13], v[12:13], v[88:89]
	v_fmac_f64_e32 v[84:85], v[4:5], v[96:97]
	v_fma_f64 v[2:3], v[2:3], v[96:97], -v[90:91]
	s_delay_alu instid0(VALU_DEP_4) | instskip(NEXT) | instid1(VALU_DEP_4)
	v_add_f64_e32 v[4:5], v[10:11], v[8:9]
	v_add_f64_e32 v[8:9], v[12:13], v[94:95]
	s_delay_alu instid0(VALU_DEP_2) | instskip(NEXT) | instid1(VALU_DEP_2)
	v_add_f64_e32 v[2:3], v[4:5], v[2:3]
	v_add_f64_e32 v[4:5], v[8:9], v[84:85]
	s_delay_alu instid0(VALU_DEP_2) | instskip(NEXT) | instid1(VALU_DEP_2)
	v_add_f64_e64 v[2:3], v[132:133], -v[2:3]
	v_add_f64_e64 v[4:5], v[134:135], -v[4:5]
	scratch_store_b128 off, v[2:5], off offset:224
	s_wait_xcnt 0x0
	v_cmpx_lt_u32_e32 13, v1
	s_cbranch_execz .LBB98_197
; %bb.196:
	scratch_load_b128 v[2:5], off, s38
	v_mov_b32_e32 v8, 0
	s_delay_alu instid0(VALU_DEP_1)
	v_dual_mov_b32 v9, v8 :: v_dual_mov_b32 v10, v8
	v_mov_b32_e32 v11, v8
	scratch_store_b128 off, v[8:11], off offset:208
	s_wait_loadcnt 0x0
	ds_store_b128 v6, v[2:5]
.LBB98_197:
	s_wait_xcnt 0x0
	s_or_b32 exec_lo, exec_lo, s2
	s_wait_storecnt_dscnt 0x0
	s_barrier_signal -1
	s_barrier_wait -1
	s_clause 0x9
	scratch_load_b128 v[8:11], off, off offset:224
	scratch_load_b128 v[84:87], off, off offset:240
	;; [unrolled: 1-line block ×10, first 2 shown]
	v_mov_b32_e32 v2, 0
	s_mov_b32 s2, exec_lo
	ds_load_b128 v[120:123], v2 offset:784
	s_clause 0x2
	scratch_load_b128 v[124:127], off, off offset:384
	scratch_load_b128 v[128:131], off, off offset:208
	;; [unrolled: 1-line block ×3, first 2 shown]
	s_wait_loadcnt_dscnt 0xc00
	v_mul_f64_e32 v[4:5], v[122:123], v[10:11]
	v_mul_f64_e32 v[144:145], v[120:121], v[10:11]
	ds_load_b128 v[132:135], v2 offset:800
	scratch_load_b128 v[10:13], off, off offset:400
	ds_load_b128 v[140:143], v2 offset:832
	v_fma_f64 v[4:5], v[120:121], v[8:9], -v[4:5]
	v_fmac_f64_e32 v[144:145], v[122:123], v[8:9]
	ds_load_b128 v[120:123], v2 offset:816
	s_wait_loadcnt_dscnt 0xc02
	v_mul_f64_e32 v[146:147], v[132:133], v[86:87]
	v_mul_f64_e32 v[86:87], v[134:135], v[86:87]
	s_wait_loadcnt_dscnt 0xb00
	v_mul_f64_e32 v[8:9], v[120:121], v[90:91]
	v_mul_f64_e32 v[90:91], v[122:123], v[90:91]
	v_add_f64_e32 v[4:5], 0, v[4:5]
	v_fmac_f64_e32 v[146:147], v[134:135], v[84:85]
	v_fma_f64 v[132:133], v[132:133], v[84:85], -v[86:87]
	v_add_f64_e32 v[134:135], 0, v[144:145]
	scratch_load_b128 v[84:87], off, off offset:432
	v_fmac_f64_e32 v[8:9], v[122:123], v[88:89]
	v_fma_f64 v[148:149], v[120:121], v[88:89], -v[90:91]
	ds_load_b128 v[88:91], v2 offset:848
	s_wait_loadcnt 0xb
	v_mul_f64_e32 v[144:145], v[140:141], v[94:95]
	v_mul_f64_e32 v[94:95], v[142:143], v[94:95]
	scratch_load_b128 v[120:123], off, off offset:448
	v_add_f64_e32 v[4:5], v[4:5], v[132:133]
	v_add_f64_e32 v[146:147], v[134:135], v[146:147]
	ds_load_b128 v[132:135], v2 offset:864
	s_wait_loadcnt_dscnt 0xb01
	v_mul_f64_e32 v[150:151], v[88:89], v[98:99]
	v_mul_f64_e32 v[98:99], v[90:91], v[98:99]
	v_fmac_f64_e32 v[144:145], v[142:143], v[92:93]
	v_fma_f64 v[140:141], v[140:141], v[92:93], -v[94:95]
	scratch_load_b128 v[92:95], off, off offset:464
	v_add_f64_e32 v[4:5], v[4:5], v[148:149]
	v_add_f64_e32 v[8:9], v[146:147], v[8:9]
	v_fmac_f64_e32 v[150:151], v[90:91], v[96:97]
	v_fma_f64 v[148:149], v[88:89], v[96:97], -v[98:99]
	ds_load_b128 v[88:91], v2 offset:880
	s_wait_loadcnt_dscnt 0xb01
	v_mul_f64_e32 v[146:147], v[132:133], v[102:103]
	v_mul_f64_e32 v[102:103], v[134:135], v[102:103]
	scratch_load_b128 v[96:99], off, off offset:480
	v_add_f64_e32 v[4:5], v[4:5], v[140:141]
	v_add_f64_e32 v[8:9], v[8:9], v[144:145]
	s_wait_loadcnt_dscnt 0xb00
	v_mul_f64_e32 v[144:145], v[88:89], v[106:107]
	v_mul_f64_e32 v[106:107], v[90:91], v[106:107]
	ds_load_b128 v[140:143], v2 offset:896
	v_fmac_f64_e32 v[146:147], v[134:135], v[100:101]
	v_fma_f64 v[132:133], v[132:133], v[100:101], -v[102:103]
	scratch_load_b128 v[100:103], off, off offset:496
	v_add_f64_e32 v[4:5], v[4:5], v[148:149]
	v_add_f64_e32 v[8:9], v[8:9], v[150:151]
	v_fmac_f64_e32 v[144:145], v[90:91], v[104:105]
	v_fma_f64 v[150:151], v[88:89], v[104:105], -v[106:107]
	ds_load_b128 v[88:91], v2 offset:912
	s_wait_loadcnt_dscnt 0xb01
	v_mul_f64_e32 v[148:149], v[140:141], v[110:111]
	v_mul_f64_e32 v[110:111], v[142:143], v[110:111]
	scratch_load_b128 v[104:107], off, off offset:512
	v_add_f64_e32 v[4:5], v[4:5], v[132:133]
	v_add_f64_e32 v[8:9], v[8:9], v[146:147]
	s_wait_loadcnt_dscnt 0xb00
	v_mul_f64_e32 v[146:147], v[88:89], v[114:115]
	v_mul_f64_e32 v[114:115], v[90:91], v[114:115]
	ds_load_b128 v[132:135], v2 offset:928
	;; [unrolled: 18-line block ×3, first 2 shown]
	v_fmac_f64_e32 v[144:145], v[134:135], v[116:117]
	v_fma_f64 v[116:117], v[132:133], v[116:117], -v[118:119]
	s_wait_loadcnt_dscnt 0x800
	v_mul_f64_e32 v[132:133], v[140:141], v[12:13]
	v_add_f64_e32 v[4:5], v[4:5], v[150:151]
	v_add_f64_e32 v[8:9], v[8:9], v[146:147]
	v_mul_f64_e32 v[12:13], v[142:143], v[12:13]
	v_fmac_f64_e32 v[148:149], v[90:91], v[124:125]
	v_fma_f64 v[124:125], v[88:89], v[124:125], -v[126:127]
	v_fmac_f64_e32 v[132:133], v[142:143], v[10:11]
	v_add_f64_e32 v[4:5], v[4:5], v[116:117]
	v_add_f64_e32 v[8:9], v[8:9], v[144:145]
	ds_load_b128 v[88:91], v2 offset:976
	ds_load_b128 v[116:119], v2 offset:992
	v_fma_f64 v[10:11], v[140:141], v[10:11], -v[12:13]
	s_wait_dscnt 0x1
	v_mul_f64_e32 v[126:127], v[88:89], v[138:139]
	v_mul_f64_e32 v[134:135], v[90:91], v[138:139]
	v_add_f64_e32 v[4:5], v[4:5], v[124:125]
	v_add_f64_e32 v[8:9], v[8:9], v[148:149]
	s_wait_loadcnt_dscnt 0x700
	v_mul_f64_e32 v[12:13], v[116:117], v[86:87]
	v_mul_f64_e32 v[124:125], v[118:119], v[86:87]
	v_fmac_f64_e32 v[126:127], v[90:91], v[136:137]
	v_fma_f64 v[90:91], v[88:89], v[136:137], -v[134:135]
	v_add_f64_e32 v[4:5], v[4:5], v[10:11]
	v_add_f64_e32 v[132:133], v[8:9], v[132:133]
	ds_load_b128 v[8:11], v2 offset:1008
	ds_load_b128 v[86:89], v2 offset:1024
	v_fmac_f64_e32 v[12:13], v[118:119], v[84:85]
	v_fma_f64 v[84:85], v[116:117], v[84:85], -v[124:125]
	s_wait_loadcnt_dscnt 0x601
	v_mul_f64_e32 v[134:135], v[8:9], v[122:123]
	v_mul_f64_e32 v[122:123], v[10:11], v[122:123]
	s_wait_loadcnt_dscnt 0x500
	v_mul_f64_e32 v[124:125], v[86:87], v[94:95]
	v_mul_f64_e32 v[94:95], v[88:89], v[94:95]
	v_add_f64_e32 v[4:5], v[4:5], v[90:91]
	v_add_f64_e32 v[90:91], v[132:133], v[126:127]
	v_fmac_f64_e32 v[134:135], v[10:11], v[120:121]
	v_fma_f64 v[120:121], v[8:9], v[120:121], -v[122:123]
	ds_load_b128 v[8:11], v2 offset:1040
	ds_load_b128 v[116:119], v2 offset:1056
	v_fmac_f64_e32 v[124:125], v[88:89], v[92:93]
	v_fma_f64 v[86:87], v[86:87], v[92:93], -v[94:95]
	v_add_f64_e32 v[4:5], v[4:5], v[84:85]
	v_add_f64_e32 v[12:13], v[90:91], v[12:13]
	s_wait_loadcnt_dscnt 0x401
	v_mul_f64_e32 v[90:91], v[8:9], v[98:99]
	v_mul_f64_e32 v[84:85], v[10:11], v[98:99]
	s_wait_loadcnt_dscnt 0x300
	v_mul_f64_e32 v[88:89], v[116:117], v[102:103]
	v_mul_f64_e32 v[92:93], v[118:119], v[102:103]
	v_add_f64_e32 v[4:5], v[4:5], v[120:121]
	v_add_f64_e32 v[12:13], v[12:13], v[134:135]
	v_fmac_f64_e32 v[90:91], v[10:11], v[96:97]
	v_fma_f64 v[94:95], v[8:9], v[96:97], -v[84:85]
	v_fmac_f64_e32 v[88:89], v[118:119], v[100:101]
	v_fma_f64 v[92:93], v[116:117], v[100:101], -v[92:93]
	v_add_f64_e32 v[4:5], v[4:5], v[86:87]
	v_add_f64_e32 v[12:13], v[12:13], v[124:125]
	ds_load_b128 v[8:11], v2 offset:1072
	ds_load_b128 v[84:87], v2 offset:1088
	s_wait_loadcnt_dscnt 0x201
	v_mul_f64_e32 v[96:97], v[8:9], v[106:107]
	v_mul_f64_e32 v[98:99], v[10:11], v[106:107]
	v_add_f64_e32 v[4:5], v[4:5], v[94:95]
	v_add_f64_e32 v[12:13], v[12:13], v[90:91]
	s_wait_loadcnt_dscnt 0x100
	v_mul_f64_e32 v[90:91], v[84:85], v[110:111]
	v_mul_f64_e32 v[94:95], v[86:87], v[110:111]
	v_fmac_f64_e32 v[96:97], v[10:11], v[104:105]
	v_fma_f64 v[98:99], v[8:9], v[104:105], -v[98:99]
	ds_load_b128 v[8:11], v2 offset:1104
	v_add_f64_e32 v[4:5], v[4:5], v[92:93]
	v_add_f64_e32 v[12:13], v[12:13], v[88:89]
	v_fmac_f64_e32 v[90:91], v[86:87], v[108:109]
	v_fma_f64 v[84:85], v[84:85], v[108:109], -v[94:95]
	s_wait_loadcnt_dscnt 0x0
	v_mul_f64_e32 v[88:89], v[8:9], v[114:115]
	v_mul_f64_e32 v[92:93], v[10:11], v[114:115]
	v_add_f64_e32 v[4:5], v[4:5], v[98:99]
	v_add_f64_e32 v[12:13], v[12:13], v[96:97]
	s_delay_alu instid0(VALU_DEP_4) | instskip(NEXT) | instid1(VALU_DEP_4)
	v_fmac_f64_e32 v[88:89], v[10:11], v[112:113]
	v_fma_f64 v[8:9], v[8:9], v[112:113], -v[92:93]
	s_delay_alu instid0(VALU_DEP_4) | instskip(NEXT) | instid1(VALU_DEP_4)
	v_add_f64_e32 v[4:5], v[4:5], v[84:85]
	v_add_f64_e32 v[10:11], v[12:13], v[90:91]
	s_delay_alu instid0(VALU_DEP_2) | instskip(NEXT) | instid1(VALU_DEP_2)
	v_add_f64_e32 v[4:5], v[4:5], v[8:9]
	v_add_f64_e32 v[10:11], v[10:11], v[88:89]
	s_delay_alu instid0(VALU_DEP_2) | instskip(NEXT) | instid1(VALU_DEP_2)
	v_add_f64_e64 v[8:9], v[128:129], -v[4:5]
	v_add_f64_e64 v[10:11], v[130:131], -v[10:11]
	scratch_store_b128 off, v[8:11], off offset:208
	s_wait_xcnt 0x0
	v_cmpx_lt_u32_e32 12, v1
	s_cbranch_execz .LBB98_199
; %bb.198:
	scratch_load_b128 v[8:11], off, s39
	v_dual_mov_b32 v3, v2 :: v_dual_mov_b32 v4, v2
	v_mov_b32_e32 v5, v2
	scratch_store_b128 off, v[2:5], off offset:192
	s_wait_loadcnt 0x0
	ds_store_b128 v6, v[8:11]
.LBB98_199:
	s_wait_xcnt 0x0
	s_or_b32 exec_lo, exec_lo, s2
	s_wait_storecnt_dscnt 0x0
	s_barrier_signal -1
	s_barrier_wait -1
	s_clause 0x9
	scratch_load_b128 v[8:11], off, off offset:208
	scratch_load_b128 v[84:87], off, off offset:224
	;; [unrolled: 1-line block ×10, first 2 shown]
	ds_load_b128 v[120:123], v2 offset:768
	ds_load_b128 v[128:131], v2 offset:784
	s_clause 0x1
	scratch_load_b128 v[124:127], off, off offset:368
	scratch_load_b128 v[132:135], off, off offset:192
	s_mov_b32 s2, exec_lo
	s_wait_loadcnt_dscnt 0xb01
	v_mul_f64_e32 v[4:5], v[122:123], v[10:11]
	v_mul_f64_e32 v[144:145], v[120:121], v[10:11]
	scratch_load_b128 v[10:13], off, off offset:384
	s_wait_loadcnt_dscnt 0xb00
	v_mul_f64_e32 v[146:147], v[128:129], v[86:87]
	v_mul_f64_e32 v[86:87], v[130:131], v[86:87]
	v_fma_f64 v[4:5], v[120:121], v[8:9], -v[4:5]
	v_fmac_f64_e32 v[144:145], v[122:123], v[8:9]
	ds_load_b128 v[120:123], v2 offset:800
	ds_load_b128 v[136:139], v2 offset:816
	scratch_load_b128 v[140:143], off, off offset:400
	v_fmac_f64_e32 v[146:147], v[130:131], v[84:85]
	v_fma_f64 v[128:129], v[128:129], v[84:85], -v[86:87]
	scratch_load_b128 v[84:87], off, off offset:416
	s_wait_loadcnt_dscnt 0xc01
	v_mul_f64_e32 v[8:9], v[120:121], v[90:91]
	v_mul_f64_e32 v[90:91], v[122:123], v[90:91]
	v_add_f64_e32 v[4:5], 0, v[4:5]
	v_add_f64_e32 v[130:131], 0, v[144:145]
	s_wait_loadcnt_dscnt 0xb00
	v_mul_f64_e32 v[144:145], v[136:137], v[94:95]
	v_mul_f64_e32 v[94:95], v[138:139], v[94:95]
	v_fmac_f64_e32 v[8:9], v[122:123], v[88:89]
	v_fma_f64 v[148:149], v[120:121], v[88:89], -v[90:91]
	ds_load_b128 v[88:91], v2 offset:832
	ds_load_b128 v[120:123], v2 offset:848
	v_add_f64_e32 v[4:5], v[4:5], v[128:129]
	v_add_f64_e32 v[146:147], v[130:131], v[146:147]
	scratch_load_b128 v[128:131], off, off offset:432
	v_fmac_f64_e32 v[144:145], v[138:139], v[92:93]
	v_fma_f64 v[136:137], v[136:137], v[92:93], -v[94:95]
	scratch_load_b128 v[92:95], off, off offset:448
	s_wait_loadcnt_dscnt 0xc01
	v_mul_f64_e32 v[150:151], v[88:89], v[98:99]
	v_mul_f64_e32 v[98:99], v[90:91], v[98:99]
	v_add_f64_e32 v[4:5], v[4:5], v[148:149]
	v_add_f64_e32 v[8:9], v[146:147], v[8:9]
	s_wait_loadcnt_dscnt 0xb00
	v_mul_f64_e32 v[146:147], v[120:121], v[102:103]
	v_mul_f64_e32 v[102:103], v[122:123], v[102:103]
	v_fmac_f64_e32 v[150:151], v[90:91], v[96:97]
	v_fma_f64 v[148:149], v[88:89], v[96:97], -v[98:99]
	ds_load_b128 v[88:91], v2 offset:864
	ds_load_b128 v[96:99], v2 offset:880
	v_add_f64_e32 v[4:5], v[4:5], v[136:137]
	v_add_f64_e32 v[8:9], v[8:9], v[144:145]
	scratch_load_b128 v[136:139], off, off offset:464
	s_wait_loadcnt_dscnt 0xb01
	v_mul_f64_e32 v[144:145], v[88:89], v[106:107]
	v_mul_f64_e32 v[106:107], v[90:91], v[106:107]
	v_fmac_f64_e32 v[146:147], v[122:123], v[100:101]
	v_fma_f64 v[120:121], v[120:121], v[100:101], -v[102:103]
	scratch_load_b128 v[100:103], off, off offset:480
	v_add_f64_e32 v[4:5], v[4:5], v[148:149]
	v_add_f64_e32 v[8:9], v[8:9], v[150:151]
	s_wait_loadcnt_dscnt 0xb00
	v_mul_f64_e32 v[148:149], v[96:97], v[110:111]
	v_mul_f64_e32 v[110:111], v[98:99], v[110:111]
	v_fmac_f64_e32 v[144:145], v[90:91], v[104:105]
	v_fma_f64 v[150:151], v[88:89], v[104:105], -v[106:107]
	ds_load_b128 v[88:91], v2 offset:896
	ds_load_b128 v[104:107], v2 offset:912
	v_add_f64_e32 v[4:5], v[4:5], v[120:121]
	v_add_f64_e32 v[8:9], v[8:9], v[146:147]
	scratch_load_b128 v[120:123], off, off offset:496
	s_wait_loadcnt_dscnt 0xb01
	v_mul_f64_e32 v[146:147], v[88:89], v[114:115]
	v_mul_f64_e32 v[114:115], v[90:91], v[114:115]
	v_fmac_f64_e32 v[148:149], v[98:99], v[108:109]
	v_fma_f64 v[108:109], v[96:97], v[108:109], -v[110:111]
	scratch_load_b128 v[96:99], off, off offset:512
	v_add_f64_e32 v[4:5], v[4:5], v[150:151]
	v_add_f64_e32 v[8:9], v[8:9], v[144:145]
	s_wait_loadcnt_dscnt 0xb00
	v_mul_f64_e32 v[144:145], v[104:105], v[118:119]
	v_mul_f64_e32 v[118:119], v[106:107], v[118:119]
	v_fmac_f64_e32 v[146:147], v[90:91], v[112:113]
	v_fma_f64 v[150:151], v[88:89], v[112:113], -v[114:115]
	v_add_f64_e32 v[4:5], v[4:5], v[108:109]
	v_add_f64_e32 v[8:9], v[8:9], v[148:149]
	ds_load_b128 v[88:91], v2 offset:928
	ds_load_b128 v[108:111], v2 offset:944
	scratch_load_b128 v[112:115], off, off offset:528
	v_fmac_f64_e32 v[144:145], v[106:107], v[116:117]
	v_fma_f64 v[116:117], v[104:105], v[116:117], -v[118:119]
	scratch_load_b128 v[104:107], off, off offset:544
	s_wait_loadcnt_dscnt 0xc01
	v_mul_f64_e32 v[148:149], v[88:89], v[126:127]
	v_mul_f64_e32 v[126:127], v[90:91], v[126:127]
	v_add_f64_e32 v[4:5], v[4:5], v[150:151]
	v_add_f64_e32 v[8:9], v[8:9], v[146:147]
	s_wait_loadcnt_dscnt 0xa00
	v_mul_f64_e32 v[146:147], v[108:109], v[12:13]
	v_mul_f64_e32 v[12:13], v[110:111], v[12:13]
	v_fmac_f64_e32 v[148:149], v[90:91], v[124:125]
	v_fma_f64 v[124:125], v[88:89], v[124:125], -v[126:127]
	v_add_f64_e32 v[4:5], v[4:5], v[116:117]
	v_add_f64_e32 v[8:9], v[8:9], v[144:145]
	ds_load_b128 v[88:91], v2 offset:960
	ds_load_b128 v[116:119], v2 offset:976
	v_fmac_f64_e32 v[146:147], v[110:111], v[10:11]
	v_fma_f64 v[10:11], v[108:109], v[10:11], -v[12:13]
	s_wait_loadcnt_dscnt 0x901
	v_mul_f64_e32 v[126:127], v[88:89], v[142:143]
	v_mul_f64_e32 v[142:143], v[90:91], v[142:143]
	s_wait_loadcnt_dscnt 0x800
	v_mul_f64_e32 v[12:13], v[116:117], v[86:87]
	v_mul_f64_e32 v[108:109], v[118:119], v[86:87]
	v_add_f64_e32 v[4:5], v[4:5], v[124:125]
	v_add_f64_e32 v[8:9], v[8:9], v[148:149]
	v_fmac_f64_e32 v[126:127], v[90:91], v[140:141]
	v_fma_f64 v[90:91], v[88:89], v[140:141], -v[142:143]
	v_fmac_f64_e32 v[12:13], v[118:119], v[84:85]
	v_fma_f64 v[84:85], v[116:117], v[84:85], -v[108:109]
	v_add_f64_e32 v[4:5], v[4:5], v[10:11]
	v_add_f64_e32 v[110:111], v[8:9], v[146:147]
	ds_load_b128 v[8:11], v2 offset:992
	ds_load_b128 v[86:89], v2 offset:1008
	s_wait_loadcnt_dscnt 0x701
	v_mul_f64_e32 v[124:125], v[8:9], v[130:131]
	v_mul_f64_e32 v[130:131], v[10:11], v[130:131]
	s_wait_loadcnt_dscnt 0x600
	v_mul_f64_e32 v[116:117], v[86:87], v[94:95]
	v_mul_f64_e32 v[94:95], v[88:89], v[94:95]
	v_add_f64_e32 v[4:5], v[4:5], v[90:91]
	v_add_f64_e32 v[90:91], v[110:111], v[126:127]
	v_fmac_f64_e32 v[124:125], v[10:11], v[128:129]
	v_fma_f64 v[118:119], v[8:9], v[128:129], -v[130:131]
	ds_load_b128 v[8:11], v2 offset:1024
	ds_load_b128 v[108:111], v2 offset:1040
	v_fmac_f64_e32 v[116:117], v[88:89], v[92:93]
	v_fma_f64 v[86:87], v[86:87], v[92:93], -v[94:95]
	v_add_f64_e32 v[4:5], v[4:5], v[84:85]
	v_add_f64_e32 v[12:13], v[90:91], v[12:13]
	s_wait_loadcnt_dscnt 0x501
	v_mul_f64_e32 v[90:91], v[8:9], v[138:139]
	v_mul_f64_e32 v[84:85], v[10:11], v[138:139]
	s_wait_loadcnt_dscnt 0x400
	v_mul_f64_e32 v[88:89], v[108:109], v[102:103]
	v_mul_f64_e32 v[92:93], v[110:111], v[102:103]
	v_add_f64_e32 v[4:5], v[4:5], v[118:119]
	v_add_f64_e32 v[12:13], v[12:13], v[124:125]
	v_fmac_f64_e32 v[90:91], v[10:11], v[136:137]
	v_fma_f64 v[94:95], v[8:9], v[136:137], -v[84:85]
	v_fmac_f64_e32 v[88:89], v[110:111], v[100:101]
	v_fma_f64 v[92:93], v[108:109], v[100:101], -v[92:93]
	v_add_f64_e32 v[4:5], v[4:5], v[86:87]
	v_add_f64_e32 v[12:13], v[12:13], v[116:117]
	ds_load_b128 v[8:11], v2 offset:1056
	ds_load_b128 v[84:87], v2 offset:1072
	s_wait_loadcnt_dscnt 0x301
	v_mul_f64_e32 v[102:103], v[8:9], v[122:123]
	v_mul_f64_e32 v[116:117], v[10:11], v[122:123]
	v_add_f64_e32 v[4:5], v[4:5], v[94:95]
	v_add_f64_e32 v[12:13], v[12:13], v[90:91]
	s_wait_loadcnt_dscnt 0x200
	v_mul_f64_e32 v[90:91], v[84:85], v[98:99]
	v_mul_f64_e32 v[94:95], v[86:87], v[98:99]
	v_fmac_f64_e32 v[102:103], v[10:11], v[120:121]
	v_fma_f64 v[98:99], v[8:9], v[120:121], -v[116:117]
	v_add_f64_e32 v[92:93], v[4:5], v[92:93]
	v_add_f64_e32 v[12:13], v[12:13], v[88:89]
	ds_load_b128 v[8:11], v2 offset:1088
	ds_load_b128 v[2:5], v2 offset:1104
	v_fmac_f64_e32 v[90:91], v[86:87], v[96:97]
	v_fma_f64 v[84:85], v[84:85], v[96:97], -v[94:95]
	s_wait_loadcnt_dscnt 0x101
	v_mul_f64_e32 v[88:89], v[8:9], v[114:115]
	v_mul_f64_e32 v[100:101], v[10:11], v[114:115]
	s_wait_loadcnt_dscnt 0x0
	v_mul_f64_e32 v[94:95], v[4:5], v[106:107]
	v_add_f64_e32 v[86:87], v[92:93], v[98:99]
	v_add_f64_e32 v[12:13], v[12:13], v[102:103]
	v_mul_f64_e32 v[92:93], v[2:3], v[106:107]
	v_fmac_f64_e32 v[88:89], v[10:11], v[112:113]
	v_fma_f64 v[8:9], v[8:9], v[112:113], -v[100:101]
	v_fma_f64 v[2:3], v[2:3], v[104:105], -v[94:95]
	v_add_f64_e32 v[10:11], v[86:87], v[84:85]
	v_add_f64_e32 v[12:13], v[12:13], v[90:91]
	v_fmac_f64_e32 v[92:93], v[4:5], v[104:105]
	s_delay_alu instid0(VALU_DEP_3) | instskip(NEXT) | instid1(VALU_DEP_3)
	v_add_f64_e32 v[4:5], v[10:11], v[8:9]
	v_add_f64_e32 v[8:9], v[12:13], v[88:89]
	s_delay_alu instid0(VALU_DEP_2) | instskip(NEXT) | instid1(VALU_DEP_2)
	v_add_f64_e32 v[2:3], v[4:5], v[2:3]
	v_add_f64_e32 v[4:5], v[8:9], v[92:93]
	s_delay_alu instid0(VALU_DEP_2) | instskip(NEXT) | instid1(VALU_DEP_2)
	v_add_f64_e64 v[2:3], v[132:133], -v[2:3]
	v_add_f64_e64 v[4:5], v[134:135], -v[4:5]
	scratch_store_b128 off, v[2:5], off offset:192
	s_wait_xcnt 0x0
	v_cmpx_lt_u32_e32 11, v1
	s_cbranch_execz .LBB98_201
; %bb.200:
	scratch_load_b128 v[2:5], off, s40
	v_mov_b32_e32 v8, 0
	s_delay_alu instid0(VALU_DEP_1)
	v_dual_mov_b32 v9, v8 :: v_dual_mov_b32 v10, v8
	v_mov_b32_e32 v11, v8
	scratch_store_b128 off, v[8:11], off offset:176
	s_wait_loadcnt 0x0
	ds_store_b128 v6, v[2:5]
.LBB98_201:
	s_wait_xcnt 0x0
	s_or_b32 exec_lo, exec_lo, s2
	s_wait_storecnt_dscnt 0x0
	s_barrier_signal -1
	s_barrier_wait -1
	s_clause 0x9
	scratch_load_b128 v[8:11], off, off offset:192
	scratch_load_b128 v[84:87], off, off offset:208
	;; [unrolled: 1-line block ×10, first 2 shown]
	v_mov_b32_e32 v2, 0
	s_mov_b32 s2, exec_lo
	ds_load_b128 v[120:123], v2 offset:752
	s_clause 0x2
	scratch_load_b128 v[124:127], off, off offset:352
	scratch_load_b128 v[128:131], off, off offset:176
	;; [unrolled: 1-line block ×3, first 2 shown]
	s_wait_loadcnt_dscnt 0xc00
	v_mul_f64_e32 v[4:5], v[122:123], v[10:11]
	v_mul_f64_e32 v[144:145], v[120:121], v[10:11]
	ds_load_b128 v[132:135], v2 offset:768
	scratch_load_b128 v[10:13], off, off offset:368
	ds_load_b128 v[140:143], v2 offset:800
	v_fma_f64 v[4:5], v[120:121], v[8:9], -v[4:5]
	v_fmac_f64_e32 v[144:145], v[122:123], v[8:9]
	ds_load_b128 v[120:123], v2 offset:784
	s_wait_loadcnt_dscnt 0xc02
	v_mul_f64_e32 v[146:147], v[132:133], v[86:87]
	v_mul_f64_e32 v[86:87], v[134:135], v[86:87]
	s_wait_loadcnt_dscnt 0xb00
	v_mul_f64_e32 v[8:9], v[120:121], v[90:91]
	v_mul_f64_e32 v[90:91], v[122:123], v[90:91]
	v_add_f64_e32 v[4:5], 0, v[4:5]
	v_fmac_f64_e32 v[146:147], v[134:135], v[84:85]
	v_fma_f64 v[132:133], v[132:133], v[84:85], -v[86:87]
	v_add_f64_e32 v[134:135], 0, v[144:145]
	scratch_load_b128 v[84:87], off, off offset:400
	v_fmac_f64_e32 v[8:9], v[122:123], v[88:89]
	v_fma_f64 v[148:149], v[120:121], v[88:89], -v[90:91]
	ds_load_b128 v[88:91], v2 offset:816
	s_wait_loadcnt 0xb
	v_mul_f64_e32 v[144:145], v[140:141], v[94:95]
	v_mul_f64_e32 v[94:95], v[142:143], v[94:95]
	scratch_load_b128 v[120:123], off, off offset:416
	v_add_f64_e32 v[4:5], v[4:5], v[132:133]
	v_add_f64_e32 v[146:147], v[134:135], v[146:147]
	ds_load_b128 v[132:135], v2 offset:832
	s_wait_loadcnt_dscnt 0xb01
	v_mul_f64_e32 v[150:151], v[88:89], v[98:99]
	v_mul_f64_e32 v[98:99], v[90:91], v[98:99]
	v_fmac_f64_e32 v[144:145], v[142:143], v[92:93]
	v_fma_f64 v[140:141], v[140:141], v[92:93], -v[94:95]
	scratch_load_b128 v[92:95], off, off offset:432
	v_add_f64_e32 v[4:5], v[4:5], v[148:149]
	v_add_f64_e32 v[8:9], v[146:147], v[8:9]
	v_fmac_f64_e32 v[150:151], v[90:91], v[96:97]
	v_fma_f64 v[148:149], v[88:89], v[96:97], -v[98:99]
	ds_load_b128 v[88:91], v2 offset:848
	s_wait_loadcnt_dscnt 0xb01
	v_mul_f64_e32 v[146:147], v[132:133], v[102:103]
	v_mul_f64_e32 v[102:103], v[134:135], v[102:103]
	scratch_load_b128 v[96:99], off, off offset:448
	v_add_f64_e32 v[4:5], v[4:5], v[140:141]
	v_add_f64_e32 v[8:9], v[8:9], v[144:145]
	s_wait_loadcnt_dscnt 0xb00
	v_mul_f64_e32 v[144:145], v[88:89], v[106:107]
	v_mul_f64_e32 v[106:107], v[90:91], v[106:107]
	ds_load_b128 v[140:143], v2 offset:864
	v_fmac_f64_e32 v[146:147], v[134:135], v[100:101]
	v_fma_f64 v[132:133], v[132:133], v[100:101], -v[102:103]
	scratch_load_b128 v[100:103], off, off offset:464
	v_add_f64_e32 v[4:5], v[4:5], v[148:149]
	v_add_f64_e32 v[8:9], v[8:9], v[150:151]
	v_fmac_f64_e32 v[144:145], v[90:91], v[104:105]
	v_fma_f64 v[150:151], v[88:89], v[104:105], -v[106:107]
	ds_load_b128 v[88:91], v2 offset:880
	s_wait_loadcnt_dscnt 0xb01
	v_mul_f64_e32 v[148:149], v[140:141], v[110:111]
	v_mul_f64_e32 v[110:111], v[142:143], v[110:111]
	scratch_load_b128 v[104:107], off, off offset:480
	v_add_f64_e32 v[4:5], v[4:5], v[132:133]
	v_add_f64_e32 v[8:9], v[8:9], v[146:147]
	s_wait_loadcnt_dscnt 0xb00
	v_mul_f64_e32 v[146:147], v[88:89], v[114:115]
	v_mul_f64_e32 v[114:115], v[90:91], v[114:115]
	ds_load_b128 v[132:135], v2 offset:896
	;; [unrolled: 18-line block ×3, first 2 shown]
	v_fmac_f64_e32 v[144:145], v[134:135], v[116:117]
	v_fma_f64 v[132:133], v[132:133], v[116:117], -v[118:119]
	scratch_load_b128 v[116:119], off, off offset:528
	v_add_f64_e32 v[4:5], v[4:5], v[150:151]
	v_add_f64_e32 v[8:9], v[8:9], v[146:147]
	v_fmac_f64_e32 v[148:149], v[90:91], v[124:125]
	v_fma_f64 v[150:151], v[88:89], v[124:125], -v[126:127]
	ds_load_b128 v[88:91], v2 offset:944
	s_wait_loadcnt_dscnt 0x901
	v_mul_f64_e32 v[146:147], v[140:141], v[12:13]
	v_mul_f64_e32 v[12:13], v[142:143], v[12:13]
	scratch_load_b128 v[124:127], off, off offset:544
	v_add_f64_e32 v[4:5], v[4:5], v[132:133]
	v_add_f64_e32 v[8:9], v[8:9], v[144:145]
	s_wait_dscnt 0x0
	v_mul_f64_e32 v[144:145], v[88:89], v[138:139]
	v_mul_f64_e32 v[138:139], v[90:91], v[138:139]
	ds_load_b128 v[132:135], v2 offset:960
	v_fmac_f64_e32 v[146:147], v[142:143], v[10:11]
	v_fma_f64 v[10:11], v[140:141], v[10:11], -v[12:13]
	v_add_f64_e32 v[4:5], v[4:5], v[150:151]
	v_add_f64_e32 v[8:9], v[8:9], v[148:149]
	s_wait_loadcnt_dscnt 0x900
	v_mul_f64_e32 v[12:13], v[132:133], v[86:87]
	v_mul_f64_e32 v[140:141], v[134:135], v[86:87]
	v_fmac_f64_e32 v[144:145], v[90:91], v[136:137]
	v_fma_f64 v[90:91], v[88:89], v[136:137], -v[138:139]
	v_add_f64_e32 v[4:5], v[4:5], v[10:11]
	v_add_f64_e32 v[136:137], v[8:9], v[146:147]
	ds_load_b128 v[8:11], v2 offset:976
	ds_load_b128 v[86:89], v2 offset:992
	v_fmac_f64_e32 v[12:13], v[134:135], v[84:85]
	v_fma_f64 v[84:85], v[132:133], v[84:85], -v[140:141]
	s_wait_loadcnt_dscnt 0x801
	v_mul_f64_e32 v[138:139], v[8:9], v[122:123]
	v_mul_f64_e32 v[122:123], v[10:11], v[122:123]
	s_wait_loadcnt_dscnt 0x700
	v_mul_f64_e32 v[132:133], v[86:87], v[94:95]
	v_mul_f64_e32 v[94:95], v[88:89], v[94:95]
	v_add_f64_e32 v[4:5], v[4:5], v[90:91]
	v_add_f64_e32 v[90:91], v[136:137], v[144:145]
	v_fmac_f64_e32 v[138:139], v[10:11], v[120:121]
	v_fma_f64 v[134:135], v[8:9], v[120:121], -v[122:123]
	ds_load_b128 v[8:11], v2 offset:1008
	ds_load_b128 v[120:123], v2 offset:1024
	v_fmac_f64_e32 v[132:133], v[88:89], v[92:93]
	v_fma_f64 v[86:87], v[86:87], v[92:93], -v[94:95]
	v_add_f64_e32 v[4:5], v[4:5], v[84:85]
	v_add_f64_e32 v[12:13], v[90:91], v[12:13]
	s_wait_loadcnt_dscnt 0x601
	v_mul_f64_e32 v[90:91], v[8:9], v[98:99]
	v_mul_f64_e32 v[84:85], v[10:11], v[98:99]
	s_wait_loadcnt_dscnt 0x500
	v_mul_f64_e32 v[88:89], v[120:121], v[102:103]
	v_mul_f64_e32 v[92:93], v[122:123], v[102:103]
	v_add_f64_e32 v[4:5], v[4:5], v[134:135]
	v_add_f64_e32 v[12:13], v[12:13], v[138:139]
	v_fmac_f64_e32 v[90:91], v[10:11], v[96:97]
	v_fma_f64 v[94:95], v[8:9], v[96:97], -v[84:85]
	v_fmac_f64_e32 v[88:89], v[122:123], v[100:101]
	v_fma_f64 v[92:93], v[120:121], v[100:101], -v[92:93]
	v_add_f64_e32 v[4:5], v[4:5], v[86:87]
	v_add_f64_e32 v[12:13], v[12:13], v[132:133]
	ds_load_b128 v[8:11], v2 offset:1040
	ds_load_b128 v[84:87], v2 offset:1056
	s_wait_loadcnt_dscnt 0x401
	v_mul_f64_e32 v[96:97], v[8:9], v[106:107]
	v_mul_f64_e32 v[98:99], v[10:11], v[106:107]
	s_wait_loadcnt_dscnt 0x300
	v_mul_f64_e32 v[100:101], v[86:87], v[110:111]
	v_add_f64_e32 v[4:5], v[4:5], v[94:95]
	v_add_f64_e32 v[12:13], v[12:13], v[90:91]
	v_mul_f64_e32 v[94:95], v[84:85], v[110:111]
	v_fmac_f64_e32 v[96:97], v[10:11], v[104:105]
	v_fma_f64 v[98:99], v[8:9], v[104:105], -v[98:99]
	v_fma_f64 v[84:85], v[84:85], v[108:109], -v[100:101]
	v_add_f64_e32 v[4:5], v[4:5], v[92:93]
	v_add_f64_e32 v[12:13], v[12:13], v[88:89]
	ds_load_b128 v[8:11], v2 offset:1072
	ds_load_b128 v[88:91], v2 offset:1088
	v_fmac_f64_e32 v[94:95], v[86:87], v[108:109]
	s_wait_loadcnt_dscnt 0x201
	v_mul_f64_e32 v[92:93], v[8:9], v[114:115]
	v_mul_f64_e32 v[102:103], v[10:11], v[114:115]
	s_wait_loadcnt_dscnt 0x100
	v_mul_f64_e32 v[86:87], v[88:89], v[118:119]
	v_add_f64_e32 v[4:5], v[4:5], v[98:99]
	v_add_f64_e32 v[12:13], v[12:13], v[96:97]
	v_mul_f64_e32 v[96:97], v[90:91], v[118:119]
	v_fmac_f64_e32 v[92:93], v[10:11], v[112:113]
	v_fma_f64 v[98:99], v[8:9], v[112:113], -v[102:103]
	ds_load_b128 v[8:11], v2 offset:1104
	v_fmac_f64_e32 v[86:87], v[90:91], v[116:117]
	v_add_f64_e32 v[4:5], v[4:5], v[84:85]
	v_add_f64_e32 v[12:13], v[12:13], v[94:95]
	v_fma_f64 v[88:89], v[88:89], v[116:117], -v[96:97]
	s_wait_loadcnt_dscnt 0x0
	v_mul_f64_e32 v[84:85], v[8:9], v[126:127]
	v_mul_f64_e32 v[94:95], v[10:11], v[126:127]
	v_add_f64_e32 v[4:5], v[4:5], v[98:99]
	v_add_f64_e32 v[12:13], v[12:13], v[92:93]
	s_delay_alu instid0(VALU_DEP_4) | instskip(NEXT) | instid1(VALU_DEP_4)
	v_fmac_f64_e32 v[84:85], v[10:11], v[124:125]
	v_fma_f64 v[8:9], v[8:9], v[124:125], -v[94:95]
	s_delay_alu instid0(VALU_DEP_4) | instskip(NEXT) | instid1(VALU_DEP_4)
	v_add_f64_e32 v[4:5], v[4:5], v[88:89]
	v_add_f64_e32 v[10:11], v[12:13], v[86:87]
	s_delay_alu instid0(VALU_DEP_2) | instskip(NEXT) | instid1(VALU_DEP_2)
	v_add_f64_e32 v[4:5], v[4:5], v[8:9]
	v_add_f64_e32 v[10:11], v[10:11], v[84:85]
	s_delay_alu instid0(VALU_DEP_2) | instskip(NEXT) | instid1(VALU_DEP_2)
	v_add_f64_e64 v[8:9], v[128:129], -v[4:5]
	v_add_f64_e64 v[10:11], v[130:131], -v[10:11]
	scratch_store_b128 off, v[8:11], off offset:176
	s_wait_xcnt 0x0
	v_cmpx_lt_u32_e32 10, v1
	s_cbranch_execz .LBB98_203
; %bb.202:
	scratch_load_b128 v[8:11], off, s41
	v_dual_mov_b32 v3, v2 :: v_dual_mov_b32 v4, v2
	v_mov_b32_e32 v5, v2
	scratch_store_b128 off, v[2:5], off offset:160
	s_wait_loadcnt 0x0
	ds_store_b128 v6, v[8:11]
.LBB98_203:
	s_wait_xcnt 0x0
	s_or_b32 exec_lo, exec_lo, s2
	s_wait_storecnt_dscnt 0x0
	s_barrier_signal -1
	s_barrier_wait -1
	s_clause 0x9
	scratch_load_b128 v[8:11], off, off offset:176
	scratch_load_b128 v[84:87], off, off offset:192
	;; [unrolled: 1-line block ×10, first 2 shown]
	ds_load_b128 v[120:123], v2 offset:736
	ds_load_b128 v[128:131], v2 offset:752
	s_clause 0x1
	scratch_load_b128 v[124:127], off, off offset:336
	scratch_load_b128 v[132:135], off, off offset:160
	s_mov_b32 s2, exec_lo
	s_wait_loadcnt_dscnt 0xb01
	v_mul_f64_e32 v[4:5], v[122:123], v[10:11]
	v_mul_f64_e32 v[144:145], v[120:121], v[10:11]
	scratch_load_b128 v[10:13], off, off offset:352
	s_wait_loadcnt_dscnt 0xb00
	v_mul_f64_e32 v[146:147], v[128:129], v[86:87]
	v_mul_f64_e32 v[86:87], v[130:131], v[86:87]
	v_fma_f64 v[4:5], v[120:121], v[8:9], -v[4:5]
	v_fmac_f64_e32 v[144:145], v[122:123], v[8:9]
	ds_load_b128 v[120:123], v2 offset:768
	ds_load_b128 v[136:139], v2 offset:784
	scratch_load_b128 v[140:143], off, off offset:368
	v_fmac_f64_e32 v[146:147], v[130:131], v[84:85]
	v_fma_f64 v[128:129], v[128:129], v[84:85], -v[86:87]
	scratch_load_b128 v[84:87], off, off offset:384
	s_wait_loadcnt_dscnt 0xc01
	v_mul_f64_e32 v[8:9], v[120:121], v[90:91]
	v_mul_f64_e32 v[90:91], v[122:123], v[90:91]
	v_add_f64_e32 v[4:5], 0, v[4:5]
	v_add_f64_e32 v[130:131], 0, v[144:145]
	s_wait_loadcnt_dscnt 0xb00
	v_mul_f64_e32 v[144:145], v[136:137], v[94:95]
	v_mul_f64_e32 v[94:95], v[138:139], v[94:95]
	v_fmac_f64_e32 v[8:9], v[122:123], v[88:89]
	v_fma_f64 v[148:149], v[120:121], v[88:89], -v[90:91]
	ds_load_b128 v[88:91], v2 offset:800
	ds_load_b128 v[120:123], v2 offset:816
	v_add_f64_e32 v[4:5], v[4:5], v[128:129]
	v_add_f64_e32 v[146:147], v[130:131], v[146:147]
	scratch_load_b128 v[128:131], off, off offset:400
	v_fmac_f64_e32 v[144:145], v[138:139], v[92:93]
	v_fma_f64 v[136:137], v[136:137], v[92:93], -v[94:95]
	scratch_load_b128 v[92:95], off, off offset:416
	s_wait_loadcnt_dscnt 0xc01
	v_mul_f64_e32 v[150:151], v[88:89], v[98:99]
	v_mul_f64_e32 v[98:99], v[90:91], v[98:99]
	v_add_f64_e32 v[4:5], v[4:5], v[148:149]
	v_add_f64_e32 v[8:9], v[146:147], v[8:9]
	s_wait_loadcnt_dscnt 0xb00
	v_mul_f64_e32 v[146:147], v[120:121], v[102:103]
	v_mul_f64_e32 v[102:103], v[122:123], v[102:103]
	v_fmac_f64_e32 v[150:151], v[90:91], v[96:97]
	v_fma_f64 v[148:149], v[88:89], v[96:97], -v[98:99]
	ds_load_b128 v[88:91], v2 offset:832
	ds_load_b128 v[96:99], v2 offset:848
	v_add_f64_e32 v[4:5], v[4:5], v[136:137]
	v_add_f64_e32 v[8:9], v[8:9], v[144:145]
	scratch_load_b128 v[136:139], off, off offset:432
	s_wait_loadcnt_dscnt 0xb01
	v_mul_f64_e32 v[144:145], v[88:89], v[106:107]
	v_mul_f64_e32 v[106:107], v[90:91], v[106:107]
	v_fmac_f64_e32 v[146:147], v[122:123], v[100:101]
	v_fma_f64 v[120:121], v[120:121], v[100:101], -v[102:103]
	scratch_load_b128 v[100:103], off, off offset:448
	v_add_f64_e32 v[4:5], v[4:5], v[148:149]
	v_add_f64_e32 v[8:9], v[8:9], v[150:151]
	s_wait_loadcnt_dscnt 0xb00
	v_mul_f64_e32 v[148:149], v[96:97], v[110:111]
	v_mul_f64_e32 v[110:111], v[98:99], v[110:111]
	v_fmac_f64_e32 v[144:145], v[90:91], v[104:105]
	v_fma_f64 v[150:151], v[88:89], v[104:105], -v[106:107]
	ds_load_b128 v[88:91], v2 offset:864
	ds_load_b128 v[104:107], v2 offset:880
	v_add_f64_e32 v[4:5], v[4:5], v[120:121]
	v_add_f64_e32 v[8:9], v[8:9], v[146:147]
	scratch_load_b128 v[120:123], off, off offset:464
	s_wait_loadcnt_dscnt 0xb01
	v_mul_f64_e32 v[146:147], v[88:89], v[114:115]
	v_mul_f64_e32 v[114:115], v[90:91], v[114:115]
	v_fmac_f64_e32 v[148:149], v[98:99], v[108:109]
	v_fma_f64 v[108:109], v[96:97], v[108:109], -v[110:111]
	scratch_load_b128 v[96:99], off, off offset:480
	v_add_f64_e32 v[4:5], v[4:5], v[150:151]
	v_add_f64_e32 v[8:9], v[8:9], v[144:145]
	s_wait_loadcnt_dscnt 0xb00
	v_mul_f64_e32 v[144:145], v[104:105], v[118:119]
	v_mul_f64_e32 v[118:119], v[106:107], v[118:119]
	v_fmac_f64_e32 v[146:147], v[90:91], v[112:113]
	v_fma_f64 v[150:151], v[88:89], v[112:113], -v[114:115]
	v_add_f64_e32 v[4:5], v[4:5], v[108:109]
	v_add_f64_e32 v[8:9], v[8:9], v[148:149]
	ds_load_b128 v[88:91], v2 offset:896
	ds_load_b128 v[108:111], v2 offset:912
	scratch_load_b128 v[112:115], off, off offset:496
	v_fmac_f64_e32 v[144:145], v[106:107], v[116:117]
	v_fma_f64 v[116:117], v[104:105], v[116:117], -v[118:119]
	scratch_load_b128 v[104:107], off, off offset:512
	s_wait_loadcnt_dscnt 0xc01
	v_mul_f64_e32 v[148:149], v[88:89], v[126:127]
	v_mul_f64_e32 v[126:127], v[90:91], v[126:127]
	v_add_f64_e32 v[4:5], v[4:5], v[150:151]
	v_add_f64_e32 v[8:9], v[8:9], v[146:147]
	s_wait_loadcnt_dscnt 0xa00
	v_mul_f64_e32 v[146:147], v[108:109], v[12:13]
	v_mul_f64_e32 v[12:13], v[110:111], v[12:13]
	v_fmac_f64_e32 v[148:149], v[90:91], v[124:125]
	v_fma_f64 v[150:151], v[88:89], v[124:125], -v[126:127]
	v_add_f64_e32 v[4:5], v[4:5], v[116:117]
	v_add_f64_e32 v[8:9], v[8:9], v[144:145]
	ds_load_b128 v[88:91], v2 offset:928
	ds_load_b128 v[116:119], v2 offset:944
	scratch_load_b128 v[124:127], off, off offset:528
	v_fmac_f64_e32 v[146:147], v[110:111], v[10:11]
	v_fma_f64 v[12:13], v[108:109], v[10:11], -v[12:13]
	s_wait_loadcnt_dscnt 0xa01
	v_mul_f64_e32 v[144:145], v[88:89], v[142:143]
	v_mul_f64_e32 v[142:143], v[90:91], v[142:143]
	v_add_f64_e32 v[4:5], v[4:5], v[150:151]
	v_add_f64_e32 v[108:109], v[8:9], v[148:149]
	scratch_load_b128 v[8:11], off, off offset:544
	s_wait_loadcnt_dscnt 0xa00
	v_mul_f64_e32 v[148:149], v[116:117], v[86:87]
	v_mul_f64_e32 v[150:151], v[118:119], v[86:87]
	v_fmac_f64_e32 v[144:145], v[90:91], v[140:141]
	v_fma_f64 v[90:91], v[88:89], v[140:141], -v[142:143]
	v_add_f64_e32 v[4:5], v[4:5], v[12:13]
	v_add_f64_e32 v[12:13], v[108:109], v[146:147]
	ds_load_b128 v[86:89], v2 offset:960
	ds_load_b128 v[108:111], v2 offset:976
	v_fmac_f64_e32 v[148:149], v[118:119], v[84:85]
	v_fma_f64 v[84:85], v[116:117], v[84:85], -v[150:151]
	s_wait_loadcnt_dscnt 0x901
	v_mul_f64_e32 v[140:141], v[86:87], v[130:131]
	v_mul_f64_e32 v[130:131], v[88:89], v[130:131]
	s_wait_loadcnt_dscnt 0x800
	v_mul_f64_e32 v[116:117], v[108:109], v[94:95]
	v_mul_f64_e32 v[94:95], v[110:111], v[94:95]
	v_add_f64_e32 v[4:5], v[4:5], v[90:91]
	v_add_f64_e32 v[12:13], v[12:13], v[144:145]
	v_fmac_f64_e32 v[140:141], v[88:89], v[128:129]
	v_fma_f64 v[118:119], v[86:87], v[128:129], -v[130:131]
	v_fmac_f64_e32 v[116:117], v[110:111], v[92:93]
	v_fma_f64 v[92:93], v[108:109], v[92:93], -v[94:95]
	v_add_f64_e32 v[4:5], v[4:5], v[84:85]
	v_add_f64_e32 v[12:13], v[12:13], v[148:149]
	ds_load_b128 v[84:87], v2 offset:992
	ds_load_b128 v[88:91], v2 offset:1008
	s_wait_loadcnt_dscnt 0x701
	v_mul_f64_e32 v[128:129], v[84:85], v[138:139]
	v_mul_f64_e32 v[130:131], v[86:87], v[138:139]
	s_wait_loadcnt_dscnt 0x600
	v_mul_f64_e32 v[108:109], v[88:89], v[102:103]
	v_mul_f64_e32 v[102:103], v[90:91], v[102:103]
	v_add_f64_e32 v[4:5], v[4:5], v[118:119]
	v_add_f64_e32 v[12:13], v[12:13], v[140:141]
	v_fmac_f64_e32 v[128:129], v[86:87], v[136:137]
	v_fma_f64 v[110:111], v[84:85], v[136:137], -v[130:131]
	v_fmac_f64_e32 v[108:109], v[90:91], v[100:101]
	v_fma_f64 v[88:89], v[88:89], v[100:101], -v[102:103]
	v_add_f64_e32 v[4:5], v[4:5], v[92:93]
	v_add_f64_e32 v[12:13], v[12:13], v[116:117]
	ds_load_b128 v[84:87], v2 offset:1024
	ds_load_b128 v[92:95], v2 offset:1040
	;; [unrolled: 16-line block ×4, first 2 shown]
	s_wait_loadcnt_dscnt 0x101
	v_mul_f64_e32 v[100:101], v[84:85], v[126:127]
	v_mul_f64_e32 v[102:103], v[86:87], v[126:127]
	v_add_f64_e32 v[90:91], v[92:93], v[98:99]
	v_add_f64_e32 v[12:13], v[12:13], v[108:109]
	s_wait_loadcnt_dscnt 0x0
	v_mul_f64_e32 v[92:93], v[2:3], v[10:11]
	v_mul_f64_e32 v[10:11], v[4:5], v[10:11]
	v_fmac_f64_e32 v[100:101], v[86:87], v[124:125]
	v_fma_f64 v[84:85], v[84:85], v[124:125], -v[102:103]
	v_add_f64_e32 v[86:87], v[90:91], v[88:89]
	v_add_f64_e32 v[12:13], v[12:13], v[94:95]
	v_fmac_f64_e32 v[92:93], v[4:5], v[8:9]
	v_fma_f64 v[2:3], v[2:3], v[8:9], -v[10:11]
	s_delay_alu instid0(VALU_DEP_4) | instskip(NEXT) | instid1(VALU_DEP_4)
	v_add_f64_e32 v[4:5], v[86:87], v[84:85]
	v_add_f64_e32 v[8:9], v[12:13], v[100:101]
	s_delay_alu instid0(VALU_DEP_2) | instskip(NEXT) | instid1(VALU_DEP_2)
	v_add_f64_e32 v[2:3], v[4:5], v[2:3]
	v_add_f64_e32 v[4:5], v[8:9], v[92:93]
	s_delay_alu instid0(VALU_DEP_2) | instskip(NEXT) | instid1(VALU_DEP_2)
	v_add_f64_e64 v[2:3], v[132:133], -v[2:3]
	v_add_f64_e64 v[4:5], v[134:135], -v[4:5]
	scratch_store_b128 off, v[2:5], off offset:160
	s_wait_xcnt 0x0
	v_cmpx_lt_u32_e32 9, v1
	s_cbranch_execz .LBB98_205
; %bb.204:
	scratch_load_b128 v[2:5], off, s42
	v_mov_b32_e32 v8, 0
	s_delay_alu instid0(VALU_DEP_1)
	v_dual_mov_b32 v9, v8 :: v_dual_mov_b32 v10, v8
	v_mov_b32_e32 v11, v8
	scratch_store_b128 off, v[8:11], off offset:144
	s_wait_loadcnt 0x0
	ds_store_b128 v6, v[2:5]
.LBB98_205:
	s_wait_xcnt 0x0
	s_or_b32 exec_lo, exec_lo, s2
	s_wait_storecnt_dscnt 0x0
	s_barrier_signal -1
	s_barrier_wait -1
	s_clause 0x9
	scratch_load_b128 v[8:11], off, off offset:160
	scratch_load_b128 v[84:87], off, off offset:176
	;; [unrolled: 1-line block ×10, first 2 shown]
	v_mov_b32_e32 v2, 0
	s_mov_b32 s2, exec_lo
	ds_load_b128 v[120:123], v2 offset:720
	s_clause 0x2
	scratch_load_b128 v[124:127], off, off offset:320
	scratch_load_b128 v[128:131], off, off offset:144
	;; [unrolled: 1-line block ×3, first 2 shown]
	s_wait_loadcnt_dscnt 0xc00
	v_mul_f64_e32 v[4:5], v[122:123], v[10:11]
	v_mul_f64_e32 v[144:145], v[120:121], v[10:11]
	ds_load_b128 v[132:135], v2 offset:736
	scratch_load_b128 v[10:13], off, off offset:336
	ds_load_b128 v[140:143], v2 offset:768
	v_fma_f64 v[4:5], v[120:121], v[8:9], -v[4:5]
	v_fmac_f64_e32 v[144:145], v[122:123], v[8:9]
	ds_load_b128 v[120:123], v2 offset:752
	s_wait_loadcnt_dscnt 0xc02
	v_mul_f64_e32 v[146:147], v[132:133], v[86:87]
	v_mul_f64_e32 v[86:87], v[134:135], v[86:87]
	s_wait_loadcnt_dscnt 0xb00
	v_mul_f64_e32 v[8:9], v[120:121], v[90:91]
	v_mul_f64_e32 v[90:91], v[122:123], v[90:91]
	v_add_f64_e32 v[4:5], 0, v[4:5]
	v_fmac_f64_e32 v[146:147], v[134:135], v[84:85]
	v_fma_f64 v[132:133], v[132:133], v[84:85], -v[86:87]
	v_add_f64_e32 v[134:135], 0, v[144:145]
	scratch_load_b128 v[84:87], off, off offset:368
	v_fmac_f64_e32 v[8:9], v[122:123], v[88:89]
	v_fma_f64 v[148:149], v[120:121], v[88:89], -v[90:91]
	ds_load_b128 v[88:91], v2 offset:784
	s_wait_loadcnt 0xb
	v_mul_f64_e32 v[144:145], v[140:141], v[94:95]
	v_mul_f64_e32 v[94:95], v[142:143], v[94:95]
	scratch_load_b128 v[120:123], off, off offset:384
	v_add_f64_e32 v[4:5], v[4:5], v[132:133]
	v_add_f64_e32 v[146:147], v[134:135], v[146:147]
	ds_load_b128 v[132:135], v2 offset:800
	s_wait_loadcnt_dscnt 0xb01
	v_mul_f64_e32 v[150:151], v[88:89], v[98:99]
	v_mul_f64_e32 v[98:99], v[90:91], v[98:99]
	v_fmac_f64_e32 v[144:145], v[142:143], v[92:93]
	v_fma_f64 v[140:141], v[140:141], v[92:93], -v[94:95]
	scratch_load_b128 v[92:95], off, off offset:400
	v_add_f64_e32 v[4:5], v[4:5], v[148:149]
	v_add_f64_e32 v[8:9], v[146:147], v[8:9]
	v_fmac_f64_e32 v[150:151], v[90:91], v[96:97]
	v_fma_f64 v[148:149], v[88:89], v[96:97], -v[98:99]
	ds_load_b128 v[88:91], v2 offset:816
	s_wait_loadcnt_dscnt 0xb01
	v_mul_f64_e32 v[146:147], v[132:133], v[102:103]
	v_mul_f64_e32 v[102:103], v[134:135], v[102:103]
	scratch_load_b128 v[96:99], off, off offset:416
	v_add_f64_e32 v[4:5], v[4:5], v[140:141]
	v_add_f64_e32 v[8:9], v[8:9], v[144:145]
	s_wait_loadcnt_dscnt 0xb00
	v_mul_f64_e32 v[144:145], v[88:89], v[106:107]
	v_mul_f64_e32 v[106:107], v[90:91], v[106:107]
	ds_load_b128 v[140:143], v2 offset:832
	v_fmac_f64_e32 v[146:147], v[134:135], v[100:101]
	v_fma_f64 v[132:133], v[132:133], v[100:101], -v[102:103]
	scratch_load_b128 v[100:103], off, off offset:432
	v_add_f64_e32 v[4:5], v[4:5], v[148:149]
	v_add_f64_e32 v[8:9], v[8:9], v[150:151]
	v_fmac_f64_e32 v[144:145], v[90:91], v[104:105]
	v_fma_f64 v[150:151], v[88:89], v[104:105], -v[106:107]
	ds_load_b128 v[88:91], v2 offset:848
	s_wait_loadcnt_dscnt 0xb01
	v_mul_f64_e32 v[148:149], v[140:141], v[110:111]
	v_mul_f64_e32 v[110:111], v[142:143], v[110:111]
	scratch_load_b128 v[104:107], off, off offset:448
	v_add_f64_e32 v[4:5], v[4:5], v[132:133]
	v_add_f64_e32 v[8:9], v[8:9], v[146:147]
	s_wait_loadcnt_dscnt 0xb00
	v_mul_f64_e32 v[146:147], v[88:89], v[114:115]
	v_mul_f64_e32 v[114:115], v[90:91], v[114:115]
	ds_load_b128 v[132:135], v2 offset:864
	;; [unrolled: 18-line block ×3, first 2 shown]
	v_fmac_f64_e32 v[144:145], v[134:135], v[116:117]
	v_fma_f64 v[132:133], v[132:133], v[116:117], -v[118:119]
	scratch_load_b128 v[116:119], off, off offset:496
	v_add_f64_e32 v[4:5], v[4:5], v[150:151]
	v_add_f64_e32 v[8:9], v[8:9], v[146:147]
	v_fmac_f64_e32 v[148:149], v[90:91], v[124:125]
	v_fma_f64 v[150:151], v[88:89], v[124:125], -v[126:127]
	ds_load_b128 v[88:91], v2 offset:912
	s_wait_loadcnt_dscnt 0x901
	v_mul_f64_e32 v[146:147], v[140:141], v[12:13]
	v_mul_f64_e32 v[12:13], v[142:143], v[12:13]
	scratch_load_b128 v[124:127], off, off offset:512
	v_add_f64_e32 v[4:5], v[4:5], v[132:133]
	v_add_f64_e32 v[8:9], v[8:9], v[144:145]
	s_wait_dscnt 0x0
	v_mul_f64_e32 v[144:145], v[88:89], v[138:139]
	v_mul_f64_e32 v[138:139], v[90:91], v[138:139]
	ds_load_b128 v[132:135], v2 offset:928
	v_fmac_f64_e32 v[146:147], v[142:143], v[10:11]
	v_fma_f64 v[12:13], v[140:141], v[10:11], -v[12:13]
	v_add_f64_e32 v[4:5], v[4:5], v[150:151]
	v_add_f64_e32 v[140:141], v[8:9], v[148:149]
	scratch_load_b128 v[8:11], off, off offset:528
	v_fmac_f64_e32 v[144:145], v[90:91], v[136:137]
	v_fma_f64 v[90:91], v[88:89], v[136:137], -v[138:139]
	scratch_load_b128 v[136:139], off, off offset:544
	v_add_f64_e32 v[4:5], v[4:5], v[12:13]
	v_add_f64_e32 v[12:13], v[140:141], v[146:147]
	ds_load_b128 v[140:143], v2 offset:960
	s_wait_loadcnt_dscnt 0xb01
	v_mul_f64_e32 v[148:149], v[132:133], v[86:87]
	v_mul_f64_e32 v[150:151], v[134:135], v[86:87]
	ds_load_b128 v[86:89], v2 offset:944
	s_wait_loadcnt_dscnt 0xa00
	v_mul_f64_e32 v[146:147], v[86:87], v[122:123]
	v_mul_f64_e32 v[122:123], v[88:89], v[122:123]
	v_add_f64_e32 v[4:5], v[4:5], v[90:91]
	v_add_f64_e32 v[12:13], v[12:13], v[144:145]
	v_fmac_f64_e32 v[148:149], v[134:135], v[84:85]
	v_fma_f64 v[84:85], v[132:133], v[84:85], -v[150:151]
	s_wait_loadcnt 0x9
	v_mul_f64_e32 v[132:133], v[140:141], v[94:95]
	v_mul_f64_e32 v[94:95], v[142:143], v[94:95]
	v_fmac_f64_e32 v[146:147], v[88:89], v[120:121]
	v_fma_f64 v[120:121], v[86:87], v[120:121], -v[122:123]
	v_add_f64_e32 v[12:13], v[12:13], v[148:149]
	v_add_f64_e32 v[4:5], v[4:5], v[84:85]
	ds_load_b128 v[84:87], v2 offset:976
	ds_load_b128 v[88:91], v2 offset:992
	v_fmac_f64_e32 v[132:133], v[142:143], v[92:93]
	v_fma_f64 v[92:93], v[140:141], v[92:93], -v[94:95]
	s_wait_loadcnt_dscnt 0x801
	v_mul_f64_e32 v[122:123], v[84:85], v[98:99]
	v_mul_f64_e32 v[98:99], v[86:87], v[98:99]
	v_add_f64_e32 v[12:13], v[12:13], v[146:147]
	v_add_f64_e32 v[4:5], v[4:5], v[120:121]
	s_wait_loadcnt_dscnt 0x700
	v_mul_f64_e32 v[120:121], v[88:89], v[102:103]
	v_mul_f64_e32 v[102:103], v[90:91], v[102:103]
	v_fmac_f64_e32 v[122:123], v[86:87], v[96:97]
	v_fma_f64 v[96:97], v[84:85], v[96:97], -v[98:99]
	v_add_f64_e32 v[12:13], v[12:13], v[132:133]
	v_add_f64_e32 v[4:5], v[4:5], v[92:93]
	ds_load_b128 v[84:87], v2 offset:1008
	ds_load_b128 v[92:95], v2 offset:1024
	v_fmac_f64_e32 v[120:121], v[90:91], v[100:101]
	v_fma_f64 v[88:89], v[88:89], v[100:101], -v[102:103]
	s_wait_loadcnt_dscnt 0x601
	v_mul_f64_e32 v[98:99], v[84:85], v[106:107]
	v_mul_f64_e32 v[106:107], v[86:87], v[106:107]
	s_wait_loadcnt_dscnt 0x500
	v_mul_f64_e32 v[100:101], v[94:95], v[110:111]
	v_add_f64_e32 v[12:13], v[12:13], v[122:123]
	v_add_f64_e32 v[4:5], v[4:5], v[96:97]
	v_mul_f64_e32 v[96:97], v[92:93], v[110:111]
	v_fmac_f64_e32 v[98:99], v[86:87], v[104:105]
	v_fma_f64 v[102:103], v[84:85], v[104:105], -v[106:107]
	v_fma_f64 v[92:93], v[92:93], v[108:109], -v[100:101]
	v_add_f64_e32 v[12:13], v[12:13], v[120:121]
	v_add_f64_e32 v[4:5], v[4:5], v[88:89]
	ds_load_b128 v[84:87], v2 offset:1040
	ds_load_b128 v[88:91], v2 offset:1056
	v_fmac_f64_e32 v[96:97], v[94:95], v[108:109]
	s_wait_loadcnt_dscnt 0x401
	v_mul_f64_e32 v[104:105], v[84:85], v[114:115]
	v_mul_f64_e32 v[106:107], v[86:87], v[114:115]
	s_wait_loadcnt_dscnt 0x300
	v_mul_f64_e32 v[100:101], v[90:91], v[118:119]
	v_add_f64_e32 v[12:13], v[12:13], v[98:99]
	v_add_f64_e32 v[4:5], v[4:5], v[102:103]
	v_mul_f64_e32 v[98:99], v[88:89], v[118:119]
	v_fmac_f64_e32 v[104:105], v[86:87], v[112:113]
	v_fma_f64 v[102:103], v[84:85], v[112:113], -v[106:107]
	v_fma_f64 v[88:89], v[88:89], v[116:117], -v[100:101]
	v_add_f64_e32 v[12:13], v[12:13], v[96:97]
	v_add_f64_e32 v[4:5], v[4:5], v[92:93]
	ds_load_b128 v[84:87], v2 offset:1072
	ds_load_b128 v[92:95], v2 offset:1088
	v_fmac_f64_e32 v[98:99], v[90:91], v[116:117]
	s_wait_loadcnt_dscnt 0x201
	v_mul_f64_e32 v[96:97], v[84:85], v[126:127]
	v_mul_f64_e32 v[106:107], v[86:87], v[126:127]
	s_wait_loadcnt_dscnt 0x100
	v_mul_f64_e32 v[90:91], v[92:93], v[10:11]
	v_add_f64_e32 v[12:13], v[12:13], v[104:105]
	v_add_f64_e32 v[4:5], v[4:5], v[102:103]
	v_mul_f64_e32 v[100:101], v[94:95], v[10:11]
	v_fmac_f64_e32 v[96:97], v[86:87], v[124:125]
	v_fma_f64 v[84:85], v[84:85], v[124:125], -v[106:107]
	v_fmac_f64_e32 v[90:91], v[94:95], v[8:9]
	v_add_f64_e32 v[86:87], v[12:13], v[98:99]
	v_add_f64_e32 v[4:5], v[4:5], v[88:89]
	ds_load_b128 v[10:13], v2 offset:1104
	v_fma_f64 v[8:9], v[92:93], v[8:9], -v[100:101]
	s_wait_loadcnt_dscnt 0x0
	v_mul_f64_e32 v[88:89], v[10:11], v[138:139]
	v_mul_f64_e32 v[98:99], v[12:13], v[138:139]
	v_add_f64_e32 v[4:5], v[4:5], v[84:85]
	v_add_f64_e32 v[84:85], v[86:87], v[96:97]
	s_delay_alu instid0(VALU_DEP_4) | instskip(NEXT) | instid1(VALU_DEP_4)
	v_fmac_f64_e32 v[88:89], v[12:13], v[136:137]
	v_fma_f64 v[10:11], v[10:11], v[136:137], -v[98:99]
	s_delay_alu instid0(VALU_DEP_4) | instskip(NEXT) | instid1(VALU_DEP_4)
	v_add_f64_e32 v[4:5], v[4:5], v[8:9]
	v_add_f64_e32 v[8:9], v[84:85], v[90:91]
	s_delay_alu instid0(VALU_DEP_2) | instskip(NEXT) | instid1(VALU_DEP_2)
	v_add_f64_e32 v[4:5], v[4:5], v[10:11]
	v_add_f64_e32 v[10:11], v[8:9], v[88:89]
	s_delay_alu instid0(VALU_DEP_2) | instskip(NEXT) | instid1(VALU_DEP_2)
	v_add_f64_e64 v[8:9], v[128:129], -v[4:5]
	v_add_f64_e64 v[10:11], v[130:131], -v[10:11]
	scratch_store_b128 off, v[8:11], off offset:144
	s_wait_xcnt 0x0
	v_cmpx_lt_u32_e32 8, v1
	s_cbranch_execz .LBB98_207
; %bb.206:
	scratch_load_b128 v[8:11], off, s43
	v_dual_mov_b32 v3, v2 :: v_dual_mov_b32 v4, v2
	v_mov_b32_e32 v5, v2
	scratch_store_b128 off, v[2:5], off offset:128
	s_wait_loadcnt 0x0
	ds_store_b128 v6, v[8:11]
.LBB98_207:
	s_wait_xcnt 0x0
	s_or_b32 exec_lo, exec_lo, s2
	s_wait_storecnt_dscnt 0x0
	s_barrier_signal -1
	s_barrier_wait -1
	s_clause 0x9
	scratch_load_b128 v[8:11], off, off offset:144
	scratch_load_b128 v[84:87], off, off offset:160
	scratch_load_b128 v[88:91], off, off offset:176
	scratch_load_b128 v[92:95], off, off offset:192
	scratch_load_b128 v[96:99], off, off offset:208
	scratch_load_b128 v[100:103], off, off offset:224
	scratch_load_b128 v[104:107], off, off offset:240
	scratch_load_b128 v[108:111], off, off offset:256
	scratch_load_b128 v[112:115], off, off offset:272
	scratch_load_b128 v[116:119], off, off offset:288
	ds_load_b128 v[120:123], v2 offset:704
	ds_load_b128 v[128:131], v2 offset:720
	s_clause 0x1
	scratch_load_b128 v[124:127], off, off offset:304
	scratch_load_b128 v[132:135], off, off offset:128
	s_mov_b32 s2, exec_lo
	s_wait_loadcnt_dscnt 0xb01
	v_mul_f64_e32 v[4:5], v[122:123], v[10:11]
	v_mul_f64_e32 v[144:145], v[120:121], v[10:11]
	scratch_load_b128 v[10:13], off, off offset:320
	s_wait_loadcnt_dscnt 0xb00
	v_mul_f64_e32 v[146:147], v[128:129], v[86:87]
	v_mul_f64_e32 v[86:87], v[130:131], v[86:87]
	v_fma_f64 v[4:5], v[120:121], v[8:9], -v[4:5]
	v_fmac_f64_e32 v[144:145], v[122:123], v[8:9]
	ds_load_b128 v[120:123], v2 offset:736
	ds_load_b128 v[136:139], v2 offset:752
	scratch_load_b128 v[140:143], off, off offset:336
	v_fmac_f64_e32 v[146:147], v[130:131], v[84:85]
	v_fma_f64 v[128:129], v[128:129], v[84:85], -v[86:87]
	scratch_load_b128 v[84:87], off, off offset:352
	s_wait_loadcnt_dscnt 0xc01
	v_mul_f64_e32 v[8:9], v[120:121], v[90:91]
	v_mul_f64_e32 v[90:91], v[122:123], v[90:91]
	v_add_f64_e32 v[4:5], 0, v[4:5]
	v_add_f64_e32 v[130:131], 0, v[144:145]
	s_wait_loadcnt_dscnt 0xb00
	v_mul_f64_e32 v[144:145], v[136:137], v[94:95]
	v_mul_f64_e32 v[94:95], v[138:139], v[94:95]
	v_fmac_f64_e32 v[8:9], v[122:123], v[88:89]
	v_fma_f64 v[148:149], v[120:121], v[88:89], -v[90:91]
	ds_load_b128 v[88:91], v2 offset:768
	ds_load_b128 v[120:123], v2 offset:784
	v_add_f64_e32 v[4:5], v[4:5], v[128:129]
	v_add_f64_e32 v[146:147], v[130:131], v[146:147]
	scratch_load_b128 v[128:131], off, off offset:368
	v_fmac_f64_e32 v[144:145], v[138:139], v[92:93]
	v_fma_f64 v[136:137], v[136:137], v[92:93], -v[94:95]
	scratch_load_b128 v[92:95], off, off offset:384
	s_wait_loadcnt_dscnt 0xc01
	v_mul_f64_e32 v[150:151], v[88:89], v[98:99]
	v_mul_f64_e32 v[98:99], v[90:91], v[98:99]
	v_add_f64_e32 v[4:5], v[4:5], v[148:149]
	v_add_f64_e32 v[8:9], v[146:147], v[8:9]
	s_wait_loadcnt_dscnt 0xb00
	v_mul_f64_e32 v[146:147], v[120:121], v[102:103]
	v_mul_f64_e32 v[102:103], v[122:123], v[102:103]
	v_fmac_f64_e32 v[150:151], v[90:91], v[96:97]
	v_fma_f64 v[148:149], v[88:89], v[96:97], -v[98:99]
	ds_load_b128 v[88:91], v2 offset:800
	ds_load_b128 v[96:99], v2 offset:816
	v_add_f64_e32 v[4:5], v[4:5], v[136:137]
	v_add_f64_e32 v[8:9], v[8:9], v[144:145]
	scratch_load_b128 v[136:139], off, off offset:400
	s_wait_loadcnt_dscnt 0xb01
	v_mul_f64_e32 v[144:145], v[88:89], v[106:107]
	v_mul_f64_e32 v[106:107], v[90:91], v[106:107]
	v_fmac_f64_e32 v[146:147], v[122:123], v[100:101]
	v_fma_f64 v[120:121], v[120:121], v[100:101], -v[102:103]
	scratch_load_b128 v[100:103], off, off offset:416
	v_add_f64_e32 v[4:5], v[4:5], v[148:149]
	v_add_f64_e32 v[8:9], v[8:9], v[150:151]
	s_wait_loadcnt_dscnt 0xb00
	v_mul_f64_e32 v[148:149], v[96:97], v[110:111]
	v_mul_f64_e32 v[110:111], v[98:99], v[110:111]
	v_fmac_f64_e32 v[144:145], v[90:91], v[104:105]
	v_fma_f64 v[150:151], v[88:89], v[104:105], -v[106:107]
	ds_load_b128 v[88:91], v2 offset:832
	ds_load_b128 v[104:107], v2 offset:848
	v_add_f64_e32 v[4:5], v[4:5], v[120:121]
	v_add_f64_e32 v[8:9], v[8:9], v[146:147]
	scratch_load_b128 v[120:123], off, off offset:432
	s_wait_loadcnt_dscnt 0xb01
	v_mul_f64_e32 v[146:147], v[88:89], v[114:115]
	v_mul_f64_e32 v[114:115], v[90:91], v[114:115]
	v_fmac_f64_e32 v[148:149], v[98:99], v[108:109]
	v_fma_f64 v[108:109], v[96:97], v[108:109], -v[110:111]
	scratch_load_b128 v[96:99], off, off offset:448
	v_add_f64_e32 v[4:5], v[4:5], v[150:151]
	v_add_f64_e32 v[8:9], v[8:9], v[144:145]
	s_wait_loadcnt_dscnt 0xb00
	v_mul_f64_e32 v[144:145], v[104:105], v[118:119]
	v_mul_f64_e32 v[118:119], v[106:107], v[118:119]
	v_fmac_f64_e32 v[146:147], v[90:91], v[112:113]
	v_fma_f64 v[150:151], v[88:89], v[112:113], -v[114:115]
	v_add_f64_e32 v[4:5], v[4:5], v[108:109]
	v_add_f64_e32 v[8:9], v[8:9], v[148:149]
	ds_load_b128 v[88:91], v2 offset:864
	ds_load_b128 v[108:111], v2 offset:880
	scratch_load_b128 v[112:115], off, off offset:464
	v_fmac_f64_e32 v[144:145], v[106:107], v[116:117]
	v_fma_f64 v[116:117], v[104:105], v[116:117], -v[118:119]
	scratch_load_b128 v[104:107], off, off offset:480
	s_wait_loadcnt_dscnt 0xc01
	v_mul_f64_e32 v[148:149], v[88:89], v[126:127]
	v_mul_f64_e32 v[126:127], v[90:91], v[126:127]
	v_add_f64_e32 v[4:5], v[4:5], v[150:151]
	v_add_f64_e32 v[8:9], v[8:9], v[146:147]
	s_wait_loadcnt_dscnt 0xa00
	v_mul_f64_e32 v[146:147], v[108:109], v[12:13]
	v_mul_f64_e32 v[12:13], v[110:111], v[12:13]
	v_fmac_f64_e32 v[148:149], v[90:91], v[124:125]
	v_fma_f64 v[150:151], v[88:89], v[124:125], -v[126:127]
	v_add_f64_e32 v[4:5], v[4:5], v[116:117]
	v_add_f64_e32 v[8:9], v[8:9], v[144:145]
	ds_load_b128 v[88:91], v2 offset:896
	ds_load_b128 v[116:119], v2 offset:912
	scratch_load_b128 v[124:127], off, off offset:496
	v_fmac_f64_e32 v[146:147], v[110:111], v[10:11]
	v_fma_f64 v[12:13], v[108:109], v[10:11], -v[12:13]
	s_wait_loadcnt_dscnt 0xa01
	v_mul_f64_e32 v[144:145], v[88:89], v[142:143]
	v_mul_f64_e32 v[142:143], v[90:91], v[142:143]
	v_add_f64_e32 v[4:5], v[4:5], v[150:151]
	v_add_f64_e32 v[108:109], v[8:9], v[148:149]
	scratch_load_b128 v[8:11], off, off offset:512
	s_wait_loadcnt_dscnt 0xa00
	v_mul_f64_e32 v[148:149], v[116:117], v[86:87]
	v_mul_f64_e32 v[150:151], v[118:119], v[86:87]
	v_fmac_f64_e32 v[144:145], v[90:91], v[140:141]
	v_fma_f64 v[90:91], v[88:89], v[140:141], -v[142:143]
	v_add_f64_e32 v[4:5], v[4:5], v[12:13]
	v_add_f64_e32 v[12:13], v[108:109], v[146:147]
	ds_load_b128 v[86:89], v2 offset:928
	ds_load_b128 v[108:111], v2 offset:944
	scratch_load_b128 v[140:143], off, off offset:528
	v_fmac_f64_e32 v[148:149], v[118:119], v[84:85]
	v_fma_f64 v[84:85], v[116:117], v[84:85], -v[150:151]
	scratch_load_b128 v[116:119], off, off offset:544
	s_wait_loadcnt_dscnt 0xb01
	v_mul_f64_e32 v[146:147], v[86:87], v[130:131]
	v_mul_f64_e32 v[130:131], v[88:89], v[130:131]
	v_add_f64_e32 v[4:5], v[4:5], v[90:91]
	v_add_f64_e32 v[12:13], v[12:13], v[144:145]
	s_wait_loadcnt_dscnt 0xa00
	v_mul_f64_e32 v[144:145], v[108:109], v[94:95]
	v_mul_f64_e32 v[94:95], v[110:111], v[94:95]
	v_fmac_f64_e32 v[146:147], v[88:89], v[128:129]
	v_fma_f64 v[128:129], v[86:87], v[128:129], -v[130:131]
	v_add_f64_e32 v[4:5], v[4:5], v[84:85]
	v_add_f64_e32 v[12:13], v[12:13], v[148:149]
	ds_load_b128 v[84:87], v2 offset:960
	ds_load_b128 v[88:91], v2 offset:976
	v_fmac_f64_e32 v[144:145], v[110:111], v[92:93]
	v_fma_f64 v[92:93], v[108:109], v[92:93], -v[94:95]
	s_wait_loadcnt_dscnt 0x901
	v_mul_f64_e32 v[130:131], v[84:85], v[138:139]
	v_mul_f64_e32 v[138:139], v[86:87], v[138:139]
	s_wait_loadcnt_dscnt 0x800
	v_mul_f64_e32 v[108:109], v[88:89], v[102:103]
	v_mul_f64_e32 v[102:103], v[90:91], v[102:103]
	v_add_f64_e32 v[4:5], v[4:5], v[128:129]
	v_add_f64_e32 v[12:13], v[12:13], v[146:147]
	v_fmac_f64_e32 v[130:131], v[86:87], v[136:137]
	v_fma_f64 v[110:111], v[84:85], v[136:137], -v[138:139]
	v_fmac_f64_e32 v[108:109], v[90:91], v[100:101]
	v_fma_f64 v[88:89], v[88:89], v[100:101], -v[102:103]
	v_add_f64_e32 v[4:5], v[4:5], v[92:93]
	v_add_f64_e32 v[12:13], v[12:13], v[144:145]
	ds_load_b128 v[84:87], v2 offset:992
	ds_load_b128 v[92:95], v2 offset:1008
	s_wait_loadcnt_dscnt 0x701
	v_mul_f64_e32 v[128:129], v[84:85], v[122:123]
	v_mul_f64_e32 v[122:123], v[86:87], v[122:123]
	s_wait_loadcnt_dscnt 0x600
	v_mul_f64_e32 v[100:101], v[92:93], v[98:99]
	v_mul_f64_e32 v[98:99], v[94:95], v[98:99]
	v_add_f64_e32 v[4:5], v[4:5], v[110:111]
	v_add_f64_e32 v[12:13], v[12:13], v[130:131]
	v_fmac_f64_e32 v[128:129], v[86:87], v[120:121]
	v_fma_f64 v[102:103], v[84:85], v[120:121], -v[122:123]
	v_fmac_f64_e32 v[100:101], v[94:95], v[96:97]
	v_fma_f64 v[92:93], v[92:93], v[96:97], -v[98:99]
	v_add_f64_e32 v[4:5], v[4:5], v[88:89]
	v_add_f64_e32 v[12:13], v[12:13], v[108:109]
	ds_load_b128 v[84:87], v2 offset:1024
	ds_load_b128 v[88:91], v2 offset:1040
	;; [unrolled: 16-line block ×3, first 2 shown]
	s_wait_loadcnt_dscnt 0x301
	v_mul_f64_e32 v[100:101], v[84:85], v[126:127]
	v_mul_f64_e32 v[106:107], v[86:87], v[126:127]
	v_add_f64_e32 v[4:5], v[4:5], v[102:103]
	v_add_f64_e32 v[12:13], v[12:13], v[108:109]
	s_wait_loadcnt_dscnt 0x200
	v_mul_f64_e32 v[90:91], v[92:93], v[10:11]
	v_mul_f64_e32 v[98:99], v[94:95], v[10:11]
	v_fmac_f64_e32 v[100:101], v[86:87], v[124:125]
	v_fma_f64 v[84:85], v[84:85], v[124:125], -v[106:107]
	v_add_f64_e32 v[86:87], v[4:5], v[88:89]
	v_add_f64_e32 v[88:89], v[12:13], v[96:97]
	ds_load_b128 v[10:13], v2 offset:1088
	ds_load_b128 v[2:5], v2 offset:1104
	v_fmac_f64_e32 v[90:91], v[94:95], v[8:9]
	v_fma_f64 v[8:9], v[92:93], v[8:9], -v[98:99]
	s_wait_loadcnt_dscnt 0x101
	v_mul_f64_e32 v[96:97], v[10:11], v[142:143]
	v_mul_f64_e32 v[102:103], v[12:13], v[142:143]
	s_wait_loadcnt_dscnt 0x0
	v_mul_f64_e32 v[92:93], v[4:5], v[118:119]
	v_add_f64_e32 v[84:85], v[86:87], v[84:85]
	v_add_f64_e32 v[86:87], v[88:89], v[100:101]
	v_mul_f64_e32 v[88:89], v[2:3], v[118:119]
	v_fmac_f64_e32 v[96:97], v[12:13], v[140:141]
	v_fma_f64 v[10:11], v[10:11], v[140:141], -v[102:103]
	v_fma_f64 v[2:3], v[2:3], v[116:117], -v[92:93]
	v_add_f64_e32 v[8:9], v[84:85], v[8:9]
	v_add_f64_e32 v[12:13], v[86:87], v[90:91]
	v_fmac_f64_e32 v[88:89], v[4:5], v[116:117]
	s_delay_alu instid0(VALU_DEP_3) | instskip(NEXT) | instid1(VALU_DEP_3)
	v_add_f64_e32 v[4:5], v[8:9], v[10:11]
	v_add_f64_e32 v[8:9], v[12:13], v[96:97]
	s_delay_alu instid0(VALU_DEP_2) | instskip(NEXT) | instid1(VALU_DEP_2)
	v_add_f64_e32 v[2:3], v[4:5], v[2:3]
	v_add_f64_e32 v[4:5], v[8:9], v[88:89]
	s_delay_alu instid0(VALU_DEP_2) | instskip(NEXT) | instid1(VALU_DEP_2)
	v_add_f64_e64 v[2:3], v[132:133], -v[2:3]
	v_add_f64_e64 v[4:5], v[134:135], -v[4:5]
	scratch_store_b128 off, v[2:5], off offset:128
	s_wait_xcnt 0x0
	v_cmpx_lt_u32_e32 7, v1
	s_cbranch_execz .LBB98_209
; %bb.208:
	scratch_load_b128 v[2:5], off, s44
	v_mov_b32_e32 v8, 0
	s_delay_alu instid0(VALU_DEP_1)
	v_dual_mov_b32 v9, v8 :: v_dual_mov_b32 v10, v8
	v_mov_b32_e32 v11, v8
	scratch_store_b128 off, v[8:11], off offset:112
	s_wait_loadcnt 0x0
	ds_store_b128 v6, v[2:5]
.LBB98_209:
	s_wait_xcnt 0x0
	s_or_b32 exec_lo, exec_lo, s2
	s_wait_storecnt_dscnt 0x0
	s_barrier_signal -1
	s_barrier_wait -1
	s_clause 0x9
	scratch_load_b128 v[8:11], off, off offset:128
	scratch_load_b128 v[84:87], off, off offset:144
	;; [unrolled: 1-line block ×10, first 2 shown]
	v_mov_b32_e32 v2, 0
	s_mov_b32 s2, exec_lo
	ds_load_b128 v[120:123], v2 offset:688
	s_clause 0x2
	scratch_load_b128 v[124:127], off, off offset:288
	scratch_load_b128 v[128:131], off, off offset:112
	;; [unrolled: 1-line block ×3, first 2 shown]
	s_wait_loadcnt_dscnt 0xc00
	v_mul_f64_e32 v[4:5], v[122:123], v[10:11]
	v_mul_f64_e32 v[144:145], v[120:121], v[10:11]
	ds_load_b128 v[132:135], v2 offset:704
	scratch_load_b128 v[10:13], off, off offset:304
	ds_load_b128 v[140:143], v2 offset:736
	v_fma_f64 v[4:5], v[120:121], v[8:9], -v[4:5]
	v_fmac_f64_e32 v[144:145], v[122:123], v[8:9]
	ds_load_b128 v[120:123], v2 offset:720
	s_wait_loadcnt_dscnt 0xc02
	v_mul_f64_e32 v[146:147], v[132:133], v[86:87]
	v_mul_f64_e32 v[86:87], v[134:135], v[86:87]
	s_wait_loadcnt_dscnt 0xb00
	v_mul_f64_e32 v[8:9], v[120:121], v[90:91]
	v_mul_f64_e32 v[90:91], v[122:123], v[90:91]
	v_add_f64_e32 v[4:5], 0, v[4:5]
	v_fmac_f64_e32 v[146:147], v[134:135], v[84:85]
	v_fma_f64 v[132:133], v[132:133], v[84:85], -v[86:87]
	v_add_f64_e32 v[134:135], 0, v[144:145]
	scratch_load_b128 v[84:87], off, off offset:336
	v_fmac_f64_e32 v[8:9], v[122:123], v[88:89]
	v_fma_f64 v[148:149], v[120:121], v[88:89], -v[90:91]
	ds_load_b128 v[88:91], v2 offset:752
	s_wait_loadcnt 0xb
	v_mul_f64_e32 v[144:145], v[140:141], v[94:95]
	v_mul_f64_e32 v[94:95], v[142:143], v[94:95]
	scratch_load_b128 v[120:123], off, off offset:352
	v_add_f64_e32 v[4:5], v[4:5], v[132:133]
	v_add_f64_e32 v[146:147], v[134:135], v[146:147]
	ds_load_b128 v[132:135], v2 offset:768
	s_wait_loadcnt_dscnt 0xb01
	v_mul_f64_e32 v[150:151], v[88:89], v[98:99]
	v_mul_f64_e32 v[98:99], v[90:91], v[98:99]
	v_fmac_f64_e32 v[144:145], v[142:143], v[92:93]
	v_fma_f64 v[140:141], v[140:141], v[92:93], -v[94:95]
	scratch_load_b128 v[92:95], off, off offset:368
	v_add_f64_e32 v[4:5], v[4:5], v[148:149]
	v_add_f64_e32 v[8:9], v[146:147], v[8:9]
	v_fmac_f64_e32 v[150:151], v[90:91], v[96:97]
	v_fma_f64 v[148:149], v[88:89], v[96:97], -v[98:99]
	ds_load_b128 v[88:91], v2 offset:784
	s_wait_loadcnt_dscnt 0xb01
	v_mul_f64_e32 v[146:147], v[132:133], v[102:103]
	v_mul_f64_e32 v[102:103], v[134:135], v[102:103]
	scratch_load_b128 v[96:99], off, off offset:384
	v_add_f64_e32 v[4:5], v[4:5], v[140:141]
	v_add_f64_e32 v[8:9], v[8:9], v[144:145]
	s_wait_loadcnt_dscnt 0xb00
	v_mul_f64_e32 v[144:145], v[88:89], v[106:107]
	v_mul_f64_e32 v[106:107], v[90:91], v[106:107]
	ds_load_b128 v[140:143], v2 offset:800
	v_fmac_f64_e32 v[146:147], v[134:135], v[100:101]
	v_fma_f64 v[132:133], v[132:133], v[100:101], -v[102:103]
	scratch_load_b128 v[100:103], off, off offset:400
	v_add_f64_e32 v[4:5], v[4:5], v[148:149]
	v_add_f64_e32 v[8:9], v[8:9], v[150:151]
	v_fmac_f64_e32 v[144:145], v[90:91], v[104:105]
	v_fma_f64 v[150:151], v[88:89], v[104:105], -v[106:107]
	ds_load_b128 v[88:91], v2 offset:816
	s_wait_loadcnt_dscnt 0xb01
	v_mul_f64_e32 v[148:149], v[140:141], v[110:111]
	v_mul_f64_e32 v[110:111], v[142:143], v[110:111]
	scratch_load_b128 v[104:107], off, off offset:416
	v_add_f64_e32 v[4:5], v[4:5], v[132:133]
	v_add_f64_e32 v[8:9], v[8:9], v[146:147]
	s_wait_loadcnt_dscnt 0xb00
	v_mul_f64_e32 v[146:147], v[88:89], v[114:115]
	v_mul_f64_e32 v[114:115], v[90:91], v[114:115]
	ds_load_b128 v[132:135], v2 offset:832
	;; [unrolled: 18-line block ×3, first 2 shown]
	v_fmac_f64_e32 v[144:145], v[134:135], v[116:117]
	v_fma_f64 v[132:133], v[132:133], v[116:117], -v[118:119]
	scratch_load_b128 v[116:119], off, off offset:464
	v_add_f64_e32 v[4:5], v[4:5], v[150:151]
	v_add_f64_e32 v[8:9], v[8:9], v[146:147]
	v_fmac_f64_e32 v[148:149], v[90:91], v[124:125]
	v_fma_f64 v[150:151], v[88:89], v[124:125], -v[126:127]
	ds_load_b128 v[88:91], v2 offset:880
	s_wait_loadcnt_dscnt 0x901
	v_mul_f64_e32 v[146:147], v[140:141], v[12:13]
	v_mul_f64_e32 v[12:13], v[142:143], v[12:13]
	scratch_load_b128 v[124:127], off, off offset:480
	v_add_f64_e32 v[4:5], v[4:5], v[132:133]
	v_add_f64_e32 v[8:9], v[8:9], v[144:145]
	s_wait_dscnt 0x0
	v_mul_f64_e32 v[144:145], v[88:89], v[138:139]
	v_mul_f64_e32 v[138:139], v[90:91], v[138:139]
	ds_load_b128 v[132:135], v2 offset:896
	v_fmac_f64_e32 v[146:147], v[142:143], v[10:11]
	v_fma_f64 v[12:13], v[140:141], v[10:11], -v[12:13]
	v_add_f64_e32 v[4:5], v[4:5], v[150:151]
	v_add_f64_e32 v[140:141], v[8:9], v[148:149]
	scratch_load_b128 v[8:11], off, off offset:496
	v_fmac_f64_e32 v[144:145], v[90:91], v[136:137]
	v_fma_f64 v[90:91], v[88:89], v[136:137], -v[138:139]
	scratch_load_b128 v[136:139], off, off offset:512
	v_add_f64_e32 v[4:5], v[4:5], v[12:13]
	v_add_f64_e32 v[12:13], v[140:141], v[146:147]
	ds_load_b128 v[140:143], v2 offset:928
	s_wait_loadcnt_dscnt 0xb01
	v_mul_f64_e32 v[148:149], v[132:133], v[86:87]
	v_mul_f64_e32 v[150:151], v[134:135], v[86:87]
	ds_load_b128 v[86:89], v2 offset:912
	s_wait_loadcnt_dscnt 0xa00
	v_mul_f64_e32 v[146:147], v[86:87], v[122:123]
	v_mul_f64_e32 v[122:123], v[88:89], v[122:123]
	v_add_f64_e32 v[4:5], v[4:5], v[90:91]
	v_add_f64_e32 v[12:13], v[12:13], v[144:145]
	s_wait_loadcnt 0x9
	v_mul_f64_e32 v[144:145], v[140:141], v[94:95]
	v_fmac_f64_e32 v[148:149], v[134:135], v[84:85]
	v_fma_f64 v[84:85], v[132:133], v[84:85], -v[150:151]
	scratch_load_b128 v[132:135], off, off offset:528
	v_mul_f64_e32 v[94:95], v[142:143], v[94:95]
	v_fmac_f64_e32 v[146:147], v[88:89], v[120:121]
	v_fma_f64 v[150:151], v[86:87], v[120:121], -v[122:123]
	scratch_load_b128 v[88:91], off, off offset:544
	ds_load_b128 v[120:123], v2 offset:960
	v_fmac_f64_e32 v[144:145], v[142:143], v[92:93]
	v_add_f64_e32 v[12:13], v[12:13], v[148:149]
	v_add_f64_e32 v[4:5], v[4:5], v[84:85]
	ds_load_b128 v[84:87], v2 offset:944
	v_fma_f64 v[92:93], v[140:141], v[92:93], -v[94:95]
	s_wait_loadcnt_dscnt 0x901
	v_mul_f64_e32 v[140:141], v[120:121], v[102:103]
	v_mul_f64_e32 v[102:103], v[122:123], v[102:103]
	s_wait_dscnt 0x0
	v_mul_f64_e32 v[148:149], v[84:85], v[98:99]
	v_mul_f64_e32 v[98:99], v[86:87], v[98:99]
	v_add_f64_e32 v[12:13], v[12:13], v[146:147]
	v_add_f64_e32 v[4:5], v[4:5], v[150:151]
	v_fmac_f64_e32 v[140:141], v[122:123], v[100:101]
	v_fma_f64 v[100:101], v[120:121], v[100:101], -v[102:103]
	v_fmac_f64_e32 v[148:149], v[86:87], v[96:97]
	v_fma_f64 v[96:97], v[84:85], v[96:97], -v[98:99]
	v_add_f64_e32 v[12:13], v[12:13], v[144:145]
	v_add_f64_e32 v[4:5], v[4:5], v[92:93]
	ds_load_b128 v[84:87], v2 offset:976
	ds_load_b128 v[92:95], v2 offset:992
	s_wait_loadcnt_dscnt 0x801
	v_mul_f64_e32 v[142:143], v[84:85], v[106:107]
	v_mul_f64_e32 v[98:99], v[86:87], v[106:107]
	s_wait_loadcnt_dscnt 0x700
	v_mul_f64_e32 v[102:103], v[92:93], v[110:111]
	v_mul_f64_e32 v[106:107], v[94:95], v[110:111]
	v_add_f64_e32 v[12:13], v[12:13], v[148:149]
	v_add_f64_e32 v[4:5], v[4:5], v[96:97]
	v_fmac_f64_e32 v[142:143], v[86:87], v[104:105]
	v_fma_f64 v[104:105], v[84:85], v[104:105], -v[98:99]
	ds_load_b128 v[84:87], v2 offset:1008
	ds_load_b128 v[96:99], v2 offset:1024
	v_fmac_f64_e32 v[102:103], v[94:95], v[108:109]
	v_fma_f64 v[92:93], v[92:93], v[108:109], -v[106:107]
	v_add_f64_e32 v[12:13], v[12:13], v[140:141]
	v_add_f64_e32 v[4:5], v[4:5], v[100:101]
	s_wait_loadcnt_dscnt 0x601
	v_mul_f64_e32 v[100:101], v[84:85], v[114:115]
	v_mul_f64_e32 v[110:111], v[86:87], v[114:115]
	s_wait_loadcnt_dscnt 0x500
	v_mul_f64_e32 v[106:107], v[98:99], v[118:119]
	v_add_f64_e32 v[12:13], v[12:13], v[142:143]
	v_add_f64_e32 v[4:5], v[4:5], v[104:105]
	v_mul_f64_e32 v[104:105], v[96:97], v[118:119]
	v_fmac_f64_e32 v[100:101], v[86:87], v[112:113]
	v_fma_f64 v[108:109], v[84:85], v[112:113], -v[110:111]
	v_fma_f64 v[96:97], v[96:97], v[116:117], -v[106:107]
	v_add_f64_e32 v[12:13], v[12:13], v[102:103]
	v_add_f64_e32 v[4:5], v[4:5], v[92:93]
	ds_load_b128 v[84:87], v2 offset:1040
	ds_load_b128 v[92:95], v2 offset:1056
	v_fmac_f64_e32 v[104:105], v[98:99], v[116:117]
	s_wait_loadcnt_dscnt 0x401
	v_mul_f64_e32 v[102:103], v[84:85], v[126:127]
	v_mul_f64_e32 v[110:111], v[86:87], v[126:127]
	s_wait_loadcnt_dscnt 0x300
	v_mul_f64_e32 v[98:99], v[92:93], v[10:11]
	v_add_f64_e32 v[12:13], v[12:13], v[100:101]
	v_add_f64_e32 v[4:5], v[4:5], v[108:109]
	v_mul_f64_e32 v[100:101], v[94:95], v[10:11]
	v_fmac_f64_e32 v[102:103], v[86:87], v[124:125]
	v_fma_f64 v[106:107], v[84:85], v[124:125], -v[110:111]
	v_fmac_f64_e32 v[98:99], v[94:95], v[8:9]
	v_add_f64_e32 v[4:5], v[4:5], v[96:97]
	v_add_f64_e32 v[96:97], v[12:13], v[104:105]
	ds_load_b128 v[10:13], v2 offset:1072
	ds_load_b128 v[84:87], v2 offset:1088
	v_fma_f64 v[8:9], v[92:93], v[8:9], -v[100:101]
	s_wait_loadcnt_dscnt 0x201
	v_mul_f64_e32 v[104:105], v[10:11], v[138:139]
	v_mul_f64_e32 v[108:109], v[12:13], v[138:139]
	v_add_f64_e32 v[4:5], v[4:5], v[106:107]
	v_add_f64_e32 v[92:93], v[96:97], v[102:103]
	s_wait_loadcnt_dscnt 0x100
	v_mul_f64_e32 v[94:95], v[84:85], v[134:135]
	v_mul_f64_e32 v[96:97], v[86:87], v[134:135]
	v_fmac_f64_e32 v[104:105], v[12:13], v[136:137]
	v_fma_f64 v[12:13], v[10:11], v[136:137], -v[108:109]
	v_add_f64_e32 v[4:5], v[4:5], v[8:9]
	v_add_f64_e32 v[92:93], v[92:93], v[98:99]
	ds_load_b128 v[8:11], v2 offset:1104
	v_fmac_f64_e32 v[94:95], v[86:87], v[132:133]
	v_fma_f64 v[84:85], v[84:85], v[132:133], -v[96:97]
	s_wait_loadcnt_dscnt 0x0
	v_mul_f64_e32 v[98:99], v[8:9], v[90:91]
	v_mul_f64_e32 v[90:91], v[10:11], v[90:91]
	v_add_f64_e32 v[4:5], v[4:5], v[12:13]
	v_add_f64_e32 v[12:13], v[92:93], v[104:105]
	s_delay_alu instid0(VALU_DEP_4) | instskip(NEXT) | instid1(VALU_DEP_4)
	v_fmac_f64_e32 v[98:99], v[10:11], v[88:89]
	v_fma_f64 v[8:9], v[8:9], v[88:89], -v[90:91]
	s_delay_alu instid0(VALU_DEP_4) | instskip(NEXT) | instid1(VALU_DEP_4)
	v_add_f64_e32 v[4:5], v[4:5], v[84:85]
	v_add_f64_e32 v[10:11], v[12:13], v[94:95]
	s_delay_alu instid0(VALU_DEP_2) | instskip(NEXT) | instid1(VALU_DEP_2)
	v_add_f64_e32 v[4:5], v[4:5], v[8:9]
	v_add_f64_e32 v[10:11], v[10:11], v[98:99]
	s_delay_alu instid0(VALU_DEP_2) | instskip(NEXT) | instid1(VALU_DEP_2)
	v_add_f64_e64 v[8:9], v[128:129], -v[4:5]
	v_add_f64_e64 v[10:11], v[130:131], -v[10:11]
	scratch_store_b128 off, v[8:11], off offset:112
	s_wait_xcnt 0x0
	v_cmpx_lt_u32_e32 6, v1
	s_cbranch_execz .LBB98_211
; %bb.210:
	scratch_load_b128 v[8:11], off, s45
	v_dual_mov_b32 v3, v2 :: v_dual_mov_b32 v4, v2
	v_mov_b32_e32 v5, v2
	scratch_store_b128 off, v[2:5], off offset:96
	s_wait_loadcnt 0x0
	ds_store_b128 v6, v[8:11]
.LBB98_211:
	s_wait_xcnt 0x0
	s_or_b32 exec_lo, exec_lo, s2
	s_wait_storecnt_dscnt 0x0
	s_barrier_signal -1
	s_barrier_wait -1
	s_clause 0x9
	scratch_load_b128 v[8:11], off, off offset:112
	scratch_load_b128 v[84:87], off, off offset:128
	;; [unrolled: 1-line block ×10, first 2 shown]
	ds_load_b128 v[120:123], v2 offset:672
	ds_load_b128 v[128:131], v2 offset:688
	s_clause 0x1
	scratch_load_b128 v[124:127], off, off offset:272
	scratch_load_b128 v[132:135], off, off offset:96
	s_mov_b32 s2, exec_lo
	s_wait_loadcnt_dscnt 0xb01
	v_mul_f64_e32 v[4:5], v[122:123], v[10:11]
	v_mul_f64_e32 v[144:145], v[120:121], v[10:11]
	scratch_load_b128 v[10:13], off, off offset:288
	s_wait_loadcnt_dscnt 0xb00
	v_mul_f64_e32 v[146:147], v[128:129], v[86:87]
	v_mul_f64_e32 v[86:87], v[130:131], v[86:87]
	v_fma_f64 v[4:5], v[120:121], v[8:9], -v[4:5]
	v_fmac_f64_e32 v[144:145], v[122:123], v[8:9]
	ds_load_b128 v[120:123], v2 offset:704
	ds_load_b128 v[136:139], v2 offset:720
	scratch_load_b128 v[140:143], off, off offset:304
	v_fmac_f64_e32 v[146:147], v[130:131], v[84:85]
	v_fma_f64 v[128:129], v[128:129], v[84:85], -v[86:87]
	scratch_load_b128 v[84:87], off, off offset:320
	s_wait_loadcnt_dscnt 0xc01
	v_mul_f64_e32 v[8:9], v[120:121], v[90:91]
	v_mul_f64_e32 v[90:91], v[122:123], v[90:91]
	v_add_f64_e32 v[4:5], 0, v[4:5]
	v_add_f64_e32 v[130:131], 0, v[144:145]
	s_wait_loadcnt_dscnt 0xb00
	v_mul_f64_e32 v[144:145], v[136:137], v[94:95]
	v_mul_f64_e32 v[94:95], v[138:139], v[94:95]
	v_fmac_f64_e32 v[8:9], v[122:123], v[88:89]
	v_fma_f64 v[148:149], v[120:121], v[88:89], -v[90:91]
	ds_load_b128 v[88:91], v2 offset:736
	ds_load_b128 v[120:123], v2 offset:752
	v_add_f64_e32 v[4:5], v[4:5], v[128:129]
	v_add_f64_e32 v[146:147], v[130:131], v[146:147]
	scratch_load_b128 v[128:131], off, off offset:336
	v_fmac_f64_e32 v[144:145], v[138:139], v[92:93]
	v_fma_f64 v[136:137], v[136:137], v[92:93], -v[94:95]
	scratch_load_b128 v[92:95], off, off offset:352
	s_wait_loadcnt_dscnt 0xc01
	v_mul_f64_e32 v[150:151], v[88:89], v[98:99]
	v_mul_f64_e32 v[98:99], v[90:91], v[98:99]
	v_add_f64_e32 v[4:5], v[4:5], v[148:149]
	v_add_f64_e32 v[8:9], v[146:147], v[8:9]
	s_wait_loadcnt_dscnt 0xb00
	v_mul_f64_e32 v[146:147], v[120:121], v[102:103]
	v_mul_f64_e32 v[102:103], v[122:123], v[102:103]
	v_fmac_f64_e32 v[150:151], v[90:91], v[96:97]
	v_fma_f64 v[148:149], v[88:89], v[96:97], -v[98:99]
	ds_load_b128 v[88:91], v2 offset:768
	ds_load_b128 v[96:99], v2 offset:784
	v_add_f64_e32 v[4:5], v[4:5], v[136:137]
	v_add_f64_e32 v[8:9], v[8:9], v[144:145]
	scratch_load_b128 v[136:139], off, off offset:368
	s_wait_loadcnt_dscnt 0xb01
	v_mul_f64_e32 v[144:145], v[88:89], v[106:107]
	v_mul_f64_e32 v[106:107], v[90:91], v[106:107]
	v_fmac_f64_e32 v[146:147], v[122:123], v[100:101]
	v_fma_f64 v[120:121], v[120:121], v[100:101], -v[102:103]
	scratch_load_b128 v[100:103], off, off offset:384
	v_add_f64_e32 v[4:5], v[4:5], v[148:149]
	v_add_f64_e32 v[8:9], v[8:9], v[150:151]
	s_wait_loadcnt_dscnt 0xb00
	v_mul_f64_e32 v[148:149], v[96:97], v[110:111]
	v_mul_f64_e32 v[110:111], v[98:99], v[110:111]
	v_fmac_f64_e32 v[144:145], v[90:91], v[104:105]
	v_fma_f64 v[150:151], v[88:89], v[104:105], -v[106:107]
	ds_load_b128 v[88:91], v2 offset:800
	ds_load_b128 v[104:107], v2 offset:816
	v_add_f64_e32 v[4:5], v[4:5], v[120:121]
	v_add_f64_e32 v[8:9], v[8:9], v[146:147]
	scratch_load_b128 v[120:123], off, off offset:400
	s_wait_loadcnt_dscnt 0xb01
	v_mul_f64_e32 v[146:147], v[88:89], v[114:115]
	v_mul_f64_e32 v[114:115], v[90:91], v[114:115]
	v_fmac_f64_e32 v[148:149], v[98:99], v[108:109]
	v_fma_f64 v[108:109], v[96:97], v[108:109], -v[110:111]
	scratch_load_b128 v[96:99], off, off offset:416
	v_add_f64_e32 v[4:5], v[4:5], v[150:151]
	v_add_f64_e32 v[8:9], v[8:9], v[144:145]
	s_wait_loadcnt_dscnt 0xb00
	v_mul_f64_e32 v[144:145], v[104:105], v[118:119]
	v_mul_f64_e32 v[118:119], v[106:107], v[118:119]
	v_fmac_f64_e32 v[146:147], v[90:91], v[112:113]
	v_fma_f64 v[150:151], v[88:89], v[112:113], -v[114:115]
	v_add_f64_e32 v[4:5], v[4:5], v[108:109]
	v_add_f64_e32 v[8:9], v[8:9], v[148:149]
	ds_load_b128 v[88:91], v2 offset:832
	ds_load_b128 v[108:111], v2 offset:848
	scratch_load_b128 v[112:115], off, off offset:432
	v_fmac_f64_e32 v[144:145], v[106:107], v[116:117]
	v_fma_f64 v[116:117], v[104:105], v[116:117], -v[118:119]
	scratch_load_b128 v[104:107], off, off offset:448
	s_wait_loadcnt_dscnt 0xc01
	v_mul_f64_e32 v[148:149], v[88:89], v[126:127]
	v_mul_f64_e32 v[126:127], v[90:91], v[126:127]
	v_add_f64_e32 v[4:5], v[4:5], v[150:151]
	v_add_f64_e32 v[8:9], v[8:9], v[146:147]
	s_wait_loadcnt_dscnt 0xa00
	v_mul_f64_e32 v[146:147], v[108:109], v[12:13]
	v_mul_f64_e32 v[12:13], v[110:111], v[12:13]
	v_fmac_f64_e32 v[148:149], v[90:91], v[124:125]
	v_fma_f64 v[150:151], v[88:89], v[124:125], -v[126:127]
	v_add_f64_e32 v[4:5], v[4:5], v[116:117]
	v_add_f64_e32 v[8:9], v[8:9], v[144:145]
	ds_load_b128 v[88:91], v2 offset:864
	ds_load_b128 v[116:119], v2 offset:880
	scratch_load_b128 v[124:127], off, off offset:464
	v_fmac_f64_e32 v[146:147], v[110:111], v[10:11]
	v_fma_f64 v[12:13], v[108:109], v[10:11], -v[12:13]
	s_wait_loadcnt_dscnt 0xa01
	v_mul_f64_e32 v[144:145], v[88:89], v[142:143]
	v_mul_f64_e32 v[142:143], v[90:91], v[142:143]
	v_add_f64_e32 v[4:5], v[4:5], v[150:151]
	v_add_f64_e32 v[108:109], v[8:9], v[148:149]
	scratch_load_b128 v[8:11], off, off offset:480
	s_wait_loadcnt_dscnt 0xa00
	v_mul_f64_e32 v[148:149], v[116:117], v[86:87]
	v_mul_f64_e32 v[150:151], v[118:119], v[86:87]
	v_fmac_f64_e32 v[144:145], v[90:91], v[140:141]
	v_fma_f64 v[90:91], v[88:89], v[140:141], -v[142:143]
	v_add_f64_e32 v[4:5], v[4:5], v[12:13]
	v_add_f64_e32 v[12:13], v[108:109], v[146:147]
	ds_load_b128 v[86:89], v2 offset:896
	ds_load_b128 v[108:111], v2 offset:912
	scratch_load_b128 v[140:143], off, off offset:496
	v_fmac_f64_e32 v[148:149], v[118:119], v[84:85]
	v_fma_f64 v[84:85], v[116:117], v[84:85], -v[150:151]
	scratch_load_b128 v[116:119], off, off offset:512
	s_wait_loadcnt_dscnt 0xb01
	v_mul_f64_e32 v[146:147], v[86:87], v[130:131]
	v_mul_f64_e32 v[130:131], v[88:89], v[130:131]
	v_add_f64_e32 v[4:5], v[4:5], v[90:91]
	v_add_f64_e32 v[12:13], v[12:13], v[144:145]
	s_wait_loadcnt_dscnt 0xa00
	v_mul_f64_e32 v[144:145], v[108:109], v[94:95]
	v_mul_f64_e32 v[94:95], v[110:111], v[94:95]
	v_fmac_f64_e32 v[146:147], v[88:89], v[128:129]
	v_fma_f64 v[150:151], v[86:87], v[128:129], -v[130:131]
	v_add_f64_e32 v[4:5], v[4:5], v[84:85]
	v_add_f64_e32 v[12:13], v[12:13], v[148:149]
	ds_load_b128 v[84:87], v2 offset:928
	ds_load_b128 v[88:91], v2 offset:944
	scratch_load_b128 v[128:131], off, off offset:528
	v_fmac_f64_e32 v[144:145], v[110:111], v[92:93]
	v_fma_f64 v[108:109], v[108:109], v[92:93], -v[94:95]
	scratch_load_b128 v[92:95], off, off offset:544
	s_wait_loadcnt_dscnt 0xb01
	v_mul_f64_e32 v[148:149], v[84:85], v[138:139]
	v_mul_f64_e32 v[138:139], v[86:87], v[138:139]
	v_add_f64_e32 v[4:5], v[4:5], v[150:151]
	v_add_f64_e32 v[12:13], v[12:13], v[146:147]
	s_wait_loadcnt_dscnt 0xa00
	v_mul_f64_e32 v[146:147], v[88:89], v[102:103]
	v_mul_f64_e32 v[102:103], v[90:91], v[102:103]
	v_fmac_f64_e32 v[148:149], v[86:87], v[136:137]
	v_fma_f64 v[136:137], v[84:85], v[136:137], -v[138:139]
	v_add_f64_e32 v[4:5], v[4:5], v[108:109]
	v_add_f64_e32 v[12:13], v[12:13], v[144:145]
	ds_load_b128 v[84:87], v2 offset:960
	ds_load_b128 v[108:111], v2 offset:976
	v_fmac_f64_e32 v[146:147], v[90:91], v[100:101]
	v_fma_f64 v[88:89], v[88:89], v[100:101], -v[102:103]
	s_wait_loadcnt_dscnt 0x901
	v_mul_f64_e32 v[138:139], v[84:85], v[122:123]
	v_mul_f64_e32 v[122:123], v[86:87], v[122:123]
	s_wait_loadcnt_dscnt 0x800
	v_mul_f64_e32 v[100:101], v[108:109], v[98:99]
	v_mul_f64_e32 v[98:99], v[110:111], v[98:99]
	v_add_f64_e32 v[4:5], v[4:5], v[136:137]
	v_add_f64_e32 v[12:13], v[12:13], v[148:149]
	v_fmac_f64_e32 v[138:139], v[86:87], v[120:121]
	v_fma_f64 v[102:103], v[84:85], v[120:121], -v[122:123]
	v_fmac_f64_e32 v[100:101], v[110:111], v[96:97]
	v_fma_f64 v[96:97], v[108:109], v[96:97], -v[98:99]
	v_add_f64_e32 v[4:5], v[4:5], v[88:89]
	v_add_f64_e32 v[12:13], v[12:13], v[146:147]
	ds_load_b128 v[84:87], v2 offset:992
	ds_load_b128 v[88:91], v2 offset:1008
	s_wait_loadcnt_dscnt 0x701
	v_mul_f64_e32 v[120:121], v[84:85], v[114:115]
	v_mul_f64_e32 v[114:115], v[86:87], v[114:115]
	v_add_f64_e32 v[4:5], v[4:5], v[102:103]
	v_add_f64_e32 v[12:13], v[12:13], v[138:139]
	s_wait_loadcnt_dscnt 0x600
	v_mul_f64_e32 v[102:103], v[88:89], v[106:107]
	v_mul_f64_e32 v[106:107], v[90:91], v[106:107]
	v_fmac_f64_e32 v[120:121], v[86:87], v[112:113]
	v_fma_f64 v[108:109], v[84:85], v[112:113], -v[114:115]
	v_add_f64_e32 v[4:5], v[4:5], v[96:97]
	v_add_f64_e32 v[12:13], v[12:13], v[100:101]
	ds_load_b128 v[84:87], v2 offset:1024
	ds_load_b128 v[96:99], v2 offset:1040
	v_fmac_f64_e32 v[102:103], v[90:91], v[104:105]
	v_fma_f64 v[88:89], v[88:89], v[104:105], -v[106:107]
	s_wait_loadcnt_dscnt 0x501
	v_mul_f64_e32 v[100:101], v[84:85], v[126:127]
	v_mul_f64_e32 v[110:111], v[86:87], v[126:127]
	v_add_f64_e32 v[4:5], v[4:5], v[108:109]
	v_add_f64_e32 v[12:13], v[12:13], v[120:121]
	s_wait_loadcnt_dscnt 0x400
	v_mul_f64_e32 v[90:91], v[96:97], v[10:11]
	v_mul_f64_e32 v[104:105], v[98:99], v[10:11]
	v_fmac_f64_e32 v[100:101], v[86:87], v[124:125]
	v_fma_f64 v[106:107], v[84:85], v[124:125], -v[110:111]
	v_add_f64_e32 v[4:5], v[4:5], v[88:89]
	v_add_f64_e32 v[88:89], v[12:13], v[102:103]
	ds_load_b128 v[10:13], v2 offset:1056
	ds_load_b128 v[84:87], v2 offset:1072
	v_fmac_f64_e32 v[90:91], v[98:99], v[8:9]
	v_fma_f64 v[8:9], v[96:97], v[8:9], -v[104:105]
	s_wait_loadcnt_dscnt 0x301
	v_mul_f64_e32 v[102:103], v[10:11], v[142:143]
	v_mul_f64_e32 v[108:109], v[12:13], v[142:143]
	s_wait_loadcnt_dscnt 0x200
	v_mul_f64_e32 v[96:97], v[84:85], v[118:119]
	v_mul_f64_e32 v[98:99], v[86:87], v[118:119]
	v_add_f64_e32 v[4:5], v[4:5], v[106:107]
	v_add_f64_e32 v[88:89], v[88:89], v[100:101]
	v_fmac_f64_e32 v[102:103], v[12:13], v[140:141]
	v_fma_f64 v[12:13], v[10:11], v[140:141], -v[108:109]
	v_fmac_f64_e32 v[96:97], v[86:87], v[116:117]
	v_fma_f64 v[84:85], v[84:85], v[116:117], -v[98:99]
	v_add_f64_e32 v[100:101], v[4:5], v[8:9]
	v_add_f64_e32 v[88:89], v[88:89], v[90:91]
	ds_load_b128 v[8:11], v2 offset:1088
	ds_load_b128 v[2:5], v2 offset:1104
	s_wait_loadcnt_dscnt 0x101
	v_mul_f64_e32 v[90:91], v[8:9], v[130:131]
	v_mul_f64_e32 v[104:105], v[10:11], v[130:131]
	v_add_f64_e32 v[12:13], v[100:101], v[12:13]
	v_add_f64_e32 v[86:87], v[88:89], v[102:103]
	s_wait_loadcnt_dscnt 0x0
	v_mul_f64_e32 v[88:89], v[2:3], v[94:95]
	v_mul_f64_e32 v[94:95], v[4:5], v[94:95]
	v_fmac_f64_e32 v[90:91], v[10:11], v[128:129]
	v_fma_f64 v[8:9], v[8:9], v[128:129], -v[104:105]
	v_add_f64_e32 v[10:11], v[12:13], v[84:85]
	v_add_f64_e32 v[12:13], v[86:87], v[96:97]
	v_fmac_f64_e32 v[88:89], v[4:5], v[92:93]
	v_fma_f64 v[2:3], v[2:3], v[92:93], -v[94:95]
	s_delay_alu instid0(VALU_DEP_4) | instskip(NEXT) | instid1(VALU_DEP_4)
	v_add_f64_e32 v[4:5], v[10:11], v[8:9]
	v_add_f64_e32 v[8:9], v[12:13], v[90:91]
	s_delay_alu instid0(VALU_DEP_2) | instskip(NEXT) | instid1(VALU_DEP_2)
	v_add_f64_e32 v[2:3], v[4:5], v[2:3]
	v_add_f64_e32 v[4:5], v[8:9], v[88:89]
	s_delay_alu instid0(VALU_DEP_2) | instskip(NEXT) | instid1(VALU_DEP_2)
	v_add_f64_e64 v[2:3], v[132:133], -v[2:3]
	v_add_f64_e64 v[4:5], v[134:135], -v[4:5]
	scratch_store_b128 off, v[2:5], off offset:96
	s_wait_xcnt 0x0
	v_cmpx_lt_u32_e32 5, v1
	s_cbranch_execz .LBB98_213
; %bb.212:
	scratch_load_b128 v[2:5], off, s46
	v_mov_b32_e32 v8, 0
	s_delay_alu instid0(VALU_DEP_1)
	v_dual_mov_b32 v9, v8 :: v_dual_mov_b32 v10, v8
	v_mov_b32_e32 v11, v8
	scratch_store_b128 off, v[8:11], off offset:80
	s_wait_loadcnt 0x0
	ds_store_b128 v6, v[2:5]
.LBB98_213:
	s_wait_xcnt 0x0
	s_or_b32 exec_lo, exec_lo, s2
	s_wait_storecnt_dscnt 0x0
	s_barrier_signal -1
	s_barrier_wait -1
	s_clause 0x9
	scratch_load_b128 v[8:11], off, off offset:96
	scratch_load_b128 v[84:87], off, off offset:112
	;; [unrolled: 1-line block ×10, first 2 shown]
	v_mov_b32_e32 v2, 0
	s_mov_b32 s2, exec_lo
	ds_load_b128 v[120:123], v2 offset:656
	s_clause 0x2
	scratch_load_b128 v[124:127], off, off offset:256
	scratch_load_b128 v[128:131], off, off offset:80
	scratch_load_b128 v[136:139], off, off offset:288
	s_wait_loadcnt_dscnt 0xc00
	v_mul_f64_e32 v[4:5], v[122:123], v[10:11]
	v_mul_f64_e32 v[144:145], v[120:121], v[10:11]
	ds_load_b128 v[132:135], v2 offset:672
	scratch_load_b128 v[10:13], off, off offset:272
	ds_load_b128 v[140:143], v2 offset:704
	v_fma_f64 v[4:5], v[120:121], v[8:9], -v[4:5]
	v_fmac_f64_e32 v[144:145], v[122:123], v[8:9]
	ds_load_b128 v[120:123], v2 offset:688
	s_wait_loadcnt_dscnt 0xc02
	v_mul_f64_e32 v[146:147], v[132:133], v[86:87]
	v_mul_f64_e32 v[86:87], v[134:135], v[86:87]
	s_wait_loadcnt_dscnt 0xb00
	v_mul_f64_e32 v[8:9], v[120:121], v[90:91]
	v_mul_f64_e32 v[90:91], v[122:123], v[90:91]
	v_add_f64_e32 v[4:5], 0, v[4:5]
	v_fmac_f64_e32 v[146:147], v[134:135], v[84:85]
	v_fma_f64 v[132:133], v[132:133], v[84:85], -v[86:87]
	v_add_f64_e32 v[134:135], 0, v[144:145]
	scratch_load_b128 v[84:87], off, off offset:304
	v_fmac_f64_e32 v[8:9], v[122:123], v[88:89]
	v_fma_f64 v[148:149], v[120:121], v[88:89], -v[90:91]
	ds_load_b128 v[88:91], v2 offset:720
	s_wait_loadcnt 0xb
	v_mul_f64_e32 v[144:145], v[140:141], v[94:95]
	v_mul_f64_e32 v[94:95], v[142:143], v[94:95]
	scratch_load_b128 v[120:123], off, off offset:320
	v_add_f64_e32 v[4:5], v[4:5], v[132:133]
	v_add_f64_e32 v[146:147], v[134:135], v[146:147]
	ds_load_b128 v[132:135], v2 offset:736
	s_wait_loadcnt_dscnt 0xb01
	v_mul_f64_e32 v[150:151], v[88:89], v[98:99]
	v_mul_f64_e32 v[98:99], v[90:91], v[98:99]
	v_fmac_f64_e32 v[144:145], v[142:143], v[92:93]
	v_fma_f64 v[140:141], v[140:141], v[92:93], -v[94:95]
	scratch_load_b128 v[92:95], off, off offset:336
	v_add_f64_e32 v[4:5], v[4:5], v[148:149]
	v_add_f64_e32 v[8:9], v[146:147], v[8:9]
	v_fmac_f64_e32 v[150:151], v[90:91], v[96:97]
	v_fma_f64 v[148:149], v[88:89], v[96:97], -v[98:99]
	ds_load_b128 v[88:91], v2 offset:752
	s_wait_loadcnt_dscnt 0xb01
	v_mul_f64_e32 v[146:147], v[132:133], v[102:103]
	v_mul_f64_e32 v[102:103], v[134:135], v[102:103]
	scratch_load_b128 v[96:99], off, off offset:352
	v_add_f64_e32 v[4:5], v[4:5], v[140:141]
	v_add_f64_e32 v[8:9], v[8:9], v[144:145]
	s_wait_loadcnt_dscnt 0xb00
	v_mul_f64_e32 v[144:145], v[88:89], v[106:107]
	v_mul_f64_e32 v[106:107], v[90:91], v[106:107]
	ds_load_b128 v[140:143], v2 offset:768
	v_fmac_f64_e32 v[146:147], v[134:135], v[100:101]
	v_fma_f64 v[132:133], v[132:133], v[100:101], -v[102:103]
	scratch_load_b128 v[100:103], off, off offset:368
	v_add_f64_e32 v[4:5], v[4:5], v[148:149]
	v_add_f64_e32 v[8:9], v[8:9], v[150:151]
	v_fmac_f64_e32 v[144:145], v[90:91], v[104:105]
	v_fma_f64 v[150:151], v[88:89], v[104:105], -v[106:107]
	ds_load_b128 v[88:91], v2 offset:784
	s_wait_loadcnt_dscnt 0xb01
	v_mul_f64_e32 v[148:149], v[140:141], v[110:111]
	v_mul_f64_e32 v[110:111], v[142:143], v[110:111]
	scratch_load_b128 v[104:107], off, off offset:384
	v_add_f64_e32 v[4:5], v[4:5], v[132:133]
	v_add_f64_e32 v[8:9], v[8:9], v[146:147]
	s_wait_loadcnt_dscnt 0xb00
	v_mul_f64_e32 v[146:147], v[88:89], v[114:115]
	v_mul_f64_e32 v[114:115], v[90:91], v[114:115]
	ds_load_b128 v[132:135], v2 offset:800
	;; [unrolled: 18-line block ×3, first 2 shown]
	v_fmac_f64_e32 v[144:145], v[134:135], v[116:117]
	v_fma_f64 v[132:133], v[132:133], v[116:117], -v[118:119]
	scratch_load_b128 v[116:119], off, off offset:432
	v_add_f64_e32 v[4:5], v[4:5], v[150:151]
	v_add_f64_e32 v[8:9], v[8:9], v[146:147]
	v_fmac_f64_e32 v[148:149], v[90:91], v[124:125]
	v_fma_f64 v[150:151], v[88:89], v[124:125], -v[126:127]
	ds_load_b128 v[88:91], v2 offset:848
	s_wait_loadcnt_dscnt 0x901
	v_mul_f64_e32 v[146:147], v[140:141], v[12:13]
	v_mul_f64_e32 v[12:13], v[142:143], v[12:13]
	scratch_load_b128 v[124:127], off, off offset:448
	v_add_f64_e32 v[4:5], v[4:5], v[132:133]
	v_add_f64_e32 v[8:9], v[8:9], v[144:145]
	s_wait_dscnt 0x0
	v_mul_f64_e32 v[144:145], v[88:89], v[138:139]
	v_mul_f64_e32 v[138:139], v[90:91], v[138:139]
	ds_load_b128 v[132:135], v2 offset:864
	v_fmac_f64_e32 v[146:147], v[142:143], v[10:11]
	v_fma_f64 v[12:13], v[140:141], v[10:11], -v[12:13]
	v_add_f64_e32 v[4:5], v[4:5], v[150:151]
	v_add_f64_e32 v[140:141], v[8:9], v[148:149]
	scratch_load_b128 v[8:11], off, off offset:464
	v_fmac_f64_e32 v[144:145], v[90:91], v[136:137]
	v_fma_f64 v[90:91], v[88:89], v[136:137], -v[138:139]
	scratch_load_b128 v[136:139], off, off offset:480
	v_add_f64_e32 v[4:5], v[4:5], v[12:13]
	v_add_f64_e32 v[12:13], v[140:141], v[146:147]
	ds_load_b128 v[140:143], v2 offset:896
	s_wait_loadcnt_dscnt 0xb01
	v_mul_f64_e32 v[148:149], v[132:133], v[86:87]
	v_mul_f64_e32 v[150:151], v[134:135], v[86:87]
	ds_load_b128 v[86:89], v2 offset:880
	s_wait_loadcnt_dscnt 0xa00
	v_mul_f64_e32 v[146:147], v[86:87], v[122:123]
	v_mul_f64_e32 v[122:123], v[88:89], v[122:123]
	v_add_f64_e32 v[4:5], v[4:5], v[90:91]
	v_add_f64_e32 v[12:13], v[12:13], v[144:145]
	s_wait_loadcnt 0x9
	v_mul_f64_e32 v[144:145], v[140:141], v[94:95]
	v_fmac_f64_e32 v[148:149], v[134:135], v[84:85]
	v_fma_f64 v[84:85], v[132:133], v[84:85], -v[150:151]
	scratch_load_b128 v[132:135], off, off offset:496
	v_mul_f64_e32 v[94:95], v[142:143], v[94:95]
	v_fmac_f64_e32 v[146:147], v[88:89], v[120:121]
	v_fma_f64 v[150:151], v[86:87], v[120:121], -v[122:123]
	scratch_load_b128 v[88:91], off, off offset:512
	ds_load_b128 v[120:123], v2 offset:928
	v_fmac_f64_e32 v[144:145], v[142:143], v[92:93]
	v_add_f64_e32 v[12:13], v[12:13], v[148:149]
	v_add_f64_e32 v[4:5], v[4:5], v[84:85]
	ds_load_b128 v[84:87], v2 offset:912
	v_fma_f64 v[140:141], v[140:141], v[92:93], -v[94:95]
	scratch_load_b128 v[92:95], off, off offset:528
	s_wait_loadcnt_dscnt 0xb00
	v_mul_f64_e32 v[148:149], v[84:85], v[98:99]
	v_mul_f64_e32 v[98:99], v[86:87], v[98:99]
	v_add_f64_e32 v[12:13], v[12:13], v[146:147]
	v_add_f64_e32 v[4:5], v[4:5], v[150:151]
	s_wait_loadcnt 0xa
	v_mul_f64_e32 v[146:147], v[120:121], v[102:103]
	v_mul_f64_e32 v[102:103], v[122:123], v[102:103]
	v_fmac_f64_e32 v[148:149], v[86:87], v[96:97]
	v_fma_f64 v[150:151], v[84:85], v[96:97], -v[98:99]
	ds_load_b128 v[84:87], v2 offset:944
	scratch_load_b128 v[96:99], off, off offset:544
	v_add_f64_e32 v[12:13], v[12:13], v[144:145]
	v_add_f64_e32 v[4:5], v[4:5], v[140:141]
	ds_load_b128 v[140:143], v2 offset:960
	v_fmac_f64_e32 v[146:147], v[122:123], v[100:101]
	v_fma_f64 v[100:101], v[120:121], v[100:101], -v[102:103]
	s_wait_loadcnt_dscnt 0xa01
	v_mul_f64_e32 v[144:145], v[84:85], v[106:107]
	v_mul_f64_e32 v[106:107], v[86:87], v[106:107]
	s_wait_loadcnt_dscnt 0x900
	v_mul_f64_e32 v[120:121], v[140:141], v[110:111]
	v_mul_f64_e32 v[110:111], v[142:143], v[110:111]
	v_add_f64_e32 v[12:13], v[12:13], v[148:149]
	v_add_f64_e32 v[4:5], v[4:5], v[150:151]
	v_fmac_f64_e32 v[144:145], v[86:87], v[104:105]
	v_fma_f64 v[104:105], v[84:85], v[104:105], -v[106:107]
	v_fmac_f64_e32 v[120:121], v[142:143], v[108:109]
	v_fma_f64 v[108:109], v[140:141], v[108:109], -v[110:111]
	v_add_f64_e32 v[12:13], v[12:13], v[146:147]
	v_add_f64_e32 v[4:5], v[4:5], v[100:101]
	ds_load_b128 v[84:87], v2 offset:976
	ds_load_b128 v[100:103], v2 offset:992
	s_wait_loadcnt_dscnt 0x801
	v_mul_f64_e32 v[122:123], v[84:85], v[114:115]
	v_mul_f64_e32 v[106:107], v[86:87], v[114:115]
	s_wait_loadcnt_dscnt 0x700
	v_mul_f64_e32 v[110:111], v[100:101], v[118:119]
	v_mul_f64_e32 v[114:115], v[102:103], v[118:119]
	v_add_f64_e32 v[12:13], v[12:13], v[144:145]
	v_add_f64_e32 v[4:5], v[4:5], v[104:105]
	v_fmac_f64_e32 v[122:123], v[86:87], v[112:113]
	v_fma_f64 v[112:113], v[84:85], v[112:113], -v[106:107]
	ds_load_b128 v[84:87], v2 offset:1008
	ds_load_b128 v[104:107], v2 offset:1024
	v_fmac_f64_e32 v[110:111], v[102:103], v[116:117]
	v_fma_f64 v[100:101], v[100:101], v[116:117], -v[114:115]
	v_add_f64_e32 v[12:13], v[12:13], v[120:121]
	v_add_f64_e32 v[4:5], v[4:5], v[108:109]
	s_wait_loadcnt_dscnt 0x601
	v_mul_f64_e32 v[108:109], v[84:85], v[126:127]
	v_mul_f64_e32 v[118:119], v[86:87], v[126:127]
	s_wait_loadcnt_dscnt 0x500
	v_mul_f64_e32 v[102:103], v[104:105], v[10:11]
	v_add_f64_e32 v[12:13], v[12:13], v[122:123]
	v_add_f64_e32 v[4:5], v[4:5], v[112:113]
	v_mul_f64_e32 v[112:113], v[106:107], v[10:11]
	v_fmac_f64_e32 v[108:109], v[86:87], v[124:125]
	v_fma_f64 v[114:115], v[84:85], v[124:125], -v[118:119]
	v_fmac_f64_e32 v[102:103], v[106:107], v[8:9]
	v_add_f64_e32 v[4:5], v[4:5], v[100:101]
	v_add_f64_e32 v[100:101], v[12:13], v[110:111]
	ds_load_b128 v[10:13], v2 offset:1040
	ds_load_b128 v[84:87], v2 offset:1056
	v_fma_f64 v[8:9], v[104:105], v[8:9], -v[112:113]
	s_wait_loadcnt_dscnt 0x401
	v_mul_f64_e32 v[110:111], v[10:11], v[138:139]
	v_mul_f64_e32 v[116:117], v[12:13], v[138:139]
	v_add_f64_e32 v[4:5], v[4:5], v[114:115]
	v_add_f64_e32 v[100:101], v[100:101], v[108:109]
	s_wait_loadcnt_dscnt 0x300
	v_mul_f64_e32 v[104:105], v[84:85], v[134:135]
	v_mul_f64_e32 v[106:107], v[86:87], v[134:135]
	v_fmac_f64_e32 v[110:111], v[12:13], v[136:137]
	v_fma_f64 v[12:13], v[10:11], v[136:137], -v[116:117]
	v_add_f64_e32 v[4:5], v[4:5], v[8:9]
	v_add_f64_e32 v[108:109], v[100:101], v[102:103]
	ds_load_b128 v[8:11], v2 offset:1072
	ds_load_b128 v[100:103], v2 offset:1088
	v_fmac_f64_e32 v[104:105], v[86:87], v[132:133]
	v_fma_f64 v[84:85], v[84:85], v[132:133], -v[106:107]
	s_wait_loadcnt_dscnt 0x201
	v_mul_f64_e32 v[112:113], v[8:9], v[90:91]
	v_mul_f64_e32 v[90:91], v[10:11], v[90:91]
	s_wait_loadcnt_dscnt 0x100
	v_mul_f64_e32 v[86:87], v[100:101], v[94:95]
	v_mul_f64_e32 v[94:95], v[102:103], v[94:95]
	v_add_f64_e32 v[4:5], v[4:5], v[12:13]
	v_add_f64_e32 v[12:13], v[108:109], v[110:111]
	v_fmac_f64_e32 v[112:113], v[10:11], v[88:89]
	v_fma_f64 v[88:89], v[8:9], v[88:89], -v[90:91]
	ds_load_b128 v[8:11], v2 offset:1104
	v_fmac_f64_e32 v[86:87], v[102:103], v[92:93]
	v_fma_f64 v[92:93], v[100:101], v[92:93], -v[94:95]
	v_add_f64_e32 v[4:5], v[4:5], v[84:85]
	v_add_f64_e32 v[12:13], v[12:13], v[104:105]
	s_wait_loadcnt_dscnt 0x0
	v_mul_f64_e32 v[84:85], v[8:9], v[98:99]
	v_mul_f64_e32 v[90:91], v[10:11], v[98:99]
	s_delay_alu instid0(VALU_DEP_4) | instskip(NEXT) | instid1(VALU_DEP_4)
	v_add_f64_e32 v[4:5], v[4:5], v[88:89]
	v_add_f64_e32 v[12:13], v[12:13], v[112:113]
	s_delay_alu instid0(VALU_DEP_4) | instskip(NEXT) | instid1(VALU_DEP_4)
	v_fmac_f64_e32 v[84:85], v[10:11], v[96:97]
	v_fma_f64 v[8:9], v[8:9], v[96:97], -v[90:91]
	s_delay_alu instid0(VALU_DEP_4) | instskip(NEXT) | instid1(VALU_DEP_4)
	v_add_f64_e32 v[4:5], v[4:5], v[92:93]
	v_add_f64_e32 v[10:11], v[12:13], v[86:87]
	s_delay_alu instid0(VALU_DEP_2) | instskip(NEXT) | instid1(VALU_DEP_2)
	v_add_f64_e32 v[4:5], v[4:5], v[8:9]
	v_add_f64_e32 v[10:11], v[10:11], v[84:85]
	s_delay_alu instid0(VALU_DEP_2) | instskip(NEXT) | instid1(VALU_DEP_2)
	v_add_f64_e64 v[8:9], v[128:129], -v[4:5]
	v_add_f64_e64 v[10:11], v[130:131], -v[10:11]
	scratch_store_b128 off, v[8:11], off offset:80
	s_wait_xcnt 0x0
	v_cmpx_lt_u32_e32 4, v1
	s_cbranch_execz .LBB98_215
; %bb.214:
	scratch_load_b128 v[8:11], off, s12
	v_dual_mov_b32 v3, v2 :: v_dual_mov_b32 v4, v2
	v_mov_b32_e32 v5, v2
	scratch_store_b128 off, v[2:5], off offset:64
	s_wait_loadcnt 0x0
	ds_store_b128 v6, v[8:11]
.LBB98_215:
	s_wait_xcnt 0x0
	s_or_b32 exec_lo, exec_lo, s2
	s_wait_storecnt_dscnt 0x0
	s_barrier_signal -1
	s_barrier_wait -1
	s_clause 0x9
	scratch_load_b128 v[8:11], off, off offset:80
	scratch_load_b128 v[84:87], off, off offset:96
	;; [unrolled: 1-line block ×10, first 2 shown]
	ds_load_b128 v[120:123], v2 offset:640
	ds_load_b128 v[128:131], v2 offset:656
	s_clause 0x1
	scratch_load_b128 v[124:127], off, off offset:240
	scratch_load_b128 v[132:135], off, off offset:64
	s_mov_b32 s2, exec_lo
	s_wait_loadcnt_dscnt 0xb01
	v_mul_f64_e32 v[4:5], v[122:123], v[10:11]
	v_mul_f64_e32 v[144:145], v[120:121], v[10:11]
	scratch_load_b128 v[10:13], off, off offset:256
	s_wait_loadcnt_dscnt 0xb00
	v_mul_f64_e32 v[146:147], v[128:129], v[86:87]
	v_mul_f64_e32 v[86:87], v[130:131], v[86:87]
	v_fma_f64 v[4:5], v[120:121], v[8:9], -v[4:5]
	v_fmac_f64_e32 v[144:145], v[122:123], v[8:9]
	ds_load_b128 v[120:123], v2 offset:672
	ds_load_b128 v[136:139], v2 offset:688
	scratch_load_b128 v[140:143], off, off offset:272
	v_fmac_f64_e32 v[146:147], v[130:131], v[84:85]
	v_fma_f64 v[128:129], v[128:129], v[84:85], -v[86:87]
	scratch_load_b128 v[84:87], off, off offset:288
	s_wait_loadcnt_dscnt 0xc01
	v_mul_f64_e32 v[8:9], v[120:121], v[90:91]
	v_mul_f64_e32 v[90:91], v[122:123], v[90:91]
	v_add_f64_e32 v[4:5], 0, v[4:5]
	v_add_f64_e32 v[130:131], 0, v[144:145]
	s_wait_loadcnt_dscnt 0xb00
	v_mul_f64_e32 v[144:145], v[136:137], v[94:95]
	v_mul_f64_e32 v[94:95], v[138:139], v[94:95]
	v_fmac_f64_e32 v[8:9], v[122:123], v[88:89]
	v_fma_f64 v[148:149], v[120:121], v[88:89], -v[90:91]
	ds_load_b128 v[88:91], v2 offset:704
	ds_load_b128 v[120:123], v2 offset:720
	v_add_f64_e32 v[4:5], v[4:5], v[128:129]
	v_add_f64_e32 v[146:147], v[130:131], v[146:147]
	scratch_load_b128 v[128:131], off, off offset:304
	v_fmac_f64_e32 v[144:145], v[138:139], v[92:93]
	v_fma_f64 v[136:137], v[136:137], v[92:93], -v[94:95]
	scratch_load_b128 v[92:95], off, off offset:320
	s_wait_loadcnt_dscnt 0xc01
	v_mul_f64_e32 v[150:151], v[88:89], v[98:99]
	v_mul_f64_e32 v[98:99], v[90:91], v[98:99]
	v_add_f64_e32 v[4:5], v[4:5], v[148:149]
	v_add_f64_e32 v[8:9], v[146:147], v[8:9]
	s_wait_loadcnt_dscnt 0xb00
	v_mul_f64_e32 v[146:147], v[120:121], v[102:103]
	v_mul_f64_e32 v[102:103], v[122:123], v[102:103]
	v_fmac_f64_e32 v[150:151], v[90:91], v[96:97]
	v_fma_f64 v[148:149], v[88:89], v[96:97], -v[98:99]
	ds_load_b128 v[88:91], v2 offset:736
	ds_load_b128 v[96:99], v2 offset:752
	v_add_f64_e32 v[4:5], v[4:5], v[136:137]
	v_add_f64_e32 v[8:9], v[8:9], v[144:145]
	scratch_load_b128 v[136:139], off, off offset:336
	s_wait_loadcnt_dscnt 0xb01
	v_mul_f64_e32 v[144:145], v[88:89], v[106:107]
	v_mul_f64_e32 v[106:107], v[90:91], v[106:107]
	v_fmac_f64_e32 v[146:147], v[122:123], v[100:101]
	v_fma_f64 v[120:121], v[120:121], v[100:101], -v[102:103]
	scratch_load_b128 v[100:103], off, off offset:352
	v_add_f64_e32 v[4:5], v[4:5], v[148:149]
	v_add_f64_e32 v[8:9], v[8:9], v[150:151]
	s_wait_loadcnt_dscnt 0xb00
	v_mul_f64_e32 v[148:149], v[96:97], v[110:111]
	v_mul_f64_e32 v[110:111], v[98:99], v[110:111]
	v_fmac_f64_e32 v[144:145], v[90:91], v[104:105]
	v_fma_f64 v[150:151], v[88:89], v[104:105], -v[106:107]
	ds_load_b128 v[88:91], v2 offset:768
	ds_load_b128 v[104:107], v2 offset:784
	v_add_f64_e32 v[4:5], v[4:5], v[120:121]
	v_add_f64_e32 v[8:9], v[8:9], v[146:147]
	scratch_load_b128 v[120:123], off, off offset:368
	s_wait_loadcnt_dscnt 0xb01
	v_mul_f64_e32 v[146:147], v[88:89], v[114:115]
	v_mul_f64_e32 v[114:115], v[90:91], v[114:115]
	v_fmac_f64_e32 v[148:149], v[98:99], v[108:109]
	v_fma_f64 v[108:109], v[96:97], v[108:109], -v[110:111]
	scratch_load_b128 v[96:99], off, off offset:384
	v_add_f64_e32 v[4:5], v[4:5], v[150:151]
	v_add_f64_e32 v[8:9], v[8:9], v[144:145]
	s_wait_loadcnt_dscnt 0xb00
	v_mul_f64_e32 v[144:145], v[104:105], v[118:119]
	v_mul_f64_e32 v[118:119], v[106:107], v[118:119]
	v_fmac_f64_e32 v[146:147], v[90:91], v[112:113]
	v_fma_f64 v[150:151], v[88:89], v[112:113], -v[114:115]
	v_add_f64_e32 v[4:5], v[4:5], v[108:109]
	v_add_f64_e32 v[8:9], v[8:9], v[148:149]
	ds_load_b128 v[88:91], v2 offset:800
	ds_load_b128 v[108:111], v2 offset:816
	scratch_load_b128 v[112:115], off, off offset:400
	v_fmac_f64_e32 v[144:145], v[106:107], v[116:117]
	v_fma_f64 v[116:117], v[104:105], v[116:117], -v[118:119]
	scratch_load_b128 v[104:107], off, off offset:416
	s_wait_loadcnt_dscnt 0xc01
	v_mul_f64_e32 v[148:149], v[88:89], v[126:127]
	v_mul_f64_e32 v[126:127], v[90:91], v[126:127]
	v_add_f64_e32 v[4:5], v[4:5], v[150:151]
	v_add_f64_e32 v[8:9], v[8:9], v[146:147]
	s_wait_loadcnt_dscnt 0xa00
	v_mul_f64_e32 v[146:147], v[108:109], v[12:13]
	v_mul_f64_e32 v[12:13], v[110:111], v[12:13]
	v_fmac_f64_e32 v[148:149], v[90:91], v[124:125]
	v_fma_f64 v[150:151], v[88:89], v[124:125], -v[126:127]
	v_add_f64_e32 v[4:5], v[4:5], v[116:117]
	v_add_f64_e32 v[8:9], v[8:9], v[144:145]
	ds_load_b128 v[88:91], v2 offset:832
	ds_load_b128 v[116:119], v2 offset:848
	scratch_load_b128 v[124:127], off, off offset:432
	v_fmac_f64_e32 v[146:147], v[110:111], v[10:11]
	v_fma_f64 v[12:13], v[108:109], v[10:11], -v[12:13]
	s_wait_loadcnt_dscnt 0xa01
	v_mul_f64_e32 v[144:145], v[88:89], v[142:143]
	v_mul_f64_e32 v[142:143], v[90:91], v[142:143]
	v_add_f64_e32 v[4:5], v[4:5], v[150:151]
	v_add_f64_e32 v[108:109], v[8:9], v[148:149]
	scratch_load_b128 v[8:11], off, off offset:448
	s_wait_loadcnt_dscnt 0xa00
	v_mul_f64_e32 v[148:149], v[116:117], v[86:87]
	v_mul_f64_e32 v[150:151], v[118:119], v[86:87]
	v_fmac_f64_e32 v[144:145], v[90:91], v[140:141]
	v_fma_f64 v[90:91], v[88:89], v[140:141], -v[142:143]
	v_add_f64_e32 v[4:5], v[4:5], v[12:13]
	v_add_f64_e32 v[12:13], v[108:109], v[146:147]
	ds_load_b128 v[86:89], v2 offset:864
	ds_load_b128 v[108:111], v2 offset:880
	scratch_load_b128 v[140:143], off, off offset:464
	v_fmac_f64_e32 v[148:149], v[118:119], v[84:85]
	v_fma_f64 v[84:85], v[116:117], v[84:85], -v[150:151]
	scratch_load_b128 v[116:119], off, off offset:480
	s_wait_loadcnt_dscnt 0xb01
	v_mul_f64_e32 v[146:147], v[86:87], v[130:131]
	v_mul_f64_e32 v[130:131], v[88:89], v[130:131]
	v_add_f64_e32 v[4:5], v[4:5], v[90:91]
	v_add_f64_e32 v[12:13], v[12:13], v[144:145]
	s_wait_loadcnt_dscnt 0xa00
	v_mul_f64_e32 v[144:145], v[108:109], v[94:95]
	v_mul_f64_e32 v[94:95], v[110:111], v[94:95]
	v_fmac_f64_e32 v[146:147], v[88:89], v[128:129]
	v_fma_f64 v[150:151], v[86:87], v[128:129], -v[130:131]
	v_add_f64_e32 v[4:5], v[4:5], v[84:85]
	v_add_f64_e32 v[12:13], v[12:13], v[148:149]
	ds_load_b128 v[84:87], v2 offset:896
	ds_load_b128 v[88:91], v2 offset:912
	scratch_load_b128 v[128:131], off, off offset:496
	v_fmac_f64_e32 v[144:145], v[110:111], v[92:93]
	v_fma_f64 v[108:109], v[108:109], v[92:93], -v[94:95]
	scratch_load_b128 v[92:95], off, off offset:512
	s_wait_loadcnt_dscnt 0xb01
	v_mul_f64_e32 v[148:149], v[84:85], v[138:139]
	v_mul_f64_e32 v[138:139], v[86:87], v[138:139]
	v_add_f64_e32 v[4:5], v[4:5], v[150:151]
	v_add_f64_e32 v[12:13], v[12:13], v[146:147]
	s_wait_loadcnt_dscnt 0xa00
	v_mul_f64_e32 v[146:147], v[88:89], v[102:103]
	v_mul_f64_e32 v[102:103], v[90:91], v[102:103]
	v_fmac_f64_e32 v[148:149], v[86:87], v[136:137]
	v_fma_f64 v[150:151], v[84:85], v[136:137], -v[138:139]
	v_add_f64_e32 v[4:5], v[4:5], v[108:109]
	v_add_f64_e32 v[12:13], v[12:13], v[144:145]
	ds_load_b128 v[84:87], v2 offset:928
	ds_load_b128 v[108:111], v2 offset:944
	scratch_load_b128 v[136:139], off, off offset:528
	v_fmac_f64_e32 v[146:147], v[90:91], v[100:101]
	v_fma_f64 v[100:101], v[88:89], v[100:101], -v[102:103]
	scratch_load_b128 v[88:91], off, off offset:544
	s_wait_loadcnt_dscnt 0xb01
	v_mul_f64_e32 v[144:145], v[84:85], v[122:123]
	v_mul_f64_e32 v[122:123], v[86:87], v[122:123]
	s_wait_loadcnt_dscnt 0xa00
	v_mul_f64_e32 v[102:103], v[108:109], v[98:99]
	v_add_f64_e32 v[4:5], v[4:5], v[150:151]
	v_add_f64_e32 v[12:13], v[12:13], v[148:149]
	v_mul_f64_e32 v[148:149], v[110:111], v[98:99]
	v_fmac_f64_e32 v[144:145], v[86:87], v[120:121]
	v_fma_f64 v[120:121], v[84:85], v[120:121], -v[122:123]
	v_fmac_f64_e32 v[102:103], v[110:111], v[96:97]
	v_add_f64_e32 v[4:5], v[4:5], v[100:101]
	v_add_f64_e32 v[12:13], v[12:13], v[146:147]
	ds_load_b128 v[84:87], v2 offset:960
	ds_load_b128 v[98:101], v2 offset:976
	v_fma_f64 v[96:97], v[108:109], v[96:97], -v[148:149]
	s_wait_loadcnt_dscnt 0x901
	v_mul_f64_e32 v[122:123], v[84:85], v[114:115]
	v_mul_f64_e32 v[114:115], v[86:87], v[114:115]
	s_wait_loadcnt_dscnt 0x800
	v_mul_f64_e32 v[110:111], v[98:99], v[106:107]
	v_add_f64_e32 v[4:5], v[4:5], v[120:121]
	v_add_f64_e32 v[12:13], v[12:13], v[144:145]
	v_mul_f64_e32 v[120:121], v[100:101], v[106:107]
	v_fmac_f64_e32 v[122:123], v[86:87], v[112:113]
	v_fma_f64 v[112:113], v[84:85], v[112:113], -v[114:115]
	ds_load_b128 v[84:87], v2 offset:992
	ds_load_b128 v[106:109], v2 offset:1008
	v_fmac_f64_e32 v[110:111], v[100:101], v[104:105]
	v_add_f64_e32 v[4:5], v[4:5], v[96:97]
	v_add_f64_e32 v[12:13], v[12:13], v[102:103]
	v_fma_f64 v[98:99], v[98:99], v[104:105], -v[120:121]
	s_wait_loadcnt_dscnt 0x701
	v_mul_f64_e32 v[96:97], v[84:85], v[126:127]
	v_mul_f64_e32 v[102:103], v[86:87], v[126:127]
	v_add_f64_e32 v[4:5], v[4:5], v[112:113]
	v_add_f64_e32 v[12:13], v[12:13], v[122:123]
	s_wait_loadcnt_dscnt 0x600
	v_mul_f64_e32 v[100:101], v[106:107], v[10:11]
	v_mul_f64_e32 v[104:105], v[108:109], v[10:11]
	v_fmac_f64_e32 v[96:97], v[86:87], v[124:125]
	v_fma_f64 v[102:103], v[84:85], v[124:125], -v[102:103]
	v_add_f64_e32 v[4:5], v[4:5], v[98:99]
	v_add_f64_e32 v[98:99], v[12:13], v[110:111]
	ds_load_b128 v[10:13], v2 offset:1024
	ds_load_b128 v[84:87], v2 offset:1040
	v_fmac_f64_e32 v[100:101], v[108:109], v[8:9]
	v_fma_f64 v[8:9], v[106:107], v[8:9], -v[104:105]
	s_wait_loadcnt_dscnt 0x501
	v_mul_f64_e32 v[110:111], v[10:11], v[142:143]
	v_mul_f64_e32 v[112:113], v[12:13], v[142:143]
	s_wait_loadcnt_dscnt 0x400
	v_mul_f64_e32 v[104:105], v[86:87], v[118:119]
	v_add_f64_e32 v[4:5], v[4:5], v[102:103]
	v_add_f64_e32 v[96:97], v[98:99], v[96:97]
	v_mul_f64_e32 v[102:103], v[84:85], v[118:119]
	v_fmac_f64_e32 v[110:111], v[12:13], v[140:141]
	v_fma_f64 v[12:13], v[10:11], v[140:141], -v[112:113]
	v_fma_f64 v[84:85], v[84:85], v[116:117], -v[104:105]
	v_add_f64_e32 v[4:5], v[4:5], v[8:9]
	v_add_f64_e32 v[100:101], v[96:97], v[100:101]
	ds_load_b128 v[8:11], v2 offset:1056
	ds_load_b128 v[96:99], v2 offset:1072
	v_fmac_f64_e32 v[102:103], v[86:87], v[116:117]
	s_wait_loadcnt_dscnt 0x301
	v_mul_f64_e32 v[106:107], v[8:9], v[130:131]
	v_mul_f64_e32 v[108:109], v[10:11], v[130:131]
	s_wait_loadcnt_dscnt 0x200
	v_mul_f64_e32 v[86:87], v[96:97], v[94:95]
	v_mul_f64_e32 v[94:95], v[98:99], v[94:95]
	v_add_f64_e32 v[4:5], v[4:5], v[12:13]
	v_add_f64_e32 v[12:13], v[100:101], v[110:111]
	v_fmac_f64_e32 v[106:107], v[10:11], v[128:129]
	v_fma_f64 v[100:101], v[8:9], v[128:129], -v[108:109]
	v_fmac_f64_e32 v[86:87], v[98:99], v[92:93]
	v_fma_f64 v[92:93], v[96:97], v[92:93], -v[94:95]
	v_add_f64_e32 v[84:85], v[4:5], v[84:85]
	v_add_f64_e32 v[12:13], v[12:13], v[102:103]
	ds_load_b128 v[8:11], v2 offset:1088
	ds_load_b128 v[2:5], v2 offset:1104
	s_wait_loadcnt_dscnt 0x101
	v_mul_f64_e32 v[102:103], v[8:9], v[138:139]
	v_mul_f64_e32 v[104:105], v[10:11], v[138:139]
	s_wait_loadcnt_dscnt 0x0
	v_mul_f64_e32 v[94:95], v[2:3], v[90:91]
	v_mul_f64_e32 v[90:91], v[4:5], v[90:91]
	v_add_f64_e32 v[84:85], v[84:85], v[100:101]
	v_add_f64_e32 v[12:13], v[12:13], v[106:107]
	v_fmac_f64_e32 v[102:103], v[10:11], v[136:137]
	v_fma_f64 v[8:9], v[8:9], v[136:137], -v[104:105]
	v_fmac_f64_e32 v[94:95], v[4:5], v[88:89]
	v_fma_f64 v[2:3], v[2:3], v[88:89], -v[90:91]
	v_add_f64_e32 v[10:11], v[84:85], v[92:93]
	v_add_f64_e32 v[12:13], v[12:13], v[86:87]
	s_delay_alu instid0(VALU_DEP_2) | instskip(NEXT) | instid1(VALU_DEP_2)
	v_add_f64_e32 v[4:5], v[10:11], v[8:9]
	v_add_f64_e32 v[8:9], v[12:13], v[102:103]
	s_delay_alu instid0(VALU_DEP_2) | instskip(NEXT) | instid1(VALU_DEP_2)
	;; [unrolled: 3-line block ×3, first 2 shown]
	v_add_f64_e64 v[2:3], v[132:133], -v[2:3]
	v_add_f64_e64 v[4:5], v[134:135], -v[4:5]
	scratch_store_b128 off, v[2:5], off offset:64
	s_wait_xcnt 0x0
	v_cmpx_lt_u32_e32 3, v1
	s_cbranch_execz .LBB98_217
; %bb.216:
	scratch_load_b128 v[2:5], off, s14
	v_mov_b32_e32 v8, 0
	s_delay_alu instid0(VALU_DEP_1)
	v_dual_mov_b32 v9, v8 :: v_dual_mov_b32 v10, v8
	v_mov_b32_e32 v11, v8
	scratch_store_b128 off, v[8:11], off offset:48
	s_wait_loadcnt 0x0
	ds_store_b128 v6, v[2:5]
.LBB98_217:
	s_wait_xcnt 0x0
	s_or_b32 exec_lo, exec_lo, s2
	s_wait_storecnt_dscnt 0x0
	s_barrier_signal -1
	s_barrier_wait -1
	s_clause 0x9
	scratch_load_b128 v[8:11], off, off offset:64
	scratch_load_b128 v[84:87], off, off offset:80
	scratch_load_b128 v[88:91], off, off offset:96
	scratch_load_b128 v[92:95], off, off offset:112
	scratch_load_b128 v[96:99], off, off offset:128
	scratch_load_b128 v[100:103], off, off offset:144
	scratch_load_b128 v[104:107], off, off offset:160
	scratch_load_b128 v[108:111], off, off offset:176
	scratch_load_b128 v[112:115], off, off offset:192
	scratch_load_b128 v[116:119], off, off offset:208
	v_mov_b32_e32 v2, 0
	s_mov_b32 s2, exec_lo
	ds_load_b128 v[120:123], v2 offset:624
	s_clause 0x2
	scratch_load_b128 v[124:127], off, off offset:224
	scratch_load_b128 v[128:131], off, off offset:48
	;; [unrolled: 1-line block ×3, first 2 shown]
	s_wait_loadcnt_dscnt 0xc00
	v_mul_f64_e32 v[4:5], v[122:123], v[10:11]
	v_mul_f64_e32 v[144:145], v[120:121], v[10:11]
	ds_load_b128 v[132:135], v2 offset:640
	scratch_load_b128 v[10:13], off, off offset:240
	ds_load_b128 v[140:143], v2 offset:672
	v_fma_f64 v[4:5], v[120:121], v[8:9], -v[4:5]
	v_fmac_f64_e32 v[144:145], v[122:123], v[8:9]
	ds_load_b128 v[120:123], v2 offset:656
	s_wait_loadcnt_dscnt 0xc02
	v_mul_f64_e32 v[146:147], v[132:133], v[86:87]
	v_mul_f64_e32 v[86:87], v[134:135], v[86:87]
	s_wait_loadcnt_dscnt 0xb00
	v_mul_f64_e32 v[8:9], v[120:121], v[90:91]
	v_mul_f64_e32 v[90:91], v[122:123], v[90:91]
	v_add_f64_e32 v[4:5], 0, v[4:5]
	v_fmac_f64_e32 v[146:147], v[134:135], v[84:85]
	v_fma_f64 v[132:133], v[132:133], v[84:85], -v[86:87]
	v_add_f64_e32 v[134:135], 0, v[144:145]
	scratch_load_b128 v[84:87], off, off offset:272
	v_fmac_f64_e32 v[8:9], v[122:123], v[88:89]
	v_fma_f64 v[148:149], v[120:121], v[88:89], -v[90:91]
	ds_load_b128 v[88:91], v2 offset:688
	s_wait_loadcnt 0xb
	v_mul_f64_e32 v[144:145], v[140:141], v[94:95]
	v_mul_f64_e32 v[94:95], v[142:143], v[94:95]
	scratch_load_b128 v[120:123], off, off offset:288
	v_add_f64_e32 v[4:5], v[4:5], v[132:133]
	v_add_f64_e32 v[146:147], v[134:135], v[146:147]
	ds_load_b128 v[132:135], v2 offset:704
	s_wait_loadcnt_dscnt 0xb01
	v_mul_f64_e32 v[150:151], v[88:89], v[98:99]
	v_mul_f64_e32 v[98:99], v[90:91], v[98:99]
	v_fmac_f64_e32 v[144:145], v[142:143], v[92:93]
	v_fma_f64 v[140:141], v[140:141], v[92:93], -v[94:95]
	scratch_load_b128 v[92:95], off, off offset:304
	v_add_f64_e32 v[4:5], v[4:5], v[148:149]
	v_add_f64_e32 v[8:9], v[146:147], v[8:9]
	v_fmac_f64_e32 v[150:151], v[90:91], v[96:97]
	v_fma_f64 v[148:149], v[88:89], v[96:97], -v[98:99]
	ds_load_b128 v[88:91], v2 offset:720
	s_wait_loadcnt_dscnt 0xb01
	v_mul_f64_e32 v[146:147], v[132:133], v[102:103]
	v_mul_f64_e32 v[102:103], v[134:135], v[102:103]
	scratch_load_b128 v[96:99], off, off offset:320
	v_add_f64_e32 v[4:5], v[4:5], v[140:141]
	v_add_f64_e32 v[8:9], v[8:9], v[144:145]
	s_wait_loadcnt_dscnt 0xb00
	v_mul_f64_e32 v[144:145], v[88:89], v[106:107]
	v_mul_f64_e32 v[106:107], v[90:91], v[106:107]
	ds_load_b128 v[140:143], v2 offset:736
	v_fmac_f64_e32 v[146:147], v[134:135], v[100:101]
	v_fma_f64 v[132:133], v[132:133], v[100:101], -v[102:103]
	scratch_load_b128 v[100:103], off, off offset:336
	v_add_f64_e32 v[4:5], v[4:5], v[148:149]
	v_add_f64_e32 v[8:9], v[8:9], v[150:151]
	v_fmac_f64_e32 v[144:145], v[90:91], v[104:105]
	v_fma_f64 v[150:151], v[88:89], v[104:105], -v[106:107]
	ds_load_b128 v[88:91], v2 offset:752
	s_wait_loadcnt_dscnt 0xb01
	v_mul_f64_e32 v[148:149], v[140:141], v[110:111]
	v_mul_f64_e32 v[110:111], v[142:143], v[110:111]
	scratch_load_b128 v[104:107], off, off offset:352
	v_add_f64_e32 v[4:5], v[4:5], v[132:133]
	v_add_f64_e32 v[8:9], v[8:9], v[146:147]
	s_wait_loadcnt_dscnt 0xb00
	v_mul_f64_e32 v[146:147], v[88:89], v[114:115]
	v_mul_f64_e32 v[114:115], v[90:91], v[114:115]
	ds_load_b128 v[132:135], v2 offset:768
	;; [unrolled: 18-line block ×3, first 2 shown]
	v_fmac_f64_e32 v[144:145], v[134:135], v[116:117]
	v_fma_f64 v[132:133], v[132:133], v[116:117], -v[118:119]
	scratch_load_b128 v[116:119], off, off offset:400
	v_add_f64_e32 v[4:5], v[4:5], v[150:151]
	v_add_f64_e32 v[8:9], v[8:9], v[146:147]
	v_fmac_f64_e32 v[148:149], v[90:91], v[124:125]
	v_fma_f64 v[150:151], v[88:89], v[124:125], -v[126:127]
	ds_load_b128 v[88:91], v2 offset:816
	s_wait_loadcnt_dscnt 0x901
	v_mul_f64_e32 v[146:147], v[140:141], v[12:13]
	v_mul_f64_e32 v[12:13], v[142:143], v[12:13]
	scratch_load_b128 v[124:127], off, off offset:416
	v_add_f64_e32 v[4:5], v[4:5], v[132:133]
	v_add_f64_e32 v[8:9], v[8:9], v[144:145]
	s_wait_dscnt 0x0
	v_mul_f64_e32 v[144:145], v[88:89], v[138:139]
	v_mul_f64_e32 v[138:139], v[90:91], v[138:139]
	ds_load_b128 v[132:135], v2 offset:832
	v_fmac_f64_e32 v[146:147], v[142:143], v[10:11]
	v_fma_f64 v[12:13], v[140:141], v[10:11], -v[12:13]
	v_add_f64_e32 v[4:5], v[4:5], v[150:151]
	v_add_f64_e32 v[140:141], v[8:9], v[148:149]
	scratch_load_b128 v[8:11], off, off offset:432
	v_fmac_f64_e32 v[144:145], v[90:91], v[136:137]
	v_fma_f64 v[90:91], v[88:89], v[136:137], -v[138:139]
	scratch_load_b128 v[136:139], off, off offset:448
	v_add_f64_e32 v[4:5], v[4:5], v[12:13]
	v_add_f64_e32 v[12:13], v[140:141], v[146:147]
	ds_load_b128 v[140:143], v2 offset:864
	s_wait_loadcnt_dscnt 0xb01
	v_mul_f64_e32 v[148:149], v[132:133], v[86:87]
	v_mul_f64_e32 v[150:151], v[134:135], v[86:87]
	ds_load_b128 v[86:89], v2 offset:848
	s_wait_loadcnt_dscnt 0xa00
	v_mul_f64_e32 v[146:147], v[86:87], v[122:123]
	v_mul_f64_e32 v[122:123], v[88:89], v[122:123]
	v_add_f64_e32 v[4:5], v[4:5], v[90:91]
	v_add_f64_e32 v[12:13], v[12:13], v[144:145]
	s_wait_loadcnt 0x9
	v_mul_f64_e32 v[144:145], v[140:141], v[94:95]
	v_fmac_f64_e32 v[148:149], v[134:135], v[84:85]
	v_fma_f64 v[84:85], v[132:133], v[84:85], -v[150:151]
	scratch_load_b128 v[132:135], off, off offset:464
	v_mul_f64_e32 v[94:95], v[142:143], v[94:95]
	v_fmac_f64_e32 v[146:147], v[88:89], v[120:121]
	v_fma_f64 v[150:151], v[86:87], v[120:121], -v[122:123]
	scratch_load_b128 v[88:91], off, off offset:480
	ds_load_b128 v[120:123], v2 offset:896
	v_fmac_f64_e32 v[144:145], v[142:143], v[92:93]
	v_add_f64_e32 v[12:13], v[12:13], v[148:149]
	v_add_f64_e32 v[4:5], v[4:5], v[84:85]
	ds_load_b128 v[84:87], v2 offset:880
	v_fma_f64 v[140:141], v[140:141], v[92:93], -v[94:95]
	scratch_load_b128 v[92:95], off, off offset:496
	s_wait_loadcnt_dscnt 0xb00
	v_mul_f64_e32 v[148:149], v[84:85], v[98:99]
	v_mul_f64_e32 v[98:99], v[86:87], v[98:99]
	v_add_f64_e32 v[12:13], v[12:13], v[146:147]
	v_add_f64_e32 v[4:5], v[4:5], v[150:151]
	s_wait_loadcnt 0xa
	v_mul_f64_e32 v[146:147], v[120:121], v[102:103]
	v_mul_f64_e32 v[102:103], v[122:123], v[102:103]
	v_fmac_f64_e32 v[148:149], v[86:87], v[96:97]
	v_fma_f64 v[150:151], v[84:85], v[96:97], -v[98:99]
	ds_load_b128 v[84:87], v2 offset:912
	scratch_load_b128 v[96:99], off, off offset:512
	v_add_f64_e32 v[12:13], v[12:13], v[144:145]
	v_add_f64_e32 v[4:5], v[4:5], v[140:141]
	ds_load_b128 v[140:143], v2 offset:928
	v_fmac_f64_e32 v[146:147], v[122:123], v[100:101]
	v_fma_f64 v[120:121], v[120:121], v[100:101], -v[102:103]
	scratch_load_b128 v[100:103], off, off offset:528
	s_wait_loadcnt_dscnt 0xb01
	v_mul_f64_e32 v[144:145], v[84:85], v[106:107]
	v_mul_f64_e32 v[106:107], v[86:87], v[106:107]
	v_add_f64_e32 v[12:13], v[12:13], v[148:149]
	v_add_f64_e32 v[4:5], v[4:5], v[150:151]
	s_wait_loadcnt_dscnt 0xa00
	v_mul_f64_e32 v[148:149], v[140:141], v[110:111]
	v_mul_f64_e32 v[110:111], v[142:143], v[110:111]
	v_fmac_f64_e32 v[144:145], v[86:87], v[104:105]
	v_fma_f64 v[150:151], v[84:85], v[104:105], -v[106:107]
	ds_load_b128 v[84:87], v2 offset:944
	scratch_load_b128 v[104:107], off, off offset:544
	v_add_f64_e32 v[12:13], v[12:13], v[146:147]
	v_add_f64_e32 v[4:5], v[4:5], v[120:121]
	ds_load_b128 v[120:123], v2 offset:960
	s_wait_loadcnt_dscnt 0xa01
	v_mul_f64_e32 v[146:147], v[84:85], v[114:115]
	v_mul_f64_e32 v[114:115], v[86:87], v[114:115]
	v_fmac_f64_e32 v[148:149], v[142:143], v[108:109]
	v_fma_f64 v[108:109], v[140:141], v[108:109], -v[110:111]
	s_wait_loadcnt_dscnt 0x900
	v_mul_f64_e32 v[140:141], v[120:121], v[118:119]
	v_mul_f64_e32 v[118:119], v[122:123], v[118:119]
	v_add_f64_e32 v[12:13], v[12:13], v[144:145]
	v_add_f64_e32 v[4:5], v[4:5], v[150:151]
	v_fmac_f64_e32 v[146:147], v[86:87], v[112:113]
	v_fma_f64 v[112:113], v[84:85], v[112:113], -v[114:115]
	v_fmac_f64_e32 v[140:141], v[122:123], v[116:117]
	v_fma_f64 v[116:117], v[120:121], v[116:117], -v[118:119]
	v_add_f64_e32 v[12:13], v[12:13], v[148:149]
	v_add_f64_e32 v[4:5], v[4:5], v[108:109]
	ds_load_b128 v[84:87], v2 offset:976
	ds_load_b128 v[108:111], v2 offset:992
	s_wait_loadcnt_dscnt 0x801
	v_mul_f64_e32 v[114:115], v[84:85], v[126:127]
	v_mul_f64_e32 v[126:127], v[86:87], v[126:127]
	s_wait_loadcnt_dscnt 0x700
	v_mul_f64_e32 v[118:119], v[110:111], v[10:11]
	v_add_f64_e32 v[12:13], v[12:13], v[146:147]
	v_add_f64_e32 v[4:5], v[4:5], v[112:113]
	v_mul_f64_e32 v[112:113], v[108:109], v[10:11]
	v_fmac_f64_e32 v[114:115], v[86:87], v[124:125]
	v_fma_f64 v[120:121], v[84:85], v[124:125], -v[126:127]
	s_delay_alu instid0(VALU_DEP_4)
	v_add_f64_e32 v[4:5], v[4:5], v[116:117]
	v_add_f64_e32 v[116:117], v[12:13], v[140:141]
	ds_load_b128 v[10:13], v2 offset:1008
	ds_load_b128 v[84:87], v2 offset:1024
	v_fmac_f64_e32 v[112:113], v[110:111], v[8:9]
	v_fma_f64 v[8:9], v[108:109], v[8:9], -v[118:119]
	s_wait_loadcnt_dscnt 0x601
	v_mul_f64_e32 v[122:123], v[10:11], v[138:139]
	v_mul_f64_e32 v[124:125], v[12:13], v[138:139]
	v_add_f64_e32 v[4:5], v[4:5], v[120:121]
	v_add_f64_e32 v[108:109], v[116:117], v[114:115]
	s_wait_loadcnt_dscnt 0x500
	v_mul_f64_e32 v[114:115], v[84:85], v[134:135]
	v_mul_f64_e32 v[116:117], v[86:87], v[134:135]
	v_fmac_f64_e32 v[122:123], v[12:13], v[136:137]
	v_fma_f64 v[12:13], v[10:11], v[136:137], -v[124:125]
	v_add_f64_e32 v[4:5], v[4:5], v[8:9]
	v_add_f64_e32 v[112:113], v[108:109], v[112:113]
	ds_load_b128 v[8:11], v2 offset:1040
	ds_load_b128 v[108:111], v2 offset:1056
	v_fmac_f64_e32 v[114:115], v[86:87], v[132:133]
	v_fma_f64 v[84:85], v[84:85], v[132:133], -v[116:117]
	s_wait_loadcnt_dscnt 0x401
	v_mul_f64_e32 v[118:119], v[8:9], v[90:91]
	v_mul_f64_e32 v[90:91], v[10:11], v[90:91]
	v_add_f64_e32 v[4:5], v[4:5], v[12:13]
	v_add_f64_e32 v[12:13], v[112:113], v[122:123]
	s_wait_loadcnt_dscnt 0x300
	v_mul_f64_e32 v[112:113], v[108:109], v[94:95]
	v_mul_f64_e32 v[94:95], v[110:111], v[94:95]
	v_fmac_f64_e32 v[118:119], v[10:11], v[88:89]
	v_fma_f64 v[88:89], v[8:9], v[88:89], -v[90:91]
	v_add_f64_e32 v[4:5], v[4:5], v[84:85]
	v_add_f64_e32 v[12:13], v[12:13], v[114:115]
	ds_load_b128 v[8:11], v2 offset:1072
	ds_load_b128 v[84:87], v2 offset:1088
	v_fmac_f64_e32 v[112:113], v[110:111], v[92:93]
	v_fma_f64 v[92:93], v[108:109], v[92:93], -v[94:95]
	s_wait_loadcnt_dscnt 0x201
	v_mul_f64_e32 v[90:91], v[8:9], v[98:99]
	v_mul_f64_e32 v[98:99], v[10:11], v[98:99]
	s_wait_loadcnt_dscnt 0x100
	v_mul_f64_e32 v[94:95], v[86:87], v[102:103]
	v_add_f64_e32 v[4:5], v[4:5], v[88:89]
	v_add_f64_e32 v[12:13], v[12:13], v[118:119]
	v_mul_f64_e32 v[88:89], v[84:85], v[102:103]
	v_fmac_f64_e32 v[90:91], v[10:11], v[96:97]
	v_fma_f64 v[96:97], v[8:9], v[96:97], -v[98:99]
	ds_load_b128 v[8:11], v2 offset:1104
	v_fma_f64 v[84:85], v[84:85], v[100:101], -v[94:95]
	v_add_f64_e32 v[4:5], v[4:5], v[92:93]
	v_add_f64_e32 v[12:13], v[12:13], v[112:113]
	v_fmac_f64_e32 v[88:89], v[86:87], v[100:101]
	s_wait_loadcnt_dscnt 0x0
	v_mul_f64_e32 v[92:93], v[8:9], v[106:107]
	v_mul_f64_e32 v[98:99], v[10:11], v[106:107]
	v_add_f64_e32 v[4:5], v[4:5], v[96:97]
	v_add_f64_e32 v[12:13], v[12:13], v[90:91]
	s_delay_alu instid0(VALU_DEP_4) | instskip(NEXT) | instid1(VALU_DEP_4)
	v_fmac_f64_e32 v[92:93], v[10:11], v[104:105]
	v_fma_f64 v[8:9], v[8:9], v[104:105], -v[98:99]
	s_delay_alu instid0(VALU_DEP_4) | instskip(NEXT) | instid1(VALU_DEP_4)
	v_add_f64_e32 v[4:5], v[4:5], v[84:85]
	v_add_f64_e32 v[10:11], v[12:13], v[88:89]
	s_delay_alu instid0(VALU_DEP_2) | instskip(NEXT) | instid1(VALU_DEP_2)
	v_add_f64_e32 v[4:5], v[4:5], v[8:9]
	v_add_f64_e32 v[10:11], v[10:11], v[92:93]
	s_delay_alu instid0(VALU_DEP_2) | instskip(NEXT) | instid1(VALU_DEP_2)
	v_add_f64_e64 v[8:9], v[128:129], -v[4:5]
	v_add_f64_e64 v[10:11], v[130:131], -v[10:11]
	scratch_store_b128 off, v[8:11], off offset:48
	s_wait_xcnt 0x0
	v_cmpx_lt_u32_e32 2, v1
	s_cbranch_execz .LBB98_219
; %bb.218:
	scratch_load_b128 v[8:11], off, s16
	v_dual_mov_b32 v3, v2 :: v_dual_mov_b32 v4, v2
	v_mov_b32_e32 v5, v2
	scratch_store_b128 off, v[2:5], off offset:32
	s_wait_loadcnt 0x0
	ds_store_b128 v6, v[8:11]
.LBB98_219:
	s_wait_xcnt 0x0
	s_or_b32 exec_lo, exec_lo, s2
	s_wait_storecnt_dscnt 0x0
	s_barrier_signal -1
	s_barrier_wait -1
	s_clause 0x9
	scratch_load_b128 v[8:11], off, off offset:48
	scratch_load_b128 v[84:87], off, off offset:64
	;; [unrolled: 1-line block ×10, first 2 shown]
	ds_load_b128 v[120:123], v2 offset:608
	ds_load_b128 v[124:127], v2 offset:624
	s_clause 0x1
	scratch_load_b128 v[128:131], off, off offset:208
	scratch_load_b128 v[132:135], off, off offset:32
	s_mov_b32 s2, exec_lo
	v_ashrrev_i32_e32 v21, 31, v20
	v_ashrrev_i32_e32 v25, 31, v24
	;; [unrolled: 1-line block ×3, first 2 shown]
	v_dual_ashrrev_i32 v33, 31, v32 :: v_dual_ashrrev_i32 v19, 31, v18
	v_dual_ashrrev_i32 v23, 31, v22 :: v_dual_ashrrev_i32 v37, 31, v36
	v_ashrrev_i32_e32 v41, 31, v40
	v_ashrrev_i32_e32 v45, 31, v44
	v_dual_ashrrev_i32 v49, 31, v48 :: v_dual_ashrrev_i32 v27, 31, v26
	v_ashrrev_i32_e32 v31, 31, v30
	v_ashrrev_i32_e32 v35, 31, v34
	v_dual_ashrrev_i32 v47, 31, v46 :: v_dual_ashrrev_i32 v53, 31, v52
	v_dual_ashrrev_i32 v57, 31, v56 :: v_dual_ashrrev_i32 v39, 31, v38
	;; [unrolled: 1-line block ×5, first 2 shown]
	v_ashrrev_i32_e32 v59, 31, v58
	v_ashrrev_i32_e32 v63, 31, v62
	v_dual_ashrrev_i32 v67, 31, v66 :: v_dual_ashrrev_i32 v73, 31, v72
	v_dual_ashrrev_i32 v77, 31, v76 :: v_dual_ashrrev_i32 v71, 31, v70
	;; [unrolled: 1-line block ×3, first 2 shown]
	v_ashrrev_i32_e32 v79, 31, v78
	v_ashrrev_i32_e32 v83, 31, v82
	s_wait_loadcnt_dscnt 0xb01
	v_mul_f64_e32 v[4:5], v[120:121], v[10:11]
	v_mul_f64_e32 v[136:137], v[122:123], v[10:11]
	s_wait_loadcnt_dscnt 0xa00
	v_mul_f64_e32 v[140:141], v[124:125], v[86:87]
	v_mul_f64_e32 v[86:87], v[126:127], v[86:87]
	ds_load_b128 v[10:13], v2 offset:640
	v_fmac_f64_e32 v[4:5], v[122:123], v[8:9]
	v_fma_f64 v[8:9], v[120:121], v[8:9], -v[136:137]
	scratch_load_b128 v[120:123], off, off offset:224
	ds_load_b128 v[136:139], v2 offset:656
	v_fmac_f64_e32 v[140:141], v[126:127], v[84:85]
	v_fma_f64 v[124:125], v[124:125], v[84:85], -v[86:87]
	s_wait_loadcnt_dscnt 0xa01
	v_mul_f64_e32 v[126:127], v[10:11], v[90:91]
	v_mul_f64_e32 v[90:91], v[12:13], v[90:91]
	scratch_load_b128 v[84:87], off, off offset:240
	s_wait_loadcnt_dscnt 0xa00
	v_mul_f64_e32 v[144:145], v[136:137], v[94:95]
	v_mul_f64_e32 v[94:95], v[138:139], v[94:95]
	v_add_f64_e32 v[4:5], 0, v[4:5]
	v_add_f64_e32 v[142:143], 0, v[8:9]
	v_fmac_f64_e32 v[126:127], v[12:13], v[88:89]
	v_fma_f64 v[12:13], v[10:11], v[88:89], -v[90:91]
	scratch_load_b128 v[88:91], off, off offset:256
	ds_load_b128 v[8:11], v2 offset:672
	v_fmac_f64_e32 v[144:145], v[138:139], v[92:93]
	v_fma_f64 v[136:137], v[136:137], v[92:93], -v[94:95]
	ds_load_b128 v[92:95], v2 offset:688
	s_wait_loadcnt_dscnt 0xa01
	v_mul_f64_e32 v[138:139], v[8:9], v[98:99]
	v_mul_f64_e32 v[98:99], v[10:11], v[98:99]
	v_add_f64_e32 v[4:5], v[4:5], v[140:141]
	v_add_f64_e32 v[124:125], v[142:143], v[124:125]
	s_wait_loadcnt_dscnt 0x900
	v_mul_f64_e32 v[142:143], v[92:93], v[102:103]
	v_mul_f64_e32 v[102:103], v[94:95], v[102:103]
	v_fmac_f64_e32 v[138:139], v[10:11], v[96:97]
	v_fma_f64 v[140:141], v[8:9], v[96:97], -v[98:99]
	scratch_load_b128 v[96:99], off, off offset:288
	v_add_f64_e32 v[4:5], v[4:5], v[126:127]
	v_add_f64_e32 v[12:13], v[124:125], v[12:13]
	scratch_load_b128 v[124:127], off, off offset:272
	ds_load_b128 v[8:11], v2 offset:704
	v_fmac_f64_e32 v[142:143], v[94:95], v[100:101]
	v_add_f64_e32 v[4:5], v[4:5], v[144:145]
	v_add_f64_e32 v[12:13], v[12:13], v[136:137]
	v_fma_f64 v[136:137], v[92:93], v[100:101], -v[102:103]
	ds_load_b128 v[92:95], v2 offset:720
	s_wait_loadcnt_dscnt 0xa01
	v_mul_f64_e32 v[144:145], v[8:9], v[106:107]
	v_mul_f64_e32 v[106:107], v[10:11], v[106:107]
	scratch_load_b128 v[100:103], off, off offset:304
	v_add_f64_e32 v[4:5], v[4:5], v[138:139]
	v_add_f64_e32 v[12:13], v[12:13], v[140:141]
	s_wait_loadcnt_dscnt 0xa00
	v_mul_f64_e32 v[140:141], v[92:93], v[110:111]
	v_mul_f64_e32 v[110:111], v[94:95], v[110:111]
	v_fmac_f64_e32 v[144:145], v[10:11], v[104:105]
	v_fma_f64 v[138:139], v[8:9], v[104:105], -v[106:107]
	scratch_load_b128 v[104:107], off, off offset:320
	ds_load_b128 v[8:11], v2 offset:736
	v_add_f64_e32 v[4:5], v[4:5], v[142:143]
	v_add_f64_e32 v[12:13], v[12:13], v[136:137]
	v_fmac_f64_e32 v[140:141], v[94:95], v[108:109]
	v_fma_f64 v[136:137], v[92:93], v[108:109], -v[110:111]
	ds_load_b128 v[92:95], v2 offset:752
	s_wait_loadcnt_dscnt 0xa01
	v_mul_f64_e32 v[142:143], v[8:9], v[114:115]
	v_mul_f64_e32 v[114:115], v[10:11], v[114:115]
	scratch_load_b128 v[108:111], off, off offset:336
	v_add_f64_e32 v[4:5], v[4:5], v[144:145]
	v_add_f64_e32 v[12:13], v[12:13], v[138:139]
	s_wait_loadcnt_dscnt 0xa00
	v_mul_f64_e32 v[144:145], v[92:93], v[118:119]
	v_mul_f64_e32 v[118:119], v[94:95], v[118:119]
	v_fmac_f64_e32 v[142:143], v[10:11], v[112:113]
	v_fma_f64 v[138:139], v[8:9], v[112:113], -v[114:115]
	scratch_load_b128 v[112:115], off, off offset:352
	ds_load_b128 v[8:11], v2 offset:768
	v_add_f64_e32 v[4:5], v[4:5], v[140:141]
	v_add_f64_e32 v[12:13], v[12:13], v[136:137]
	v_fmac_f64_e32 v[144:145], v[94:95], v[116:117]
	v_fma_f64 v[136:137], v[92:93], v[116:117], -v[118:119]
	ds_load_b128 v[92:95], v2 offset:784
	s_wait_loadcnt_dscnt 0xa01
	v_mul_f64_e32 v[140:141], v[8:9], v[130:131]
	v_mul_f64_e32 v[130:131], v[10:11], v[130:131]
	scratch_load_b128 v[116:119], off, off offset:368
	v_add_f64_e32 v[4:5], v[4:5], v[142:143]
	v_add_f64_e32 v[12:13], v[12:13], v[138:139]
	v_fmac_f64_e32 v[140:141], v[10:11], v[128:129]
	v_fma_f64 v[138:139], v[8:9], v[128:129], -v[130:131]
	scratch_load_b128 v[128:131], off, off offset:384
	ds_load_b128 v[8:11], v2 offset:800
	v_add_f64_e32 v[4:5], v[4:5], v[144:145]
	v_add_f64_e32 v[12:13], v[12:13], v[136:137]
	s_wait_loadcnt_dscnt 0xa01
	v_mul_f64_e32 v[142:143], v[92:93], v[122:123]
	v_mul_f64_e32 v[122:123], v[94:95], v[122:123]
	s_delay_alu instid0(VALU_DEP_4) | instskip(NEXT) | instid1(VALU_DEP_4)
	v_add_f64_e32 v[4:5], v[4:5], v[140:141]
	v_add_f64_e32 v[12:13], v[12:13], v[138:139]
	s_delay_alu instid0(VALU_DEP_4) | instskip(NEXT) | instid1(VALU_DEP_4)
	v_fmac_f64_e32 v[142:143], v[94:95], v[120:121]
	v_fma_f64 v[136:137], v[92:93], v[120:121], -v[122:123]
	ds_load_b128 v[92:95], v2 offset:816
	s_wait_loadcnt_dscnt 0x901
	v_mul_f64_e32 v[144:145], v[8:9], v[86:87]
	v_mul_f64_e32 v[86:87], v[10:11], v[86:87]
	scratch_load_b128 v[120:123], off, off offset:400
	s_wait_loadcnt_dscnt 0x900
	v_mul_f64_e32 v[140:141], v[92:93], v[90:91]
	v_mul_f64_e32 v[90:91], v[94:95], v[90:91]
	v_add_f64_e32 v[4:5], v[4:5], v[142:143]
	v_add_f64_e32 v[12:13], v[12:13], v[136:137]
	v_fmac_f64_e32 v[144:145], v[10:11], v[84:85]
	v_fma_f64 v[138:139], v[8:9], v[84:85], -v[86:87]
	scratch_load_b128 v[84:87], off, off offset:416
	ds_load_b128 v[8:11], v2 offset:832
	v_fmac_f64_e32 v[140:141], v[94:95], v[88:89]
	v_fma_f64 v[136:137], v[92:93], v[88:89], -v[90:91]
	ds_load_b128 v[88:91], v2 offset:848
	scratch_load_b128 v[92:95], off, off offset:432
	s_wait_loadcnt_dscnt 0x901
	v_mul_f64_e32 v[142:143], v[8:9], v[126:127]
	v_mul_f64_e32 v[126:127], v[10:11], v[126:127]
	v_add_f64_e32 v[4:5], v[4:5], v[144:145]
	v_add_f64_e32 v[12:13], v[12:13], v[138:139]
	s_wait_dscnt 0x0
	v_mul_f64_e32 v[144:145], v[88:89], v[98:99]
	v_mul_f64_e32 v[98:99], v[90:91], v[98:99]
	v_fmac_f64_e32 v[142:143], v[10:11], v[124:125]
	v_fma_f64 v[138:139], v[8:9], v[124:125], -v[126:127]
	scratch_load_b128 v[124:127], off, off offset:448
	v_add_f64_e32 v[4:5], v[4:5], v[140:141]
	v_add_f64_e32 v[12:13], v[12:13], v[136:137]
	ds_load_b128 v[8:11], v2 offset:864
	v_fmac_f64_e32 v[144:145], v[90:91], v[96:97]
	v_fma_f64 v[136:137], v[88:89], v[96:97], -v[98:99]
	ds_load_b128 v[88:91], v2 offset:880
	scratch_load_b128 v[96:99], off, off offset:464
	s_wait_loadcnt_dscnt 0xa01
	v_mul_f64_e32 v[140:141], v[8:9], v[102:103]
	v_mul_f64_e32 v[102:103], v[10:11], v[102:103]
	v_add_f64_e32 v[4:5], v[4:5], v[142:143]
	v_add_f64_e32 v[12:13], v[12:13], v[138:139]
	s_wait_loadcnt_dscnt 0x900
	v_mul_f64_e32 v[142:143], v[88:89], v[106:107]
	v_mul_f64_e32 v[106:107], v[90:91], v[106:107]
	v_fmac_f64_e32 v[140:141], v[10:11], v[100:101]
	v_fma_f64 v[138:139], v[8:9], v[100:101], -v[102:103]
	scratch_load_b128 v[8:11], off, off offset:480
	ds_load_b128 v[100:103], v2 offset:896
	v_add_f64_e32 v[4:5], v[4:5], v[144:145]
	v_add_f64_e32 v[12:13], v[12:13], v[136:137]
	v_fmac_f64_e32 v[142:143], v[90:91], v[104:105]
	v_fma_f64 v[136:137], v[88:89], v[104:105], -v[106:107]
	ds_load_b128 v[88:91], v2 offset:912
	scratch_load_b128 v[104:107], off, off offset:496
	s_wait_loadcnt_dscnt 0xa01
	v_mul_f64_e32 v[144:145], v[100:101], v[110:111]
	v_mul_f64_e32 v[110:111], v[102:103], v[110:111]
	v_add_f64_e32 v[4:5], v[4:5], v[140:141]
	v_add_f64_e32 v[12:13], v[12:13], v[138:139]
	s_wait_loadcnt_dscnt 0x900
	v_mul_f64_e32 v[140:141], v[88:89], v[114:115]
	v_mul_f64_e32 v[114:115], v[90:91], v[114:115]
	v_fmac_f64_e32 v[144:145], v[102:103], v[108:109]
	v_fma_f64 v[138:139], v[100:101], v[108:109], -v[110:111]
	scratch_load_b128 v[100:103], off, off offset:512
	ds_load_b128 v[108:111], v2 offset:928
	v_add_f64_e32 v[4:5], v[4:5], v[142:143]
	v_add_f64_e32 v[12:13], v[12:13], v[136:137]
	v_fmac_f64_e32 v[140:141], v[90:91], v[112:113]
	v_fma_f64 v[136:137], v[88:89], v[112:113], -v[114:115]
	ds_load_b128 v[88:91], v2 offset:944
	s_wait_loadcnt_dscnt 0x901
	v_mul_f64_e32 v[142:143], v[108:109], v[118:119]
	v_mul_f64_e32 v[118:119], v[110:111], v[118:119]
	scratch_load_b128 v[112:115], off, off offset:528
	v_add_f64_e32 v[4:5], v[4:5], v[144:145]
	v_add_f64_e32 v[12:13], v[12:13], v[138:139]
	s_wait_loadcnt_dscnt 0x900
	v_mul_f64_e32 v[144:145], v[88:89], v[130:131]
	v_mul_f64_e32 v[130:131], v[90:91], v[130:131]
	v_fmac_f64_e32 v[142:143], v[110:111], v[116:117]
	v_fma_f64 v[138:139], v[108:109], v[116:117], -v[118:119]
	scratch_load_b128 v[108:111], off, off offset:544
	ds_load_b128 v[116:119], v2 offset:960
	v_add_f64_e32 v[4:5], v[4:5], v[140:141]
	v_add_f64_e32 v[12:13], v[12:13], v[136:137]
	v_fmac_f64_e32 v[144:145], v[90:91], v[128:129]
	v_fma_f64 v[128:129], v[88:89], v[128:129], -v[130:131]
	ds_load_b128 v[88:91], v2 offset:976
	v_add_f64_e32 v[4:5], v[4:5], v[142:143]
	v_add_f64_e32 v[12:13], v[12:13], v[138:139]
	s_wait_loadcnt_dscnt 0x901
	v_mul_f64_e32 v[130:131], v[116:117], v[122:123]
	v_mul_f64_e32 v[122:123], v[118:119], v[122:123]
	s_delay_alu instid0(VALU_DEP_4) | instskip(NEXT) | instid1(VALU_DEP_4)
	v_add_f64_e32 v[4:5], v[4:5], v[144:145]
	v_add_f64_e32 v[12:13], v[12:13], v[128:129]
	s_wait_loadcnt_dscnt 0x800
	v_mul_f64_e32 v[136:137], v[88:89], v[86:87]
	v_mul_f64_e32 v[86:87], v[90:91], v[86:87]
	v_fmac_f64_e32 v[130:131], v[118:119], v[120:121]
	v_fma_f64 v[138:139], v[116:117], v[120:121], -v[122:123]
	ds_load_b128 v[116:119], v2 offset:992
	ds_load_b128 v[120:123], v2 offset:1008
	s_wait_loadcnt_dscnt 0x701
	v_mul_f64_e32 v[128:129], v[116:117], v[94:95]
	v_mul_f64_e32 v[94:95], v[118:119], v[94:95]
	v_fmac_f64_e32 v[136:137], v[90:91], v[84:85]
	v_fma_f64 v[84:85], v[88:89], v[84:85], -v[86:87]
	v_add_f64_e32 v[4:5], v[4:5], v[130:131]
	v_add_f64_e32 v[12:13], v[12:13], v[138:139]
	v_fmac_f64_e32 v[128:129], v[118:119], v[92:93]
	v_fma_f64 v[92:93], v[116:117], v[92:93], -v[94:95]
	s_wait_loadcnt_dscnt 0x600
	v_mul_f64_e32 v[130:131], v[120:121], v[126:127]
	v_mul_f64_e32 v[126:127], v[122:123], v[126:127]
	v_add_f64_e32 v[4:5], v[4:5], v[136:137]
	v_add_f64_e32 v[12:13], v[12:13], v[84:85]
	ds_load_b128 v[84:87], v2 offset:1024
	ds_load_b128 v[88:91], v2 offset:1040
	s_wait_loadcnt_dscnt 0x501
	v_mul_f64_e32 v[94:95], v[84:85], v[98:99]
	v_mul_f64_e32 v[98:99], v[86:87], v[98:99]
	v_fmac_f64_e32 v[130:131], v[122:123], v[124:125]
	v_fma_f64 v[116:117], v[120:121], v[124:125], -v[126:127]
	v_add_f64_e32 v[4:5], v[4:5], v[128:129]
	v_add_f64_e32 v[12:13], v[12:13], v[92:93]
	s_wait_loadcnt_dscnt 0x400
	v_mul_f64_e32 v[92:93], v[88:89], v[10:11]
	v_mul_f64_e32 v[118:119], v[90:91], v[10:11]
	v_fmac_f64_e32 v[94:95], v[86:87], v[96:97]
	v_fma_f64 v[96:97], v[84:85], v[96:97], -v[98:99]
	v_add_f64_e32 v[4:5], v[4:5], v[130:131]
	v_add_f64_e32 v[98:99], v[12:13], v[116:117]
	ds_load_b128 v[10:13], v2 offset:1056
	ds_load_b128 v[84:87], v2 offset:1072
	v_fmac_f64_e32 v[92:93], v[90:91], v[8:9]
	s_wait_loadcnt_dscnt 0x301
	v_mul_f64_e32 v[116:117], v[10:11], v[106:107]
	v_mul_f64_e32 v[106:107], v[12:13], v[106:107]
	v_fma_f64 v[8:9], v[88:89], v[8:9], -v[118:119]
	v_add_f64_e32 v[4:5], v[4:5], v[94:95]
	v_add_f64_e32 v[88:89], v[98:99], v[96:97]
	s_wait_loadcnt_dscnt 0x200
	v_mul_f64_e32 v[90:91], v[84:85], v[102:103]
	v_mul_f64_e32 v[94:95], v[86:87], v[102:103]
	v_fmac_f64_e32 v[116:117], v[12:13], v[104:105]
	v_fma_f64 v[12:13], v[10:11], v[104:105], -v[106:107]
	v_add_f64_e32 v[92:93], v[4:5], v[92:93]
	v_add_f64_e32 v[88:89], v[88:89], v[8:9]
	ds_load_b128 v[8:11], v2 offset:1088
	ds_load_b128 v[2:5], v2 offset:1104
	v_fmac_f64_e32 v[90:91], v[86:87], v[100:101]
	v_fma_f64 v[84:85], v[84:85], v[100:101], -v[94:95]
	s_wait_loadcnt_dscnt 0x101
	v_mul_f64_e32 v[96:97], v[8:9], v[114:115]
	v_mul_f64_e32 v[98:99], v[10:11], v[114:115]
	v_add_f64_e32 v[86:87], v[92:93], v[116:117]
	v_add_f64_e32 v[12:13], v[88:89], v[12:13]
	s_wait_loadcnt_dscnt 0x0
	v_mul_f64_e32 v[88:89], v[2:3], v[110:111]
	v_mul_f64_e32 v[92:93], v[4:5], v[110:111]
	v_fmac_f64_e32 v[96:97], v[10:11], v[112:113]
	v_fma_f64 v[8:9], v[8:9], v[112:113], -v[98:99]
	v_add_f64_e32 v[10:11], v[12:13], v[84:85]
	v_add_f64_e32 v[12:13], v[86:87], v[90:91]
	v_fmac_f64_e32 v[88:89], v[4:5], v[108:109]
	v_fma_f64 v[2:3], v[2:3], v[108:109], -v[92:93]
	s_delay_alu instid0(VALU_DEP_4) | instskip(NEXT) | instid1(VALU_DEP_4)
	v_add_f64_e32 v[4:5], v[10:11], v[8:9]
	v_add_f64_e32 v[8:9], v[12:13], v[96:97]
	s_delay_alu instid0(VALU_DEP_2) | instskip(NEXT) | instid1(VALU_DEP_2)
	v_add_f64_e32 v[2:3], v[4:5], v[2:3]
	v_add_f64_e32 v[4:5], v[8:9], v[88:89]
	s_delay_alu instid0(VALU_DEP_2) | instskip(NEXT) | instid1(VALU_DEP_2)
	v_add_f64_e64 v[2:3], v[132:133], -v[2:3]
	v_add_f64_e64 v[4:5], v[134:135], -v[4:5]
	scratch_store_b128 off, v[2:5], off offset:32
	s_wait_xcnt 0x0
	v_cmpx_lt_u32_e32 1, v1
	s_cbranch_execz .LBB98_221
; %bb.220:
	scratch_load_b128 v[2:5], off, s18
	v_mov_b32_e32 v8, 0
	s_delay_alu instid0(VALU_DEP_1)
	v_dual_mov_b32 v9, v8 :: v_dual_mov_b32 v10, v8
	v_mov_b32_e32 v11, v8
	scratch_store_b128 off, v[8:11], off offset:16
	s_wait_loadcnt 0x0
	ds_store_b128 v6, v[2:5]
.LBB98_221:
	s_wait_xcnt 0x0
	s_or_b32 exec_lo, exec_lo, s2
	s_wait_storecnt_dscnt 0x0
	s_barrier_signal -1
	s_barrier_wait -1
	s_clause 0x9
	scratch_load_b128 v[8:11], off, off offset:32
	scratch_load_b128 v[84:87], off, off offset:48
	;; [unrolled: 1-line block ×10, first 2 shown]
	v_mov_b32_e32 v2, 0
	s_clause 0x2
	scratch_load_b128 v[124:127], off, off offset:192
	scratch_load_b128 v[128:131], off, off offset:208
	;; [unrolled: 1-line block ×3, first 2 shown]
	s_mov_b32 s2, exec_lo
	ds_load_b128 v[120:123], v2 offset:592
	s_wait_loadcnt_dscnt 0xc00
	v_mul_f64_e32 v[4:5], v[122:123], v[10:11]
	v_mul_f64_e32 v[136:137], v[120:121], v[10:11]
	ds_load_b128 v[10:13], v2 offset:608
	v_fma_f64 v[4:5], v[120:121], v[8:9], -v[4:5]
	v_fmac_f64_e32 v[136:137], v[122:123], v[8:9]
	ds_load_b128 v[120:123], v2 offset:624
	s_wait_loadcnt_dscnt 0xb01
	v_mul_f64_e32 v[138:139], v[10:11], v[86:87]
	v_mul_f64_e32 v[86:87], v[12:13], v[86:87]
	s_wait_loadcnt_dscnt 0xa00
	v_mul_f64_e32 v[140:141], v[120:121], v[90:91]
	v_mul_f64_e32 v[90:91], v[122:123], v[90:91]
	v_add_f64_e32 v[4:5], 0, v[4:5]
	v_add_f64_e32 v[136:137], 0, v[136:137]
	v_fmac_f64_e32 v[138:139], v[12:13], v[84:85]
	v_fma_f64 v[12:13], v[10:11], v[84:85], -v[86:87]
	ds_load_b128 v[8:11], v2 offset:640
	scratch_load_b128 v[84:87], off, off offset:240
	v_fmac_f64_e32 v[140:141], v[122:123], v[88:89]
	v_fma_f64 v[144:145], v[120:121], v[88:89], -v[90:91]
	ds_load_b128 v[88:91], v2 offset:656
	s_wait_loadcnt_dscnt 0xa01
	v_mul_f64_e32 v[142:143], v[8:9], v[94:95]
	v_mul_f64_e32 v[94:95], v[10:11], v[94:95]
	scratch_load_b128 v[120:123], off, off offset:256
	v_add_f64_e32 v[4:5], v[4:5], v[12:13]
	v_add_f64_e32 v[12:13], v[136:137], v[138:139]
	s_wait_loadcnt_dscnt 0xa00
	v_mul_f64_e32 v[136:137], v[88:89], v[98:99]
	v_mul_f64_e32 v[98:99], v[90:91], v[98:99]
	v_fmac_f64_e32 v[142:143], v[10:11], v[92:93]
	v_fma_f64 v[138:139], v[8:9], v[92:93], -v[94:95]
	ds_load_b128 v[8:11], v2 offset:672
	scratch_load_b128 v[92:95], off, off offset:272
	v_add_f64_e32 v[4:5], v[4:5], v[144:145]
	v_add_f64_e32 v[12:13], v[12:13], v[140:141]
	v_fmac_f64_e32 v[136:137], v[90:91], v[96:97]
	v_fma_f64 v[144:145], v[88:89], v[96:97], -v[98:99]
	ds_load_b128 v[88:91], v2 offset:688
	s_wait_loadcnt_dscnt 0xa01
	v_mul_f64_e32 v[140:141], v[8:9], v[102:103]
	v_mul_f64_e32 v[102:103], v[10:11], v[102:103]
	scratch_load_b128 v[96:99], off, off offset:288
	v_add_f64_e32 v[4:5], v[4:5], v[138:139]
	v_add_f64_e32 v[12:13], v[12:13], v[142:143]
	s_wait_loadcnt_dscnt 0xa00
	v_mul_f64_e32 v[138:139], v[88:89], v[106:107]
	v_mul_f64_e32 v[106:107], v[90:91], v[106:107]
	v_fmac_f64_e32 v[140:141], v[10:11], v[100:101]
	v_fma_f64 v[142:143], v[8:9], v[100:101], -v[102:103]
	ds_load_b128 v[8:11], v2 offset:704
	scratch_load_b128 v[100:103], off, off offset:304
	v_add_f64_e32 v[4:5], v[4:5], v[144:145]
	v_add_f64_e32 v[12:13], v[12:13], v[136:137]
	;; [unrolled: 18-line block ×4, first 2 shown]
	v_fmac_f64_e32 v[136:137], v[90:91], v[124:125]
	v_fma_f64 v[144:145], v[88:89], v[124:125], -v[126:127]
	ds_load_b128 v[88:91], v2 offset:784
	s_wait_loadcnt_dscnt 0xa01
	v_mul_f64_e32 v[140:141], v[8:9], v[130:131]
	v_mul_f64_e32 v[130:131], v[10:11], v[130:131]
	scratch_load_b128 v[124:127], off, off offset:384
	v_add_f64_e32 v[4:5], v[4:5], v[142:143]
	v_add_f64_e32 v[12:13], v[12:13], v[138:139]
	s_wait_loadcnt_dscnt 0xa00
	v_mul_f64_e32 v[138:139], v[88:89], v[134:135]
	v_mul_f64_e32 v[134:135], v[90:91], v[134:135]
	v_fmac_f64_e32 v[140:141], v[10:11], v[128:129]
	v_fma_f64 v[142:143], v[8:9], v[128:129], -v[130:131]
	scratch_load_b128 v[128:131], off, off offset:400
	ds_load_b128 v[8:11], v2 offset:800
	v_add_f64_e32 v[4:5], v[4:5], v[144:145]
	v_add_f64_e32 v[12:13], v[12:13], v[136:137]
	s_wait_loadcnt_dscnt 0xa00
	v_mul_f64_e32 v[144:145], v[8:9], v[86:87]
	v_mul_f64_e32 v[136:137], v[10:11], v[86:87]
	v_fmac_f64_e32 v[138:139], v[90:91], v[132:133]
	v_fma_f64 v[90:91], v[88:89], v[132:133], -v[134:135]
	ds_load_b128 v[86:89], v2 offset:816
	scratch_load_b128 v[132:135], off, off offset:416
	v_add_f64_e32 v[4:5], v[4:5], v[142:143]
	v_add_f64_e32 v[12:13], v[12:13], v[140:141]
	v_fmac_f64_e32 v[144:145], v[10:11], v[84:85]
	v_fma_f64 v[84:85], v[8:9], v[84:85], -v[136:137]
	ds_load_b128 v[8:11], v2 offset:832
	s_wait_loadcnt_dscnt 0xa01
	v_mul_f64_e32 v[140:141], v[86:87], v[122:123]
	v_mul_f64_e32 v[122:123], v[88:89], v[122:123]
	s_wait_loadcnt_dscnt 0x900
	v_mul_f64_e32 v[142:143], v[8:9], v[94:95]
	v_mul_f64_e32 v[94:95], v[10:11], v[94:95]
	v_add_f64_e32 v[4:5], v[4:5], v[90:91]
	v_add_f64_e32 v[12:13], v[12:13], v[138:139]
	scratch_load_b128 v[136:139], off, off offset:432
	v_fmac_f64_e32 v[140:141], v[88:89], v[120:121]
	v_fma_f64 v[120:121], v[86:87], v[120:121], -v[122:123]
	scratch_load_b128 v[88:91], off, off offset:448
	v_fmac_f64_e32 v[142:143], v[10:11], v[92:93]
	v_add_f64_e32 v[4:5], v[4:5], v[84:85]
	v_add_f64_e32 v[12:13], v[12:13], v[144:145]
	ds_load_b128 v[84:87], v2 offset:848
	v_fma_f64 v[144:145], v[8:9], v[92:93], -v[94:95]
	ds_load_b128 v[8:11], v2 offset:864
	scratch_load_b128 v[92:95], off, off offset:464
	s_wait_loadcnt_dscnt 0xb01
	v_mul_f64_e32 v[122:123], v[84:85], v[98:99]
	v_mul_f64_e32 v[98:99], v[86:87], v[98:99]
	v_add_f64_e32 v[4:5], v[4:5], v[120:121]
	v_add_f64_e32 v[12:13], v[12:13], v[140:141]
	s_wait_loadcnt_dscnt 0xa00
	v_mul_f64_e32 v[120:121], v[8:9], v[102:103]
	v_mul_f64_e32 v[102:103], v[10:11], v[102:103]
	v_fmac_f64_e32 v[122:123], v[86:87], v[96:97]
	v_fma_f64 v[140:141], v[84:85], v[96:97], -v[98:99]
	ds_load_b128 v[84:87], v2 offset:880
	scratch_load_b128 v[96:99], off, off offset:480
	v_add_f64_e32 v[4:5], v[4:5], v[144:145]
	v_add_f64_e32 v[12:13], v[12:13], v[142:143]
	v_fmac_f64_e32 v[120:121], v[10:11], v[100:101]
	v_fma_f64 v[144:145], v[8:9], v[100:101], -v[102:103]
	ds_load_b128 v[8:11], v2 offset:896
	scratch_load_b128 v[100:103], off, off offset:496
	s_wait_loadcnt_dscnt 0xb01
	v_mul_f64_e32 v[142:143], v[84:85], v[106:107]
	v_mul_f64_e32 v[106:107], v[86:87], v[106:107]
	v_add_f64_e32 v[4:5], v[4:5], v[140:141]
	v_add_f64_e32 v[12:13], v[12:13], v[122:123]
	s_wait_loadcnt_dscnt 0xa00
	v_mul_f64_e32 v[122:123], v[8:9], v[110:111]
	v_mul_f64_e32 v[110:111], v[10:11], v[110:111]
	v_fmac_f64_e32 v[142:143], v[86:87], v[104:105]
	v_fma_f64 v[140:141], v[84:85], v[104:105], -v[106:107]
	ds_load_b128 v[84:87], v2 offset:912
	scratch_load_b128 v[104:107], off, off offset:512
	v_add_f64_e32 v[4:5], v[4:5], v[144:145]
	v_add_f64_e32 v[12:13], v[12:13], v[120:121]
	v_fmac_f64_e32 v[122:123], v[10:11], v[108:109]
	v_fma_f64 v[144:145], v[8:9], v[108:109], -v[110:111]
	ds_load_b128 v[8:11], v2 offset:928
	s_wait_loadcnt_dscnt 0xa01
	v_mul_f64_e32 v[120:121], v[84:85], v[114:115]
	v_mul_f64_e32 v[114:115], v[86:87], v[114:115]
	scratch_load_b128 v[108:111], off, off offset:528
	v_add_f64_e32 v[4:5], v[4:5], v[140:141]
	v_add_f64_e32 v[12:13], v[12:13], v[142:143]
	s_wait_loadcnt_dscnt 0xa00
	v_mul_f64_e32 v[140:141], v[8:9], v[118:119]
	v_mul_f64_e32 v[118:119], v[10:11], v[118:119]
	v_fmac_f64_e32 v[120:121], v[86:87], v[112:113]
	v_fma_f64 v[142:143], v[84:85], v[112:113], -v[114:115]
	ds_load_b128 v[84:87], v2 offset:944
	scratch_load_b128 v[112:115], off, off offset:544
	v_add_f64_e32 v[4:5], v[4:5], v[144:145]
	v_add_f64_e32 v[12:13], v[12:13], v[122:123]
	v_fmac_f64_e32 v[140:141], v[10:11], v[116:117]
	v_fma_f64 v[116:117], v[8:9], v[116:117], -v[118:119]
	ds_load_b128 v[8:11], v2 offset:960
	s_wait_loadcnt_dscnt 0x900
	v_mul_f64_e32 v[118:119], v[10:11], v[130:131]
	v_add_f64_e32 v[4:5], v[4:5], v[142:143]
	v_add_f64_e32 v[12:13], v[12:13], v[120:121]
	v_mul_f64_e32 v[120:121], v[8:9], v[130:131]
	s_delay_alu instid0(VALU_DEP_3) | instskip(NEXT) | instid1(VALU_DEP_3)
	v_add_f64_e32 v[4:5], v[4:5], v[116:117]
	v_add_f64_e32 v[12:13], v[12:13], v[140:141]
	s_delay_alu instid0(VALU_DEP_3)
	v_fmac_f64_e32 v[120:121], v[10:11], v[128:129]
	v_fma_f64 v[128:129], v[8:9], v[128:129], -v[118:119]
	scratch_load_b128 v[116:119], off, off offset:16
	v_mul_f64_e32 v[122:123], v[84:85], v[126:127]
	v_mul_f64_e32 v[126:127], v[86:87], v[126:127]
	ds_load_b128 v[8:11], v2 offset:992
	v_fmac_f64_e32 v[122:123], v[86:87], v[124:125]
	v_fma_f64 v[124:125], v[84:85], v[124:125], -v[126:127]
	ds_load_b128 v[84:87], v2 offset:976
	s_wait_loadcnt_dscnt 0x900
	v_mul_f64_e32 v[126:127], v[84:85], v[134:135]
	v_mul_f64_e32 v[130:131], v[86:87], v[134:135]
	v_add_f64_e32 v[12:13], v[12:13], v[122:123]
	v_add_f64_e32 v[4:5], v[4:5], v[124:125]
	s_wait_loadcnt 0x8
	v_mul_f64_e32 v[122:123], v[8:9], v[138:139]
	v_mul_f64_e32 v[124:125], v[10:11], v[138:139]
	v_fmac_f64_e32 v[126:127], v[86:87], v[132:133]
	v_fma_f64 v[130:131], v[84:85], v[132:133], -v[130:131]
	ds_load_b128 v[84:87], v2 offset:1008
	v_add_f64_e32 v[12:13], v[12:13], v[120:121]
	v_add_f64_e32 v[4:5], v[4:5], v[128:129]
	v_fmac_f64_e32 v[122:123], v[10:11], v[136:137]
	v_fma_f64 v[124:125], v[8:9], v[136:137], -v[124:125]
	ds_load_b128 v[8:11], v2 offset:1024
	s_wait_loadcnt_dscnt 0x701
	v_mul_f64_e32 v[120:121], v[84:85], v[90:91]
	v_mul_f64_e32 v[90:91], v[86:87], v[90:91]
	v_add_f64_e32 v[12:13], v[12:13], v[126:127]
	v_add_f64_e32 v[4:5], v[4:5], v[130:131]
	s_wait_loadcnt_dscnt 0x600
	v_mul_f64_e32 v[126:127], v[8:9], v[94:95]
	v_mul_f64_e32 v[94:95], v[10:11], v[94:95]
	v_fmac_f64_e32 v[120:121], v[86:87], v[88:89]
	v_fma_f64 v[88:89], v[84:85], v[88:89], -v[90:91]
	ds_load_b128 v[84:87], v2 offset:1040
	v_add_f64_e32 v[12:13], v[12:13], v[122:123]
	v_add_f64_e32 v[4:5], v[4:5], v[124:125]
	v_fmac_f64_e32 v[126:127], v[10:11], v[92:93]
	v_fma_f64 v[92:93], v[8:9], v[92:93], -v[94:95]
	ds_load_b128 v[8:11], v2 offset:1056
	s_wait_loadcnt_dscnt 0x501
	v_mul_f64_e32 v[90:91], v[84:85], v[98:99]
	v_mul_f64_e32 v[98:99], v[86:87], v[98:99]
	s_wait_loadcnt_dscnt 0x400
	v_mul_f64_e32 v[94:95], v[10:11], v[102:103]
	v_add_f64_e32 v[12:13], v[12:13], v[120:121]
	v_add_f64_e32 v[4:5], v[4:5], v[88:89]
	v_mul_f64_e32 v[88:89], v[8:9], v[102:103]
	v_fmac_f64_e32 v[90:91], v[86:87], v[96:97]
	v_fma_f64 v[96:97], v[84:85], v[96:97], -v[98:99]
	ds_load_b128 v[84:87], v2 offset:1072
	v_fma_f64 v[94:95], v[8:9], v[100:101], -v[94:95]
	v_add_f64_e32 v[12:13], v[12:13], v[126:127]
	v_add_f64_e32 v[4:5], v[4:5], v[92:93]
	v_fmac_f64_e32 v[88:89], v[10:11], v[100:101]
	ds_load_b128 v[8:11], v2 offset:1088
	s_wait_loadcnt_dscnt 0x301
	v_mul_f64_e32 v[92:93], v[84:85], v[106:107]
	v_mul_f64_e32 v[98:99], v[86:87], v[106:107]
	v_add_f64_e32 v[12:13], v[12:13], v[90:91]
	v_add_f64_e32 v[4:5], v[4:5], v[96:97]
	s_wait_loadcnt_dscnt 0x200
	v_mul_f64_e32 v[90:91], v[8:9], v[110:111]
	v_mul_f64_e32 v[96:97], v[10:11], v[110:111]
	v_fmac_f64_e32 v[92:93], v[86:87], v[104:105]
	v_fma_f64 v[98:99], v[84:85], v[104:105], -v[98:99]
	ds_load_b128 v[84:87], v2 offset:1104
	v_add_f64_e32 v[12:13], v[12:13], v[88:89]
	v_add_f64_e32 v[4:5], v[4:5], v[94:95]
	s_wait_loadcnt_dscnt 0x100
	v_mul_f64_e32 v[88:89], v[84:85], v[114:115]
	v_mul_f64_e32 v[94:95], v[86:87], v[114:115]
	v_fmac_f64_e32 v[90:91], v[10:11], v[108:109]
	v_fma_f64 v[8:9], v[8:9], v[108:109], -v[96:97]
	v_add_f64_e32 v[10:11], v[12:13], v[92:93]
	v_add_f64_e32 v[4:5], v[4:5], v[98:99]
	v_fmac_f64_e32 v[88:89], v[86:87], v[112:113]
	v_fma_f64 v[12:13], v[84:85], v[112:113], -v[94:95]
	s_delay_alu instid0(VALU_DEP_3) | instskip(SKIP_1) | instid1(VALU_DEP_2)
	v_add_f64_e32 v[4:5], v[4:5], v[8:9]
	v_add_f64_e32 v[8:9], v[10:11], v[90:91]
	;; [unrolled: 1-line block ×3, first 2 shown]
	s_delay_alu instid0(VALU_DEP_2) | instskip(SKIP_1) | instid1(VALU_DEP_2)
	v_add_f64_e32 v[10:11], v[8:9], v[88:89]
	s_wait_loadcnt 0x0
	v_add_f64_e64 v[8:9], v[116:117], -v[4:5]
	s_delay_alu instid0(VALU_DEP_2)
	v_add_f64_e64 v[10:11], v[118:119], -v[10:11]
	scratch_store_b128 off, v[8:11], off offset:16
	s_wait_xcnt 0x0
	v_cmpx_ne_u32_e32 0, v1
	s_cbranch_execz .LBB98_223
; %bb.222:
	scratch_load_b128 v[8:11], off, off
	v_dual_mov_b32 v3, v2 :: v_dual_mov_b32 v4, v2
	v_mov_b32_e32 v5, v2
	scratch_store_b128 off, v[2:5], off
	s_wait_loadcnt 0x0
	ds_store_b128 v6, v[8:11]
.LBB98_223:
	s_wait_xcnt 0x0
	s_or_b32 exec_lo, exec_lo, s2
	s_wait_storecnt_dscnt 0x0
	s_barrier_signal -1
	s_barrier_wait -1
	s_clause 0x9
	scratch_load_b128 v[4:7], off, off offset:16
	scratch_load_b128 v[8:11], off, off offset:32
	;; [unrolled: 1-line block ×10, first 2 shown]
	ds_load_b128 v[116:119], v2 offset:576
	ds_load_b128 v[120:123], v2 offset:592
	s_clause 0x1
	scratch_load_b128 v[124:127], off, off offset:176
	scratch_load_b128 v[128:131], off, off
	v_lshl_add_u64 v[44:45], v[44:45], 4, s[4:5]
	s_and_b32 vcc_lo, exec_lo, s47
	s_wait_loadcnt_dscnt 0xb01
	v_mul_f64_e32 v[132:133], v[118:119], v[6:7]
	v_mul_f64_e32 v[134:135], v[116:117], v[6:7]
	s_wait_loadcnt_dscnt 0xa00
	v_mul_f64_e32 v[136:137], v[120:121], v[10:11]
	v_mul_f64_e32 v[138:139], v[122:123], v[10:11]
	ds_load_b128 v[10:13], v2 offset:608
	v_fma_f64 v[132:133], v[116:117], v[4:5], -v[132:133]
	v_fmac_f64_e32 v[134:135], v[118:119], v[4:5]
	scratch_load_b128 v[4:7], off, off offset:192
	ds_load_b128 v[116:119], v2 offset:624
	s_wait_loadcnt_dscnt 0xa01
	v_mul_f64_e32 v[140:141], v[10:11], v[86:87]
	v_fmac_f64_e32 v[136:137], v[122:123], v[8:9]
	v_fma_f64 v[138:139], v[120:121], v[8:9], -v[138:139]
	v_mul_f64_e32 v[8:9], v[12:13], v[86:87]
	scratch_load_b128 v[120:123], off, off offset:208
	v_add_f64_e32 v[86:87], 0, v[132:133]
	v_add_f64_e32 v[134:135], 0, v[134:135]
	s_wait_loadcnt_dscnt 0xa00
	v_mul_f64_e32 v[132:133], v[116:117], v[90:91]
	v_mul_f64_e32 v[90:91], v[118:119], v[90:91]
	v_fmac_f64_e32 v[140:141], v[12:13], v[84:85]
	v_fma_f64 v[12:13], v[10:11], v[84:85], -v[8:9]
	ds_load_b128 v[8:11], v2 offset:640
	v_add_f64_e32 v[138:139], v[86:87], v[138:139]
	scratch_load_b128 v[84:87], off, off offset:224
	v_add_f64_e32 v[134:135], v[134:135], v[136:137]
	v_fmac_f64_e32 v[132:133], v[118:119], v[88:89]
	v_fma_f64 v[142:143], v[116:117], v[88:89], -v[90:91]
	ds_load_b128 v[88:91], v2 offset:656
	s_wait_loadcnt_dscnt 0xa01
	v_mul_f64_e32 v[144:145], v[8:9], v[94:95]
	v_mul_f64_e32 v[94:95], v[10:11], v[94:95]
	scratch_load_b128 v[116:119], off, off offset:240
	v_add_f64_e32 v[12:13], v[138:139], v[12:13]
	s_wait_loadcnt_dscnt 0xa00
	v_mul_f64_e32 v[138:139], v[88:89], v[98:99]
	v_add_f64_e32 v[134:135], v[134:135], v[140:141]
	v_mul_f64_e32 v[98:99], v[90:91], v[98:99]
	v_fmac_f64_e32 v[144:145], v[10:11], v[92:93]
	v_fma_f64 v[136:137], v[8:9], v[92:93], -v[94:95]
	scratch_load_b128 v[92:95], off, off offset:256
	ds_load_b128 v[8:11], v2 offset:672
	v_add_f64_e32 v[12:13], v[12:13], v[142:143]
	v_fmac_f64_e32 v[138:139], v[90:91], v[96:97]
	v_add_f64_e32 v[132:133], v[134:135], v[132:133]
	v_fma_f64 v[140:141], v[88:89], v[96:97], -v[98:99]
	ds_load_b128 v[88:91], v2 offset:688
	s_wait_loadcnt_dscnt 0xa01
	v_mul_f64_e32 v[142:143], v[8:9], v[102:103]
	v_mul_f64_e32 v[102:103], v[10:11], v[102:103]
	scratch_load_b128 v[96:99], off, off offset:272
	v_add_f64_e32 v[12:13], v[12:13], v[136:137]
	s_wait_loadcnt_dscnt 0xa00
	v_mul_f64_e32 v[136:137], v[88:89], v[106:107]
	v_add_f64_e32 v[132:133], v[132:133], v[144:145]
	v_mul_f64_e32 v[106:107], v[90:91], v[106:107]
	v_fmac_f64_e32 v[142:143], v[10:11], v[100:101]
	v_fma_f64 v[134:135], v[8:9], v[100:101], -v[102:103]
	scratch_load_b128 v[100:103], off, off offset:288
	ds_load_b128 v[8:11], v2 offset:704
	v_add_f64_e32 v[12:13], v[12:13], v[140:141]
	v_fmac_f64_e32 v[136:137], v[90:91], v[104:105]
	v_add_f64_e32 v[132:133], v[132:133], v[138:139]
	v_fma_f64 v[140:141], v[88:89], v[104:105], -v[106:107]
	ds_load_b128 v[88:91], v2 offset:720
	s_wait_loadcnt_dscnt 0xa01
	v_mul_f64_e32 v[144:145], v[8:9], v[110:111]
	v_mul_f64_e32 v[110:111], v[10:11], v[110:111]
	scratch_load_b128 v[104:107], off, off offset:304
	s_wait_loadcnt_dscnt 0xa00
	v_mul_f64_e32 v[138:139], v[88:89], v[114:115]
	v_mul_f64_e32 v[114:115], v[90:91], v[114:115]
	v_add_f64_e32 v[12:13], v[12:13], v[134:135]
	v_add_f64_e32 v[132:133], v[132:133], v[142:143]
	v_fmac_f64_e32 v[144:145], v[10:11], v[108:109]
	v_fma_f64 v[134:135], v[8:9], v[108:109], -v[110:111]
	scratch_load_b128 v[108:111], off, off offset:320
	ds_load_b128 v[8:11], v2 offset:736
	v_fmac_f64_e32 v[138:139], v[90:91], v[112:113]
	v_add_f64_e32 v[12:13], v[12:13], v[140:141]
	v_fma_f64 v[140:141], v[88:89], v[112:113], -v[114:115]
	v_add_f64_e32 v[132:133], v[132:133], v[136:137]
	ds_load_b128 v[88:91], v2 offset:752
	s_wait_loadcnt_dscnt 0xa01
	v_mul_f64_e32 v[142:143], v[8:9], v[126:127]
	v_mul_f64_e32 v[126:127], v[10:11], v[126:127]
	scratch_load_b128 v[112:115], off, off offset:336
	v_add_f64_e32 v[12:13], v[12:13], v[134:135]
	v_add_f64_e32 v[132:133], v[132:133], v[144:145]
	v_fmac_f64_e32 v[142:143], v[10:11], v[124:125]
	v_fma_f64 v[124:125], v[8:9], v[124:125], -v[126:127]
	s_delay_alu instid0(VALU_DEP_4)
	v_add_f64_e32 v[136:137], v[12:13], v[140:141]
	scratch_load_b128 v[10:13], off, off offset:352
	s_wait_loadcnt_dscnt 0xa00
	v_mul_f64_e32 v[126:127], v[88:89], v[6:7]
	v_mul_f64_e32 v[134:135], v[90:91], v[6:7]
	v_add_f64_e32 v[132:133], v[132:133], v[138:139]
	ds_load_b128 v[6:9], v2 offset:768
	v_add_f64_e32 v[136:137], v[136:137], v[124:125]
	v_fmac_f64_e32 v[126:127], v[90:91], v[4:5]
	v_fma_f64 v[134:135], v[88:89], v[4:5], -v[134:135]
	ds_load_b128 v[88:91], v2 offset:784
	s_wait_loadcnt_dscnt 0x901
	v_mul_f64_e32 v[138:139], v[6:7], v[122:123]
	v_mul_f64_e32 v[4:5], v[8:9], v[122:123]
	scratch_load_b128 v[122:125], off, off offset:368
	v_add_f64_e32 v[140:141], v[132:133], v[142:143]
	s_wait_loadcnt_dscnt 0x900
	v_mul_f64_e32 v[142:143], v[88:89], v[86:87]
	v_mul_f64_e32 v[86:87], v[90:91], v[86:87]
	v_fmac_f64_e32 v[138:139], v[8:9], v[120:121]
	v_fma_f64 v[8:9], v[6:7], v[120:121], -v[4:5]
	v_add_f64_e32 v[120:121], v[136:137], v[134:135]
	scratch_load_b128 v[132:135], off, off offset:384
	v_add_f64_e32 v[126:127], v[140:141], v[126:127]
	ds_load_b128 v[4:7], v2 offset:800
	v_fmac_f64_e32 v[142:143], v[90:91], v[84:85]
	v_fma_f64 v[136:137], v[88:89], v[84:85], -v[86:87]
	ds_load_b128 v[84:87], v2 offset:816
	s_wait_loadcnt_dscnt 0x901
	v_mul_f64_e32 v[140:141], v[4:5], v[118:119]
	v_mul_f64_e32 v[118:119], v[6:7], v[118:119]
	scratch_load_b128 v[88:91], off, off offset:400
	v_add_f64_e32 v[8:9], v[120:121], v[8:9]
	v_add_f64_e32 v[120:121], v[126:127], v[138:139]
	s_wait_loadcnt_dscnt 0x900
	v_mul_f64_e32 v[126:127], v[84:85], v[94:95]
	v_mul_f64_e32 v[94:95], v[86:87], v[94:95]
	v_fmac_f64_e32 v[140:141], v[6:7], v[116:117]
	v_fma_f64 v[138:139], v[4:5], v[116:117], -v[118:119]
	scratch_load_b128 v[116:119], off, off offset:416
	v_add_f64_e32 v[8:9], v[8:9], v[136:137]
	ds_load_b128 v[4:7], v2 offset:832
	v_add_f64_e32 v[120:121], v[120:121], v[142:143]
	v_fmac_f64_e32 v[126:127], v[86:87], v[92:93]
	v_fma_f64 v[136:137], v[84:85], v[92:93], -v[94:95]
	ds_load_b128 v[84:87], v2 offset:848
	scratch_load_b128 v[92:95], off, off offset:432
	s_wait_loadcnt_dscnt 0xa01
	v_mul_f64_e32 v[142:143], v[4:5], v[98:99]
	v_mul_f64_e32 v[98:99], v[6:7], v[98:99]
	v_add_f64_e32 v[8:9], v[8:9], v[138:139]
	v_add_f64_e32 v[120:121], v[120:121], v[140:141]
	s_wait_loadcnt_dscnt 0x900
	v_mul_f64_e32 v[138:139], v[84:85], v[102:103]
	v_mul_f64_e32 v[102:103], v[86:87], v[102:103]
	v_fmac_f64_e32 v[142:143], v[6:7], v[96:97]
	v_fma_f64 v[140:141], v[4:5], v[96:97], -v[98:99]
	scratch_load_b128 v[96:99], off, off offset:448
	ds_load_b128 v[4:7], v2 offset:864
	v_add_f64_e32 v[8:9], v[8:9], v[136:137]
	v_add_f64_e32 v[120:121], v[120:121], v[126:127]
	v_fmac_f64_e32 v[138:139], v[86:87], v[100:101]
	v_fma_f64 v[126:127], v[84:85], v[100:101], -v[102:103]
	ds_load_b128 v[84:87], v2 offset:880
	scratch_load_b128 v[100:103], off, off offset:464
	s_wait_loadcnt_dscnt 0xa01
	v_mul_f64_e32 v[136:137], v[4:5], v[106:107]
	v_mul_f64_e32 v[106:107], v[6:7], v[106:107]
	v_add_f64_e32 v[8:9], v[8:9], v[140:141]
	s_wait_loadcnt_dscnt 0x900
	v_mul_f64_e32 v[140:141], v[84:85], v[110:111]
	v_add_f64_e32 v[120:121], v[120:121], v[142:143]
	v_mul_f64_e32 v[110:111], v[86:87], v[110:111]
	v_fmac_f64_e32 v[136:137], v[6:7], v[104:105]
	v_fma_f64 v[142:143], v[4:5], v[104:105], -v[106:107]
	scratch_load_b128 v[4:7], off, off offset:480
	ds_load_b128 v[104:107], v2 offset:896
	v_add_f64_e32 v[8:9], v[8:9], v[126:127]
	v_fmac_f64_e32 v[140:141], v[86:87], v[108:109]
	v_add_f64_e32 v[120:121], v[120:121], v[138:139]
	v_fma_f64 v[126:127], v[84:85], v[108:109], -v[110:111]
	ds_load_b128 v[84:87], v2 offset:912
	s_wait_loadcnt_dscnt 0x901
	v_mul_f64_e32 v[138:139], v[104:105], v[114:115]
	v_mul_f64_e32 v[114:115], v[106:107], v[114:115]
	scratch_load_b128 v[108:111], off, off offset:496
	v_add_f64_e32 v[8:9], v[8:9], v[142:143]
	v_add_f64_e32 v[120:121], v[120:121], v[136:137]
	v_fmac_f64_e32 v[138:139], v[106:107], v[112:113]
	v_fma_f64 v[142:143], v[104:105], v[112:113], -v[114:115]
	scratch_load_b128 v[104:107], off, off offset:512
	ds_load_b128 v[112:115], v2 offset:928
	s_wait_loadcnt_dscnt 0xa01
	v_mul_f64_e32 v[136:137], v[84:85], v[12:13]
	v_mul_f64_e32 v[12:13], v[86:87], v[12:13]
	v_add_f64_e32 v[126:127], v[8:9], v[126:127]
	v_add_f64_e32 v[120:121], v[120:121], v[140:141]
	s_delay_alu instid0(VALU_DEP_4) | instskip(NEXT) | instid1(VALU_DEP_4)
	v_fmac_f64_e32 v[136:137], v[86:87], v[10:11]
	v_fma_f64 v[12:13], v[84:85], v[10:11], -v[12:13]
	ds_load_b128 v[8:11], v2 offset:944
	scratch_load_b128 v[84:87], off, off offset:528
	s_wait_loadcnt_dscnt 0xa01
	v_mul_f64_e32 v[140:141], v[112:113], v[124:125]
	v_mul_f64_e32 v[124:125], v[114:115], v[124:125]
	v_add_f64_e32 v[126:127], v[126:127], v[142:143]
	v_add_f64_e32 v[120:121], v[120:121], v[138:139]
	s_delay_alu instid0(VALU_DEP_4) | instskip(NEXT) | instid1(VALU_DEP_4)
	v_fmac_f64_e32 v[140:141], v[114:115], v[122:123]
	v_fma_f64 v[124:125], v[112:113], v[122:123], -v[124:125]
	scratch_load_b128 v[112:115], off, off offset:544
	s_wait_loadcnt_dscnt 0xa00
	v_mul_f64_e32 v[138:139], v[8:9], v[134:135]
	v_mul_f64_e32 v[134:135], v[10:11], v[134:135]
	v_add_f64_e32 v[12:13], v[126:127], v[12:13]
	v_add_f64_e32 v[126:127], v[120:121], v[136:137]
	ds_load_b128 v[120:123], v2 offset:960
	v_fmac_f64_e32 v[138:139], v[10:11], v[132:133]
	v_fma_f64 v[132:133], v[8:9], v[132:133], -v[134:135]
	ds_load_b128 v[8:11], v2 offset:976
	s_wait_loadcnt_dscnt 0x901
	v_mul_f64_e32 v[134:135], v[120:121], v[90:91]
	v_mul_f64_e32 v[90:91], v[122:123], v[90:91]
	v_add_f64_e32 v[12:13], v[12:13], v[124:125]
	v_add_f64_e32 v[124:125], v[126:127], v[140:141]
	s_wait_loadcnt_dscnt 0x800
	v_mul_f64_e32 v[126:127], v[8:9], v[118:119]
	v_mul_f64_e32 v[136:137], v[10:11], v[118:119]
	v_fmac_f64_e32 v[134:135], v[122:123], v[88:89]
	v_fma_f64 v[122:123], v[120:121], v[88:89], -v[90:91]
	v_add_f64_e32 v[12:13], v[12:13], v[132:133]
	v_add_f64_e32 v[124:125], v[124:125], v[138:139]
	ds_load_b128 v[88:91], v2 offset:992
	ds_load_b128 v[118:121], v2 offset:1008
	s_wait_loadcnt_dscnt 0x701
	v_mul_f64_e32 v[132:133], v[88:89], v[94:95]
	v_mul_f64_e32 v[94:95], v[90:91], v[94:95]
	v_fmac_f64_e32 v[126:127], v[10:11], v[116:117]
	v_fma_f64 v[8:9], v[8:9], v[116:117], -v[136:137]
	v_add_f64_e32 v[10:11], v[12:13], v[122:123]
	v_add_f64_e32 v[12:13], v[124:125], v[134:135]
	s_wait_loadcnt_dscnt 0x600
	v_mul_f64_e32 v[116:117], v[118:119], v[98:99]
	v_mul_f64_e32 v[98:99], v[120:121], v[98:99]
	v_fmac_f64_e32 v[132:133], v[90:91], v[92:93]
	v_fma_f64 v[92:93], v[88:89], v[92:93], -v[94:95]
	v_add_f64_e32 v[94:95], v[10:11], v[8:9]
	v_add_f64_e32 v[12:13], v[12:13], v[126:127]
	ds_load_b128 v[8:11], v2 offset:1024
	ds_load_b128 v[88:91], v2 offset:1040
	v_fmac_f64_e32 v[116:117], v[120:121], v[96:97]
	v_fma_f64 v[96:97], v[118:119], v[96:97], -v[98:99]
	s_wait_loadcnt_dscnt 0x501
	v_mul_f64_e32 v[122:123], v[8:9], v[102:103]
	v_mul_f64_e32 v[102:103], v[10:11], v[102:103]
	v_add_f64_e32 v[92:93], v[94:95], v[92:93]
	v_add_f64_e32 v[12:13], v[12:13], v[132:133]
	s_wait_loadcnt_dscnt 0x400
	v_mul_f64_e32 v[94:95], v[88:89], v[6:7]
	v_mul_f64_e32 v[98:99], v[90:91], v[6:7]
	v_fmac_f64_e32 v[122:123], v[10:11], v[100:101]
	v_fma_f64 v[100:101], v[8:9], v[100:101], -v[102:103]
	v_add_f64_e32 v[92:93], v[92:93], v[96:97]
	v_add_f64_e32 v[96:97], v[12:13], v[116:117]
	ds_load_b128 v[6:9], v2 offset:1056
	ds_load_b128 v[10:13], v2 offset:1072
	v_fmac_f64_e32 v[94:95], v[90:91], v[4:5]
	v_fma_f64 v[4:5], v[88:89], v[4:5], -v[98:99]
	s_wait_loadcnt_dscnt 0x301
	v_mul_f64_e32 v[102:103], v[6:7], v[110:111]
	v_mul_f64_e32 v[110:111], v[8:9], v[110:111]
	v_add_f64_e32 v[88:89], v[92:93], v[100:101]
	v_add_f64_e32 v[90:91], v[96:97], v[122:123]
	s_wait_loadcnt_dscnt 0x200
	v_mul_f64_e32 v[92:93], v[10:11], v[106:107]
	v_mul_f64_e32 v[96:97], v[12:13], v[106:107]
	v_lshl_add_u64 v[100:101], v[18:19], 4, s[4:5]
	v_lshl_add_u64 v[106:107], v[26:27], 4, s[4:5]
	;; [unrolled: 1-line block ×4, first 2 shown]
	v_fmac_f64_e32 v[102:103], v[8:9], v[108:109]
	v_fma_f64 v[8:9], v[6:7], v[108:109], -v[110:111]
	v_lshl_add_u64 v[108:109], v[22:23], 4, s[4:5]
	v_lshl_add_u64 v[22:23], v[66:67], 4, s[4:5]
	v_add_f64_e32 v[98:99], v[88:89], v[4:5]
	v_add_f64_e32 v[94:95], v[90:91], v[94:95]
	ds_load_b128 v[4:7], v2 offset:1088
	ds_load_b128 v[88:91], v2 offset:1104
	v_fmac_f64_e32 v[92:93], v[12:13], v[104:105]
	v_fma_f64 v[10:11], v[10:11], v[104:105], -v[96:97]
	v_lshl_add_u64 v[104:105], v[28:29], 4, s[4:5]
	v_lshl_add_u64 v[28:29], v[60:61], 4, s[4:5]
	s_wait_loadcnt_dscnt 0x101
	v_mul_f64_e32 v[2:3], v[4:5], v[86:87]
	v_mul_f64_e32 v[86:87], v[6:7], v[86:87]
	v_add_f64_e32 v[8:9], v[98:99], v[8:9]
	v_add_f64_e32 v[12:13], v[94:95], v[102:103]
	v_lshl_add_u64 v[102:103], v[30:31], 4, s[4:5]
	v_lshl_add_u64 v[98:99], v[32:33], 4, s[4:5]
	;; [unrolled: 1-line block ×4, first 2 shown]
	v_fmac_f64_e32 v[2:3], v[6:7], v[84:85]
	v_fma_f64 v[4:5], v[4:5], v[84:85], -v[86:87]
	v_lshl_add_u64 v[86:87], v[40:41], 4, s[4:5]
	v_lshl_add_u64 v[84:85], v[42:43], 4, s[4:5]
	v_lshl_add_u64 v[42:43], v[46:47], 4, s[4:5]
	s_wait_loadcnt_dscnt 0x0
	v_mul_f64_e32 v[94:95], v[88:89], v[114:115]
	v_mul_f64_e32 v[96:97], v[90:91], v[114:115]
	v_lshl_add_u64 v[40:41], v[48:49], 4, s[4:5]
	v_add_f64_e32 v[6:7], v[8:9], v[10:11]
	v_add_f64_e32 v[8:9], v[12:13], v[92:93]
	v_lshl_add_u64 v[92:93], v[24:25], 4, s[4:5]
	v_lshl_add_u64 v[24:25], v[64:65], 4, s[4:5]
	;; [unrolled: 1-line block ×3, first 2 shown]
	v_fmac_f64_e32 v[94:95], v[90:91], v[112:113]
	v_fma_f64 v[10:11], v[88:89], v[112:113], -v[96:97]
	v_lshl_add_u64 v[96:97], v[20:21], 4, s[4:5]
	v_lshl_add_u64 v[90:91], v[36:37], 4, s[4:5]
	;; [unrolled: 1-line block ×4, first 2 shown]
	v_add_f64_e32 v[4:5], v[6:7], v[4:5]
	v_add_f64_e32 v[2:3], v[8:9], v[2:3]
	v_lshl_add_u64 v[36:37], v[52:53], 4, s[4:5]
	v_lshl_add_u64 v[20:21], v[68:69], 4, s[4:5]
	;; [unrolled: 1-line block ×4, first 2 shown]
	v_add_f64_e32 v[4:5], v[4:5], v[10:11]
	v_add_f64_e32 v[2:3], v[2:3], v[94:95]
	v_lshl_add_u64 v[94:95], v[34:35], 4, s[4:5]
	v_lshl_add_u64 v[34:35], v[54:55], 4, s[4:5]
	;; [unrolled: 1-line block ×3, first 2 shown]
	v_add_f64_e64 v[110:111], v[128:129], -v[4:5]
	v_add_f64_e64 v[112:113], v[130:131], -v[2:3]
	v_lshl_add_u64 v[4:5], v[80:81], 4, s[4:5]
	v_lshl_add_u64 v[2:3], v[82:83], 4, s[4:5]
	scratch_store_b128 off, v[110:113], off
	s_cbranch_vccz .LBB98_292
; %bb.224:
	v_mov_b32_e32 v46, 0
	s_load_b64 s[2:3], s[0:1], 0x4
	v_bfe_u32 v48, v0, 10, 10
	v_bfe_u32 v0, v0, 20, 10
	global_load_b32 v47, v46, s[8:9] offset:132
	s_wait_kmcnt 0x0
	s_lshr_b32 s0, s2, 16
	v_mul_u32_u24_e32 v48, s3, v48
	s_mul_i32 s0, s0, s3
	s_delay_alu instid0(SALU_CYCLE_1) | instskip(NEXT) | instid1(VALU_DEP_1)
	v_mul_u32_u24_e32 v1, s0, v1
	v_add3_u32 v0, v1, v48, v0
	s_delay_alu instid0(VALU_DEP_1)
	v_lshl_add_u32 v0, v0, 4, 0x468
	s_wait_loadcnt 0x0
	v_cmp_ne_u32_e32 vcc_lo, 34, v47
	s_cbranch_vccz .LBB98_226
; %bb.225:
	v_lshlrev_b32_e32 v1, 4, v47
	s_clause 0x1
	scratch_load_b128 v[48:51], off, s15
	scratch_load_b128 v[52:55], v1, off offset:-16
	s_wait_loadcnt 0x1
	ds_store_2addr_b64 v0, v[48:49], v[50:51] offset1:1
	s_wait_loadcnt 0x0
	s_clause 0x1
	scratch_store_b128 off, v[52:55], s15
	scratch_store_b128 v1, v[48:51], off offset:-16
.LBB98_226:
	global_load_b32 v1, v46, s[8:9] offset:128
	s_wait_loadcnt 0x0
	v_cmp_eq_u32_e32 vcc_lo, 33, v1
	s_cbranch_vccnz .LBB98_228
; %bb.227:
	v_lshlrev_b32_e32 v1, 4, v1
	s_clause 0x1
	scratch_load_b128 v[46:49], off, s17
	scratch_load_b128 v[50:53], v1, off offset:-16
	s_wait_loadcnt 0x1
	ds_store_2addr_b64 v0, v[46:47], v[48:49] offset1:1
	s_wait_loadcnt 0x0
	s_clause 0x1
	scratch_store_b128 off, v[50:53], s17
	scratch_store_b128 v1, v[46:49], off offset:-16
.LBB98_228:
	s_wait_xcnt 0x0
	v_mov_b32_e32 v1, 0
	global_load_b32 v46, v1, s[8:9] offset:124
	s_wait_loadcnt 0x0
	v_cmp_eq_u32_e32 vcc_lo, 32, v46
	s_cbranch_vccnz .LBB98_230
; %bb.229:
	v_lshlrev_b32_e32 v46, 4, v46
	s_delay_alu instid0(VALU_DEP_1)
	v_mov_b32_e32 v54, v46
	s_clause 0x1
	scratch_load_b128 v[46:49], off, s19
	scratch_load_b128 v[50:53], v54, off offset:-16
	s_wait_loadcnt 0x1
	ds_store_2addr_b64 v0, v[46:47], v[48:49] offset1:1
	s_wait_loadcnt 0x0
	s_clause 0x1
	scratch_store_b128 off, v[50:53], s19
	scratch_store_b128 v54, v[46:49], off offset:-16
.LBB98_230:
	global_load_b32 v1, v1, s[8:9] offset:120
	s_wait_loadcnt 0x0
	v_cmp_eq_u32_e32 vcc_lo, 31, v1
	s_cbranch_vccnz .LBB98_232
; %bb.231:
	s_wait_xcnt 0x0
	v_lshlrev_b32_e32 v1, 4, v1
	s_clause 0x1
	scratch_load_b128 v[46:49], off, s20
	scratch_load_b128 v[50:53], v1, off offset:-16
	s_wait_loadcnt 0x1
	ds_store_2addr_b64 v0, v[46:47], v[48:49] offset1:1
	s_wait_loadcnt 0x0
	s_clause 0x1
	scratch_store_b128 off, v[50:53], s20
	scratch_store_b128 v1, v[46:49], off offset:-16
.LBB98_232:
	s_wait_xcnt 0x0
	v_mov_b32_e32 v1, 0
	global_load_b32 v46, v1, s[8:9] offset:116
	s_wait_loadcnt 0x0
	v_cmp_eq_u32_e32 vcc_lo, 30, v46
	s_cbranch_vccnz .LBB98_234
; %bb.233:
	v_lshlrev_b32_e32 v46, 4, v46
	s_delay_alu instid0(VALU_DEP_1)
	v_mov_b32_e32 v54, v46
	s_clause 0x1
	scratch_load_b128 v[46:49], off, s21
	scratch_load_b128 v[50:53], v54, off offset:-16
	s_wait_loadcnt 0x1
	ds_store_2addr_b64 v0, v[46:47], v[48:49] offset1:1
	s_wait_loadcnt 0x0
	s_clause 0x1
	scratch_store_b128 off, v[50:53], s21
	scratch_store_b128 v54, v[46:49], off offset:-16
.LBB98_234:
	global_load_b32 v1, v1, s[8:9] offset:112
	s_wait_loadcnt 0x0
	v_cmp_eq_u32_e32 vcc_lo, 29, v1
	s_cbranch_vccnz .LBB98_236
; %bb.235:
	s_wait_xcnt 0x0
	v_lshlrev_b32_e32 v1, 4, v1
	s_clause 0x1
	scratch_load_b128 v[46:49], off, s22
	scratch_load_b128 v[50:53], v1, off offset:-16
	s_wait_loadcnt 0x1
	ds_store_2addr_b64 v0, v[46:47], v[48:49] offset1:1
	s_wait_loadcnt 0x0
	s_clause 0x1
	scratch_store_b128 off, v[50:53], s22
	scratch_store_b128 v1, v[46:49], off offset:-16
.LBB98_236:
	;; [unrolled: 37-line block ×15, first 2 shown]
	s_wait_xcnt 0x0
	v_mov_b32_e32 v1, 0
	global_load_b32 v46, v1, s[8:9] offset:4
	s_wait_loadcnt 0x0
	v_cmp_eq_u32_e32 vcc_lo, 2, v46
	s_cbranch_vccnz .LBB98_290
; %bb.289:
	v_lshlrev_b32_e32 v46, 4, v46
	s_delay_alu instid0(VALU_DEP_1)
	v_mov_b32_e32 v54, v46
	s_clause 0x1
	scratch_load_b128 v[46:49], off, s18
	scratch_load_b128 v[50:53], v54, off offset:-16
	s_wait_loadcnt 0x1
	ds_store_2addr_b64 v0, v[46:47], v[48:49] offset1:1
	s_wait_loadcnt 0x0
	s_clause 0x1
	scratch_store_b128 off, v[50:53], s18
	scratch_store_b128 v54, v[46:49], off offset:-16
.LBB98_290:
	global_load_b32 v1, v1, s[8:9]
	s_wait_loadcnt 0x0
	v_cmp_eq_u32_e32 vcc_lo, 1, v1
	s_cbranch_vccnz .LBB98_292
; %bb.291:
	s_wait_xcnt 0x0
	v_lshlrev_b32_e32 v1, 4, v1
	scratch_load_b128 v[46:49], off, off
	scratch_load_b128 v[50:53], v1, off offset:-16
	s_wait_loadcnt 0x1
	ds_store_2addr_b64 v0, v[46:47], v[48:49] offset1:1
	s_wait_loadcnt 0x0
	scratch_store_b128 off, v[50:53], off
	scratch_store_b128 v1, v[46:49], off offset:-16
.LBB98_292:
	scratch_load_b128 v[46:49], off, off
	s_wait_loadcnt 0x0
	flat_store_b128 v[14:15], v[46:49]
	scratch_load_b128 v[46:49], off, s18
	s_wait_loadcnt 0x0
	flat_store_b128 v[16:17], v[46:49]
	scratch_load_b128 v[14:17], off, s16
	;; [unrolled: 3-line block ×34, first 2 shown]
	s_wait_loadcnt 0x0
	flat_store_b128 v[2:3], v[4:7]
	s_sendmsg sendmsg(MSG_DEALLOC_VGPRS)
	s_endpgm
	.section	.rodata,"a",@progbits
	.p2align	6, 0x0
	.amdhsa_kernel _ZN9rocsolver6v33100L18getri_kernel_smallILi35E19rocblas_complex_numIdEPKPS3_EEvT1_iilPiilS8_bb
		.amdhsa_group_segment_fixed_size 2152
		.amdhsa_private_segment_fixed_size 576
		.amdhsa_kernarg_size 60
		.amdhsa_user_sgpr_count 4
		.amdhsa_user_sgpr_dispatch_ptr 1
		.amdhsa_user_sgpr_queue_ptr 0
		.amdhsa_user_sgpr_kernarg_segment_ptr 1
		.amdhsa_user_sgpr_dispatch_id 0
		.amdhsa_user_sgpr_kernarg_preload_length 0
		.amdhsa_user_sgpr_kernarg_preload_offset 0
		.amdhsa_user_sgpr_private_segment_size 0
		.amdhsa_wavefront_size32 1
		.amdhsa_uses_dynamic_stack 0
		.amdhsa_enable_private_segment 1
		.amdhsa_system_sgpr_workgroup_id_x 1
		.amdhsa_system_sgpr_workgroup_id_y 0
		.amdhsa_system_sgpr_workgroup_id_z 0
		.amdhsa_system_sgpr_workgroup_info 0
		.amdhsa_system_vgpr_workitem_id 2
		.amdhsa_next_free_vgpr 152
		.amdhsa_next_free_sgpr 63
		.amdhsa_named_barrier_count 0
		.amdhsa_reserve_vcc 1
		.amdhsa_float_round_mode_32 0
		.amdhsa_float_round_mode_16_64 0
		.amdhsa_float_denorm_mode_32 3
		.amdhsa_float_denorm_mode_16_64 3
		.amdhsa_fp16_overflow 0
		.amdhsa_memory_ordered 1
		.amdhsa_forward_progress 1
		.amdhsa_inst_pref_size 255
		.amdhsa_round_robin_scheduling 0
		.amdhsa_exception_fp_ieee_invalid_op 0
		.amdhsa_exception_fp_denorm_src 0
		.amdhsa_exception_fp_ieee_div_zero 0
		.amdhsa_exception_fp_ieee_overflow 0
		.amdhsa_exception_fp_ieee_underflow 0
		.amdhsa_exception_fp_ieee_inexact 0
		.amdhsa_exception_int_div_zero 0
	.end_amdhsa_kernel
	.section	.text._ZN9rocsolver6v33100L18getri_kernel_smallILi35E19rocblas_complex_numIdEPKPS3_EEvT1_iilPiilS8_bb,"axG",@progbits,_ZN9rocsolver6v33100L18getri_kernel_smallILi35E19rocblas_complex_numIdEPKPS3_EEvT1_iilPiilS8_bb,comdat
.Lfunc_end98:
	.size	_ZN9rocsolver6v33100L18getri_kernel_smallILi35E19rocblas_complex_numIdEPKPS3_EEvT1_iilPiilS8_bb, .Lfunc_end98-_ZN9rocsolver6v33100L18getri_kernel_smallILi35E19rocblas_complex_numIdEPKPS3_EEvT1_iilPiilS8_bb
                                        ; -- End function
	.set _ZN9rocsolver6v33100L18getri_kernel_smallILi35E19rocblas_complex_numIdEPKPS3_EEvT1_iilPiilS8_bb.num_vgpr, 152
	.set _ZN9rocsolver6v33100L18getri_kernel_smallILi35E19rocblas_complex_numIdEPKPS3_EEvT1_iilPiilS8_bb.num_agpr, 0
	.set _ZN9rocsolver6v33100L18getri_kernel_smallILi35E19rocblas_complex_numIdEPKPS3_EEvT1_iilPiilS8_bb.numbered_sgpr, 63
	.set _ZN9rocsolver6v33100L18getri_kernel_smallILi35E19rocblas_complex_numIdEPKPS3_EEvT1_iilPiilS8_bb.num_named_barrier, 0
	.set _ZN9rocsolver6v33100L18getri_kernel_smallILi35E19rocblas_complex_numIdEPKPS3_EEvT1_iilPiilS8_bb.private_seg_size, 576
	.set _ZN9rocsolver6v33100L18getri_kernel_smallILi35E19rocblas_complex_numIdEPKPS3_EEvT1_iilPiilS8_bb.uses_vcc, 1
	.set _ZN9rocsolver6v33100L18getri_kernel_smallILi35E19rocblas_complex_numIdEPKPS3_EEvT1_iilPiilS8_bb.uses_flat_scratch, 1
	.set _ZN9rocsolver6v33100L18getri_kernel_smallILi35E19rocblas_complex_numIdEPKPS3_EEvT1_iilPiilS8_bb.has_dyn_sized_stack, 0
	.set _ZN9rocsolver6v33100L18getri_kernel_smallILi35E19rocblas_complex_numIdEPKPS3_EEvT1_iilPiilS8_bb.has_recursion, 0
	.set _ZN9rocsolver6v33100L18getri_kernel_smallILi35E19rocblas_complex_numIdEPKPS3_EEvT1_iilPiilS8_bb.has_indirect_call, 0
	.section	.AMDGPU.csdata,"",@progbits
; Kernel info:
; codeLenInByte = 52836
; TotalNumSgprs: 65
; NumVgprs: 152
; ScratchSize: 576
; MemoryBound: 0
; FloatMode: 240
; IeeeMode: 1
; LDSByteSize: 2152 bytes/workgroup (compile time only)
; SGPRBlocks: 0
; VGPRBlocks: 9
; NumSGPRsForWavesPerEU: 65
; NumVGPRsForWavesPerEU: 152
; NamedBarCnt: 0
; Occupancy: 6
; WaveLimiterHint : 1
; COMPUTE_PGM_RSRC2:SCRATCH_EN: 1
; COMPUTE_PGM_RSRC2:USER_SGPR: 4
; COMPUTE_PGM_RSRC2:TRAP_HANDLER: 0
; COMPUTE_PGM_RSRC2:TGID_X_EN: 1
; COMPUTE_PGM_RSRC2:TGID_Y_EN: 0
; COMPUTE_PGM_RSRC2:TGID_Z_EN: 0
; COMPUTE_PGM_RSRC2:TIDIG_COMP_CNT: 2
	.section	.text._ZN9rocsolver6v33100L18getri_kernel_smallILi36E19rocblas_complex_numIdEPKPS3_EEvT1_iilPiilS8_bb,"axG",@progbits,_ZN9rocsolver6v33100L18getri_kernel_smallILi36E19rocblas_complex_numIdEPKPS3_EEvT1_iilPiilS8_bb,comdat
	.globl	_ZN9rocsolver6v33100L18getri_kernel_smallILi36E19rocblas_complex_numIdEPKPS3_EEvT1_iilPiilS8_bb ; -- Begin function _ZN9rocsolver6v33100L18getri_kernel_smallILi36E19rocblas_complex_numIdEPKPS3_EEvT1_iilPiilS8_bb
	.p2align	8
	.type	_ZN9rocsolver6v33100L18getri_kernel_smallILi36E19rocblas_complex_numIdEPKPS3_EEvT1_iilPiilS8_bb,@function
_ZN9rocsolver6v33100L18getri_kernel_smallILi36E19rocblas_complex_numIdEPKPS3_EEvT1_iilPiilS8_bb: ; @_ZN9rocsolver6v33100L18getri_kernel_smallILi36E19rocblas_complex_numIdEPKPS3_EEvT1_iilPiilS8_bb
; %bb.0:
	v_and_b32_e32 v1, 0x3ff, v0
	s_mov_b32 s4, exec_lo
	s_delay_alu instid0(VALU_DEP_1)
	v_cmpx_gt_u32_e32 36, v1
	s_cbranch_execz .LBB99_158
; %bb.1:
	s_clause 0x1
	s_load_b32 s16, s[2:3], 0x38
	s_load_b64 s[8:9], s[2:3], 0x0
	s_getreg_b32 s6, hwreg(HW_REG_IB_STS2, 6, 4)
	s_wait_kmcnt 0x0
	s_bitcmp1_b32 s16, 8
	s_cselect_b32 s48, -1, 0
	s_bfe_u32 s4, ttmp6, 0x4000c
	s_and_b32 s5, ttmp6, 15
	s_add_co_i32 s4, s4, 1
	s_delay_alu instid0(SALU_CYCLE_1) | instskip(NEXT) | instid1(SALU_CYCLE_1)
	s_mul_i32 s4, ttmp9, s4
	s_add_co_i32 s5, s5, s4
	s_cmp_eq_u32 s6, 0
	s_cselect_b32 s10, ttmp9, s5
	s_load_b128 s[4:7], s[2:3], 0x28
	s_ashr_i32 s11, s10, 31
	s_delay_alu instid0(SALU_CYCLE_1) | instskip(NEXT) | instid1(SALU_CYCLE_1)
	s_lshl_b64 s[12:13], s[10:11], 3
	s_add_nc_u64 s[8:9], s[8:9], s[12:13]
	s_load_b64 s[14:15], s[8:9], 0x0
	s_wait_xcnt 0x0
	s_bfe_u32 s8, s16, 0x10008
	s_delay_alu instid0(SALU_CYCLE_1)
	s_cmp_eq_u32 s8, 0
                                        ; implicit-def: $sgpr8_sgpr9
	s_cbranch_scc1 .LBB99_3
; %bb.2:
	s_load_b96 s[16:18], s[2:3], 0x18
	s_wait_kmcnt 0x0
	s_mul_u64 s[4:5], s[4:5], s[10:11]
	s_delay_alu instid0(SALU_CYCLE_1) | instskip(SKIP_4) | instid1(SALU_CYCLE_1)
	s_lshl_b64 s[4:5], s[4:5], 2
	s_ashr_i32 s9, s18, 31
	s_mov_b32 s8, s18
	s_add_nc_u64 s[4:5], s[16:17], s[4:5]
	s_lshl_b64 s[8:9], s[8:9], 2
	s_add_nc_u64 s[8:9], s[4:5], s[8:9]
.LBB99_3:
	s_clause 0x1
	s_load_b64 s[12:13], s[2:3], 0x8
	s_load_b32 s49, s[2:3], 0x38
	v_dual_mov_b32 v87, 0 :: v_dual_lshlrev_b32 v86, 4, v1
	s_movk_i32 s50, 0x160
	s_movk_i32 s51, 0x170
	;; [unrolled: 1-line block ×14, first 2 shown]
	s_mov_b32 s18, 16
	s_mov_b32 s16, 32
	s_wait_kmcnt 0x0
	s_ashr_i32 s3, s12, 31
	s_mov_b32 s2, s12
	v_add3_u32 v18, s13, s13, v1
	s_lshl_b64 s[2:3], s[2:3], 4
	s_mov_b32 s12, 64
	s_add_nc_u64 s[4:5], s[14:15], s[2:3]
	s_ashr_i32 s3, s13, 31
	flat_load_b128 v[2:5], v1, s[4:5] scale_offset
	v_add_nc_u64_e32 v[14:15], s[4:5], v[86:87]
	s_mov_b32 s2, s13
	v_add_nc_u32_e32 v20, s13, v18
	s_mov_b32 s14, 48
	s_movk_i32 s47, 0x50
	s_movk_i32 s46, 0x60
	;; [unrolled: 1-line block ×3, first 2 shown]
	v_lshl_add_u64 v[16:17], s[2:3], 4, v[14:15]
	v_add_nc_u32_e32 v22, s13, v20
	s_movk_i32 s44, 0x80
	s_movk_i32 s43, 0x90
	s_movk_i32 s42, 0xa0
	s_movk_i32 s41, 0xb0
	v_add_nc_u32_e32 v26, s13, v22
	s_movk_i32 s40, 0xc0
	s_movk_i32 s39, 0xd0
	s_movk_i32 s38, 0xe0
	s_movk_i32 s37, 0xf0
	;; [unrolled: 5-line block ×3, first 2 shown]
	v_add_nc_u32_e32 v28, s13, v24
	s_movk_i32 s31, 0x140
	s_movk_i32 s30, 0x150
	s_mov_b32 s29, s50
	s_mov_b32 s28, s51
	v_add_nc_u32_e32 v30, s13, v28
	s_mov_b32 s27, s52
	s_mov_b32 s26, s53
	s_mov_b32 s25, s54
	s_mov_b32 s24, s55
	v_add_nc_u32_e32 v32, s13, v30
	s_mov_b32 s23, s56
	s_mov_b32 s22, s57
	;; [unrolled: 5-line block ×3, first 2 shown]
	s_mov_b32 s15, s62
	s_bitcmp0_b32 s49, 0
	v_add_nc_u32_e32 v36, s13, v34
	s_mov_b32 s3, -1
	s_delay_alu instid0(VALU_DEP_1) | instskip(NEXT) | instid1(VALU_DEP_1)
	v_add_nc_u32_e32 v38, s13, v36
	v_add_nc_u32_e32 v40, s13, v38
	s_delay_alu instid0(VALU_DEP_1) | instskip(NEXT) | instid1(VALU_DEP_1)
	v_add_nc_u32_e32 v42, s13, v40
	v_add_nc_u32_e32 v44, s13, v42
	;; [unrolled: 3-line block ×12, first 2 shown]
	s_mov_b32 s13, s63
	s_wait_loadcnt_dscnt 0x0
	scratch_store_b128 off, v[2:5], off
	flat_load_b128 v[2:5], v[16:17]
	s_wait_loadcnt_dscnt 0x0
	scratch_store_b128 off, v[2:5], off offset:16
	flat_load_b128 v[2:5], v18, s[4:5] scale_offset
	s_wait_loadcnt_dscnt 0x0
	scratch_store_b128 off, v[2:5], off offset:32
	flat_load_b128 v[2:5], v20, s[4:5] scale_offset
	;; [unrolled: 3-line block ×34, first 2 shown]
	s_wait_loadcnt_dscnt 0x0
	scratch_store_b128 off, v[2:5], off offset:560
	s_cbranch_scc1 .LBB99_156
; %bb.4:
	v_cmp_eq_u32_e64 s2, 0, v1
	s_wait_xcnt 0x0
	s_and_saveexec_b32 s3, s2
; %bb.5:
	v_mov_b32_e32 v2, 0
	ds_store_b32 v2, v2 offset:1152
; %bb.6:
	s_or_b32 exec_lo, exec_lo, s3
	s_wait_storecnt_dscnt 0x0
	s_barrier_signal -1
	s_barrier_wait -1
	scratch_load_b128 v[2:5], v1, off scale_offset
	s_wait_loadcnt 0x0
	v_cmp_eq_f64_e32 vcc_lo, 0, v[2:3]
	v_cmp_eq_f64_e64 s3, 0, v[4:5]
	s_and_b32 s3, vcc_lo, s3
	s_delay_alu instid0(SALU_CYCLE_1)
	s_and_saveexec_b32 s49, s3
	s_cbranch_execz .LBB99_10
; %bb.7:
	v_mov_b32_e32 v2, 0
	s_mov_b32 s50, 0
	ds_load_b32 v3, v2 offset:1152
	s_wait_dscnt 0x0
	v_readfirstlane_b32 s3, v3
	v_add_nc_u32_e32 v3, 1, v1
	s_cmp_eq_u32 s3, 0
	s_delay_alu instid0(VALU_DEP_1) | instskip(SKIP_1) | instid1(SALU_CYCLE_1)
	v_cmp_gt_i32_e32 vcc_lo, s3, v3
	s_cselect_b32 s51, -1, 0
	s_or_b32 s51, s51, vcc_lo
	s_delay_alu instid0(SALU_CYCLE_1)
	s_and_b32 exec_lo, exec_lo, s51
	s_cbranch_execz .LBB99_10
; %bb.8:
	v_mov_b32_e32 v4, s3
.LBB99_9:                               ; =>This Inner Loop Header: Depth=1
	ds_cmpstore_rtn_b32 v4, v2, v3, v4 offset:1152
	s_wait_dscnt 0x0
	v_cmp_ne_u32_e32 vcc_lo, 0, v4
	v_cmp_le_i32_e64 s3, v4, v3
	s_and_b32 s3, vcc_lo, s3
	s_delay_alu instid0(SALU_CYCLE_1) | instskip(NEXT) | instid1(SALU_CYCLE_1)
	s_and_b32 s3, exec_lo, s3
	s_or_b32 s50, s3, s50
	s_delay_alu instid0(SALU_CYCLE_1)
	s_and_not1_b32 exec_lo, exec_lo, s50
	s_cbranch_execnz .LBB99_9
.LBB99_10:
	s_or_b32 exec_lo, exec_lo, s49
	v_mov_b32_e32 v2, 0
	s_barrier_signal -1
	s_barrier_wait -1
	ds_load_b32 v3, v2 offset:1152
	s_and_saveexec_b32 s3, s2
	s_cbranch_execz .LBB99_12
; %bb.11:
	s_lshl_b64 s[50:51], s[10:11], 2
	s_delay_alu instid0(SALU_CYCLE_1)
	s_add_nc_u64 s[50:51], s[6:7], s[50:51]
	s_wait_dscnt 0x0
	global_store_b32 v2, v3, s[50:51]
.LBB99_12:
	s_wait_xcnt 0x0
	s_or_b32 exec_lo, exec_lo, s3
	s_wait_dscnt 0x0
	v_cmp_ne_u32_e32 vcc_lo, 0, v3
	s_mov_b32 s3, 0
	s_cbranch_vccnz .LBB99_156
; %bb.13:
	v_lshl_add_u32 v19, v1, 4, 0
                                        ; implicit-def: $vgpr6_vgpr7
                                        ; implicit-def: $vgpr10_vgpr11
	scratch_load_b128 v[2:5], v19, off
	s_wait_loadcnt 0x0
	v_cmp_ngt_f64_e64 s3, |v[2:3]|, |v[4:5]|
	s_wait_xcnt 0x0
	s_and_saveexec_b32 s49, s3
	s_delay_alu instid0(SALU_CYCLE_1)
	s_xor_b32 s3, exec_lo, s49
	s_cbranch_execz .LBB99_15
; %bb.14:
	v_div_scale_f64 v[6:7], null, v[4:5], v[4:5], v[2:3]
	v_div_scale_f64 v[12:13], vcc_lo, v[2:3], v[4:5], v[2:3]
	s_delay_alu instid0(VALU_DEP_2) | instskip(SKIP_1) | instid1(TRANS32_DEP_1)
	v_rcp_f64_e32 v[8:9], v[6:7]
	v_nop
	v_fma_f64 v[10:11], -v[6:7], v[8:9], 1.0
	s_delay_alu instid0(VALU_DEP_1) | instskip(NEXT) | instid1(VALU_DEP_1)
	v_fmac_f64_e32 v[8:9], v[8:9], v[10:11]
	v_fma_f64 v[10:11], -v[6:7], v[8:9], 1.0
	s_delay_alu instid0(VALU_DEP_1) | instskip(NEXT) | instid1(VALU_DEP_1)
	v_fmac_f64_e32 v[8:9], v[8:9], v[10:11]
	v_mul_f64_e32 v[10:11], v[12:13], v[8:9]
	s_delay_alu instid0(VALU_DEP_1) | instskip(NEXT) | instid1(VALU_DEP_1)
	v_fma_f64 v[6:7], -v[6:7], v[10:11], v[12:13]
	v_div_fmas_f64 v[6:7], v[6:7], v[8:9], v[10:11]
	s_delay_alu instid0(VALU_DEP_1) | instskip(NEXT) | instid1(VALU_DEP_1)
	v_div_fixup_f64 v[6:7], v[6:7], v[4:5], v[2:3]
	v_fmac_f64_e32 v[4:5], v[2:3], v[6:7]
	s_delay_alu instid0(VALU_DEP_1) | instskip(SKIP_1) | instid1(VALU_DEP_2)
	v_div_scale_f64 v[2:3], null, v[4:5], v[4:5], 1.0
	v_div_scale_f64 v[12:13], vcc_lo, 1.0, v[4:5], 1.0
	v_rcp_f64_e32 v[8:9], v[2:3]
	v_nop
	s_delay_alu instid0(TRANS32_DEP_1) | instskip(NEXT) | instid1(VALU_DEP_1)
	v_fma_f64 v[10:11], -v[2:3], v[8:9], 1.0
	v_fmac_f64_e32 v[8:9], v[8:9], v[10:11]
	s_delay_alu instid0(VALU_DEP_1) | instskip(NEXT) | instid1(VALU_DEP_1)
	v_fma_f64 v[10:11], -v[2:3], v[8:9], 1.0
	v_fmac_f64_e32 v[8:9], v[8:9], v[10:11]
	s_delay_alu instid0(VALU_DEP_1) | instskip(NEXT) | instid1(VALU_DEP_1)
	v_mul_f64_e32 v[10:11], v[12:13], v[8:9]
	v_fma_f64 v[2:3], -v[2:3], v[10:11], v[12:13]
	s_delay_alu instid0(VALU_DEP_1) | instskip(NEXT) | instid1(VALU_DEP_1)
	v_div_fmas_f64 v[2:3], v[2:3], v[8:9], v[10:11]
	v_div_fixup_f64 v[8:9], v[2:3], v[4:5], 1.0
                                        ; implicit-def: $vgpr2_vgpr3
	s_delay_alu instid0(VALU_DEP_1) | instskip(SKIP_1) | instid1(VALU_DEP_2)
	v_mul_f64_e32 v[6:7], v[6:7], v[8:9]
	v_xor_b32_e32 v9, 0x80000000, v9
	v_xor_b32_e32 v11, 0x80000000, v7
	s_delay_alu instid0(VALU_DEP_3)
	v_mov_b32_e32 v10, v6
.LBB99_15:
	s_and_not1_saveexec_b32 s3, s3
	s_cbranch_execz .LBB99_17
; %bb.16:
	v_div_scale_f64 v[6:7], null, v[2:3], v[2:3], v[4:5]
	v_div_scale_f64 v[12:13], vcc_lo, v[4:5], v[2:3], v[4:5]
	s_delay_alu instid0(VALU_DEP_2) | instskip(SKIP_1) | instid1(TRANS32_DEP_1)
	v_rcp_f64_e32 v[8:9], v[6:7]
	v_nop
	v_fma_f64 v[10:11], -v[6:7], v[8:9], 1.0
	s_delay_alu instid0(VALU_DEP_1) | instskip(NEXT) | instid1(VALU_DEP_1)
	v_fmac_f64_e32 v[8:9], v[8:9], v[10:11]
	v_fma_f64 v[10:11], -v[6:7], v[8:9], 1.0
	s_delay_alu instid0(VALU_DEP_1) | instskip(NEXT) | instid1(VALU_DEP_1)
	v_fmac_f64_e32 v[8:9], v[8:9], v[10:11]
	v_mul_f64_e32 v[10:11], v[12:13], v[8:9]
	s_delay_alu instid0(VALU_DEP_1) | instskip(NEXT) | instid1(VALU_DEP_1)
	v_fma_f64 v[6:7], -v[6:7], v[10:11], v[12:13]
	v_div_fmas_f64 v[6:7], v[6:7], v[8:9], v[10:11]
	s_delay_alu instid0(VALU_DEP_1) | instskip(NEXT) | instid1(VALU_DEP_1)
	v_div_fixup_f64 v[8:9], v[6:7], v[2:3], v[4:5]
	v_fmac_f64_e32 v[2:3], v[4:5], v[8:9]
	s_delay_alu instid0(VALU_DEP_1) | instskip(NEXT) | instid1(VALU_DEP_1)
	v_div_scale_f64 v[4:5], null, v[2:3], v[2:3], 1.0
	v_rcp_f64_e32 v[6:7], v[4:5]
	v_nop
	s_delay_alu instid0(TRANS32_DEP_1) | instskip(NEXT) | instid1(VALU_DEP_1)
	v_fma_f64 v[10:11], -v[4:5], v[6:7], 1.0
	v_fmac_f64_e32 v[6:7], v[6:7], v[10:11]
	s_delay_alu instid0(VALU_DEP_1) | instskip(NEXT) | instid1(VALU_DEP_1)
	v_fma_f64 v[10:11], -v[4:5], v[6:7], 1.0
	v_fmac_f64_e32 v[6:7], v[6:7], v[10:11]
	v_div_scale_f64 v[10:11], vcc_lo, 1.0, v[2:3], 1.0
	s_delay_alu instid0(VALU_DEP_1) | instskip(NEXT) | instid1(VALU_DEP_1)
	v_mul_f64_e32 v[12:13], v[10:11], v[6:7]
	v_fma_f64 v[4:5], -v[4:5], v[12:13], v[10:11]
	s_delay_alu instid0(VALU_DEP_1) | instskip(NEXT) | instid1(VALU_DEP_1)
	v_div_fmas_f64 v[4:5], v[4:5], v[6:7], v[12:13]
	v_div_fixup_f64 v[6:7], v[4:5], v[2:3], 1.0
	s_delay_alu instid0(VALU_DEP_1)
	v_mul_f64_e64 v[8:9], v[8:9], -v[6:7]
	v_xor_b32_e32 v11, 0x80000000, v7
	v_mov_b32_e32 v10, v6
.LBB99_17:
	s_or_b32 exec_lo, exec_lo, s3
	s_clause 0x1
	scratch_store_b128 v19, v[6:9], off
	scratch_load_b128 v[2:5], off, s18
	v_xor_b32_e32 v13, 0x80000000, v9
	v_mov_b32_e32 v12, v8
	s_wait_xcnt 0x1
	v_add_nc_u32_e32 v6, 0x240, v86
	ds_store_b128 v86, v[10:13]
	s_wait_loadcnt 0x0
	ds_store_b128 v86, v[2:5] offset:576
	s_wait_storecnt_dscnt 0x0
	s_barrier_signal -1
	s_barrier_wait -1
	s_wait_xcnt 0x0
	s_and_saveexec_b32 s3, s2
	s_cbranch_execz .LBB99_19
; %bb.18:
	scratch_load_b128 v[2:5], v19, off
	ds_load_b128 v[8:11], v6
	v_mov_b32_e32 v7, 0
	ds_load_b128 v[88:91], v7 offset:16
	s_wait_loadcnt_dscnt 0x1
	v_mul_f64_e32 v[12:13], v[8:9], v[4:5]
	v_mul_f64_e32 v[4:5], v[10:11], v[4:5]
	s_delay_alu instid0(VALU_DEP_2) | instskip(NEXT) | instid1(VALU_DEP_2)
	v_fmac_f64_e32 v[12:13], v[10:11], v[2:3]
	v_fma_f64 v[2:3], v[8:9], v[2:3], -v[4:5]
	s_delay_alu instid0(VALU_DEP_2) | instskip(NEXT) | instid1(VALU_DEP_2)
	v_add_f64_e32 v[8:9], 0, v[12:13]
	v_add_f64_e32 v[2:3], 0, v[2:3]
	s_wait_dscnt 0x0
	s_delay_alu instid0(VALU_DEP_2) | instskip(NEXT) | instid1(VALU_DEP_2)
	v_mul_f64_e32 v[10:11], v[8:9], v[90:91]
	v_mul_f64_e32 v[4:5], v[2:3], v[90:91]
	s_delay_alu instid0(VALU_DEP_2) | instskip(NEXT) | instid1(VALU_DEP_2)
	v_fma_f64 v[2:3], v[2:3], v[88:89], -v[10:11]
	v_fmac_f64_e32 v[4:5], v[8:9], v[88:89]
	scratch_store_b128 off, v[2:5], off offset:16
.LBB99_19:
	s_wait_xcnt 0x0
	s_or_b32 exec_lo, exec_lo, s3
	s_wait_storecnt 0x0
	s_barrier_signal -1
	s_barrier_wait -1
	scratch_load_b128 v[2:5], off, s16
	s_mov_b32 s3, exec_lo
	s_wait_loadcnt 0x0
	ds_store_b128 v6, v[2:5]
	s_wait_dscnt 0x0
	s_barrier_signal -1
	s_barrier_wait -1
	v_cmpx_gt_u32_e32 2, v1
	s_cbranch_execz .LBB99_23
; %bb.20:
	scratch_load_b128 v[2:5], v19, off
	ds_load_b128 v[8:11], v6
	s_wait_loadcnt_dscnt 0x0
	v_mul_f64_e32 v[12:13], v[10:11], v[4:5]
	v_mul_f64_e32 v[88:89], v[8:9], v[4:5]
	s_delay_alu instid0(VALU_DEP_2) | instskip(NEXT) | instid1(VALU_DEP_2)
	v_fma_f64 v[4:5], v[8:9], v[2:3], -v[12:13]
	v_fmac_f64_e32 v[88:89], v[10:11], v[2:3]
	s_delay_alu instid0(VALU_DEP_2) | instskip(NEXT) | instid1(VALU_DEP_2)
	v_add_f64_e32 v[4:5], 0, v[4:5]
	v_add_f64_e32 v[2:3], 0, v[88:89]
	s_and_saveexec_b32 s49, s2
	s_cbranch_execz .LBB99_22
; %bb.21:
	scratch_load_b128 v[8:11], off, off offset:16
	v_mov_b32_e32 v7, 0
	ds_load_b128 v[88:91], v7 offset:592
	s_wait_loadcnt_dscnt 0x0
	v_mul_f64_e32 v[12:13], v[88:89], v[10:11]
	v_mul_f64_e32 v[10:11], v[90:91], v[10:11]
	s_delay_alu instid0(VALU_DEP_2) | instskip(NEXT) | instid1(VALU_DEP_2)
	v_fmac_f64_e32 v[12:13], v[90:91], v[8:9]
	v_fma_f64 v[8:9], v[88:89], v[8:9], -v[10:11]
	s_delay_alu instid0(VALU_DEP_2) | instskip(NEXT) | instid1(VALU_DEP_2)
	v_add_f64_e32 v[2:3], v[2:3], v[12:13]
	v_add_f64_e32 v[4:5], v[4:5], v[8:9]
.LBB99_22:
	s_or_b32 exec_lo, exec_lo, s49
	v_mov_b32_e32 v7, 0
	ds_load_b128 v[8:11], v7 offset:32
	s_wait_dscnt 0x0
	v_mul_f64_e32 v[88:89], v[2:3], v[10:11]
	v_mul_f64_e32 v[12:13], v[4:5], v[10:11]
	s_delay_alu instid0(VALU_DEP_2) | instskip(NEXT) | instid1(VALU_DEP_2)
	v_fma_f64 v[10:11], v[4:5], v[8:9], -v[88:89]
	v_fmac_f64_e32 v[12:13], v[2:3], v[8:9]
	scratch_store_b128 off, v[10:13], off offset:32
.LBB99_23:
	s_wait_xcnt 0x0
	s_or_b32 exec_lo, exec_lo, s3
	s_wait_storecnt 0x0
	s_barrier_signal -1
	s_barrier_wait -1
	scratch_load_b128 v[2:5], off, s14
	v_add_nc_u32_e32 v7, -1, v1
	s_mov_b32 s2, exec_lo
	s_wait_loadcnt 0x0
	ds_store_b128 v6, v[2:5]
	s_wait_dscnt 0x0
	s_barrier_signal -1
	s_barrier_wait -1
	v_cmpx_gt_u32_e32 3, v1
	s_cbranch_execz .LBB99_27
; %bb.24:
	v_dual_mov_b32 v10, v86 :: v_dual_add_nc_u32 v8, -1, v1
	v_mov_b64_e32 v[2:3], 0
	v_mov_b64_e32 v[4:5], 0
	v_add_nc_u32_e32 v9, 0x240, v86
	s_delay_alu instid0(VALU_DEP_4)
	v_or_b32_e32 v10, 8, v10
	s_mov_b32 s3, 0
.LBB99_25:                              ; =>This Inner Loop Header: Depth=1
	scratch_load_b128 v[88:91], v10, off offset:-8
	ds_load_b128 v[92:95], v9
	v_dual_add_nc_u32 v8, 1, v8 :: v_dual_add_nc_u32 v9, 16, v9
	s_wait_xcnt 0x0
	v_add_nc_u32_e32 v10, 16, v10
	s_delay_alu instid0(VALU_DEP_2) | instskip(SKIP_4) | instid1(VALU_DEP_2)
	v_cmp_lt_u32_e32 vcc_lo, 1, v8
	s_or_b32 s3, vcc_lo, s3
	s_wait_loadcnt_dscnt 0x0
	v_mul_f64_e32 v[12:13], v[94:95], v[90:91]
	v_mul_f64_e32 v[90:91], v[92:93], v[90:91]
	v_fma_f64 v[12:13], v[92:93], v[88:89], -v[12:13]
	s_delay_alu instid0(VALU_DEP_2) | instskip(NEXT) | instid1(VALU_DEP_2)
	v_fmac_f64_e32 v[90:91], v[94:95], v[88:89]
	v_add_f64_e32 v[4:5], v[4:5], v[12:13]
	s_delay_alu instid0(VALU_DEP_2)
	v_add_f64_e32 v[2:3], v[2:3], v[90:91]
	s_and_not1_b32 exec_lo, exec_lo, s3
	s_cbranch_execnz .LBB99_25
; %bb.26:
	s_or_b32 exec_lo, exec_lo, s3
	v_mov_b32_e32 v8, 0
	ds_load_b128 v[8:11], v8 offset:48
	s_wait_dscnt 0x0
	v_mul_f64_e32 v[88:89], v[2:3], v[10:11]
	v_mul_f64_e32 v[12:13], v[4:5], v[10:11]
	s_delay_alu instid0(VALU_DEP_2) | instskip(NEXT) | instid1(VALU_DEP_2)
	v_fma_f64 v[10:11], v[4:5], v[8:9], -v[88:89]
	v_fmac_f64_e32 v[12:13], v[2:3], v[8:9]
	scratch_store_b128 off, v[10:13], off offset:48
.LBB99_27:
	s_wait_xcnt 0x0
	s_or_b32 exec_lo, exec_lo, s2
	s_wait_storecnt 0x0
	s_barrier_signal -1
	s_barrier_wait -1
	scratch_load_b128 v[2:5], off, s12
	s_mov_b32 s2, exec_lo
	s_wait_loadcnt 0x0
	ds_store_b128 v6, v[2:5]
	s_wait_dscnt 0x0
	s_barrier_signal -1
	s_barrier_wait -1
	v_cmpx_gt_u32_e32 4, v1
	s_cbranch_execz .LBB99_31
; %bb.28:
	v_dual_mov_b32 v10, v86 :: v_dual_add_nc_u32 v8, -1, v1
	v_mov_b64_e32 v[2:3], 0
	v_mov_b64_e32 v[4:5], 0
	v_add_nc_u32_e32 v9, 0x240, v86
	s_delay_alu instid0(VALU_DEP_4)
	v_or_b32_e32 v10, 8, v10
	s_mov_b32 s3, 0
.LBB99_29:                              ; =>This Inner Loop Header: Depth=1
	scratch_load_b128 v[88:91], v10, off offset:-8
	ds_load_b128 v[92:95], v9
	v_dual_add_nc_u32 v8, 1, v8 :: v_dual_add_nc_u32 v9, 16, v9
	s_wait_xcnt 0x0
	v_add_nc_u32_e32 v10, 16, v10
	s_delay_alu instid0(VALU_DEP_2) | instskip(SKIP_4) | instid1(VALU_DEP_2)
	v_cmp_lt_u32_e32 vcc_lo, 2, v8
	s_or_b32 s3, vcc_lo, s3
	s_wait_loadcnt_dscnt 0x0
	v_mul_f64_e32 v[12:13], v[94:95], v[90:91]
	v_mul_f64_e32 v[90:91], v[92:93], v[90:91]
	v_fma_f64 v[12:13], v[92:93], v[88:89], -v[12:13]
	s_delay_alu instid0(VALU_DEP_2) | instskip(NEXT) | instid1(VALU_DEP_2)
	v_fmac_f64_e32 v[90:91], v[94:95], v[88:89]
	v_add_f64_e32 v[4:5], v[4:5], v[12:13]
	s_delay_alu instid0(VALU_DEP_2)
	v_add_f64_e32 v[2:3], v[2:3], v[90:91]
	s_and_not1_b32 exec_lo, exec_lo, s3
	s_cbranch_execnz .LBB99_29
; %bb.30:
	s_or_b32 exec_lo, exec_lo, s3
	v_mov_b32_e32 v8, 0
	ds_load_b128 v[8:11], v8 offset:64
	s_wait_dscnt 0x0
	v_mul_f64_e32 v[88:89], v[2:3], v[10:11]
	v_mul_f64_e32 v[12:13], v[4:5], v[10:11]
	s_delay_alu instid0(VALU_DEP_2) | instskip(NEXT) | instid1(VALU_DEP_2)
	v_fma_f64 v[10:11], v[4:5], v[8:9], -v[88:89]
	v_fmac_f64_e32 v[12:13], v[2:3], v[8:9]
	scratch_store_b128 off, v[10:13], off offset:64
.LBB99_31:
	s_wait_xcnt 0x0
	s_or_b32 exec_lo, exec_lo, s2
	s_wait_storecnt 0x0
	s_barrier_signal -1
	s_barrier_wait -1
	scratch_load_b128 v[2:5], off, s47
	;; [unrolled: 54-line block ×19, first 2 shown]
	s_mov_b32 s2, exec_lo
	s_wait_loadcnt 0x0
	ds_store_b128 v6, v[2:5]
	s_wait_dscnt 0x0
	s_barrier_signal -1
	s_barrier_wait -1
	v_cmpx_gt_u32_e32 22, v1
	s_cbranch_execz .LBB99_103
; %bb.100:
	v_dual_mov_b32 v10, v86 :: v_dual_add_nc_u32 v8, -1, v1
	v_mov_b64_e32 v[2:3], 0
	v_mov_b64_e32 v[4:5], 0
	v_add_nc_u32_e32 v9, 0x240, v86
	s_delay_alu instid0(VALU_DEP_4)
	v_or_b32_e32 v10, 8, v10
	s_mov_b32 s3, 0
.LBB99_101:                             ; =>This Inner Loop Header: Depth=1
	scratch_load_b128 v[88:91], v10, off offset:-8
	ds_load_b128 v[92:95], v9
	v_dual_add_nc_u32 v8, 1, v8 :: v_dual_add_nc_u32 v9, 16, v9
	s_wait_xcnt 0x0
	v_add_nc_u32_e32 v10, 16, v10
	s_delay_alu instid0(VALU_DEP_2) | instskip(SKIP_4) | instid1(VALU_DEP_2)
	v_cmp_lt_u32_e32 vcc_lo, 20, v8
	s_or_b32 s3, vcc_lo, s3
	s_wait_loadcnt_dscnt 0x0
	v_mul_f64_e32 v[12:13], v[94:95], v[90:91]
	v_mul_f64_e32 v[90:91], v[92:93], v[90:91]
	v_fma_f64 v[12:13], v[92:93], v[88:89], -v[12:13]
	s_delay_alu instid0(VALU_DEP_2) | instskip(NEXT) | instid1(VALU_DEP_2)
	v_fmac_f64_e32 v[90:91], v[94:95], v[88:89]
	v_add_f64_e32 v[4:5], v[4:5], v[12:13]
	s_delay_alu instid0(VALU_DEP_2)
	v_add_f64_e32 v[2:3], v[2:3], v[90:91]
	s_and_not1_b32 exec_lo, exec_lo, s3
	s_cbranch_execnz .LBB99_101
; %bb.102:
	s_or_b32 exec_lo, exec_lo, s3
	v_mov_b32_e32 v8, 0
	ds_load_b128 v[8:11], v8 offset:352
	s_wait_dscnt 0x0
	v_mul_f64_e32 v[88:89], v[2:3], v[10:11]
	v_mul_f64_e32 v[12:13], v[4:5], v[10:11]
	s_delay_alu instid0(VALU_DEP_2) | instskip(NEXT) | instid1(VALU_DEP_2)
	v_fma_f64 v[10:11], v[4:5], v[8:9], -v[88:89]
	v_fmac_f64_e32 v[12:13], v[2:3], v[8:9]
	scratch_store_b128 off, v[10:13], off offset:352
.LBB99_103:
	s_wait_xcnt 0x0
	s_or_b32 exec_lo, exec_lo, s2
	s_wait_storecnt 0x0
	s_barrier_signal -1
	s_barrier_wait -1
	scratch_load_b128 v[2:5], off, s28
	s_mov_b32 s2, exec_lo
	s_wait_loadcnt 0x0
	ds_store_b128 v6, v[2:5]
	s_wait_dscnt 0x0
	s_barrier_signal -1
	s_barrier_wait -1
	v_cmpx_gt_u32_e32 23, v1
	s_cbranch_execz .LBB99_107
; %bb.104:
	v_dual_mov_b32 v10, v86 :: v_dual_add_nc_u32 v8, -1, v1
	v_mov_b64_e32 v[2:3], 0
	v_mov_b64_e32 v[4:5], 0
	v_add_nc_u32_e32 v9, 0x240, v86
	s_delay_alu instid0(VALU_DEP_4)
	v_or_b32_e32 v10, 8, v10
	s_mov_b32 s3, 0
.LBB99_105:                             ; =>This Inner Loop Header: Depth=1
	scratch_load_b128 v[88:91], v10, off offset:-8
	ds_load_b128 v[92:95], v9
	v_dual_add_nc_u32 v8, 1, v8 :: v_dual_add_nc_u32 v9, 16, v9
	s_wait_xcnt 0x0
	v_add_nc_u32_e32 v10, 16, v10
	s_delay_alu instid0(VALU_DEP_2) | instskip(SKIP_4) | instid1(VALU_DEP_2)
	v_cmp_lt_u32_e32 vcc_lo, 21, v8
	s_or_b32 s3, vcc_lo, s3
	s_wait_loadcnt_dscnt 0x0
	v_mul_f64_e32 v[12:13], v[94:95], v[90:91]
	v_mul_f64_e32 v[90:91], v[92:93], v[90:91]
	v_fma_f64 v[12:13], v[92:93], v[88:89], -v[12:13]
	s_delay_alu instid0(VALU_DEP_2) | instskip(NEXT) | instid1(VALU_DEP_2)
	v_fmac_f64_e32 v[90:91], v[94:95], v[88:89]
	v_add_f64_e32 v[4:5], v[4:5], v[12:13]
	s_delay_alu instid0(VALU_DEP_2)
	v_add_f64_e32 v[2:3], v[2:3], v[90:91]
	s_and_not1_b32 exec_lo, exec_lo, s3
	s_cbranch_execnz .LBB99_105
; %bb.106:
	s_or_b32 exec_lo, exec_lo, s3
	v_mov_b32_e32 v8, 0
	ds_load_b128 v[8:11], v8 offset:368
	s_wait_dscnt 0x0
	v_mul_f64_e32 v[88:89], v[2:3], v[10:11]
	v_mul_f64_e32 v[12:13], v[4:5], v[10:11]
	s_delay_alu instid0(VALU_DEP_2) | instskip(NEXT) | instid1(VALU_DEP_2)
	v_fma_f64 v[10:11], v[4:5], v[8:9], -v[88:89]
	v_fmac_f64_e32 v[12:13], v[2:3], v[8:9]
	scratch_store_b128 off, v[10:13], off offset:368
.LBB99_107:
	s_wait_xcnt 0x0
	s_or_b32 exec_lo, exec_lo, s2
	s_wait_storecnt 0x0
	s_barrier_signal -1
	s_barrier_wait -1
	scratch_load_b128 v[2:5], off, s27
	;; [unrolled: 54-line block ×13, first 2 shown]
	s_mov_b32 s2, exec_lo
	s_wait_loadcnt 0x0
	ds_store_b128 v6, v[2:5]
	s_wait_dscnt 0x0
	s_barrier_signal -1
	s_barrier_wait -1
	v_cmpx_ne_u32_e32 35, v1
	s_cbranch_execz .LBB99_155
; %bb.152:
	v_mov_b32_e32 v8, v86
	v_mov_b64_e32 v[2:3], 0
	v_mov_b64_e32 v[4:5], 0
	s_mov_b32 s3, 0
	s_delay_alu instid0(VALU_DEP_3)
	v_or_b32_e32 v8, 8, v8
.LBB99_153:                             ; =>This Inner Loop Header: Depth=1
	scratch_load_b128 v[10:13], v8, off offset:-8
	ds_load_b128 v[86:89], v6
	v_dual_add_nc_u32 v7, 1, v7 :: v_dual_add_nc_u32 v6, 16, v6
	s_wait_xcnt 0x0
	v_add_nc_u32_e32 v8, 16, v8
	s_delay_alu instid0(VALU_DEP_2) | instskip(SKIP_4) | instid1(VALU_DEP_2)
	v_cmp_lt_u32_e32 vcc_lo, 33, v7
	s_or_b32 s3, vcc_lo, s3
	s_wait_loadcnt_dscnt 0x0
	v_mul_f64_e32 v[90:91], v[88:89], v[12:13]
	v_mul_f64_e32 v[12:13], v[86:87], v[12:13]
	v_fma_f64 v[86:87], v[86:87], v[10:11], -v[90:91]
	s_delay_alu instid0(VALU_DEP_2) | instskip(NEXT) | instid1(VALU_DEP_2)
	v_fmac_f64_e32 v[12:13], v[88:89], v[10:11]
	v_add_f64_e32 v[4:5], v[4:5], v[86:87]
	s_delay_alu instid0(VALU_DEP_2)
	v_add_f64_e32 v[2:3], v[2:3], v[12:13]
	s_and_not1_b32 exec_lo, exec_lo, s3
	s_cbranch_execnz .LBB99_153
; %bb.154:
	s_or_b32 exec_lo, exec_lo, s3
	v_mov_b32_e32 v6, 0
	ds_load_b128 v[6:9], v6 offset:560
	s_wait_dscnt 0x0
	v_mul_f64_e32 v[12:13], v[2:3], v[8:9]
	v_mul_f64_e32 v[10:11], v[4:5], v[8:9]
	s_delay_alu instid0(VALU_DEP_2) | instskip(NEXT) | instid1(VALU_DEP_2)
	v_fma_f64 v[8:9], v[4:5], v[6:7], -v[12:13]
	v_fmac_f64_e32 v[10:11], v[2:3], v[6:7]
	scratch_store_b128 off, v[8:11], off offset:560
.LBB99_155:
	s_wait_xcnt 0x0
	s_or_b32 exec_lo, exec_lo, s2
	s_mov_b32 s3, -1
	s_wait_storecnt 0x0
	s_barrier_signal -1
	s_barrier_wait -1
.LBB99_156:
	s_and_b32 vcc_lo, exec_lo, s3
	s_cbranch_vccz .LBB99_158
; %bb.157:
	s_wait_xcnt 0x0
	v_mov_b32_e32 v2, 0
	s_lshl_b64 s[2:3], s[10:11], 2
	s_delay_alu instid0(SALU_CYCLE_1)
	s_add_nc_u64 s[2:3], s[6:7], s[2:3]
	global_load_b32 v2, v2, s[2:3]
	s_wait_loadcnt 0x0
	v_cmp_ne_u32_e32 vcc_lo, 0, v2
	s_cbranch_vccz .LBB99_159
.LBB99_158:
	s_sendmsg sendmsg(MSG_DEALLOC_VGPRS)
	s_endpgm
.LBB99_159:
	v_lshl_add_u32 v6, v1, 4, 0x240
	s_wait_xcnt 0x0
	s_mov_b32 s2, exec_lo
	v_cmpx_eq_u32_e32 35, v1
	s_cbranch_execz .LBB99_161
; %bb.160:
	scratch_load_b128 v[2:5], off, s15
	v_mov_b32_e32 v8, 0
	s_delay_alu instid0(VALU_DEP_1)
	v_dual_mov_b32 v9, v8 :: v_dual_mov_b32 v10, v8
	v_mov_b32_e32 v11, v8
	scratch_store_b128 off, v[8:11], off offset:544
	s_wait_loadcnt 0x0
	ds_store_b128 v6, v[2:5]
.LBB99_161:
	s_wait_xcnt 0x0
	s_or_b32 exec_lo, exec_lo, s2
	s_wait_storecnt_dscnt 0x0
	s_barrier_signal -1
	s_barrier_wait -1
	s_clause 0x1
	scratch_load_b128 v[8:11], off, off offset:560
	scratch_load_b128 v[86:89], off, off offset:544
	v_mov_b32_e32 v2, 0
	s_mov_b32 s2, exec_lo
	ds_load_b128 v[90:93], v2 offset:1136
	s_wait_loadcnt_dscnt 0x100
	v_mul_f64_e32 v[4:5], v[92:93], v[10:11]
	v_mul_f64_e32 v[10:11], v[90:91], v[10:11]
	s_delay_alu instid0(VALU_DEP_2) | instskip(NEXT) | instid1(VALU_DEP_2)
	v_fma_f64 v[4:5], v[90:91], v[8:9], -v[4:5]
	v_fmac_f64_e32 v[10:11], v[92:93], v[8:9]
	s_delay_alu instid0(VALU_DEP_2) | instskip(NEXT) | instid1(VALU_DEP_2)
	v_add_f64_e32 v[4:5], 0, v[4:5]
	v_add_f64_e32 v[10:11], 0, v[10:11]
	s_wait_loadcnt 0x0
	s_delay_alu instid0(VALU_DEP_2) | instskip(NEXT) | instid1(VALU_DEP_2)
	v_add_f64_e64 v[8:9], v[86:87], -v[4:5]
	v_add_f64_e64 v[10:11], v[88:89], -v[10:11]
	scratch_store_b128 off, v[8:11], off offset:544
	s_wait_xcnt 0x0
	v_cmpx_lt_u32_e32 33, v1
	s_cbranch_execz .LBB99_163
; %bb.162:
	scratch_load_b128 v[8:11], off, s17
	v_dual_mov_b32 v3, v2 :: v_dual_mov_b32 v4, v2
	v_mov_b32_e32 v5, v2
	scratch_store_b128 off, v[2:5], off offset:528
	s_wait_loadcnt 0x0
	ds_store_b128 v6, v[8:11]
.LBB99_163:
	s_wait_xcnt 0x0
	s_or_b32 exec_lo, exec_lo, s2
	s_wait_storecnt_dscnt 0x0
	s_barrier_signal -1
	s_barrier_wait -1
	s_clause 0x2
	scratch_load_b128 v[8:11], off, off offset:544
	scratch_load_b128 v[86:89], off, off offset:560
	;; [unrolled: 1-line block ×3, first 2 shown]
	ds_load_b128 v[94:97], v2 offset:1120
	ds_load_b128 v[2:5], v2 offset:1136
	s_mov_b32 s2, exec_lo
	s_wait_loadcnt_dscnt 0x201
	v_mul_f64_e32 v[12:13], v[96:97], v[10:11]
	v_mul_f64_e32 v[10:11], v[94:95], v[10:11]
	s_wait_loadcnt_dscnt 0x100
	v_mul_f64_e32 v[98:99], v[2:3], v[88:89]
	v_mul_f64_e32 v[88:89], v[4:5], v[88:89]
	s_delay_alu instid0(VALU_DEP_4) | instskip(NEXT) | instid1(VALU_DEP_4)
	v_fma_f64 v[12:13], v[94:95], v[8:9], -v[12:13]
	v_fmac_f64_e32 v[10:11], v[96:97], v[8:9]
	s_delay_alu instid0(VALU_DEP_4) | instskip(NEXT) | instid1(VALU_DEP_4)
	v_fmac_f64_e32 v[98:99], v[4:5], v[86:87]
	v_fma_f64 v[2:3], v[2:3], v[86:87], -v[88:89]
	s_delay_alu instid0(VALU_DEP_4) | instskip(NEXT) | instid1(VALU_DEP_4)
	v_add_f64_e32 v[4:5], 0, v[12:13]
	v_add_f64_e32 v[8:9], 0, v[10:11]
	s_delay_alu instid0(VALU_DEP_2) | instskip(NEXT) | instid1(VALU_DEP_2)
	v_add_f64_e32 v[2:3], v[4:5], v[2:3]
	v_add_f64_e32 v[4:5], v[8:9], v[98:99]
	s_wait_loadcnt 0x0
	s_delay_alu instid0(VALU_DEP_2) | instskip(NEXT) | instid1(VALU_DEP_2)
	v_add_f64_e64 v[2:3], v[90:91], -v[2:3]
	v_add_f64_e64 v[4:5], v[92:93], -v[4:5]
	scratch_store_b128 off, v[2:5], off offset:528
	s_wait_xcnt 0x0
	v_cmpx_lt_u32_e32 32, v1
	s_cbranch_execz .LBB99_165
; %bb.164:
	scratch_load_b128 v[2:5], off, s19
	v_mov_b32_e32 v8, 0
	s_delay_alu instid0(VALU_DEP_1)
	v_dual_mov_b32 v9, v8 :: v_dual_mov_b32 v10, v8
	v_mov_b32_e32 v11, v8
	scratch_store_b128 off, v[8:11], off offset:512
	s_wait_loadcnt 0x0
	ds_store_b128 v6, v[2:5]
.LBB99_165:
	s_wait_xcnt 0x0
	s_or_b32 exec_lo, exec_lo, s2
	s_wait_storecnt_dscnt 0x0
	s_barrier_signal -1
	s_barrier_wait -1
	s_clause 0x3
	scratch_load_b128 v[8:11], off, off offset:528
	scratch_load_b128 v[86:89], off, off offset:544
	;; [unrolled: 1-line block ×4, first 2 shown]
	v_mov_b32_e32 v2, 0
	ds_load_b128 v[98:101], v2 offset:1104
	ds_load_b128 v[102:105], v2 offset:1120
	s_mov_b32 s2, exec_lo
	s_wait_loadcnt_dscnt 0x301
	v_mul_f64_e32 v[4:5], v[100:101], v[10:11]
	v_mul_f64_e32 v[12:13], v[98:99], v[10:11]
	s_wait_loadcnt_dscnt 0x200
	v_mul_f64_e32 v[106:107], v[102:103], v[88:89]
	v_mul_f64_e32 v[88:89], v[104:105], v[88:89]
	s_delay_alu instid0(VALU_DEP_4) | instskip(NEXT) | instid1(VALU_DEP_4)
	v_fma_f64 v[4:5], v[98:99], v[8:9], -v[4:5]
	v_fmac_f64_e32 v[12:13], v[100:101], v[8:9]
	ds_load_b128 v[8:11], v2 offset:1136
	v_fmac_f64_e32 v[106:107], v[104:105], v[86:87]
	v_fma_f64 v[86:87], v[102:103], v[86:87], -v[88:89]
	s_wait_loadcnt_dscnt 0x100
	v_mul_f64_e32 v[98:99], v[8:9], v[92:93]
	v_mul_f64_e32 v[92:93], v[10:11], v[92:93]
	v_add_f64_e32 v[4:5], 0, v[4:5]
	v_add_f64_e32 v[12:13], 0, v[12:13]
	s_delay_alu instid0(VALU_DEP_4) | instskip(NEXT) | instid1(VALU_DEP_4)
	v_fmac_f64_e32 v[98:99], v[10:11], v[90:91]
	v_fma_f64 v[8:9], v[8:9], v[90:91], -v[92:93]
	s_delay_alu instid0(VALU_DEP_4) | instskip(NEXT) | instid1(VALU_DEP_4)
	v_add_f64_e32 v[4:5], v[4:5], v[86:87]
	v_add_f64_e32 v[10:11], v[12:13], v[106:107]
	s_delay_alu instid0(VALU_DEP_2) | instskip(NEXT) | instid1(VALU_DEP_2)
	v_add_f64_e32 v[4:5], v[4:5], v[8:9]
	v_add_f64_e32 v[10:11], v[10:11], v[98:99]
	s_wait_loadcnt 0x0
	s_delay_alu instid0(VALU_DEP_2) | instskip(NEXT) | instid1(VALU_DEP_2)
	v_add_f64_e64 v[8:9], v[94:95], -v[4:5]
	v_add_f64_e64 v[10:11], v[96:97], -v[10:11]
	scratch_store_b128 off, v[8:11], off offset:512
	s_wait_xcnt 0x0
	v_cmpx_lt_u32_e32 31, v1
	s_cbranch_execz .LBB99_167
; %bb.166:
	scratch_load_b128 v[8:11], off, s20
	v_dual_mov_b32 v3, v2 :: v_dual_mov_b32 v4, v2
	v_mov_b32_e32 v5, v2
	scratch_store_b128 off, v[2:5], off offset:496
	s_wait_loadcnt 0x0
	ds_store_b128 v6, v[8:11]
.LBB99_167:
	s_wait_xcnt 0x0
	s_or_b32 exec_lo, exec_lo, s2
	s_wait_storecnt_dscnt 0x0
	s_barrier_signal -1
	s_barrier_wait -1
	s_clause 0x4
	scratch_load_b128 v[8:11], off, off offset:512
	scratch_load_b128 v[86:89], off, off offset:528
	;; [unrolled: 1-line block ×5, first 2 shown]
	ds_load_b128 v[102:105], v2 offset:1088
	ds_load_b128 v[106:109], v2 offset:1104
	s_mov_b32 s2, exec_lo
	s_wait_loadcnt_dscnt 0x401
	v_mul_f64_e32 v[4:5], v[104:105], v[10:11]
	v_mul_f64_e32 v[12:13], v[102:103], v[10:11]
	s_wait_loadcnt_dscnt 0x300
	v_mul_f64_e32 v[110:111], v[106:107], v[88:89]
	v_mul_f64_e32 v[88:89], v[108:109], v[88:89]
	s_delay_alu instid0(VALU_DEP_4) | instskip(NEXT) | instid1(VALU_DEP_4)
	v_fma_f64 v[102:103], v[102:103], v[8:9], -v[4:5]
	v_fmac_f64_e32 v[12:13], v[104:105], v[8:9]
	ds_load_b128 v[8:11], v2 offset:1120
	ds_load_b128 v[2:5], v2 offset:1136
	v_fmac_f64_e32 v[110:111], v[108:109], v[86:87]
	v_fma_f64 v[86:87], v[106:107], v[86:87], -v[88:89]
	s_wait_loadcnt_dscnt 0x201
	v_mul_f64_e32 v[104:105], v[8:9], v[92:93]
	v_mul_f64_e32 v[92:93], v[10:11], v[92:93]
	v_add_f64_e32 v[88:89], 0, v[102:103]
	v_add_f64_e32 v[12:13], 0, v[12:13]
	s_wait_loadcnt_dscnt 0x100
	v_mul_f64_e32 v[102:103], v[2:3], v[96:97]
	v_mul_f64_e32 v[96:97], v[4:5], v[96:97]
	v_fmac_f64_e32 v[104:105], v[10:11], v[90:91]
	v_fma_f64 v[8:9], v[8:9], v[90:91], -v[92:93]
	v_add_f64_e32 v[10:11], v[88:89], v[86:87]
	v_add_f64_e32 v[12:13], v[12:13], v[110:111]
	v_fmac_f64_e32 v[102:103], v[4:5], v[94:95]
	v_fma_f64 v[2:3], v[2:3], v[94:95], -v[96:97]
	s_delay_alu instid0(VALU_DEP_4) | instskip(NEXT) | instid1(VALU_DEP_4)
	v_add_f64_e32 v[4:5], v[10:11], v[8:9]
	v_add_f64_e32 v[8:9], v[12:13], v[104:105]
	s_delay_alu instid0(VALU_DEP_2) | instskip(NEXT) | instid1(VALU_DEP_2)
	v_add_f64_e32 v[2:3], v[4:5], v[2:3]
	v_add_f64_e32 v[4:5], v[8:9], v[102:103]
	s_wait_loadcnt 0x0
	s_delay_alu instid0(VALU_DEP_2) | instskip(NEXT) | instid1(VALU_DEP_2)
	v_add_f64_e64 v[2:3], v[98:99], -v[2:3]
	v_add_f64_e64 v[4:5], v[100:101], -v[4:5]
	scratch_store_b128 off, v[2:5], off offset:496
	s_wait_xcnt 0x0
	v_cmpx_lt_u32_e32 30, v1
	s_cbranch_execz .LBB99_169
; %bb.168:
	scratch_load_b128 v[2:5], off, s21
	v_mov_b32_e32 v8, 0
	s_delay_alu instid0(VALU_DEP_1)
	v_dual_mov_b32 v9, v8 :: v_dual_mov_b32 v10, v8
	v_mov_b32_e32 v11, v8
	scratch_store_b128 off, v[8:11], off offset:480
	s_wait_loadcnt 0x0
	ds_store_b128 v6, v[2:5]
.LBB99_169:
	s_wait_xcnt 0x0
	s_or_b32 exec_lo, exec_lo, s2
	s_wait_storecnt_dscnt 0x0
	s_barrier_signal -1
	s_barrier_wait -1
	s_clause 0x5
	scratch_load_b128 v[8:11], off, off offset:496
	scratch_load_b128 v[86:89], off, off offset:512
	;; [unrolled: 1-line block ×6, first 2 shown]
	v_mov_b32_e32 v2, 0
	ds_load_b128 v[106:109], v2 offset:1072
	ds_load_b128 v[110:113], v2 offset:1088
	s_mov_b32 s2, exec_lo
	s_wait_loadcnt_dscnt 0x501
	v_mul_f64_e32 v[4:5], v[108:109], v[10:11]
	v_mul_f64_e32 v[12:13], v[106:107], v[10:11]
	s_wait_loadcnt_dscnt 0x400
	v_mul_f64_e32 v[114:115], v[110:111], v[88:89]
	v_mul_f64_e32 v[88:89], v[112:113], v[88:89]
	s_delay_alu instid0(VALU_DEP_4) | instskip(NEXT) | instid1(VALU_DEP_4)
	v_fma_f64 v[4:5], v[106:107], v[8:9], -v[4:5]
	v_fmac_f64_e32 v[12:13], v[108:109], v[8:9]
	ds_load_b128 v[8:11], v2 offset:1104
	ds_load_b128 v[106:109], v2 offset:1120
	v_fmac_f64_e32 v[114:115], v[112:113], v[86:87]
	v_fma_f64 v[86:87], v[110:111], v[86:87], -v[88:89]
	s_wait_loadcnt_dscnt 0x301
	v_mul_f64_e32 v[116:117], v[8:9], v[92:93]
	v_mul_f64_e32 v[92:93], v[10:11], v[92:93]
	s_wait_loadcnt_dscnt 0x200
	v_mul_f64_e32 v[88:89], v[106:107], v[96:97]
	v_mul_f64_e32 v[96:97], v[108:109], v[96:97]
	v_add_f64_e32 v[4:5], 0, v[4:5]
	v_add_f64_e32 v[12:13], 0, v[12:13]
	v_fmac_f64_e32 v[116:117], v[10:11], v[90:91]
	v_fma_f64 v[90:91], v[8:9], v[90:91], -v[92:93]
	ds_load_b128 v[8:11], v2 offset:1136
	v_fmac_f64_e32 v[88:89], v[108:109], v[94:95]
	v_fma_f64 v[94:95], v[106:107], v[94:95], -v[96:97]
	v_add_f64_e32 v[4:5], v[4:5], v[86:87]
	v_add_f64_e32 v[12:13], v[12:13], v[114:115]
	s_wait_loadcnt_dscnt 0x100
	v_mul_f64_e32 v[86:87], v[8:9], v[100:101]
	v_mul_f64_e32 v[92:93], v[10:11], v[100:101]
	s_delay_alu instid0(VALU_DEP_4) | instskip(NEXT) | instid1(VALU_DEP_4)
	v_add_f64_e32 v[4:5], v[4:5], v[90:91]
	v_add_f64_e32 v[12:13], v[12:13], v[116:117]
	s_delay_alu instid0(VALU_DEP_4) | instskip(NEXT) | instid1(VALU_DEP_4)
	v_fmac_f64_e32 v[86:87], v[10:11], v[98:99]
	v_fma_f64 v[8:9], v[8:9], v[98:99], -v[92:93]
	s_delay_alu instid0(VALU_DEP_4) | instskip(NEXT) | instid1(VALU_DEP_4)
	v_add_f64_e32 v[4:5], v[4:5], v[94:95]
	v_add_f64_e32 v[10:11], v[12:13], v[88:89]
	s_delay_alu instid0(VALU_DEP_2) | instskip(NEXT) | instid1(VALU_DEP_2)
	v_add_f64_e32 v[4:5], v[4:5], v[8:9]
	v_add_f64_e32 v[10:11], v[10:11], v[86:87]
	s_wait_loadcnt 0x0
	s_delay_alu instid0(VALU_DEP_2) | instskip(NEXT) | instid1(VALU_DEP_2)
	v_add_f64_e64 v[8:9], v[102:103], -v[4:5]
	v_add_f64_e64 v[10:11], v[104:105], -v[10:11]
	scratch_store_b128 off, v[8:11], off offset:480
	s_wait_xcnt 0x0
	v_cmpx_lt_u32_e32 29, v1
	s_cbranch_execz .LBB99_171
; %bb.170:
	scratch_load_b128 v[8:11], off, s22
	v_dual_mov_b32 v3, v2 :: v_dual_mov_b32 v4, v2
	v_mov_b32_e32 v5, v2
	scratch_store_b128 off, v[2:5], off offset:464
	s_wait_loadcnt 0x0
	ds_store_b128 v6, v[8:11]
.LBB99_171:
	s_wait_xcnt 0x0
	s_or_b32 exec_lo, exec_lo, s2
	s_wait_storecnt_dscnt 0x0
	s_barrier_signal -1
	s_barrier_wait -1
	s_clause 0x6
	scratch_load_b128 v[8:11], off, off offset:480
	scratch_load_b128 v[86:89], off, off offset:496
	;; [unrolled: 1-line block ×7, first 2 shown]
	ds_load_b128 v[110:113], v2 offset:1056
	ds_load_b128 v[114:117], v2 offset:1072
	s_mov_b32 s2, exec_lo
	s_wait_loadcnt_dscnt 0x601
	v_mul_f64_e32 v[4:5], v[112:113], v[10:11]
	v_mul_f64_e32 v[12:13], v[110:111], v[10:11]
	s_wait_loadcnt_dscnt 0x500
	v_mul_f64_e32 v[118:119], v[114:115], v[88:89]
	v_mul_f64_e32 v[88:89], v[116:117], v[88:89]
	s_delay_alu instid0(VALU_DEP_4) | instskip(NEXT) | instid1(VALU_DEP_4)
	v_fma_f64 v[4:5], v[110:111], v[8:9], -v[4:5]
	v_fmac_f64_e32 v[12:13], v[112:113], v[8:9]
	ds_load_b128 v[8:11], v2 offset:1088
	ds_load_b128 v[110:113], v2 offset:1104
	v_fmac_f64_e32 v[118:119], v[116:117], v[86:87]
	v_fma_f64 v[86:87], v[114:115], v[86:87], -v[88:89]
	s_wait_loadcnt_dscnt 0x401
	v_mul_f64_e32 v[120:121], v[8:9], v[92:93]
	v_mul_f64_e32 v[92:93], v[10:11], v[92:93]
	s_wait_loadcnt_dscnt 0x300
	v_mul_f64_e32 v[88:89], v[110:111], v[96:97]
	v_mul_f64_e32 v[96:97], v[112:113], v[96:97]
	v_add_f64_e32 v[4:5], 0, v[4:5]
	v_add_f64_e32 v[12:13], 0, v[12:13]
	v_fmac_f64_e32 v[120:121], v[10:11], v[90:91]
	v_fma_f64 v[90:91], v[8:9], v[90:91], -v[92:93]
	v_fmac_f64_e32 v[88:89], v[112:113], v[94:95]
	v_fma_f64 v[94:95], v[110:111], v[94:95], -v[96:97]
	v_add_f64_e32 v[86:87], v[4:5], v[86:87]
	v_add_f64_e32 v[12:13], v[12:13], v[118:119]
	ds_load_b128 v[8:11], v2 offset:1120
	ds_load_b128 v[2:5], v2 offset:1136
	s_wait_loadcnt_dscnt 0x201
	v_mul_f64_e32 v[92:93], v[8:9], v[100:101]
	v_mul_f64_e32 v[100:101], v[10:11], v[100:101]
	s_wait_loadcnt_dscnt 0x100
	v_mul_f64_e32 v[96:97], v[4:5], v[104:105]
	v_add_f64_e32 v[86:87], v[86:87], v[90:91]
	v_add_f64_e32 v[12:13], v[12:13], v[120:121]
	v_mul_f64_e32 v[90:91], v[2:3], v[104:105]
	v_fmac_f64_e32 v[92:93], v[10:11], v[98:99]
	v_fma_f64 v[8:9], v[8:9], v[98:99], -v[100:101]
	v_fma_f64 v[2:3], v[2:3], v[102:103], -v[96:97]
	v_add_f64_e32 v[10:11], v[86:87], v[94:95]
	v_add_f64_e32 v[12:13], v[12:13], v[88:89]
	v_fmac_f64_e32 v[90:91], v[4:5], v[102:103]
	s_delay_alu instid0(VALU_DEP_3) | instskip(NEXT) | instid1(VALU_DEP_3)
	v_add_f64_e32 v[4:5], v[10:11], v[8:9]
	v_add_f64_e32 v[8:9], v[12:13], v[92:93]
	s_delay_alu instid0(VALU_DEP_2) | instskip(NEXT) | instid1(VALU_DEP_2)
	v_add_f64_e32 v[2:3], v[4:5], v[2:3]
	v_add_f64_e32 v[4:5], v[8:9], v[90:91]
	s_wait_loadcnt 0x0
	s_delay_alu instid0(VALU_DEP_2) | instskip(NEXT) | instid1(VALU_DEP_2)
	v_add_f64_e64 v[2:3], v[106:107], -v[2:3]
	v_add_f64_e64 v[4:5], v[108:109], -v[4:5]
	scratch_store_b128 off, v[2:5], off offset:464
	s_wait_xcnt 0x0
	v_cmpx_lt_u32_e32 28, v1
	s_cbranch_execz .LBB99_173
; %bb.172:
	scratch_load_b128 v[2:5], off, s23
	v_mov_b32_e32 v8, 0
	s_delay_alu instid0(VALU_DEP_1)
	v_dual_mov_b32 v9, v8 :: v_dual_mov_b32 v10, v8
	v_mov_b32_e32 v11, v8
	scratch_store_b128 off, v[8:11], off offset:448
	s_wait_loadcnt 0x0
	ds_store_b128 v6, v[2:5]
.LBB99_173:
	s_wait_xcnt 0x0
	s_or_b32 exec_lo, exec_lo, s2
	s_wait_storecnt_dscnt 0x0
	s_barrier_signal -1
	s_barrier_wait -1
	s_clause 0x7
	scratch_load_b128 v[8:11], off, off offset:464
	scratch_load_b128 v[86:89], off, off offset:480
	;; [unrolled: 1-line block ×8, first 2 shown]
	v_mov_b32_e32 v2, 0
	ds_load_b128 v[114:117], v2 offset:1040
	ds_load_b128 v[118:121], v2 offset:1056
	s_mov_b32 s2, exec_lo
	s_wait_loadcnt_dscnt 0x701
	v_mul_f64_e32 v[4:5], v[116:117], v[10:11]
	v_mul_f64_e32 v[12:13], v[114:115], v[10:11]
	s_wait_loadcnt_dscnt 0x600
	v_mul_f64_e32 v[122:123], v[118:119], v[88:89]
	v_mul_f64_e32 v[88:89], v[120:121], v[88:89]
	s_delay_alu instid0(VALU_DEP_4) | instskip(NEXT) | instid1(VALU_DEP_4)
	v_fma_f64 v[4:5], v[114:115], v[8:9], -v[4:5]
	v_fmac_f64_e32 v[12:13], v[116:117], v[8:9]
	ds_load_b128 v[8:11], v2 offset:1072
	ds_load_b128 v[114:117], v2 offset:1088
	v_fmac_f64_e32 v[122:123], v[120:121], v[86:87]
	v_fma_f64 v[86:87], v[118:119], v[86:87], -v[88:89]
	s_wait_loadcnt_dscnt 0x501
	v_mul_f64_e32 v[124:125], v[8:9], v[92:93]
	v_mul_f64_e32 v[92:93], v[10:11], v[92:93]
	s_wait_loadcnt_dscnt 0x400
	v_mul_f64_e32 v[118:119], v[114:115], v[96:97]
	v_mul_f64_e32 v[96:97], v[116:117], v[96:97]
	v_add_f64_e32 v[4:5], 0, v[4:5]
	v_add_f64_e32 v[12:13], 0, v[12:13]
	v_fmac_f64_e32 v[124:125], v[10:11], v[90:91]
	v_fma_f64 v[90:91], v[8:9], v[90:91], -v[92:93]
	v_fmac_f64_e32 v[118:119], v[116:117], v[94:95]
	v_fma_f64 v[94:95], v[114:115], v[94:95], -v[96:97]
	v_add_f64_e32 v[4:5], v[4:5], v[86:87]
	v_add_f64_e32 v[12:13], v[12:13], v[122:123]
	ds_load_b128 v[8:11], v2 offset:1104
	ds_load_b128 v[86:89], v2 offset:1120
	s_wait_loadcnt_dscnt 0x301
	v_mul_f64_e32 v[92:93], v[8:9], v[100:101]
	v_mul_f64_e32 v[100:101], v[10:11], v[100:101]
	s_wait_loadcnt_dscnt 0x200
	v_mul_f64_e32 v[96:97], v[88:89], v[104:105]
	v_add_f64_e32 v[4:5], v[4:5], v[90:91]
	v_add_f64_e32 v[12:13], v[12:13], v[124:125]
	v_mul_f64_e32 v[90:91], v[86:87], v[104:105]
	v_fmac_f64_e32 v[92:93], v[10:11], v[98:99]
	v_fma_f64 v[98:99], v[8:9], v[98:99], -v[100:101]
	ds_load_b128 v[8:11], v2 offset:1136
	v_fma_f64 v[86:87], v[86:87], v[102:103], -v[96:97]
	v_add_f64_e32 v[4:5], v[4:5], v[94:95]
	v_add_f64_e32 v[12:13], v[12:13], v[118:119]
	v_fmac_f64_e32 v[90:91], v[88:89], v[102:103]
	s_wait_loadcnt_dscnt 0x100
	v_mul_f64_e32 v[94:95], v[8:9], v[108:109]
	v_mul_f64_e32 v[100:101], v[10:11], v[108:109]
	v_add_f64_e32 v[4:5], v[4:5], v[98:99]
	v_add_f64_e32 v[12:13], v[12:13], v[92:93]
	s_delay_alu instid0(VALU_DEP_4) | instskip(NEXT) | instid1(VALU_DEP_4)
	v_fmac_f64_e32 v[94:95], v[10:11], v[106:107]
	v_fma_f64 v[8:9], v[8:9], v[106:107], -v[100:101]
	s_delay_alu instid0(VALU_DEP_4) | instskip(NEXT) | instid1(VALU_DEP_4)
	v_add_f64_e32 v[4:5], v[4:5], v[86:87]
	v_add_f64_e32 v[10:11], v[12:13], v[90:91]
	s_delay_alu instid0(VALU_DEP_2) | instskip(NEXT) | instid1(VALU_DEP_2)
	v_add_f64_e32 v[4:5], v[4:5], v[8:9]
	v_add_f64_e32 v[10:11], v[10:11], v[94:95]
	s_wait_loadcnt 0x0
	s_delay_alu instid0(VALU_DEP_2) | instskip(NEXT) | instid1(VALU_DEP_2)
	v_add_f64_e64 v[8:9], v[110:111], -v[4:5]
	v_add_f64_e64 v[10:11], v[112:113], -v[10:11]
	scratch_store_b128 off, v[8:11], off offset:448
	s_wait_xcnt 0x0
	v_cmpx_lt_u32_e32 27, v1
	s_cbranch_execz .LBB99_175
; %bb.174:
	scratch_load_b128 v[8:11], off, s24
	v_dual_mov_b32 v3, v2 :: v_dual_mov_b32 v4, v2
	v_mov_b32_e32 v5, v2
	scratch_store_b128 off, v[2:5], off offset:432
	s_wait_loadcnt 0x0
	ds_store_b128 v6, v[8:11]
.LBB99_175:
	s_wait_xcnt 0x0
	s_or_b32 exec_lo, exec_lo, s2
	s_wait_storecnt_dscnt 0x0
	s_barrier_signal -1
	s_barrier_wait -1
	s_clause 0x7
	scratch_load_b128 v[8:11], off, off offset:448
	scratch_load_b128 v[86:89], off, off offset:464
	;; [unrolled: 1-line block ×8, first 2 shown]
	ds_load_b128 v[114:117], v2 offset:1024
	ds_load_b128 v[118:121], v2 offset:1040
	scratch_load_b128 v[122:125], off, off offset:432
	s_mov_b32 s2, exec_lo
	s_wait_loadcnt_dscnt 0x801
	v_mul_f64_e32 v[4:5], v[116:117], v[10:11]
	v_mul_f64_e32 v[12:13], v[114:115], v[10:11]
	s_wait_loadcnt_dscnt 0x700
	v_mul_f64_e32 v[126:127], v[118:119], v[88:89]
	v_mul_f64_e32 v[88:89], v[120:121], v[88:89]
	s_delay_alu instid0(VALU_DEP_4) | instskip(NEXT) | instid1(VALU_DEP_4)
	v_fma_f64 v[4:5], v[114:115], v[8:9], -v[4:5]
	v_fmac_f64_e32 v[12:13], v[116:117], v[8:9]
	ds_load_b128 v[8:11], v2 offset:1056
	ds_load_b128 v[114:117], v2 offset:1072
	v_fmac_f64_e32 v[126:127], v[120:121], v[86:87]
	v_fma_f64 v[86:87], v[118:119], v[86:87], -v[88:89]
	s_wait_loadcnt_dscnt 0x601
	v_mul_f64_e32 v[128:129], v[8:9], v[92:93]
	v_mul_f64_e32 v[92:93], v[10:11], v[92:93]
	s_wait_loadcnt_dscnt 0x500
	v_mul_f64_e32 v[118:119], v[114:115], v[96:97]
	v_mul_f64_e32 v[96:97], v[116:117], v[96:97]
	v_add_f64_e32 v[4:5], 0, v[4:5]
	v_add_f64_e32 v[12:13], 0, v[12:13]
	v_fmac_f64_e32 v[128:129], v[10:11], v[90:91]
	v_fma_f64 v[90:91], v[8:9], v[90:91], -v[92:93]
	v_fmac_f64_e32 v[118:119], v[116:117], v[94:95]
	v_fma_f64 v[94:95], v[114:115], v[94:95], -v[96:97]
	v_add_f64_e32 v[4:5], v[4:5], v[86:87]
	v_add_f64_e32 v[12:13], v[12:13], v[126:127]
	ds_load_b128 v[8:11], v2 offset:1088
	ds_load_b128 v[86:89], v2 offset:1104
	s_wait_loadcnt_dscnt 0x401
	v_mul_f64_e32 v[92:93], v[8:9], v[100:101]
	v_mul_f64_e32 v[100:101], v[10:11], v[100:101]
	s_wait_loadcnt_dscnt 0x300
	v_mul_f64_e32 v[96:97], v[88:89], v[104:105]
	v_add_f64_e32 v[4:5], v[4:5], v[90:91]
	v_add_f64_e32 v[12:13], v[12:13], v[128:129]
	v_mul_f64_e32 v[90:91], v[86:87], v[104:105]
	v_fmac_f64_e32 v[92:93], v[10:11], v[98:99]
	v_fma_f64 v[98:99], v[8:9], v[98:99], -v[100:101]
	v_fma_f64 v[86:87], v[86:87], v[102:103], -v[96:97]
	v_add_f64_e32 v[94:95], v[4:5], v[94:95]
	v_add_f64_e32 v[12:13], v[12:13], v[118:119]
	ds_load_b128 v[8:11], v2 offset:1120
	ds_load_b128 v[2:5], v2 offset:1136
	v_fmac_f64_e32 v[90:91], v[88:89], v[102:103]
	s_wait_loadcnt_dscnt 0x201
	v_mul_f64_e32 v[100:101], v[8:9], v[108:109]
	v_mul_f64_e32 v[104:105], v[10:11], v[108:109]
	v_add_f64_e32 v[88:89], v[94:95], v[98:99]
	v_add_f64_e32 v[12:13], v[12:13], v[92:93]
	s_wait_loadcnt_dscnt 0x100
	v_mul_f64_e32 v[92:93], v[2:3], v[112:113]
	v_mul_f64_e32 v[94:95], v[4:5], v[112:113]
	v_fmac_f64_e32 v[100:101], v[10:11], v[106:107]
	v_fma_f64 v[8:9], v[8:9], v[106:107], -v[104:105]
	v_add_f64_e32 v[10:11], v[88:89], v[86:87]
	v_add_f64_e32 v[12:13], v[12:13], v[90:91]
	v_fmac_f64_e32 v[92:93], v[4:5], v[110:111]
	v_fma_f64 v[2:3], v[2:3], v[110:111], -v[94:95]
	s_delay_alu instid0(VALU_DEP_4) | instskip(NEXT) | instid1(VALU_DEP_4)
	v_add_f64_e32 v[4:5], v[10:11], v[8:9]
	v_add_f64_e32 v[8:9], v[12:13], v[100:101]
	s_delay_alu instid0(VALU_DEP_2) | instskip(NEXT) | instid1(VALU_DEP_2)
	v_add_f64_e32 v[2:3], v[4:5], v[2:3]
	v_add_f64_e32 v[4:5], v[8:9], v[92:93]
	s_wait_loadcnt 0x0
	s_delay_alu instid0(VALU_DEP_2) | instskip(NEXT) | instid1(VALU_DEP_2)
	v_add_f64_e64 v[2:3], v[122:123], -v[2:3]
	v_add_f64_e64 v[4:5], v[124:125], -v[4:5]
	scratch_store_b128 off, v[2:5], off offset:432
	s_wait_xcnt 0x0
	v_cmpx_lt_u32_e32 26, v1
	s_cbranch_execz .LBB99_177
; %bb.176:
	scratch_load_b128 v[2:5], off, s25
	v_mov_b32_e32 v8, 0
	s_delay_alu instid0(VALU_DEP_1)
	v_dual_mov_b32 v9, v8 :: v_dual_mov_b32 v10, v8
	v_mov_b32_e32 v11, v8
	scratch_store_b128 off, v[8:11], off offset:416
	s_wait_loadcnt 0x0
	ds_store_b128 v6, v[2:5]
.LBB99_177:
	s_wait_xcnt 0x0
	s_or_b32 exec_lo, exec_lo, s2
	s_wait_storecnt_dscnt 0x0
	s_barrier_signal -1
	s_barrier_wait -1
	s_clause 0x8
	scratch_load_b128 v[8:11], off, off offset:432
	scratch_load_b128 v[86:89], off, off offset:448
	;; [unrolled: 1-line block ×9, first 2 shown]
	v_mov_b32_e32 v2, 0
	scratch_load_b128 v[122:125], off, off offset:416
	s_mov_b32 s2, exec_lo
	ds_load_b128 v[118:121], v2 offset:1008
	ds_load_b128 v[126:129], v2 offset:1024
	s_wait_loadcnt_dscnt 0x901
	v_mul_f64_e32 v[4:5], v[120:121], v[10:11]
	v_mul_f64_e32 v[12:13], v[118:119], v[10:11]
	s_wait_loadcnt_dscnt 0x800
	v_mul_f64_e32 v[130:131], v[126:127], v[88:89]
	v_mul_f64_e32 v[88:89], v[128:129], v[88:89]
	s_delay_alu instid0(VALU_DEP_4) | instskip(NEXT) | instid1(VALU_DEP_4)
	v_fma_f64 v[4:5], v[118:119], v[8:9], -v[4:5]
	v_fmac_f64_e32 v[12:13], v[120:121], v[8:9]
	ds_load_b128 v[8:11], v2 offset:1040
	ds_load_b128 v[118:121], v2 offset:1056
	v_fmac_f64_e32 v[130:131], v[128:129], v[86:87]
	v_fma_f64 v[86:87], v[126:127], v[86:87], -v[88:89]
	s_wait_loadcnt_dscnt 0x701
	v_mul_f64_e32 v[132:133], v[8:9], v[92:93]
	v_mul_f64_e32 v[92:93], v[10:11], v[92:93]
	s_wait_loadcnt_dscnt 0x600
	v_mul_f64_e32 v[126:127], v[118:119], v[96:97]
	v_mul_f64_e32 v[96:97], v[120:121], v[96:97]
	v_add_f64_e32 v[4:5], 0, v[4:5]
	v_add_f64_e32 v[12:13], 0, v[12:13]
	v_fmac_f64_e32 v[132:133], v[10:11], v[90:91]
	v_fma_f64 v[90:91], v[8:9], v[90:91], -v[92:93]
	v_fmac_f64_e32 v[126:127], v[120:121], v[94:95]
	v_fma_f64 v[94:95], v[118:119], v[94:95], -v[96:97]
	v_add_f64_e32 v[4:5], v[4:5], v[86:87]
	v_add_f64_e32 v[12:13], v[12:13], v[130:131]
	ds_load_b128 v[8:11], v2 offset:1072
	ds_load_b128 v[86:89], v2 offset:1088
	s_wait_loadcnt_dscnt 0x501
	v_mul_f64_e32 v[128:129], v[8:9], v[100:101]
	v_mul_f64_e32 v[92:93], v[10:11], v[100:101]
	s_wait_loadcnt_dscnt 0x400
	v_mul_f64_e32 v[96:97], v[86:87], v[104:105]
	v_mul_f64_e32 v[100:101], v[88:89], v[104:105]
	v_add_f64_e32 v[4:5], v[4:5], v[90:91]
	v_add_f64_e32 v[12:13], v[12:13], v[132:133]
	v_fmac_f64_e32 v[128:129], v[10:11], v[98:99]
	v_fma_f64 v[98:99], v[8:9], v[98:99], -v[92:93]
	ds_load_b128 v[8:11], v2 offset:1104
	ds_load_b128 v[90:93], v2 offset:1120
	v_fmac_f64_e32 v[96:97], v[88:89], v[102:103]
	v_fma_f64 v[86:87], v[86:87], v[102:103], -v[100:101]
	v_add_f64_e32 v[4:5], v[4:5], v[94:95]
	v_add_f64_e32 v[12:13], v[12:13], v[126:127]
	s_wait_loadcnt_dscnt 0x301
	v_mul_f64_e32 v[94:95], v[8:9], v[108:109]
	v_mul_f64_e32 v[104:105], v[10:11], v[108:109]
	s_wait_loadcnt_dscnt 0x200
	v_mul_f64_e32 v[88:89], v[90:91], v[112:113]
	v_add_f64_e32 v[4:5], v[4:5], v[98:99]
	v_add_f64_e32 v[12:13], v[12:13], v[128:129]
	v_mul_f64_e32 v[98:99], v[92:93], v[112:113]
	v_fmac_f64_e32 v[94:95], v[10:11], v[106:107]
	v_fma_f64 v[100:101], v[8:9], v[106:107], -v[104:105]
	ds_load_b128 v[8:11], v2 offset:1136
	v_fmac_f64_e32 v[88:89], v[92:93], v[110:111]
	v_add_f64_e32 v[4:5], v[4:5], v[86:87]
	v_add_f64_e32 v[12:13], v[12:13], v[96:97]
	s_wait_loadcnt_dscnt 0x100
	v_mul_f64_e32 v[86:87], v[8:9], v[116:117]
	v_mul_f64_e32 v[96:97], v[10:11], v[116:117]
	v_fma_f64 v[90:91], v[90:91], v[110:111], -v[98:99]
	v_add_f64_e32 v[4:5], v[4:5], v[100:101]
	v_add_f64_e32 v[12:13], v[12:13], v[94:95]
	v_fmac_f64_e32 v[86:87], v[10:11], v[114:115]
	v_fma_f64 v[8:9], v[8:9], v[114:115], -v[96:97]
	s_delay_alu instid0(VALU_DEP_4) | instskip(NEXT) | instid1(VALU_DEP_4)
	v_add_f64_e32 v[4:5], v[4:5], v[90:91]
	v_add_f64_e32 v[10:11], v[12:13], v[88:89]
	s_delay_alu instid0(VALU_DEP_2) | instskip(NEXT) | instid1(VALU_DEP_2)
	v_add_f64_e32 v[4:5], v[4:5], v[8:9]
	v_add_f64_e32 v[10:11], v[10:11], v[86:87]
	s_wait_loadcnt 0x0
	s_delay_alu instid0(VALU_DEP_2) | instskip(NEXT) | instid1(VALU_DEP_2)
	v_add_f64_e64 v[8:9], v[122:123], -v[4:5]
	v_add_f64_e64 v[10:11], v[124:125], -v[10:11]
	scratch_store_b128 off, v[8:11], off offset:416
	s_wait_xcnt 0x0
	v_cmpx_lt_u32_e32 25, v1
	s_cbranch_execz .LBB99_179
; %bb.178:
	scratch_load_b128 v[8:11], off, s26
	v_dual_mov_b32 v3, v2 :: v_dual_mov_b32 v4, v2
	v_mov_b32_e32 v5, v2
	scratch_store_b128 off, v[2:5], off offset:400
	s_wait_loadcnt 0x0
	ds_store_b128 v6, v[8:11]
.LBB99_179:
	s_wait_xcnt 0x0
	s_or_b32 exec_lo, exec_lo, s2
	s_wait_storecnt_dscnt 0x0
	s_barrier_signal -1
	s_barrier_wait -1
	s_clause 0x9
	scratch_load_b128 v[8:11], off, off offset:416
	scratch_load_b128 v[86:89], off, off offset:432
	;; [unrolled: 1-line block ×10, first 2 shown]
	ds_load_b128 v[122:125], v2 offset:992
	ds_load_b128 v[126:129], v2 offset:1008
	scratch_load_b128 v[130:133], off, off offset:400
	s_mov_b32 s2, exec_lo
	s_wait_loadcnt_dscnt 0xa01
	v_mul_f64_e32 v[4:5], v[124:125], v[10:11]
	v_mul_f64_e32 v[12:13], v[122:123], v[10:11]
	s_wait_loadcnt_dscnt 0x900
	v_mul_f64_e32 v[134:135], v[126:127], v[88:89]
	v_mul_f64_e32 v[88:89], v[128:129], v[88:89]
	s_delay_alu instid0(VALU_DEP_4) | instskip(NEXT) | instid1(VALU_DEP_4)
	v_fma_f64 v[4:5], v[122:123], v[8:9], -v[4:5]
	v_fmac_f64_e32 v[12:13], v[124:125], v[8:9]
	ds_load_b128 v[8:11], v2 offset:1024
	ds_load_b128 v[122:125], v2 offset:1040
	v_fmac_f64_e32 v[134:135], v[128:129], v[86:87]
	v_fma_f64 v[86:87], v[126:127], v[86:87], -v[88:89]
	s_wait_loadcnt_dscnt 0x801
	v_mul_f64_e32 v[136:137], v[8:9], v[92:93]
	v_mul_f64_e32 v[92:93], v[10:11], v[92:93]
	s_wait_loadcnt_dscnt 0x700
	v_mul_f64_e32 v[126:127], v[122:123], v[96:97]
	v_mul_f64_e32 v[96:97], v[124:125], v[96:97]
	v_add_f64_e32 v[4:5], 0, v[4:5]
	v_add_f64_e32 v[12:13], 0, v[12:13]
	v_fmac_f64_e32 v[136:137], v[10:11], v[90:91]
	v_fma_f64 v[90:91], v[8:9], v[90:91], -v[92:93]
	v_fmac_f64_e32 v[126:127], v[124:125], v[94:95]
	v_fma_f64 v[94:95], v[122:123], v[94:95], -v[96:97]
	v_add_f64_e32 v[4:5], v[4:5], v[86:87]
	v_add_f64_e32 v[12:13], v[12:13], v[134:135]
	ds_load_b128 v[8:11], v2 offset:1056
	ds_load_b128 v[86:89], v2 offset:1072
	s_wait_loadcnt_dscnt 0x601
	v_mul_f64_e32 v[128:129], v[8:9], v[100:101]
	v_mul_f64_e32 v[92:93], v[10:11], v[100:101]
	s_wait_loadcnt_dscnt 0x500
	v_mul_f64_e32 v[96:97], v[86:87], v[104:105]
	v_mul_f64_e32 v[100:101], v[88:89], v[104:105]
	v_add_f64_e32 v[4:5], v[4:5], v[90:91]
	v_add_f64_e32 v[12:13], v[12:13], v[136:137]
	v_fmac_f64_e32 v[128:129], v[10:11], v[98:99]
	v_fma_f64 v[98:99], v[8:9], v[98:99], -v[92:93]
	ds_load_b128 v[8:11], v2 offset:1088
	ds_load_b128 v[90:93], v2 offset:1104
	v_fmac_f64_e32 v[96:97], v[88:89], v[102:103]
	v_fma_f64 v[86:87], v[86:87], v[102:103], -v[100:101]
	v_add_f64_e32 v[4:5], v[4:5], v[94:95]
	v_add_f64_e32 v[12:13], v[12:13], v[126:127]
	s_wait_loadcnt_dscnt 0x401
	v_mul_f64_e32 v[94:95], v[8:9], v[108:109]
	v_mul_f64_e32 v[104:105], v[10:11], v[108:109]
	s_wait_loadcnt_dscnt 0x300
	v_mul_f64_e32 v[88:89], v[90:91], v[112:113]
	v_add_f64_e32 v[4:5], v[4:5], v[98:99]
	v_add_f64_e32 v[12:13], v[12:13], v[128:129]
	v_mul_f64_e32 v[98:99], v[92:93], v[112:113]
	v_fmac_f64_e32 v[94:95], v[10:11], v[106:107]
	v_fma_f64 v[100:101], v[8:9], v[106:107], -v[104:105]
	v_fmac_f64_e32 v[88:89], v[92:93], v[110:111]
	v_add_f64_e32 v[86:87], v[4:5], v[86:87]
	v_add_f64_e32 v[12:13], v[12:13], v[96:97]
	ds_load_b128 v[8:11], v2 offset:1120
	ds_load_b128 v[2:5], v2 offset:1136
	v_fma_f64 v[90:91], v[90:91], v[110:111], -v[98:99]
	s_wait_loadcnt_dscnt 0x201
	v_mul_f64_e32 v[96:97], v[8:9], v[116:117]
	v_mul_f64_e32 v[102:103], v[10:11], v[116:117]
	s_wait_loadcnt_dscnt 0x100
	v_mul_f64_e32 v[92:93], v[2:3], v[120:121]
	v_add_f64_e32 v[86:87], v[86:87], v[100:101]
	v_add_f64_e32 v[12:13], v[12:13], v[94:95]
	v_mul_f64_e32 v[94:95], v[4:5], v[120:121]
	v_fmac_f64_e32 v[96:97], v[10:11], v[114:115]
	v_fma_f64 v[8:9], v[8:9], v[114:115], -v[102:103]
	v_fmac_f64_e32 v[92:93], v[4:5], v[118:119]
	v_add_f64_e32 v[10:11], v[86:87], v[90:91]
	v_add_f64_e32 v[12:13], v[12:13], v[88:89]
	v_fma_f64 v[2:3], v[2:3], v[118:119], -v[94:95]
	s_delay_alu instid0(VALU_DEP_3) | instskip(NEXT) | instid1(VALU_DEP_3)
	v_add_f64_e32 v[4:5], v[10:11], v[8:9]
	v_add_f64_e32 v[8:9], v[12:13], v[96:97]
	s_delay_alu instid0(VALU_DEP_2) | instskip(NEXT) | instid1(VALU_DEP_2)
	v_add_f64_e32 v[2:3], v[4:5], v[2:3]
	v_add_f64_e32 v[4:5], v[8:9], v[92:93]
	s_wait_loadcnt 0x0
	s_delay_alu instid0(VALU_DEP_2) | instskip(NEXT) | instid1(VALU_DEP_2)
	v_add_f64_e64 v[2:3], v[130:131], -v[2:3]
	v_add_f64_e64 v[4:5], v[132:133], -v[4:5]
	scratch_store_b128 off, v[2:5], off offset:400
	s_wait_xcnt 0x0
	v_cmpx_lt_u32_e32 24, v1
	s_cbranch_execz .LBB99_181
; %bb.180:
	scratch_load_b128 v[2:5], off, s27
	v_mov_b32_e32 v8, 0
	s_delay_alu instid0(VALU_DEP_1)
	v_dual_mov_b32 v9, v8 :: v_dual_mov_b32 v10, v8
	v_mov_b32_e32 v11, v8
	scratch_store_b128 off, v[8:11], off offset:384
	s_wait_loadcnt 0x0
	ds_store_b128 v6, v[2:5]
.LBB99_181:
	s_wait_xcnt 0x0
	s_or_b32 exec_lo, exec_lo, s2
	s_wait_storecnt_dscnt 0x0
	s_barrier_signal -1
	s_barrier_wait -1
	s_clause 0x9
	scratch_load_b128 v[8:11], off, off offset:400
	scratch_load_b128 v[86:89], off, off offset:416
	;; [unrolled: 1-line block ×10, first 2 shown]
	v_mov_b32_e32 v2, 0
	s_mov_b32 s2, exec_lo
	ds_load_b128 v[122:125], v2 offset:976
	s_clause 0x1
	scratch_load_b128 v[126:129], off, off offset:560
	scratch_load_b128 v[130:133], off, off offset:384
	s_wait_loadcnt_dscnt 0xb00
	v_mul_f64_e32 v[4:5], v[124:125], v[10:11]
	v_mul_f64_e32 v[12:13], v[122:123], v[10:11]
	ds_load_b128 v[134:137], v2 offset:992
	s_wait_loadcnt_dscnt 0xa00
	v_mul_f64_e32 v[138:139], v[134:135], v[88:89]
	v_mul_f64_e32 v[88:89], v[136:137], v[88:89]
	v_fma_f64 v[4:5], v[122:123], v[8:9], -v[4:5]
	v_fmac_f64_e32 v[12:13], v[124:125], v[8:9]
	ds_load_b128 v[8:11], v2 offset:1008
	ds_load_b128 v[122:125], v2 offset:1024
	s_wait_loadcnt_dscnt 0x901
	v_mul_f64_e32 v[140:141], v[8:9], v[92:93]
	v_mul_f64_e32 v[92:93], v[10:11], v[92:93]
	v_fmac_f64_e32 v[138:139], v[136:137], v[86:87]
	v_fma_f64 v[86:87], v[134:135], v[86:87], -v[88:89]
	s_wait_loadcnt_dscnt 0x800
	v_mul_f64_e32 v[134:135], v[122:123], v[96:97]
	v_mul_f64_e32 v[96:97], v[124:125], v[96:97]
	v_add_f64_e32 v[4:5], 0, v[4:5]
	v_add_f64_e32 v[12:13], 0, v[12:13]
	v_fmac_f64_e32 v[140:141], v[10:11], v[90:91]
	v_fma_f64 v[90:91], v[8:9], v[90:91], -v[92:93]
	v_fmac_f64_e32 v[134:135], v[124:125], v[94:95]
	v_fma_f64 v[94:95], v[122:123], v[94:95], -v[96:97]
	v_add_f64_e32 v[4:5], v[4:5], v[86:87]
	v_add_f64_e32 v[12:13], v[12:13], v[138:139]
	ds_load_b128 v[8:11], v2 offset:1040
	ds_load_b128 v[86:89], v2 offset:1056
	s_wait_loadcnt_dscnt 0x701
	v_mul_f64_e32 v[136:137], v[8:9], v[100:101]
	v_mul_f64_e32 v[92:93], v[10:11], v[100:101]
	s_wait_loadcnt_dscnt 0x600
	v_mul_f64_e32 v[96:97], v[86:87], v[104:105]
	v_mul_f64_e32 v[100:101], v[88:89], v[104:105]
	v_add_f64_e32 v[4:5], v[4:5], v[90:91]
	v_add_f64_e32 v[12:13], v[12:13], v[140:141]
	v_fmac_f64_e32 v[136:137], v[10:11], v[98:99]
	v_fma_f64 v[98:99], v[8:9], v[98:99], -v[92:93]
	ds_load_b128 v[8:11], v2 offset:1072
	ds_load_b128 v[90:93], v2 offset:1088
	v_fmac_f64_e32 v[96:97], v[88:89], v[102:103]
	v_fma_f64 v[86:87], v[86:87], v[102:103], -v[100:101]
	v_add_f64_e32 v[4:5], v[4:5], v[94:95]
	v_add_f64_e32 v[12:13], v[12:13], v[134:135]
	s_wait_loadcnt_dscnt 0x501
	v_mul_f64_e32 v[94:95], v[8:9], v[108:109]
	v_mul_f64_e32 v[104:105], v[10:11], v[108:109]
	s_wait_loadcnt_dscnt 0x400
	v_mul_f64_e32 v[100:101], v[92:93], v[112:113]
	v_add_f64_e32 v[4:5], v[4:5], v[98:99]
	v_add_f64_e32 v[12:13], v[12:13], v[136:137]
	v_mul_f64_e32 v[98:99], v[90:91], v[112:113]
	v_fmac_f64_e32 v[94:95], v[10:11], v[106:107]
	v_fma_f64 v[102:103], v[8:9], v[106:107], -v[104:105]
	v_fma_f64 v[90:91], v[90:91], v[110:111], -v[100:101]
	v_add_f64_e32 v[4:5], v[4:5], v[86:87]
	v_add_f64_e32 v[12:13], v[12:13], v[96:97]
	ds_load_b128 v[8:11], v2 offset:1104
	ds_load_b128 v[86:89], v2 offset:1120
	v_fmac_f64_e32 v[98:99], v[92:93], v[110:111]
	s_wait_loadcnt_dscnt 0x301
	v_mul_f64_e32 v[96:97], v[8:9], v[116:117]
	v_mul_f64_e32 v[104:105], v[10:11], v[116:117]
	s_wait_loadcnt_dscnt 0x200
	v_mul_f64_e32 v[92:93], v[86:87], v[120:121]
	v_add_f64_e32 v[4:5], v[4:5], v[102:103]
	v_add_f64_e32 v[12:13], v[12:13], v[94:95]
	v_mul_f64_e32 v[94:95], v[88:89], v[120:121]
	v_fmac_f64_e32 v[96:97], v[10:11], v[114:115]
	v_fma_f64 v[100:101], v[8:9], v[114:115], -v[104:105]
	ds_load_b128 v[8:11], v2 offset:1136
	v_fmac_f64_e32 v[92:93], v[88:89], v[118:119]
	v_add_f64_e32 v[4:5], v[4:5], v[90:91]
	v_add_f64_e32 v[12:13], v[12:13], v[98:99]
	v_fma_f64 v[86:87], v[86:87], v[118:119], -v[94:95]
	s_wait_loadcnt_dscnt 0x100
	v_mul_f64_e32 v[90:91], v[8:9], v[128:129]
	v_mul_f64_e32 v[98:99], v[10:11], v[128:129]
	v_add_f64_e32 v[4:5], v[4:5], v[100:101]
	v_add_f64_e32 v[12:13], v[12:13], v[96:97]
	s_delay_alu instid0(VALU_DEP_4) | instskip(NEXT) | instid1(VALU_DEP_4)
	v_fmac_f64_e32 v[90:91], v[10:11], v[126:127]
	v_fma_f64 v[8:9], v[8:9], v[126:127], -v[98:99]
	s_delay_alu instid0(VALU_DEP_4) | instskip(NEXT) | instid1(VALU_DEP_4)
	v_add_f64_e32 v[4:5], v[4:5], v[86:87]
	v_add_f64_e32 v[10:11], v[12:13], v[92:93]
	s_delay_alu instid0(VALU_DEP_2) | instskip(NEXT) | instid1(VALU_DEP_2)
	v_add_f64_e32 v[4:5], v[4:5], v[8:9]
	v_add_f64_e32 v[10:11], v[10:11], v[90:91]
	s_wait_loadcnt 0x0
	s_delay_alu instid0(VALU_DEP_2) | instskip(NEXT) | instid1(VALU_DEP_2)
	v_add_f64_e64 v[8:9], v[130:131], -v[4:5]
	v_add_f64_e64 v[10:11], v[132:133], -v[10:11]
	scratch_store_b128 off, v[8:11], off offset:384
	s_wait_xcnt 0x0
	v_cmpx_lt_u32_e32 23, v1
	s_cbranch_execz .LBB99_183
; %bb.182:
	scratch_load_b128 v[8:11], off, s28
	v_dual_mov_b32 v3, v2 :: v_dual_mov_b32 v4, v2
	v_mov_b32_e32 v5, v2
	scratch_store_b128 off, v[2:5], off offset:368
	s_wait_loadcnt 0x0
	ds_store_b128 v6, v[8:11]
.LBB99_183:
	s_wait_xcnt 0x0
	s_or_b32 exec_lo, exec_lo, s2
	s_wait_storecnt_dscnt 0x0
	s_barrier_signal -1
	s_barrier_wait -1
	s_clause 0x9
	scratch_load_b128 v[8:11], off, off offset:384
	scratch_load_b128 v[86:89], off, off offset:400
	;; [unrolled: 1-line block ×10, first 2 shown]
	ds_load_b128 v[122:125], v2 offset:960
	ds_load_b128 v[130:133], v2 offset:976
	s_clause 0x1
	scratch_load_b128 v[126:129], off, off offset:544
	scratch_load_b128 v[134:137], off, off offset:368
	s_mov_b32 s2, exec_lo
	s_wait_loadcnt_dscnt 0xb01
	v_mul_f64_e32 v[4:5], v[124:125], v[10:11]
	v_mul_f64_e32 v[142:143], v[122:123], v[10:11]
	scratch_load_b128 v[10:13], off, off offset:560
	s_wait_loadcnt_dscnt 0xb00
	v_mul_f64_e32 v[144:145], v[130:131], v[88:89]
	v_mul_f64_e32 v[88:89], v[132:133], v[88:89]
	v_fma_f64 v[4:5], v[122:123], v[8:9], -v[4:5]
	v_fmac_f64_e32 v[142:143], v[124:125], v[8:9]
	ds_load_b128 v[122:125], v2 offset:992
	ds_load_b128 v[138:141], v2 offset:1008
	v_fmac_f64_e32 v[144:145], v[132:133], v[86:87]
	v_fma_f64 v[86:87], v[130:131], v[86:87], -v[88:89]
	s_wait_loadcnt_dscnt 0xa01
	v_mul_f64_e32 v[8:9], v[122:123], v[92:93]
	v_mul_f64_e32 v[92:93], v[124:125], v[92:93]
	s_wait_loadcnt_dscnt 0x900
	v_mul_f64_e32 v[130:131], v[138:139], v[96:97]
	v_mul_f64_e32 v[96:97], v[140:141], v[96:97]
	v_add_f64_e32 v[4:5], 0, v[4:5]
	v_add_f64_e32 v[88:89], 0, v[142:143]
	v_fmac_f64_e32 v[8:9], v[124:125], v[90:91]
	v_fma_f64 v[122:123], v[122:123], v[90:91], -v[92:93]
	v_fmac_f64_e32 v[130:131], v[140:141], v[94:95]
	v_fma_f64 v[94:95], v[138:139], v[94:95], -v[96:97]
	v_add_f64_e32 v[4:5], v[4:5], v[86:87]
	v_add_f64_e32 v[124:125], v[88:89], v[144:145]
	ds_load_b128 v[86:89], v2 offset:1024
	ds_load_b128 v[90:93], v2 offset:1040
	s_wait_loadcnt_dscnt 0x801
	v_mul_f64_e32 v[132:133], v[86:87], v[100:101]
	v_mul_f64_e32 v[100:101], v[88:89], v[100:101]
	v_add_f64_e32 v[4:5], v[4:5], v[122:123]
	v_add_f64_e32 v[8:9], v[124:125], v[8:9]
	s_wait_loadcnt_dscnt 0x700
	v_mul_f64_e32 v[122:123], v[90:91], v[104:105]
	v_mul_f64_e32 v[104:105], v[92:93], v[104:105]
	v_fmac_f64_e32 v[132:133], v[88:89], v[98:99]
	v_fma_f64 v[98:99], v[86:87], v[98:99], -v[100:101]
	v_add_f64_e32 v[4:5], v[4:5], v[94:95]
	v_add_f64_e32 v[8:9], v[8:9], v[130:131]
	ds_load_b128 v[86:89], v2 offset:1056
	ds_load_b128 v[94:97], v2 offset:1072
	v_fmac_f64_e32 v[122:123], v[92:93], v[102:103]
	v_fma_f64 v[90:91], v[90:91], v[102:103], -v[104:105]
	s_wait_loadcnt_dscnt 0x601
	v_mul_f64_e32 v[100:101], v[86:87], v[108:109]
	v_mul_f64_e32 v[108:109], v[88:89], v[108:109]
	s_wait_loadcnt_dscnt 0x500
	v_mul_f64_e32 v[102:103], v[96:97], v[112:113]
	v_add_f64_e32 v[4:5], v[4:5], v[98:99]
	v_add_f64_e32 v[8:9], v[8:9], v[132:133]
	v_mul_f64_e32 v[98:99], v[94:95], v[112:113]
	v_fmac_f64_e32 v[100:101], v[88:89], v[106:107]
	v_fma_f64 v[104:105], v[86:87], v[106:107], -v[108:109]
	v_fma_f64 v[94:95], v[94:95], v[110:111], -v[102:103]
	v_add_f64_e32 v[4:5], v[4:5], v[90:91]
	v_add_f64_e32 v[8:9], v[8:9], v[122:123]
	ds_load_b128 v[86:89], v2 offset:1088
	ds_load_b128 v[90:93], v2 offset:1104
	v_fmac_f64_e32 v[98:99], v[96:97], v[110:111]
	s_wait_loadcnt_dscnt 0x401
	v_mul_f64_e32 v[106:107], v[86:87], v[116:117]
	v_mul_f64_e32 v[108:109], v[88:89], v[116:117]
	s_wait_loadcnt_dscnt 0x300
	v_mul_f64_e32 v[96:97], v[90:91], v[120:121]
	v_add_f64_e32 v[4:5], v[4:5], v[104:105]
	v_add_f64_e32 v[8:9], v[8:9], v[100:101]
	v_mul_f64_e32 v[100:101], v[92:93], v[120:121]
	v_fmac_f64_e32 v[106:107], v[88:89], v[114:115]
	v_fma_f64 v[102:103], v[86:87], v[114:115], -v[108:109]
	v_fmac_f64_e32 v[96:97], v[92:93], v[118:119]
	v_add_f64_e32 v[94:95], v[4:5], v[94:95]
	v_add_f64_e32 v[8:9], v[8:9], v[98:99]
	ds_load_b128 v[86:89], v2 offset:1120
	ds_load_b128 v[2:5], v2 offset:1136
	v_fma_f64 v[90:91], v[90:91], v[118:119], -v[100:101]
	s_wait_loadcnt_dscnt 0x201
	v_mul_f64_e32 v[98:99], v[86:87], v[128:129]
	v_mul_f64_e32 v[104:105], v[88:89], v[128:129]
	v_add_f64_e32 v[92:93], v[94:95], v[102:103]
	v_add_f64_e32 v[8:9], v[8:9], v[106:107]
	s_wait_loadcnt_dscnt 0x0
	v_mul_f64_e32 v[94:95], v[2:3], v[12:13]
	v_mul_f64_e32 v[12:13], v[4:5], v[12:13]
	v_fmac_f64_e32 v[98:99], v[88:89], v[126:127]
	v_fma_f64 v[86:87], v[86:87], v[126:127], -v[104:105]
	v_add_f64_e32 v[88:89], v[92:93], v[90:91]
	v_add_f64_e32 v[8:9], v[8:9], v[96:97]
	v_fmac_f64_e32 v[94:95], v[4:5], v[10:11]
	v_fma_f64 v[2:3], v[2:3], v[10:11], -v[12:13]
	s_delay_alu instid0(VALU_DEP_4) | instskip(NEXT) | instid1(VALU_DEP_4)
	v_add_f64_e32 v[4:5], v[88:89], v[86:87]
	v_add_f64_e32 v[8:9], v[8:9], v[98:99]
	s_delay_alu instid0(VALU_DEP_2) | instskip(NEXT) | instid1(VALU_DEP_2)
	v_add_f64_e32 v[2:3], v[4:5], v[2:3]
	v_add_f64_e32 v[4:5], v[8:9], v[94:95]
	s_delay_alu instid0(VALU_DEP_2) | instskip(NEXT) | instid1(VALU_DEP_2)
	v_add_f64_e64 v[2:3], v[134:135], -v[2:3]
	v_add_f64_e64 v[4:5], v[136:137], -v[4:5]
	scratch_store_b128 off, v[2:5], off offset:368
	s_wait_xcnt 0x0
	v_cmpx_lt_u32_e32 22, v1
	s_cbranch_execz .LBB99_185
; %bb.184:
	scratch_load_b128 v[2:5], off, s29
	v_mov_b32_e32 v8, 0
	s_delay_alu instid0(VALU_DEP_1)
	v_dual_mov_b32 v9, v8 :: v_dual_mov_b32 v10, v8
	v_mov_b32_e32 v11, v8
	scratch_store_b128 off, v[8:11], off offset:352
	s_wait_loadcnt 0x0
	ds_store_b128 v6, v[2:5]
.LBB99_185:
	s_wait_xcnt 0x0
	s_or_b32 exec_lo, exec_lo, s2
	s_wait_storecnt_dscnt 0x0
	s_barrier_signal -1
	s_barrier_wait -1
	s_clause 0x9
	scratch_load_b128 v[8:11], off, off offset:368
	scratch_load_b128 v[86:89], off, off offset:384
	;; [unrolled: 1-line block ×10, first 2 shown]
	v_mov_b32_e32 v2, 0
	s_mov_b32 s2, exec_lo
	ds_load_b128 v[122:125], v2 offset:944
	s_clause 0x2
	scratch_load_b128 v[126:129], off, off offset:528
	scratch_load_b128 v[130:133], off, off offset:352
	;; [unrolled: 1-line block ×3, first 2 shown]
	s_wait_loadcnt_dscnt 0xc00
	v_mul_f64_e32 v[4:5], v[124:125], v[10:11]
	v_mul_f64_e32 v[146:147], v[122:123], v[10:11]
	ds_load_b128 v[134:137], v2 offset:960
	scratch_load_b128 v[10:13], off, off offset:544
	ds_load_b128 v[142:145], v2 offset:992
	v_fma_f64 v[4:5], v[122:123], v[8:9], -v[4:5]
	v_fmac_f64_e32 v[146:147], v[124:125], v[8:9]
	ds_load_b128 v[122:125], v2 offset:976
	s_wait_loadcnt_dscnt 0xc02
	v_mul_f64_e32 v[148:149], v[134:135], v[88:89]
	v_mul_f64_e32 v[88:89], v[136:137], v[88:89]
	s_wait_loadcnt_dscnt 0xb00
	v_mul_f64_e32 v[8:9], v[122:123], v[92:93]
	v_mul_f64_e32 v[92:93], v[124:125], v[92:93]
	v_add_f64_e32 v[4:5], 0, v[4:5]
	v_fmac_f64_e32 v[148:149], v[136:137], v[86:87]
	v_fma_f64 v[86:87], v[134:135], v[86:87], -v[88:89]
	v_add_f64_e32 v[88:89], 0, v[146:147]
	s_wait_loadcnt 0xa
	v_mul_f64_e32 v[134:135], v[142:143], v[96:97]
	v_mul_f64_e32 v[96:97], v[144:145], v[96:97]
	v_fmac_f64_e32 v[8:9], v[124:125], v[90:91]
	v_fma_f64 v[122:123], v[122:123], v[90:91], -v[92:93]
	v_add_f64_e32 v[4:5], v[4:5], v[86:87]
	v_add_f64_e32 v[124:125], v[88:89], v[148:149]
	ds_load_b128 v[86:89], v2 offset:1008
	ds_load_b128 v[90:93], v2 offset:1024
	v_fmac_f64_e32 v[134:135], v[144:145], v[94:95]
	v_fma_f64 v[94:95], v[142:143], v[94:95], -v[96:97]
	s_wait_loadcnt_dscnt 0x901
	v_mul_f64_e32 v[136:137], v[86:87], v[100:101]
	v_mul_f64_e32 v[100:101], v[88:89], v[100:101]
	v_add_f64_e32 v[4:5], v[4:5], v[122:123]
	v_add_f64_e32 v[8:9], v[124:125], v[8:9]
	s_wait_loadcnt_dscnt 0x800
	v_mul_f64_e32 v[122:123], v[90:91], v[104:105]
	v_mul_f64_e32 v[104:105], v[92:93], v[104:105]
	v_fmac_f64_e32 v[136:137], v[88:89], v[98:99]
	v_fma_f64 v[98:99], v[86:87], v[98:99], -v[100:101]
	v_add_f64_e32 v[4:5], v[4:5], v[94:95]
	v_add_f64_e32 v[8:9], v[8:9], v[134:135]
	ds_load_b128 v[86:89], v2 offset:1040
	ds_load_b128 v[94:97], v2 offset:1056
	v_fmac_f64_e32 v[122:123], v[92:93], v[102:103]
	v_fma_f64 v[90:91], v[90:91], v[102:103], -v[104:105]
	s_wait_loadcnt_dscnt 0x701
	v_mul_f64_e32 v[100:101], v[86:87], v[108:109]
	v_mul_f64_e32 v[108:109], v[88:89], v[108:109]
	s_wait_loadcnt_dscnt 0x600
	v_mul_f64_e32 v[102:103], v[96:97], v[112:113]
	v_add_f64_e32 v[4:5], v[4:5], v[98:99]
	v_add_f64_e32 v[8:9], v[8:9], v[136:137]
	v_mul_f64_e32 v[98:99], v[94:95], v[112:113]
	v_fmac_f64_e32 v[100:101], v[88:89], v[106:107]
	v_fma_f64 v[104:105], v[86:87], v[106:107], -v[108:109]
	v_fma_f64 v[94:95], v[94:95], v[110:111], -v[102:103]
	v_add_f64_e32 v[4:5], v[4:5], v[90:91]
	v_add_f64_e32 v[8:9], v[8:9], v[122:123]
	ds_load_b128 v[86:89], v2 offset:1072
	ds_load_b128 v[90:93], v2 offset:1088
	v_fmac_f64_e32 v[98:99], v[96:97], v[110:111]
	s_wait_loadcnt_dscnt 0x501
	v_mul_f64_e32 v[106:107], v[86:87], v[116:117]
	v_mul_f64_e32 v[108:109], v[88:89], v[116:117]
	s_wait_loadcnt_dscnt 0x400
	v_mul_f64_e32 v[102:103], v[92:93], v[120:121]
	v_add_f64_e32 v[4:5], v[4:5], v[104:105]
	v_add_f64_e32 v[8:9], v[8:9], v[100:101]
	v_mul_f64_e32 v[100:101], v[90:91], v[120:121]
	v_fmac_f64_e32 v[106:107], v[88:89], v[114:115]
	v_fma_f64 v[104:105], v[86:87], v[114:115], -v[108:109]
	v_fma_f64 v[90:91], v[90:91], v[118:119], -v[102:103]
	v_add_f64_e32 v[4:5], v[4:5], v[94:95]
	v_add_f64_e32 v[8:9], v[8:9], v[98:99]
	ds_load_b128 v[86:89], v2 offset:1104
	ds_load_b128 v[94:97], v2 offset:1120
	v_fmac_f64_e32 v[100:101], v[92:93], v[118:119]
	s_wait_loadcnt_dscnt 0x301
	v_mul_f64_e32 v[98:99], v[86:87], v[128:129]
	v_mul_f64_e32 v[108:109], v[88:89], v[128:129]
	s_wait_loadcnt_dscnt 0x0
	v_mul_f64_e32 v[92:93], v[94:95], v[12:13]
	v_add_f64_e32 v[4:5], v[4:5], v[104:105]
	v_add_f64_e32 v[8:9], v[8:9], v[106:107]
	v_mul_f64_e32 v[12:13], v[96:97], v[12:13]
	v_fmac_f64_e32 v[98:99], v[88:89], v[126:127]
	v_fma_f64 v[102:103], v[86:87], v[126:127], -v[108:109]
	ds_load_b128 v[86:89], v2 offset:1136
	v_fmac_f64_e32 v[92:93], v[96:97], v[10:11]
	v_add_f64_e32 v[4:5], v[4:5], v[90:91]
	v_add_f64_e32 v[8:9], v[8:9], v[100:101]
	v_fma_f64 v[10:11], v[94:95], v[10:11], -v[12:13]
	s_wait_dscnt 0x0
	v_mul_f64_e32 v[90:91], v[86:87], v[140:141]
	v_mul_f64_e32 v[100:101], v[88:89], v[140:141]
	v_add_f64_e32 v[4:5], v[4:5], v[102:103]
	v_add_f64_e32 v[8:9], v[8:9], v[98:99]
	s_delay_alu instid0(VALU_DEP_4) | instskip(NEXT) | instid1(VALU_DEP_4)
	v_fmac_f64_e32 v[90:91], v[88:89], v[138:139]
	v_fma_f64 v[12:13], v[86:87], v[138:139], -v[100:101]
	s_delay_alu instid0(VALU_DEP_4) | instskip(NEXT) | instid1(VALU_DEP_4)
	v_add_f64_e32 v[4:5], v[4:5], v[10:11]
	v_add_f64_e32 v[8:9], v[8:9], v[92:93]
	s_delay_alu instid0(VALU_DEP_2) | instskip(NEXT) | instid1(VALU_DEP_2)
	v_add_f64_e32 v[4:5], v[4:5], v[12:13]
	v_add_f64_e32 v[10:11], v[8:9], v[90:91]
	s_delay_alu instid0(VALU_DEP_2) | instskip(NEXT) | instid1(VALU_DEP_2)
	v_add_f64_e64 v[8:9], v[130:131], -v[4:5]
	v_add_f64_e64 v[10:11], v[132:133], -v[10:11]
	scratch_store_b128 off, v[8:11], off offset:352
	s_wait_xcnt 0x0
	v_cmpx_lt_u32_e32 21, v1
	s_cbranch_execz .LBB99_187
; %bb.186:
	scratch_load_b128 v[8:11], off, s30
	v_dual_mov_b32 v3, v2 :: v_dual_mov_b32 v4, v2
	v_mov_b32_e32 v5, v2
	scratch_store_b128 off, v[2:5], off offset:336
	s_wait_loadcnt 0x0
	ds_store_b128 v6, v[8:11]
.LBB99_187:
	s_wait_xcnt 0x0
	s_or_b32 exec_lo, exec_lo, s2
	s_wait_storecnt_dscnt 0x0
	s_barrier_signal -1
	s_barrier_wait -1
	s_clause 0x9
	scratch_load_b128 v[8:11], off, off offset:352
	scratch_load_b128 v[86:89], off, off offset:368
	;; [unrolled: 1-line block ×10, first 2 shown]
	ds_load_b128 v[122:125], v2 offset:928
	ds_load_b128 v[130:133], v2 offset:944
	s_clause 0x1
	scratch_load_b128 v[126:129], off, off offset:512
	scratch_load_b128 v[134:137], off, off offset:336
	s_mov_b32 s2, exec_lo
	s_wait_loadcnt_dscnt 0xb01
	v_mul_f64_e32 v[4:5], v[124:125], v[10:11]
	v_mul_f64_e32 v[146:147], v[122:123], v[10:11]
	scratch_load_b128 v[10:13], off, off offset:528
	s_wait_loadcnt_dscnt 0xb00
	v_mul_f64_e32 v[148:149], v[130:131], v[88:89]
	v_mul_f64_e32 v[88:89], v[132:133], v[88:89]
	v_fma_f64 v[4:5], v[122:123], v[8:9], -v[4:5]
	v_fmac_f64_e32 v[146:147], v[124:125], v[8:9]
	ds_load_b128 v[122:125], v2 offset:960
	ds_load_b128 v[138:141], v2 offset:976
	scratch_load_b128 v[142:145], off, off offset:544
	v_fmac_f64_e32 v[148:149], v[132:133], v[86:87]
	v_fma_f64 v[130:131], v[130:131], v[86:87], -v[88:89]
	scratch_load_b128 v[86:89], off, off offset:560
	s_wait_loadcnt_dscnt 0xc01
	v_mul_f64_e32 v[8:9], v[122:123], v[92:93]
	v_mul_f64_e32 v[92:93], v[124:125], v[92:93]
	v_add_f64_e32 v[4:5], 0, v[4:5]
	v_add_f64_e32 v[132:133], 0, v[146:147]
	s_wait_loadcnt_dscnt 0xb00
	v_mul_f64_e32 v[146:147], v[138:139], v[96:97]
	v_mul_f64_e32 v[96:97], v[140:141], v[96:97]
	v_fmac_f64_e32 v[8:9], v[124:125], v[90:91]
	v_fma_f64 v[150:151], v[122:123], v[90:91], -v[92:93]
	ds_load_b128 v[90:93], v2 offset:992
	ds_load_b128 v[122:125], v2 offset:1008
	v_add_f64_e32 v[4:5], v[4:5], v[130:131]
	v_add_f64_e32 v[130:131], v[132:133], v[148:149]
	v_fmac_f64_e32 v[146:147], v[140:141], v[94:95]
	v_fma_f64 v[94:95], v[138:139], v[94:95], -v[96:97]
	s_wait_loadcnt_dscnt 0xa01
	v_mul_f64_e32 v[132:133], v[90:91], v[100:101]
	v_mul_f64_e32 v[100:101], v[92:93], v[100:101]
	v_add_f64_e32 v[4:5], v[4:5], v[150:151]
	v_add_f64_e32 v[8:9], v[130:131], v[8:9]
	s_wait_loadcnt_dscnt 0x900
	v_mul_f64_e32 v[130:131], v[122:123], v[104:105]
	v_mul_f64_e32 v[104:105], v[124:125], v[104:105]
	v_fmac_f64_e32 v[132:133], v[92:93], v[98:99]
	v_fma_f64 v[98:99], v[90:91], v[98:99], -v[100:101]
	v_add_f64_e32 v[4:5], v[4:5], v[94:95]
	v_add_f64_e32 v[8:9], v[8:9], v[146:147]
	ds_load_b128 v[90:93], v2 offset:1024
	ds_load_b128 v[94:97], v2 offset:1040
	v_fmac_f64_e32 v[130:131], v[124:125], v[102:103]
	v_fma_f64 v[102:103], v[122:123], v[102:103], -v[104:105]
	s_wait_loadcnt_dscnt 0x801
	v_mul_f64_e32 v[138:139], v[90:91], v[108:109]
	v_mul_f64_e32 v[100:101], v[92:93], v[108:109]
	s_wait_loadcnt_dscnt 0x700
	v_mul_f64_e32 v[104:105], v[94:95], v[112:113]
	v_mul_f64_e32 v[108:109], v[96:97], v[112:113]
	v_add_f64_e32 v[4:5], v[4:5], v[98:99]
	v_add_f64_e32 v[8:9], v[8:9], v[132:133]
	v_fmac_f64_e32 v[138:139], v[92:93], v[106:107]
	v_fma_f64 v[106:107], v[90:91], v[106:107], -v[100:101]
	ds_load_b128 v[90:93], v2 offset:1056
	ds_load_b128 v[98:101], v2 offset:1072
	v_fmac_f64_e32 v[104:105], v[96:97], v[110:111]
	v_fma_f64 v[94:95], v[94:95], v[110:111], -v[108:109]
	v_add_f64_e32 v[4:5], v[4:5], v[102:103]
	v_add_f64_e32 v[8:9], v[8:9], v[130:131]
	s_wait_loadcnt_dscnt 0x601
	v_mul_f64_e32 v[102:103], v[90:91], v[116:117]
	v_mul_f64_e32 v[112:113], v[92:93], v[116:117]
	s_wait_loadcnt_dscnt 0x500
	v_mul_f64_e32 v[108:109], v[100:101], v[120:121]
	v_add_f64_e32 v[4:5], v[4:5], v[106:107]
	v_add_f64_e32 v[8:9], v[8:9], v[138:139]
	v_mul_f64_e32 v[106:107], v[98:99], v[120:121]
	v_fmac_f64_e32 v[102:103], v[92:93], v[114:115]
	v_fma_f64 v[110:111], v[90:91], v[114:115], -v[112:113]
	v_fma_f64 v[98:99], v[98:99], v[118:119], -v[108:109]
	v_add_f64_e32 v[4:5], v[4:5], v[94:95]
	v_add_f64_e32 v[8:9], v[8:9], v[104:105]
	ds_load_b128 v[90:93], v2 offset:1088
	ds_load_b128 v[94:97], v2 offset:1104
	v_fmac_f64_e32 v[106:107], v[100:101], v[118:119]
	s_wait_loadcnt_dscnt 0x401
	v_mul_f64_e32 v[104:105], v[90:91], v[128:129]
	v_mul_f64_e32 v[112:113], v[92:93], v[128:129]
	v_add_f64_e32 v[4:5], v[4:5], v[110:111]
	v_add_f64_e32 v[8:9], v[8:9], v[102:103]
	s_wait_loadcnt_dscnt 0x200
	v_mul_f64_e32 v[100:101], v[94:95], v[12:13]
	v_mul_f64_e32 v[12:13], v[96:97], v[12:13]
	v_fmac_f64_e32 v[104:105], v[92:93], v[126:127]
	v_fma_f64 v[102:103], v[90:91], v[126:127], -v[112:113]
	v_add_f64_e32 v[98:99], v[4:5], v[98:99]
	v_add_f64_e32 v[8:9], v[8:9], v[106:107]
	ds_load_b128 v[90:93], v2 offset:1120
	ds_load_b128 v[2:5], v2 offset:1136
	v_fmac_f64_e32 v[100:101], v[96:97], v[10:11]
	v_fma_f64 v[10:11], v[94:95], v[10:11], -v[12:13]
	s_wait_loadcnt_dscnt 0x101
	v_mul_f64_e32 v[106:107], v[90:91], v[144:145]
	v_mul_f64_e32 v[108:109], v[92:93], v[144:145]
	s_wait_loadcnt_dscnt 0x0
	v_mul_f64_e32 v[94:95], v[2:3], v[88:89]
	v_mul_f64_e32 v[88:89], v[4:5], v[88:89]
	v_add_f64_e32 v[12:13], v[98:99], v[102:103]
	v_add_f64_e32 v[8:9], v[8:9], v[104:105]
	v_fmac_f64_e32 v[106:107], v[92:93], v[142:143]
	v_fma_f64 v[90:91], v[90:91], v[142:143], -v[108:109]
	v_fmac_f64_e32 v[94:95], v[4:5], v[86:87]
	v_fma_f64 v[2:3], v[2:3], v[86:87], -v[88:89]
	v_add_f64_e32 v[10:11], v[12:13], v[10:11]
	v_add_f64_e32 v[8:9], v[8:9], v[100:101]
	s_delay_alu instid0(VALU_DEP_2) | instskip(NEXT) | instid1(VALU_DEP_2)
	v_add_f64_e32 v[4:5], v[10:11], v[90:91]
	v_add_f64_e32 v[8:9], v[8:9], v[106:107]
	s_delay_alu instid0(VALU_DEP_2) | instskip(NEXT) | instid1(VALU_DEP_2)
	;; [unrolled: 3-line block ×3, first 2 shown]
	v_add_f64_e64 v[2:3], v[134:135], -v[2:3]
	v_add_f64_e64 v[4:5], v[136:137], -v[4:5]
	scratch_store_b128 off, v[2:5], off offset:336
	s_wait_xcnt 0x0
	v_cmpx_lt_u32_e32 20, v1
	s_cbranch_execz .LBB99_189
; %bb.188:
	scratch_load_b128 v[2:5], off, s31
	v_mov_b32_e32 v8, 0
	s_delay_alu instid0(VALU_DEP_1)
	v_dual_mov_b32 v9, v8 :: v_dual_mov_b32 v10, v8
	v_mov_b32_e32 v11, v8
	scratch_store_b128 off, v[8:11], off offset:320
	s_wait_loadcnt 0x0
	ds_store_b128 v6, v[2:5]
.LBB99_189:
	s_wait_xcnt 0x0
	s_or_b32 exec_lo, exec_lo, s2
	s_wait_storecnt_dscnt 0x0
	s_barrier_signal -1
	s_barrier_wait -1
	s_clause 0x9
	scratch_load_b128 v[8:11], off, off offset:336
	scratch_load_b128 v[86:89], off, off offset:352
	;; [unrolled: 1-line block ×10, first 2 shown]
	v_mov_b32_e32 v2, 0
	s_mov_b32 s2, exec_lo
	ds_load_b128 v[122:125], v2 offset:912
	s_clause 0x2
	scratch_load_b128 v[126:129], off, off offset:496
	scratch_load_b128 v[130:133], off, off offset:320
	;; [unrolled: 1-line block ×3, first 2 shown]
	s_wait_loadcnt_dscnt 0xc00
	v_mul_f64_e32 v[4:5], v[124:125], v[10:11]
	v_mul_f64_e32 v[146:147], v[122:123], v[10:11]
	ds_load_b128 v[134:137], v2 offset:928
	scratch_load_b128 v[10:13], off, off offset:512
	ds_load_b128 v[142:145], v2 offset:960
	v_fma_f64 v[4:5], v[122:123], v[8:9], -v[4:5]
	v_fmac_f64_e32 v[146:147], v[124:125], v[8:9]
	ds_load_b128 v[122:125], v2 offset:944
	s_wait_loadcnt_dscnt 0xc02
	v_mul_f64_e32 v[148:149], v[134:135], v[88:89]
	v_mul_f64_e32 v[88:89], v[136:137], v[88:89]
	s_wait_loadcnt_dscnt 0xb00
	v_mul_f64_e32 v[8:9], v[122:123], v[92:93]
	v_mul_f64_e32 v[92:93], v[124:125], v[92:93]
	v_add_f64_e32 v[4:5], 0, v[4:5]
	v_fmac_f64_e32 v[148:149], v[136:137], v[86:87]
	v_fma_f64 v[134:135], v[134:135], v[86:87], -v[88:89]
	v_add_f64_e32 v[136:137], 0, v[146:147]
	scratch_load_b128 v[86:89], off, off offset:544
	v_fmac_f64_e32 v[8:9], v[124:125], v[90:91]
	v_fma_f64 v[150:151], v[122:123], v[90:91], -v[92:93]
	ds_load_b128 v[90:93], v2 offset:976
	s_wait_loadcnt 0xb
	v_mul_f64_e32 v[146:147], v[142:143], v[96:97]
	v_mul_f64_e32 v[96:97], v[144:145], v[96:97]
	scratch_load_b128 v[122:125], off, off offset:560
	v_add_f64_e32 v[4:5], v[4:5], v[134:135]
	v_add_f64_e32 v[148:149], v[136:137], v[148:149]
	ds_load_b128 v[134:137], v2 offset:992
	s_wait_loadcnt_dscnt 0xb01
	v_mul_f64_e32 v[152:153], v[90:91], v[100:101]
	v_mul_f64_e32 v[100:101], v[92:93], v[100:101]
	v_fmac_f64_e32 v[146:147], v[144:145], v[94:95]
	v_fma_f64 v[94:95], v[142:143], v[94:95], -v[96:97]
	s_wait_loadcnt_dscnt 0xa00
	v_mul_f64_e32 v[142:143], v[134:135], v[104:105]
	v_mul_f64_e32 v[104:105], v[136:137], v[104:105]
	v_add_f64_e32 v[4:5], v[4:5], v[150:151]
	v_add_f64_e32 v[8:9], v[148:149], v[8:9]
	v_fmac_f64_e32 v[152:153], v[92:93], v[98:99]
	v_fma_f64 v[98:99], v[90:91], v[98:99], -v[100:101]
	v_fmac_f64_e32 v[142:143], v[136:137], v[102:103]
	v_fma_f64 v[102:103], v[134:135], v[102:103], -v[104:105]
	v_add_f64_e32 v[4:5], v[4:5], v[94:95]
	v_add_f64_e32 v[8:9], v[8:9], v[146:147]
	ds_load_b128 v[90:93], v2 offset:1008
	ds_load_b128 v[94:97], v2 offset:1024
	s_wait_loadcnt_dscnt 0x901
	v_mul_f64_e32 v[144:145], v[90:91], v[108:109]
	v_mul_f64_e32 v[100:101], v[92:93], v[108:109]
	s_wait_loadcnt_dscnt 0x800
	v_mul_f64_e32 v[104:105], v[94:95], v[112:113]
	v_mul_f64_e32 v[108:109], v[96:97], v[112:113]
	v_add_f64_e32 v[4:5], v[4:5], v[98:99]
	v_add_f64_e32 v[8:9], v[8:9], v[152:153]
	v_fmac_f64_e32 v[144:145], v[92:93], v[106:107]
	v_fma_f64 v[106:107], v[90:91], v[106:107], -v[100:101]
	ds_load_b128 v[90:93], v2 offset:1040
	ds_load_b128 v[98:101], v2 offset:1056
	v_fmac_f64_e32 v[104:105], v[96:97], v[110:111]
	v_fma_f64 v[94:95], v[94:95], v[110:111], -v[108:109]
	v_add_f64_e32 v[4:5], v[4:5], v[102:103]
	v_add_f64_e32 v[8:9], v[8:9], v[142:143]
	s_wait_loadcnt_dscnt 0x701
	v_mul_f64_e32 v[102:103], v[90:91], v[116:117]
	v_mul_f64_e32 v[112:113], v[92:93], v[116:117]
	s_wait_loadcnt_dscnt 0x600
	v_mul_f64_e32 v[108:109], v[100:101], v[120:121]
	v_add_f64_e32 v[4:5], v[4:5], v[106:107]
	v_add_f64_e32 v[8:9], v[8:9], v[144:145]
	v_mul_f64_e32 v[106:107], v[98:99], v[120:121]
	v_fmac_f64_e32 v[102:103], v[92:93], v[114:115]
	v_fma_f64 v[110:111], v[90:91], v[114:115], -v[112:113]
	v_fma_f64 v[98:99], v[98:99], v[118:119], -v[108:109]
	v_add_f64_e32 v[4:5], v[4:5], v[94:95]
	v_add_f64_e32 v[8:9], v[8:9], v[104:105]
	ds_load_b128 v[90:93], v2 offset:1072
	ds_load_b128 v[94:97], v2 offset:1088
	v_fmac_f64_e32 v[106:107], v[100:101], v[118:119]
	s_wait_loadcnt_dscnt 0x501
	v_mul_f64_e32 v[104:105], v[90:91], v[128:129]
	v_mul_f64_e32 v[112:113], v[92:93], v[128:129]
	v_add_f64_e32 v[4:5], v[4:5], v[110:111]
	v_add_f64_e32 v[8:9], v[8:9], v[102:103]
	s_wait_loadcnt_dscnt 0x200
	v_mul_f64_e32 v[102:103], v[94:95], v[12:13]
	v_mul_f64_e32 v[12:13], v[96:97], v[12:13]
	v_fmac_f64_e32 v[104:105], v[92:93], v[126:127]
	v_fma_f64 v[108:109], v[90:91], v[126:127], -v[112:113]
	v_add_f64_e32 v[4:5], v[4:5], v[98:99]
	v_add_f64_e32 v[8:9], v[8:9], v[106:107]
	ds_load_b128 v[90:93], v2 offset:1104
	ds_load_b128 v[98:101], v2 offset:1120
	v_fmac_f64_e32 v[102:103], v[96:97], v[10:11]
	v_fma_f64 v[10:11], v[94:95], v[10:11], -v[12:13]
	s_wait_dscnt 0x1
	v_mul_f64_e32 v[106:107], v[90:91], v[140:141]
	v_mul_f64_e32 v[110:111], v[92:93], v[140:141]
	v_add_f64_e32 v[4:5], v[4:5], v[108:109]
	v_add_f64_e32 v[8:9], v[8:9], v[104:105]
	s_wait_loadcnt_dscnt 0x100
	v_mul_f64_e32 v[12:13], v[98:99], v[88:89]
	v_mul_f64_e32 v[88:89], v[100:101], v[88:89]
	v_fmac_f64_e32 v[106:107], v[92:93], v[138:139]
	v_fma_f64 v[90:91], v[90:91], v[138:139], -v[110:111]
	v_add_f64_e32 v[4:5], v[4:5], v[10:11]
	v_add_f64_e32 v[92:93], v[8:9], v[102:103]
	ds_load_b128 v[8:11], v2 offset:1136
	v_fmac_f64_e32 v[12:13], v[100:101], v[86:87]
	v_fma_f64 v[86:87], v[98:99], v[86:87], -v[88:89]
	s_wait_loadcnt_dscnt 0x0
	v_mul_f64_e32 v[94:95], v[8:9], v[124:125]
	v_mul_f64_e32 v[96:97], v[10:11], v[124:125]
	v_add_f64_e32 v[4:5], v[4:5], v[90:91]
	v_add_f64_e32 v[88:89], v[92:93], v[106:107]
	s_delay_alu instid0(VALU_DEP_4) | instskip(NEXT) | instid1(VALU_DEP_4)
	v_fmac_f64_e32 v[94:95], v[10:11], v[122:123]
	v_fma_f64 v[8:9], v[8:9], v[122:123], -v[96:97]
	s_delay_alu instid0(VALU_DEP_4) | instskip(NEXT) | instid1(VALU_DEP_4)
	v_add_f64_e32 v[4:5], v[4:5], v[86:87]
	v_add_f64_e32 v[10:11], v[88:89], v[12:13]
	s_delay_alu instid0(VALU_DEP_2) | instskip(NEXT) | instid1(VALU_DEP_2)
	v_add_f64_e32 v[4:5], v[4:5], v[8:9]
	v_add_f64_e32 v[10:11], v[10:11], v[94:95]
	s_delay_alu instid0(VALU_DEP_2) | instskip(NEXT) | instid1(VALU_DEP_2)
	v_add_f64_e64 v[8:9], v[130:131], -v[4:5]
	v_add_f64_e64 v[10:11], v[132:133], -v[10:11]
	scratch_store_b128 off, v[8:11], off offset:320
	s_wait_xcnt 0x0
	v_cmpx_lt_u32_e32 19, v1
	s_cbranch_execz .LBB99_191
; %bb.190:
	scratch_load_b128 v[8:11], off, s33
	v_dual_mov_b32 v3, v2 :: v_dual_mov_b32 v4, v2
	v_mov_b32_e32 v5, v2
	scratch_store_b128 off, v[2:5], off offset:304
	s_wait_loadcnt 0x0
	ds_store_b128 v6, v[8:11]
.LBB99_191:
	s_wait_xcnt 0x0
	s_or_b32 exec_lo, exec_lo, s2
	s_wait_storecnt_dscnt 0x0
	s_barrier_signal -1
	s_barrier_wait -1
	s_clause 0x9
	scratch_load_b128 v[8:11], off, off offset:320
	scratch_load_b128 v[86:89], off, off offset:336
	;; [unrolled: 1-line block ×10, first 2 shown]
	ds_load_b128 v[122:125], v2 offset:896
	ds_load_b128 v[130:133], v2 offset:912
	s_clause 0x1
	scratch_load_b128 v[126:129], off, off offset:480
	scratch_load_b128 v[134:137], off, off offset:304
	s_mov_b32 s2, exec_lo
	s_wait_loadcnt_dscnt 0xb01
	v_mul_f64_e32 v[4:5], v[124:125], v[10:11]
	v_mul_f64_e32 v[146:147], v[122:123], v[10:11]
	scratch_load_b128 v[10:13], off, off offset:496
	s_wait_loadcnt_dscnt 0xb00
	v_mul_f64_e32 v[148:149], v[130:131], v[88:89]
	v_mul_f64_e32 v[88:89], v[132:133], v[88:89]
	v_fma_f64 v[4:5], v[122:123], v[8:9], -v[4:5]
	v_fmac_f64_e32 v[146:147], v[124:125], v[8:9]
	ds_load_b128 v[122:125], v2 offset:928
	ds_load_b128 v[138:141], v2 offset:944
	scratch_load_b128 v[142:145], off, off offset:512
	v_fmac_f64_e32 v[148:149], v[132:133], v[86:87]
	v_fma_f64 v[130:131], v[130:131], v[86:87], -v[88:89]
	scratch_load_b128 v[86:89], off, off offset:528
	s_wait_loadcnt_dscnt 0xc01
	v_mul_f64_e32 v[8:9], v[122:123], v[92:93]
	v_mul_f64_e32 v[92:93], v[124:125], v[92:93]
	v_add_f64_e32 v[4:5], 0, v[4:5]
	v_add_f64_e32 v[132:133], 0, v[146:147]
	s_wait_loadcnt_dscnt 0xb00
	v_mul_f64_e32 v[146:147], v[138:139], v[96:97]
	v_mul_f64_e32 v[96:97], v[140:141], v[96:97]
	v_fmac_f64_e32 v[8:9], v[124:125], v[90:91]
	v_fma_f64 v[150:151], v[122:123], v[90:91], -v[92:93]
	ds_load_b128 v[90:93], v2 offset:960
	ds_load_b128 v[122:125], v2 offset:976
	v_add_f64_e32 v[4:5], v[4:5], v[130:131]
	v_add_f64_e32 v[148:149], v[132:133], v[148:149]
	scratch_load_b128 v[130:133], off, off offset:544
	v_fmac_f64_e32 v[146:147], v[140:141], v[94:95]
	v_fma_f64 v[138:139], v[138:139], v[94:95], -v[96:97]
	scratch_load_b128 v[94:97], off, off offset:560
	s_wait_loadcnt_dscnt 0xc01
	v_mul_f64_e32 v[152:153], v[90:91], v[100:101]
	v_mul_f64_e32 v[100:101], v[92:93], v[100:101]
	s_wait_loadcnt_dscnt 0xb00
	v_mul_f64_e32 v[140:141], v[122:123], v[104:105]
	v_mul_f64_e32 v[104:105], v[124:125], v[104:105]
	v_add_f64_e32 v[4:5], v[4:5], v[150:151]
	v_add_f64_e32 v[8:9], v[148:149], v[8:9]
	v_fmac_f64_e32 v[152:153], v[92:93], v[98:99]
	v_fma_f64 v[148:149], v[90:91], v[98:99], -v[100:101]
	ds_load_b128 v[90:93], v2 offset:992
	ds_load_b128 v[98:101], v2 offset:1008
	v_fmac_f64_e32 v[140:141], v[124:125], v[102:103]
	v_fma_f64 v[102:103], v[122:123], v[102:103], -v[104:105]
	s_wait_loadcnt_dscnt 0x900
	v_mul_f64_e32 v[122:123], v[98:99], v[112:113]
	v_add_f64_e32 v[4:5], v[4:5], v[138:139]
	v_add_f64_e32 v[8:9], v[8:9], v[146:147]
	v_mul_f64_e32 v[138:139], v[90:91], v[108:109]
	v_mul_f64_e32 v[108:109], v[92:93], v[108:109]
	;; [unrolled: 1-line block ×3, first 2 shown]
	v_fmac_f64_e32 v[122:123], v[100:101], v[110:111]
	v_add_f64_e32 v[4:5], v[4:5], v[148:149]
	v_add_f64_e32 v[8:9], v[8:9], v[152:153]
	v_fmac_f64_e32 v[138:139], v[92:93], v[106:107]
	v_fma_f64 v[106:107], v[90:91], v[106:107], -v[108:109]
	v_fma_f64 v[98:99], v[98:99], v[110:111], -v[112:113]
	v_add_f64_e32 v[4:5], v[4:5], v[102:103]
	v_add_f64_e32 v[8:9], v[8:9], v[140:141]
	ds_load_b128 v[90:93], v2 offset:1024
	ds_load_b128 v[102:105], v2 offset:1040
	s_wait_loadcnt_dscnt 0x801
	v_mul_f64_e32 v[108:109], v[90:91], v[116:117]
	v_mul_f64_e32 v[116:117], v[92:93], v[116:117]
	s_wait_loadcnt_dscnt 0x700
	v_mul_f64_e32 v[110:111], v[104:105], v[120:121]
	v_add_f64_e32 v[4:5], v[4:5], v[106:107]
	v_add_f64_e32 v[8:9], v[8:9], v[138:139]
	v_mul_f64_e32 v[106:107], v[102:103], v[120:121]
	v_fmac_f64_e32 v[108:109], v[92:93], v[114:115]
	v_fma_f64 v[112:113], v[90:91], v[114:115], -v[116:117]
	v_fma_f64 v[102:103], v[102:103], v[118:119], -v[110:111]
	v_add_f64_e32 v[4:5], v[4:5], v[98:99]
	v_add_f64_e32 v[8:9], v[8:9], v[122:123]
	ds_load_b128 v[90:93], v2 offset:1056
	ds_load_b128 v[98:101], v2 offset:1072
	v_fmac_f64_e32 v[106:107], v[104:105], v[118:119]
	s_wait_loadcnt_dscnt 0x601
	v_mul_f64_e32 v[114:115], v[90:91], v[128:129]
	v_mul_f64_e32 v[116:117], v[92:93], v[128:129]
	v_add_f64_e32 v[4:5], v[4:5], v[112:113]
	v_add_f64_e32 v[8:9], v[8:9], v[108:109]
	s_wait_loadcnt_dscnt 0x400
	v_mul_f64_e32 v[108:109], v[98:99], v[12:13]
	v_mul_f64_e32 v[12:13], v[100:101], v[12:13]
	v_fmac_f64_e32 v[114:115], v[92:93], v[126:127]
	v_fma_f64 v[110:111], v[90:91], v[126:127], -v[116:117]
	v_add_f64_e32 v[4:5], v[4:5], v[102:103]
	v_add_f64_e32 v[8:9], v[8:9], v[106:107]
	ds_load_b128 v[90:93], v2 offset:1088
	ds_load_b128 v[102:105], v2 offset:1104
	v_fmac_f64_e32 v[108:109], v[100:101], v[10:11]
	v_fma_f64 v[10:11], v[98:99], v[10:11], -v[12:13]
	s_wait_loadcnt_dscnt 0x301
	v_mul_f64_e32 v[106:107], v[90:91], v[144:145]
	v_mul_f64_e32 v[112:113], v[92:93], v[144:145]
	s_wait_loadcnt_dscnt 0x200
	v_mul_f64_e32 v[12:13], v[102:103], v[88:89]
	v_mul_f64_e32 v[88:89], v[104:105], v[88:89]
	v_add_f64_e32 v[4:5], v[4:5], v[110:111]
	v_add_f64_e32 v[8:9], v[8:9], v[114:115]
	v_fmac_f64_e32 v[106:107], v[92:93], v[142:143]
	v_fma_f64 v[90:91], v[90:91], v[142:143], -v[112:113]
	v_fmac_f64_e32 v[12:13], v[104:105], v[86:87]
	v_fma_f64 v[86:87], v[102:103], v[86:87], -v[88:89]
	v_add_f64_e32 v[92:93], v[4:5], v[10:11]
	v_add_f64_e32 v[98:99], v[8:9], v[108:109]
	ds_load_b128 v[8:11], v2 offset:1120
	ds_load_b128 v[2:5], v2 offset:1136
	s_wait_loadcnt_dscnt 0x101
	v_mul_f64_e32 v[100:101], v[8:9], v[132:133]
	v_mul_f64_e32 v[108:109], v[10:11], v[132:133]
	v_add_f64_e32 v[88:89], v[92:93], v[90:91]
	v_add_f64_e32 v[90:91], v[98:99], v[106:107]
	s_wait_loadcnt_dscnt 0x0
	v_mul_f64_e32 v[92:93], v[2:3], v[96:97]
	v_mul_f64_e32 v[96:97], v[4:5], v[96:97]
	v_fmac_f64_e32 v[100:101], v[10:11], v[130:131]
	v_fma_f64 v[8:9], v[8:9], v[130:131], -v[108:109]
	v_add_f64_e32 v[10:11], v[88:89], v[86:87]
	v_add_f64_e32 v[12:13], v[90:91], v[12:13]
	v_fmac_f64_e32 v[92:93], v[4:5], v[94:95]
	v_fma_f64 v[2:3], v[2:3], v[94:95], -v[96:97]
	s_delay_alu instid0(VALU_DEP_4) | instskip(NEXT) | instid1(VALU_DEP_4)
	v_add_f64_e32 v[4:5], v[10:11], v[8:9]
	v_add_f64_e32 v[8:9], v[12:13], v[100:101]
	s_delay_alu instid0(VALU_DEP_2) | instskip(NEXT) | instid1(VALU_DEP_2)
	v_add_f64_e32 v[2:3], v[4:5], v[2:3]
	v_add_f64_e32 v[4:5], v[8:9], v[92:93]
	s_delay_alu instid0(VALU_DEP_2) | instskip(NEXT) | instid1(VALU_DEP_2)
	v_add_f64_e64 v[2:3], v[134:135], -v[2:3]
	v_add_f64_e64 v[4:5], v[136:137], -v[4:5]
	scratch_store_b128 off, v[2:5], off offset:304
	s_wait_xcnt 0x0
	v_cmpx_lt_u32_e32 18, v1
	s_cbranch_execz .LBB99_193
; %bb.192:
	scratch_load_b128 v[2:5], off, s34
	v_mov_b32_e32 v8, 0
	s_delay_alu instid0(VALU_DEP_1)
	v_dual_mov_b32 v9, v8 :: v_dual_mov_b32 v10, v8
	v_mov_b32_e32 v11, v8
	scratch_store_b128 off, v[8:11], off offset:288
	s_wait_loadcnt 0x0
	ds_store_b128 v6, v[2:5]
.LBB99_193:
	s_wait_xcnt 0x0
	s_or_b32 exec_lo, exec_lo, s2
	s_wait_storecnt_dscnt 0x0
	s_barrier_signal -1
	s_barrier_wait -1
	s_clause 0x9
	scratch_load_b128 v[8:11], off, off offset:304
	scratch_load_b128 v[86:89], off, off offset:320
	;; [unrolled: 1-line block ×10, first 2 shown]
	v_mov_b32_e32 v2, 0
	s_mov_b32 s2, exec_lo
	ds_load_b128 v[122:125], v2 offset:880
	s_clause 0x2
	scratch_load_b128 v[126:129], off, off offset:464
	scratch_load_b128 v[130:133], off, off offset:288
	;; [unrolled: 1-line block ×3, first 2 shown]
	s_wait_loadcnt_dscnt 0xc00
	v_mul_f64_e32 v[4:5], v[124:125], v[10:11]
	v_mul_f64_e32 v[146:147], v[122:123], v[10:11]
	ds_load_b128 v[134:137], v2 offset:896
	scratch_load_b128 v[10:13], off, off offset:480
	ds_load_b128 v[142:145], v2 offset:928
	v_fma_f64 v[4:5], v[122:123], v[8:9], -v[4:5]
	v_fmac_f64_e32 v[146:147], v[124:125], v[8:9]
	ds_load_b128 v[122:125], v2 offset:912
	s_wait_loadcnt_dscnt 0xc02
	v_mul_f64_e32 v[148:149], v[134:135], v[88:89]
	v_mul_f64_e32 v[88:89], v[136:137], v[88:89]
	s_wait_loadcnt_dscnt 0xb00
	v_mul_f64_e32 v[8:9], v[122:123], v[92:93]
	v_mul_f64_e32 v[92:93], v[124:125], v[92:93]
	v_add_f64_e32 v[4:5], 0, v[4:5]
	v_fmac_f64_e32 v[148:149], v[136:137], v[86:87]
	v_fma_f64 v[134:135], v[134:135], v[86:87], -v[88:89]
	v_add_f64_e32 v[136:137], 0, v[146:147]
	scratch_load_b128 v[86:89], off, off offset:512
	v_fmac_f64_e32 v[8:9], v[124:125], v[90:91]
	v_fma_f64 v[150:151], v[122:123], v[90:91], -v[92:93]
	ds_load_b128 v[90:93], v2 offset:944
	s_wait_loadcnt 0xb
	v_mul_f64_e32 v[146:147], v[142:143], v[96:97]
	v_mul_f64_e32 v[96:97], v[144:145], v[96:97]
	scratch_load_b128 v[122:125], off, off offset:528
	v_add_f64_e32 v[4:5], v[4:5], v[134:135]
	v_add_f64_e32 v[148:149], v[136:137], v[148:149]
	ds_load_b128 v[134:137], v2 offset:960
	s_wait_loadcnt_dscnt 0xb01
	v_mul_f64_e32 v[152:153], v[90:91], v[100:101]
	v_mul_f64_e32 v[100:101], v[92:93], v[100:101]
	v_fmac_f64_e32 v[146:147], v[144:145], v[94:95]
	v_fma_f64 v[142:143], v[142:143], v[94:95], -v[96:97]
	scratch_load_b128 v[94:97], off, off offset:544
	v_add_f64_e32 v[4:5], v[4:5], v[150:151]
	v_add_f64_e32 v[8:9], v[148:149], v[8:9]
	v_fmac_f64_e32 v[152:153], v[92:93], v[98:99]
	v_fma_f64 v[150:151], v[90:91], v[98:99], -v[100:101]
	ds_load_b128 v[90:93], v2 offset:976
	s_wait_loadcnt_dscnt 0xb01
	v_mul_f64_e32 v[148:149], v[134:135], v[104:105]
	v_mul_f64_e32 v[104:105], v[136:137], v[104:105]
	scratch_load_b128 v[98:101], off, off offset:560
	v_add_f64_e32 v[4:5], v[4:5], v[142:143]
	v_add_f64_e32 v[8:9], v[8:9], v[146:147]
	s_wait_loadcnt_dscnt 0xb00
	v_mul_f64_e32 v[146:147], v[90:91], v[108:109]
	v_mul_f64_e32 v[108:109], v[92:93], v[108:109]
	ds_load_b128 v[142:145], v2 offset:992
	v_fmac_f64_e32 v[148:149], v[136:137], v[102:103]
	v_fma_f64 v[102:103], v[134:135], v[102:103], -v[104:105]
	s_wait_loadcnt_dscnt 0xa00
	v_mul_f64_e32 v[134:135], v[142:143], v[112:113]
	v_mul_f64_e32 v[112:113], v[144:145], v[112:113]
	v_add_f64_e32 v[4:5], v[4:5], v[150:151]
	v_add_f64_e32 v[8:9], v[8:9], v[152:153]
	v_fmac_f64_e32 v[146:147], v[92:93], v[106:107]
	v_fma_f64 v[106:107], v[90:91], v[106:107], -v[108:109]
	v_fmac_f64_e32 v[134:135], v[144:145], v[110:111]
	v_fma_f64 v[110:111], v[142:143], v[110:111], -v[112:113]
	v_add_f64_e32 v[4:5], v[4:5], v[102:103]
	v_add_f64_e32 v[8:9], v[8:9], v[148:149]
	ds_load_b128 v[90:93], v2 offset:1008
	ds_load_b128 v[102:105], v2 offset:1024
	s_wait_loadcnt_dscnt 0x901
	v_mul_f64_e32 v[136:137], v[90:91], v[116:117]
	v_mul_f64_e32 v[108:109], v[92:93], v[116:117]
	s_wait_loadcnt_dscnt 0x800
	v_mul_f64_e32 v[112:113], v[102:103], v[120:121]
	v_mul_f64_e32 v[116:117], v[104:105], v[120:121]
	v_add_f64_e32 v[4:5], v[4:5], v[106:107]
	v_add_f64_e32 v[8:9], v[8:9], v[146:147]
	v_fmac_f64_e32 v[136:137], v[92:93], v[114:115]
	v_fma_f64 v[114:115], v[90:91], v[114:115], -v[108:109]
	ds_load_b128 v[90:93], v2 offset:1040
	ds_load_b128 v[106:109], v2 offset:1056
	v_fmac_f64_e32 v[112:113], v[104:105], v[118:119]
	v_fma_f64 v[102:103], v[102:103], v[118:119], -v[116:117]
	v_add_f64_e32 v[4:5], v[4:5], v[110:111]
	v_add_f64_e32 v[8:9], v[8:9], v[134:135]
	s_wait_loadcnt_dscnt 0x701
	v_mul_f64_e32 v[110:111], v[90:91], v[128:129]
	v_mul_f64_e32 v[120:121], v[92:93], v[128:129]
	s_delay_alu instid0(VALU_DEP_4) | instskip(NEXT) | instid1(VALU_DEP_4)
	v_add_f64_e32 v[4:5], v[4:5], v[114:115]
	v_add_f64_e32 v[8:9], v[8:9], v[136:137]
	s_wait_loadcnt_dscnt 0x400
	v_mul_f64_e32 v[114:115], v[106:107], v[12:13]
	v_mul_f64_e32 v[12:13], v[108:109], v[12:13]
	v_fmac_f64_e32 v[110:111], v[92:93], v[126:127]
	v_fma_f64 v[116:117], v[90:91], v[126:127], -v[120:121]
	v_add_f64_e32 v[4:5], v[4:5], v[102:103]
	v_add_f64_e32 v[8:9], v[8:9], v[112:113]
	ds_load_b128 v[90:93], v2 offset:1072
	ds_load_b128 v[102:105], v2 offset:1088
	v_fmac_f64_e32 v[114:115], v[108:109], v[10:11]
	v_fma_f64 v[10:11], v[106:107], v[10:11], -v[12:13]
	s_wait_dscnt 0x1
	v_mul_f64_e32 v[112:113], v[90:91], v[140:141]
	v_mul_f64_e32 v[118:119], v[92:93], v[140:141]
	v_add_f64_e32 v[4:5], v[4:5], v[116:117]
	v_add_f64_e32 v[8:9], v[8:9], v[110:111]
	s_wait_loadcnt_dscnt 0x300
	v_mul_f64_e32 v[12:13], v[102:103], v[88:89]
	v_mul_f64_e32 v[106:107], v[104:105], v[88:89]
	v_fmac_f64_e32 v[112:113], v[92:93], v[138:139]
	v_fma_f64 v[92:93], v[90:91], v[138:139], -v[118:119]
	v_add_f64_e32 v[4:5], v[4:5], v[10:11]
	v_add_f64_e32 v[108:109], v[8:9], v[114:115]
	ds_load_b128 v[8:11], v2 offset:1104
	ds_load_b128 v[88:91], v2 offset:1120
	v_fmac_f64_e32 v[12:13], v[104:105], v[86:87]
	v_fma_f64 v[86:87], v[102:103], v[86:87], -v[106:107]
	s_wait_loadcnt_dscnt 0x201
	v_mul_f64_e32 v[110:111], v[8:9], v[124:125]
	v_mul_f64_e32 v[114:115], v[10:11], v[124:125]
	s_wait_loadcnt_dscnt 0x100
	v_mul_f64_e32 v[102:103], v[88:89], v[96:97]
	v_mul_f64_e32 v[96:97], v[90:91], v[96:97]
	v_add_f64_e32 v[4:5], v[4:5], v[92:93]
	v_add_f64_e32 v[92:93], v[108:109], v[112:113]
	v_fmac_f64_e32 v[110:111], v[10:11], v[122:123]
	v_fma_f64 v[104:105], v[8:9], v[122:123], -v[114:115]
	ds_load_b128 v[8:11], v2 offset:1136
	v_fmac_f64_e32 v[102:103], v[90:91], v[94:95]
	v_fma_f64 v[88:89], v[88:89], v[94:95], -v[96:97]
	v_add_f64_e32 v[4:5], v[4:5], v[86:87]
	v_add_f64_e32 v[12:13], v[92:93], v[12:13]
	s_wait_loadcnt_dscnt 0x0
	v_mul_f64_e32 v[86:87], v[8:9], v[100:101]
	v_mul_f64_e32 v[92:93], v[10:11], v[100:101]
	s_delay_alu instid0(VALU_DEP_4) | instskip(NEXT) | instid1(VALU_DEP_4)
	v_add_f64_e32 v[4:5], v[4:5], v[104:105]
	v_add_f64_e32 v[12:13], v[12:13], v[110:111]
	s_delay_alu instid0(VALU_DEP_4) | instskip(NEXT) | instid1(VALU_DEP_4)
	v_fmac_f64_e32 v[86:87], v[10:11], v[98:99]
	v_fma_f64 v[8:9], v[8:9], v[98:99], -v[92:93]
	s_delay_alu instid0(VALU_DEP_4) | instskip(NEXT) | instid1(VALU_DEP_4)
	v_add_f64_e32 v[4:5], v[4:5], v[88:89]
	v_add_f64_e32 v[10:11], v[12:13], v[102:103]
	s_delay_alu instid0(VALU_DEP_2) | instskip(NEXT) | instid1(VALU_DEP_2)
	v_add_f64_e32 v[4:5], v[4:5], v[8:9]
	v_add_f64_e32 v[10:11], v[10:11], v[86:87]
	s_delay_alu instid0(VALU_DEP_2) | instskip(NEXT) | instid1(VALU_DEP_2)
	v_add_f64_e64 v[8:9], v[130:131], -v[4:5]
	v_add_f64_e64 v[10:11], v[132:133], -v[10:11]
	scratch_store_b128 off, v[8:11], off offset:288
	s_wait_xcnt 0x0
	v_cmpx_lt_u32_e32 17, v1
	s_cbranch_execz .LBB99_195
; %bb.194:
	scratch_load_b128 v[8:11], off, s35
	v_dual_mov_b32 v3, v2 :: v_dual_mov_b32 v4, v2
	v_mov_b32_e32 v5, v2
	scratch_store_b128 off, v[2:5], off offset:272
	s_wait_loadcnt 0x0
	ds_store_b128 v6, v[8:11]
.LBB99_195:
	s_wait_xcnt 0x0
	s_or_b32 exec_lo, exec_lo, s2
	s_wait_storecnt_dscnt 0x0
	s_barrier_signal -1
	s_barrier_wait -1
	s_clause 0x9
	scratch_load_b128 v[8:11], off, off offset:288
	scratch_load_b128 v[86:89], off, off offset:304
	;; [unrolled: 1-line block ×10, first 2 shown]
	ds_load_b128 v[122:125], v2 offset:864
	ds_load_b128 v[130:133], v2 offset:880
	s_clause 0x1
	scratch_load_b128 v[126:129], off, off offset:448
	scratch_load_b128 v[134:137], off, off offset:272
	s_mov_b32 s2, exec_lo
	s_wait_loadcnt_dscnt 0xb01
	v_mul_f64_e32 v[4:5], v[124:125], v[10:11]
	v_mul_f64_e32 v[146:147], v[122:123], v[10:11]
	scratch_load_b128 v[10:13], off, off offset:464
	s_wait_loadcnt_dscnt 0xb00
	v_mul_f64_e32 v[148:149], v[130:131], v[88:89]
	v_mul_f64_e32 v[88:89], v[132:133], v[88:89]
	v_fma_f64 v[4:5], v[122:123], v[8:9], -v[4:5]
	v_fmac_f64_e32 v[146:147], v[124:125], v[8:9]
	ds_load_b128 v[122:125], v2 offset:896
	ds_load_b128 v[138:141], v2 offset:912
	scratch_load_b128 v[142:145], off, off offset:480
	v_fmac_f64_e32 v[148:149], v[132:133], v[86:87]
	v_fma_f64 v[130:131], v[130:131], v[86:87], -v[88:89]
	scratch_load_b128 v[86:89], off, off offset:496
	s_wait_loadcnt_dscnt 0xc01
	v_mul_f64_e32 v[8:9], v[122:123], v[92:93]
	v_mul_f64_e32 v[92:93], v[124:125], v[92:93]
	v_add_f64_e32 v[4:5], 0, v[4:5]
	v_add_f64_e32 v[132:133], 0, v[146:147]
	s_wait_loadcnt_dscnt 0xb00
	v_mul_f64_e32 v[146:147], v[138:139], v[96:97]
	v_mul_f64_e32 v[96:97], v[140:141], v[96:97]
	v_fmac_f64_e32 v[8:9], v[124:125], v[90:91]
	v_fma_f64 v[150:151], v[122:123], v[90:91], -v[92:93]
	ds_load_b128 v[90:93], v2 offset:928
	ds_load_b128 v[122:125], v2 offset:944
	v_add_f64_e32 v[4:5], v[4:5], v[130:131]
	v_add_f64_e32 v[148:149], v[132:133], v[148:149]
	scratch_load_b128 v[130:133], off, off offset:512
	v_fmac_f64_e32 v[146:147], v[140:141], v[94:95]
	v_fma_f64 v[138:139], v[138:139], v[94:95], -v[96:97]
	scratch_load_b128 v[94:97], off, off offset:528
	s_wait_loadcnt_dscnt 0xc01
	v_mul_f64_e32 v[152:153], v[90:91], v[100:101]
	v_mul_f64_e32 v[100:101], v[92:93], v[100:101]
	v_add_f64_e32 v[4:5], v[4:5], v[150:151]
	v_add_f64_e32 v[8:9], v[148:149], v[8:9]
	s_wait_loadcnt_dscnt 0xb00
	v_mul_f64_e32 v[148:149], v[122:123], v[104:105]
	v_mul_f64_e32 v[104:105], v[124:125], v[104:105]
	v_fmac_f64_e32 v[152:153], v[92:93], v[98:99]
	v_fma_f64 v[150:151], v[90:91], v[98:99], -v[100:101]
	ds_load_b128 v[90:93], v2 offset:960
	ds_load_b128 v[98:101], v2 offset:976
	v_add_f64_e32 v[4:5], v[4:5], v[138:139]
	v_add_f64_e32 v[8:9], v[8:9], v[146:147]
	scratch_load_b128 v[138:141], off, off offset:544
	s_wait_loadcnt_dscnt 0xb01
	v_mul_f64_e32 v[146:147], v[90:91], v[108:109]
	v_mul_f64_e32 v[108:109], v[92:93], v[108:109]
	v_fmac_f64_e32 v[148:149], v[124:125], v[102:103]
	v_fma_f64 v[122:123], v[122:123], v[102:103], -v[104:105]
	scratch_load_b128 v[102:105], off, off offset:560
	s_wait_loadcnt_dscnt 0xb00
	v_mul_f64_e32 v[124:125], v[98:99], v[112:113]
	v_mul_f64_e32 v[112:113], v[100:101], v[112:113]
	v_add_f64_e32 v[4:5], v[4:5], v[150:151]
	v_add_f64_e32 v[8:9], v[8:9], v[152:153]
	v_fmac_f64_e32 v[146:147], v[92:93], v[106:107]
	v_fma_f64 v[150:151], v[90:91], v[106:107], -v[108:109]
	ds_load_b128 v[90:93], v2 offset:992
	ds_load_b128 v[106:109], v2 offset:1008
	v_fmac_f64_e32 v[124:125], v[100:101], v[110:111]
	v_fma_f64 v[98:99], v[98:99], v[110:111], -v[112:113]
	s_wait_loadcnt_dscnt 0x900
	v_mul_f64_e32 v[110:111], v[106:107], v[120:121]
	v_mul_f64_e32 v[112:113], v[108:109], v[120:121]
	v_add_f64_e32 v[4:5], v[4:5], v[122:123]
	v_add_f64_e32 v[8:9], v[8:9], v[148:149]
	v_mul_f64_e32 v[122:123], v[90:91], v[116:117]
	v_mul_f64_e32 v[116:117], v[92:93], v[116:117]
	v_fmac_f64_e32 v[110:111], v[108:109], v[118:119]
	v_fma_f64 v[106:107], v[106:107], v[118:119], -v[112:113]
	v_add_f64_e32 v[4:5], v[4:5], v[150:151]
	v_add_f64_e32 v[8:9], v[8:9], v[146:147]
	v_fmac_f64_e32 v[122:123], v[92:93], v[114:115]
	v_fma_f64 v[114:115], v[90:91], v[114:115], -v[116:117]
	s_delay_alu instid0(VALU_DEP_4) | instskip(NEXT) | instid1(VALU_DEP_4)
	v_add_f64_e32 v[4:5], v[4:5], v[98:99]
	v_add_f64_e32 v[8:9], v[8:9], v[124:125]
	ds_load_b128 v[90:93], v2 offset:1024
	ds_load_b128 v[98:101], v2 offset:1040
	s_wait_loadcnt_dscnt 0x801
	v_mul_f64_e32 v[116:117], v[90:91], v[128:129]
	v_mul_f64_e32 v[120:121], v[92:93], v[128:129]
	v_add_f64_e32 v[4:5], v[4:5], v[114:115]
	v_add_f64_e32 v[8:9], v[8:9], v[122:123]
	s_wait_loadcnt_dscnt 0x600
	v_mul_f64_e32 v[112:113], v[98:99], v[12:13]
	v_mul_f64_e32 v[12:13], v[100:101], v[12:13]
	v_fmac_f64_e32 v[116:117], v[92:93], v[126:127]
	v_fma_f64 v[114:115], v[90:91], v[126:127], -v[120:121]
	v_add_f64_e32 v[4:5], v[4:5], v[106:107]
	v_add_f64_e32 v[8:9], v[8:9], v[110:111]
	ds_load_b128 v[90:93], v2 offset:1056
	ds_load_b128 v[106:109], v2 offset:1072
	v_fmac_f64_e32 v[112:113], v[100:101], v[10:11]
	v_fma_f64 v[10:11], v[98:99], v[10:11], -v[12:13]
	s_wait_loadcnt_dscnt 0x501
	v_mul_f64_e32 v[110:111], v[90:91], v[144:145]
	v_mul_f64_e32 v[118:119], v[92:93], v[144:145]
	s_wait_loadcnt_dscnt 0x400
	v_mul_f64_e32 v[12:13], v[106:107], v[88:89]
	v_mul_f64_e32 v[98:99], v[108:109], v[88:89]
	v_add_f64_e32 v[4:5], v[4:5], v[114:115]
	v_add_f64_e32 v[8:9], v[8:9], v[116:117]
	v_fmac_f64_e32 v[110:111], v[92:93], v[142:143]
	v_fma_f64 v[92:93], v[90:91], v[142:143], -v[118:119]
	v_fmac_f64_e32 v[12:13], v[108:109], v[86:87]
	v_fma_f64 v[86:87], v[106:107], v[86:87], -v[98:99]
	v_add_f64_e32 v[4:5], v[4:5], v[10:11]
	v_add_f64_e32 v[100:101], v[8:9], v[112:113]
	ds_load_b128 v[8:11], v2 offset:1088
	ds_load_b128 v[88:91], v2 offset:1104
	s_wait_loadcnt_dscnt 0x301
	v_mul_f64_e32 v[112:113], v[8:9], v[132:133]
	v_mul_f64_e32 v[114:115], v[10:11], v[132:133]
	s_wait_loadcnt_dscnt 0x200
	v_mul_f64_e32 v[98:99], v[88:89], v[96:97]
	v_mul_f64_e32 v[96:97], v[90:91], v[96:97]
	v_add_f64_e32 v[4:5], v[4:5], v[92:93]
	v_add_f64_e32 v[92:93], v[100:101], v[110:111]
	v_fmac_f64_e32 v[112:113], v[10:11], v[130:131]
	v_fma_f64 v[100:101], v[8:9], v[130:131], -v[114:115]
	v_fmac_f64_e32 v[98:99], v[90:91], v[94:95]
	v_fma_f64 v[88:89], v[88:89], v[94:95], -v[96:97]
	v_add_f64_e32 v[86:87], v[4:5], v[86:87]
	v_add_f64_e32 v[12:13], v[92:93], v[12:13]
	ds_load_b128 v[8:11], v2 offset:1120
	ds_load_b128 v[2:5], v2 offset:1136
	s_wait_loadcnt_dscnt 0x101
	v_mul_f64_e32 v[92:93], v[8:9], v[140:141]
	v_mul_f64_e32 v[106:107], v[10:11], v[140:141]
	s_wait_loadcnt_dscnt 0x0
	v_mul_f64_e32 v[90:91], v[2:3], v[104:105]
	v_mul_f64_e32 v[94:95], v[4:5], v[104:105]
	v_add_f64_e32 v[86:87], v[86:87], v[100:101]
	v_add_f64_e32 v[12:13], v[12:13], v[112:113]
	v_fmac_f64_e32 v[92:93], v[10:11], v[138:139]
	v_fma_f64 v[8:9], v[8:9], v[138:139], -v[106:107]
	v_fmac_f64_e32 v[90:91], v[4:5], v[102:103]
	v_fma_f64 v[2:3], v[2:3], v[102:103], -v[94:95]
	v_add_f64_e32 v[10:11], v[86:87], v[88:89]
	v_add_f64_e32 v[12:13], v[12:13], v[98:99]
	s_delay_alu instid0(VALU_DEP_2) | instskip(NEXT) | instid1(VALU_DEP_2)
	v_add_f64_e32 v[4:5], v[10:11], v[8:9]
	v_add_f64_e32 v[8:9], v[12:13], v[92:93]
	s_delay_alu instid0(VALU_DEP_2) | instskip(NEXT) | instid1(VALU_DEP_2)
	;; [unrolled: 3-line block ×3, first 2 shown]
	v_add_f64_e64 v[2:3], v[134:135], -v[2:3]
	v_add_f64_e64 v[4:5], v[136:137], -v[4:5]
	scratch_store_b128 off, v[2:5], off offset:272
	s_wait_xcnt 0x0
	v_cmpx_lt_u32_e32 16, v1
	s_cbranch_execz .LBB99_197
; %bb.196:
	scratch_load_b128 v[2:5], off, s36
	v_mov_b32_e32 v8, 0
	s_delay_alu instid0(VALU_DEP_1)
	v_dual_mov_b32 v9, v8 :: v_dual_mov_b32 v10, v8
	v_mov_b32_e32 v11, v8
	scratch_store_b128 off, v[8:11], off offset:256
	s_wait_loadcnt 0x0
	ds_store_b128 v6, v[2:5]
.LBB99_197:
	s_wait_xcnt 0x0
	s_or_b32 exec_lo, exec_lo, s2
	s_wait_storecnt_dscnt 0x0
	s_barrier_signal -1
	s_barrier_wait -1
	s_clause 0x9
	scratch_load_b128 v[8:11], off, off offset:272
	scratch_load_b128 v[86:89], off, off offset:288
	;; [unrolled: 1-line block ×10, first 2 shown]
	v_mov_b32_e32 v2, 0
	s_mov_b32 s2, exec_lo
	ds_load_b128 v[122:125], v2 offset:848
	s_clause 0x2
	scratch_load_b128 v[126:129], off, off offset:432
	scratch_load_b128 v[130:133], off, off offset:256
	;; [unrolled: 1-line block ×3, first 2 shown]
	s_wait_loadcnt_dscnt 0xc00
	v_mul_f64_e32 v[4:5], v[124:125], v[10:11]
	v_mul_f64_e32 v[146:147], v[122:123], v[10:11]
	ds_load_b128 v[134:137], v2 offset:864
	scratch_load_b128 v[10:13], off, off offset:448
	ds_load_b128 v[142:145], v2 offset:896
	v_fma_f64 v[4:5], v[122:123], v[8:9], -v[4:5]
	v_fmac_f64_e32 v[146:147], v[124:125], v[8:9]
	ds_load_b128 v[122:125], v2 offset:880
	s_wait_loadcnt_dscnt 0xc02
	v_mul_f64_e32 v[148:149], v[134:135], v[88:89]
	v_mul_f64_e32 v[88:89], v[136:137], v[88:89]
	s_wait_loadcnt_dscnt 0xb00
	v_mul_f64_e32 v[8:9], v[122:123], v[92:93]
	v_mul_f64_e32 v[92:93], v[124:125], v[92:93]
	v_add_f64_e32 v[4:5], 0, v[4:5]
	v_fmac_f64_e32 v[148:149], v[136:137], v[86:87]
	v_fma_f64 v[134:135], v[134:135], v[86:87], -v[88:89]
	v_add_f64_e32 v[136:137], 0, v[146:147]
	scratch_load_b128 v[86:89], off, off offset:480
	v_fmac_f64_e32 v[8:9], v[124:125], v[90:91]
	v_fma_f64 v[150:151], v[122:123], v[90:91], -v[92:93]
	ds_load_b128 v[90:93], v2 offset:912
	s_wait_loadcnt 0xb
	v_mul_f64_e32 v[146:147], v[142:143], v[96:97]
	v_mul_f64_e32 v[96:97], v[144:145], v[96:97]
	scratch_load_b128 v[122:125], off, off offset:496
	v_add_f64_e32 v[4:5], v[4:5], v[134:135]
	v_add_f64_e32 v[148:149], v[136:137], v[148:149]
	ds_load_b128 v[134:137], v2 offset:928
	s_wait_loadcnt_dscnt 0xb01
	v_mul_f64_e32 v[152:153], v[90:91], v[100:101]
	v_mul_f64_e32 v[100:101], v[92:93], v[100:101]
	v_fmac_f64_e32 v[146:147], v[144:145], v[94:95]
	v_fma_f64 v[142:143], v[142:143], v[94:95], -v[96:97]
	scratch_load_b128 v[94:97], off, off offset:512
	v_add_f64_e32 v[4:5], v[4:5], v[150:151]
	v_add_f64_e32 v[8:9], v[148:149], v[8:9]
	v_fmac_f64_e32 v[152:153], v[92:93], v[98:99]
	v_fma_f64 v[150:151], v[90:91], v[98:99], -v[100:101]
	ds_load_b128 v[90:93], v2 offset:944
	s_wait_loadcnt_dscnt 0xb01
	v_mul_f64_e32 v[148:149], v[134:135], v[104:105]
	v_mul_f64_e32 v[104:105], v[136:137], v[104:105]
	scratch_load_b128 v[98:101], off, off offset:528
	v_add_f64_e32 v[4:5], v[4:5], v[142:143]
	v_add_f64_e32 v[8:9], v[8:9], v[146:147]
	s_wait_loadcnt_dscnt 0xb00
	v_mul_f64_e32 v[146:147], v[90:91], v[108:109]
	v_mul_f64_e32 v[108:109], v[92:93], v[108:109]
	ds_load_b128 v[142:145], v2 offset:960
	v_fmac_f64_e32 v[148:149], v[136:137], v[102:103]
	v_fma_f64 v[134:135], v[134:135], v[102:103], -v[104:105]
	scratch_load_b128 v[102:105], off, off offset:544
	v_add_f64_e32 v[4:5], v[4:5], v[150:151]
	v_add_f64_e32 v[8:9], v[8:9], v[152:153]
	v_fmac_f64_e32 v[146:147], v[92:93], v[106:107]
	v_fma_f64 v[152:153], v[90:91], v[106:107], -v[108:109]
	ds_load_b128 v[90:93], v2 offset:976
	s_wait_loadcnt_dscnt 0xb01
	v_mul_f64_e32 v[150:151], v[142:143], v[112:113]
	v_mul_f64_e32 v[112:113], v[144:145], v[112:113]
	scratch_load_b128 v[106:109], off, off offset:560
	v_add_f64_e32 v[4:5], v[4:5], v[134:135]
	v_add_f64_e32 v[8:9], v[8:9], v[148:149]
	s_wait_loadcnt_dscnt 0xb00
	v_mul_f64_e32 v[148:149], v[90:91], v[116:117]
	v_mul_f64_e32 v[116:117], v[92:93], v[116:117]
	ds_load_b128 v[134:137], v2 offset:992
	v_fmac_f64_e32 v[150:151], v[144:145], v[110:111]
	v_fma_f64 v[110:111], v[142:143], v[110:111], -v[112:113]
	s_wait_loadcnt_dscnt 0xa00
	v_mul_f64_e32 v[142:143], v[134:135], v[120:121]
	v_mul_f64_e32 v[120:121], v[136:137], v[120:121]
	v_add_f64_e32 v[4:5], v[4:5], v[152:153]
	v_add_f64_e32 v[8:9], v[8:9], v[146:147]
	v_fmac_f64_e32 v[148:149], v[92:93], v[114:115]
	v_fma_f64 v[114:115], v[90:91], v[114:115], -v[116:117]
	v_fmac_f64_e32 v[142:143], v[136:137], v[118:119]
	v_fma_f64 v[118:119], v[134:135], v[118:119], -v[120:121]
	v_add_f64_e32 v[4:5], v[4:5], v[110:111]
	v_add_f64_e32 v[8:9], v[8:9], v[150:151]
	ds_load_b128 v[90:93], v2 offset:1008
	ds_load_b128 v[110:113], v2 offset:1024
	s_wait_loadcnt_dscnt 0x901
	v_mul_f64_e32 v[144:145], v[90:91], v[128:129]
	v_mul_f64_e32 v[116:117], v[92:93], v[128:129]
	s_wait_loadcnt_dscnt 0x600
	v_mul_f64_e32 v[120:121], v[110:111], v[12:13]
	v_add_f64_e32 v[4:5], v[4:5], v[114:115]
	v_add_f64_e32 v[8:9], v[8:9], v[148:149]
	v_mul_f64_e32 v[12:13], v[112:113], v[12:13]
	v_fmac_f64_e32 v[144:145], v[92:93], v[126:127]
	v_fma_f64 v[126:127], v[90:91], v[126:127], -v[116:117]
	ds_load_b128 v[90:93], v2 offset:1040
	ds_load_b128 v[114:117], v2 offset:1056
	v_fmac_f64_e32 v[120:121], v[112:113], v[10:11]
	v_add_f64_e32 v[4:5], v[4:5], v[118:119]
	v_add_f64_e32 v[8:9], v[8:9], v[142:143]
	v_fma_f64 v[10:11], v[110:111], v[10:11], -v[12:13]
	s_wait_dscnt 0x1
	v_mul_f64_e32 v[118:119], v[90:91], v[140:141]
	v_mul_f64_e32 v[128:129], v[92:93], v[140:141]
	v_add_f64_e32 v[4:5], v[4:5], v[126:127]
	v_add_f64_e32 v[8:9], v[8:9], v[144:145]
	s_wait_loadcnt_dscnt 0x500
	v_mul_f64_e32 v[12:13], v[114:115], v[88:89]
	v_mul_f64_e32 v[110:111], v[116:117], v[88:89]
	v_fmac_f64_e32 v[118:119], v[92:93], v[138:139]
	v_fma_f64 v[92:93], v[90:91], v[138:139], -v[128:129]
	v_add_f64_e32 v[4:5], v[4:5], v[10:11]
	v_add_f64_e32 v[112:113], v[8:9], v[120:121]
	ds_load_b128 v[8:11], v2 offset:1072
	ds_load_b128 v[88:91], v2 offset:1088
	v_fmac_f64_e32 v[12:13], v[116:117], v[86:87]
	v_fma_f64 v[86:87], v[114:115], v[86:87], -v[110:111]
	s_wait_loadcnt_dscnt 0x401
	v_mul_f64_e32 v[120:121], v[8:9], v[124:125]
	v_mul_f64_e32 v[124:125], v[10:11], v[124:125]
	s_wait_loadcnt_dscnt 0x300
	v_mul_f64_e32 v[114:115], v[88:89], v[96:97]
	v_mul_f64_e32 v[96:97], v[90:91], v[96:97]
	v_add_f64_e32 v[4:5], v[4:5], v[92:93]
	v_add_f64_e32 v[92:93], v[112:113], v[118:119]
	v_fmac_f64_e32 v[120:121], v[10:11], v[122:123]
	v_fma_f64 v[116:117], v[8:9], v[122:123], -v[124:125]
	ds_load_b128 v[8:11], v2 offset:1104
	ds_load_b128 v[110:113], v2 offset:1120
	v_fmac_f64_e32 v[114:115], v[90:91], v[94:95]
	v_fma_f64 v[88:89], v[88:89], v[94:95], -v[96:97]
	v_add_f64_e32 v[4:5], v[4:5], v[86:87]
	v_add_f64_e32 v[12:13], v[92:93], v[12:13]
	s_wait_loadcnt_dscnt 0x201
	v_mul_f64_e32 v[86:87], v[8:9], v[100:101]
	v_mul_f64_e32 v[92:93], v[10:11], v[100:101]
	s_wait_loadcnt_dscnt 0x100
	v_mul_f64_e32 v[90:91], v[110:111], v[104:105]
	v_mul_f64_e32 v[94:95], v[112:113], v[104:105]
	v_add_f64_e32 v[4:5], v[4:5], v[116:117]
	v_add_f64_e32 v[12:13], v[12:13], v[120:121]
	v_fmac_f64_e32 v[86:87], v[10:11], v[98:99]
	v_fma_f64 v[92:93], v[8:9], v[98:99], -v[92:93]
	ds_load_b128 v[8:11], v2 offset:1136
	v_fmac_f64_e32 v[90:91], v[112:113], v[102:103]
	v_fma_f64 v[94:95], v[110:111], v[102:103], -v[94:95]
	s_wait_loadcnt_dscnt 0x0
	v_mul_f64_e32 v[96:97], v[10:11], v[108:109]
	v_add_f64_e32 v[4:5], v[4:5], v[88:89]
	v_add_f64_e32 v[12:13], v[12:13], v[114:115]
	v_mul_f64_e32 v[88:89], v[8:9], v[108:109]
	s_delay_alu instid0(VALU_DEP_4) | instskip(NEXT) | instid1(VALU_DEP_4)
	v_fma_f64 v[8:9], v[8:9], v[106:107], -v[96:97]
	v_add_f64_e32 v[4:5], v[4:5], v[92:93]
	s_delay_alu instid0(VALU_DEP_4) | instskip(NEXT) | instid1(VALU_DEP_4)
	v_add_f64_e32 v[12:13], v[12:13], v[86:87]
	v_fmac_f64_e32 v[88:89], v[10:11], v[106:107]
	s_delay_alu instid0(VALU_DEP_3) | instskip(NEXT) | instid1(VALU_DEP_3)
	v_add_f64_e32 v[4:5], v[4:5], v[94:95]
	v_add_f64_e32 v[10:11], v[12:13], v[90:91]
	s_delay_alu instid0(VALU_DEP_2) | instskip(NEXT) | instid1(VALU_DEP_2)
	v_add_f64_e32 v[4:5], v[4:5], v[8:9]
	v_add_f64_e32 v[10:11], v[10:11], v[88:89]
	s_delay_alu instid0(VALU_DEP_2) | instskip(NEXT) | instid1(VALU_DEP_2)
	v_add_f64_e64 v[8:9], v[130:131], -v[4:5]
	v_add_f64_e64 v[10:11], v[132:133], -v[10:11]
	scratch_store_b128 off, v[8:11], off offset:256
	s_wait_xcnt 0x0
	v_cmpx_lt_u32_e32 15, v1
	s_cbranch_execz .LBB99_199
; %bb.198:
	scratch_load_b128 v[8:11], off, s37
	v_dual_mov_b32 v3, v2 :: v_dual_mov_b32 v4, v2
	v_mov_b32_e32 v5, v2
	scratch_store_b128 off, v[2:5], off offset:240
	s_wait_loadcnt 0x0
	ds_store_b128 v6, v[8:11]
.LBB99_199:
	s_wait_xcnt 0x0
	s_or_b32 exec_lo, exec_lo, s2
	s_wait_storecnt_dscnt 0x0
	s_barrier_signal -1
	s_barrier_wait -1
	s_clause 0x9
	scratch_load_b128 v[8:11], off, off offset:256
	scratch_load_b128 v[86:89], off, off offset:272
	;; [unrolled: 1-line block ×10, first 2 shown]
	ds_load_b128 v[122:125], v2 offset:832
	ds_load_b128 v[130:133], v2 offset:848
	s_clause 0x1
	scratch_load_b128 v[126:129], off, off offset:416
	scratch_load_b128 v[134:137], off, off offset:240
	s_mov_b32 s2, exec_lo
	s_wait_loadcnt_dscnt 0xb01
	v_mul_f64_e32 v[4:5], v[124:125], v[10:11]
	v_mul_f64_e32 v[146:147], v[122:123], v[10:11]
	scratch_load_b128 v[10:13], off, off offset:432
	s_wait_loadcnt_dscnt 0xb00
	v_mul_f64_e32 v[148:149], v[130:131], v[88:89]
	v_mul_f64_e32 v[88:89], v[132:133], v[88:89]
	v_fma_f64 v[4:5], v[122:123], v[8:9], -v[4:5]
	v_fmac_f64_e32 v[146:147], v[124:125], v[8:9]
	ds_load_b128 v[122:125], v2 offset:864
	ds_load_b128 v[138:141], v2 offset:880
	scratch_load_b128 v[142:145], off, off offset:448
	v_fmac_f64_e32 v[148:149], v[132:133], v[86:87]
	v_fma_f64 v[130:131], v[130:131], v[86:87], -v[88:89]
	scratch_load_b128 v[86:89], off, off offset:464
	s_wait_loadcnt_dscnt 0xc01
	v_mul_f64_e32 v[8:9], v[122:123], v[92:93]
	v_mul_f64_e32 v[92:93], v[124:125], v[92:93]
	v_add_f64_e32 v[4:5], 0, v[4:5]
	v_add_f64_e32 v[132:133], 0, v[146:147]
	s_wait_loadcnt_dscnt 0xb00
	v_mul_f64_e32 v[146:147], v[138:139], v[96:97]
	v_mul_f64_e32 v[96:97], v[140:141], v[96:97]
	v_fmac_f64_e32 v[8:9], v[124:125], v[90:91]
	v_fma_f64 v[150:151], v[122:123], v[90:91], -v[92:93]
	ds_load_b128 v[90:93], v2 offset:896
	ds_load_b128 v[122:125], v2 offset:912
	v_add_f64_e32 v[4:5], v[4:5], v[130:131]
	v_add_f64_e32 v[148:149], v[132:133], v[148:149]
	scratch_load_b128 v[130:133], off, off offset:480
	v_fmac_f64_e32 v[146:147], v[140:141], v[94:95]
	v_fma_f64 v[138:139], v[138:139], v[94:95], -v[96:97]
	scratch_load_b128 v[94:97], off, off offset:496
	s_wait_loadcnt_dscnt 0xc01
	v_mul_f64_e32 v[152:153], v[90:91], v[100:101]
	v_mul_f64_e32 v[100:101], v[92:93], v[100:101]
	v_add_f64_e32 v[4:5], v[4:5], v[150:151]
	v_add_f64_e32 v[8:9], v[148:149], v[8:9]
	s_wait_loadcnt_dscnt 0xb00
	v_mul_f64_e32 v[148:149], v[122:123], v[104:105]
	v_mul_f64_e32 v[104:105], v[124:125], v[104:105]
	v_fmac_f64_e32 v[152:153], v[92:93], v[98:99]
	v_fma_f64 v[150:151], v[90:91], v[98:99], -v[100:101]
	ds_load_b128 v[90:93], v2 offset:928
	ds_load_b128 v[98:101], v2 offset:944
	v_add_f64_e32 v[4:5], v[4:5], v[138:139]
	v_add_f64_e32 v[8:9], v[8:9], v[146:147]
	scratch_load_b128 v[138:141], off, off offset:512
	s_wait_loadcnt_dscnt 0xb01
	v_mul_f64_e32 v[146:147], v[90:91], v[108:109]
	v_mul_f64_e32 v[108:109], v[92:93], v[108:109]
	v_fmac_f64_e32 v[148:149], v[124:125], v[102:103]
	v_fma_f64 v[122:123], v[122:123], v[102:103], -v[104:105]
	scratch_load_b128 v[102:105], off, off offset:528
	v_add_f64_e32 v[4:5], v[4:5], v[150:151]
	v_add_f64_e32 v[8:9], v[8:9], v[152:153]
	s_wait_loadcnt_dscnt 0xb00
	v_mul_f64_e32 v[150:151], v[98:99], v[112:113]
	v_mul_f64_e32 v[112:113], v[100:101], v[112:113]
	v_fmac_f64_e32 v[146:147], v[92:93], v[106:107]
	v_fma_f64 v[152:153], v[90:91], v[106:107], -v[108:109]
	ds_load_b128 v[90:93], v2 offset:960
	ds_load_b128 v[106:109], v2 offset:976
	v_add_f64_e32 v[4:5], v[4:5], v[122:123]
	v_add_f64_e32 v[8:9], v[8:9], v[148:149]
	scratch_load_b128 v[122:125], off, off offset:544
	s_wait_loadcnt_dscnt 0xb01
	v_mul_f64_e32 v[148:149], v[90:91], v[116:117]
	v_mul_f64_e32 v[116:117], v[92:93], v[116:117]
	v_fmac_f64_e32 v[150:151], v[100:101], v[110:111]
	v_fma_f64 v[110:111], v[98:99], v[110:111], -v[112:113]
	scratch_load_b128 v[98:101], off, off offset:560
	v_add_f64_e32 v[4:5], v[4:5], v[152:153]
	v_add_f64_e32 v[8:9], v[8:9], v[146:147]
	s_wait_loadcnt_dscnt 0xb00
	v_mul_f64_e32 v[146:147], v[106:107], v[120:121]
	v_mul_f64_e32 v[120:121], v[108:109], v[120:121]
	v_fmac_f64_e32 v[148:149], v[92:93], v[114:115]
	v_fma_f64 v[114:115], v[90:91], v[114:115], -v[116:117]
	v_add_f64_e32 v[4:5], v[4:5], v[110:111]
	v_add_f64_e32 v[8:9], v[8:9], v[150:151]
	ds_load_b128 v[90:93], v2 offset:992
	ds_load_b128 v[110:113], v2 offset:1008
	v_fmac_f64_e32 v[146:147], v[108:109], v[118:119]
	v_fma_f64 v[106:107], v[106:107], v[118:119], -v[120:121]
	s_wait_loadcnt_dscnt 0xa01
	v_mul_f64_e32 v[116:117], v[90:91], v[128:129]
	v_mul_f64_e32 v[128:129], v[92:93], v[128:129]
	v_add_f64_e32 v[4:5], v[4:5], v[114:115]
	v_add_f64_e32 v[8:9], v[8:9], v[148:149]
	s_wait_loadcnt_dscnt 0x800
	v_mul_f64_e32 v[114:115], v[110:111], v[12:13]
	v_mul_f64_e32 v[12:13], v[112:113], v[12:13]
	v_fmac_f64_e32 v[116:117], v[92:93], v[126:127]
	v_fma_f64 v[118:119], v[90:91], v[126:127], -v[128:129]
	v_add_f64_e32 v[4:5], v[4:5], v[106:107]
	v_add_f64_e32 v[8:9], v[8:9], v[146:147]
	ds_load_b128 v[90:93], v2 offset:1024
	ds_load_b128 v[106:109], v2 offset:1040
	v_fmac_f64_e32 v[114:115], v[112:113], v[10:11]
	v_fma_f64 v[10:11], v[110:111], v[10:11], -v[12:13]
	s_wait_loadcnt_dscnt 0x701
	v_mul_f64_e32 v[120:121], v[90:91], v[144:145]
	v_mul_f64_e32 v[126:127], v[92:93], v[144:145]
	s_wait_loadcnt_dscnt 0x600
	v_mul_f64_e32 v[12:13], v[106:107], v[88:89]
	v_mul_f64_e32 v[110:111], v[108:109], v[88:89]
	v_add_f64_e32 v[4:5], v[4:5], v[118:119]
	v_add_f64_e32 v[8:9], v[8:9], v[116:117]
	v_fmac_f64_e32 v[120:121], v[92:93], v[142:143]
	v_fma_f64 v[92:93], v[90:91], v[142:143], -v[126:127]
	v_fmac_f64_e32 v[12:13], v[108:109], v[86:87]
	v_fma_f64 v[86:87], v[106:107], v[86:87], -v[110:111]
	v_add_f64_e32 v[4:5], v[4:5], v[10:11]
	v_add_f64_e32 v[112:113], v[8:9], v[114:115]
	ds_load_b128 v[8:11], v2 offset:1056
	ds_load_b128 v[88:91], v2 offset:1072
	s_wait_loadcnt_dscnt 0x501
	v_mul_f64_e32 v[114:115], v[8:9], v[132:133]
	v_mul_f64_e32 v[116:117], v[10:11], v[132:133]
	s_wait_loadcnt_dscnt 0x400
	v_mul_f64_e32 v[110:111], v[88:89], v[96:97]
	v_mul_f64_e32 v[96:97], v[90:91], v[96:97]
	v_add_f64_e32 v[4:5], v[4:5], v[92:93]
	v_add_f64_e32 v[92:93], v[112:113], v[120:121]
	v_fmac_f64_e32 v[114:115], v[10:11], v[130:131]
	v_fma_f64 v[112:113], v[8:9], v[130:131], -v[116:117]
	ds_load_b128 v[8:11], v2 offset:1088
	ds_load_b128 v[106:109], v2 offset:1104
	v_fmac_f64_e32 v[110:111], v[90:91], v[94:95]
	v_fma_f64 v[88:89], v[88:89], v[94:95], -v[96:97]
	v_add_f64_e32 v[4:5], v[4:5], v[86:87]
	v_add_f64_e32 v[12:13], v[92:93], v[12:13]
	s_wait_loadcnt_dscnt 0x301
	v_mul_f64_e32 v[86:87], v[8:9], v[140:141]
	v_mul_f64_e32 v[92:93], v[10:11], v[140:141]
	s_wait_loadcnt_dscnt 0x200
	v_mul_f64_e32 v[90:91], v[106:107], v[104:105]
	v_mul_f64_e32 v[94:95], v[108:109], v[104:105]
	v_add_f64_e32 v[4:5], v[4:5], v[112:113]
	v_add_f64_e32 v[12:13], v[12:13], v[114:115]
	v_fmac_f64_e32 v[86:87], v[10:11], v[138:139]
	v_fma_f64 v[92:93], v[8:9], v[138:139], -v[92:93]
	v_fmac_f64_e32 v[90:91], v[108:109], v[102:103]
	v_fma_f64 v[94:95], v[106:107], v[102:103], -v[94:95]
	v_add_f64_e32 v[88:89], v[4:5], v[88:89]
	v_add_f64_e32 v[12:13], v[12:13], v[110:111]
	ds_load_b128 v[8:11], v2 offset:1120
	ds_load_b128 v[2:5], v2 offset:1136
	s_wait_loadcnt_dscnt 0x101
	v_mul_f64_e32 v[96:97], v[8:9], v[124:125]
	v_mul_f64_e32 v[104:105], v[10:11], v[124:125]
	v_add_f64_e32 v[88:89], v[88:89], v[92:93]
	v_add_f64_e32 v[12:13], v[12:13], v[86:87]
	s_wait_loadcnt_dscnt 0x0
	v_mul_f64_e32 v[86:87], v[2:3], v[100:101]
	v_mul_f64_e32 v[92:93], v[4:5], v[100:101]
	v_fmac_f64_e32 v[96:97], v[10:11], v[122:123]
	v_fma_f64 v[8:9], v[8:9], v[122:123], -v[104:105]
	v_add_f64_e32 v[10:11], v[88:89], v[94:95]
	v_add_f64_e32 v[12:13], v[12:13], v[90:91]
	v_fmac_f64_e32 v[86:87], v[4:5], v[98:99]
	v_fma_f64 v[2:3], v[2:3], v[98:99], -v[92:93]
	s_delay_alu instid0(VALU_DEP_4) | instskip(NEXT) | instid1(VALU_DEP_4)
	v_add_f64_e32 v[4:5], v[10:11], v[8:9]
	v_add_f64_e32 v[8:9], v[12:13], v[96:97]
	s_delay_alu instid0(VALU_DEP_2) | instskip(NEXT) | instid1(VALU_DEP_2)
	v_add_f64_e32 v[2:3], v[4:5], v[2:3]
	v_add_f64_e32 v[4:5], v[8:9], v[86:87]
	s_delay_alu instid0(VALU_DEP_2) | instskip(NEXT) | instid1(VALU_DEP_2)
	v_add_f64_e64 v[2:3], v[134:135], -v[2:3]
	v_add_f64_e64 v[4:5], v[136:137], -v[4:5]
	scratch_store_b128 off, v[2:5], off offset:240
	s_wait_xcnt 0x0
	v_cmpx_lt_u32_e32 14, v1
	s_cbranch_execz .LBB99_201
; %bb.200:
	scratch_load_b128 v[2:5], off, s38
	v_mov_b32_e32 v8, 0
	s_delay_alu instid0(VALU_DEP_1)
	v_dual_mov_b32 v9, v8 :: v_dual_mov_b32 v10, v8
	v_mov_b32_e32 v11, v8
	scratch_store_b128 off, v[8:11], off offset:224
	s_wait_loadcnt 0x0
	ds_store_b128 v6, v[2:5]
.LBB99_201:
	s_wait_xcnt 0x0
	s_or_b32 exec_lo, exec_lo, s2
	s_wait_storecnt_dscnt 0x0
	s_barrier_signal -1
	s_barrier_wait -1
	s_clause 0x9
	scratch_load_b128 v[8:11], off, off offset:240
	scratch_load_b128 v[86:89], off, off offset:256
	;; [unrolled: 1-line block ×10, first 2 shown]
	v_mov_b32_e32 v2, 0
	s_mov_b32 s2, exec_lo
	ds_load_b128 v[122:125], v2 offset:816
	s_clause 0x2
	scratch_load_b128 v[126:129], off, off offset:400
	scratch_load_b128 v[130:133], off, off offset:224
	;; [unrolled: 1-line block ×3, first 2 shown]
	s_wait_loadcnt_dscnt 0xc00
	v_mul_f64_e32 v[4:5], v[124:125], v[10:11]
	v_mul_f64_e32 v[146:147], v[122:123], v[10:11]
	ds_load_b128 v[134:137], v2 offset:832
	scratch_load_b128 v[10:13], off, off offset:416
	ds_load_b128 v[142:145], v2 offset:864
	v_fma_f64 v[4:5], v[122:123], v[8:9], -v[4:5]
	v_fmac_f64_e32 v[146:147], v[124:125], v[8:9]
	ds_load_b128 v[122:125], v2 offset:848
	s_wait_loadcnt_dscnt 0xc02
	v_mul_f64_e32 v[148:149], v[134:135], v[88:89]
	v_mul_f64_e32 v[88:89], v[136:137], v[88:89]
	s_wait_loadcnt_dscnt 0xb00
	v_mul_f64_e32 v[8:9], v[122:123], v[92:93]
	v_mul_f64_e32 v[92:93], v[124:125], v[92:93]
	v_add_f64_e32 v[4:5], 0, v[4:5]
	v_fmac_f64_e32 v[148:149], v[136:137], v[86:87]
	v_fma_f64 v[134:135], v[134:135], v[86:87], -v[88:89]
	v_add_f64_e32 v[136:137], 0, v[146:147]
	scratch_load_b128 v[86:89], off, off offset:448
	v_fmac_f64_e32 v[8:9], v[124:125], v[90:91]
	v_fma_f64 v[150:151], v[122:123], v[90:91], -v[92:93]
	ds_load_b128 v[90:93], v2 offset:880
	s_wait_loadcnt 0xb
	v_mul_f64_e32 v[146:147], v[142:143], v[96:97]
	v_mul_f64_e32 v[96:97], v[144:145], v[96:97]
	scratch_load_b128 v[122:125], off, off offset:464
	v_add_f64_e32 v[4:5], v[4:5], v[134:135]
	v_add_f64_e32 v[148:149], v[136:137], v[148:149]
	ds_load_b128 v[134:137], v2 offset:896
	s_wait_loadcnt_dscnt 0xb01
	v_mul_f64_e32 v[152:153], v[90:91], v[100:101]
	v_mul_f64_e32 v[100:101], v[92:93], v[100:101]
	v_fmac_f64_e32 v[146:147], v[144:145], v[94:95]
	v_fma_f64 v[142:143], v[142:143], v[94:95], -v[96:97]
	scratch_load_b128 v[94:97], off, off offset:480
	v_add_f64_e32 v[4:5], v[4:5], v[150:151]
	v_add_f64_e32 v[8:9], v[148:149], v[8:9]
	v_fmac_f64_e32 v[152:153], v[92:93], v[98:99]
	v_fma_f64 v[150:151], v[90:91], v[98:99], -v[100:101]
	ds_load_b128 v[90:93], v2 offset:912
	s_wait_loadcnt_dscnt 0xb01
	v_mul_f64_e32 v[148:149], v[134:135], v[104:105]
	v_mul_f64_e32 v[104:105], v[136:137], v[104:105]
	scratch_load_b128 v[98:101], off, off offset:496
	v_add_f64_e32 v[4:5], v[4:5], v[142:143]
	v_add_f64_e32 v[8:9], v[8:9], v[146:147]
	s_wait_loadcnt_dscnt 0xb00
	v_mul_f64_e32 v[146:147], v[90:91], v[108:109]
	v_mul_f64_e32 v[108:109], v[92:93], v[108:109]
	ds_load_b128 v[142:145], v2 offset:928
	v_fmac_f64_e32 v[148:149], v[136:137], v[102:103]
	v_fma_f64 v[134:135], v[134:135], v[102:103], -v[104:105]
	scratch_load_b128 v[102:105], off, off offset:512
	v_add_f64_e32 v[4:5], v[4:5], v[150:151]
	v_add_f64_e32 v[8:9], v[8:9], v[152:153]
	v_fmac_f64_e32 v[146:147], v[92:93], v[106:107]
	v_fma_f64 v[152:153], v[90:91], v[106:107], -v[108:109]
	ds_load_b128 v[90:93], v2 offset:944
	s_wait_loadcnt_dscnt 0xb01
	v_mul_f64_e32 v[150:151], v[142:143], v[112:113]
	v_mul_f64_e32 v[112:113], v[144:145], v[112:113]
	scratch_load_b128 v[106:109], off, off offset:528
	v_add_f64_e32 v[4:5], v[4:5], v[134:135]
	v_add_f64_e32 v[8:9], v[8:9], v[148:149]
	s_wait_loadcnt_dscnt 0xb00
	v_mul_f64_e32 v[148:149], v[90:91], v[116:117]
	v_mul_f64_e32 v[116:117], v[92:93], v[116:117]
	ds_load_b128 v[134:137], v2 offset:960
	;; [unrolled: 18-line block ×3, first 2 shown]
	v_fmac_f64_e32 v[146:147], v[136:137], v[118:119]
	v_fma_f64 v[118:119], v[134:135], v[118:119], -v[120:121]
	s_wait_loadcnt_dscnt 0x800
	v_mul_f64_e32 v[134:135], v[142:143], v[12:13]
	v_add_f64_e32 v[4:5], v[4:5], v[152:153]
	v_add_f64_e32 v[8:9], v[8:9], v[148:149]
	v_mul_f64_e32 v[12:13], v[144:145], v[12:13]
	v_fmac_f64_e32 v[150:151], v[92:93], v[126:127]
	v_fma_f64 v[126:127], v[90:91], v[126:127], -v[128:129]
	v_fmac_f64_e32 v[134:135], v[144:145], v[10:11]
	v_add_f64_e32 v[4:5], v[4:5], v[118:119]
	v_add_f64_e32 v[8:9], v[8:9], v[146:147]
	ds_load_b128 v[90:93], v2 offset:1008
	ds_load_b128 v[118:121], v2 offset:1024
	v_fma_f64 v[10:11], v[142:143], v[10:11], -v[12:13]
	s_wait_dscnt 0x1
	v_mul_f64_e32 v[128:129], v[90:91], v[140:141]
	v_mul_f64_e32 v[136:137], v[92:93], v[140:141]
	v_add_f64_e32 v[4:5], v[4:5], v[126:127]
	v_add_f64_e32 v[8:9], v[8:9], v[150:151]
	s_wait_loadcnt_dscnt 0x700
	v_mul_f64_e32 v[12:13], v[118:119], v[88:89]
	v_mul_f64_e32 v[126:127], v[120:121], v[88:89]
	v_fmac_f64_e32 v[128:129], v[92:93], v[138:139]
	v_fma_f64 v[92:93], v[90:91], v[138:139], -v[136:137]
	v_add_f64_e32 v[4:5], v[4:5], v[10:11]
	v_add_f64_e32 v[134:135], v[8:9], v[134:135]
	ds_load_b128 v[8:11], v2 offset:1040
	ds_load_b128 v[88:91], v2 offset:1056
	v_fmac_f64_e32 v[12:13], v[120:121], v[86:87]
	v_fma_f64 v[86:87], v[118:119], v[86:87], -v[126:127]
	s_wait_loadcnt_dscnt 0x601
	v_mul_f64_e32 v[136:137], v[8:9], v[124:125]
	v_mul_f64_e32 v[124:125], v[10:11], v[124:125]
	s_wait_loadcnt_dscnt 0x500
	v_mul_f64_e32 v[126:127], v[88:89], v[96:97]
	v_mul_f64_e32 v[96:97], v[90:91], v[96:97]
	v_add_f64_e32 v[4:5], v[4:5], v[92:93]
	v_add_f64_e32 v[92:93], v[134:135], v[128:129]
	v_fmac_f64_e32 v[136:137], v[10:11], v[122:123]
	v_fma_f64 v[122:123], v[8:9], v[122:123], -v[124:125]
	ds_load_b128 v[8:11], v2 offset:1072
	ds_load_b128 v[118:121], v2 offset:1088
	v_fmac_f64_e32 v[126:127], v[90:91], v[94:95]
	v_fma_f64 v[88:89], v[88:89], v[94:95], -v[96:97]
	v_add_f64_e32 v[4:5], v[4:5], v[86:87]
	v_add_f64_e32 v[12:13], v[92:93], v[12:13]
	s_wait_loadcnt_dscnt 0x401
	v_mul_f64_e32 v[92:93], v[8:9], v[100:101]
	v_mul_f64_e32 v[86:87], v[10:11], v[100:101]
	s_wait_loadcnt_dscnt 0x300
	v_mul_f64_e32 v[90:91], v[118:119], v[104:105]
	v_mul_f64_e32 v[94:95], v[120:121], v[104:105]
	v_add_f64_e32 v[4:5], v[4:5], v[122:123]
	v_add_f64_e32 v[12:13], v[12:13], v[136:137]
	v_fmac_f64_e32 v[92:93], v[10:11], v[98:99]
	v_fma_f64 v[96:97], v[8:9], v[98:99], -v[86:87]
	v_fmac_f64_e32 v[90:91], v[120:121], v[102:103]
	v_fma_f64 v[94:95], v[118:119], v[102:103], -v[94:95]
	v_add_f64_e32 v[4:5], v[4:5], v[88:89]
	v_add_f64_e32 v[12:13], v[12:13], v[126:127]
	ds_load_b128 v[8:11], v2 offset:1104
	ds_load_b128 v[86:89], v2 offset:1120
	s_wait_loadcnt_dscnt 0x201
	v_mul_f64_e32 v[98:99], v[8:9], v[108:109]
	v_mul_f64_e32 v[100:101], v[10:11], v[108:109]
	v_add_f64_e32 v[4:5], v[4:5], v[96:97]
	v_add_f64_e32 v[12:13], v[12:13], v[92:93]
	s_wait_loadcnt_dscnt 0x100
	v_mul_f64_e32 v[92:93], v[86:87], v[112:113]
	v_mul_f64_e32 v[96:97], v[88:89], v[112:113]
	v_fmac_f64_e32 v[98:99], v[10:11], v[106:107]
	v_fma_f64 v[100:101], v[8:9], v[106:107], -v[100:101]
	ds_load_b128 v[8:11], v2 offset:1136
	v_add_f64_e32 v[4:5], v[4:5], v[94:95]
	v_add_f64_e32 v[12:13], v[12:13], v[90:91]
	v_fmac_f64_e32 v[92:93], v[88:89], v[110:111]
	v_fma_f64 v[86:87], v[86:87], v[110:111], -v[96:97]
	s_wait_loadcnt_dscnt 0x0
	v_mul_f64_e32 v[90:91], v[8:9], v[116:117]
	v_mul_f64_e32 v[94:95], v[10:11], v[116:117]
	v_add_f64_e32 v[4:5], v[4:5], v[100:101]
	v_add_f64_e32 v[12:13], v[12:13], v[98:99]
	s_delay_alu instid0(VALU_DEP_4) | instskip(NEXT) | instid1(VALU_DEP_4)
	v_fmac_f64_e32 v[90:91], v[10:11], v[114:115]
	v_fma_f64 v[8:9], v[8:9], v[114:115], -v[94:95]
	s_delay_alu instid0(VALU_DEP_4) | instskip(NEXT) | instid1(VALU_DEP_4)
	v_add_f64_e32 v[4:5], v[4:5], v[86:87]
	v_add_f64_e32 v[10:11], v[12:13], v[92:93]
	s_delay_alu instid0(VALU_DEP_2) | instskip(NEXT) | instid1(VALU_DEP_2)
	v_add_f64_e32 v[4:5], v[4:5], v[8:9]
	v_add_f64_e32 v[10:11], v[10:11], v[90:91]
	s_delay_alu instid0(VALU_DEP_2) | instskip(NEXT) | instid1(VALU_DEP_2)
	v_add_f64_e64 v[8:9], v[130:131], -v[4:5]
	v_add_f64_e64 v[10:11], v[132:133], -v[10:11]
	scratch_store_b128 off, v[8:11], off offset:224
	s_wait_xcnt 0x0
	v_cmpx_lt_u32_e32 13, v1
	s_cbranch_execz .LBB99_203
; %bb.202:
	scratch_load_b128 v[8:11], off, s39
	v_dual_mov_b32 v3, v2 :: v_dual_mov_b32 v4, v2
	v_mov_b32_e32 v5, v2
	scratch_store_b128 off, v[2:5], off offset:208
	s_wait_loadcnt 0x0
	ds_store_b128 v6, v[8:11]
.LBB99_203:
	s_wait_xcnt 0x0
	s_or_b32 exec_lo, exec_lo, s2
	s_wait_storecnt_dscnt 0x0
	s_barrier_signal -1
	s_barrier_wait -1
	s_clause 0x9
	scratch_load_b128 v[8:11], off, off offset:224
	scratch_load_b128 v[86:89], off, off offset:240
	;; [unrolled: 1-line block ×10, first 2 shown]
	ds_load_b128 v[122:125], v2 offset:800
	ds_load_b128 v[130:133], v2 offset:816
	s_clause 0x1
	scratch_load_b128 v[126:129], off, off offset:384
	scratch_load_b128 v[134:137], off, off offset:208
	s_mov_b32 s2, exec_lo
	s_wait_loadcnt_dscnt 0xb01
	v_mul_f64_e32 v[4:5], v[124:125], v[10:11]
	v_mul_f64_e32 v[146:147], v[122:123], v[10:11]
	scratch_load_b128 v[10:13], off, off offset:400
	s_wait_loadcnt_dscnt 0xb00
	v_mul_f64_e32 v[148:149], v[130:131], v[88:89]
	v_mul_f64_e32 v[88:89], v[132:133], v[88:89]
	v_fma_f64 v[4:5], v[122:123], v[8:9], -v[4:5]
	v_fmac_f64_e32 v[146:147], v[124:125], v[8:9]
	ds_load_b128 v[122:125], v2 offset:832
	ds_load_b128 v[138:141], v2 offset:848
	scratch_load_b128 v[142:145], off, off offset:416
	v_fmac_f64_e32 v[148:149], v[132:133], v[86:87]
	v_fma_f64 v[130:131], v[130:131], v[86:87], -v[88:89]
	scratch_load_b128 v[86:89], off, off offset:432
	s_wait_loadcnt_dscnt 0xc01
	v_mul_f64_e32 v[8:9], v[122:123], v[92:93]
	v_mul_f64_e32 v[92:93], v[124:125], v[92:93]
	v_add_f64_e32 v[4:5], 0, v[4:5]
	v_add_f64_e32 v[132:133], 0, v[146:147]
	s_wait_loadcnt_dscnt 0xb00
	v_mul_f64_e32 v[146:147], v[138:139], v[96:97]
	v_mul_f64_e32 v[96:97], v[140:141], v[96:97]
	v_fmac_f64_e32 v[8:9], v[124:125], v[90:91]
	v_fma_f64 v[150:151], v[122:123], v[90:91], -v[92:93]
	ds_load_b128 v[90:93], v2 offset:864
	ds_load_b128 v[122:125], v2 offset:880
	v_add_f64_e32 v[4:5], v[4:5], v[130:131]
	v_add_f64_e32 v[148:149], v[132:133], v[148:149]
	scratch_load_b128 v[130:133], off, off offset:448
	v_fmac_f64_e32 v[146:147], v[140:141], v[94:95]
	v_fma_f64 v[138:139], v[138:139], v[94:95], -v[96:97]
	scratch_load_b128 v[94:97], off, off offset:464
	s_wait_loadcnt_dscnt 0xc01
	v_mul_f64_e32 v[152:153], v[90:91], v[100:101]
	v_mul_f64_e32 v[100:101], v[92:93], v[100:101]
	v_add_f64_e32 v[4:5], v[4:5], v[150:151]
	v_add_f64_e32 v[8:9], v[148:149], v[8:9]
	s_wait_loadcnt_dscnt 0xb00
	v_mul_f64_e32 v[148:149], v[122:123], v[104:105]
	v_mul_f64_e32 v[104:105], v[124:125], v[104:105]
	v_fmac_f64_e32 v[152:153], v[92:93], v[98:99]
	v_fma_f64 v[150:151], v[90:91], v[98:99], -v[100:101]
	ds_load_b128 v[90:93], v2 offset:896
	ds_load_b128 v[98:101], v2 offset:912
	v_add_f64_e32 v[4:5], v[4:5], v[138:139]
	v_add_f64_e32 v[8:9], v[8:9], v[146:147]
	scratch_load_b128 v[138:141], off, off offset:480
	s_wait_loadcnt_dscnt 0xb01
	v_mul_f64_e32 v[146:147], v[90:91], v[108:109]
	v_mul_f64_e32 v[108:109], v[92:93], v[108:109]
	v_fmac_f64_e32 v[148:149], v[124:125], v[102:103]
	v_fma_f64 v[122:123], v[122:123], v[102:103], -v[104:105]
	scratch_load_b128 v[102:105], off, off offset:496
	v_add_f64_e32 v[4:5], v[4:5], v[150:151]
	v_add_f64_e32 v[8:9], v[8:9], v[152:153]
	s_wait_loadcnt_dscnt 0xb00
	v_mul_f64_e32 v[150:151], v[98:99], v[112:113]
	v_mul_f64_e32 v[112:113], v[100:101], v[112:113]
	v_fmac_f64_e32 v[146:147], v[92:93], v[106:107]
	v_fma_f64 v[152:153], v[90:91], v[106:107], -v[108:109]
	ds_load_b128 v[90:93], v2 offset:928
	ds_load_b128 v[106:109], v2 offset:944
	v_add_f64_e32 v[4:5], v[4:5], v[122:123]
	v_add_f64_e32 v[8:9], v[8:9], v[148:149]
	scratch_load_b128 v[122:125], off, off offset:512
	s_wait_loadcnt_dscnt 0xb01
	v_mul_f64_e32 v[148:149], v[90:91], v[116:117]
	v_mul_f64_e32 v[116:117], v[92:93], v[116:117]
	v_fmac_f64_e32 v[150:151], v[100:101], v[110:111]
	v_fma_f64 v[110:111], v[98:99], v[110:111], -v[112:113]
	scratch_load_b128 v[98:101], off, off offset:528
	v_add_f64_e32 v[4:5], v[4:5], v[152:153]
	v_add_f64_e32 v[8:9], v[8:9], v[146:147]
	s_wait_loadcnt_dscnt 0xb00
	v_mul_f64_e32 v[146:147], v[106:107], v[120:121]
	v_mul_f64_e32 v[120:121], v[108:109], v[120:121]
	v_fmac_f64_e32 v[148:149], v[92:93], v[114:115]
	v_fma_f64 v[152:153], v[90:91], v[114:115], -v[116:117]
	v_add_f64_e32 v[4:5], v[4:5], v[110:111]
	v_add_f64_e32 v[8:9], v[8:9], v[150:151]
	ds_load_b128 v[90:93], v2 offset:960
	ds_load_b128 v[110:113], v2 offset:976
	scratch_load_b128 v[114:117], off, off offset:544
	v_fmac_f64_e32 v[146:147], v[108:109], v[118:119]
	v_fma_f64 v[118:119], v[106:107], v[118:119], -v[120:121]
	scratch_load_b128 v[106:109], off, off offset:560
	s_wait_loadcnt_dscnt 0xc01
	v_mul_f64_e32 v[150:151], v[90:91], v[128:129]
	v_mul_f64_e32 v[128:129], v[92:93], v[128:129]
	v_add_f64_e32 v[4:5], v[4:5], v[152:153]
	v_add_f64_e32 v[8:9], v[8:9], v[148:149]
	s_wait_loadcnt_dscnt 0xa00
	v_mul_f64_e32 v[148:149], v[110:111], v[12:13]
	v_mul_f64_e32 v[12:13], v[112:113], v[12:13]
	v_fmac_f64_e32 v[150:151], v[92:93], v[126:127]
	v_fma_f64 v[126:127], v[90:91], v[126:127], -v[128:129]
	v_add_f64_e32 v[4:5], v[4:5], v[118:119]
	v_add_f64_e32 v[8:9], v[8:9], v[146:147]
	ds_load_b128 v[90:93], v2 offset:992
	ds_load_b128 v[118:121], v2 offset:1008
	v_fmac_f64_e32 v[148:149], v[112:113], v[10:11]
	v_fma_f64 v[10:11], v[110:111], v[10:11], -v[12:13]
	s_wait_loadcnt_dscnt 0x901
	v_mul_f64_e32 v[128:129], v[90:91], v[144:145]
	v_mul_f64_e32 v[144:145], v[92:93], v[144:145]
	s_wait_loadcnt_dscnt 0x800
	v_mul_f64_e32 v[12:13], v[118:119], v[88:89]
	v_mul_f64_e32 v[110:111], v[120:121], v[88:89]
	v_add_f64_e32 v[4:5], v[4:5], v[126:127]
	v_add_f64_e32 v[8:9], v[8:9], v[150:151]
	v_fmac_f64_e32 v[128:129], v[92:93], v[142:143]
	v_fma_f64 v[92:93], v[90:91], v[142:143], -v[144:145]
	v_fmac_f64_e32 v[12:13], v[120:121], v[86:87]
	v_fma_f64 v[86:87], v[118:119], v[86:87], -v[110:111]
	v_add_f64_e32 v[4:5], v[4:5], v[10:11]
	v_add_f64_e32 v[112:113], v[8:9], v[148:149]
	ds_load_b128 v[8:11], v2 offset:1024
	ds_load_b128 v[88:91], v2 offset:1040
	s_wait_loadcnt_dscnt 0x701
	v_mul_f64_e32 v[126:127], v[8:9], v[132:133]
	v_mul_f64_e32 v[132:133], v[10:11], v[132:133]
	s_wait_loadcnt_dscnt 0x600
	v_mul_f64_e32 v[118:119], v[88:89], v[96:97]
	v_mul_f64_e32 v[96:97], v[90:91], v[96:97]
	v_add_f64_e32 v[4:5], v[4:5], v[92:93]
	v_add_f64_e32 v[92:93], v[112:113], v[128:129]
	v_fmac_f64_e32 v[126:127], v[10:11], v[130:131]
	v_fma_f64 v[120:121], v[8:9], v[130:131], -v[132:133]
	ds_load_b128 v[8:11], v2 offset:1056
	ds_load_b128 v[110:113], v2 offset:1072
	v_fmac_f64_e32 v[118:119], v[90:91], v[94:95]
	v_fma_f64 v[88:89], v[88:89], v[94:95], -v[96:97]
	v_add_f64_e32 v[4:5], v[4:5], v[86:87]
	v_add_f64_e32 v[12:13], v[92:93], v[12:13]
	s_wait_loadcnt_dscnt 0x501
	v_mul_f64_e32 v[92:93], v[8:9], v[140:141]
	v_mul_f64_e32 v[86:87], v[10:11], v[140:141]
	s_wait_loadcnt_dscnt 0x400
	v_mul_f64_e32 v[90:91], v[110:111], v[104:105]
	v_mul_f64_e32 v[94:95], v[112:113], v[104:105]
	v_add_f64_e32 v[4:5], v[4:5], v[120:121]
	v_add_f64_e32 v[12:13], v[12:13], v[126:127]
	v_fmac_f64_e32 v[92:93], v[10:11], v[138:139]
	v_fma_f64 v[96:97], v[8:9], v[138:139], -v[86:87]
	v_fmac_f64_e32 v[90:91], v[112:113], v[102:103]
	v_fma_f64 v[94:95], v[110:111], v[102:103], -v[94:95]
	v_add_f64_e32 v[4:5], v[4:5], v[88:89]
	v_add_f64_e32 v[12:13], v[12:13], v[118:119]
	ds_load_b128 v[8:11], v2 offset:1088
	ds_load_b128 v[86:89], v2 offset:1104
	s_wait_loadcnt_dscnt 0x301
	v_mul_f64_e32 v[104:105], v[8:9], v[124:125]
	v_mul_f64_e32 v[118:119], v[10:11], v[124:125]
	v_add_f64_e32 v[4:5], v[4:5], v[96:97]
	v_add_f64_e32 v[12:13], v[12:13], v[92:93]
	s_wait_loadcnt_dscnt 0x200
	v_mul_f64_e32 v[92:93], v[86:87], v[100:101]
	v_mul_f64_e32 v[96:97], v[88:89], v[100:101]
	v_fmac_f64_e32 v[104:105], v[10:11], v[122:123]
	v_fma_f64 v[100:101], v[8:9], v[122:123], -v[118:119]
	v_add_f64_e32 v[94:95], v[4:5], v[94:95]
	v_add_f64_e32 v[12:13], v[12:13], v[90:91]
	ds_load_b128 v[8:11], v2 offset:1120
	ds_load_b128 v[2:5], v2 offset:1136
	v_fmac_f64_e32 v[92:93], v[88:89], v[98:99]
	v_fma_f64 v[86:87], v[86:87], v[98:99], -v[96:97]
	s_wait_loadcnt_dscnt 0x101
	v_mul_f64_e32 v[90:91], v[8:9], v[116:117]
	v_mul_f64_e32 v[102:103], v[10:11], v[116:117]
	s_wait_loadcnt_dscnt 0x0
	v_mul_f64_e32 v[96:97], v[4:5], v[108:109]
	v_add_f64_e32 v[88:89], v[94:95], v[100:101]
	v_add_f64_e32 v[12:13], v[12:13], v[104:105]
	v_mul_f64_e32 v[94:95], v[2:3], v[108:109]
	v_fmac_f64_e32 v[90:91], v[10:11], v[114:115]
	v_fma_f64 v[8:9], v[8:9], v[114:115], -v[102:103]
	v_fma_f64 v[2:3], v[2:3], v[106:107], -v[96:97]
	v_add_f64_e32 v[10:11], v[88:89], v[86:87]
	v_add_f64_e32 v[12:13], v[12:13], v[92:93]
	v_fmac_f64_e32 v[94:95], v[4:5], v[106:107]
	s_delay_alu instid0(VALU_DEP_3) | instskip(NEXT) | instid1(VALU_DEP_3)
	v_add_f64_e32 v[4:5], v[10:11], v[8:9]
	v_add_f64_e32 v[8:9], v[12:13], v[90:91]
	s_delay_alu instid0(VALU_DEP_2) | instskip(NEXT) | instid1(VALU_DEP_2)
	v_add_f64_e32 v[2:3], v[4:5], v[2:3]
	v_add_f64_e32 v[4:5], v[8:9], v[94:95]
	s_delay_alu instid0(VALU_DEP_2) | instskip(NEXT) | instid1(VALU_DEP_2)
	v_add_f64_e64 v[2:3], v[134:135], -v[2:3]
	v_add_f64_e64 v[4:5], v[136:137], -v[4:5]
	scratch_store_b128 off, v[2:5], off offset:208
	s_wait_xcnt 0x0
	v_cmpx_lt_u32_e32 12, v1
	s_cbranch_execz .LBB99_205
; %bb.204:
	scratch_load_b128 v[2:5], off, s40
	v_mov_b32_e32 v8, 0
	s_delay_alu instid0(VALU_DEP_1)
	v_dual_mov_b32 v9, v8 :: v_dual_mov_b32 v10, v8
	v_mov_b32_e32 v11, v8
	scratch_store_b128 off, v[8:11], off offset:192
	s_wait_loadcnt 0x0
	ds_store_b128 v6, v[2:5]
.LBB99_205:
	s_wait_xcnt 0x0
	s_or_b32 exec_lo, exec_lo, s2
	s_wait_storecnt_dscnt 0x0
	s_barrier_signal -1
	s_barrier_wait -1
	s_clause 0x9
	scratch_load_b128 v[8:11], off, off offset:208
	scratch_load_b128 v[86:89], off, off offset:224
	;; [unrolled: 1-line block ×10, first 2 shown]
	v_mov_b32_e32 v2, 0
	s_mov_b32 s2, exec_lo
	ds_load_b128 v[122:125], v2 offset:784
	s_clause 0x2
	scratch_load_b128 v[126:129], off, off offset:368
	scratch_load_b128 v[130:133], off, off offset:192
	scratch_load_b128 v[138:141], off, off offset:400
	s_wait_loadcnt_dscnt 0xc00
	v_mul_f64_e32 v[4:5], v[124:125], v[10:11]
	v_mul_f64_e32 v[146:147], v[122:123], v[10:11]
	ds_load_b128 v[134:137], v2 offset:800
	scratch_load_b128 v[10:13], off, off offset:384
	ds_load_b128 v[142:145], v2 offset:832
	v_fma_f64 v[4:5], v[122:123], v[8:9], -v[4:5]
	v_fmac_f64_e32 v[146:147], v[124:125], v[8:9]
	ds_load_b128 v[122:125], v2 offset:816
	s_wait_loadcnt_dscnt 0xc02
	v_mul_f64_e32 v[148:149], v[134:135], v[88:89]
	v_mul_f64_e32 v[88:89], v[136:137], v[88:89]
	s_wait_loadcnt_dscnt 0xb00
	v_mul_f64_e32 v[8:9], v[122:123], v[92:93]
	v_mul_f64_e32 v[92:93], v[124:125], v[92:93]
	v_add_f64_e32 v[4:5], 0, v[4:5]
	v_fmac_f64_e32 v[148:149], v[136:137], v[86:87]
	v_fma_f64 v[134:135], v[134:135], v[86:87], -v[88:89]
	v_add_f64_e32 v[136:137], 0, v[146:147]
	scratch_load_b128 v[86:89], off, off offset:416
	v_fmac_f64_e32 v[8:9], v[124:125], v[90:91]
	v_fma_f64 v[150:151], v[122:123], v[90:91], -v[92:93]
	ds_load_b128 v[90:93], v2 offset:848
	s_wait_loadcnt 0xb
	v_mul_f64_e32 v[146:147], v[142:143], v[96:97]
	v_mul_f64_e32 v[96:97], v[144:145], v[96:97]
	scratch_load_b128 v[122:125], off, off offset:432
	v_add_f64_e32 v[4:5], v[4:5], v[134:135]
	v_add_f64_e32 v[148:149], v[136:137], v[148:149]
	ds_load_b128 v[134:137], v2 offset:864
	s_wait_loadcnt_dscnt 0xb01
	v_mul_f64_e32 v[152:153], v[90:91], v[100:101]
	v_mul_f64_e32 v[100:101], v[92:93], v[100:101]
	v_fmac_f64_e32 v[146:147], v[144:145], v[94:95]
	v_fma_f64 v[142:143], v[142:143], v[94:95], -v[96:97]
	scratch_load_b128 v[94:97], off, off offset:448
	v_add_f64_e32 v[4:5], v[4:5], v[150:151]
	v_add_f64_e32 v[8:9], v[148:149], v[8:9]
	v_fmac_f64_e32 v[152:153], v[92:93], v[98:99]
	v_fma_f64 v[150:151], v[90:91], v[98:99], -v[100:101]
	ds_load_b128 v[90:93], v2 offset:880
	s_wait_loadcnt_dscnt 0xb01
	v_mul_f64_e32 v[148:149], v[134:135], v[104:105]
	v_mul_f64_e32 v[104:105], v[136:137], v[104:105]
	scratch_load_b128 v[98:101], off, off offset:464
	v_add_f64_e32 v[4:5], v[4:5], v[142:143]
	v_add_f64_e32 v[8:9], v[8:9], v[146:147]
	s_wait_loadcnt_dscnt 0xb00
	v_mul_f64_e32 v[146:147], v[90:91], v[108:109]
	v_mul_f64_e32 v[108:109], v[92:93], v[108:109]
	ds_load_b128 v[142:145], v2 offset:896
	v_fmac_f64_e32 v[148:149], v[136:137], v[102:103]
	v_fma_f64 v[134:135], v[134:135], v[102:103], -v[104:105]
	scratch_load_b128 v[102:105], off, off offset:480
	v_add_f64_e32 v[4:5], v[4:5], v[150:151]
	v_add_f64_e32 v[8:9], v[8:9], v[152:153]
	v_fmac_f64_e32 v[146:147], v[92:93], v[106:107]
	v_fma_f64 v[152:153], v[90:91], v[106:107], -v[108:109]
	ds_load_b128 v[90:93], v2 offset:912
	s_wait_loadcnt_dscnt 0xb01
	v_mul_f64_e32 v[150:151], v[142:143], v[112:113]
	v_mul_f64_e32 v[112:113], v[144:145], v[112:113]
	scratch_load_b128 v[106:109], off, off offset:496
	v_add_f64_e32 v[4:5], v[4:5], v[134:135]
	v_add_f64_e32 v[8:9], v[8:9], v[148:149]
	s_wait_loadcnt_dscnt 0xb00
	v_mul_f64_e32 v[148:149], v[90:91], v[116:117]
	v_mul_f64_e32 v[116:117], v[92:93], v[116:117]
	ds_load_b128 v[134:137], v2 offset:928
	;; [unrolled: 18-line block ×3, first 2 shown]
	v_fmac_f64_e32 v[146:147], v[136:137], v[118:119]
	v_fma_f64 v[134:135], v[134:135], v[118:119], -v[120:121]
	scratch_load_b128 v[118:121], off, off offset:544
	v_add_f64_e32 v[4:5], v[4:5], v[152:153]
	v_add_f64_e32 v[8:9], v[8:9], v[148:149]
	v_fmac_f64_e32 v[150:151], v[92:93], v[126:127]
	v_fma_f64 v[152:153], v[90:91], v[126:127], -v[128:129]
	ds_load_b128 v[90:93], v2 offset:976
	s_wait_loadcnt_dscnt 0x901
	v_mul_f64_e32 v[148:149], v[142:143], v[12:13]
	v_mul_f64_e32 v[12:13], v[144:145], v[12:13]
	scratch_load_b128 v[126:129], off, off offset:560
	v_add_f64_e32 v[4:5], v[4:5], v[134:135]
	v_add_f64_e32 v[8:9], v[8:9], v[146:147]
	s_wait_dscnt 0x0
	v_mul_f64_e32 v[146:147], v[90:91], v[140:141]
	v_mul_f64_e32 v[140:141], v[92:93], v[140:141]
	ds_load_b128 v[134:137], v2 offset:992
	v_fmac_f64_e32 v[148:149], v[144:145], v[10:11]
	v_fma_f64 v[10:11], v[142:143], v[10:11], -v[12:13]
	v_add_f64_e32 v[4:5], v[4:5], v[152:153]
	v_add_f64_e32 v[8:9], v[8:9], v[150:151]
	s_wait_loadcnt_dscnt 0x900
	v_mul_f64_e32 v[12:13], v[134:135], v[88:89]
	v_mul_f64_e32 v[142:143], v[136:137], v[88:89]
	v_fmac_f64_e32 v[146:147], v[92:93], v[138:139]
	v_fma_f64 v[92:93], v[90:91], v[138:139], -v[140:141]
	v_add_f64_e32 v[4:5], v[4:5], v[10:11]
	v_add_f64_e32 v[138:139], v[8:9], v[148:149]
	ds_load_b128 v[8:11], v2 offset:1008
	ds_load_b128 v[88:91], v2 offset:1024
	v_fmac_f64_e32 v[12:13], v[136:137], v[86:87]
	v_fma_f64 v[86:87], v[134:135], v[86:87], -v[142:143]
	s_wait_loadcnt_dscnt 0x801
	v_mul_f64_e32 v[140:141], v[8:9], v[124:125]
	v_mul_f64_e32 v[124:125], v[10:11], v[124:125]
	s_wait_loadcnt_dscnt 0x700
	v_mul_f64_e32 v[134:135], v[88:89], v[96:97]
	v_mul_f64_e32 v[96:97], v[90:91], v[96:97]
	v_add_f64_e32 v[4:5], v[4:5], v[92:93]
	v_add_f64_e32 v[92:93], v[138:139], v[146:147]
	v_fmac_f64_e32 v[140:141], v[10:11], v[122:123]
	v_fma_f64 v[136:137], v[8:9], v[122:123], -v[124:125]
	ds_load_b128 v[8:11], v2 offset:1040
	ds_load_b128 v[122:125], v2 offset:1056
	v_fmac_f64_e32 v[134:135], v[90:91], v[94:95]
	v_fma_f64 v[88:89], v[88:89], v[94:95], -v[96:97]
	v_add_f64_e32 v[4:5], v[4:5], v[86:87]
	v_add_f64_e32 v[12:13], v[92:93], v[12:13]
	s_wait_loadcnt_dscnt 0x601
	v_mul_f64_e32 v[92:93], v[8:9], v[100:101]
	v_mul_f64_e32 v[86:87], v[10:11], v[100:101]
	s_wait_loadcnt_dscnt 0x500
	v_mul_f64_e32 v[90:91], v[122:123], v[104:105]
	v_mul_f64_e32 v[94:95], v[124:125], v[104:105]
	v_add_f64_e32 v[4:5], v[4:5], v[136:137]
	v_add_f64_e32 v[12:13], v[12:13], v[140:141]
	v_fmac_f64_e32 v[92:93], v[10:11], v[98:99]
	v_fma_f64 v[96:97], v[8:9], v[98:99], -v[86:87]
	v_fmac_f64_e32 v[90:91], v[124:125], v[102:103]
	v_fma_f64 v[94:95], v[122:123], v[102:103], -v[94:95]
	v_add_f64_e32 v[4:5], v[4:5], v[88:89]
	v_add_f64_e32 v[12:13], v[12:13], v[134:135]
	ds_load_b128 v[8:11], v2 offset:1072
	ds_load_b128 v[86:89], v2 offset:1088
	s_wait_loadcnt_dscnt 0x401
	v_mul_f64_e32 v[98:99], v[8:9], v[108:109]
	v_mul_f64_e32 v[100:101], v[10:11], v[108:109]
	s_wait_loadcnt_dscnt 0x300
	v_mul_f64_e32 v[102:103], v[88:89], v[112:113]
	v_add_f64_e32 v[4:5], v[4:5], v[96:97]
	v_add_f64_e32 v[12:13], v[12:13], v[92:93]
	v_mul_f64_e32 v[96:97], v[86:87], v[112:113]
	v_fmac_f64_e32 v[98:99], v[10:11], v[106:107]
	v_fma_f64 v[100:101], v[8:9], v[106:107], -v[100:101]
	v_fma_f64 v[86:87], v[86:87], v[110:111], -v[102:103]
	v_add_f64_e32 v[4:5], v[4:5], v[94:95]
	v_add_f64_e32 v[12:13], v[12:13], v[90:91]
	ds_load_b128 v[8:11], v2 offset:1104
	ds_load_b128 v[90:93], v2 offset:1120
	v_fmac_f64_e32 v[96:97], v[88:89], v[110:111]
	s_wait_loadcnt_dscnt 0x201
	v_mul_f64_e32 v[94:95], v[8:9], v[116:117]
	v_mul_f64_e32 v[104:105], v[10:11], v[116:117]
	s_wait_loadcnt_dscnt 0x100
	v_mul_f64_e32 v[88:89], v[90:91], v[120:121]
	v_add_f64_e32 v[4:5], v[4:5], v[100:101]
	v_add_f64_e32 v[12:13], v[12:13], v[98:99]
	v_mul_f64_e32 v[98:99], v[92:93], v[120:121]
	v_fmac_f64_e32 v[94:95], v[10:11], v[114:115]
	v_fma_f64 v[100:101], v[8:9], v[114:115], -v[104:105]
	ds_load_b128 v[8:11], v2 offset:1136
	v_fmac_f64_e32 v[88:89], v[92:93], v[118:119]
	v_add_f64_e32 v[4:5], v[4:5], v[86:87]
	v_add_f64_e32 v[12:13], v[12:13], v[96:97]
	v_fma_f64 v[90:91], v[90:91], v[118:119], -v[98:99]
	s_wait_loadcnt_dscnt 0x0
	v_mul_f64_e32 v[86:87], v[8:9], v[128:129]
	v_mul_f64_e32 v[96:97], v[10:11], v[128:129]
	v_add_f64_e32 v[4:5], v[4:5], v[100:101]
	v_add_f64_e32 v[12:13], v[12:13], v[94:95]
	s_delay_alu instid0(VALU_DEP_4) | instskip(NEXT) | instid1(VALU_DEP_4)
	v_fmac_f64_e32 v[86:87], v[10:11], v[126:127]
	v_fma_f64 v[8:9], v[8:9], v[126:127], -v[96:97]
	s_delay_alu instid0(VALU_DEP_4) | instskip(NEXT) | instid1(VALU_DEP_4)
	v_add_f64_e32 v[4:5], v[4:5], v[90:91]
	v_add_f64_e32 v[10:11], v[12:13], v[88:89]
	s_delay_alu instid0(VALU_DEP_2) | instskip(NEXT) | instid1(VALU_DEP_2)
	v_add_f64_e32 v[4:5], v[4:5], v[8:9]
	v_add_f64_e32 v[10:11], v[10:11], v[86:87]
	s_delay_alu instid0(VALU_DEP_2) | instskip(NEXT) | instid1(VALU_DEP_2)
	v_add_f64_e64 v[8:9], v[130:131], -v[4:5]
	v_add_f64_e64 v[10:11], v[132:133], -v[10:11]
	scratch_store_b128 off, v[8:11], off offset:192
	s_wait_xcnt 0x0
	v_cmpx_lt_u32_e32 11, v1
	s_cbranch_execz .LBB99_207
; %bb.206:
	scratch_load_b128 v[8:11], off, s41
	v_dual_mov_b32 v3, v2 :: v_dual_mov_b32 v4, v2
	v_mov_b32_e32 v5, v2
	scratch_store_b128 off, v[2:5], off offset:176
	s_wait_loadcnt 0x0
	ds_store_b128 v6, v[8:11]
.LBB99_207:
	s_wait_xcnt 0x0
	s_or_b32 exec_lo, exec_lo, s2
	s_wait_storecnt_dscnt 0x0
	s_barrier_signal -1
	s_barrier_wait -1
	s_clause 0x9
	scratch_load_b128 v[8:11], off, off offset:192
	scratch_load_b128 v[86:89], off, off offset:208
	;; [unrolled: 1-line block ×10, first 2 shown]
	ds_load_b128 v[122:125], v2 offset:768
	ds_load_b128 v[130:133], v2 offset:784
	s_clause 0x1
	scratch_load_b128 v[126:129], off, off offset:352
	scratch_load_b128 v[134:137], off, off offset:176
	s_mov_b32 s2, exec_lo
	s_wait_loadcnt_dscnt 0xb01
	v_mul_f64_e32 v[4:5], v[124:125], v[10:11]
	v_mul_f64_e32 v[146:147], v[122:123], v[10:11]
	scratch_load_b128 v[10:13], off, off offset:368
	s_wait_loadcnt_dscnt 0xb00
	v_mul_f64_e32 v[148:149], v[130:131], v[88:89]
	v_mul_f64_e32 v[88:89], v[132:133], v[88:89]
	v_fma_f64 v[4:5], v[122:123], v[8:9], -v[4:5]
	v_fmac_f64_e32 v[146:147], v[124:125], v[8:9]
	ds_load_b128 v[122:125], v2 offset:800
	ds_load_b128 v[138:141], v2 offset:816
	scratch_load_b128 v[142:145], off, off offset:384
	v_fmac_f64_e32 v[148:149], v[132:133], v[86:87]
	v_fma_f64 v[130:131], v[130:131], v[86:87], -v[88:89]
	scratch_load_b128 v[86:89], off, off offset:400
	s_wait_loadcnt_dscnt 0xc01
	v_mul_f64_e32 v[8:9], v[122:123], v[92:93]
	v_mul_f64_e32 v[92:93], v[124:125], v[92:93]
	v_add_f64_e32 v[4:5], 0, v[4:5]
	v_add_f64_e32 v[132:133], 0, v[146:147]
	s_wait_loadcnt_dscnt 0xb00
	v_mul_f64_e32 v[146:147], v[138:139], v[96:97]
	v_mul_f64_e32 v[96:97], v[140:141], v[96:97]
	v_fmac_f64_e32 v[8:9], v[124:125], v[90:91]
	v_fma_f64 v[150:151], v[122:123], v[90:91], -v[92:93]
	ds_load_b128 v[90:93], v2 offset:832
	ds_load_b128 v[122:125], v2 offset:848
	v_add_f64_e32 v[4:5], v[4:5], v[130:131]
	v_add_f64_e32 v[148:149], v[132:133], v[148:149]
	scratch_load_b128 v[130:133], off, off offset:416
	v_fmac_f64_e32 v[146:147], v[140:141], v[94:95]
	v_fma_f64 v[138:139], v[138:139], v[94:95], -v[96:97]
	scratch_load_b128 v[94:97], off, off offset:432
	s_wait_loadcnt_dscnt 0xc01
	v_mul_f64_e32 v[152:153], v[90:91], v[100:101]
	v_mul_f64_e32 v[100:101], v[92:93], v[100:101]
	v_add_f64_e32 v[4:5], v[4:5], v[150:151]
	v_add_f64_e32 v[8:9], v[148:149], v[8:9]
	s_wait_loadcnt_dscnt 0xb00
	v_mul_f64_e32 v[148:149], v[122:123], v[104:105]
	v_mul_f64_e32 v[104:105], v[124:125], v[104:105]
	v_fmac_f64_e32 v[152:153], v[92:93], v[98:99]
	v_fma_f64 v[150:151], v[90:91], v[98:99], -v[100:101]
	ds_load_b128 v[90:93], v2 offset:864
	ds_load_b128 v[98:101], v2 offset:880
	v_add_f64_e32 v[4:5], v[4:5], v[138:139]
	v_add_f64_e32 v[8:9], v[8:9], v[146:147]
	scratch_load_b128 v[138:141], off, off offset:448
	s_wait_loadcnt_dscnt 0xb01
	v_mul_f64_e32 v[146:147], v[90:91], v[108:109]
	v_mul_f64_e32 v[108:109], v[92:93], v[108:109]
	v_fmac_f64_e32 v[148:149], v[124:125], v[102:103]
	v_fma_f64 v[122:123], v[122:123], v[102:103], -v[104:105]
	scratch_load_b128 v[102:105], off, off offset:464
	v_add_f64_e32 v[4:5], v[4:5], v[150:151]
	v_add_f64_e32 v[8:9], v[8:9], v[152:153]
	s_wait_loadcnt_dscnt 0xb00
	v_mul_f64_e32 v[150:151], v[98:99], v[112:113]
	v_mul_f64_e32 v[112:113], v[100:101], v[112:113]
	v_fmac_f64_e32 v[146:147], v[92:93], v[106:107]
	v_fma_f64 v[152:153], v[90:91], v[106:107], -v[108:109]
	ds_load_b128 v[90:93], v2 offset:896
	ds_load_b128 v[106:109], v2 offset:912
	v_add_f64_e32 v[4:5], v[4:5], v[122:123]
	v_add_f64_e32 v[8:9], v[8:9], v[148:149]
	scratch_load_b128 v[122:125], off, off offset:480
	s_wait_loadcnt_dscnt 0xb01
	v_mul_f64_e32 v[148:149], v[90:91], v[116:117]
	v_mul_f64_e32 v[116:117], v[92:93], v[116:117]
	v_fmac_f64_e32 v[150:151], v[100:101], v[110:111]
	v_fma_f64 v[110:111], v[98:99], v[110:111], -v[112:113]
	scratch_load_b128 v[98:101], off, off offset:496
	v_add_f64_e32 v[4:5], v[4:5], v[152:153]
	v_add_f64_e32 v[8:9], v[8:9], v[146:147]
	s_wait_loadcnt_dscnt 0xb00
	v_mul_f64_e32 v[146:147], v[106:107], v[120:121]
	v_mul_f64_e32 v[120:121], v[108:109], v[120:121]
	v_fmac_f64_e32 v[148:149], v[92:93], v[114:115]
	v_fma_f64 v[152:153], v[90:91], v[114:115], -v[116:117]
	v_add_f64_e32 v[4:5], v[4:5], v[110:111]
	v_add_f64_e32 v[8:9], v[8:9], v[150:151]
	ds_load_b128 v[90:93], v2 offset:928
	ds_load_b128 v[110:113], v2 offset:944
	scratch_load_b128 v[114:117], off, off offset:512
	v_fmac_f64_e32 v[146:147], v[108:109], v[118:119]
	v_fma_f64 v[118:119], v[106:107], v[118:119], -v[120:121]
	scratch_load_b128 v[106:109], off, off offset:528
	s_wait_loadcnt_dscnt 0xc01
	v_mul_f64_e32 v[150:151], v[90:91], v[128:129]
	v_mul_f64_e32 v[128:129], v[92:93], v[128:129]
	v_add_f64_e32 v[4:5], v[4:5], v[152:153]
	v_add_f64_e32 v[8:9], v[8:9], v[148:149]
	s_wait_loadcnt_dscnt 0xa00
	v_mul_f64_e32 v[148:149], v[110:111], v[12:13]
	v_mul_f64_e32 v[12:13], v[112:113], v[12:13]
	v_fmac_f64_e32 v[150:151], v[92:93], v[126:127]
	v_fma_f64 v[152:153], v[90:91], v[126:127], -v[128:129]
	v_add_f64_e32 v[4:5], v[4:5], v[118:119]
	v_add_f64_e32 v[8:9], v[8:9], v[146:147]
	ds_load_b128 v[90:93], v2 offset:960
	ds_load_b128 v[118:121], v2 offset:976
	scratch_load_b128 v[126:129], off, off offset:544
	v_fmac_f64_e32 v[148:149], v[112:113], v[10:11]
	v_fma_f64 v[12:13], v[110:111], v[10:11], -v[12:13]
	s_wait_loadcnt_dscnt 0xa01
	v_mul_f64_e32 v[146:147], v[90:91], v[144:145]
	v_mul_f64_e32 v[144:145], v[92:93], v[144:145]
	v_add_f64_e32 v[4:5], v[4:5], v[152:153]
	v_add_f64_e32 v[110:111], v[8:9], v[150:151]
	scratch_load_b128 v[8:11], off, off offset:560
	s_wait_loadcnt_dscnt 0xa00
	v_mul_f64_e32 v[150:151], v[118:119], v[88:89]
	v_mul_f64_e32 v[152:153], v[120:121], v[88:89]
	v_fmac_f64_e32 v[146:147], v[92:93], v[142:143]
	v_fma_f64 v[92:93], v[90:91], v[142:143], -v[144:145]
	v_add_f64_e32 v[4:5], v[4:5], v[12:13]
	v_add_f64_e32 v[12:13], v[110:111], v[148:149]
	ds_load_b128 v[88:91], v2 offset:992
	ds_load_b128 v[110:113], v2 offset:1008
	v_fmac_f64_e32 v[150:151], v[120:121], v[86:87]
	v_fma_f64 v[86:87], v[118:119], v[86:87], -v[152:153]
	s_wait_loadcnt_dscnt 0x901
	v_mul_f64_e32 v[142:143], v[88:89], v[132:133]
	v_mul_f64_e32 v[132:133], v[90:91], v[132:133]
	s_wait_loadcnt_dscnt 0x800
	v_mul_f64_e32 v[118:119], v[110:111], v[96:97]
	v_mul_f64_e32 v[96:97], v[112:113], v[96:97]
	v_add_f64_e32 v[4:5], v[4:5], v[92:93]
	v_add_f64_e32 v[12:13], v[12:13], v[146:147]
	v_fmac_f64_e32 v[142:143], v[90:91], v[130:131]
	v_fma_f64 v[120:121], v[88:89], v[130:131], -v[132:133]
	v_fmac_f64_e32 v[118:119], v[112:113], v[94:95]
	v_fma_f64 v[94:95], v[110:111], v[94:95], -v[96:97]
	v_add_f64_e32 v[4:5], v[4:5], v[86:87]
	v_add_f64_e32 v[12:13], v[12:13], v[150:151]
	ds_load_b128 v[86:89], v2 offset:1024
	ds_load_b128 v[90:93], v2 offset:1040
	s_wait_loadcnt_dscnt 0x701
	v_mul_f64_e32 v[130:131], v[86:87], v[140:141]
	v_mul_f64_e32 v[132:133], v[88:89], v[140:141]
	s_wait_loadcnt_dscnt 0x600
	v_mul_f64_e32 v[110:111], v[90:91], v[104:105]
	v_mul_f64_e32 v[104:105], v[92:93], v[104:105]
	v_add_f64_e32 v[4:5], v[4:5], v[120:121]
	v_add_f64_e32 v[12:13], v[12:13], v[142:143]
	v_fmac_f64_e32 v[130:131], v[88:89], v[138:139]
	v_fma_f64 v[112:113], v[86:87], v[138:139], -v[132:133]
	v_fmac_f64_e32 v[110:111], v[92:93], v[102:103]
	v_fma_f64 v[90:91], v[90:91], v[102:103], -v[104:105]
	v_add_f64_e32 v[4:5], v[4:5], v[94:95]
	v_add_f64_e32 v[12:13], v[12:13], v[118:119]
	ds_load_b128 v[86:89], v2 offset:1056
	ds_load_b128 v[94:97], v2 offset:1072
	;; [unrolled: 16-line block ×4, first 2 shown]
	s_wait_loadcnt_dscnt 0x101
	v_mul_f64_e32 v[102:103], v[86:87], v[128:129]
	v_mul_f64_e32 v[104:105], v[88:89], v[128:129]
	v_add_f64_e32 v[92:93], v[94:95], v[100:101]
	v_add_f64_e32 v[12:13], v[12:13], v[110:111]
	s_wait_loadcnt_dscnt 0x0
	v_mul_f64_e32 v[94:95], v[2:3], v[10:11]
	v_mul_f64_e32 v[10:11], v[4:5], v[10:11]
	v_fmac_f64_e32 v[102:103], v[88:89], v[126:127]
	v_fma_f64 v[86:87], v[86:87], v[126:127], -v[104:105]
	v_add_f64_e32 v[88:89], v[92:93], v[90:91]
	v_add_f64_e32 v[12:13], v[12:13], v[96:97]
	v_fmac_f64_e32 v[94:95], v[4:5], v[8:9]
	v_fma_f64 v[2:3], v[2:3], v[8:9], -v[10:11]
	s_delay_alu instid0(VALU_DEP_4) | instskip(NEXT) | instid1(VALU_DEP_4)
	v_add_f64_e32 v[4:5], v[88:89], v[86:87]
	v_add_f64_e32 v[8:9], v[12:13], v[102:103]
	s_delay_alu instid0(VALU_DEP_2) | instskip(NEXT) | instid1(VALU_DEP_2)
	v_add_f64_e32 v[2:3], v[4:5], v[2:3]
	v_add_f64_e32 v[4:5], v[8:9], v[94:95]
	s_delay_alu instid0(VALU_DEP_2) | instskip(NEXT) | instid1(VALU_DEP_2)
	v_add_f64_e64 v[2:3], v[134:135], -v[2:3]
	v_add_f64_e64 v[4:5], v[136:137], -v[4:5]
	scratch_store_b128 off, v[2:5], off offset:176
	s_wait_xcnt 0x0
	v_cmpx_lt_u32_e32 10, v1
	s_cbranch_execz .LBB99_209
; %bb.208:
	scratch_load_b128 v[2:5], off, s42
	v_mov_b32_e32 v8, 0
	s_delay_alu instid0(VALU_DEP_1)
	v_dual_mov_b32 v9, v8 :: v_dual_mov_b32 v10, v8
	v_mov_b32_e32 v11, v8
	scratch_store_b128 off, v[8:11], off offset:160
	s_wait_loadcnt 0x0
	ds_store_b128 v6, v[2:5]
.LBB99_209:
	s_wait_xcnt 0x0
	s_or_b32 exec_lo, exec_lo, s2
	s_wait_storecnt_dscnt 0x0
	s_barrier_signal -1
	s_barrier_wait -1
	s_clause 0x9
	scratch_load_b128 v[8:11], off, off offset:176
	scratch_load_b128 v[86:89], off, off offset:192
	;; [unrolled: 1-line block ×10, first 2 shown]
	v_mov_b32_e32 v2, 0
	s_mov_b32 s2, exec_lo
	ds_load_b128 v[122:125], v2 offset:752
	s_clause 0x2
	scratch_load_b128 v[126:129], off, off offset:336
	scratch_load_b128 v[130:133], off, off offset:160
	;; [unrolled: 1-line block ×3, first 2 shown]
	s_wait_loadcnt_dscnt 0xc00
	v_mul_f64_e32 v[4:5], v[124:125], v[10:11]
	v_mul_f64_e32 v[146:147], v[122:123], v[10:11]
	ds_load_b128 v[134:137], v2 offset:768
	scratch_load_b128 v[10:13], off, off offset:352
	ds_load_b128 v[142:145], v2 offset:800
	v_fma_f64 v[4:5], v[122:123], v[8:9], -v[4:5]
	v_fmac_f64_e32 v[146:147], v[124:125], v[8:9]
	ds_load_b128 v[122:125], v2 offset:784
	s_wait_loadcnt_dscnt 0xc02
	v_mul_f64_e32 v[148:149], v[134:135], v[88:89]
	v_mul_f64_e32 v[88:89], v[136:137], v[88:89]
	s_wait_loadcnt_dscnt 0xb00
	v_mul_f64_e32 v[8:9], v[122:123], v[92:93]
	v_mul_f64_e32 v[92:93], v[124:125], v[92:93]
	v_add_f64_e32 v[4:5], 0, v[4:5]
	v_fmac_f64_e32 v[148:149], v[136:137], v[86:87]
	v_fma_f64 v[134:135], v[134:135], v[86:87], -v[88:89]
	v_add_f64_e32 v[136:137], 0, v[146:147]
	scratch_load_b128 v[86:89], off, off offset:384
	v_fmac_f64_e32 v[8:9], v[124:125], v[90:91]
	v_fma_f64 v[150:151], v[122:123], v[90:91], -v[92:93]
	ds_load_b128 v[90:93], v2 offset:816
	s_wait_loadcnt 0xb
	v_mul_f64_e32 v[146:147], v[142:143], v[96:97]
	v_mul_f64_e32 v[96:97], v[144:145], v[96:97]
	scratch_load_b128 v[122:125], off, off offset:400
	v_add_f64_e32 v[4:5], v[4:5], v[134:135]
	v_add_f64_e32 v[148:149], v[136:137], v[148:149]
	ds_load_b128 v[134:137], v2 offset:832
	s_wait_loadcnt_dscnt 0xb01
	v_mul_f64_e32 v[152:153], v[90:91], v[100:101]
	v_mul_f64_e32 v[100:101], v[92:93], v[100:101]
	v_fmac_f64_e32 v[146:147], v[144:145], v[94:95]
	v_fma_f64 v[142:143], v[142:143], v[94:95], -v[96:97]
	scratch_load_b128 v[94:97], off, off offset:416
	v_add_f64_e32 v[4:5], v[4:5], v[150:151]
	v_add_f64_e32 v[8:9], v[148:149], v[8:9]
	v_fmac_f64_e32 v[152:153], v[92:93], v[98:99]
	v_fma_f64 v[150:151], v[90:91], v[98:99], -v[100:101]
	ds_load_b128 v[90:93], v2 offset:848
	s_wait_loadcnt_dscnt 0xb01
	v_mul_f64_e32 v[148:149], v[134:135], v[104:105]
	v_mul_f64_e32 v[104:105], v[136:137], v[104:105]
	scratch_load_b128 v[98:101], off, off offset:432
	v_add_f64_e32 v[4:5], v[4:5], v[142:143]
	v_add_f64_e32 v[8:9], v[8:9], v[146:147]
	s_wait_loadcnt_dscnt 0xb00
	v_mul_f64_e32 v[146:147], v[90:91], v[108:109]
	v_mul_f64_e32 v[108:109], v[92:93], v[108:109]
	ds_load_b128 v[142:145], v2 offset:864
	v_fmac_f64_e32 v[148:149], v[136:137], v[102:103]
	v_fma_f64 v[134:135], v[134:135], v[102:103], -v[104:105]
	scratch_load_b128 v[102:105], off, off offset:448
	v_add_f64_e32 v[4:5], v[4:5], v[150:151]
	v_add_f64_e32 v[8:9], v[8:9], v[152:153]
	v_fmac_f64_e32 v[146:147], v[92:93], v[106:107]
	v_fma_f64 v[152:153], v[90:91], v[106:107], -v[108:109]
	ds_load_b128 v[90:93], v2 offset:880
	s_wait_loadcnt_dscnt 0xb01
	v_mul_f64_e32 v[150:151], v[142:143], v[112:113]
	v_mul_f64_e32 v[112:113], v[144:145], v[112:113]
	scratch_load_b128 v[106:109], off, off offset:464
	v_add_f64_e32 v[4:5], v[4:5], v[134:135]
	v_add_f64_e32 v[8:9], v[8:9], v[148:149]
	s_wait_loadcnt_dscnt 0xb00
	v_mul_f64_e32 v[148:149], v[90:91], v[116:117]
	v_mul_f64_e32 v[116:117], v[92:93], v[116:117]
	ds_load_b128 v[134:137], v2 offset:896
	;; [unrolled: 18-line block ×3, first 2 shown]
	v_fmac_f64_e32 v[146:147], v[136:137], v[118:119]
	v_fma_f64 v[134:135], v[134:135], v[118:119], -v[120:121]
	scratch_load_b128 v[118:121], off, off offset:512
	v_add_f64_e32 v[4:5], v[4:5], v[152:153]
	v_add_f64_e32 v[8:9], v[8:9], v[148:149]
	v_fmac_f64_e32 v[150:151], v[92:93], v[126:127]
	v_fma_f64 v[152:153], v[90:91], v[126:127], -v[128:129]
	ds_load_b128 v[90:93], v2 offset:944
	s_wait_loadcnt_dscnt 0x901
	v_mul_f64_e32 v[148:149], v[142:143], v[12:13]
	v_mul_f64_e32 v[12:13], v[144:145], v[12:13]
	scratch_load_b128 v[126:129], off, off offset:528
	v_add_f64_e32 v[4:5], v[4:5], v[134:135]
	v_add_f64_e32 v[8:9], v[8:9], v[146:147]
	s_wait_dscnt 0x0
	v_mul_f64_e32 v[146:147], v[90:91], v[140:141]
	v_mul_f64_e32 v[140:141], v[92:93], v[140:141]
	ds_load_b128 v[134:137], v2 offset:960
	v_fmac_f64_e32 v[148:149], v[144:145], v[10:11]
	v_fma_f64 v[12:13], v[142:143], v[10:11], -v[12:13]
	v_add_f64_e32 v[4:5], v[4:5], v[152:153]
	v_add_f64_e32 v[142:143], v[8:9], v[150:151]
	scratch_load_b128 v[8:11], off, off offset:544
	v_fmac_f64_e32 v[146:147], v[92:93], v[138:139]
	v_fma_f64 v[92:93], v[90:91], v[138:139], -v[140:141]
	scratch_load_b128 v[138:141], off, off offset:560
	v_add_f64_e32 v[4:5], v[4:5], v[12:13]
	v_add_f64_e32 v[12:13], v[142:143], v[148:149]
	ds_load_b128 v[142:145], v2 offset:992
	s_wait_loadcnt_dscnt 0xb01
	v_mul_f64_e32 v[150:151], v[134:135], v[88:89]
	v_mul_f64_e32 v[152:153], v[136:137], v[88:89]
	ds_load_b128 v[88:91], v2 offset:976
	s_wait_loadcnt_dscnt 0xa00
	v_mul_f64_e32 v[148:149], v[88:89], v[124:125]
	v_mul_f64_e32 v[124:125], v[90:91], v[124:125]
	v_add_f64_e32 v[4:5], v[4:5], v[92:93]
	v_add_f64_e32 v[12:13], v[12:13], v[146:147]
	v_fmac_f64_e32 v[150:151], v[136:137], v[86:87]
	v_fma_f64 v[86:87], v[134:135], v[86:87], -v[152:153]
	s_wait_loadcnt 0x9
	v_mul_f64_e32 v[134:135], v[142:143], v[96:97]
	v_mul_f64_e32 v[96:97], v[144:145], v[96:97]
	v_fmac_f64_e32 v[148:149], v[90:91], v[122:123]
	v_fma_f64 v[122:123], v[88:89], v[122:123], -v[124:125]
	v_add_f64_e32 v[12:13], v[12:13], v[150:151]
	v_add_f64_e32 v[4:5], v[4:5], v[86:87]
	ds_load_b128 v[86:89], v2 offset:1008
	ds_load_b128 v[90:93], v2 offset:1024
	v_fmac_f64_e32 v[134:135], v[144:145], v[94:95]
	v_fma_f64 v[94:95], v[142:143], v[94:95], -v[96:97]
	s_wait_loadcnt_dscnt 0x801
	v_mul_f64_e32 v[124:125], v[86:87], v[100:101]
	v_mul_f64_e32 v[100:101], v[88:89], v[100:101]
	v_add_f64_e32 v[12:13], v[12:13], v[148:149]
	v_add_f64_e32 v[4:5], v[4:5], v[122:123]
	s_wait_loadcnt_dscnt 0x700
	v_mul_f64_e32 v[122:123], v[90:91], v[104:105]
	v_mul_f64_e32 v[104:105], v[92:93], v[104:105]
	v_fmac_f64_e32 v[124:125], v[88:89], v[98:99]
	v_fma_f64 v[98:99], v[86:87], v[98:99], -v[100:101]
	v_add_f64_e32 v[12:13], v[12:13], v[134:135]
	v_add_f64_e32 v[4:5], v[4:5], v[94:95]
	ds_load_b128 v[86:89], v2 offset:1040
	ds_load_b128 v[94:97], v2 offset:1056
	v_fmac_f64_e32 v[122:123], v[92:93], v[102:103]
	v_fma_f64 v[90:91], v[90:91], v[102:103], -v[104:105]
	s_wait_loadcnt_dscnt 0x601
	v_mul_f64_e32 v[100:101], v[86:87], v[108:109]
	v_mul_f64_e32 v[108:109], v[88:89], v[108:109]
	s_wait_loadcnt_dscnt 0x500
	v_mul_f64_e32 v[102:103], v[96:97], v[112:113]
	v_add_f64_e32 v[12:13], v[12:13], v[124:125]
	v_add_f64_e32 v[4:5], v[4:5], v[98:99]
	v_mul_f64_e32 v[98:99], v[94:95], v[112:113]
	v_fmac_f64_e32 v[100:101], v[88:89], v[106:107]
	v_fma_f64 v[104:105], v[86:87], v[106:107], -v[108:109]
	v_fma_f64 v[94:95], v[94:95], v[110:111], -v[102:103]
	v_add_f64_e32 v[12:13], v[12:13], v[122:123]
	v_add_f64_e32 v[4:5], v[4:5], v[90:91]
	ds_load_b128 v[86:89], v2 offset:1072
	ds_load_b128 v[90:93], v2 offset:1088
	v_fmac_f64_e32 v[98:99], v[96:97], v[110:111]
	s_wait_loadcnt_dscnt 0x401
	v_mul_f64_e32 v[106:107], v[86:87], v[116:117]
	v_mul_f64_e32 v[108:109], v[88:89], v[116:117]
	s_wait_loadcnt_dscnt 0x300
	v_mul_f64_e32 v[102:103], v[92:93], v[120:121]
	v_add_f64_e32 v[12:13], v[12:13], v[100:101]
	v_add_f64_e32 v[4:5], v[4:5], v[104:105]
	v_mul_f64_e32 v[100:101], v[90:91], v[120:121]
	v_fmac_f64_e32 v[106:107], v[88:89], v[114:115]
	v_fma_f64 v[104:105], v[86:87], v[114:115], -v[108:109]
	v_fma_f64 v[90:91], v[90:91], v[118:119], -v[102:103]
	v_add_f64_e32 v[12:13], v[12:13], v[98:99]
	v_add_f64_e32 v[4:5], v[4:5], v[94:95]
	ds_load_b128 v[86:89], v2 offset:1104
	ds_load_b128 v[94:97], v2 offset:1120
	v_fmac_f64_e32 v[100:101], v[92:93], v[118:119]
	s_wait_loadcnt_dscnt 0x201
	v_mul_f64_e32 v[98:99], v[86:87], v[128:129]
	v_mul_f64_e32 v[108:109], v[88:89], v[128:129]
	s_wait_loadcnt_dscnt 0x100
	v_mul_f64_e32 v[92:93], v[94:95], v[10:11]
	v_add_f64_e32 v[12:13], v[12:13], v[106:107]
	v_add_f64_e32 v[4:5], v[4:5], v[104:105]
	v_mul_f64_e32 v[102:103], v[96:97], v[10:11]
	v_fmac_f64_e32 v[98:99], v[88:89], v[126:127]
	v_fma_f64 v[86:87], v[86:87], v[126:127], -v[108:109]
	v_fmac_f64_e32 v[92:93], v[96:97], v[8:9]
	v_add_f64_e32 v[88:89], v[12:13], v[100:101]
	v_add_f64_e32 v[4:5], v[4:5], v[90:91]
	ds_load_b128 v[10:13], v2 offset:1136
	v_fma_f64 v[8:9], v[94:95], v[8:9], -v[102:103]
	s_wait_loadcnt_dscnt 0x0
	v_mul_f64_e32 v[90:91], v[10:11], v[140:141]
	v_mul_f64_e32 v[100:101], v[12:13], v[140:141]
	v_add_f64_e32 v[4:5], v[4:5], v[86:87]
	v_add_f64_e32 v[86:87], v[88:89], v[98:99]
	s_delay_alu instid0(VALU_DEP_4) | instskip(NEXT) | instid1(VALU_DEP_4)
	v_fmac_f64_e32 v[90:91], v[12:13], v[138:139]
	v_fma_f64 v[10:11], v[10:11], v[138:139], -v[100:101]
	s_delay_alu instid0(VALU_DEP_4) | instskip(NEXT) | instid1(VALU_DEP_4)
	v_add_f64_e32 v[4:5], v[4:5], v[8:9]
	v_add_f64_e32 v[8:9], v[86:87], v[92:93]
	s_delay_alu instid0(VALU_DEP_2) | instskip(NEXT) | instid1(VALU_DEP_2)
	v_add_f64_e32 v[4:5], v[4:5], v[10:11]
	v_add_f64_e32 v[10:11], v[8:9], v[90:91]
	s_delay_alu instid0(VALU_DEP_2) | instskip(NEXT) | instid1(VALU_DEP_2)
	v_add_f64_e64 v[8:9], v[130:131], -v[4:5]
	v_add_f64_e64 v[10:11], v[132:133], -v[10:11]
	scratch_store_b128 off, v[8:11], off offset:160
	s_wait_xcnt 0x0
	v_cmpx_lt_u32_e32 9, v1
	s_cbranch_execz .LBB99_211
; %bb.210:
	scratch_load_b128 v[8:11], off, s43
	v_dual_mov_b32 v3, v2 :: v_dual_mov_b32 v4, v2
	v_mov_b32_e32 v5, v2
	scratch_store_b128 off, v[2:5], off offset:144
	s_wait_loadcnt 0x0
	ds_store_b128 v6, v[8:11]
.LBB99_211:
	s_wait_xcnt 0x0
	s_or_b32 exec_lo, exec_lo, s2
	s_wait_storecnt_dscnt 0x0
	s_barrier_signal -1
	s_barrier_wait -1
	s_clause 0x9
	scratch_load_b128 v[8:11], off, off offset:160
	scratch_load_b128 v[86:89], off, off offset:176
	;; [unrolled: 1-line block ×10, first 2 shown]
	ds_load_b128 v[122:125], v2 offset:736
	ds_load_b128 v[130:133], v2 offset:752
	s_clause 0x1
	scratch_load_b128 v[126:129], off, off offset:320
	scratch_load_b128 v[134:137], off, off offset:144
	s_mov_b32 s2, exec_lo
	s_wait_loadcnt_dscnt 0xb01
	v_mul_f64_e32 v[4:5], v[124:125], v[10:11]
	v_mul_f64_e32 v[146:147], v[122:123], v[10:11]
	scratch_load_b128 v[10:13], off, off offset:336
	s_wait_loadcnt_dscnt 0xb00
	v_mul_f64_e32 v[148:149], v[130:131], v[88:89]
	v_mul_f64_e32 v[88:89], v[132:133], v[88:89]
	v_fma_f64 v[4:5], v[122:123], v[8:9], -v[4:5]
	v_fmac_f64_e32 v[146:147], v[124:125], v[8:9]
	ds_load_b128 v[122:125], v2 offset:768
	ds_load_b128 v[138:141], v2 offset:784
	scratch_load_b128 v[142:145], off, off offset:352
	v_fmac_f64_e32 v[148:149], v[132:133], v[86:87]
	v_fma_f64 v[130:131], v[130:131], v[86:87], -v[88:89]
	scratch_load_b128 v[86:89], off, off offset:368
	s_wait_loadcnt_dscnt 0xc01
	v_mul_f64_e32 v[8:9], v[122:123], v[92:93]
	v_mul_f64_e32 v[92:93], v[124:125], v[92:93]
	v_add_f64_e32 v[4:5], 0, v[4:5]
	v_add_f64_e32 v[132:133], 0, v[146:147]
	s_wait_loadcnt_dscnt 0xb00
	v_mul_f64_e32 v[146:147], v[138:139], v[96:97]
	v_mul_f64_e32 v[96:97], v[140:141], v[96:97]
	v_fmac_f64_e32 v[8:9], v[124:125], v[90:91]
	v_fma_f64 v[150:151], v[122:123], v[90:91], -v[92:93]
	ds_load_b128 v[90:93], v2 offset:800
	ds_load_b128 v[122:125], v2 offset:816
	v_add_f64_e32 v[4:5], v[4:5], v[130:131]
	v_add_f64_e32 v[148:149], v[132:133], v[148:149]
	scratch_load_b128 v[130:133], off, off offset:384
	v_fmac_f64_e32 v[146:147], v[140:141], v[94:95]
	v_fma_f64 v[138:139], v[138:139], v[94:95], -v[96:97]
	scratch_load_b128 v[94:97], off, off offset:400
	s_wait_loadcnt_dscnt 0xc01
	v_mul_f64_e32 v[152:153], v[90:91], v[100:101]
	v_mul_f64_e32 v[100:101], v[92:93], v[100:101]
	v_add_f64_e32 v[4:5], v[4:5], v[150:151]
	v_add_f64_e32 v[8:9], v[148:149], v[8:9]
	s_wait_loadcnt_dscnt 0xb00
	v_mul_f64_e32 v[148:149], v[122:123], v[104:105]
	v_mul_f64_e32 v[104:105], v[124:125], v[104:105]
	v_fmac_f64_e32 v[152:153], v[92:93], v[98:99]
	v_fma_f64 v[150:151], v[90:91], v[98:99], -v[100:101]
	ds_load_b128 v[90:93], v2 offset:832
	ds_load_b128 v[98:101], v2 offset:848
	v_add_f64_e32 v[4:5], v[4:5], v[138:139]
	v_add_f64_e32 v[8:9], v[8:9], v[146:147]
	scratch_load_b128 v[138:141], off, off offset:416
	s_wait_loadcnt_dscnt 0xb01
	v_mul_f64_e32 v[146:147], v[90:91], v[108:109]
	v_mul_f64_e32 v[108:109], v[92:93], v[108:109]
	v_fmac_f64_e32 v[148:149], v[124:125], v[102:103]
	v_fma_f64 v[122:123], v[122:123], v[102:103], -v[104:105]
	scratch_load_b128 v[102:105], off, off offset:432
	v_add_f64_e32 v[4:5], v[4:5], v[150:151]
	v_add_f64_e32 v[8:9], v[8:9], v[152:153]
	s_wait_loadcnt_dscnt 0xb00
	v_mul_f64_e32 v[150:151], v[98:99], v[112:113]
	v_mul_f64_e32 v[112:113], v[100:101], v[112:113]
	v_fmac_f64_e32 v[146:147], v[92:93], v[106:107]
	v_fma_f64 v[152:153], v[90:91], v[106:107], -v[108:109]
	ds_load_b128 v[90:93], v2 offset:864
	ds_load_b128 v[106:109], v2 offset:880
	v_add_f64_e32 v[4:5], v[4:5], v[122:123]
	v_add_f64_e32 v[8:9], v[8:9], v[148:149]
	scratch_load_b128 v[122:125], off, off offset:448
	s_wait_loadcnt_dscnt 0xb01
	v_mul_f64_e32 v[148:149], v[90:91], v[116:117]
	v_mul_f64_e32 v[116:117], v[92:93], v[116:117]
	v_fmac_f64_e32 v[150:151], v[100:101], v[110:111]
	v_fma_f64 v[110:111], v[98:99], v[110:111], -v[112:113]
	scratch_load_b128 v[98:101], off, off offset:464
	v_add_f64_e32 v[4:5], v[4:5], v[152:153]
	v_add_f64_e32 v[8:9], v[8:9], v[146:147]
	s_wait_loadcnt_dscnt 0xb00
	v_mul_f64_e32 v[146:147], v[106:107], v[120:121]
	v_mul_f64_e32 v[120:121], v[108:109], v[120:121]
	v_fmac_f64_e32 v[148:149], v[92:93], v[114:115]
	v_fma_f64 v[152:153], v[90:91], v[114:115], -v[116:117]
	v_add_f64_e32 v[4:5], v[4:5], v[110:111]
	v_add_f64_e32 v[8:9], v[8:9], v[150:151]
	ds_load_b128 v[90:93], v2 offset:896
	ds_load_b128 v[110:113], v2 offset:912
	scratch_load_b128 v[114:117], off, off offset:480
	v_fmac_f64_e32 v[146:147], v[108:109], v[118:119]
	v_fma_f64 v[118:119], v[106:107], v[118:119], -v[120:121]
	scratch_load_b128 v[106:109], off, off offset:496
	s_wait_loadcnt_dscnt 0xc01
	v_mul_f64_e32 v[150:151], v[90:91], v[128:129]
	v_mul_f64_e32 v[128:129], v[92:93], v[128:129]
	v_add_f64_e32 v[4:5], v[4:5], v[152:153]
	v_add_f64_e32 v[8:9], v[8:9], v[148:149]
	s_wait_loadcnt_dscnt 0xa00
	v_mul_f64_e32 v[148:149], v[110:111], v[12:13]
	v_mul_f64_e32 v[12:13], v[112:113], v[12:13]
	v_fmac_f64_e32 v[150:151], v[92:93], v[126:127]
	v_fma_f64 v[152:153], v[90:91], v[126:127], -v[128:129]
	v_add_f64_e32 v[4:5], v[4:5], v[118:119]
	v_add_f64_e32 v[8:9], v[8:9], v[146:147]
	ds_load_b128 v[90:93], v2 offset:928
	ds_load_b128 v[118:121], v2 offset:944
	scratch_load_b128 v[126:129], off, off offset:512
	v_fmac_f64_e32 v[148:149], v[112:113], v[10:11]
	v_fma_f64 v[12:13], v[110:111], v[10:11], -v[12:13]
	s_wait_loadcnt_dscnt 0xa01
	v_mul_f64_e32 v[146:147], v[90:91], v[144:145]
	v_mul_f64_e32 v[144:145], v[92:93], v[144:145]
	v_add_f64_e32 v[4:5], v[4:5], v[152:153]
	v_add_f64_e32 v[110:111], v[8:9], v[150:151]
	scratch_load_b128 v[8:11], off, off offset:528
	s_wait_loadcnt_dscnt 0xa00
	v_mul_f64_e32 v[150:151], v[118:119], v[88:89]
	v_mul_f64_e32 v[152:153], v[120:121], v[88:89]
	v_fmac_f64_e32 v[146:147], v[92:93], v[142:143]
	v_fma_f64 v[92:93], v[90:91], v[142:143], -v[144:145]
	v_add_f64_e32 v[4:5], v[4:5], v[12:13]
	v_add_f64_e32 v[12:13], v[110:111], v[148:149]
	ds_load_b128 v[88:91], v2 offset:960
	ds_load_b128 v[110:113], v2 offset:976
	scratch_load_b128 v[142:145], off, off offset:544
	v_fmac_f64_e32 v[150:151], v[120:121], v[86:87]
	v_fma_f64 v[86:87], v[118:119], v[86:87], -v[152:153]
	scratch_load_b128 v[118:121], off, off offset:560
	s_wait_loadcnt_dscnt 0xb01
	v_mul_f64_e32 v[148:149], v[88:89], v[132:133]
	v_mul_f64_e32 v[132:133], v[90:91], v[132:133]
	v_add_f64_e32 v[4:5], v[4:5], v[92:93]
	v_add_f64_e32 v[12:13], v[12:13], v[146:147]
	s_wait_loadcnt_dscnt 0xa00
	v_mul_f64_e32 v[146:147], v[110:111], v[96:97]
	v_mul_f64_e32 v[96:97], v[112:113], v[96:97]
	v_fmac_f64_e32 v[148:149], v[90:91], v[130:131]
	v_fma_f64 v[130:131], v[88:89], v[130:131], -v[132:133]
	v_add_f64_e32 v[4:5], v[4:5], v[86:87]
	v_add_f64_e32 v[12:13], v[12:13], v[150:151]
	ds_load_b128 v[86:89], v2 offset:992
	ds_load_b128 v[90:93], v2 offset:1008
	v_fmac_f64_e32 v[146:147], v[112:113], v[94:95]
	v_fma_f64 v[94:95], v[110:111], v[94:95], -v[96:97]
	s_wait_loadcnt_dscnt 0x901
	v_mul_f64_e32 v[132:133], v[86:87], v[140:141]
	v_mul_f64_e32 v[140:141], v[88:89], v[140:141]
	s_wait_loadcnt_dscnt 0x800
	v_mul_f64_e32 v[110:111], v[90:91], v[104:105]
	v_mul_f64_e32 v[104:105], v[92:93], v[104:105]
	v_add_f64_e32 v[4:5], v[4:5], v[130:131]
	v_add_f64_e32 v[12:13], v[12:13], v[148:149]
	v_fmac_f64_e32 v[132:133], v[88:89], v[138:139]
	v_fma_f64 v[112:113], v[86:87], v[138:139], -v[140:141]
	v_fmac_f64_e32 v[110:111], v[92:93], v[102:103]
	v_fma_f64 v[90:91], v[90:91], v[102:103], -v[104:105]
	v_add_f64_e32 v[4:5], v[4:5], v[94:95]
	v_add_f64_e32 v[12:13], v[12:13], v[146:147]
	ds_load_b128 v[86:89], v2 offset:1024
	ds_load_b128 v[94:97], v2 offset:1040
	s_wait_loadcnt_dscnt 0x701
	v_mul_f64_e32 v[130:131], v[86:87], v[124:125]
	v_mul_f64_e32 v[124:125], v[88:89], v[124:125]
	s_wait_loadcnt_dscnt 0x600
	v_mul_f64_e32 v[102:103], v[94:95], v[100:101]
	v_mul_f64_e32 v[100:101], v[96:97], v[100:101]
	v_add_f64_e32 v[4:5], v[4:5], v[112:113]
	v_add_f64_e32 v[12:13], v[12:13], v[132:133]
	v_fmac_f64_e32 v[130:131], v[88:89], v[122:123]
	v_fma_f64 v[104:105], v[86:87], v[122:123], -v[124:125]
	v_fmac_f64_e32 v[102:103], v[96:97], v[98:99]
	v_fma_f64 v[94:95], v[94:95], v[98:99], -v[100:101]
	v_add_f64_e32 v[4:5], v[4:5], v[90:91]
	v_add_f64_e32 v[12:13], v[12:13], v[110:111]
	ds_load_b128 v[86:89], v2 offset:1056
	ds_load_b128 v[90:93], v2 offset:1072
	;; [unrolled: 16-line block ×3, first 2 shown]
	s_wait_loadcnt_dscnt 0x301
	v_mul_f64_e32 v[102:103], v[86:87], v[128:129]
	v_mul_f64_e32 v[108:109], v[88:89], v[128:129]
	v_add_f64_e32 v[4:5], v[4:5], v[104:105]
	v_add_f64_e32 v[12:13], v[12:13], v[110:111]
	s_wait_loadcnt_dscnt 0x200
	v_mul_f64_e32 v[92:93], v[94:95], v[10:11]
	v_mul_f64_e32 v[100:101], v[96:97], v[10:11]
	v_fmac_f64_e32 v[102:103], v[88:89], v[126:127]
	v_fma_f64 v[86:87], v[86:87], v[126:127], -v[108:109]
	v_add_f64_e32 v[88:89], v[4:5], v[90:91]
	v_add_f64_e32 v[90:91], v[12:13], v[98:99]
	ds_load_b128 v[10:13], v2 offset:1120
	ds_load_b128 v[2:5], v2 offset:1136
	v_fmac_f64_e32 v[92:93], v[96:97], v[8:9]
	v_fma_f64 v[8:9], v[94:95], v[8:9], -v[100:101]
	s_wait_loadcnt_dscnt 0x101
	v_mul_f64_e32 v[98:99], v[10:11], v[144:145]
	v_mul_f64_e32 v[104:105], v[12:13], v[144:145]
	s_wait_loadcnt_dscnt 0x0
	v_mul_f64_e32 v[94:95], v[4:5], v[120:121]
	v_add_f64_e32 v[86:87], v[88:89], v[86:87]
	v_add_f64_e32 v[88:89], v[90:91], v[102:103]
	v_mul_f64_e32 v[90:91], v[2:3], v[120:121]
	v_fmac_f64_e32 v[98:99], v[12:13], v[142:143]
	v_fma_f64 v[10:11], v[10:11], v[142:143], -v[104:105]
	v_fma_f64 v[2:3], v[2:3], v[118:119], -v[94:95]
	v_add_f64_e32 v[8:9], v[86:87], v[8:9]
	v_add_f64_e32 v[12:13], v[88:89], v[92:93]
	v_fmac_f64_e32 v[90:91], v[4:5], v[118:119]
	s_delay_alu instid0(VALU_DEP_3) | instskip(NEXT) | instid1(VALU_DEP_3)
	v_add_f64_e32 v[4:5], v[8:9], v[10:11]
	v_add_f64_e32 v[8:9], v[12:13], v[98:99]
	s_delay_alu instid0(VALU_DEP_2) | instskip(NEXT) | instid1(VALU_DEP_2)
	v_add_f64_e32 v[2:3], v[4:5], v[2:3]
	v_add_f64_e32 v[4:5], v[8:9], v[90:91]
	s_delay_alu instid0(VALU_DEP_2) | instskip(NEXT) | instid1(VALU_DEP_2)
	v_add_f64_e64 v[2:3], v[134:135], -v[2:3]
	v_add_f64_e64 v[4:5], v[136:137], -v[4:5]
	scratch_store_b128 off, v[2:5], off offset:144
	s_wait_xcnt 0x0
	v_cmpx_lt_u32_e32 8, v1
	s_cbranch_execz .LBB99_213
; %bb.212:
	scratch_load_b128 v[2:5], off, s44
	v_mov_b32_e32 v8, 0
	s_delay_alu instid0(VALU_DEP_1)
	v_dual_mov_b32 v9, v8 :: v_dual_mov_b32 v10, v8
	v_mov_b32_e32 v11, v8
	scratch_store_b128 off, v[8:11], off offset:128
	s_wait_loadcnt 0x0
	ds_store_b128 v6, v[2:5]
.LBB99_213:
	s_wait_xcnt 0x0
	s_or_b32 exec_lo, exec_lo, s2
	s_wait_storecnt_dscnt 0x0
	s_barrier_signal -1
	s_barrier_wait -1
	s_clause 0x9
	scratch_load_b128 v[8:11], off, off offset:144
	scratch_load_b128 v[86:89], off, off offset:160
	;; [unrolled: 1-line block ×10, first 2 shown]
	v_mov_b32_e32 v2, 0
	s_mov_b32 s2, exec_lo
	ds_load_b128 v[122:125], v2 offset:720
	s_clause 0x2
	scratch_load_b128 v[126:129], off, off offset:304
	scratch_load_b128 v[130:133], off, off offset:128
	;; [unrolled: 1-line block ×3, first 2 shown]
	s_wait_loadcnt_dscnt 0xc00
	v_mul_f64_e32 v[4:5], v[124:125], v[10:11]
	v_mul_f64_e32 v[146:147], v[122:123], v[10:11]
	ds_load_b128 v[134:137], v2 offset:736
	scratch_load_b128 v[10:13], off, off offset:320
	ds_load_b128 v[142:145], v2 offset:768
	v_fma_f64 v[4:5], v[122:123], v[8:9], -v[4:5]
	v_fmac_f64_e32 v[146:147], v[124:125], v[8:9]
	ds_load_b128 v[122:125], v2 offset:752
	s_wait_loadcnt_dscnt 0xc02
	v_mul_f64_e32 v[148:149], v[134:135], v[88:89]
	v_mul_f64_e32 v[88:89], v[136:137], v[88:89]
	s_wait_loadcnt_dscnt 0xb00
	v_mul_f64_e32 v[8:9], v[122:123], v[92:93]
	v_mul_f64_e32 v[92:93], v[124:125], v[92:93]
	v_add_f64_e32 v[4:5], 0, v[4:5]
	v_fmac_f64_e32 v[148:149], v[136:137], v[86:87]
	v_fma_f64 v[134:135], v[134:135], v[86:87], -v[88:89]
	v_add_f64_e32 v[136:137], 0, v[146:147]
	scratch_load_b128 v[86:89], off, off offset:352
	v_fmac_f64_e32 v[8:9], v[124:125], v[90:91]
	v_fma_f64 v[150:151], v[122:123], v[90:91], -v[92:93]
	ds_load_b128 v[90:93], v2 offset:784
	s_wait_loadcnt 0xb
	v_mul_f64_e32 v[146:147], v[142:143], v[96:97]
	v_mul_f64_e32 v[96:97], v[144:145], v[96:97]
	scratch_load_b128 v[122:125], off, off offset:368
	v_add_f64_e32 v[4:5], v[4:5], v[134:135]
	v_add_f64_e32 v[148:149], v[136:137], v[148:149]
	ds_load_b128 v[134:137], v2 offset:800
	s_wait_loadcnt_dscnt 0xb01
	v_mul_f64_e32 v[152:153], v[90:91], v[100:101]
	v_mul_f64_e32 v[100:101], v[92:93], v[100:101]
	v_fmac_f64_e32 v[146:147], v[144:145], v[94:95]
	v_fma_f64 v[142:143], v[142:143], v[94:95], -v[96:97]
	scratch_load_b128 v[94:97], off, off offset:384
	v_add_f64_e32 v[4:5], v[4:5], v[150:151]
	v_add_f64_e32 v[8:9], v[148:149], v[8:9]
	v_fmac_f64_e32 v[152:153], v[92:93], v[98:99]
	v_fma_f64 v[150:151], v[90:91], v[98:99], -v[100:101]
	ds_load_b128 v[90:93], v2 offset:816
	s_wait_loadcnt_dscnt 0xb01
	v_mul_f64_e32 v[148:149], v[134:135], v[104:105]
	v_mul_f64_e32 v[104:105], v[136:137], v[104:105]
	scratch_load_b128 v[98:101], off, off offset:400
	v_add_f64_e32 v[4:5], v[4:5], v[142:143]
	v_add_f64_e32 v[8:9], v[8:9], v[146:147]
	s_wait_loadcnt_dscnt 0xb00
	v_mul_f64_e32 v[146:147], v[90:91], v[108:109]
	v_mul_f64_e32 v[108:109], v[92:93], v[108:109]
	ds_load_b128 v[142:145], v2 offset:832
	v_fmac_f64_e32 v[148:149], v[136:137], v[102:103]
	v_fma_f64 v[134:135], v[134:135], v[102:103], -v[104:105]
	scratch_load_b128 v[102:105], off, off offset:416
	v_add_f64_e32 v[4:5], v[4:5], v[150:151]
	v_add_f64_e32 v[8:9], v[8:9], v[152:153]
	v_fmac_f64_e32 v[146:147], v[92:93], v[106:107]
	v_fma_f64 v[152:153], v[90:91], v[106:107], -v[108:109]
	ds_load_b128 v[90:93], v2 offset:848
	s_wait_loadcnt_dscnt 0xb01
	v_mul_f64_e32 v[150:151], v[142:143], v[112:113]
	v_mul_f64_e32 v[112:113], v[144:145], v[112:113]
	scratch_load_b128 v[106:109], off, off offset:432
	v_add_f64_e32 v[4:5], v[4:5], v[134:135]
	v_add_f64_e32 v[8:9], v[8:9], v[148:149]
	s_wait_loadcnt_dscnt 0xb00
	v_mul_f64_e32 v[148:149], v[90:91], v[116:117]
	v_mul_f64_e32 v[116:117], v[92:93], v[116:117]
	ds_load_b128 v[134:137], v2 offset:864
	;; [unrolled: 18-line block ×3, first 2 shown]
	v_fmac_f64_e32 v[146:147], v[136:137], v[118:119]
	v_fma_f64 v[134:135], v[134:135], v[118:119], -v[120:121]
	scratch_load_b128 v[118:121], off, off offset:480
	v_add_f64_e32 v[4:5], v[4:5], v[152:153]
	v_add_f64_e32 v[8:9], v[8:9], v[148:149]
	v_fmac_f64_e32 v[150:151], v[92:93], v[126:127]
	v_fma_f64 v[152:153], v[90:91], v[126:127], -v[128:129]
	ds_load_b128 v[90:93], v2 offset:912
	s_wait_loadcnt_dscnt 0x901
	v_mul_f64_e32 v[148:149], v[142:143], v[12:13]
	v_mul_f64_e32 v[12:13], v[144:145], v[12:13]
	scratch_load_b128 v[126:129], off, off offset:496
	v_add_f64_e32 v[4:5], v[4:5], v[134:135]
	v_add_f64_e32 v[8:9], v[8:9], v[146:147]
	s_wait_dscnt 0x0
	v_mul_f64_e32 v[146:147], v[90:91], v[140:141]
	v_mul_f64_e32 v[140:141], v[92:93], v[140:141]
	ds_load_b128 v[134:137], v2 offset:928
	v_fmac_f64_e32 v[148:149], v[144:145], v[10:11]
	v_fma_f64 v[12:13], v[142:143], v[10:11], -v[12:13]
	v_add_f64_e32 v[4:5], v[4:5], v[152:153]
	v_add_f64_e32 v[142:143], v[8:9], v[150:151]
	scratch_load_b128 v[8:11], off, off offset:512
	v_fmac_f64_e32 v[146:147], v[92:93], v[138:139]
	v_fma_f64 v[92:93], v[90:91], v[138:139], -v[140:141]
	scratch_load_b128 v[138:141], off, off offset:528
	v_add_f64_e32 v[4:5], v[4:5], v[12:13]
	v_add_f64_e32 v[12:13], v[142:143], v[148:149]
	ds_load_b128 v[142:145], v2 offset:960
	s_wait_loadcnt_dscnt 0xb01
	v_mul_f64_e32 v[150:151], v[134:135], v[88:89]
	v_mul_f64_e32 v[152:153], v[136:137], v[88:89]
	ds_load_b128 v[88:91], v2 offset:944
	s_wait_loadcnt_dscnt 0xa00
	v_mul_f64_e32 v[148:149], v[88:89], v[124:125]
	v_mul_f64_e32 v[124:125], v[90:91], v[124:125]
	v_add_f64_e32 v[4:5], v[4:5], v[92:93]
	v_add_f64_e32 v[12:13], v[12:13], v[146:147]
	s_wait_loadcnt 0x9
	v_mul_f64_e32 v[146:147], v[142:143], v[96:97]
	v_fmac_f64_e32 v[150:151], v[136:137], v[86:87]
	v_fma_f64 v[86:87], v[134:135], v[86:87], -v[152:153]
	scratch_load_b128 v[134:137], off, off offset:544
	v_mul_f64_e32 v[96:97], v[144:145], v[96:97]
	v_fmac_f64_e32 v[148:149], v[90:91], v[122:123]
	v_fma_f64 v[152:153], v[88:89], v[122:123], -v[124:125]
	scratch_load_b128 v[90:93], off, off offset:560
	ds_load_b128 v[122:125], v2 offset:992
	v_fmac_f64_e32 v[146:147], v[144:145], v[94:95]
	v_add_f64_e32 v[12:13], v[12:13], v[150:151]
	v_add_f64_e32 v[4:5], v[4:5], v[86:87]
	ds_load_b128 v[86:89], v2 offset:976
	v_fma_f64 v[94:95], v[142:143], v[94:95], -v[96:97]
	s_wait_loadcnt_dscnt 0x901
	v_mul_f64_e32 v[142:143], v[122:123], v[104:105]
	v_mul_f64_e32 v[104:105], v[124:125], v[104:105]
	s_wait_dscnt 0x0
	v_mul_f64_e32 v[150:151], v[86:87], v[100:101]
	v_mul_f64_e32 v[100:101], v[88:89], v[100:101]
	v_add_f64_e32 v[12:13], v[12:13], v[148:149]
	v_add_f64_e32 v[4:5], v[4:5], v[152:153]
	v_fmac_f64_e32 v[142:143], v[124:125], v[102:103]
	v_fma_f64 v[102:103], v[122:123], v[102:103], -v[104:105]
	v_fmac_f64_e32 v[150:151], v[88:89], v[98:99]
	v_fma_f64 v[98:99], v[86:87], v[98:99], -v[100:101]
	v_add_f64_e32 v[12:13], v[12:13], v[146:147]
	v_add_f64_e32 v[4:5], v[4:5], v[94:95]
	ds_load_b128 v[86:89], v2 offset:1008
	ds_load_b128 v[94:97], v2 offset:1024
	s_wait_loadcnt_dscnt 0x801
	v_mul_f64_e32 v[144:145], v[86:87], v[108:109]
	v_mul_f64_e32 v[100:101], v[88:89], v[108:109]
	s_wait_loadcnt_dscnt 0x700
	v_mul_f64_e32 v[104:105], v[94:95], v[112:113]
	v_mul_f64_e32 v[108:109], v[96:97], v[112:113]
	v_add_f64_e32 v[12:13], v[12:13], v[150:151]
	v_add_f64_e32 v[4:5], v[4:5], v[98:99]
	v_fmac_f64_e32 v[144:145], v[88:89], v[106:107]
	v_fma_f64 v[106:107], v[86:87], v[106:107], -v[100:101]
	ds_load_b128 v[86:89], v2 offset:1040
	ds_load_b128 v[98:101], v2 offset:1056
	v_fmac_f64_e32 v[104:105], v[96:97], v[110:111]
	v_fma_f64 v[94:95], v[94:95], v[110:111], -v[108:109]
	v_add_f64_e32 v[12:13], v[12:13], v[142:143]
	v_add_f64_e32 v[4:5], v[4:5], v[102:103]
	s_wait_loadcnt_dscnt 0x601
	v_mul_f64_e32 v[102:103], v[86:87], v[116:117]
	v_mul_f64_e32 v[112:113], v[88:89], v[116:117]
	s_wait_loadcnt_dscnt 0x500
	v_mul_f64_e32 v[108:109], v[100:101], v[120:121]
	v_add_f64_e32 v[12:13], v[12:13], v[144:145]
	v_add_f64_e32 v[4:5], v[4:5], v[106:107]
	v_mul_f64_e32 v[106:107], v[98:99], v[120:121]
	v_fmac_f64_e32 v[102:103], v[88:89], v[114:115]
	v_fma_f64 v[110:111], v[86:87], v[114:115], -v[112:113]
	v_fma_f64 v[98:99], v[98:99], v[118:119], -v[108:109]
	v_add_f64_e32 v[12:13], v[12:13], v[104:105]
	v_add_f64_e32 v[4:5], v[4:5], v[94:95]
	ds_load_b128 v[86:89], v2 offset:1072
	ds_load_b128 v[94:97], v2 offset:1088
	v_fmac_f64_e32 v[106:107], v[100:101], v[118:119]
	s_wait_loadcnt_dscnt 0x401
	v_mul_f64_e32 v[104:105], v[86:87], v[128:129]
	v_mul_f64_e32 v[112:113], v[88:89], v[128:129]
	s_wait_loadcnt_dscnt 0x300
	v_mul_f64_e32 v[100:101], v[94:95], v[10:11]
	v_add_f64_e32 v[12:13], v[12:13], v[102:103]
	v_add_f64_e32 v[4:5], v[4:5], v[110:111]
	v_mul_f64_e32 v[102:103], v[96:97], v[10:11]
	v_fmac_f64_e32 v[104:105], v[88:89], v[126:127]
	v_fma_f64 v[108:109], v[86:87], v[126:127], -v[112:113]
	v_fmac_f64_e32 v[100:101], v[96:97], v[8:9]
	v_add_f64_e32 v[4:5], v[4:5], v[98:99]
	v_add_f64_e32 v[98:99], v[12:13], v[106:107]
	ds_load_b128 v[10:13], v2 offset:1104
	ds_load_b128 v[86:89], v2 offset:1120
	v_fma_f64 v[8:9], v[94:95], v[8:9], -v[102:103]
	s_wait_loadcnt_dscnt 0x201
	v_mul_f64_e32 v[106:107], v[10:11], v[140:141]
	v_mul_f64_e32 v[110:111], v[12:13], v[140:141]
	v_add_f64_e32 v[4:5], v[4:5], v[108:109]
	v_add_f64_e32 v[94:95], v[98:99], v[104:105]
	s_wait_loadcnt_dscnt 0x100
	v_mul_f64_e32 v[96:97], v[86:87], v[136:137]
	v_mul_f64_e32 v[98:99], v[88:89], v[136:137]
	v_fmac_f64_e32 v[106:107], v[12:13], v[138:139]
	v_fma_f64 v[12:13], v[10:11], v[138:139], -v[110:111]
	v_add_f64_e32 v[4:5], v[4:5], v[8:9]
	v_add_f64_e32 v[94:95], v[94:95], v[100:101]
	ds_load_b128 v[8:11], v2 offset:1136
	v_fmac_f64_e32 v[96:97], v[88:89], v[134:135]
	v_fma_f64 v[86:87], v[86:87], v[134:135], -v[98:99]
	s_wait_loadcnt_dscnt 0x0
	v_mul_f64_e32 v[100:101], v[8:9], v[92:93]
	v_mul_f64_e32 v[92:93], v[10:11], v[92:93]
	v_add_f64_e32 v[4:5], v[4:5], v[12:13]
	v_add_f64_e32 v[12:13], v[94:95], v[106:107]
	s_delay_alu instid0(VALU_DEP_4) | instskip(NEXT) | instid1(VALU_DEP_4)
	v_fmac_f64_e32 v[100:101], v[10:11], v[90:91]
	v_fma_f64 v[8:9], v[8:9], v[90:91], -v[92:93]
	s_delay_alu instid0(VALU_DEP_4) | instskip(NEXT) | instid1(VALU_DEP_4)
	v_add_f64_e32 v[4:5], v[4:5], v[86:87]
	v_add_f64_e32 v[10:11], v[12:13], v[96:97]
	s_delay_alu instid0(VALU_DEP_2) | instskip(NEXT) | instid1(VALU_DEP_2)
	v_add_f64_e32 v[4:5], v[4:5], v[8:9]
	v_add_f64_e32 v[10:11], v[10:11], v[100:101]
	s_delay_alu instid0(VALU_DEP_2) | instskip(NEXT) | instid1(VALU_DEP_2)
	v_add_f64_e64 v[8:9], v[130:131], -v[4:5]
	v_add_f64_e64 v[10:11], v[132:133], -v[10:11]
	scratch_store_b128 off, v[8:11], off offset:128
	s_wait_xcnt 0x0
	v_cmpx_lt_u32_e32 7, v1
	s_cbranch_execz .LBB99_215
; %bb.214:
	scratch_load_b128 v[8:11], off, s45
	v_dual_mov_b32 v3, v2 :: v_dual_mov_b32 v4, v2
	v_mov_b32_e32 v5, v2
	scratch_store_b128 off, v[2:5], off offset:112
	s_wait_loadcnt 0x0
	ds_store_b128 v6, v[8:11]
.LBB99_215:
	s_wait_xcnt 0x0
	s_or_b32 exec_lo, exec_lo, s2
	s_wait_storecnt_dscnt 0x0
	s_barrier_signal -1
	s_barrier_wait -1
	s_clause 0x9
	scratch_load_b128 v[8:11], off, off offset:128
	scratch_load_b128 v[86:89], off, off offset:144
	;; [unrolled: 1-line block ×10, first 2 shown]
	ds_load_b128 v[122:125], v2 offset:704
	ds_load_b128 v[130:133], v2 offset:720
	s_clause 0x1
	scratch_load_b128 v[126:129], off, off offset:288
	scratch_load_b128 v[134:137], off, off offset:112
	s_mov_b32 s2, exec_lo
	s_wait_loadcnt_dscnt 0xb01
	v_mul_f64_e32 v[4:5], v[124:125], v[10:11]
	v_mul_f64_e32 v[146:147], v[122:123], v[10:11]
	scratch_load_b128 v[10:13], off, off offset:304
	s_wait_loadcnt_dscnt 0xb00
	v_mul_f64_e32 v[148:149], v[130:131], v[88:89]
	v_mul_f64_e32 v[88:89], v[132:133], v[88:89]
	v_fma_f64 v[4:5], v[122:123], v[8:9], -v[4:5]
	v_fmac_f64_e32 v[146:147], v[124:125], v[8:9]
	ds_load_b128 v[122:125], v2 offset:736
	ds_load_b128 v[138:141], v2 offset:752
	scratch_load_b128 v[142:145], off, off offset:320
	v_fmac_f64_e32 v[148:149], v[132:133], v[86:87]
	v_fma_f64 v[130:131], v[130:131], v[86:87], -v[88:89]
	scratch_load_b128 v[86:89], off, off offset:336
	s_wait_loadcnt_dscnt 0xc01
	v_mul_f64_e32 v[8:9], v[122:123], v[92:93]
	v_mul_f64_e32 v[92:93], v[124:125], v[92:93]
	v_add_f64_e32 v[4:5], 0, v[4:5]
	v_add_f64_e32 v[132:133], 0, v[146:147]
	s_wait_loadcnt_dscnt 0xb00
	v_mul_f64_e32 v[146:147], v[138:139], v[96:97]
	v_mul_f64_e32 v[96:97], v[140:141], v[96:97]
	v_fmac_f64_e32 v[8:9], v[124:125], v[90:91]
	v_fma_f64 v[150:151], v[122:123], v[90:91], -v[92:93]
	ds_load_b128 v[90:93], v2 offset:768
	ds_load_b128 v[122:125], v2 offset:784
	v_add_f64_e32 v[4:5], v[4:5], v[130:131]
	v_add_f64_e32 v[148:149], v[132:133], v[148:149]
	scratch_load_b128 v[130:133], off, off offset:352
	v_fmac_f64_e32 v[146:147], v[140:141], v[94:95]
	v_fma_f64 v[138:139], v[138:139], v[94:95], -v[96:97]
	scratch_load_b128 v[94:97], off, off offset:368
	s_wait_loadcnt_dscnt 0xc01
	v_mul_f64_e32 v[152:153], v[90:91], v[100:101]
	v_mul_f64_e32 v[100:101], v[92:93], v[100:101]
	v_add_f64_e32 v[4:5], v[4:5], v[150:151]
	v_add_f64_e32 v[8:9], v[148:149], v[8:9]
	s_wait_loadcnt_dscnt 0xb00
	v_mul_f64_e32 v[148:149], v[122:123], v[104:105]
	v_mul_f64_e32 v[104:105], v[124:125], v[104:105]
	v_fmac_f64_e32 v[152:153], v[92:93], v[98:99]
	v_fma_f64 v[150:151], v[90:91], v[98:99], -v[100:101]
	ds_load_b128 v[90:93], v2 offset:800
	ds_load_b128 v[98:101], v2 offset:816
	v_add_f64_e32 v[4:5], v[4:5], v[138:139]
	v_add_f64_e32 v[8:9], v[8:9], v[146:147]
	scratch_load_b128 v[138:141], off, off offset:384
	s_wait_loadcnt_dscnt 0xb01
	v_mul_f64_e32 v[146:147], v[90:91], v[108:109]
	v_mul_f64_e32 v[108:109], v[92:93], v[108:109]
	v_fmac_f64_e32 v[148:149], v[124:125], v[102:103]
	v_fma_f64 v[122:123], v[122:123], v[102:103], -v[104:105]
	scratch_load_b128 v[102:105], off, off offset:400
	v_add_f64_e32 v[4:5], v[4:5], v[150:151]
	v_add_f64_e32 v[8:9], v[8:9], v[152:153]
	s_wait_loadcnt_dscnt 0xb00
	v_mul_f64_e32 v[150:151], v[98:99], v[112:113]
	v_mul_f64_e32 v[112:113], v[100:101], v[112:113]
	v_fmac_f64_e32 v[146:147], v[92:93], v[106:107]
	v_fma_f64 v[152:153], v[90:91], v[106:107], -v[108:109]
	ds_load_b128 v[90:93], v2 offset:832
	ds_load_b128 v[106:109], v2 offset:848
	v_add_f64_e32 v[4:5], v[4:5], v[122:123]
	v_add_f64_e32 v[8:9], v[8:9], v[148:149]
	scratch_load_b128 v[122:125], off, off offset:416
	s_wait_loadcnt_dscnt 0xb01
	v_mul_f64_e32 v[148:149], v[90:91], v[116:117]
	v_mul_f64_e32 v[116:117], v[92:93], v[116:117]
	v_fmac_f64_e32 v[150:151], v[100:101], v[110:111]
	v_fma_f64 v[110:111], v[98:99], v[110:111], -v[112:113]
	scratch_load_b128 v[98:101], off, off offset:432
	v_add_f64_e32 v[4:5], v[4:5], v[152:153]
	v_add_f64_e32 v[8:9], v[8:9], v[146:147]
	s_wait_loadcnt_dscnt 0xb00
	v_mul_f64_e32 v[146:147], v[106:107], v[120:121]
	v_mul_f64_e32 v[120:121], v[108:109], v[120:121]
	v_fmac_f64_e32 v[148:149], v[92:93], v[114:115]
	v_fma_f64 v[152:153], v[90:91], v[114:115], -v[116:117]
	v_add_f64_e32 v[4:5], v[4:5], v[110:111]
	v_add_f64_e32 v[8:9], v[8:9], v[150:151]
	ds_load_b128 v[90:93], v2 offset:864
	ds_load_b128 v[110:113], v2 offset:880
	scratch_load_b128 v[114:117], off, off offset:448
	v_fmac_f64_e32 v[146:147], v[108:109], v[118:119]
	v_fma_f64 v[118:119], v[106:107], v[118:119], -v[120:121]
	scratch_load_b128 v[106:109], off, off offset:464
	s_wait_loadcnt_dscnt 0xc01
	v_mul_f64_e32 v[150:151], v[90:91], v[128:129]
	v_mul_f64_e32 v[128:129], v[92:93], v[128:129]
	v_add_f64_e32 v[4:5], v[4:5], v[152:153]
	v_add_f64_e32 v[8:9], v[8:9], v[148:149]
	s_wait_loadcnt_dscnt 0xa00
	v_mul_f64_e32 v[148:149], v[110:111], v[12:13]
	v_mul_f64_e32 v[12:13], v[112:113], v[12:13]
	v_fmac_f64_e32 v[150:151], v[92:93], v[126:127]
	v_fma_f64 v[152:153], v[90:91], v[126:127], -v[128:129]
	v_add_f64_e32 v[4:5], v[4:5], v[118:119]
	v_add_f64_e32 v[8:9], v[8:9], v[146:147]
	ds_load_b128 v[90:93], v2 offset:896
	ds_load_b128 v[118:121], v2 offset:912
	scratch_load_b128 v[126:129], off, off offset:480
	v_fmac_f64_e32 v[148:149], v[112:113], v[10:11]
	v_fma_f64 v[12:13], v[110:111], v[10:11], -v[12:13]
	s_wait_loadcnt_dscnt 0xa01
	v_mul_f64_e32 v[146:147], v[90:91], v[144:145]
	v_mul_f64_e32 v[144:145], v[92:93], v[144:145]
	v_add_f64_e32 v[4:5], v[4:5], v[152:153]
	v_add_f64_e32 v[110:111], v[8:9], v[150:151]
	scratch_load_b128 v[8:11], off, off offset:496
	s_wait_loadcnt_dscnt 0xa00
	v_mul_f64_e32 v[150:151], v[118:119], v[88:89]
	v_mul_f64_e32 v[152:153], v[120:121], v[88:89]
	v_fmac_f64_e32 v[146:147], v[92:93], v[142:143]
	v_fma_f64 v[92:93], v[90:91], v[142:143], -v[144:145]
	v_add_f64_e32 v[4:5], v[4:5], v[12:13]
	v_add_f64_e32 v[12:13], v[110:111], v[148:149]
	ds_load_b128 v[88:91], v2 offset:928
	ds_load_b128 v[110:113], v2 offset:944
	scratch_load_b128 v[142:145], off, off offset:512
	v_fmac_f64_e32 v[150:151], v[120:121], v[86:87]
	v_fma_f64 v[86:87], v[118:119], v[86:87], -v[152:153]
	scratch_load_b128 v[118:121], off, off offset:528
	s_wait_loadcnt_dscnt 0xb01
	v_mul_f64_e32 v[148:149], v[88:89], v[132:133]
	v_mul_f64_e32 v[132:133], v[90:91], v[132:133]
	v_add_f64_e32 v[4:5], v[4:5], v[92:93]
	v_add_f64_e32 v[12:13], v[12:13], v[146:147]
	s_wait_loadcnt_dscnt 0xa00
	v_mul_f64_e32 v[146:147], v[110:111], v[96:97]
	v_mul_f64_e32 v[96:97], v[112:113], v[96:97]
	v_fmac_f64_e32 v[148:149], v[90:91], v[130:131]
	v_fma_f64 v[152:153], v[88:89], v[130:131], -v[132:133]
	v_add_f64_e32 v[4:5], v[4:5], v[86:87]
	v_add_f64_e32 v[12:13], v[12:13], v[150:151]
	ds_load_b128 v[86:89], v2 offset:960
	ds_load_b128 v[90:93], v2 offset:976
	scratch_load_b128 v[130:133], off, off offset:544
	v_fmac_f64_e32 v[146:147], v[112:113], v[94:95]
	v_fma_f64 v[110:111], v[110:111], v[94:95], -v[96:97]
	scratch_load_b128 v[94:97], off, off offset:560
	s_wait_loadcnt_dscnt 0xb01
	v_mul_f64_e32 v[150:151], v[86:87], v[140:141]
	v_mul_f64_e32 v[140:141], v[88:89], v[140:141]
	v_add_f64_e32 v[4:5], v[4:5], v[152:153]
	v_add_f64_e32 v[12:13], v[12:13], v[148:149]
	s_wait_loadcnt_dscnt 0xa00
	v_mul_f64_e32 v[148:149], v[90:91], v[104:105]
	v_mul_f64_e32 v[104:105], v[92:93], v[104:105]
	v_fmac_f64_e32 v[150:151], v[88:89], v[138:139]
	v_fma_f64 v[138:139], v[86:87], v[138:139], -v[140:141]
	v_add_f64_e32 v[4:5], v[4:5], v[110:111]
	v_add_f64_e32 v[12:13], v[12:13], v[146:147]
	ds_load_b128 v[86:89], v2 offset:992
	ds_load_b128 v[110:113], v2 offset:1008
	v_fmac_f64_e32 v[148:149], v[92:93], v[102:103]
	v_fma_f64 v[90:91], v[90:91], v[102:103], -v[104:105]
	s_wait_loadcnt_dscnt 0x901
	v_mul_f64_e32 v[140:141], v[86:87], v[124:125]
	v_mul_f64_e32 v[124:125], v[88:89], v[124:125]
	s_wait_loadcnt_dscnt 0x800
	v_mul_f64_e32 v[102:103], v[110:111], v[100:101]
	v_mul_f64_e32 v[100:101], v[112:113], v[100:101]
	v_add_f64_e32 v[4:5], v[4:5], v[138:139]
	v_add_f64_e32 v[12:13], v[12:13], v[150:151]
	v_fmac_f64_e32 v[140:141], v[88:89], v[122:123]
	v_fma_f64 v[104:105], v[86:87], v[122:123], -v[124:125]
	v_fmac_f64_e32 v[102:103], v[112:113], v[98:99]
	v_fma_f64 v[98:99], v[110:111], v[98:99], -v[100:101]
	v_add_f64_e32 v[4:5], v[4:5], v[90:91]
	v_add_f64_e32 v[12:13], v[12:13], v[148:149]
	ds_load_b128 v[86:89], v2 offset:1024
	ds_load_b128 v[90:93], v2 offset:1040
	s_wait_loadcnt_dscnt 0x701
	v_mul_f64_e32 v[122:123], v[86:87], v[116:117]
	v_mul_f64_e32 v[116:117], v[88:89], v[116:117]
	v_add_f64_e32 v[4:5], v[4:5], v[104:105]
	v_add_f64_e32 v[12:13], v[12:13], v[140:141]
	s_wait_loadcnt_dscnt 0x600
	v_mul_f64_e32 v[104:105], v[90:91], v[108:109]
	v_mul_f64_e32 v[108:109], v[92:93], v[108:109]
	v_fmac_f64_e32 v[122:123], v[88:89], v[114:115]
	v_fma_f64 v[110:111], v[86:87], v[114:115], -v[116:117]
	v_add_f64_e32 v[4:5], v[4:5], v[98:99]
	v_add_f64_e32 v[12:13], v[12:13], v[102:103]
	ds_load_b128 v[86:89], v2 offset:1056
	ds_load_b128 v[98:101], v2 offset:1072
	v_fmac_f64_e32 v[104:105], v[92:93], v[106:107]
	v_fma_f64 v[90:91], v[90:91], v[106:107], -v[108:109]
	s_wait_loadcnt_dscnt 0x501
	v_mul_f64_e32 v[102:103], v[86:87], v[128:129]
	v_mul_f64_e32 v[112:113], v[88:89], v[128:129]
	v_add_f64_e32 v[4:5], v[4:5], v[110:111]
	v_add_f64_e32 v[12:13], v[12:13], v[122:123]
	s_wait_loadcnt_dscnt 0x400
	v_mul_f64_e32 v[92:93], v[98:99], v[10:11]
	v_mul_f64_e32 v[106:107], v[100:101], v[10:11]
	v_fmac_f64_e32 v[102:103], v[88:89], v[126:127]
	v_fma_f64 v[108:109], v[86:87], v[126:127], -v[112:113]
	v_add_f64_e32 v[4:5], v[4:5], v[90:91]
	v_add_f64_e32 v[90:91], v[12:13], v[104:105]
	ds_load_b128 v[10:13], v2 offset:1088
	ds_load_b128 v[86:89], v2 offset:1104
	v_fmac_f64_e32 v[92:93], v[100:101], v[8:9]
	v_fma_f64 v[8:9], v[98:99], v[8:9], -v[106:107]
	s_wait_loadcnt_dscnt 0x301
	v_mul_f64_e32 v[104:105], v[10:11], v[144:145]
	v_mul_f64_e32 v[110:111], v[12:13], v[144:145]
	s_wait_loadcnt_dscnt 0x200
	v_mul_f64_e32 v[98:99], v[86:87], v[120:121]
	v_mul_f64_e32 v[100:101], v[88:89], v[120:121]
	v_add_f64_e32 v[4:5], v[4:5], v[108:109]
	v_add_f64_e32 v[90:91], v[90:91], v[102:103]
	v_fmac_f64_e32 v[104:105], v[12:13], v[142:143]
	v_fma_f64 v[12:13], v[10:11], v[142:143], -v[110:111]
	v_fmac_f64_e32 v[98:99], v[88:89], v[118:119]
	v_fma_f64 v[86:87], v[86:87], v[118:119], -v[100:101]
	v_add_f64_e32 v[102:103], v[4:5], v[8:9]
	v_add_f64_e32 v[90:91], v[90:91], v[92:93]
	ds_load_b128 v[8:11], v2 offset:1120
	ds_load_b128 v[2:5], v2 offset:1136
	s_wait_loadcnt_dscnt 0x101
	v_mul_f64_e32 v[92:93], v[8:9], v[132:133]
	v_mul_f64_e32 v[106:107], v[10:11], v[132:133]
	v_add_f64_e32 v[12:13], v[102:103], v[12:13]
	v_add_f64_e32 v[88:89], v[90:91], v[104:105]
	s_wait_loadcnt_dscnt 0x0
	v_mul_f64_e32 v[90:91], v[2:3], v[96:97]
	v_mul_f64_e32 v[96:97], v[4:5], v[96:97]
	v_fmac_f64_e32 v[92:93], v[10:11], v[130:131]
	v_fma_f64 v[8:9], v[8:9], v[130:131], -v[106:107]
	v_add_f64_e32 v[10:11], v[12:13], v[86:87]
	v_add_f64_e32 v[12:13], v[88:89], v[98:99]
	v_fmac_f64_e32 v[90:91], v[4:5], v[94:95]
	v_fma_f64 v[2:3], v[2:3], v[94:95], -v[96:97]
	s_delay_alu instid0(VALU_DEP_4) | instskip(NEXT) | instid1(VALU_DEP_4)
	v_add_f64_e32 v[4:5], v[10:11], v[8:9]
	v_add_f64_e32 v[8:9], v[12:13], v[92:93]
	s_delay_alu instid0(VALU_DEP_2) | instskip(NEXT) | instid1(VALU_DEP_2)
	v_add_f64_e32 v[2:3], v[4:5], v[2:3]
	v_add_f64_e32 v[4:5], v[8:9], v[90:91]
	s_delay_alu instid0(VALU_DEP_2) | instskip(NEXT) | instid1(VALU_DEP_2)
	v_add_f64_e64 v[2:3], v[134:135], -v[2:3]
	v_add_f64_e64 v[4:5], v[136:137], -v[4:5]
	scratch_store_b128 off, v[2:5], off offset:112
	s_wait_xcnt 0x0
	v_cmpx_lt_u32_e32 6, v1
	s_cbranch_execz .LBB99_217
; %bb.216:
	scratch_load_b128 v[2:5], off, s46
	v_mov_b32_e32 v8, 0
	s_delay_alu instid0(VALU_DEP_1)
	v_dual_mov_b32 v9, v8 :: v_dual_mov_b32 v10, v8
	v_mov_b32_e32 v11, v8
	scratch_store_b128 off, v[8:11], off offset:96
	s_wait_loadcnt 0x0
	ds_store_b128 v6, v[2:5]
.LBB99_217:
	s_wait_xcnt 0x0
	s_or_b32 exec_lo, exec_lo, s2
	s_wait_storecnt_dscnt 0x0
	s_barrier_signal -1
	s_barrier_wait -1
	s_clause 0x9
	scratch_load_b128 v[8:11], off, off offset:112
	scratch_load_b128 v[86:89], off, off offset:128
	;; [unrolled: 1-line block ×10, first 2 shown]
	v_mov_b32_e32 v2, 0
	s_mov_b32 s2, exec_lo
	ds_load_b128 v[122:125], v2 offset:688
	s_clause 0x2
	scratch_load_b128 v[126:129], off, off offset:272
	scratch_load_b128 v[130:133], off, off offset:96
	;; [unrolled: 1-line block ×3, first 2 shown]
	s_wait_loadcnt_dscnt 0xc00
	v_mul_f64_e32 v[4:5], v[124:125], v[10:11]
	v_mul_f64_e32 v[146:147], v[122:123], v[10:11]
	ds_load_b128 v[134:137], v2 offset:704
	scratch_load_b128 v[10:13], off, off offset:288
	ds_load_b128 v[142:145], v2 offset:736
	v_fma_f64 v[4:5], v[122:123], v[8:9], -v[4:5]
	v_fmac_f64_e32 v[146:147], v[124:125], v[8:9]
	ds_load_b128 v[122:125], v2 offset:720
	s_wait_loadcnt_dscnt 0xc02
	v_mul_f64_e32 v[148:149], v[134:135], v[88:89]
	v_mul_f64_e32 v[88:89], v[136:137], v[88:89]
	s_wait_loadcnt_dscnt 0xb00
	v_mul_f64_e32 v[8:9], v[122:123], v[92:93]
	v_mul_f64_e32 v[92:93], v[124:125], v[92:93]
	v_add_f64_e32 v[4:5], 0, v[4:5]
	v_fmac_f64_e32 v[148:149], v[136:137], v[86:87]
	v_fma_f64 v[134:135], v[134:135], v[86:87], -v[88:89]
	v_add_f64_e32 v[136:137], 0, v[146:147]
	scratch_load_b128 v[86:89], off, off offset:320
	v_fmac_f64_e32 v[8:9], v[124:125], v[90:91]
	v_fma_f64 v[150:151], v[122:123], v[90:91], -v[92:93]
	ds_load_b128 v[90:93], v2 offset:752
	s_wait_loadcnt 0xb
	v_mul_f64_e32 v[146:147], v[142:143], v[96:97]
	v_mul_f64_e32 v[96:97], v[144:145], v[96:97]
	scratch_load_b128 v[122:125], off, off offset:336
	v_add_f64_e32 v[4:5], v[4:5], v[134:135]
	v_add_f64_e32 v[148:149], v[136:137], v[148:149]
	ds_load_b128 v[134:137], v2 offset:768
	s_wait_loadcnt_dscnt 0xb01
	v_mul_f64_e32 v[152:153], v[90:91], v[100:101]
	v_mul_f64_e32 v[100:101], v[92:93], v[100:101]
	v_fmac_f64_e32 v[146:147], v[144:145], v[94:95]
	v_fma_f64 v[142:143], v[142:143], v[94:95], -v[96:97]
	scratch_load_b128 v[94:97], off, off offset:352
	v_add_f64_e32 v[4:5], v[4:5], v[150:151]
	v_add_f64_e32 v[8:9], v[148:149], v[8:9]
	v_fmac_f64_e32 v[152:153], v[92:93], v[98:99]
	v_fma_f64 v[150:151], v[90:91], v[98:99], -v[100:101]
	ds_load_b128 v[90:93], v2 offset:784
	s_wait_loadcnt_dscnt 0xb01
	v_mul_f64_e32 v[148:149], v[134:135], v[104:105]
	v_mul_f64_e32 v[104:105], v[136:137], v[104:105]
	scratch_load_b128 v[98:101], off, off offset:368
	v_add_f64_e32 v[4:5], v[4:5], v[142:143]
	v_add_f64_e32 v[8:9], v[8:9], v[146:147]
	s_wait_loadcnt_dscnt 0xb00
	v_mul_f64_e32 v[146:147], v[90:91], v[108:109]
	v_mul_f64_e32 v[108:109], v[92:93], v[108:109]
	ds_load_b128 v[142:145], v2 offset:800
	v_fmac_f64_e32 v[148:149], v[136:137], v[102:103]
	v_fma_f64 v[134:135], v[134:135], v[102:103], -v[104:105]
	scratch_load_b128 v[102:105], off, off offset:384
	v_add_f64_e32 v[4:5], v[4:5], v[150:151]
	v_add_f64_e32 v[8:9], v[8:9], v[152:153]
	v_fmac_f64_e32 v[146:147], v[92:93], v[106:107]
	v_fma_f64 v[152:153], v[90:91], v[106:107], -v[108:109]
	ds_load_b128 v[90:93], v2 offset:816
	s_wait_loadcnt_dscnt 0xb01
	v_mul_f64_e32 v[150:151], v[142:143], v[112:113]
	v_mul_f64_e32 v[112:113], v[144:145], v[112:113]
	scratch_load_b128 v[106:109], off, off offset:400
	v_add_f64_e32 v[4:5], v[4:5], v[134:135]
	v_add_f64_e32 v[8:9], v[8:9], v[148:149]
	s_wait_loadcnt_dscnt 0xb00
	v_mul_f64_e32 v[148:149], v[90:91], v[116:117]
	v_mul_f64_e32 v[116:117], v[92:93], v[116:117]
	ds_load_b128 v[134:137], v2 offset:832
	;; [unrolled: 18-line block ×3, first 2 shown]
	v_fmac_f64_e32 v[146:147], v[136:137], v[118:119]
	v_fma_f64 v[134:135], v[134:135], v[118:119], -v[120:121]
	scratch_load_b128 v[118:121], off, off offset:448
	v_add_f64_e32 v[4:5], v[4:5], v[152:153]
	v_add_f64_e32 v[8:9], v[8:9], v[148:149]
	v_fmac_f64_e32 v[150:151], v[92:93], v[126:127]
	v_fma_f64 v[152:153], v[90:91], v[126:127], -v[128:129]
	ds_load_b128 v[90:93], v2 offset:880
	s_wait_loadcnt_dscnt 0x901
	v_mul_f64_e32 v[148:149], v[142:143], v[12:13]
	v_mul_f64_e32 v[12:13], v[144:145], v[12:13]
	scratch_load_b128 v[126:129], off, off offset:464
	v_add_f64_e32 v[4:5], v[4:5], v[134:135]
	v_add_f64_e32 v[8:9], v[8:9], v[146:147]
	s_wait_dscnt 0x0
	v_mul_f64_e32 v[146:147], v[90:91], v[140:141]
	v_mul_f64_e32 v[140:141], v[92:93], v[140:141]
	ds_load_b128 v[134:137], v2 offset:896
	v_fmac_f64_e32 v[148:149], v[144:145], v[10:11]
	v_fma_f64 v[12:13], v[142:143], v[10:11], -v[12:13]
	v_add_f64_e32 v[4:5], v[4:5], v[152:153]
	v_add_f64_e32 v[142:143], v[8:9], v[150:151]
	scratch_load_b128 v[8:11], off, off offset:480
	v_fmac_f64_e32 v[146:147], v[92:93], v[138:139]
	v_fma_f64 v[92:93], v[90:91], v[138:139], -v[140:141]
	scratch_load_b128 v[138:141], off, off offset:496
	v_add_f64_e32 v[4:5], v[4:5], v[12:13]
	v_add_f64_e32 v[12:13], v[142:143], v[148:149]
	ds_load_b128 v[142:145], v2 offset:928
	s_wait_loadcnt_dscnt 0xb01
	v_mul_f64_e32 v[150:151], v[134:135], v[88:89]
	v_mul_f64_e32 v[152:153], v[136:137], v[88:89]
	ds_load_b128 v[88:91], v2 offset:912
	s_wait_loadcnt_dscnt 0xa00
	v_mul_f64_e32 v[148:149], v[88:89], v[124:125]
	v_mul_f64_e32 v[124:125], v[90:91], v[124:125]
	v_add_f64_e32 v[4:5], v[4:5], v[92:93]
	v_add_f64_e32 v[12:13], v[12:13], v[146:147]
	s_wait_loadcnt 0x9
	v_mul_f64_e32 v[146:147], v[142:143], v[96:97]
	v_fmac_f64_e32 v[150:151], v[136:137], v[86:87]
	v_fma_f64 v[86:87], v[134:135], v[86:87], -v[152:153]
	scratch_load_b128 v[134:137], off, off offset:512
	v_mul_f64_e32 v[96:97], v[144:145], v[96:97]
	v_fmac_f64_e32 v[148:149], v[90:91], v[122:123]
	v_fma_f64 v[152:153], v[88:89], v[122:123], -v[124:125]
	scratch_load_b128 v[90:93], off, off offset:528
	ds_load_b128 v[122:125], v2 offset:960
	v_fmac_f64_e32 v[146:147], v[144:145], v[94:95]
	v_add_f64_e32 v[12:13], v[12:13], v[150:151]
	v_add_f64_e32 v[4:5], v[4:5], v[86:87]
	ds_load_b128 v[86:89], v2 offset:944
	v_fma_f64 v[142:143], v[142:143], v[94:95], -v[96:97]
	scratch_load_b128 v[94:97], off, off offset:544
	s_wait_loadcnt_dscnt 0xb00
	v_mul_f64_e32 v[150:151], v[86:87], v[100:101]
	v_mul_f64_e32 v[100:101], v[88:89], v[100:101]
	v_add_f64_e32 v[12:13], v[12:13], v[148:149]
	v_add_f64_e32 v[4:5], v[4:5], v[152:153]
	s_wait_loadcnt 0xa
	v_mul_f64_e32 v[148:149], v[122:123], v[104:105]
	v_mul_f64_e32 v[104:105], v[124:125], v[104:105]
	v_fmac_f64_e32 v[150:151], v[88:89], v[98:99]
	v_fma_f64 v[152:153], v[86:87], v[98:99], -v[100:101]
	ds_load_b128 v[86:89], v2 offset:976
	scratch_load_b128 v[98:101], off, off offset:560
	v_add_f64_e32 v[12:13], v[12:13], v[146:147]
	v_add_f64_e32 v[4:5], v[4:5], v[142:143]
	ds_load_b128 v[142:145], v2 offset:992
	v_fmac_f64_e32 v[148:149], v[124:125], v[102:103]
	v_fma_f64 v[102:103], v[122:123], v[102:103], -v[104:105]
	s_wait_loadcnt_dscnt 0xa01
	v_mul_f64_e32 v[146:147], v[86:87], v[108:109]
	v_mul_f64_e32 v[108:109], v[88:89], v[108:109]
	s_wait_loadcnt_dscnt 0x900
	v_mul_f64_e32 v[122:123], v[142:143], v[112:113]
	v_mul_f64_e32 v[112:113], v[144:145], v[112:113]
	v_add_f64_e32 v[12:13], v[12:13], v[150:151]
	v_add_f64_e32 v[4:5], v[4:5], v[152:153]
	v_fmac_f64_e32 v[146:147], v[88:89], v[106:107]
	v_fma_f64 v[106:107], v[86:87], v[106:107], -v[108:109]
	v_fmac_f64_e32 v[122:123], v[144:145], v[110:111]
	v_fma_f64 v[110:111], v[142:143], v[110:111], -v[112:113]
	v_add_f64_e32 v[12:13], v[12:13], v[148:149]
	v_add_f64_e32 v[4:5], v[4:5], v[102:103]
	ds_load_b128 v[86:89], v2 offset:1008
	ds_load_b128 v[102:105], v2 offset:1024
	s_wait_loadcnt_dscnt 0x801
	v_mul_f64_e32 v[124:125], v[86:87], v[116:117]
	v_mul_f64_e32 v[108:109], v[88:89], v[116:117]
	s_wait_loadcnt_dscnt 0x700
	v_mul_f64_e32 v[112:113], v[102:103], v[120:121]
	v_mul_f64_e32 v[116:117], v[104:105], v[120:121]
	v_add_f64_e32 v[12:13], v[12:13], v[146:147]
	v_add_f64_e32 v[4:5], v[4:5], v[106:107]
	v_fmac_f64_e32 v[124:125], v[88:89], v[114:115]
	v_fma_f64 v[114:115], v[86:87], v[114:115], -v[108:109]
	ds_load_b128 v[86:89], v2 offset:1040
	ds_load_b128 v[106:109], v2 offset:1056
	v_fmac_f64_e32 v[112:113], v[104:105], v[118:119]
	v_fma_f64 v[102:103], v[102:103], v[118:119], -v[116:117]
	v_add_f64_e32 v[12:13], v[12:13], v[122:123]
	v_add_f64_e32 v[4:5], v[4:5], v[110:111]
	s_wait_loadcnt_dscnt 0x601
	v_mul_f64_e32 v[110:111], v[86:87], v[128:129]
	v_mul_f64_e32 v[120:121], v[88:89], v[128:129]
	s_wait_loadcnt_dscnt 0x500
	v_mul_f64_e32 v[104:105], v[106:107], v[10:11]
	v_add_f64_e32 v[12:13], v[12:13], v[124:125]
	v_add_f64_e32 v[4:5], v[4:5], v[114:115]
	v_mul_f64_e32 v[114:115], v[108:109], v[10:11]
	v_fmac_f64_e32 v[110:111], v[88:89], v[126:127]
	v_fma_f64 v[116:117], v[86:87], v[126:127], -v[120:121]
	v_fmac_f64_e32 v[104:105], v[108:109], v[8:9]
	v_add_f64_e32 v[4:5], v[4:5], v[102:103]
	v_add_f64_e32 v[102:103], v[12:13], v[112:113]
	ds_load_b128 v[10:13], v2 offset:1072
	ds_load_b128 v[86:89], v2 offset:1088
	v_fma_f64 v[8:9], v[106:107], v[8:9], -v[114:115]
	s_wait_loadcnt_dscnt 0x401
	v_mul_f64_e32 v[112:113], v[10:11], v[140:141]
	v_mul_f64_e32 v[118:119], v[12:13], v[140:141]
	v_add_f64_e32 v[4:5], v[4:5], v[116:117]
	v_add_f64_e32 v[102:103], v[102:103], v[110:111]
	s_wait_loadcnt_dscnt 0x300
	v_mul_f64_e32 v[106:107], v[86:87], v[136:137]
	v_mul_f64_e32 v[108:109], v[88:89], v[136:137]
	v_fmac_f64_e32 v[112:113], v[12:13], v[138:139]
	v_fma_f64 v[12:13], v[10:11], v[138:139], -v[118:119]
	v_add_f64_e32 v[4:5], v[4:5], v[8:9]
	v_add_f64_e32 v[110:111], v[102:103], v[104:105]
	ds_load_b128 v[8:11], v2 offset:1104
	ds_load_b128 v[102:105], v2 offset:1120
	v_fmac_f64_e32 v[106:107], v[88:89], v[134:135]
	v_fma_f64 v[86:87], v[86:87], v[134:135], -v[108:109]
	s_wait_loadcnt_dscnt 0x201
	v_mul_f64_e32 v[114:115], v[8:9], v[92:93]
	v_mul_f64_e32 v[92:93], v[10:11], v[92:93]
	s_wait_loadcnt_dscnt 0x100
	v_mul_f64_e32 v[88:89], v[102:103], v[96:97]
	v_mul_f64_e32 v[96:97], v[104:105], v[96:97]
	v_add_f64_e32 v[4:5], v[4:5], v[12:13]
	v_add_f64_e32 v[12:13], v[110:111], v[112:113]
	v_fmac_f64_e32 v[114:115], v[10:11], v[90:91]
	v_fma_f64 v[90:91], v[8:9], v[90:91], -v[92:93]
	ds_load_b128 v[8:11], v2 offset:1136
	v_fmac_f64_e32 v[88:89], v[104:105], v[94:95]
	v_fma_f64 v[94:95], v[102:103], v[94:95], -v[96:97]
	v_add_f64_e32 v[4:5], v[4:5], v[86:87]
	v_add_f64_e32 v[12:13], v[12:13], v[106:107]
	s_wait_loadcnt_dscnt 0x0
	v_mul_f64_e32 v[86:87], v[8:9], v[100:101]
	v_mul_f64_e32 v[92:93], v[10:11], v[100:101]
	s_delay_alu instid0(VALU_DEP_4) | instskip(NEXT) | instid1(VALU_DEP_4)
	v_add_f64_e32 v[4:5], v[4:5], v[90:91]
	v_add_f64_e32 v[12:13], v[12:13], v[114:115]
	s_delay_alu instid0(VALU_DEP_4) | instskip(NEXT) | instid1(VALU_DEP_4)
	v_fmac_f64_e32 v[86:87], v[10:11], v[98:99]
	v_fma_f64 v[8:9], v[8:9], v[98:99], -v[92:93]
	s_delay_alu instid0(VALU_DEP_4) | instskip(NEXT) | instid1(VALU_DEP_4)
	v_add_f64_e32 v[4:5], v[4:5], v[94:95]
	v_add_f64_e32 v[10:11], v[12:13], v[88:89]
	s_delay_alu instid0(VALU_DEP_2) | instskip(NEXT) | instid1(VALU_DEP_2)
	v_add_f64_e32 v[4:5], v[4:5], v[8:9]
	v_add_f64_e32 v[10:11], v[10:11], v[86:87]
	s_delay_alu instid0(VALU_DEP_2) | instskip(NEXT) | instid1(VALU_DEP_2)
	v_add_f64_e64 v[8:9], v[130:131], -v[4:5]
	v_add_f64_e64 v[10:11], v[132:133], -v[10:11]
	scratch_store_b128 off, v[8:11], off offset:96
	s_wait_xcnt 0x0
	v_cmpx_lt_u32_e32 5, v1
	s_cbranch_execz .LBB99_219
; %bb.218:
	scratch_load_b128 v[8:11], off, s47
	v_dual_mov_b32 v3, v2 :: v_dual_mov_b32 v4, v2
	v_mov_b32_e32 v5, v2
	scratch_store_b128 off, v[2:5], off offset:80
	s_wait_loadcnt 0x0
	ds_store_b128 v6, v[8:11]
.LBB99_219:
	s_wait_xcnt 0x0
	s_or_b32 exec_lo, exec_lo, s2
	s_wait_storecnt_dscnt 0x0
	s_barrier_signal -1
	s_barrier_wait -1
	s_clause 0x9
	scratch_load_b128 v[8:11], off, off offset:96
	scratch_load_b128 v[86:89], off, off offset:112
	;; [unrolled: 1-line block ×10, first 2 shown]
	ds_load_b128 v[122:125], v2 offset:672
	ds_load_b128 v[130:133], v2 offset:688
	s_clause 0x1
	scratch_load_b128 v[126:129], off, off offset:256
	scratch_load_b128 v[134:137], off, off offset:80
	s_mov_b32 s2, exec_lo
	s_wait_loadcnt_dscnt 0xb01
	v_mul_f64_e32 v[4:5], v[124:125], v[10:11]
	v_mul_f64_e32 v[146:147], v[122:123], v[10:11]
	scratch_load_b128 v[10:13], off, off offset:272
	s_wait_loadcnt_dscnt 0xb00
	v_mul_f64_e32 v[148:149], v[130:131], v[88:89]
	v_mul_f64_e32 v[88:89], v[132:133], v[88:89]
	v_fma_f64 v[4:5], v[122:123], v[8:9], -v[4:5]
	v_fmac_f64_e32 v[146:147], v[124:125], v[8:9]
	ds_load_b128 v[122:125], v2 offset:704
	ds_load_b128 v[138:141], v2 offset:720
	scratch_load_b128 v[142:145], off, off offset:288
	v_fmac_f64_e32 v[148:149], v[132:133], v[86:87]
	v_fma_f64 v[130:131], v[130:131], v[86:87], -v[88:89]
	scratch_load_b128 v[86:89], off, off offset:304
	s_wait_loadcnt_dscnt 0xc01
	v_mul_f64_e32 v[8:9], v[122:123], v[92:93]
	v_mul_f64_e32 v[92:93], v[124:125], v[92:93]
	v_add_f64_e32 v[4:5], 0, v[4:5]
	v_add_f64_e32 v[132:133], 0, v[146:147]
	s_wait_loadcnt_dscnt 0xb00
	v_mul_f64_e32 v[146:147], v[138:139], v[96:97]
	v_mul_f64_e32 v[96:97], v[140:141], v[96:97]
	v_fmac_f64_e32 v[8:9], v[124:125], v[90:91]
	v_fma_f64 v[150:151], v[122:123], v[90:91], -v[92:93]
	ds_load_b128 v[90:93], v2 offset:736
	ds_load_b128 v[122:125], v2 offset:752
	v_add_f64_e32 v[4:5], v[4:5], v[130:131]
	v_add_f64_e32 v[148:149], v[132:133], v[148:149]
	scratch_load_b128 v[130:133], off, off offset:320
	v_fmac_f64_e32 v[146:147], v[140:141], v[94:95]
	v_fma_f64 v[138:139], v[138:139], v[94:95], -v[96:97]
	scratch_load_b128 v[94:97], off, off offset:336
	s_wait_loadcnt_dscnt 0xc01
	v_mul_f64_e32 v[152:153], v[90:91], v[100:101]
	v_mul_f64_e32 v[100:101], v[92:93], v[100:101]
	v_add_f64_e32 v[4:5], v[4:5], v[150:151]
	v_add_f64_e32 v[8:9], v[148:149], v[8:9]
	s_wait_loadcnt_dscnt 0xb00
	v_mul_f64_e32 v[148:149], v[122:123], v[104:105]
	v_mul_f64_e32 v[104:105], v[124:125], v[104:105]
	v_fmac_f64_e32 v[152:153], v[92:93], v[98:99]
	v_fma_f64 v[150:151], v[90:91], v[98:99], -v[100:101]
	ds_load_b128 v[90:93], v2 offset:768
	ds_load_b128 v[98:101], v2 offset:784
	v_add_f64_e32 v[4:5], v[4:5], v[138:139]
	v_add_f64_e32 v[8:9], v[8:9], v[146:147]
	scratch_load_b128 v[138:141], off, off offset:352
	s_wait_loadcnt_dscnt 0xb01
	v_mul_f64_e32 v[146:147], v[90:91], v[108:109]
	v_mul_f64_e32 v[108:109], v[92:93], v[108:109]
	v_fmac_f64_e32 v[148:149], v[124:125], v[102:103]
	v_fma_f64 v[122:123], v[122:123], v[102:103], -v[104:105]
	scratch_load_b128 v[102:105], off, off offset:368
	v_add_f64_e32 v[4:5], v[4:5], v[150:151]
	v_add_f64_e32 v[8:9], v[8:9], v[152:153]
	s_wait_loadcnt_dscnt 0xb00
	v_mul_f64_e32 v[150:151], v[98:99], v[112:113]
	v_mul_f64_e32 v[112:113], v[100:101], v[112:113]
	v_fmac_f64_e32 v[146:147], v[92:93], v[106:107]
	v_fma_f64 v[152:153], v[90:91], v[106:107], -v[108:109]
	ds_load_b128 v[90:93], v2 offset:800
	ds_load_b128 v[106:109], v2 offset:816
	v_add_f64_e32 v[4:5], v[4:5], v[122:123]
	v_add_f64_e32 v[8:9], v[8:9], v[148:149]
	scratch_load_b128 v[122:125], off, off offset:384
	s_wait_loadcnt_dscnt 0xb01
	v_mul_f64_e32 v[148:149], v[90:91], v[116:117]
	v_mul_f64_e32 v[116:117], v[92:93], v[116:117]
	v_fmac_f64_e32 v[150:151], v[100:101], v[110:111]
	v_fma_f64 v[110:111], v[98:99], v[110:111], -v[112:113]
	scratch_load_b128 v[98:101], off, off offset:400
	v_add_f64_e32 v[4:5], v[4:5], v[152:153]
	v_add_f64_e32 v[8:9], v[8:9], v[146:147]
	s_wait_loadcnt_dscnt 0xb00
	v_mul_f64_e32 v[146:147], v[106:107], v[120:121]
	v_mul_f64_e32 v[120:121], v[108:109], v[120:121]
	v_fmac_f64_e32 v[148:149], v[92:93], v[114:115]
	v_fma_f64 v[152:153], v[90:91], v[114:115], -v[116:117]
	v_add_f64_e32 v[4:5], v[4:5], v[110:111]
	v_add_f64_e32 v[8:9], v[8:9], v[150:151]
	ds_load_b128 v[90:93], v2 offset:832
	ds_load_b128 v[110:113], v2 offset:848
	scratch_load_b128 v[114:117], off, off offset:416
	v_fmac_f64_e32 v[146:147], v[108:109], v[118:119]
	v_fma_f64 v[118:119], v[106:107], v[118:119], -v[120:121]
	scratch_load_b128 v[106:109], off, off offset:432
	s_wait_loadcnt_dscnt 0xc01
	v_mul_f64_e32 v[150:151], v[90:91], v[128:129]
	v_mul_f64_e32 v[128:129], v[92:93], v[128:129]
	v_add_f64_e32 v[4:5], v[4:5], v[152:153]
	v_add_f64_e32 v[8:9], v[8:9], v[148:149]
	s_wait_loadcnt_dscnt 0xa00
	v_mul_f64_e32 v[148:149], v[110:111], v[12:13]
	v_mul_f64_e32 v[12:13], v[112:113], v[12:13]
	v_fmac_f64_e32 v[150:151], v[92:93], v[126:127]
	v_fma_f64 v[152:153], v[90:91], v[126:127], -v[128:129]
	v_add_f64_e32 v[4:5], v[4:5], v[118:119]
	v_add_f64_e32 v[8:9], v[8:9], v[146:147]
	ds_load_b128 v[90:93], v2 offset:864
	ds_load_b128 v[118:121], v2 offset:880
	scratch_load_b128 v[126:129], off, off offset:448
	v_fmac_f64_e32 v[148:149], v[112:113], v[10:11]
	v_fma_f64 v[12:13], v[110:111], v[10:11], -v[12:13]
	s_wait_loadcnt_dscnt 0xa01
	v_mul_f64_e32 v[146:147], v[90:91], v[144:145]
	v_mul_f64_e32 v[144:145], v[92:93], v[144:145]
	v_add_f64_e32 v[4:5], v[4:5], v[152:153]
	v_add_f64_e32 v[110:111], v[8:9], v[150:151]
	scratch_load_b128 v[8:11], off, off offset:464
	s_wait_loadcnt_dscnt 0xa00
	v_mul_f64_e32 v[150:151], v[118:119], v[88:89]
	v_mul_f64_e32 v[152:153], v[120:121], v[88:89]
	v_fmac_f64_e32 v[146:147], v[92:93], v[142:143]
	v_fma_f64 v[92:93], v[90:91], v[142:143], -v[144:145]
	v_add_f64_e32 v[4:5], v[4:5], v[12:13]
	v_add_f64_e32 v[12:13], v[110:111], v[148:149]
	ds_load_b128 v[88:91], v2 offset:896
	ds_load_b128 v[110:113], v2 offset:912
	scratch_load_b128 v[142:145], off, off offset:480
	v_fmac_f64_e32 v[150:151], v[120:121], v[86:87]
	v_fma_f64 v[86:87], v[118:119], v[86:87], -v[152:153]
	scratch_load_b128 v[118:121], off, off offset:496
	s_wait_loadcnt_dscnt 0xb01
	v_mul_f64_e32 v[148:149], v[88:89], v[132:133]
	v_mul_f64_e32 v[132:133], v[90:91], v[132:133]
	v_add_f64_e32 v[4:5], v[4:5], v[92:93]
	v_add_f64_e32 v[12:13], v[12:13], v[146:147]
	s_wait_loadcnt_dscnt 0xa00
	v_mul_f64_e32 v[146:147], v[110:111], v[96:97]
	v_mul_f64_e32 v[96:97], v[112:113], v[96:97]
	v_fmac_f64_e32 v[148:149], v[90:91], v[130:131]
	v_fma_f64 v[152:153], v[88:89], v[130:131], -v[132:133]
	v_add_f64_e32 v[4:5], v[4:5], v[86:87]
	v_add_f64_e32 v[12:13], v[12:13], v[150:151]
	ds_load_b128 v[86:89], v2 offset:928
	ds_load_b128 v[90:93], v2 offset:944
	scratch_load_b128 v[130:133], off, off offset:512
	v_fmac_f64_e32 v[146:147], v[112:113], v[94:95]
	v_fma_f64 v[110:111], v[110:111], v[94:95], -v[96:97]
	scratch_load_b128 v[94:97], off, off offset:528
	s_wait_loadcnt_dscnt 0xb01
	v_mul_f64_e32 v[150:151], v[86:87], v[140:141]
	v_mul_f64_e32 v[140:141], v[88:89], v[140:141]
	v_add_f64_e32 v[4:5], v[4:5], v[152:153]
	v_add_f64_e32 v[12:13], v[12:13], v[148:149]
	s_wait_loadcnt_dscnt 0xa00
	v_mul_f64_e32 v[148:149], v[90:91], v[104:105]
	v_mul_f64_e32 v[104:105], v[92:93], v[104:105]
	v_fmac_f64_e32 v[150:151], v[88:89], v[138:139]
	v_fma_f64 v[152:153], v[86:87], v[138:139], -v[140:141]
	v_add_f64_e32 v[4:5], v[4:5], v[110:111]
	v_add_f64_e32 v[12:13], v[12:13], v[146:147]
	ds_load_b128 v[86:89], v2 offset:960
	ds_load_b128 v[110:113], v2 offset:976
	scratch_load_b128 v[138:141], off, off offset:544
	v_fmac_f64_e32 v[148:149], v[92:93], v[102:103]
	v_fma_f64 v[102:103], v[90:91], v[102:103], -v[104:105]
	scratch_load_b128 v[90:93], off, off offset:560
	s_wait_loadcnt_dscnt 0xb01
	v_mul_f64_e32 v[146:147], v[86:87], v[124:125]
	v_mul_f64_e32 v[124:125], v[88:89], v[124:125]
	s_wait_loadcnt_dscnt 0xa00
	v_mul_f64_e32 v[104:105], v[110:111], v[100:101]
	v_add_f64_e32 v[4:5], v[4:5], v[152:153]
	v_add_f64_e32 v[12:13], v[12:13], v[150:151]
	v_mul_f64_e32 v[150:151], v[112:113], v[100:101]
	v_fmac_f64_e32 v[146:147], v[88:89], v[122:123]
	v_fma_f64 v[122:123], v[86:87], v[122:123], -v[124:125]
	v_fmac_f64_e32 v[104:105], v[112:113], v[98:99]
	v_add_f64_e32 v[4:5], v[4:5], v[102:103]
	v_add_f64_e32 v[12:13], v[12:13], v[148:149]
	ds_load_b128 v[86:89], v2 offset:992
	ds_load_b128 v[100:103], v2 offset:1008
	v_fma_f64 v[98:99], v[110:111], v[98:99], -v[150:151]
	s_wait_loadcnt_dscnt 0x901
	v_mul_f64_e32 v[124:125], v[86:87], v[116:117]
	v_mul_f64_e32 v[116:117], v[88:89], v[116:117]
	s_wait_loadcnt_dscnt 0x800
	v_mul_f64_e32 v[112:113], v[100:101], v[108:109]
	v_add_f64_e32 v[4:5], v[4:5], v[122:123]
	v_add_f64_e32 v[12:13], v[12:13], v[146:147]
	v_mul_f64_e32 v[122:123], v[102:103], v[108:109]
	v_fmac_f64_e32 v[124:125], v[88:89], v[114:115]
	v_fma_f64 v[114:115], v[86:87], v[114:115], -v[116:117]
	ds_load_b128 v[86:89], v2 offset:1024
	ds_load_b128 v[108:111], v2 offset:1040
	v_fmac_f64_e32 v[112:113], v[102:103], v[106:107]
	v_add_f64_e32 v[4:5], v[4:5], v[98:99]
	v_add_f64_e32 v[12:13], v[12:13], v[104:105]
	v_fma_f64 v[100:101], v[100:101], v[106:107], -v[122:123]
	s_wait_loadcnt_dscnt 0x701
	v_mul_f64_e32 v[98:99], v[86:87], v[128:129]
	v_mul_f64_e32 v[104:105], v[88:89], v[128:129]
	v_add_f64_e32 v[4:5], v[4:5], v[114:115]
	v_add_f64_e32 v[12:13], v[12:13], v[124:125]
	s_wait_loadcnt_dscnt 0x600
	v_mul_f64_e32 v[102:103], v[108:109], v[10:11]
	v_mul_f64_e32 v[106:107], v[110:111], v[10:11]
	v_fmac_f64_e32 v[98:99], v[88:89], v[126:127]
	v_fma_f64 v[104:105], v[86:87], v[126:127], -v[104:105]
	v_add_f64_e32 v[4:5], v[4:5], v[100:101]
	v_add_f64_e32 v[100:101], v[12:13], v[112:113]
	ds_load_b128 v[10:13], v2 offset:1056
	ds_load_b128 v[86:89], v2 offset:1072
	v_fmac_f64_e32 v[102:103], v[110:111], v[8:9]
	v_fma_f64 v[8:9], v[108:109], v[8:9], -v[106:107]
	s_wait_loadcnt_dscnt 0x501
	v_mul_f64_e32 v[112:113], v[10:11], v[144:145]
	v_mul_f64_e32 v[114:115], v[12:13], v[144:145]
	s_wait_loadcnt_dscnt 0x400
	v_mul_f64_e32 v[106:107], v[88:89], v[120:121]
	v_add_f64_e32 v[4:5], v[4:5], v[104:105]
	v_add_f64_e32 v[98:99], v[100:101], v[98:99]
	v_mul_f64_e32 v[104:105], v[86:87], v[120:121]
	v_fmac_f64_e32 v[112:113], v[12:13], v[142:143]
	v_fma_f64 v[12:13], v[10:11], v[142:143], -v[114:115]
	v_fma_f64 v[86:87], v[86:87], v[118:119], -v[106:107]
	v_add_f64_e32 v[4:5], v[4:5], v[8:9]
	v_add_f64_e32 v[102:103], v[98:99], v[102:103]
	ds_load_b128 v[8:11], v2 offset:1088
	ds_load_b128 v[98:101], v2 offset:1104
	v_fmac_f64_e32 v[104:105], v[88:89], v[118:119]
	s_wait_loadcnt_dscnt 0x301
	v_mul_f64_e32 v[108:109], v[8:9], v[132:133]
	v_mul_f64_e32 v[110:111], v[10:11], v[132:133]
	s_wait_loadcnt_dscnt 0x200
	v_mul_f64_e32 v[88:89], v[98:99], v[96:97]
	v_mul_f64_e32 v[96:97], v[100:101], v[96:97]
	v_add_f64_e32 v[4:5], v[4:5], v[12:13]
	v_add_f64_e32 v[12:13], v[102:103], v[112:113]
	v_fmac_f64_e32 v[108:109], v[10:11], v[130:131]
	v_fma_f64 v[102:103], v[8:9], v[130:131], -v[110:111]
	v_fmac_f64_e32 v[88:89], v[100:101], v[94:95]
	v_fma_f64 v[94:95], v[98:99], v[94:95], -v[96:97]
	v_add_f64_e32 v[86:87], v[4:5], v[86:87]
	v_add_f64_e32 v[12:13], v[12:13], v[104:105]
	ds_load_b128 v[8:11], v2 offset:1120
	ds_load_b128 v[2:5], v2 offset:1136
	s_wait_loadcnt_dscnt 0x101
	v_mul_f64_e32 v[104:105], v[8:9], v[140:141]
	v_mul_f64_e32 v[106:107], v[10:11], v[140:141]
	s_wait_loadcnt_dscnt 0x0
	v_mul_f64_e32 v[96:97], v[2:3], v[92:93]
	v_mul_f64_e32 v[92:93], v[4:5], v[92:93]
	v_add_f64_e32 v[86:87], v[86:87], v[102:103]
	v_add_f64_e32 v[12:13], v[12:13], v[108:109]
	v_fmac_f64_e32 v[104:105], v[10:11], v[138:139]
	v_fma_f64 v[8:9], v[8:9], v[138:139], -v[106:107]
	v_fmac_f64_e32 v[96:97], v[4:5], v[90:91]
	v_fma_f64 v[2:3], v[2:3], v[90:91], -v[92:93]
	v_add_f64_e32 v[10:11], v[86:87], v[94:95]
	v_add_f64_e32 v[12:13], v[12:13], v[88:89]
	s_delay_alu instid0(VALU_DEP_2) | instskip(NEXT) | instid1(VALU_DEP_2)
	v_add_f64_e32 v[4:5], v[10:11], v[8:9]
	v_add_f64_e32 v[8:9], v[12:13], v[104:105]
	s_delay_alu instid0(VALU_DEP_2) | instskip(NEXT) | instid1(VALU_DEP_2)
	;; [unrolled: 3-line block ×3, first 2 shown]
	v_add_f64_e64 v[2:3], v[134:135], -v[2:3]
	v_add_f64_e64 v[4:5], v[136:137], -v[4:5]
	scratch_store_b128 off, v[2:5], off offset:80
	s_wait_xcnt 0x0
	v_cmpx_lt_u32_e32 4, v1
	s_cbranch_execz .LBB99_221
; %bb.220:
	scratch_load_b128 v[2:5], off, s12
	v_mov_b32_e32 v8, 0
	s_delay_alu instid0(VALU_DEP_1)
	v_dual_mov_b32 v9, v8 :: v_dual_mov_b32 v10, v8
	v_mov_b32_e32 v11, v8
	scratch_store_b128 off, v[8:11], off offset:64
	s_wait_loadcnt 0x0
	ds_store_b128 v6, v[2:5]
.LBB99_221:
	s_wait_xcnt 0x0
	s_or_b32 exec_lo, exec_lo, s2
	s_wait_storecnt_dscnt 0x0
	s_barrier_signal -1
	s_barrier_wait -1
	s_clause 0x9
	scratch_load_b128 v[8:11], off, off offset:80
	scratch_load_b128 v[86:89], off, off offset:96
	;; [unrolled: 1-line block ×10, first 2 shown]
	v_mov_b32_e32 v2, 0
	s_mov_b32 s2, exec_lo
	ds_load_b128 v[122:125], v2 offset:656
	s_clause 0x2
	scratch_load_b128 v[126:129], off, off offset:240
	scratch_load_b128 v[130:133], off, off offset:64
	;; [unrolled: 1-line block ×3, first 2 shown]
	s_wait_loadcnt_dscnt 0xc00
	v_mul_f64_e32 v[4:5], v[124:125], v[10:11]
	v_mul_f64_e32 v[146:147], v[122:123], v[10:11]
	ds_load_b128 v[134:137], v2 offset:672
	scratch_load_b128 v[10:13], off, off offset:256
	ds_load_b128 v[142:145], v2 offset:704
	v_fma_f64 v[4:5], v[122:123], v[8:9], -v[4:5]
	v_fmac_f64_e32 v[146:147], v[124:125], v[8:9]
	ds_load_b128 v[122:125], v2 offset:688
	s_wait_loadcnt_dscnt 0xc02
	v_mul_f64_e32 v[148:149], v[134:135], v[88:89]
	v_mul_f64_e32 v[88:89], v[136:137], v[88:89]
	s_wait_loadcnt_dscnt 0xb00
	v_mul_f64_e32 v[8:9], v[122:123], v[92:93]
	v_mul_f64_e32 v[92:93], v[124:125], v[92:93]
	v_add_f64_e32 v[4:5], 0, v[4:5]
	v_fmac_f64_e32 v[148:149], v[136:137], v[86:87]
	v_fma_f64 v[134:135], v[134:135], v[86:87], -v[88:89]
	v_add_f64_e32 v[136:137], 0, v[146:147]
	scratch_load_b128 v[86:89], off, off offset:288
	v_fmac_f64_e32 v[8:9], v[124:125], v[90:91]
	v_fma_f64 v[150:151], v[122:123], v[90:91], -v[92:93]
	ds_load_b128 v[90:93], v2 offset:720
	s_wait_loadcnt 0xb
	v_mul_f64_e32 v[146:147], v[142:143], v[96:97]
	v_mul_f64_e32 v[96:97], v[144:145], v[96:97]
	scratch_load_b128 v[122:125], off, off offset:304
	v_add_f64_e32 v[4:5], v[4:5], v[134:135]
	v_add_f64_e32 v[148:149], v[136:137], v[148:149]
	ds_load_b128 v[134:137], v2 offset:736
	s_wait_loadcnt_dscnt 0xb01
	v_mul_f64_e32 v[152:153], v[90:91], v[100:101]
	v_mul_f64_e32 v[100:101], v[92:93], v[100:101]
	v_fmac_f64_e32 v[146:147], v[144:145], v[94:95]
	v_fma_f64 v[142:143], v[142:143], v[94:95], -v[96:97]
	scratch_load_b128 v[94:97], off, off offset:320
	v_add_f64_e32 v[4:5], v[4:5], v[150:151]
	v_add_f64_e32 v[8:9], v[148:149], v[8:9]
	v_fmac_f64_e32 v[152:153], v[92:93], v[98:99]
	v_fma_f64 v[150:151], v[90:91], v[98:99], -v[100:101]
	ds_load_b128 v[90:93], v2 offset:752
	s_wait_loadcnt_dscnt 0xb01
	v_mul_f64_e32 v[148:149], v[134:135], v[104:105]
	v_mul_f64_e32 v[104:105], v[136:137], v[104:105]
	scratch_load_b128 v[98:101], off, off offset:336
	v_add_f64_e32 v[4:5], v[4:5], v[142:143]
	v_add_f64_e32 v[8:9], v[8:9], v[146:147]
	s_wait_loadcnt_dscnt 0xb00
	v_mul_f64_e32 v[146:147], v[90:91], v[108:109]
	v_mul_f64_e32 v[108:109], v[92:93], v[108:109]
	ds_load_b128 v[142:145], v2 offset:768
	v_fmac_f64_e32 v[148:149], v[136:137], v[102:103]
	v_fma_f64 v[134:135], v[134:135], v[102:103], -v[104:105]
	scratch_load_b128 v[102:105], off, off offset:352
	v_add_f64_e32 v[4:5], v[4:5], v[150:151]
	v_add_f64_e32 v[8:9], v[8:9], v[152:153]
	v_fmac_f64_e32 v[146:147], v[92:93], v[106:107]
	v_fma_f64 v[152:153], v[90:91], v[106:107], -v[108:109]
	ds_load_b128 v[90:93], v2 offset:784
	s_wait_loadcnt_dscnt 0xb01
	v_mul_f64_e32 v[150:151], v[142:143], v[112:113]
	v_mul_f64_e32 v[112:113], v[144:145], v[112:113]
	scratch_load_b128 v[106:109], off, off offset:368
	v_add_f64_e32 v[4:5], v[4:5], v[134:135]
	v_add_f64_e32 v[8:9], v[8:9], v[148:149]
	s_wait_loadcnt_dscnt 0xb00
	v_mul_f64_e32 v[148:149], v[90:91], v[116:117]
	v_mul_f64_e32 v[116:117], v[92:93], v[116:117]
	ds_load_b128 v[134:137], v2 offset:800
	;; [unrolled: 18-line block ×3, first 2 shown]
	v_fmac_f64_e32 v[146:147], v[136:137], v[118:119]
	v_fma_f64 v[134:135], v[134:135], v[118:119], -v[120:121]
	scratch_load_b128 v[118:121], off, off offset:416
	v_add_f64_e32 v[4:5], v[4:5], v[152:153]
	v_add_f64_e32 v[8:9], v[8:9], v[148:149]
	v_fmac_f64_e32 v[150:151], v[92:93], v[126:127]
	v_fma_f64 v[152:153], v[90:91], v[126:127], -v[128:129]
	ds_load_b128 v[90:93], v2 offset:848
	s_wait_loadcnt_dscnt 0x901
	v_mul_f64_e32 v[148:149], v[142:143], v[12:13]
	v_mul_f64_e32 v[12:13], v[144:145], v[12:13]
	scratch_load_b128 v[126:129], off, off offset:432
	v_add_f64_e32 v[4:5], v[4:5], v[134:135]
	v_add_f64_e32 v[8:9], v[8:9], v[146:147]
	s_wait_dscnt 0x0
	v_mul_f64_e32 v[146:147], v[90:91], v[140:141]
	v_mul_f64_e32 v[140:141], v[92:93], v[140:141]
	ds_load_b128 v[134:137], v2 offset:864
	v_fmac_f64_e32 v[148:149], v[144:145], v[10:11]
	v_fma_f64 v[12:13], v[142:143], v[10:11], -v[12:13]
	v_add_f64_e32 v[4:5], v[4:5], v[152:153]
	v_add_f64_e32 v[142:143], v[8:9], v[150:151]
	scratch_load_b128 v[8:11], off, off offset:448
	v_fmac_f64_e32 v[146:147], v[92:93], v[138:139]
	v_fma_f64 v[92:93], v[90:91], v[138:139], -v[140:141]
	scratch_load_b128 v[138:141], off, off offset:464
	v_add_f64_e32 v[4:5], v[4:5], v[12:13]
	v_add_f64_e32 v[12:13], v[142:143], v[148:149]
	ds_load_b128 v[142:145], v2 offset:896
	s_wait_loadcnt_dscnt 0xb01
	v_mul_f64_e32 v[150:151], v[134:135], v[88:89]
	v_mul_f64_e32 v[152:153], v[136:137], v[88:89]
	ds_load_b128 v[88:91], v2 offset:880
	s_wait_loadcnt_dscnt 0xa00
	v_mul_f64_e32 v[148:149], v[88:89], v[124:125]
	v_mul_f64_e32 v[124:125], v[90:91], v[124:125]
	v_add_f64_e32 v[4:5], v[4:5], v[92:93]
	v_add_f64_e32 v[12:13], v[12:13], v[146:147]
	s_wait_loadcnt 0x9
	v_mul_f64_e32 v[146:147], v[142:143], v[96:97]
	v_fmac_f64_e32 v[150:151], v[136:137], v[86:87]
	v_fma_f64 v[86:87], v[134:135], v[86:87], -v[152:153]
	scratch_load_b128 v[134:137], off, off offset:480
	v_mul_f64_e32 v[96:97], v[144:145], v[96:97]
	v_fmac_f64_e32 v[148:149], v[90:91], v[122:123]
	v_fma_f64 v[152:153], v[88:89], v[122:123], -v[124:125]
	scratch_load_b128 v[90:93], off, off offset:496
	ds_load_b128 v[122:125], v2 offset:928
	v_fmac_f64_e32 v[146:147], v[144:145], v[94:95]
	v_add_f64_e32 v[12:13], v[12:13], v[150:151]
	v_add_f64_e32 v[4:5], v[4:5], v[86:87]
	ds_load_b128 v[86:89], v2 offset:912
	v_fma_f64 v[142:143], v[142:143], v[94:95], -v[96:97]
	scratch_load_b128 v[94:97], off, off offset:512
	s_wait_loadcnt_dscnt 0xb00
	v_mul_f64_e32 v[150:151], v[86:87], v[100:101]
	v_mul_f64_e32 v[100:101], v[88:89], v[100:101]
	v_add_f64_e32 v[12:13], v[12:13], v[148:149]
	v_add_f64_e32 v[4:5], v[4:5], v[152:153]
	s_wait_loadcnt 0xa
	v_mul_f64_e32 v[148:149], v[122:123], v[104:105]
	v_mul_f64_e32 v[104:105], v[124:125], v[104:105]
	v_fmac_f64_e32 v[150:151], v[88:89], v[98:99]
	v_fma_f64 v[152:153], v[86:87], v[98:99], -v[100:101]
	ds_load_b128 v[86:89], v2 offset:944
	scratch_load_b128 v[98:101], off, off offset:528
	v_add_f64_e32 v[12:13], v[12:13], v[146:147]
	v_add_f64_e32 v[4:5], v[4:5], v[142:143]
	ds_load_b128 v[142:145], v2 offset:960
	v_fmac_f64_e32 v[148:149], v[124:125], v[102:103]
	v_fma_f64 v[122:123], v[122:123], v[102:103], -v[104:105]
	scratch_load_b128 v[102:105], off, off offset:544
	s_wait_loadcnt_dscnt 0xb01
	v_mul_f64_e32 v[146:147], v[86:87], v[108:109]
	v_mul_f64_e32 v[108:109], v[88:89], v[108:109]
	v_add_f64_e32 v[12:13], v[12:13], v[150:151]
	v_add_f64_e32 v[4:5], v[4:5], v[152:153]
	s_wait_loadcnt_dscnt 0xa00
	v_mul_f64_e32 v[150:151], v[142:143], v[112:113]
	v_mul_f64_e32 v[112:113], v[144:145], v[112:113]
	v_fmac_f64_e32 v[146:147], v[88:89], v[106:107]
	v_fma_f64 v[152:153], v[86:87], v[106:107], -v[108:109]
	ds_load_b128 v[86:89], v2 offset:976
	scratch_load_b128 v[106:109], off, off offset:560
	v_add_f64_e32 v[12:13], v[12:13], v[148:149]
	v_add_f64_e32 v[4:5], v[4:5], v[122:123]
	ds_load_b128 v[122:125], v2 offset:992
	s_wait_loadcnt_dscnt 0xa01
	v_mul_f64_e32 v[148:149], v[86:87], v[116:117]
	v_mul_f64_e32 v[116:117], v[88:89], v[116:117]
	v_fmac_f64_e32 v[150:151], v[144:145], v[110:111]
	v_fma_f64 v[110:111], v[142:143], v[110:111], -v[112:113]
	s_wait_loadcnt_dscnt 0x900
	v_mul_f64_e32 v[142:143], v[122:123], v[120:121]
	v_mul_f64_e32 v[120:121], v[124:125], v[120:121]
	v_add_f64_e32 v[12:13], v[12:13], v[146:147]
	v_add_f64_e32 v[4:5], v[4:5], v[152:153]
	v_fmac_f64_e32 v[148:149], v[88:89], v[114:115]
	v_fma_f64 v[114:115], v[86:87], v[114:115], -v[116:117]
	v_fmac_f64_e32 v[142:143], v[124:125], v[118:119]
	v_fma_f64 v[118:119], v[122:123], v[118:119], -v[120:121]
	v_add_f64_e32 v[12:13], v[12:13], v[150:151]
	v_add_f64_e32 v[4:5], v[4:5], v[110:111]
	ds_load_b128 v[86:89], v2 offset:1008
	ds_load_b128 v[110:113], v2 offset:1024
	s_wait_loadcnt_dscnt 0x801
	v_mul_f64_e32 v[116:117], v[86:87], v[128:129]
	v_mul_f64_e32 v[128:129], v[88:89], v[128:129]
	s_wait_loadcnt_dscnt 0x700
	v_mul_f64_e32 v[120:121], v[112:113], v[10:11]
	v_add_f64_e32 v[12:13], v[12:13], v[148:149]
	v_add_f64_e32 v[4:5], v[4:5], v[114:115]
	v_mul_f64_e32 v[114:115], v[110:111], v[10:11]
	v_fmac_f64_e32 v[116:117], v[88:89], v[126:127]
	v_fma_f64 v[122:123], v[86:87], v[126:127], -v[128:129]
	s_delay_alu instid0(VALU_DEP_4)
	v_add_f64_e32 v[4:5], v[4:5], v[118:119]
	v_add_f64_e32 v[118:119], v[12:13], v[142:143]
	ds_load_b128 v[10:13], v2 offset:1040
	ds_load_b128 v[86:89], v2 offset:1056
	v_fmac_f64_e32 v[114:115], v[112:113], v[8:9]
	v_fma_f64 v[8:9], v[110:111], v[8:9], -v[120:121]
	s_wait_loadcnt_dscnt 0x601
	v_mul_f64_e32 v[124:125], v[10:11], v[140:141]
	v_mul_f64_e32 v[126:127], v[12:13], v[140:141]
	v_add_f64_e32 v[4:5], v[4:5], v[122:123]
	v_add_f64_e32 v[110:111], v[118:119], v[116:117]
	s_wait_loadcnt_dscnt 0x500
	v_mul_f64_e32 v[116:117], v[86:87], v[136:137]
	v_mul_f64_e32 v[118:119], v[88:89], v[136:137]
	v_fmac_f64_e32 v[124:125], v[12:13], v[138:139]
	v_fma_f64 v[12:13], v[10:11], v[138:139], -v[126:127]
	v_add_f64_e32 v[4:5], v[4:5], v[8:9]
	v_add_f64_e32 v[114:115], v[110:111], v[114:115]
	ds_load_b128 v[8:11], v2 offset:1072
	ds_load_b128 v[110:113], v2 offset:1088
	v_fmac_f64_e32 v[116:117], v[88:89], v[134:135]
	v_fma_f64 v[86:87], v[86:87], v[134:135], -v[118:119]
	s_wait_loadcnt_dscnt 0x401
	v_mul_f64_e32 v[120:121], v[8:9], v[92:93]
	v_mul_f64_e32 v[92:93], v[10:11], v[92:93]
	v_add_f64_e32 v[4:5], v[4:5], v[12:13]
	v_add_f64_e32 v[12:13], v[114:115], v[124:125]
	s_wait_loadcnt_dscnt 0x300
	v_mul_f64_e32 v[114:115], v[110:111], v[96:97]
	v_mul_f64_e32 v[96:97], v[112:113], v[96:97]
	v_fmac_f64_e32 v[120:121], v[10:11], v[90:91]
	v_fma_f64 v[90:91], v[8:9], v[90:91], -v[92:93]
	v_add_f64_e32 v[4:5], v[4:5], v[86:87]
	v_add_f64_e32 v[12:13], v[12:13], v[116:117]
	ds_load_b128 v[8:11], v2 offset:1104
	ds_load_b128 v[86:89], v2 offset:1120
	v_fmac_f64_e32 v[114:115], v[112:113], v[94:95]
	v_fma_f64 v[94:95], v[110:111], v[94:95], -v[96:97]
	s_wait_loadcnt_dscnt 0x201
	v_mul_f64_e32 v[92:93], v[8:9], v[100:101]
	v_mul_f64_e32 v[100:101], v[10:11], v[100:101]
	s_wait_loadcnt_dscnt 0x100
	v_mul_f64_e32 v[96:97], v[88:89], v[104:105]
	v_add_f64_e32 v[4:5], v[4:5], v[90:91]
	v_add_f64_e32 v[12:13], v[12:13], v[120:121]
	v_mul_f64_e32 v[90:91], v[86:87], v[104:105]
	v_fmac_f64_e32 v[92:93], v[10:11], v[98:99]
	v_fma_f64 v[98:99], v[8:9], v[98:99], -v[100:101]
	ds_load_b128 v[8:11], v2 offset:1136
	v_fma_f64 v[86:87], v[86:87], v[102:103], -v[96:97]
	v_add_f64_e32 v[4:5], v[4:5], v[94:95]
	v_add_f64_e32 v[12:13], v[12:13], v[114:115]
	v_fmac_f64_e32 v[90:91], v[88:89], v[102:103]
	s_wait_loadcnt_dscnt 0x0
	v_mul_f64_e32 v[94:95], v[8:9], v[108:109]
	v_mul_f64_e32 v[100:101], v[10:11], v[108:109]
	v_add_f64_e32 v[4:5], v[4:5], v[98:99]
	v_add_f64_e32 v[12:13], v[12:13], v[92:93]
	s_delay_alu instid0(VALU_DEP_4) | instskip(NEXT) | instid1(VALU_DEP_4)
	v_fmac_f64_e32 v[94:95], v[10:11], v[106:107]
	v_fma_f64 v[8:9], v[8:9], v[106:107], -v[100:101]
	s_delay_alu instid0(VALU_DEP_4) | instskip(NEXT) | instid1(VALU_DEP_4)
	v_add_f64_e32 v[4:5], v[4:5], v[86:87]
	v_add_f64_e32 v[10:11], v[12:13], v[90:91]
	s_delay_alu instid0(VALU_DEP_2) | instskip(NEXT) | instid1(VALU_DEP_2)
	v_add_f64_e32 v[4:5], v[4:5], v[8:9]
	v_add_f64_e32 v[10:11], v[10:11], v[94:95]
	s_delay_alu instid0(VALU_DEP_2) | instskip(NEXT) | instid1(VALU_DEP_2)
	v_add_f64_e64 v[8:9], v[130:131], -v[4:5]
	v_add_f64_e64 v[10:11], v[132:133], -v[10:11]
	scratch_store_b128 off, v[8:11], off offset:64
	s_wait_xcnt 0x0
	v_cmpx_lt_u32_e32 3, v1
	s_cbranch_execz .LBB99_223
; %bb.222:
	scratch_load_b128 v[8:11], off, s14
	v_dual_mov_b32 v3, v2 :: v_dual_mov_b32 v4, v2
	v_mov_b32_e32 v5, v2
	scratch_store_b128 off, v[2:5], off offset:48
	s_wait_loadcnt 0x0
	ds_store_b128 v6, v[8:11]
.LBB99_223:
	s_wait_xcnt 0x0
	s_or_b32 exec_lo, exec_lo, s2
	s_wait_storecnt_dscnt 0x0
	s_barrier_signal -1
	s_barrier_wait -1
	s_clause 0x9
	scratch_load_b128 v[8:11], off, off offset:64
	scratch_load_b128 v[86:89], off, off offset:80
	;; [unrolled: 1-line block ×10, first 2 shown]
	ds_load_b128 v[122:125], v2 offset:640
	ds_load_b128 v[130:133], v2 offset:656
	s_clause 0x1
	scratch_load_b128 v[126:129], off, off offset:224
	scratch_load_b128 v[134:137], off, off offset:48
	s_mov_b32 s2, exec_lo
	s_wait_loadcnt_dscnt 0xb01
	v_mul_f64_e32 v[4:5], v[124:125], v[10:11]
	v_mul_f64_e32 v[146:147], v[122:123], v[10:11]
	scratch_load_b128 v[10:13], off, off offset:240
	s_wait_loadcnt_dscnt 0xb00
	v_mul_f64_e32 v[148:149], v[130:131], v[88:89]
	v_mul_f64_e32 v[88:89], v[132:133], v[88:89]
	v_fma_f64 v[4:5], v[122:123], v[8:9], -v[4:5]
	v_fmac_f64_e32 v[146:147], v[124:125], v[8:9]
	ds_load_b128 v[122:125], v2 offset:672
	ds_load_b128 v[138:141], v2 offset:688
	scratch_load_b128 v[142:145], off, off offset:256
	v_fmac_f64_e32 v[148:149], v[132:133], v[86:87]
	v_fma_f64 v[130:131], v[130:131], v[86:87], -v[88:89]
	scratch_load_b128 v[86:89], off, off offset:272
	s_wait_loadcnt_dscnt 0xc01
	v_mul_f64_e32 v[8:9], v[122:123], v[92:93]
	v_mul_f64_e32 v[92:93], v[124:125], v[92:93]
	v_add_f64_e32 v[4:5], 0, v[4:5]
	v_add_f64_e32 v[132:133], 0, v[146:147]
	s_wait_loadcnt_dscnt 0xb00
	v_mul_f64_e32 v[146:147], v[138:139], v[96:97]
	v_mul_f64_e32 v[96:97], v[140:141], v[96:97]
	v_fmac_f64_e32 v[8:9], v[124:125], v[90:91]
	v_fma_f64 v[150:151], v[122:123], v[90:91], -v[92:93]
	ds_load_b128 v[90:93], v2 offset:704
	ds_load_b128 v[122:125], v2 offset:720
	v_add_f64_e32 v[4:5], v[4:5], v[130:131]
	v_add_f64_e32 v[148:149], v[132:133], v[148:149]
	scratch_load_b128 v[130:133], off, off offset:288
	v_fmac_f64_e32 v[146:147], v[140:141], v[94:95]
	v_fma_f64 v[138:139], v[138:139], v[94:95], -v[96:97]
	scratch_load_b128 v[94:97], off, off offset:304
	s_wait_loadcnt_dscnt 0xc01
	v_mul_f64_e32 v[152:153], v[90:91], v[100:101]
	v_mul_f64_e32 v[100:101], v[92:93], v[100:101]
	v_add_f64_e32 v[4:5], v[4:5], v[150:151]
	v_add_f64_e32 v[8:9], v[148:149], v[8:9]
	s_wait_loadcnt_dscnt 0xb00
	v_mul_f64_e32 v[148:149], v[122:123], v[104:105]
	v_mul_f64_e32 v[104:105], v[124:125], v[104:105]
	v_fmac_f64_e32 v[152:153], v[92:93], v[98:99]
	v_fma_f64 v[150:151], v[90:91], v[98:99], -v[100:101]
	ds_load_b128 v[90:93], v2 offset:736
	ds_load_b128 v[98:101], v2 offset:752
	v_add_f64_e32 v[4:5], v[4:5], v[138:139]
	v_add_f64_e32 v[8:9], v[8:9], v[146:147]
	scratch_load_b128 v[138:141], off, off offset:320
	s_wait_loadcnt_dscnt 0xb01
	v_mul_f64_e32 v[146:147], v[90:91], v[108:109]
	v_mul_f64_e32 v[108:109], v[92:93], v[108:109]
	v_fmac_f64_e32 v[148:149], v[124:125], v[102:103]
	v_fma_f64 v[122:123], v[122:123], v[102:103], -v[104:105]
	scratch_load_b128 v[102:105], off, off offset:336
	v_add_f64_e32 v[4:5], v[4:5], v[150:151]
	v_add_f64_e32 v[8:9], v[8:9], v[152:153]
	s_wait_loadcnt_dscnt 0xb00
	v_mul_f64_e32 v[150:151], v[98:99], v[112:113]
	v_mul_f64_e32 v[112:113], v[100:101], v[112:113]
	v_fmac_f64_e32 v[146:147], v[92:93], v[106:107]
	v_fma_f64 v[152:153], v[90:91], v[106:107], -v[108:109]
	ds_load_b128 v[90:93], v2 offset:768
	ds_load_b128 v[106:109], v2 offset:784
	v_add_f64_e32 v[4:5], v[4:5], v[122:123]
	v_add_f64_e32 v[8:9], v[8:9], v[148:149]
	scratch_load_b128 v[122:125], off, off offset:352
	s_wait_loadcnt_dscnt 0xb01
	v_mul_f64_e32 v[148:149], v[90:91], v[116:117]
	v_mul_f64_e32 v[116:117], v[92:93], v[116:117]
	v_fmac_f64_e32 v[150:151], v[100:101], v[110:111]
	v_fma_f64 v[110:111], v[98:99], v[110:111], -v[112:113]
	scratch_load_b128 v[98:101], off, off offset:368
	v_add_f64_e32 v[4:5], v[4:5], v[152:153]
	v_add_f64_e32 v[8:9], v[8:9], v[146:147]
	s_wait_loadcnt_dscnt 0xb00
	v_mul_f64_e32 v[146:147], v[106:107], v[120:121]
	v_mul_f64_e32 v[120:121], v[108:109], v[120:121]
	v_fmac_f64_e32 v[148:149], v[92:93], v[114:115]
	v_fma_f64 v[152:153], v[90:91], v[114:115], -v[116:117]
	v_add_f64_e32 v[4:5], v[4:5], v[110:111]
	v_add_f64_e32 v[8:9], v[8:9], v[150:151]
	ds_load_b128 v[90:93], v2 offset:800
	ds_load_b128 v[110:113], v2 offset:816
	scratch_load_b128 v[114:117], off, off offset:384
	v_fmac_f64_e32 v[146:147], v[108:109], v[118:119]
	v_fma_f64 v[118:119], v[106:107], v[118:119], -v[120:121]
	scratch_load_b128 v[106:109], off, off offset:400
	s_wait_loadcnt_dscnt 0xc01
	v_mul_f64_e32 v[150:151], v[90:91], v[128:129]
	v_mul_f64_e32 v[128:129], v[92:93], v[128:129]
	v_add_f64_e32 v[4:5], v[4:5], v[152:153]
	v_add_f64_e32 v[8:9], v[8:9], v[148:149]
	s_wait_loadcnt_dscnt 0xa00
	v_mul_f64_e32 v[148:149], v[110:111], v[12:13]
	v_mul_f64_e32 v[12:13], v[112:113], v[12:13]
	v_fmac_f64_e32 v[150:151], v[92:93], v[126:127]
	v_fma_f64 v[152:153], v[90:91], v[126:127], -v[128:129]
	v_add_f64_e32 v[4:5], v[4:5], v[118:119]
	v_add_f64_e32 v[8:9], v[8:9], v[146:147]
	ds_load_b128 v[90:93], v2 offset:832
	ds_load_b128 v[118:121], v2 offset:848
	scratch_load_b128 v[126:129], off, off offset:416
	v_fmac_f64_e32 v[148:149], v[112:113], v[10:11]
	v_fma_f64 v[12:13], v[110:111], v[10:11], -v[12:13]
	s_wait_loadcnt_dscnt 0xa01
	v_mul_f64_e32 v[146:147], v[90:91], v[144:145]
	v_mul_f64_e32 v[144:145], v[92:93], v[144:145]
	v_add_f64_e32 v[4:5], v[4:5], v[152:153]
	v_add_f64_e32 v[110:111], v[8:9], v[150:151]
	scratch_load_b128 v[8:11], off, off offset:432
	s_wait_loadcnt_dscnt 0xa00
	v_mul_f64_e32 v[150:151], v[118:119], v[88:89]
	v_mul_f64_e32 v[152:153], v[120:121], v[88:89]
	v_fmac_f64_e32 v[146:147], v[92:93], v[142:143]
	v_fma_f64 v[92:93], v[90:91], v[142:143], -v[144:145]
	v_add_f64_e32 v[4:5], v[4:5], v[12:13]
	v_add_f64_e32 v[12:13], v[110:111], v[148:149]
	ds_load_b128 v[88:91], v2 offset:864
	ds_load_b128 v[110:113], v2 offset:880
	scratch_load_b128 v[142:145], off, off offset:448
	v_fmac_f64_e32 v[150:151], v[120:121], v[86:87]
	v_fma_f64 v[86:87], v[118:119], v[86:87], -v[152:153]
	scratch_load_b128 v[118:121], off, off offset:464
	s_wait_loadcnt_dscnt 0xb01
	v_mul_f64_e32 v[148:149], v[88:89], v[132:133]
	v_mul_f64_e32 v[132:133], v[90:91], v[132:133]
	v_add_f64_e32 v[4:5], v[4:5], v[92:93]
	v_add_f64_e32 v[12:13], v[12:13], v[146:147]
	s_wait_loadcnt_dscnt 0xa00
	v_mul_f64_e32 v[146:147], v[110:111], v[96:97]
	v_mul_f64_e32 v[96:97], v[112:113], v[96:97]
	v_fmac_f64_e32 v[148:149], v[90:91], v[130:131]
	v_fma_f64 v[152:153], v[88:89], v[130:131], -v[132:133]
	v_add_f64_e32 v[4:5], v[4:5], v[86:87]
	v_add_f64_e32 v[12:13], v[12:13], v[150:151]
	ds_load_b128 v[86:89], v2 offset:896
	ds_load_b128 v[90:93], v2 offset:912
	scratch_load_b128 v[130:133], off, off offset:480
	v_fmac_f64_e32 v[146:147], v[112:113], v[94:95]
	v_fma_f64 v[110:111], v[110:111], v[94:95], -v[96:97]
	scratch_load_b128 v[94:97], off, off offset:496
	s_wait_loadcnt_dscnt 0xb01
	v_mul_f64_e32 v[150:151], v[86:87], v[140:141]
	v_mul_f64_e32 v[140:141], v[88:89], v[140:141]
	v_add_f64_e32 v[4:5], v[4:5], v[152:153]
	v_add_f64_e32 v[12:13], v[12:13], v[148:149]
	s_wait_loadcnt_dscnt 0xa00
	v_mul_f64_e32 v[148:149], v[90:91], v[104:105]
	v_mul_f64_e32 v[104:105], v[92:93], v[104:105]
	v_fmac_f64_e32 v[150:151], v[88:89], v[138:139]
	v_fma_f64 v[152:153], v[86:87], v[138:139], -v[140:141]
	v_add_f64_e32 v[4:5], v[4:5], v[110:111]
	v_add_f64_e32 v[12:13], v[12:13], v[146:147]
	ds_load_b128 v[86:89], v2 offset:928
	ds_load_b128 v[110:113], v2 offset:944
	scratch_load_b128 v[138:141], off, off offset:512
	v_fmac_f64_e32 v[148:149], v[92:93], v[102:103]
	v_fma_f64 v[102:103], v[90:91], v[102:103], -v[104:105]
	scratch_load_b128 v[90:93], off, off offset:528
	s_wait_loadcnt_dscnt 0xb01
	v_mul_f64_e32 v[146:147], v[86:87], v[124:125]
	v_mul_f64_e32 v[124:125], v[88:89], v[124:125]
	s_wait_loadcnt_dscnt 0xa00
	v_mul_f64_e32 v[104:105], v[110:111], v[100:101]
	v_add_f64_e32 v[4:5], v[4:5], v[152:153]
	v_add_f64_e32 v[12:13], v[12:13], v[150:151]
	v_mul_f64_e32 v[150:151], v[112:113], v[100:101]
	v_fmac_f64_e32 v[146:147], v[88:89], v[122:123]
	v_fma_f64 v[152:153], v[86:87], v[122:123], -v[124:125]
	v_fmac_f64_e32 v[104:105], v[112:113], v[98:99]
	v_add_f64_e32 v[4:5], v[4:5], v[102:103]
	v_add_f64_e32 v[12:13], v[12:13], v[148:149]
	ds_load_b128 v[86:89], v2 offset:960
	ds_load_b128 v[100:103], v2 offset:976
	scratch_load_b128 v[122:125], off, off offset:544
	v_fma_f64 v[98:99], v[110:111], v[98:99], -v[150:151]
	scratch_load_b128 v[110:113], off, off offset:560
	s_wait_loadcnt_dscnt 0xb01
	v_mul_f64_e32 v[148:149], v[86:87], v[116:117]
	v_mul_f64_e32 v[116:117], v[88:89], v[116:117]
	v_add_f64_e32 v[4:5], v[4:5], v[152:153]
	v_add_f64_e32 v[12:13], v[12:13], v[146:147]
	s_wait_loadcnt_dscnt 0xa00
	v_mul_f64_e32 v[146:147], v[100:101], v[108:109]
	v_mul_f64_e32 v[108:109], v[102:103], v[108:109]
	v_fmac_f64_e32 v[148:149], v[88:89], v[114:115]
	v_fma_f64 v[150:151], v[86:87], v[114:115], -v[116:117]
	ds_load_b128 v[86:89], v2 offset:992
	ds_load_b128 v[114:117], v2 offset:1008
	v_add_f64_e32 v[4:5], v[4:5], v[98:99]
	v_add_f64_e32 v[12:13], v[12:13], v[104:105]
	v_fmac_f64_e32 v[146:147], v[102:103], v[106:107]
	v_fma_f64 v[100:101], v[100:101], v[106:107], -v[108:109]
	s_wait_loadcnt_dscnt 0x901
	v_mul_f64_e32 v[98:99], v[86:87], v[128:129]
	v_mul_f64_e32 v[104:105], v[88:89], v[128:129]
	v_add_f64_e32 v[4:5], v[4:5], v[150:151]
	v_add_f64_e32 v[12:13], v[12:13], v[148:149]
	s_wait_loadcnt_dscnt 0x800
	v_mul_f64_e32 v[102:103], v[114:115], v[10:11]
	v_mul_f64_e32 v[106:107], v[116:117], v[10:11]
	v_fmac_f64_e32 v[98:99], v[88:89], v[126:127]
	v_fma_f64 v[104:105], v[86:87], v[126:127], -v[104:105]
	v_add_f64_e32 v[4:5], v[4:5], v[100:101]
	v_add_f64_e32 v[100:101], v[12:13], v[146:147]
	ds_load_b128 v[10:13], v2 offset:1024
	ds_load_b128 v[86:89], v2 offset:1040
	v_fmac_f64_e32 v[102:103], v[116:117], v[8:9]
	v_fma_f64 v[8:9], v[114:115], v[8:9], -v[106:107]
	s_wait_loadcnt_dscnt 0x701
	v_mul_f64_e32 v[108:109], v[10:11], v[144:145]
	v_mul_f64_e32 v[126:127], v[12:13], v[144:145]
	s_wait_loadcnt_dscnt 0x600
	v_mul_f64_e32 v[106:107], v[88:89], v[120:121]
	v_add_f64_e32 v[4:5], v[4:5], v[104:105]
	v_add_f64_e32 v[98:99], v[100:101], v[98:99]
	v_mul_f64_e32 v[104:105], v[86:87], v[120:121]
	v_fmac_f64_e32 v[108:109], v[12:13], v[142:143]
	v_fma_f64 v[12:13], v[10:11], v[142:143], -v[126:127]
	v_fma_f64 v[86:87], v[86:87], v[118:119], -v[106:107]
	v_add_f64_e32 v[4:5], v[4:5], v[8:9]
	v_add_f64_e32 v[102:103], v[98:99], v[102:103]
	ds_load_b128 v[8:11], v2 offset:1056
	ds_load_b128 v[98:101], v2 offset:1072
	v_fmac_f64_e32 v[104:105], v[88:89], v[118:119]
	s_wait_loadcnt_dscnt 0x501
	v_mul_f64_e32 v[114:115], v[8:9], v[132:133]
	v_mul_f64_e32 v[116:117], v[10:11], v[132:133]
	v_add_f64_e32 v[4:5], v[4:5], v[12:13]
	v_add_f64_e32 v[12:13], v[102:103], v[108:109]
	s_wait_loadcnt_dscnt 0x400
	v_mul_f64_e32 v[102:103], v[98:99], v[96:97]
	v_mul_f64_e32 v[96:97], v[100:101], v[96:97]
	v_fmac_f64_e32 v[114:115], v[10:11], v[130:131]
	v_fma_f64 v[106:107], v[8:9], v[130:131], -v[116:117]
	v_add_f64_e32 v[4:5], v[4:5], v[86:87]
	v_add_f64_e32 v[12:13], v[12:13], v[104:105]
	ds_load_b128 v[8:11], v2 offset:1088
	ds_load_b128 v[86:89], v2 offset:1104
	v_fmac_f64_e32 v[102:103], v[100:101], v[94:95]
	v_fma_f64 v[94:95], v[98:99], v[94:95], -v[96:97]
	s_wait_loadcnt_dscnt 0x301
	v_mul_f64_e32 v[104:105], v[8:9], v[140:141]
	v_mul_f64_e32 v[108:109], v[10:11], v[140:141]
	s_wait_loadcnt_dscnt 0x200
	v_mul_f64_e32 v[96:97], v[86:87], v[92:93]
	v_mul_f64_e32 v[92:93], v[88:89], v[92:93]
	v_add_f64_e32 v[4:5], v[4:5], v[106:107]
	v_add_f64_e32 v[12:13], v[12:13], v[114:115]
	v_fmac_f64_e32 v[104:105], v[10:11], v[138:139]
	v_fma_f64 v[98:99], v[8:9], v[138:139], -v[108:109]
	v_fmac_f64_e32 v[96:97], v[88:89], v[90:91]
	v_fma_f64 v[86:87], v[86:87], v[90:91], -v[92:93]
	v_add_f64_e32 v[94:95], v[4:5], v[94:95]
	v_add_f64_e32 v[12:13], v[12:13], v[102:103]
	ds_load_b128 v[8:11], v2 offset:1120
	ds_load_b128 v[2:5], v2 offset:1136
	s_wait_loadcnt_dscnt 0x101
	v_mul_f64_e32 v[100:101], v[8:9], v[124:125]
	v_mul_f64_e32 v[102:103], v[10:11], v[124:125]
	s_wait_loadcnt_dscnt 0x0
	v_mul_f64_e32 v[90:91], v[2:3], v[112:113]
	v_mul_f64_e32 v[92:93], v[4:5], v[112:113]
	v_add_f64_e32 v[88:89], v[94:95], v[98:99]
	v_add_f64_e32 v[12:13], v[12:13], v[104:105]
	v_fmac_f64_e32 v[100:101], v[10:11], v[122:123]
	v_fma_f64 v[8:9], v[8:9], v[122:123], -v[102:103]
	v_fmac_f64_e32 v[90:91], v[4:5], v[110:111]
	v_fma_f64 v[2:3], v[2:3], v[110:111], -v[92:93]
	v_add_f64_e32 v[10:11], v[88:89], v[86:87]
	v_add_f64_e32 v[12:13], v[12:13], v[96:97]
	s_delay_alu instid0(VALU_DEP_2) | instskip(NEXT) | instid1(VALU_DEP_2)
	v_add_f64_e32 v[4:5], v[10:11], v[8:9]
	v_add_f64_e32 v[8:9], v[12:13], v[100:101]
	s_delay_alu instid0(VALU_DEP_2) | instskip(NEXT) | instid1(VALU_DEP_2)
	;; [unrolled: 3-line block ×3, first 2 shown]
	v_add_f64_e64 v[2:3], v[134:135], -v[2:3]
	v_add_f64_e64 v[4:5], v[136:137], -v[4:5]
	scratch_store_b128 off, v[2:5], off offset:48
	s_wait_xcnt 0x0
	v_cmpx_lt_u32_e32 2, v1
	s_cbranch_execz .LBB99_225
; %bb.224:
	scratch_load_b128 v[2:5], off, s16
	v_mov_b32_e32 v8, 0
	s_delay_alu instid0(VALU_DEP_1)
	v_dual_mov_b32 v9, v8 :: v_dual_mov_b32 v10, v8
	v_mov_b32_e32 v11, v8
	scratch_store_b128 off, v[8:11], off offset:32
	s_wait_loadcnt 0x0
	ds_store_b128 v6, v[2:5]
.LBB99_225:
	s_wait_xcnt 0x0
	s_or_b32 exec_lo, exec_lo, s2
	s_wait_storecnt_dscnt 0x0
	s_barrier_signal -1
	s_barrier_wait -1
	s_clause 0x9
	scratch_load_b128 v[8:11], off, off offset:48
	scratch_load_b128 v[86:89], off, off offset:64
	;; [unrolled: 1-line block ×10, first 2 shown]
	v_mov_b32_e32 v2, 0
	s_mov_b32 s2, exec_lo
	v_dual_ashrrev_i32 v21, 31, v20 :: v_dual_ashrrev_i32 v19, 31, v18
	v_ashrrev_i32_e32 v23, 31, v22
	ds_load_b128 v[122:125], v2 offset:624
	s_clause 0x2
	scratch_load_b128 v[126:129], off, off offset:208
	scratch_load_b128 v[130:133], off, off offset:32
	;; [unrolled: 1-line block ×3, first 2 shown]
	v_ashrrev_i32_e32 v27, 31, v26
	v_ashrrev_i32_e32 v31, 31, v30
	v_dual_ashrrev_i32 v35, 31, v34 :: v_dual_ashrrev_i32 v25, 31, v24
	v_dual_ashrrev_i32 v29, 31, v28 :: v_dual_ashrrev_i32 v39, 31, v38
	v_dual_ashrrev_i32 v33, 31, v32 :: v_dual_ashrrev_i32 v43, 31, v42
	v_dual_ashrrev_i32 v47, 31, v46 :: v_dual_ashrrev_i32 v37, 31, v36
	v_ashrrev_i32_e32 v51, 31, v50
	v_ashrrev_i32_e32 v55, 31, v54
	v_dual_ashrrev_i32 v59, 31, v58 :: v_dual_ashrrev_i32 v41, 31, v40
	v_dual_ashrrev_i32 v45, 31, v44 :: v_dual_ashrrev_i32 v63, 31, v62
	v_dual_ashrrev_i32 v49, 31, v48 :: v_dual_ashrrev_i32 v67, 31, v66
	v_dual_ashrrev_i32 v71, 31, v70 :: v_dual_ashrrev_i32 v53, 31, v52
	v_dual_ashrrev_i32 v57, 31, v56 :: v_dual_ashrrev_i32 v75, 31, v74
	v_dual_ashrrev_i32 v79, 31, v78 :: v_dual_ashrrev_i32 v61, 31, v60
	v_dual_ashrrev_i32 v65, 31, v64 :: v_dual_ashrrev_i32 v83, 31, v82
	v_ashrrev_i32_e32 v69, 31, v68
	v_ashrrev_i32_e32 v73, 31, v72
	;; [unrolled: 1-line block ×4, first 2 shown]
	s_wait_loadcnt_dscnt 0xc00
	v_dual_mul_f64 v[4:5], v[124:125], v[10:11] :: v_dual_ashrrev_i32 v85, 31, v84
	v_mul_f64_e32 v[146:147], v[122:123], v[10:11]
	ds_load_b128 v[134:137], v2 offset:640
	scratch_load_b128 v[10:13], off, off offset:224
	ds_load_b128 v[142:145], v2 offset:672
	v_fma_f64 v[4:5], v[122:123], v[8:9], -v[4:5]
	v_fmac_f64_e32 v[146:147], v[124:125], v[8:9]
	ds_load_b128 v[122:125], v2 offset:656
	s_wait_loadcnt_dscnt 0xc02
	v_mul_f64_e32 v[148:149], v[134:135], v[88:89]
	v_mul_f64_e32 v[88:89], v[136:137], v[88:89]
	s_wait_loadcnt_dscnt 0xb00
	v_mul_f64_e32 v[8:9], v[122:123], v[92:93]
	v_mul_f64_e32 v[92:93], v[124:125], v[92:93]
	v_add_f64_e32 v[4:5], 0, v[4:5]
	v_fmac_f64_e32 v[148:149], v[136:137], v[86:87]
	v_fma_f64 v[134:135], v[134:135], v[86:87], -v[88:89]
	v_add_f64_e32 v[136:137], 0, v[146:147]
	scratch_load_b128 v[86:89], off, off offset:256
	v_fmac_f64_e32 v[8:9], v[124:125], v[90:91]
	v_fma_f64 v[150:151], v[122:123], v[90:91], -v[92:93]
	ds_load_b128 v[90:93], v2 offset:688
	s_wait_loadcnt 0xb
	v_mul_f64_e32 v[146:147], v[142:143], v[96:97]
	v_mul_f64_e32 v[96:97], v[144:145], v[96:97]
	scratch_load_b128 v[122:125], off, off offset:272
	v_add_f64_e32 v[4:5], v[4:5], v[134:135]
	v_add_f64_e32 v[148:149], v[136:137], v[148:149]
	ds_load_b128 v[134:137], v2 offset:704
	s_wait_loadcnt_dscnt 0xb01
	v_mul_f64_e32 v[152:153], v[90:91], v[100:101]
	v_mul_f64_e32 v[100:101], v[92:93], v[100:101]
	v_fmac_f64_e32 v[146:147], v[144:145], v[94:95]
	v_fma_f64 v[142:143], v[142:143], v[94:95], -v[96:97]
	scratch_load_b128 v[94:97], off, off offset:288
	v_add_f64_e32 v[4:5], v[4:5], v[150:151]
	v_add_f64_e32 v[8:9], v[148:149], v[8:9]
	v_fmac_f64_e32 v[152:153], v[92:93], v[98:99]
	v_fma_f64 v[150:151], v[90:91], v[98:99], -v[100:101]
	ds_load_b128 v[90:93], v2 offset:720
	s_wait_loadcnt_dscnt 0xb01
	v_mul_f64_e32 v[148:149], v[134:135], v[104:105]
	v_mul_f64_e32 v[104:105], v[136:137], v[104:105]
	scratch_load_b128 v[98:101], off, off offset:304
	v_add_f64_e32 v[4:5], v[4:5], v[142:143]
	v_add_f64_e32 v[8:9], v[8:9], v[146:147]
	s_wait_loadcnt_dscnt 0xb00
	v_mul_f64_e32 v[146:147], v[90:91], v[108:109]
	v_mul_f64_e32 v[108:109], v[92:93], v[108:109]
	ds_load_b128 v[142:145], v2 offset:736
	v_fmac_f64_e32 v[148:149], v[136:137], v[102:103]
	v_fma_f64 v[134:135], v[134:135], v[102:103], -v[104:105]
	scratch_load_b128 v[102:105], off, off offset:320
	v_add_f64_e32 v[4:5], v[4:5], v[150:151]
	v_add_f64_e32 v[8:9], v[8:9], v[152:153]
	v_fmac_f64_e32 v[146:147], v[92:93], v[106:107]
	v_fma_f64 v[152:153], v[90:91], v[106:107], -v[108:109]
	ds_load_b128 v[90:93], v2 offset:752
	s_wait_loadcnt_dscnt 0xb01
	v_mul_f64_e32 v[150:151], v[142:143], v[112:113]
	v_mul_f64_e32 v[112:113], v[144:145], v[112:113]
	scratch_load_b128 v[106:109], off, off offset:336
	v_add_f64_e32 v[4:5], v[4:5], v[134:135]
	v_add_f64_e32 v[8:9], v[8:9], v[148:149]
	s_wait_loadcnt_dscnt 0xb00
	v_mul_f64_e32 v[148:149], v[90:91], v[116:117]
	v_mul_f64_e32 v[116:117], v[92:93], v[116:117]
	ds_load_b128 v[134:137], v2 offset:768
	v_fmac_f64_e32 v[150:151], v[144:145], v[110:111]
	v_fma_f64 v[142:143], v[142:143], v[110:111], -v[112:113]
	scratch_load_b128 v[110:113], off, off offset:352
	v_add_f64_e32 v[4:5], v[4:5], v[152:153]
	v_add_f64_e32 v[8:9], v[8:9], v[146:147]
	v_fmac_f64_e32 v[148:149], v[92:93], v[114:115]
	v_fma_f64 v[152:153], v[90:91], v[114:115], -v[116:117]
	ds_load_b128 v[90:93], v2 offset:784
	s_wait_loadcnt_dscnt 0xb01
	v_mul_f64_e32 v[146:147], v[134:135], v[120:121]
	v_mul_f64_e32 v[120:121], v[136:137], v[120:121]
	scratch_load_b128 v[114:117], off, off offset:368
	v_add_f64_e32 v[4:5], v[4:5], v[142:143]
	v_add_f64_e32 v[8:9], v[8:9], v[150:151]
	s_wait_loadcnt_dscnt 0xb00
	v_mul_f64_e32 v[150:151], v[90:91], v[128:129]
	v_mul_f64_e32 v[128:129], v[92:93], v[128:129]
	ds_load_b128 v[142:145], v2 offset:800
	v_fmac_f64_e32 v[146:147], v[136:137], v[118:119]
	v_fma_f64 v[134:135], v[134:135], v[118:119], -v[120:121]
	scratch_load_b128 v[118:121], off, off offset:384
	v_add_f64_e32 v[4:5], v[4:5], v[152:153]
	v_add_f64_e32 v[8:9], v[8:9], v[148:149]
	v_fmac_f64_e32 v[150:151], v[92:93], v[126:127]
	v_fma_f64 v[152:153], v[90:91], v[126:127], -v[128:129]
	ds_load_b128 v[90:93], v2 offset:816
	s_wait_loadcnt_dscnt 0x901
	v_mul_f64_e32 v[148:149], v[142:143], v[12:13]
	v_mul_f64_e32 v[12:13], v[144:145], v[12:13]
	scratch_load_b128 v[126:129], off, off offset:400
	v_add_f64_e32 v[4:5], v[4:5], v[134:135]
	v_add_f64_e32 v[8:9], v[8:9], v[146:147]
	s_wait_dscnt 0x0
	v_mul_f64_e32 v[146:147], v[90:91], v[140:141]
	v_mul_f64_e32 v[140:141], v[92:93], v[140:141]
	ds_load_b128 v[134:137], v2 offset:832
	v_fmac_f64_e32 v[148:149], v[144:145], v[10:11]
	v_fma_f64 v[12:13], v[142:143], v[10:11], -v[12:13]
	v_add_f64_e32 v[4:5], v[4:5], v[152:153]
	v_add_f64_e32 v[142:143], v[8:9], v[150:151]
	scratch_load_b128 v[8:11], off, off offset:416
	v_fmac_f64_e32 v[146:147], v[92:93], v[138:139]
	v_fma_f64 v[92:93], v[90:91], v[138:139], -v[140:141]
	scratch_load_b128 v[138:141], off, off offset:432
	v_add_f64_e32 v[4:5], v[4:5], v[12:13]
	v_add_f64_e32 v[12:13], v[142:143], v[148:149]
	ds_load_b128 v[142:145], v2 offset:864
	s_wait_loadcnt_dscnt 0xb01
	v_mul_f64_e32 v[150:151], v[134:135], v[88:89]
	v_mul_f64_e32 v[152:153], v[136:137], v[88:89]
	ds_load_b128 v[88:91], v2 offset:848
	s_wait_loadcnt_dscnt 0xa00
	v_mul_f64_e32 v[148:149], v[88:89], v[124:125]
	v_mul_f64_e32 v[124:125], v[90:91], v[124:125]
	v_add_f64_e32 v[4:5], v[4:5], v[92:93]
	v_add_f64_e32 v[12:13], v[12:13], v[146:147]
	s_wait_loadcnt 0x9
	v_mul_f64_e32 v[146:147], v[142:143], v[96:97]
	v_fmac_f64_e32 v[150:151], v[136:137], v[86:87]
	v_fma_f64 v[86:87], v[134:135], v[86:87], -v[152:153]
	scratch_load_b128 v[134:137], off, off offset:448
	v_mul_f64_e32 v[96:97], v[144:145], v[96:97]
	v_fmac_f64_e32 v[148:149], v[90:91], v[122:123]
	v_fma_f64 v[152:153], v[88:89], v[122:123], -v[124:125]
	scratch_load_b128 v[90:93], off, off offset:464
	ds_load_b128 v[122:125], v2 offset:896
	v_fmac_f64_e32 v[146:147], v[144:145], v[94:95]
	v_add_f64_e32 v[12:13], v[12:13], v[150:151]
	v_add_f64_e32 v[4:5], v[4:5], v[86:87]
	ds_load_b128 v[86:89], v2 offset:880
	v_fma_f64 v[142:143], v[142:143], v[94:95], -v[96:97]
	scratch_load_b128 v[94:97], off, off offset:480
	s_wait_loadcnt_dscnt 0xb00
	v_mul_f64_e32 v[150:151], v[86:87], v[100:101]
	v_mul_f64_e32 v[100:101], v[88:89], v[100:101]
	v_add_f64_e32 v[12:13], v[12:13], v[148:149]
	v_add_f64_e32 v[4:5], v[4:5], v[152:153]
	s_wait_loadcnt 0xa
	v_mul_f64_e32 v[148:149], v[122:123], v[104:105]
	v_mul_f64_e32 v[104:105], v[124:125], v[104:105]
	v_fmac_f64_e32 v[150:151], v[88:89], v[98:99]
	v_fma_f64 v[152:153], v[86:87], v[98:99], -v[100:101]
	ds_load_b128 v[86:89], v2 offset:912
	scratch_load_b128 v[98:101], off, off offset:496
	v_add_f64_e32 v[12:13], v[12:13], v[146:147]
	v_add_f64_e32 v[4:5], v[4:5], v[142:143]
	ds_load_b128 v[142:145], v2 offset:928
	v_fmac_f64_e32 v[148:149], v[124:125], v[102:103]
	v_fma_f64 v[122:123], v[122:123], v[102:103], -v[104:105]
	scratch_load_b128 v[102:105], off, off offset:512
	s_wait_loadcnt_dscnt 0xb01
	v_mul_f64_e32 v[146:147], v[86:87], v[108:109]
	v_mul_f64_e32 v[108:109], v[88:89], v[108:109]
	v_add_f64_e32 v[12:13], v[12:13], v[150:151]
	v_add_f64_e32 v[4:5], v[4:5], v[152:153]
	s_wait_loadcnt_dscnt 0xa00
	v_mul_f64_e32 v[150:151], v[142:143], v[112:113]
	v_mul_f64_e32 v[112:113], v[144:145], v[112:113]
	v_fmac_f64_e32 v[146:147], v[88:89], v[106:107]
	v_fma_f64 v[152:153], v[86:87], v[106:107], -v[108:109]
	ds_load_b128 v[86:89], v2 offset:944
	scratch_load_b128 v[106:109], off, off offset:528
	v_add_f64_e32 v[12:13], v[12:13], v[148:149]
	v_add_f64_e32 v[4:5], v[4:5], v[122:123]
	ds_load_b128 v[122:125], v2 offset:960
	s_wait_loadcnt_dscnt 0xa01
	v_mul_f64_e32 v[148:149], v[86:87], v[116:117]
	v_mul_f64_e32 v[116:117], v[88:89], v[116:117]
	v_fmac_f64_e32 v[150:151], v[144:145], v[110:111]
	v_fma_f64 v[142:143], v[142:143], v[110:111], -v[112:113]
	scratch_load_b128 v[110:113], off, off offset:544
	v_add_f64_e32 v[12:13], v[12:13], v[146:147]
	v_add_f64_e32 v[4:5], v[4:5], v[152:153]
	s_wait_loadcnt_dscnt 0xa00
	v_mul_f64_e32 v[146:147], v[122:123], v[120:121]
	v_mul_f64_e32 v[120:121], v[124:125], v[120:121]
	v_fmac_f64_e32 v[148:149], v[88:89], v[114:115]
	v_fma_f64 v[152:153], v[86:87], v[114:115], -v[116:117]
	ds_load_b128 v[86:89], v2 offset:976
	scratch_load_b128 v[114:117], off, off offset:560
	v_add_f64_e32 v[12:13], v[12:13], v[150:151]
	v_add_f64_e32 v[4:5], v[4:5], v[142:143]
	ds_load_b128 v[142:145], v2 offset:992
	s_wait_loadcnt_dscnt 0xa01
	v_mul_f64_e32 v[150:151], v[86:87], v[128:129]
	v_mul_f64_e32 v[128:129], v[88:89], v[128:129]
	v_fmac_f64_e32 v[146:147], v[124:125], v[118:119]
	v_fma_f64 v[118:119], v[122:123], v[118:119], -v[120:121]
	s_wait_loadcnt_dscnt 0x900
	v_mul_f64_e32 v[120:121], v[142:143], v[10:11]
	v_add_f64_e32 v[12:13], v[12:13], v[148:149]
	v_add_f64_e32 v[4:5], v[4:5], v[152:153]
	v_mul_f64_e32 v[122:123], v[144:145], v[10:11]
	v_fmac_f64_e32 v[150:151], v[88:89], v[126:127]
	v_fma_f64 v[124:125], v[86:87], v[126:127], -v[128:129]
	v_fmac_f64_e32 v[120:121], v[144:145], v[8:9]
	v_add_f64_e32 v[4:5], v[4:5], v[118:119]
	v_add_f64_e32 v[118:119], v[12:13], v[146:147]
	ds_load_b128 v[10:13], v2 offset:1008
	ds_load_b128 v[86:89], v2 offset:1024
	v_fma_f64 v[8:9], v[142:143], v[8:9], -v[122:123]
	s_wait_loadcnt_dscnt 0x801
	v_mul_f64_e32 v[126:127], v[10:11], v[140:141]
	v_mul_f64_e32 v[128:129], v[12:13], v[140:141]
	v_add_f64_e32 v[4:5], v[4:5], v[124:125]
	v_add_f64_e32 v[118:119], v[118:119], v[150:151]
	s_wait_loadcnt_dscnt 0x700
	v_mul_f64_e32 v[122:123], v[86:87], v[136:137]
	v_mul_f64_e32 v[124:125], v[88:89], v[136:137]
	v_fmac_f64_e32 v[126:127], v[12:13], v[138:139]
	v_fma_f64 v[12:13], v[10:11], v[138:139], -v[128:129]
	v_add_f64_e32 v[4:5], v[4:5], v[8:9]
	v_add_f64_e32 v[128:129], v[118:119], v[120:121]
	ds_load_b128 v[8:11], v2 offset:1040
	ds_load_b128 v[118:121], v2 offset:1056
	v_fmac_f64_e32 v[122:123], v[88:89], v[134:135]
	v_fma_f64 v[86:87], v[86:87], v[134:135], -v[124:125]
	s_wait_loadcnt_dscnt 0x601
	v_mul_f64_e32 v[136:137], v[8:9], v[92:93]
	v_mul_f64_e32 v[92:93], v[10:11], v[92:93]
	s_wait_loadcnt_dscnt 0x500
	v_mul_f64_e32 v[124:125], v[118:119], v[96:97]
	v_mul_f64_e32 v[96:97], v[120:121], v[96:97]
	v_add_f64_e32 v[4:5], v[4:5], v[12:13]
	v_add_f64_e32 v[12:13], v[128:129], v[126:127]
	v_fmac_f64_e32 v[136:137], v[10:11], v[90:91]
	v_fma_f64 v[90:91], v[8:9], v[90:91], -v[92:93]
	v_fmac_f64_e32 v[124:125], v[120:121], v[94:95]
	v_fma_f64 v[94:95], v[118:119], v[94:95], -v[96:97]
	v_add_f64_e32 v[4:5], v[4:5], v[86:87]
	v_add_f64_e32 v[12:13], v[12:13], v[122:123]
	ds_load_b128 v[8:11], v2 offset:1072
	ds_load_b128 v[86:89], v2 offset:1088
	s_wait_loadcnt_dscnt 0x401
	v_mul_f64_e32 v[122:123], v[8:9], v[100:101]
	v_mul_f64_e32 v[92:93], v[10:11], v[100:101]
	s_wait_loadcnt_dscnt 0x300
	v_mul_f64_e32 v[96:97], v[86:87], v[104:105]
	v_mul_f64_e32 v[100:101], v[88:89], v[104:105]
	v_add_f64_e32 v[4:5], v[4:5], v[90:91]
	v_add_f64_e32 v[12:13], v[12:13], v[136:137]
	v_fmac_f64_e32 v[122:123], v[10:11], v[98:99]
	v_fma_f64 v[98:99], v[8:9], v[98:99], -v[92:93]
	ds_load_b128 v[8:11], v2 offset:1104
	ds_load_b128 v[90:93], v2 offset:1120
	v_fmac_f64_e32 v[96:97], v[88:89], v[102:103]
	v_fma_f64 v[86:87], v[86:87], v[102:103], -v[100:101]
	v_add_f64_e32 v[4:5], v[4:5], v[94:95]
	v_add_f64_e32 v[12:13], v[12:13], v[124:125]
	s_wait_loadcnt_dscnt 0x201
	v_mul_f64_e32 v[94:95], v[8:9], v[108:109]
	v_mul_f64_e32 v[104:105], v[10:11], v[108:109]
	s_wait_loadcnt_dscnt 0x100
	v_mul_f64_e32 v[88:89], v[90:91], v[112:113]
	v_add_f64_e32 v[4:5], v[4:5], v[98:99]
	v_add_f64_e32 v[12:13], v[12:13], v[122:123]
	v_mul_f64_e32 v[98:99], v[92:93], v[112:113]
	v_fmac_f64_e32 v[94:95], v[10:11], v[106:107]
	v_fma_f64 v[100:101], v[8:9], v[106:107], -v[104:105]
	ds_load_b128 v[8:11], v2 offset:1136
	v_fmac_f64_e32 v[88:89], v[92:93], v[110:111]
	v_add_f64_e32 v[4:5], v[4:5], v[86:87]
	v_add_f64_e32 v[12:13], v[12:13], v[96:97]
	s_wait_loadcnt_dscnt 0x0
	v_mul_f64_e32 v[86:87], v[8:9], v[116:117]
	v_mul_f64_e32 v[96:97], v[10:11], v[116:117]
	v_fma_f64 v[90:91], v[90:91], v[110:111], -v[98:99]
	v_add_f64_e32 v[4:5], v[4:5], v[100:101]
	v_add_f64_e32 v[12:13], v[12:13], v[94:95]
	v_fmac_f64_e32 v[86:87], v[10:11], v[114:115]
	v_fma_f64 v[8:9], v[8:9], v[114:115], -v[96:97]
	s_delay_alu instid0(VALU_DEP_4) | instskip(NEXT) | instid1(VALU_DEP_4)
	v_add_f64_e32 v[4:5], v[4:5], v[90:91]
	v_add_f64_e32 v[10:11], v[12:13], v[88:89]
	s_delay_alu instid0(VALU_DEP_2) | instskip(NEXT) | instid1(VALU_DEP_2)
	v_add_f64_e32 v[4:5], v[4:5], v[8:9]
	v_add_f64_e32 v[10:11], v[10:11], v[86:87]
	s_delay_alu instid0(VALU_DEP_2) | instskip(NEXT) | instid1(VALU_DEP_2)
	v_add_f64_e64 v[8:9], v[130:131], -v[4:5]
	v_add_f64_e64 v[10:11], v[132:133], -v[10:11]
	scratch_store_b128 off, v[8:11], off offset:32
	s_wait_xcnt 0x0
	v_cmpx_lt_u32_e32 1, v1
	s_cbranch_execz .LBB99_227
; %bb.226:
	scratch_load_b128 v[8:11], off, s18
	v_dual_mov_b32 v3, v2 :: v_dual_mov_b32 v4, v2
	v_mov_b32_e32 v5, v2
	scratch_store_b128 off, v[2:5], off offset:16
	s_wait_loadcnt 0x0
	ds_store_b128 v6, v[8:11]
.LBB99_227:
	s_wait_xcnt 0x0
	s_or_b32 exec_lo, exec_lo, s2
	s_wait_storecnt_dscnt 0x0
	s_barrier_signal -1
	s_barrier_wait -1
	s_clause 0x9
	scratch_load_b128 v[8:11], off, off offset:32
	scratch_load_b128 v[86:89], off, off offset:48
	;; [unrolled: 1-line block ×10, first 2 shown]
	ds_load_b128 v[122:125], v2 offset:608
	ds_load_b128 v[130:133], v2 offset:624
	s_clause 0x1
	scratch_load_b128 v[126:129], off, off offset:192
	scratch_load_b128 v[134:137], off, off offset:16
	s_mov_b32 s2, exec_lo
	s_wait_loadcnt_dscnt 0xb01
	v_mul_f64_e32 v[4:5], v[124:125], v[10:11]
	v_mul_f64_e32 v[146:147], v[122:123], v[10:11]
	scratch_load_b128 v[10:13], off, off offset:208
	s_wait_loadcnt_dscnt 0xb00
	v_mul_f64_e32 v[148:149], v[130:131], v[88:89]
	v_mul_f64_e32 v[88:89], v[132:133], v[88:89]
	v_fma_f64 v[4:5], v[122:123], v[8:9], -v[4:5]
	v_fmac_f64_e32 v[146:147], v[124:125], v[8:9]
	ds_load_b128 v[122:125], v2 offset:640
	ds_load_b128 v[138:141], v2 offset:656
	scratch_load_b128 v[142:145], off, off offset:224
	v_fmac_f64_e32 v[148:149], v[132:133], v[86:87]
	v_fma_f64 v[130:131], v[130:131], v[86:87], -v[88:89]
	scratch_load_b128 v[86:89], off, off offset:240
	s_wait_loadcnt_dscnt 0xc01
	v_mul_f64_e32 v[8:9], v[122:123], v[92:93]
	v_mul_f64_e32 v[92:93], v[124:125], v[92:93]
	v_add_f64_e32 v[4:5], 0, v[4:5]
	v_add_f64_e32 v[132:133], 0, v[146:147]
	s_wait_loadcnt_dscnt 0xb00
	v_mul_f64_e32 v[146:147], v[138:139], v[96:97]
	v_mul_f64_e32 v[96:97], v[140:141], v[96:97]
	v_fmac_f64_e32 v[8:9], v[124:125], v[90:91]
	v_fma_f64 v[150:151], v[122:123], v[90:91], -v[92:93]
	ds_load_b128 v[90:93], v2 offset:672
	ds_load_b128 v[122:125], v2 offset:688
	v_add_f64_e32 v[4:5], v[4:5], v[130:131]
	v_add_f64_e32 v[148:149], v[132:133], v[148:149]
	scratch_load_b128 v[130:133], off, off offset:256
	v_fmac_f64_e32 v[146:147], v[140:141], v[94:95]
	v_fma_f64 v[138:139], v[138:139], v[94:95], -v[96:97]
	scratch_load_b128 v[94:97], off, off offset:272
	s_wait_loadcnt_dscnt 0xc01
	v_mul_f64_e32 v[152:153], v[90:91], v[100:101]
	v_mul_f64_e32 v[100:101], v[92:93], v[100:101]
	v_add_f64_e32 v[4:5], v[4:5], v[150:151]
	v_add_f64_e32 v[8:9], v[148:149], v[8:9]
	s_wait_loadcnt_dscnt 0xb00
	v_mul_f64_e32 v[148:149], v[122:123], v[104:105]
	v_mul_f64_e32 v[104:105], v[124:125], v[104:105]
	v_fmac_f64_e32 v[152:153], v[92:93], v[98:99]
	v_fma_f64 v[150:151], v[90:91], v[98:99], -v[100:101]
	ds_load_b128 v[90:93], v2 offset:704
	ds_load_b128 v[98:101], v2 offset:720
	v_add_f64_e32 v[4:5], v[4:5], v[138:139]
	v_add_f64_e32 v[8:9], v[8:9], v[146:147]
	scratch_load_b128 v[138:141], off, off offset:288
	s_wait_loadcnt_dscnt 0xb01
	v_mul_f64_e32 v[146:147], v[90:91], v[108:109]
	v_mul_f64_e32 v[108:109], v[92:93], v[108:109]
	v_fmac_f64_e32 v[148:149], v[124:125], v[102:103]
	v_fma_f64 v[122:123], v[122:123], v[102:103], -v[104:105]
	scratch_load_b128 v[102:105], off, off offset:304
	v_add_f64_e32 v[4:5], v[4:5], v[150:151]
	v_add_f64_e32 v[8:9], v[8:9], v[152:153]
	s_wait_loadcnt_dscnt 0xb00
	v_mul_f64_e32 v[150:151], v[98:99], v[112:113]
	v_mul_f64_e32 v[112:113], v[100:101], v[112:113]
	v_fmac_f64_e32 v[146:147], v[92:93], v[106:107]
	v_fma_f64 v[152:153], v[90:91], v[106:107], -v[108:109]
	ds_load_b128 v[90:93], v2 offset:736
	ds_load_b128 v[106:109], v2 offset:752
	v_add_f64_e32 v[4:5], v[4:5], v[122:123]
	v_add_f64_e32 v[8:9], v[8:9], v[148:149]
	scratch_load_b128 v[122:125], off, off offset:320
	s_wait_loadcnt_dscnt 0xb01
	v_mul_f64_e32 v[148:149], v[90:91], v[116:117]
	v_mul_f64_e32 v[116:117], v[92:93], v[116:117]
	v_fmac_f64_e32 v[150:151], v[100:101], v[110:111]
	v_fma_f64 v[110:111], v[98:99], v[110:111], -v[112:113]
	scratch_load_b128 v[98:101], off, off offset:336
	v_add_f64_e32 v[4:5], v[4:5], v[152:153]
	v_add_f64_e32 v[8:9], v[8:9], v[146:147]
	s_wait_loadcnt_dscnt 0xb00
	v_mul_f64_e32 v[146:147], v[106:107], v[120:121]
	v_mul_f64_e32 v[120:121], v[108:109], v[120:121]
	v_fmac_f64_e32 v[148:149], v[92:93], v[114:115]
	v_fma_f64 v[152:153], v[90:91], v[114:115], -v[116:117]
	v_add_f64_e32 v[4:5], v[4:5], v[110:111]
	v_add_f64_e32 v[8:9], v[8:9], v[150:151]
	ds_load_b128 v[90:93], v2 offset:768
	ds_load_b128 v[110:113], v2 offset:784
	scratch_load_b128 v[114:117], off, off offset:352
	v_fmac_f64_e32 v[146:147], v[108:109], v[118:119]
	v_fma_f64 v[118:119], v[106:107], v[118:119], -v[120:121]
	scratch_load_b128 v[106:109], off, off offset:368
	s_wait_loadcnt_dscnt 0xc01
	v_mul_f64_e32 v[150:151], v[90:91], v[128:129]
	v_mul_f64_e32 v[128:129], v[92:93], v[128:129]
	v_add_f64_e32 v[4:5], v[4:5], v[152:153]
	v_add_f64_e32 v[8:9], v[8:9], v[148:149]
	s_wait_loadcnt_dscnt 0xa00
	v_mul_f64_e32 v[148:149], v[110:111], v[12:13]
	v_mul_f64_e32 v[12:13], v[112:113], v[12:13]
	v_fmac_f64_e32 v[150:151], v[92:93], v[126:127]
	v_fma_f64 v[152:153], v[90:91], v[126:127], -v[128:129]
	v_add_f64_e32 v[4:5], v[4:5], v[118:119]
	v_add_f64_e32 v[8:9], v[8:9], v[146:147]
	ds_load_b128 v[90:93], v2 offset:800
	ds_load_b128 v[118:121], v2 offset:816
	scratch_load_b128 v[126:129], off, off offset:384
	v_fmac_f64_e32 v[148:149], v[112:113], v[10:11]
	v_fma_f64 v[12:13], v[110:111], v[10:11], -v[12:13]
	s_wait_loadcnt_dscnt 0xa01
	v_mul_f64_e32 v[146:147], v[90:91], v[144:145]
	v_mul_f64_e32 v[144:145], v[92:93], v[144:145]
	v_add_f64_e32 v[4:5], v[4:5], v[152:153]
	v_add_f64_e32 v[110:111], v[8:9], v[150:151]
	scratch_load_b128 v[8:11], off, off offset:400
	s_wait_loadcnt_dscnt 0xa00
	v_mul_f64_e32 v[150:151], v[118:119], v[88:89]
	v_mul_f64_e32 v[152:153], v[120:121], v[88:89]
	v_fmac_f64_e32 v[146:147], v[92:93], v[142:143]
	v_fma_f64 v[92:93], v[90:91], v[142:143], -v[144:145]
	v_add_f64_e32 v[4:5], v[4:5], v[12:13]
	v_add_f64_e32 v[12:13], v[110:111], v[148:149]
	ds_load_b128 v[88:91], v2 offset:832
	ds_load_b128 v[110:113], v2 offset:848
	scratch_load_b128 v[142:145], off, off offset:416
	v_fmac_f64_e32 v[150:151], v[120:121], v[86:87]
	v_fma_f64 v[86:87], v[118:119], v[86:87], -v[152:153]
	scratch_load_b128 v[118:121], off, off offset:432
	s_wait_loadcnt_dscnt 0xb01
	v_mul_f64_e32 v[148:149], v[88:89], v[132:133]
	v_mul_f64_e32 v[132:133], v[90:91], v[132:133]
	v_add_f64_e32 v[4:5], v[4:5], v[92:93]
	v_add_f64_e32 v[12:13], v[12:13], v[146:147]
	s_wait_loadcnt_dscnt 0xa00
	v_mul_f64_e32 v[146:147], v[110:111], v[96:97]
	v_mul_f64_e32 v[96:97], v[112:113], v[96:97]
	v_fmac_f64_e32 v[148:149], v[90:91], v[130:131]
	v_fma_f64 v[152:153], v[88:89], v[130:131], -v[132:133]
	v_add_f64_e32 v[4:5], v[4:5], v[86:87]
	v_add_f64_e32 v[12:13], v[12:13], v[150:151]
	ds_load_b128 v[86:89], v2 offset:864
	ds_load_b128 v[90:93], v2 offset:880
	scratch_load_b128 v[130:133], off, off offset:448
	v_fmac_f64_e32 v[146:147], v[112:113], v[94:95]
	v_fma_f64 v[110:111], v[110:111], v[94:95], -v[96:97]
	scratch_load_b128 v[94:97], off, off offset:464
	s_wait_loadcnt_dscnt 0xb01
	v_mul_f64_e32 v[150:151], v[86:87], v[140:141]
	v_mul_f64_e32 v[140:141], v[88:89], v[140:141]
	v_add_f64_e32 v[4:5], v[4:5], v[152:153]
	v_add_f64_e32 v[12:13], v[12:13], v[148:149]
	s_wait_loadcnt_dscnt 0xa00
	v_mul_f64_e32 v[148:149], v[90:91], v[104:105]
	v_mul_f64_e32 v[104:105], v[92:93], v[104:105]
	v_fmac_f64_e32 v[150:151], v[88:89], v[138:139]
	v_fma_f64 v[152:153], v[86:87], v[138:139], -v[140:141]
	v_add_f64_e32 v[4:5], v[4:5], v[110:111]
	v_add_f64_e32 v[12:13], v[12:13], v[146:147]
	ds_load_b128 v[86:89], v2 offset:896
	ds_load_b128 v[110:113], v2 offset:912
	scratch_load_b128 v[138:141], off, off offset:480
	v_fmac_f64_e32 v[148:149], v[92:93], v[102:103]
	v_fma_f64 v[102:103], v[90:91], v[102:103], -v[104:105]
	scratch_load_b128 v[90:93], off, off offset:496
	s_wait_loadcnt_dscnt 0xb01
	v_mul_f64_e32 v[146:147], v[86:87], v[124:125]
	v_mul_f64_e32 v[124:125], v[88:89], v[124:125]
	s_wait_loadcnt_dscnt 0xa00
	v_mul_f64_e32 v[104:105], v[110:111], v[100:101]
	v_add_f64_e32 v[4:5], v[4:5], v[152:153]
	v_add_f64_e32 v[12:13], v[12:13], v[150:151]
	v_mul_f64_e32 v[150:151], v[112:113], v[100:101]
	v_fmac_f64_e32 v[146:147], v[88:89], v[122:123]
	v_fma_f64 v[152:153], v[86:87], v[122:123], -v[124:125]
	v_fmac_f64_e32 v[104:105], v[112:113], v[98:99]
	v_add_f64_e32 v[4:5], v[4:5], v[102:103]
	v_add_f64_e32 v[12:13], v[12:13], v[148:149]
	ds_load_b128 v[86:89], v2 offset:928
	ds_load_b128 v[100:103], v2 offset:944
	scratch_load_b128 v[122:125], off, off offset:512
	v_fma_f64 v[98:99], v[110:111], v[98:99], -v[150:151]
	scratch_load_b128 v[110:113], off, off offset:528
	s_wait_loadcnt_dscnt 0xb01
	v_mul_f64_e32 v[154:155], v[86:87], v[116:117]
	v_mul_f64_e32 v[116:117], v[88:89], v[116:117]
	s_wait_loadcnt_dscnt 0xa00
	v_mul_f64_e32 v[150:151], v[100:101], v[108:109]
	v_mul_f64_e32 v[108:109], v[102:103], v[108:109]
	v_add_f64_e32 v[4:5], v[4:5], v[152:153]
	v_add_f64_e32 v[12:13], v[12:13], v[146:147]
	v_fmac_f64_e32 v[154:155], v[88:89], v[114:115]
	v_fma_f64 v[152:153], v[86:87], v[114:115], -v[116:117]
	ds_load_b128 v[86:89], v2 offset:960
	ds_load_b128 v[114:117], v2 offset:976
	scratch_load_b128 v[146:149], off, off offset:544
	v_fmac_f64_e32 v[150:151], v[102:103], v[106:107]
	v_fma_f64 v[102:103], v[100:101], v[106:107], -v[108:109]
	v_add_f64_e32 v[4:5], v[4:5], v[98:99]
	v_add_f64_e32 v[12:13], v[12:13], v[104:105]
	scratch_load_b128 v[98:101], off, off offset:560
	s_wait_loadcnt_dscnt 0xb01
	v_mul_f64_e32 v[104:105], v[86:87], v[128:129]
	v_mul_f64_e32 v[128:129], v[88:89], v[128:129]
	v_add_f64_e32 v[4:5], v[4:5], v[152:153]
	v_add_f64_e32 v[12:13], v[12:13], v[154:155]
	s_wait_loadcnt_dscnt 0xa00
	v_mul_f64_e32 v[106:107], v[114:115], v[10:11]
	v_mul_f64_e32 v[108:109], v[116:117], v[10:11]
	v_fmac_f64_e32 v[104:105], v[88:89], v[126:127]
	v_fma_f64 v[126:127], v[86:87], v[126:127], -v[128:129]
	v_add_f64_e32 v[4:5], v[4:5], v[102:103]
	v_add_f64_e32 v[102:103], v[12:13], v[150:151]
	ds_load_b128 v[10:13], v2 offset:992
	ds_load_b128 v[86:89], v2 offset:1008
	v_fmac_f64_e32 v[106:107], v[116:117], v[8:9]
	v_fma_f64 v[8:9], v[114:115], v[8:9], -v[108:109]
	s_wait_loadcnt_dscnt 0x901
	v_mul_f64_e32 v[128:129], v[10:11], v[144:145]
	v_mul_f64_e32 v[144:145], v[12:13], v[144:145]
	s_wait_loadcnt_dscnt 0x800
	v_mul_f64_e32 v[108:109], v[86:87], v[120:121]
	v_mul_f64_e32 v[114:115], v[88:89], v[120:121]
	v_add_f64_e32 v[4:5], v[4:5], v[126:127]
	v_add_f64_e32 v[102:103], v[102:103], v[104:105]
	v_fmac_f64_e32 v[128:129], v[12:13], v[142:143]
	v_fma_f64 v[12:13], v[10:11], v[142:143], -v[144:145]
	v_fmac_f64_e32 v[108:109], v[88:89], v[118:119]
	v_fma_f64 v[86:87], v[86:87], v[118:119], -v[114:115]
	v_add_f64_e32 v[4:5], v[4:5], v[8:9]
	v_add_f64_e32 v[106:107], v[102:103], v[106:107]
	ds_load_b128 v[8:11], v2 offset:1024
	ds_load_b128 v[102:105], v2 offset:1040
	s_wait_loadcnt_dscnt 0x701
	v_mul_f64_e32 v[116:117], v[8:9], v[132:133]
	v_mul_f64_e32 v[120:121], v[10:11], v[132:133]
	v_add_f64_e32 v[4:5], v[4:5], v[12:13]
	v_add_f64_e32 v[12:13], v[106:107], v[128:129]
	s_wait_loadcnt_dscnt 0x600
	v_mul_f64_e32 v[106:107], v[102:103], v[96:97]
	v_mul_f64_e32 v[96:97], v[104:105], v[96:97]
	v_fmac_f64_e32 v[116:117], v[10:11], v[130:131]
	v_fma_f64 v[114:115], v[8:9], v[130:131], -v[120:121]
	v_add_f64_e32 v[4:5], v[4:5], v[86:87]
	v_add_f64_e32 v[12:13], v[12:13], v[108:109]
	ds_load_b128 v[8:11], v2 offset:1056
	ds_load_b128 v[86:89], v2 offset:1072
	v_fmac_f64_e32 v[106:107], v[104:105], v[94:95]
	v_fma_f64 v[94:95], v[102:103], v[94:95], -v[96:97]
	s_wait_loadcnt_dscnt 0x501
	v_mul_f64_e32 v[108:109], v[8:9], v[140:141]
	v_mul_f64_e32 v[118:119], v[10:11], v[140:141]
	s_wait_loadcnt_dscnt 0x400
	v_mul_f64_e32 v[96:97], v[86:87], v[92:93]
	v_mul_f64_e32 v[102:103], v[88:89], v[92:93]
	v_add_f64_e32 v[4:5], v[4:5], v[114:115]
	v_add_f64_e32 v[12:13], v[12:13], v[116:117]
	v_fmac_f64_e32 v[108:109], v[10:11], v[138:139]
	v_fma_f64 v[104:105], v[8:9], v[138:139], -v[118:119]
	v_fmac_f64_e32 v[96:97], v[88:89], v[90:91]
	v_fma_f64 v[86:87], v[86:87], v[90:91], -v[102:103]
	v_add_f64_e32 v[4:5], v[4:5], v[94:95]
	v_add_f64_e32 v[12:13], v[12:13], v[106:107]
	ds_load_b128 v[8:11], v2 offset:1088
	ds_load_b128 v[92:95], v2 offset:1104
	s_wait_loadcnt_dscnt 0x301
	v_mul_f64_e32 v[106:107], v[8:9], v[124:125]
	v_mul_f64_e32 v[114:115], v[10:11], v[124:125]
	s_wait_loadcnt_dscnt 0x200
	v_mul_f64_e32 v[88:89], v[92:93], v[112:113]
	v_mul_f64_e32 v[90:91], v[94:95], v[112:113]
	v_add_f64_e32 v[4:5], v[4:5], v[104:105]
	v_add_f64_e32 v[12:13], v[12:13], v[108:109]
	v_fmac_f64_e32 v[106:107], v[10:11], v[122:123]
	v_fma_f64 v[102:103], v[8:9], v[122:123], -v[114:115]
	v_fmac_f64_e32 v[88:89], v[94:95], v[110:111]
	v_fma_f64 v[90:91], v[92:93], v[110:111], -v[90:91]
	v_add_f64_e32 v[86:87], v[4:5], v[86:87]
	v_add_f64_e32 v[12:13], v[12:13], v[96:97]
	ds_load_b128 v[8:11], v2 offset:1120
	ds_load_b128 v[2:5], v2 offset:1136
	s_wait_loadcnt_dscnt 0x101
	v_mul_f64_e32 v[96:97], v[8:9], v[148:149]
	v_mul_f64_e32 v[104:105], v[10:11], v[148:149]
	s_wait_loadcnt_dscnt 0x0
	v_mul_f64_e32 v[92:93], v[2:3], v[100:101]
	v_mul_f64_e32 v[94:95], v[4:5], v[100:101]
	v_add_f64_e32 v[86:87], v[86:87], v[102:103]
	v_add_f64_e32 v[12:13], v[12:13], v[106:107]
	v_fmac_f64_e32 v[96:97], v[10:11], v[146:147]
	v_fma_f64 v[8:9], v[8:9], v[146:147], -v[104:105]
	v_fmac_f64_e32 v[92:93], v[4:5], v[98:99]
	v_fma_f64 v[2:3], v[2:3], v[98:99], -v[94:95]
	v_add_f64_e32 v[10:11], v[86:87], v[90:91]
	v_add_f64_e32 v[12:13], v[12:13], v[88:89]
	s_delay_alu instid0(VALU_DEP_2) | instskip(NEXT) | instid1(VALU_DEP_2)
	v_add_f64_e32 v[4:5], v[10:11], v[8:9]
	v_add_f64_e32 v[8:9], v[12:13], v[96:97]
	s_delay_alu instid0(VALU_DEP_2) | instskip(NEXT) | instid1(VALU_DEP_2)
	;; [unrolled: 3-line block ×3, first 2 shown]
	v_add_f64_e64 v[2:3], v[134:135], -v[2:3]
	v_add_f64_e64 v[4:5], v[136:137], -v[4:5]
	scratch_store_b128 off, v[2:5], off offset:16
	s_wait_xcnt 0x0
	v_cmpx_ne_u32_e32 0, v1
	s_cbranch_execz .LBB99_229
; %bb.228:
	scratch_load_b128 v[2:5], off, off
	v_mov_b32_e32 v8, 0
	s_delay_alu instid0(VALU_DEP_1)
	v_dual_mov_b32 v9, v8 :: v_dual_mov_b32 v10, v8
	v_mov_b32_e32 v11, v8
	scratch_store_b128 off, v[8:11], off
	s_wait_loadcnt 0x0
	ds_store_b128 v6, v[2:5]
.LBB99_229:
	s_wait_xcnt 0x0
	s_or_b32 exec_lo, exec_lo, s2
	s_wait_storecnt_dscnt 0x0
	s_barrier_signal -1
	s_barrier_wait -1
	s_clause 0x9
	scratch_load_b128 v[2:5], off, off offset:16
	scratch_load_b128 v[6:9], off, off offset:32
	;; [unrolled: 1-line block ×10, first 2 shown]
	v_mov_b32_e32 v114, 0
	s_and_b32 vcc_lo, exec_lo, s48
	ds_load_b128 v[116:119], v114 offset:592
	s_clause 0x2
	scratch_load_b128 v[120:123], off, off offset:176
	scratch_load_b128 v[124:127], off, off
	scratch_load_b128 v[132:135], off, off offset:192
	s_wait_loadcnt_dscnt 0xc00
	v_mul_f64_e32 v[136:137], v[118:119], v[4:5]
	v_mul_f64_e32 v[140:141], v[116:117], v[4:5]
	ds_load_b128 v[128:131], v114 offset:608
	v_fma_f64 v[144:145], v[116:117], v[2:3], -v[136:137]
	v_fmac_f64_e32 v[140:141], v[118:119], v[2:3]
	ds_load_b128 v[2:5], v114 offset:624
	s_wait_loadcnt_dscnt 0xb01
	v_mul_f64_e32 v[142:143], v[128:129], v[8:9]
	v_mul_f64_e32 v[8:9], v[130:131], v[8:9]
	scratch_load_b128 v[116:119], off, off offset:208
	ds_load_b128 v[136:139], v114 offset:640
	s_wait_loadcnt_dscnt 0xb01
	v_mul_f64_e32 v[146:147], v[2:3], v[12:13]
	v_mul_f64_e32 v[12:13], v[4:5], v[12:13]
	v_add_f64_e32 v[140:141], 0, v[140:141]
	v_fmac_f64_e32 v[142:143], v[130:131], v[6:7]
	v_fma_f64 v[128:129], v[128:129], v[6:7], -v[8:9]
	v_add_f64_e32 v[130:131], 0, v[144:145]
	scratch_load_b128 v[6:9], off, off offset:224
	v_fmac_f64_e32 v[146:147], v[4:5], v[10:11]
	v_fma_f64 v[148:149], v[2:3], v[10:11], -v[12:13]
	ds_load_b128 v[2:5], v114 offset:656
	s_wait_loadcnt_dscnt 0xb01
	v_mul_f64_e32 v[144:145], v[136:137], v[88:89]
	v_mul_f64_e32 v[88:89], v[138:139], v[88:89]
	scratch_load_b128 v[10:13], off, off offset:240
	v_add_f64_e32 v[140:141], v[140:141], v[142:143]
	v_add_f64_e32 v[150:151], v[130:131], v[128:129]
	ds_load_b128 v[128:131], v114 offset:672
	s_wait_loadcnt_dscnt 0xb01
	v_mul_f64_e32 v[142:143], v[2:3], v[92:93]
	v_mul_f64_e32 v[92:93], v[4:5], v[92:93]
	v_fmac_f64_e32 v[144:145], v[138:139], v[86:87]
	v_fma_f64 v[136:137], v[136:137], v[86:87], -v[88:89]
	scratch_load_b128 v[86:89], off, off offset:256
	v_add_f64_e32 v[140:141], v[140:141], v[146:147]
	v_add_f64_e32 v[138:139], v[150:151], v[148:149]
	v_fmac_f64_e32 v[142:143], v[4:5], v[90:91]
	v_fma_f64 v[148:149], v[2:3], v[90:91], -v[92:93]
	ds_load_b128 v[2:5], v114 offset:688
	s_wait_loadcnt_dscnt 0xb01
	v_mul_f64_e32 v[146:147], v[128:129], v[96:97]
	v_mul_f64_e32 v[96:97], v[130:131], v[96:97]
	scratch_load_b128 v[90:93], off, off offset:272
	v_add_f64_e32 v[140:141], v[140:141], v[144:145]
	s_wait_loadcnt_dscnt 0xb00
	v_mul_f64_e32 v[144:145], v[2:3], v[100:101]
	v_add_f64_e32 v[150:151], v[138:139], v[136:137]
	v_mul_f64_e32 v[100:101], v[4:5], v[100:101]
	ds_load_b128 v[136:139], v114 offset:704
	v_fmac_f64_e32 v[146:147], v[130:131], v[94:95]
	v_fma_f64 v[128:129], v[128:129], v[94:95], -v[96:97]
	scratch_load_b128 v[94:97], off, off offset:288
	v_add_f64_e32 v[140:141], v[140:141], v[142:143]
	v_fmac_f64_e32 v[144:145], v[4:5], v[98:99]
	v_add_f64_e32 v[130:131], v[150:151], v[148:149]
	v_fma_f64 v[148:149], v[2:3], v[98:99], -v[100:101]
	ds_load_b128 v[2:5], v114 offset:720
	s_wait_loadcnt_dscnt 0xb01
	v_mul_f64_e32 v[142:143], v[136:137], v[104:105]
	v_mul_f64_e32 v[104:105], v[138:139], v[104:105]
	scratch_load_b128 v[98:101], off, off offset:304
	v_add_f64_e32 v[140:141], v[140:141], v[146:147]
	s_wait_loadcnt_dscnt 0xb00
	v_mul_f64_e32 v[146:147], v[2:3], v[108:109]
	v_add_f64_e32 v[150:151], v[130:131], v[128:129]
	v_mul_f64_e32 v[108:109], v[4:5], v[108:109]
	ds_load_b128 v[128:131], v114 offset:736
	v_fmac_f64_e32 v[142:143], v[138:139], v[102:103]
	v_fma_f64 v[136:137], v[136:137], v[102:103], -v[104:105]
	scratch_load_b128 v[102:105], off, off offset:320
	v_add_f64_e32 v[140:141], v[140:141], v[144:145]
	v_fmac_f64_e32 v[146:147], v[4:5], v[106:107]
	v_add_f64_e32 v[138:139], v[150:151], v[148:149]
	;; [unrolled: 18-line block ×3, first 2 shown]
	v_fma_f64 v[148:149], v[2:3], v[120:121], -v[122:123]
	ds_load_b128 v[2:5], v114 offset:784
	s_wait_loadcnt_dscnt 0xa01
	v_mul_f64_e32 v[146:147], v[136:137], v[134:135]
	v_mul_f64_e32 v[134:135], v[138:139], v[134:135]
	scratch_load_b128 v[120:123], off, off offset:368
	v_add_f64_e32 v[140:141], v[140:141], v[144:145]
	v_add_f64_e32 v[150:151], v[130:131], v[128:129]
	s_wait_loadcnt_dscnt 0xa00
	v_mul_f64_e32 v[144:145], v[2:3], v[118:119]
	v_mul_f64_e32 v[118:119], v[4:5], v[118:119]
	v_fmac_f64_e32 v[146:147], v[138:139], v[132:133]
	v_fma_f64 v[136:137], v[136:137], v[132:133], -v[134:135]
	ds_load_b128 v[128:131], v114 offset:800
	scratch_load_b128 v[132:135], off, off offset:384
	v_add_f64_e32 v[140:141], v[140:141], v[142:143]
	v_add_f64_e32 v[138:139], v[150:151], v[148:149]
	v_fmac_f64_e32 v[144:145], v[4:5], v[116:117]
	v_fma_f64 v[148:149], v[2:3], v[116:117], -v[118:119]
	ds_load_b128 v[2:5], v114 offset:816
	s_wait_loadcnt_dscnt 0xa01
	v_mul_f64_e32 v[142:143], v[128:129], v[8:9]
	v_mul_f64_e32 v[8:9], v[130:131], v[8:9]
	scratch_load_b128 v[116:119], off, off offset:400
	v_add_f64_e32 v[140:141], v[140:141], v[146:147]
	s_wait_loadcnt_dscnt 0xa00
	v_mul_f64_e32 v[146:147], v[2:3], v[12:13]
	v_add_f64_e32 v[150:151], v[138:139], v[136:137]
	v_mul_f64_e32 v[12:13], v[4:5], v[12:13]
	ds_load_b128 v[136:139], v114 offset:832
	v_fmac_f64_e32 v[142:143], v[130:131], v[6:7]
	v_fma_f64 v[128:129], v[128:129], v[6:7], -v[8:9]
	scratch_load_b128 v[6:9], off, off offset:416
	v_add_f64_e32 v[140:141], v[140:141], v[144:145]
	v_fmac_f64_e32 v[146:147], v[4:5], v[10:11]
	v_add_f64_e32 v[130:131], v[150:151], v[148:149]
	v_fma_f64 v[148:149], v[2:3], v[10:11], -v[12:13]
	ds_load_b128 v[2:5], v114 offset:848
	s_wait_loadcnt_dscnt 0xa01
	v_mul_f64_e32 v[144:145], v[136:137], v[88:89]
	v_mul_f64_e32 v[88:89], v[138:139], v[88:89]
	scratch_load_b128 v[10:13], off, off offset:432
	v_add_f64_e32 v[140:141], v[140:141], v[142:143]
	s_wait_loadcnt_dscnt 0xa00
	v_mul_f64_e32 v[142:143], v[2:3], v[92:93]
	v_add_f64_e32 v[150:151], v[130:131], v[128:129]
	v_mul_f64_e32 v[92:93], v[4:5], v[92:93]
	ds_load_b128 v[128:131], v114 offset:864
	v_fmac_f64_e32 v[144:145], v[138:139], v[86:87]
	v_fma_f64 v[136:137], v[136:137], v[86:87], -v[88:89]
	scratch_load_b128 v[86:89], off, off offset:448
	v_add_f64_e32 v[140:141], v[140:141], v[146:147]
	v_fmac_f64_e32 v[142:143], v[4:5], v[90:91]
	v_add_f64_e32 v[138:139], v[150:151], v[148:149]
	v_fma_f64 v[148:149], v[2:3], v[90:91], -v[92:93]
	ds_load_b128 v[2:5], v114 offset:880
	s_wait_loadcnt_dscnt 0xa01
	v_mul_f64_e32 v[146:147], v[128:129], v[96:97]
	v_mul_f64_e32 v[96:97], v[130:131], v[96:97]
	scratch_load_b128 v[90:93], off, off offset:464
	v_add_f64_e32 v[140:141], v[140:141], v[144:145]
	s_wait_loadcnt_dscnt 0xa00
	v_mul_f64_e32 v[144:145], v[2:3], v[100:101]
	v_add_f64_e32 v[150:151], v[138:139], v[136:137]
	v_mul_f64_e32 v[100:101], v[4:5], v[100:101]
	ds_load_b128 v[136:139], v114 offset:896
	v_fmac_f64_e32 v[146:147], v[130:131], v[94:95]
	v_fma_f64 v[128:129], v[128:129], v[94:95], -v[96:97]
	scratch_load_b128 v[94:97], off, off offset:480
	v_add_f64_e32 v[140:141], v[140:141], v[142:143]
	v_fmac_f64_e32 v[144:145], v[4:5], v[98:99]
	v_add_f64_e32 v[130:131], v[150:151], v[148:149]
	v_fma_f64 v[148:149], v[2:3], v[98:99], -v[100:101]
	ds_load_b128 v[2:5], v114 offset:912
	s_wait_loadcnt_dscnt 0xa01
	v_mul_f64_e32 v[142:143], v[136:137], v[104:105]
	v_mul_f64_e32 v[104:105], v[138:139], v[104:105]
	scratch_load_b128 v[98:101], off, off offset:496
	v_add_f64_e32 v[140:141], v[140:141], v[146:147]
	s_wait_loadcnt_dscnt 0xa00
	v_mul_f64_e32 v[146:147], v[2:3], v[108:109]
	v_add_f64_e32 v[150:151], v[130:131], v[128:129]
	v_mul_f64_e32 v[108:109], v[4:5], v[108:109]
	ds_load_b128 v[128:131], v114 offset:928
	v_fmac_f64_e32 v[142:143], v[138:139], v[102:103]
	v_fma_f64 v[136:137], v[136:137], v[102:103], -v[104:105]
	scratch_load_b128 v[102:105], off, off offset:512
	v_add_f64_e32 v[140:141], v[140:141], v[144:145]
	v_fmac_f64_e32 v[146:147], v[4:5], v[106:107]
	v_add_f64_e32 v[138:139], v[150:151], v[148:149]
	v_fma_f64 v[148:149], v[2:3], v[106:107], -v[108:109]
	ds_load_b128 v[2:5], v114 offset:944
	s_wait_loadcnt_dscnt 0xa01
	v_mul_f64_e32 v[144:145], v[128:129], v[112:113]
	v_mul_f64_e32 v[112:113], v[130:131], v[112:113]
	scratch_load_b128 v[106:109], off, off offset:528
	v_add_f64_e32 v[140:141], v[140:141], v[142:143]
	s_wait_loadcnt_dscnt 0xa00
	v_mul_f64_e32 v[142:143], v[2:3], v[122:123]
	v_add_f64_e32 v[150:151], v[138:139], v[136:137]
	v_mul_f64_e32 v[122:123], v[4:5], v[122:123]
	ds_load_b128 v[136:139], v114 offset:960
	v_fmac_f64_e32 v[144:145], v[130:131], v[110:111]
	v_fma_f64 v[128:129], v[128:129], v[110:111], -v[112:113]
	scratch_load_b128 v[110:113], off, off offset:544
	v_add_f64_e32 v[140:141], v[140:141], v[146:147]
	v_fmac_f64_e32 v[142:143], v[4:5], v[120:121]
	v_add_f64_e32 v[130:131], v[150:151], v[148:149]
	v_fma_f64 v[148:149], v[2:3], v[120:121], -v[122:123]
	ds_load_b128 v[2:5], v114 offset:976
	s_wait_loadcnt_dscnt 0xa01
	v_mul_f64_e32 v[146:147], v[136:137], v[134:135]
	v_mul_f64_e32 v[134:135], v[138:139], v[134:135]
	scratch_load_b128 v[120:123], off, off offset:560
	v_add_f64_e32 v[140:141], v[140:141], v[144:145]
	s_wait_loadcnt_dscnt 0xa00
	v_mul_f64_e32 v[144:145], v[2:3], v[118:119]
	v_add_f64_e32 v[150:151], v[130:131], v[128:129]
	v_mul_f64_e32 v[118:119], v[4:5], v[118:119]
	ds_load_b128 v[128:131], v114 offset:992
	v_fmac_f64_e32 v[146:147], v[138:139], v[132:133]
	v_fma_f64 v[132:133], v[136:137], v[132:133], -v[134:135]
	s_wait_loadcnt_dscnt 0x900
	v_mul_f64_e32 v[138:139], v[128:129], v[8:9]
	v_mul_f64_e32 v[8:9], v[130:131], v[8:9]
	v_add_f64_e32 v[136:137], v[140:141], v[142:143]
	v_fmac_f64_e32 v[144:145], v[4:5], v[116:117]
	v_add_f64_e32 v[134:135], v[150:151], v[148:149]
	v_fma_f64 v[140:141], v[2:3], v[116:117], -v[118:119]
	ds_load_b128 v[2:5], v114 offset:1008
	ds_load_b128 v[116:119], v114 offset:1024
	v_fmac_f64_e32 v[138:139], v[130:131], v[6:7]
	v_fma_f64 v[6:7], v[128:129], v[6:7], -v[8:9]
	v_add_f64_e32 v[132:133], v[134:135], v[132:133]
	v_add_f64_e32 v[134:135], v[136:137], v[146:147]
	s_wait_loadcnt_dscnt 0x801
	v_mul_f64_e32 v[136:137], v[2:3], v[12:13]
	v_mul_f64_e32 v[12:13], v[4:5], v[12:13]
	s_wait_loadcnt_dscnt 0x700
	v_mul_f64_e32 v[130:131], v[116:117], v[88:89]
	v_mul_f64_e32 v[88:89], v[118:119], v[88:89]
	v_add_f64_e32 v[8:9], v[132:133], v[140:141]
	v_add_f64_e32 v[128:129], v[134:135], v[144:145]
	v_fmac_f64_e32 v[136:137], v[4:5], v[10:11]
	v_fma_f64 v[10:11], v[2:3], v[10:11], -v[12:13]
	v_fmac_f64_e32 v[130:131], v[118:119], v[86:87]
	v_fma_f64 v[86:87], v[116:117], v[86:87], -v[88:89]
	v_add_f64_e32 v[12:13], v[8:9], v[6:7]
	v_add_f64_e32 v[128:129], v[128:129], v[138:139]
	ds_load_b128 v[2:5], v114 offset:1040
	ds_load_b128 v[6:9], v114 offset:1056
	s_wait_loadcnt_dscnt 0x601
	v_mul_f64_e32 v[132:133], v[2:3], v[92:93]
	v_mul_f64_e32 v[92:93], v[4:5], v[92:93]
	s_wait_loadcnt_dscnt 0x500
	v_mul_f64_e32 v[88:89], v[6:7], v[96:97]
	v_mul_f64_e32 v[96:97], v[8:9], v[96:97]
	v_add_f64_e32 v[10:11], v[12:13], v[10:11]
	v_add_f64_e32 v[12:13], v[128:129], v[136:137]
	v_fmac_f64_e32 v[132:133], v[4:5], v[90:91]
	v_fma_f64 v[90:91], v[2:3], v[90:91], -v[92:93]
	v_fmac_f64_e32 v[88:89], v[8:9], v[94:95]
	v_fma_f64 v[6:7], v[6:7], v[94:95], -v[96:97]
	v_add_f64_e32 v[86:87], v[10:11], v[86:87]
	v_add_f64_e32 v[92:93], v[12:13], v[130:131]
	ds_load_b128 v[2:5], v114 offset:1072
	ds_load_b128 v[10:13], v114 offset:1088
	s_wait_loadcnt_dscnt 0x401
	v_mul_f64_e32 v[116:117], v[2:3], v[100:101]
	v_mul_f64_e32 v[100:101], v[4:5], v[100:101]
	v_add_f64_e32 v[8:9], v[86:87], v[90:91]
	v_add_f64_e32 v[86:87], v[92:93], v[132:133]
	s_wait_loadcnt_dscnt 0x300
	v_mul_f64_e32 v[90:91], v[10:11], v[104:105]
	v_mul_f64_e32 v[92:93], v[12:13], v[104:105]
	v_lshl_add_u64 v[104:105], v[32:33], 4, s[4:5]
	v_lshl_add_u64 v[32:33], v[58:59], 4, s[4:5]
	v_fmac_f64_e32 v[116:117], v[4:5], v[98:99]
	v_fma_f64 v[94:95], v[2:3], v[98:99], -v[100:101]
	v_lshl_add_u64 v[100:101], v[34:35], 4, s[4:5]
	v_lshl_add_u64 v[34:35], v[56:57], 4, s[4:5]
	v_add_f64_e32 v[96:97], v[8:9], v[6:7]
	v_add_f64_e32 v[86:87], v[86:87], v[88:89]
	ds_load_b128 v[2:5], v114 offset:1104
	ds_load_b128 v[6:9], v114 offset:1120
	v_fmac_f64_e32 v[90:91], v[12:13], v[102:103]
	v_fma_f64 v[10:11], v[10:11], v[102:103], -v[92:93]
	v_lshl_add_u64 v[102:103], v[20:21], 4, s[4:5]
	v_lshl_add_u64 v[20:21], v[70:71], 4, s[4:5]
	s_wait_loadcnt_dscnt 0x201
	v_mul_f64_e32 v[88:89], v[2:3], v[108:109]
	v_mul_f64_e32 v[98:99], v[4:5], v[108:109]
	s_wait_loadcnt_dscnt 0x100
	v_mul_f64_e32 v[92:93], v[6:7], v[112:113]
	v_lshl_add_u64 v[108:109], v[30:31], 4, s[4:5]
	v_lshl_add_u64 v[30:31], v[60:61], 4, s[4:5]
	v_add_f64_e32 v[12:13], v[96:97], v[94:95]
	v_add_f64_e32 v[86:87], v[86:87], v[116:117]
	v_mul_f64_e32 v[94:95], v[8:9], v[112:113]
	v_lshl_add_u64 v[112:113], v[24:25], 4, s[4:5]
	v_lshl_add_u64 v[24:25], v[66:67], 4, s[4:5]
	v_fmac_f64_e32 v[88:89], v[4:5], v[106:107]
	v_fma_f64 v[96:97], v[2:3], v[106:107], -v[98:99]
	ds_load_b128 v[2:5], v114 offset:1136
	v_fmac_f64_e32 v[92:93], v[8:9], v[110:111]
	v_lshl_add_u64 v[106:107], v[18:19], 4, s[4:5]
	v_lshl_add_u64 v[98:99], v[22:23], 4, s[4:5]
	;; [unrolled: 1-line block ×4, first 2 shown]
	v_add_f64_e32 v[10:11], v[12:13], v[10:11]
	v_add_f64_e32 v[12:13], v[86:87], v[90:91]
	v_fma_f64 v[6:7], v[6:7], v[110:111], -v[94:95]
	v_lshl_add_u64 v[94:95], v[26:27], 4, s[4:5]
	v_lshl_add_u64 v[110:111], v[28:29], 4, s[4:5]
	;; [unrolled: 1-line block ×4, first 2 shown]
	s_wait_loadcnt_dscnt 0x0
	v_mul_f64_e32 v[86:87], v[2:3], v[122:123]
	v_mul_f64_e32 v[90:91], v[4:5], v[122:123]
	v_add_f64_e32 v[8:9], v[10:11], v[96:97]
	v_add_f64_e32 v[10:11], v[12:13], v[88:89]
	v_lshl_add_u64 v[96:97], v[36:37], 4, s[4:5]
	v_lshl_add_u64 v[88:89], v[42:43], 4, s[4:5]
	;; [unrolled: 1-line block ×5, first 2 shown]
	v_fmac_f64_e32 v[86:87], v[4:5], v[120:121]
	v_fma_f64 v[2:3], v[2:3], v[120:121], -v[90:91]
	v_lshl_add_u64 v[90:91], v[40:41], 4, s[4:5]
	v_lshl_add_u64 v[40:41], v[50:51], 4, s[4:5]
	v_add_f64_e32 v[4:5], v[8:9], v[6:7]
	v_add_f64_e32 v[6:7], v[10:11], v[92:93]
	v_lshl_add_u64 v[92:93], v[38:39], 4, s[4:5]
	v_lshl_add_u64 v[38:39], v[52:53], 4, s[4:5]
	v_lshl_add_u64 v[10:11], v[76:77], 4, s[4:5]
	v_lshl_add_u64 v[8:9], v[78:79], 4, s[4:5]
	v_add_f64_e32 v[2:3], v[4:5], v[2:3]
	v_add_f64_e32 v[4:5], v[6:7], v[86:87]
	v_lshl_add_u64 v[86:87], v[44:45], 4, s[4:5]
	v_lshl_add_u64 v[44:45], v[46:47], 4, s[4:5]
	;; [unrolled: 1-line block ×3, first 2 shown]
	v_add_f64_e64 v[116:117], v[124:125], -v[2:3]
	v_add_f64_e64 v[118:119], v[126:127], -v[4:5]
	v_lshl_add_u64 v[4:5], v[82:83], 4, s[4:5]
	v_lshl_add_u64 v[2:3], v[84:85], 4, s[4:5]
	scratch_store_b128 off, v[116:119], off
	s_cbranch_vccz .LBB99_300
; %bb.230:
	global_load_b32 v46, v114, s[8:9] offset:136
	s_load_b64 s[2:3], s[0:1], 0x4
	v_bfe_u32 v47, v0, 10, 10
	v_bfe_u32 v0, v0, 20, 10
	s_wait_kmcnt 0x0
	s_lshr_b32 s0, s2, 16
	s_delay_alu instid0(VALU_DEP_2) | instskip(SKIP_1) | instid1(SALU_CYCLE_1)
	v_mul_u32_u24_e32 v47, s3, v47
	s_mul_i32 s0, s0, s3
	v_mul_u32_u24_e32 v1, s0, v1
	s_delay_alu instid0(VALU_DEP_1) | instskip(NEXT) | instid1(VALU_DEP_1)
	v_add3_u32 v0, v1, v47, v0
	v_lshl_add_u32 v0, v0, 4, 0x488
	s_wait_loadcnt 0x0
	v_cmp_ne_u32_e32 vcc_lo, 35, v46
	s_cbranch_vccz .LBB99_232
; %bb.231:
	v_lshlrev_b32_e32 v1, 4, v46
	s_clause 0x1
	scratch_load_b128 v[46:49], off, s15
	scratch_load_b128 v[50:53], v1, off offset:-16
	s_wait_loadcnt 0x1
	ds_store_2addr_b64 v0, v[46:47], v[48:49] offset1:1
	s_wait_loadcnt 0x0
	s_clause 0x1
	scratch_store_b128 off, v[50:53], s15
	scratch_store_b128 v1, v[46:49], off offset:-16
.LBB99_232:
	s_wait_xcnt 0x0
	v_mov_b32_e32 v1, 0
	global_load_b32 v46, v1, s[8:9] offset:132
	s_wait_loadcnt 0x0
	v_cmp_eq_u32_e32 vcc_lo, 34, v46
	s_cbranch_vccnz .LBB99_234
; %bb.233:
	v_lshlrev_b32_e32 v46, 4, v46
	s_delay_alu instid0(VALU_DEP_1)
	v_mov_b32_e32 v54, v46
	s_clause 0x1
	scratch_load_b128 v[46:49], off, s17
	scratch_load_b128 v[50:53], v54, off offset:-16
	s_wait_loadcnt 0x1
	ds_store_2addr_b64 v0, v[46:47], v[48:49] offset1:1
	s_wait_loadcnt 0x0
	s_clause 0x1
	scratch_store_b128 off, v[50:53], s17
	scratch_store_b128 v54, v[46:49], off offset:-16
.LBB99_234:
	global_load_b32 v1, v1, s[8:9] offset:128
	s_wait_loadcnt 0x0
	v_cmp_eq_u32_e32 vcc_lo, 33, v1
	s_cbranch_vccnz .LBB99_236
; %bb.235:
	s_wait_xcnt 0x0
	v_lshlrev_b32_e32 v1, 4, v1
	s_clause 0x1
	scratch_load_b128 v[46:49], off, s19
	scratch_load_b128 v[50:53], v1, off offset:-16
	s_wait_loadcnt 0x1
	ds_store_2addr_b64 v0, v[46:47], v[48:49] offset1:1
	s_wait_loadcnt 0x0
	s_clause 0x1
	scratch_store_b128 off, v[50:53], s19
	scratch_store_b128 v1, v[46:49], off offset:-16
.LBB99_236:
	s_wait_xcnt 0x0
	v_mov_b32_e32 v1, 0
	global_load_b32 v46, v1, s[8:9] offset:124
	s_wait_loadcnt 0x0
	v_cmp_eq_u32_e32 vcc_lo, 32, v46
	s_cbranch_vccnz .LBB99_238
; %bb.237:
	v_lshlrev_b32_e32 v46, 4, v46
	s_delay_alu instid0(VALU_DEP_1)
	v_mov_b32_e32 v54, v46
	s_clause 0x1
	scratch_load_b128 v[46:49], off, s20
	scratch_load_b128 v[50:53], v54, off offset:-16
	s_wait_loadcnt 0x1
	ds_store_2addr_b64 v0, v[46:47], v[48:49] offset1:1
	s_wait_loadcnt 0x0
	s_clause 0x1
	scratch_store_b128 off, v[50:53], s20
	scratch_store_b128 v54, v[46:49], off offset:-16
.LBB99_238:
	global_load_b32 v1, v1, s[8:9] offset:120
	s_wait_loadcnt 0x0
	v_cmp_eq_u32_e32 vcc_lo, 31, v1
	s_cbranch_vccnz .LBB99_240
; %bb.239:
	s_wait_xcnt 0x0
	v_lshlrev_b32_e32 v1, 4, v1
	s_clause 0x1
	scratch_load_b128 v[46:49], off, s21
	scratch_load_b128 v[50:53], v1, off offset:-16
	s_wait_loadcnt 0x1
	ds_store_2addr_b64 v0, v[46:47], v[48:49] offset1:1
	s_wait_loadcnt 0x0
	s_clause 0x1
	scratch_store_b128 off, v[50:53], s21
	scratch_store_b128 v1, v[46:49], off offset:-16
.LBB99_240:
	;; [unrolled: 37-line block ×16, first 2 shown]
	s_wait_xcnt 0x0
	v_mov_b32_e32 v1, 0
	global_load_b32 v46, v1, s[8:9] offset:4
	s_wait_loadcnt 0x0
	v_cmp_eq_u32_e32 vcc_lo, 2, v46
	s_cbranch_vccnz .LBB99_298
; %bb.297:
	v_lshlrev_b32_e32 v46, 4, v46
	s_delay_alu instid0(VALU_DEP_1)
	v_mov_b32_e32 v54, v46
	s_clause 0x1
	scratch_load_b128 v[46:49], off, s18
	scratch_load_b128 v[50:53], v54, off offset:-16
	s_wait_loadcnt 0x1
	ds_store_2addr_b64 v0, v[46:47], v[48:49] offset1:1
	s_wait_loadcnt 0x0
	s_clause 0x1
	scratch_store_b128 off, v[50:53], s18
	scratch_store_b128 v54, v[46:49], off offset:-16
.LBB99_298:
	global_load_b32 v1, v1, s[8:9]
	s_wait_loadcnt 0x0
	v_cmp_eq_u32_e32 vcc_lo, 1, v1
	s_cbranch_vccnz .LBB99_300
; %bb.299:
	s_wait_xcnt 0x0
	v_lshlrev_b32_e32 v1, 4, v1
	scratch_load_b128 v[46:49], off, off
	scratch_load_b128 v[50:53], v1, off offset:-16
	s_wait_loadcnt 0x1
	ds_store_2addr_b64 v0, v[46:47], v[48:49] offset1:1
	s_wait_loadcnt 0x0
	scratch_store_b128 off, v[50:53], off
	scratch_store_b128 v1, v[46:49], off offset:-16
.LBB99_300:
	scratch_load_b128 v[46:49], off, off
	s_wait_loadcnt 0x0
	flat_store_b128 v[14:15], v[46:49]
	scratch_load_b128 v[46:49], off, s18
	s_wait_loadcnt 0x0
	flat_store_b128 v[16:17], v[46:49]
	scratch_load_b128 v[14:17], off, s16
	;; [unrolled: 3-line block ×35, first 2 shown]
	s_wait_loadcnt 0x0
	flat_store_b128 v[2:3], v[4:7]
	s_sendmsg sendmsg(MSG_DEALLOC_VGPRS)
	s_endpgm
	.section	.rodata,"a",@progbits
	.p2align	6, 0x0
	.amdhsa_kernel _ZN9rocsolver6v33100L18getri_kernel_smallILi36E19rocblas_complex_numIdEPKPS3_EEvT1_iilPiilS8_bb
		.amdhsa_group_segment_fixed_size 2184
		.amdhsa_private_segment_fixed_size 592
		.amdhsa_kernarg_size 60
		.amdhsa_user_sgpr_count 4
		.amdhsa_user_sgpr_dispatch_ptr 1
		.amdhsa_user_sgpr_queue_ptr 0
		.amdhsa_user_sgpr_kernarg_segment_ptr 1
		.amdhsa_user_sgpr_dispatch_id 0
		.amdhsa_user_sgpr_kernarg_preload_length 0
		.amdhsa_user_sgpr_kernarg_preload_offset 0
		.amdhsa_user_sgpr_private_segment_size 0
		.amdhsa_wavefront_size32 1
		.amdhsa_uses_dynamic_stack 0
		.amdhsa_enable_private_segment 1
		.amdhsa_system_sgpr_workgroup_id_x 1
		.amdhsa_system_sgpr_workgroup_id_y 0
		.amdhsa_system_sgpr_workgroup_id_z 0
		.amdhsa_system_sgpr_workgroup_info 0
		.amdhsa_system_vgpr_workitem_id 2
		.amdhsa_next_free_vgpr 156
		.amdhsa_next_free_sgpr 64
		.amdhsa_named_barrier_count 0
		.amdhsa_reserve_vcc 1
		.amdhsa_float_round_mode_32 0
		.amdhsa_float_round_mode_16_64 0
		.amdhsa_float_denorm_mode_32 3
		.amdhsa_float_denorm_mode_16_64 3
		.amdhsa_fp16_overflow 0
		.amdhsa_memory_ordered 1
		.amdhsa_forward_progress 1
		.amdhsa_inst_pref_size 255
		.amdhsa_round_robin_scheduling 0
		.amdhsa_exception_fp_ieee_invalid_op 0
		.amdhsa_exception_fp_denorm_src 0
		.amdhsa_exception_fp_ieee_div_zero 0
		.amdhsa_exception_fp_ieee_overflow 0
		.amdhsa_exception_fp_ieee_underflow 0
		.amdhsa_exception_fp_ieee_inexact 0
		.amdhsa_exception_int_div_zero 0
	.end_amdhsa_kernel
	.section	.text._ZN9rocsolver6v33100L18getri_kernel_smallILi36E19rocblas_complex_numIdEPKPS3_EEvT1_iilPiilS8_bb,"axG",@progbits,_ZN9rocsolver6v33100L18getri_kernel_smallILi36E19rocblas_complex_numIdEPKPS3_EEvT1_iilPiilS8_bb,comdat
.Lfunc_end99:
	.size	_ZN9rocsolver6v33100L18getri_kernel_smallILi36E19rocblas_complex_numIdEPKPS3_EEvT1_iilPiilS8_bb, .Lfunc_end99-_ZN9rocsolver6v33100L18getri_kernel_smallILi36E19rocblas_complex_numIdEPKPS3_EEvT1_iilPiilS8_bb
                                        ; -- End function
	.set _ZN9rocsolver6v33100L18getri_kernel_smallILi36E19rocblas_complex_numIdEPKPS3_EEvT1_iilPiilS8_bb.num_vgpr, 156
	.set _ZN9rocsolver6v33100L18getri_kernel_smallILi36E19rocblas_complex_numIdEPKPS3_EEvT1_iilPiilS8_bb.num_agpr, 0
	.set _ZN9rocsolver6v33100L18getri_kernel_smallILi36E19rocblas_complex_numIdEPKPS3_EEvT1_iilPiilS8_bb.numbered_sgpr, 64
	.set _ZN9rocsolver6v33100L18getri_kernel_smallILi36E19rocblas_complex_numIdEPKPS3_EEvT1_iilPiilS8_bb.num_named_barrier, 0
	.set _ZN9rocsolver6v33100L18getri_kernel_smallILi36E19rocblas_complex_numIdEPKPS3_EEvT1_iilPiilS8_bb.private_seg_size, 592
	.set _ZN9rocsolver6v33100L18getri_kernel_smallILi36E19rocblas_complex_numIdEPKPS3_EEvT1_iilPiilS8_bb.uses_vcc, 1
	.set _ZN9rocsolver6v33100L18getri_kernel_smallILi36E19rocblas_complex_numIdEPKPS3_EEvT1_iilPiilS8_bb.uses_flat_scratch, 1
	.set _ZN9rocsolver6v33100L18getri_kernel_smallILi36E19rocblas_complex_numIdEPKPS3_EEvT1_iilPiilS8_bb.has_dyn_sized_stack, 0
	.set _ZN9rocsolver6v33100L18getri_kernel_smallILi36E19rocblas_complex_numIdEPKPS3_EEvT1_iilPiilS8_bb.has_recursion, 0
	.set _ZN9rocsolver6v33100L18getri_kernel_smallILi36E19rocblas_complex_numIdEPKPS3_EEvT1_iilPiilS8_bb.has_indirect_call, 0
	.section	.AMDGPU.csdata,"",@progbits
; Kernel info:
; codeLenInByte = 55244
; TotalNumSgprs: 66
; NumVgprs: 156
; ScratchSize: 592
; MemoryBound: 0
; FloatMode: 240
; IeeeMode: 1
; LDSByteSize: 2184 bytes/workgroup (compile time only)
; SGPRBlocks: 0
; VGPRBlocks: 9
; NumSGPRsForWavesPerEU: 66
; NumVGPRsForWavesPerEU: 156
; NamedBarCnt: 0
; Occupancy: 6
; WaveLimiterHint : 1
; COMPUTE_PGM_RSRC2:SCRATCH_EN: 1
; COMPUTE_PGM_RSRC2:USER_SGPR: 4
; COMPUTE_PGM_RSRC2:TRAP_HANDLER: 0
; COMPUTE_PGM_RSRC2:TGID_X_EN: 1
; COMPUTE_PGM_RSRC2:TGID_Y_EN: 0
; COMPUTE_PGM_RSRC2:TGID_Z_EN: 0
; COMPUTE_PGM_RSRC2:TIDIG_COMP_CNT: 2
	.section	.text._ZN9rocsolver6v33100L18getri_kernel_smallILi37E19rocblas_complex_numIdEPKPS3_EEvT1_iilPiilS8_bb,"axG",@progbits,_ZN9rocsolver6v33100L18getri_kernel_smallILi37E19rocblas_complex_numIdEPKPS3_EEvT1_iilPiilS8_bb,comdat
	.globl	_ZN9rocsolver6v33100L18getri_kernel_smallILi37E19rocblas_complex_numIdEPKPS3_EEvT1_iilPiilS8_bb ; -- Begin function _ZN9rocsolver6v33100L18getri_kernel_smallILi37E19rocblas_complex_numIdEPKPS3_EEvT1_iilPiilS8_bb
	.p2align	8
	.type	_ZN9rocsolver6v33100L18getri_kernel_smallILi37E19rocblas_complex_numIdEPKPS3_EEvT1_iilPiilS8_bb,@function
_ZN9rocsolver6v33100L18getri_kernel_smallILi37E19rocblas_complex_numIdEPKPS3_EEvT1_iilPiilS8_bb: ; @_ZN9rocsolver6v33100L18getri_kernel_smallILi37E19rocblas_complex_numIdEPKPS3_EEvT1_iilPiilS8_bb
; %bb.0:
	v_and_b32_e32 v1, 0x3ff, v0
	s_mov_b32 s4, exec_lo
	s_delay_alu instid0(VALU_DEP_1)
	v_cmpx_gt_u32_e32 37, v1
	s_cbranch_execz .LBB100_162
; %bb.1:
	s_clause 0x1
	s_load_b32 s16, s[2:3], 0x38
	s_load_b64 s[8:9], s[2:3], 0x0
	s_getreg_b32 s6, hwreg(HW_REG_IB_STS2, 6, 4)
	s_wait_kmcnt 0x0
	s_bitcmp1_b32 s16, 8
	s_cselect_b32 s49, -1, 0
	s_bfe_u32 s4, ttmp6, 0x4000c
	s_and_b32 s5, ttmp6, 15
	s_add_co_i32 s4, s4, 1
	s_delay_alu instid0(SALU_CYCLE_1) | instskip(NEXT) | instid1(SALU_CYCLE_1)
	s_mul_i32 s4, ttmp9, s4
	s_add_co_i32 s5, s5, s4
	s_cmp_eq_u32 s6, 0
	s_cselect_b32 s10, ttmp9, s5
	s_load_b128 s[4:7], s[2:3], 0x28
	s_ashr_i32 s11, s10, 31
	s_delay_alu instid0(SALU_CYCLE_1) | instskip(NEXT) | instid1(SALU_CYCLE_1)
	s_lshl_b64 s[12:13], s[10:11], 3
	s_add_nc_u64 s[8:9], s[8:9], s[12:13]
	s_load_b64 s[14:15], s[8:9], 0x0
	s_wait_xcnt 0x0
	s_bfe_u32 s8, s16, 0x10008
	s_delay_alu instid0(SALU_CYCLE_1)
	s_cmp_eq_u32 s8, 0
                                        ; implicit-def: $sgpr8_sgpr9
	s_cbranch_scc1 .LBB100_3
; %bb.2:
	s_load_b96 s[16:18], s[2:3], 0x18
	s_wait_kmcnt 0x0
	s_mul_u64 s[4:5], s[4:5], s[10:11]
	s_delay_alu instid0(SALU_CYCLE_1) | instskip(SKIP_4) | instid1(SALU_CYCLE_1)
	s_lshl_b64 s[4:5], s[4:5], 2
	s_ashr_i32 s9, s18, 31
	s_mov_b32 s8, s18
	s_add_nc_u64 s[4:5], s[16:17], s[4:5]
	s_lshl_b64 s[8:9], s[8:9], 2
	s_add_nc_u64 s[8:9], s[4:5], s[8:9]
.LBB100_3:
	s_clause 0x1
	s_load_b64 s[12:13], s[2:3], 0x8
	s_load_b32 s50, s[2:3], 0x38
	v_dual_mov_b32 v89, 0 :: v_dual_lshlrev_b32 v88, 4, v1
	s_movk_i32 s51, 0x160
	s_movk_i32 s52, 0x170
	;; [unrolled: 1-line block ×15, first 2 shown]
	s_mov_b32 s18, 16
	s_wait_kmcnt 0x0
	s_ashr_i32 s3, s12, 31
	s_mov_b32 s2, s12
	v_add3_u32 v18, s13, s13, v1
	s_lshl_b64 s[2:3], s[2:3], 4
	s_mov_b32 s16, 32
	s_add_nc_u64 s[4:5], s[14:15], s[2:3]
	s_ashr_i32 s3, s13, 31
	flat_load_b128 v[2:5], v1, s[4:5] scale_offset
	v_add_nc_u64_e32 v[14:15], s[4:5], v[88:89]
	s_mov_b32 s2, s13
	v_add_nc_u32_e32 v20, s13, v18
	s_mov_b32 s14, 48
	s_mov_b32 s12, 64
	s_movk_i32 s48, 0x50
	s_movk_i32 s47, 0x60
	v_lshl_add_u64 v[16:17], s[2:3], 4, v[14:15]
	v_add_nc_u32_e32 v22, s13, v20
	s_movk_i32 s46, 0x70
	s_movk_i32 s45, 0x80
	s_movk_i32 s44, 0x90
	s_movk_i32 s43, 0xa0
	v_add_nc_u32_e32 v24, s13, v22
	s_movk_i32 s42, 0xb0
	s_movk_i32 s41, 0xc0
	s_movk_i32 s40, 0xd0
	s_movk_i32 s39, 0xe0
	;; [unrolled: 5-line block ×3, first 2 shown]
	v_add_nc_u32_e32 v26, s13, v28
	s_movk_i32 s34, 0x130
	s_movk_i32 s33, 0x140
	;; [unrolled: 1-line block ×3, first 2 shown]
	s_mov_b32 s30, s51
	v_add_nc_u32_e32 v30, s13, v26
	s_mov_b32 s29, s52
	s_mov_b32 s28, s53
	s_mov_b32 s27, s54
	s_mov_b32 s26, s55
	v_add_nc_u32_e32 v32, s13, v30
	s_mov_b32 s25, s56
	s_mov_b32 s24, s57
	s_mov_b32 s23, s58
	;; [unrolled: 5-line block ×3, first 2 shown]
	s_mov_b32 s17, s63
	v_add_nc_u32_e32 v36, s13, v34
	s_mov_b32 s15, s64
	s_bitcmp0_b32 s50, 0
	s_mov_b32 s3, -1
	s_delay_alu instid0(VALU_DEP_1) | instskip(NEXT) | instid1(VALU_DEP_1)
	v_add_nc_u32_e32 v38, s13, v36
	v_add_nc_u32_e32 v40, s13, v38
	s_delay_alu instid0(VALU_DEP_1) | instskip(NEXT) | instid1(VALU_DEP_1)
	v_add_nc_u32_e32 v42, s13, v40
	v_add_nc_u32_e32 v44, s13, v42
	;; [unrolled: 3-line block ×12, first 2 shown]
	s_delay_alu instid0(VALU_DEP_1)
	v_add_nc_u32_e32 v86, s13, v84
	s_mov_b32 s13, s65
	s_wait_loadcnt_dscnt 0x0
	scratch_store_b128 off, v[2:5], off
	flat_load_b128 v[2:5], v[16:17]
	s_wait_loadcnt_dscnt 0x0
	scratch_store_b128 off, v[2:5], off offset:16
	flat_load_b128 v[2:5], v18, s[4:5] scale_offset
	s_wait_loadcnt_dscnt 0x0
	scratch_store_b128 off, v[2:5], off offset:32
	flat_load_b128 v[2:5], v20, s[4:5] scale_offset
	;; [unrolled: 3-line block ×35, first 2 shown]
	s_wait_loadcnt_dscnt 0x0
	scratch_store_b128 off, v[2:5], off offset:576
	s_cbranch_scc1 .LBB100_160
; %bb.4:
	v_cmp_eq_u32_e64 s2, 0, v1
	s_wait_xcnt 0x0
	s_and_saveexec_b32 s3, s2
; %bb.5:
	v_mov_b32_e32 v2, 0
	ds_store_b32 v2, v2 offset:1184
; %bb.6:
	s_or_b32 exec_lo, exec_lo, s3
	s_wait_storecnt_dscnt 0x0
	s_barrier_signal -1
	s_barrier_wait -1
	scratch_load_b128 v[2:5], v1, off scale_offset
	s_wait_loadcnt 0x0
	v_cmp_eq_f64_e32 vcc_lo, 0, v[2:3]
	v_cmp_eq_f64_e64 s3, 0, v[4:5]
	s_and_b32 s3, vcc_lo, s3
	s_delay_alu instid0(SALU_CYCLE_1)
	s_and_saveexec_b32 s50, s3
	s_cbranch_execz .LBB100_10
; %bb.7:
	v_mov_b32_e32 v2, 0
	s_mov_b32 s51, 0
	ds_load_b32 v3, v2 offset:1184
	s_wait_dscnt 0x0
	v_readfirstlane_b32 s3, v3
	v_add_nc_u32_e32 v3, 1, v1
	s_cmp_eq_u32 s3, 0
	s_delay_alu instid0(VALU_DEP_1) | instskip(SKIP_1) | instid1(SALU_CYCLE_1)
	v_cmp_gt_i32_e32 vcc_lo, s3, v3
	s_cselect_b32 s52, -1, 0
	s_or_b32 s52, s52, vcc_lo
	s_delay_alu instid0(SALU_CYCLE_1)
	s_and_b32 exec_lo, exec_lo, s52
	s_cbranch_execz .LBB100_10
; %bb.8:
	v_mov_b32_e32 v4, s3
.LBB100_9:                              ; =>This Inner Loop Header: Depth=1
	ds_cmpstore_rtn_b32 v4, v2, v3, v4 offset:1184
	s_wait_dscnt 0x0
	v_cmp_ne_u32_e32 vcc_lo, 0, v4
	v_cmp_le_i32_e64 s3, v4, v3
	s_and_b32 s3, vcc_lo, s3
	s_delay_alu instid0(SALU_CYCLE_1) | instskip(NEXT) | instid1(SALU_CYCLE_1)
	s_and_b32 s3, exec_lo, s3
	s_or_b32 s51, s3, s51
	s_delay_alu instid0(SALU_CYCLE_1)
	s_and_not1_b32 exec_lo, exec_lo, s51
	s_cbranch_execnz .LBB100_9
.LBB100_10:
	s_or_b32 exec_lo, exec_lo, s50
	v_mov_b32_e32 v2, 0
	s_barrier_signal -1
	s_barrier_wait -1
	ds_load_b32 v3, v2 offset:1184
	s_and_saveexec_b32 s3, s2
	s_cbranch_execz .LBB100_12
; %bb.11:
	s_lshl_b64 s[50:51], s[10:11], 2
	s_delay_alu instid0(SALU_CYCLE_1)
	s_add_nc_u64 s[50:51], s[6:7], s[50:51]
	s_wait_dscnt 0x0
	global_store_b32 v2, v3, s[50:51]
.LBB100_12:
	s_wait_xcnt 0x0
	s_or_b32 exec_lo, exec_lo, s3
	s_wait_dscnt 0x0
	v_cmp_ne_u32_e32 vcc_lo, 0, v3
	s_mov_b32 s3, 0
	s_cbranch_vccnz .LBB100_160
; %bb.13:
	v_lshl_add_u32 v19, v1, 4, 0
                                        ; implicit-def: $vgpr6_vgpr7
                                        ; implicit-def: $vgpr10_vgpr11
	scratch_load_b128 v[2:5], v19, off
	s_wait_loadcnt 0x0
	v_cmp_ngt_f64_e64 s3, |v[2:3]|, |v[4:5]|
	s_wait_xcnt 0x0
	s_and_saveexec_b32 s50, s3
	s_delay_alu instid0(SALU_CYCLE_1)
	s_xor_b32 s3, exec_lo, s50
	s_cbranch_execz .LBB100_15
; %bb.14:
	v_div_scale_f64 v[6:7], null, v[4:5], v[4:5], v[2:3]
	v_div_scale_f64 v[12:13], vcc_lo, v[2:3], v[4:5], v[2:3]
	s_delay_alu instid0(VALU_DEP_2) | instskip(SKIP_1) | instid1(TRANS32_DEP_1)
	v_rcp_f64_e32 v[8:9], v[6:7]
	v_nop
	v_fma_f64 v[10:11], -v[6:7], v[8:9], 1.0
	s_delay_alu instid0(VALU_DEP_1) | instskip(NEXT) | instid1(VALU_DEP_1)
	v_fmac_f64_e32 v[8:9], v[8:9], v[10:11]
	v_fma_f64 v[10:11], -v[6:7], v[8:9], 1.0
	s_delay_alu instid0(VALU_DEP_1) | instskip(NEXT) | instid1(VALU_DEP_1)
	v_fmac_f64_e32 v[8:9], v[8:9], v[10:11]
	v_mul_f64_e32 v[10:11], v[12:13], v[8:9]
	s_delay_alu instid0(VALU_DEP_1) | instskip(NEXT) | instid1(VALU_DEP_1)
	v_fma_f64 v[6:7], -v[6:7], v[10:11], v[12:13]
	v_div_fmas_f64 v[6:7], v[6:7], v[8:9], v[10:11]
	s_delay_alu instid0(VALU_DEP_1) | instskip(NEXT) | instid1(VALU_DEP_1)
	v_div_fixup_f64 v[6:7], v[6:7], v[4:5], v[2:3]
	v_fmac_f64_e32 v[4:5], v[2:3], v[6:7]
	s_delay_alu instid0(VALU_DEP_1) | instskip(SKIP_1) | instid1(VALU_DEP_2)
	v_div_scale_f64 v[2:3], null, v[4:5], v[4:5], 1.0
	v_div_scale_f64 v[12:13], vcc_lo, 1.0, v[4:5], 1.0
	v_rcp_f64_e32 v[8:9], v[2:3]
	v_nop
	s_delay_alu instid0(TRANS32_DEP_1) | instskip(NEXT) | instid1(VALU_DEP_1)
	v_fma_f64 v[10:11], -v[2:3], v[8:9], 1.0
	v_fmac_f64_e32 v[8:9], v[8:9], v[10:11]
	s_delay_alu instid0(VALU_DEP_1) | instskip(NEXT) | instid1(VALU_DEP_1)
	v_fma_f64 v[10:11], -v[2:3], v[8:9], 1.0
	v_fmac_f64_e32 v[8:9], v[8:9], v[10:11]
	s_delay_alu instid0(VALU_DEP_1) | instskip(NEXT) | instid1(VALU_DEP_1)
	v_mul_f64_e32 v[10:11], v[12:13], v[8:9]
	v_fma_f64 v[2:3], -v[2:3], v[10:11], v[12:13]
	s_delay_alu instid0(VALU_DEP_1) | instskip(NEXT) | instid1(VALU_DEP_1)
	v_div_fmas_f64 v[2:3], v[2:3], v[8:9], v[10:11]
	v_div_fixup_f64 v[8:9], v[2:3], v[4:5], 1.0
                                        ; implicit-def: $vgpr2_vgpr3
	s_delay_alu instid0(VALU_DEP_1) | instskip(SKIP_1) | instid1(VALU_DEP_2)
	v_mul_f64_e32 v[6:7], v[6:7], v[8:9]
	v_xor_b32_e32 v9, 0x80000000, v9
	v_xor_b32_e32 v11, 0x80000000, v7
	s_delay_alu instid0(VALU_DEP_3)
	v_mov_b32_e32 v10, v6
.LBB100_15:
	s_and_not1_saveexec_b32 s3, s3
	s_cbranch_execz .LBB100_17
; %bb.16:
	v_div_scale_f64 v[6:7], null, v[2:3], v[2:3], v[4:5]
	v_div_scale_f64 v[12:13], vcc_lo, v[4:5], v[2:3], v[4:5]
	s_delay_alu instid0(VALU_DEP_2) | instskip(SKIP_1) | instid1(TRANS32_DEP_1)
	v_rcp_f64_e32 v[8:9], v[6:7]
	v_nop
	v_fma_f64 v[10:11], -v[6:7], v[8:9], 1.0
	s_delay_alu instid0(VALU_DEP_1) | instskip(NEXT) | instid1(VALU_DEP_1)
	v_fmac_f64_e32 v[8:9], v[8:9], v[10:11]
	v_fma_f64 v[10:11], -v[6:7], v[8:9], 1.0
	s_delay_alu instid0(VALU_DEP_1) | instskip(NEXT) | instid1(VALU_DEP_1)
	v_fmac_f64_e32 v[8:9], v[8:9], v[10:11]
	v_mul_f64_e32 v[10:11], v[12:13], v[8:9]
	s_delay_alu instid0(VALU_DEP_1) | instskip(NEXT) | instid1(VALU_DEP_1)
	v_fma_f64 v[6:7], -v[6:7], v[10:11], v[12:13]
	v_div_fmas_f64 v[6:7], v[6:7], v[8:9], v[10:11]
	s_delay_alu instid0(VALU_DEP_1) | instskip(NEXT) | instid1(VALU_DEP_1)
	v_div_fixup_f64 v[8:9], v[6:7], v[2:3], v[4:5]
	v_fmac_f64_e32 v[2:3], v[4:5], v[8:9]
	s_delay_alu instid0(VALU_DEP_1) | instskip(NEXT) | instid1(VALU_DEP_1)
	v_div_scale_f64 v[4:5], null, v[2:3], v[2:3], 1.0
	v_rcp_f64_e32 v[6:7], v[4:5]
	v_nop
	s_delay_alu instid0(TRANS32_DEP_1) | instskip(NEXT) | instid1(VALU_DEP_1)
	v_fma_f64 v[10:11], -v[4:5], v[6:7], 1.0
	v_fmac_f64_e32 v[6:7], v[6:7], v[10:11]
	s_delay_alu instid0(VALU_DEP_1) | instskip(NEXT) | instid1(VALU_DEP_1)
	v_fma_f64 v[10:11], -v[4:5], v[6:7], 1.0
	v_fmac_f64_e32 v[6:7], v[6:7], v[10:11]
	v_div_scale_f64 v[10:11], vcc_lo, 1.0, v[2:3], 1.0
	s_delay_alu instid0(VALU_DEP_1) | instskip(NEXT) | instid1(VALU_DEP_1)
	v_mul_f64_e32 v[12:13], v[10:11], v[6:7]
	v_fma_f64 v[4:5], -v[4:5], v[12:13], v[10:11]
	s_delay_alu instid0(VALU_DEP_1) | instskip(NEXT) | instid1(VALU_DEP_1)
	v_div_fmas_f64 v[4:5], v[4:5], v[6:7], v[12:13]
	v_div_fixup_f64 v[6:7], v[4:5], v[2:3], 1.0
	s_delay_alu instid0(VALU_DEP_1)
	v_mul_f64_e64 v[8:9], v[8:9], -v[6:7]
	v_xor_b32_e32 v11, 0x80000000, v7
	v_mov_b32_e32 v10, v6
.LBB100_17:
	s_or_b32 exec_lo, exec_lo, s3
	s_clause 0x1
	scratch_store_b128 v19, v[6:9], off
	scratch_load_b128 v[2:5], off, s18
	v_xor_b32_e32 v13, 0x80000000, v9
	v_mov_b32_e32 v12, v8
	s_wait_xcnt 0x1
	v_add_nc_u32_e32 v6, 0x250, v88
	ds_store_b128 v88, v[10:13]
	s_wait_loadcnt 0x0
	ds_store_b128 v88, v[2:5] offset:592
	s_wait_storecnt_dscnt 0x0
	s_barrier_signal -1
	s_barrier_wait -1
	s_wait_xcnt 0x0
	s_and_saveexec_b32 s3, s2
	s_cbranch_execz .LBB100_19
; %bb.18:
	scratch_load_b128 v[2:5], v19, off
	ds_load_b128 v[8:11], v6
	v_mov_b32_e32 v7, 0
	ds_load_b128 v[90:93], v7 offset:16
	s_wait_loadcnt_dscnt 0x1
	v_mul_f64_e32 v[12:13], v[8:9], v[4:5]
	v_mul_f64_e32 v[4:5], v[10:11], v[4:5]
	s_delay_alu instid0(VALU_DEP_2) | instskip(NEXT) | instid1(VALU_DEP_2)
	v_fmac_f64_e32 v[12:13], v[10:11], v[2:3]
	v_fma_f64 v[2:3], v[8:9], v[2:3], -v[4:5]
	s_delay_alu instid0(VALU_DEP_2) | instskip(NEXT) | instid1(VALU_DEP_2)
	v_add_f64_e32 v[8:9], 0, v[12:13]
	v_add_f64_e32 v[2:3], 0, v[2:3]
	s_wait_dscnt 0x0
	s_delay_alu instid0(VALU_DEP_2) | instskip(NEXT) | instid1(VALU_DEP_2)
	v_mul_f64_e32 v[10:11], v[8:9], v[92:93]
	v_mul_f64_e32 v[4:5], v[2:3], v[92:93]
	s_delay_alu instid0(VALU_DEP_2) | instskip(NEXT) | instid1(VALU_DEP_2)
	v_fma_f64 v[2:3], v[2:3], v[90:91], -v[10:11]
	v_fmac_f64_e32 v[4:5], v[8:9], v[90:91]
	scratch_store_b128 off, v[2:5], off offset:16
.LBB100_19:
	s_wait_xcnt 0x0
	s_or_b32 exec_lo, exec_lo, s3
	s_wait_storecnt 0x0
	s_barrier_signal -1
	s_barrier_wait -1
	scratch_load_b128 v[2:5], off, s16
	s_mov_b32 s3, exec_lo
	s_wait_loadcnt 0x0
	ds_store_b128 v6, v[2:5]
	s_wait_dscnt 0x0
	s_barrier_signal -1
	s_barrier_wait -1
	v_cmpx_gt_u32_e32 2, v1
	s_cbranch_execz .LBB100_23
; %bb.20:
	scratch_load_b128 v[2:5], v19, off
	ds_load_b128 v[8:11], v6
	s_wait_loadcnt_dscnt 0x0
	v_mul_f64_e32 v[12:13], v[10:11], v[4:5]
	v_mul_f64_e32 v[90:91], v[8:9], v[4:5]
	s_delay_alu instid0(VALU_DEP_2) | instskip(NEXT) | instid1(VALU_DEP_2)
	v_fma_f64 v[4:5], v[8:9], v[2:3], -v[12:13]
	v_fmac_f64_e32 v[90:91], v[10:11], v[2:3]
	s_delay_alu instid0(VALU_DEP_2) | instskip(NEXT) | instid1(VALU_DEP_2)
	v_add_f64_e32 v[4:5], 0, v[4:5]
	v_add_f64_e32 v[2:3], 0, v[90:91]
	s_and_saveexec_b32 s50, s2
	s_cbranch_execz .LBB100_22
; %bb.21:
	scratch_load_b128 v[8:11], off, off offset:16
	v_mov_b32_e32 v7, 0
	ds_load_b128 v[90:93], v7 offset:608
	s_wait_loadcnt_dscnt 0x0
	v_mul_f64_e32 v[12:13], v[90:91], v[10:11]
	v_mul_f64_e32 v[10:11], v[92:93], v[10:11]
	s_delay_alu instid0(VALU_DEP_2) | instskip(NEXT) | instid1(VALU_DEP_2)
	v_fmac_f64_e32 v[12:13], v[92:93], v[8:9]
	v_fma_f64 v[8:9], v[90:91], v[8:9], -v[10:11]
	s_delay_alu instid0(VALU_DEP_2) | instskip(NEXT) | instid1(VALU_DEP_2)
	v_add_f64_e32 v[2:3], v[2:3], v[12:13]
	v_add_f64_e32 v[4:5], v[4:5], v[8:9]
.LBB100_22:
	s_or_b32 exec_lo, exec_lo, s50
	v_mov_b32_e32 v7, 0
	ds_load_b128 v[8:11], v7 offset:32
	s_wait_dscnt 0x0
	v_mul_f64_e32 v[90:91], v[2:3], v[10:11]
	v_mul_f64_e32 v[12:13], v[4:5], v[10:11]
	s_delay_alu instid0(VALU_DEP_2) | instskip(NEXT) | instid1(VALU_DEP_2)
	v_fma_f64 v[10:11], v[4:5], v[8:9], -v[90:91]
	v_fmac_f64_e32 v[12:13], v[2:3], v[8:9]
	scratch_store_b128 off, v[10:13], off offset:32
.LBB100_23:
	s_wait_xcnt 0x0
	s_or_b32 exec_lo, exec_lo, s3
	s_wait_storecnt 0x0
	s_barrier_signal -1
	s_barrier_wait -1
	scratch_load_b128 v[2:5], off, s14
	v_add_nc_u32_e32 v7, -1, v1
	s_mov_b32 s2, exec_lo
	s_wait_loadcnt 0x0
	ds_store_b128 v6, v[2:5]
	s_wait_dscnt 0x0
	s_barrier_signal -1
	s_barrier_wait -1
	v_cmpx_gt_u32_e32 3, v1
	s_cbranch_execz .LBB100_27
; %bb.24:
	v_dual_mov_b32 v10, v88 :: v_dual_add_nc_u32 v8, -1, v1
	v_mov_b64_e32 v[2:3], 0
	v_mov_b64_e32 v[4:5], 0
	v_add_nc_u32_e32 v9, 0x250, v88
	s_delay_alu instid0(VALU_DEP_4)
	v_or_b32_e32 v10, 8, v10
	s_mov_b32 s3, 0
.LBB100_25:                             ; =>This Inner Loop Header: Depth=1
	scratch_load_b128 v[90:93], v10, off offset:-8
	ds_load_b128 v[94:97], v9
	s_wait_xcnt 0x0
	v_dual_add_nc_u32 v9, 16, v9 :: v_dual_add_nc_u32 v10, 16, v10
	v_add_nc_u32_e32 v8, 1, v8
	s_delay_alu instid0(VALU_DEP_1) | instskip(SKIP_4) | instid1(VALU_DEP_2)
	v_cmp_lt_u32_e32 vcc_lo, 1, v8
	s_or_b32 s3, vcc_lo, s3
	s_wait_loadcnt_dscnt 0x0
	v_mul_f64_e32 v[12:13], v[96:97], v[92:93]
	v_mul_f64_e32 v[92:93], v[94:95], v[92:93]
	v_fma_f64 v[12:13], v[94:95], v[90:91], -v[12:13]
	s_delay_alu instid0(VALU_DEP_2) | instskip(NEXT) | instid1(VALU_DEP_2)
	v_fmac_f64_e32 v[92:93], v[96:97], v[90:91]
	v_add_f64_e32 v[4:5], v[4:5], v[12:13]
	s_delay_alu instid0(VALU_DEP_2)
	v_add_f64_e32 v[2:3], v[2:3], v[92:93]
	s_and_not1_b32 exec_lo, exec_lo, s3
	s_cbranch_execnz .LBB100_25
; %bb.26:
	s_or_b32 exec_lo, exec_lo, s3
	v_mov_b32_e32 v8, 0
	ds_load_b128 v[8:11], v8 offset:48
	s_wait_dscnt 0x0
	v_mul_f64_e32 v[90:91], v[2:3], v[10:11]
	v_mul_f64_e32 v[12:13], v[4:5], v[10:11]
	s_delay_alu instid0(VALU_DEP_2) | instskip(NEXT) | instid1(VALU_DEP_2)
	v_fma_f64 v[10:11], v[4:5], v[8:9], -v[90:91]
	v_fmac_f64_e32 v[12:13], v[2:3], v[8:9]
	scratch_store_b128 off, v[10:13], off offset:48
.LBB100_27:
	s_wait_xcnt 0x0
	s_or_b32 exec_lo, exec_lo, s2
	s_wait_storecnt 0x0
	s_barrier_signal -1
	s_barrier_wait -1
	scratch_load_b128 v[2:5], off, s12
	s_mov_b32 s2, exec_lo
	s_wait_loadcnt 0x0
	ds_store_b128 v6, v[2:5]
	s_wait_dscnt 0x0
	s_barrier_signal -1
	s_barrier_wait -1
	v_cmpx_gt_u32_e32 4, v1
	s_cbranch_execz .LBB100_31
; %bb.28:
	v_dual_mov_b32 v10, v88 :: v_dual_add_nc_u32 v8, -1, v1
	v_mov_b64_e32 v[2:3], 0
	v_mov_b64_e32 v[4:5], 0
	v_add_nc_u32_e32 v9, 0x250, v88
	s_delay_alu instid0(VALU_DEP_4)
	v_or_b32_e32 v10, 8, v10
	s_mov_b32 s3, 0
.LBB100_29:                             ; =>This Inner Loop Header: Depth=1
	scratch_load_b128 v[90:93], v10, off offset:-8
	ds_load_b128 v[94:97], v9
	s_wait_xcnt 0x0
	v_dual_add_nc_u32 v9, 16, v9 :: v_dual_add_nc_u32 v10, 16, v10
	v_add_nc_u32_e32 v8, 1, v8
	s_delay_alu instid0(VALU_DEP_1) | instskip(SKIP_4) | instid1(VALU_DEP_2)
	v_cmp_lt_u32_e32 vcc_lo, 2, v8
	s_or_b32 s3, vcc_lo, s3
	s_wait_loadcnt_dscnt 0x0
	v_mul_f64_e32 v[12:13], v[96:97], v[92:93]
	v_mul_f64_e32 v[92:93], v[94:95], v[92:93]
	v_fma_f64 v[12:13], v[94:95], v[90:91], -v[12:13]
	s_delay_alu instid0(VALU_DEP_2) | instskip(NEXT) | instid1(VALU_DEP_2)
	v_fmac_f64_e32 v[92:93], v[96:97], v[90:91]
	v_add_f64_e32 v[4:5], v[4:5], v[12:13]
	s_delay_alu instid0(VALU_DEP_2)
	v_add_f64_e32 v[2:3], v[2:3], v[92:93]
	s_and_not1_b32 exec_lo, exec_lo, s3
	s_cbranch_execnz .LBB100_29
; %bb.30:
	s_or_b32 exec_lo, exec_lo, s3
	v_mov_b32_e32 v8, 0
	ds_load_b128 v[8:11], v8 offset:64
	s_wait_dscnt 0x0
	v_mul_f64_e32 v[90:91], v[2:3], v[10:11]
	v_mul_f64_e32 v[12:13], v[4:5], v[10:11]
	s_delay_alu instid0(VALU_DEP_2) | instskip(NEXT) | instid1(VALU_DEP_2)
	v_fma_f64 v[10:11], v[4:5], v[8:9], -v[90:91]
	v_fmac_f64_e32 v[12:13], v[2:3], v[8:9]
	scratch_store_b128 off, v[10:13], off offset:64
.LBB100_31:
	s_wait_xcnt 0x0
	s_or_b32 exec_lo, exec_lo, s2
	s_wait_storecnt 0x0
	s_barrier_signal -1
	s_barrier_wait -1
	scratch_load_b128 v[2:5], off, s48
	;; [unrolled: 54-line block ×19, first 2 shown]
	s_mov_b32 s2, exec_lo
	s_wait_loadcnt 0x0
	ds_store_b128 v6, v[2:5]
	s_wait_dscnt 0x0
	s_barrier_signal -1
	s_barrier_wait -1
	v_cmpx_gt_u32_e32 22, v1
	s_cbranch_execz .LBB100_103
; %bb.100:
	v_dual_mov_b32 v10, v88 :: v_dual_add_nc_u32 v8, -1, v1
	v_mov_b64_e32 v[2:3], 0
	v_mov_b64_e32 v[4:5], 0
	v_add_nc_u32_e32 v9, 0x250, v88
	s_delay_alu instid0(VALU_DEP_4)
	v_or_b32_e32 v10, 8, v10
	s_mov_b32 s3, 0
.LBB100_101:                            ; =>This Inner Loop Header: Depth=1
	scratch_load_b128 v[90:93], v10, off offset:-8
	ds_load_b128 v[94:97], v9
	s_wait_xcnt 0x0
	v_dual_add_nc_u32 v9, 16, v9 :: v_dual_add_nc_u32 v10, 16, v10
	v_add_nc_u32_e32 v8, 1, v8
	s_delay_alu instid0(VALU_DEP_1) | instskip(SKIP_4) | instid1(VALU_DEP_2)
	v_cmp_lt_u32_e32 vcc_lo, 20, v8
	s_or_b32 s3, vcc_lo, s3
	s_wait_loadcnt_dscnt 0x0
	v_mul_f64_e32 v[12:13], v[96:97], v[92:93]
	v_mul_f64_e32 v[92:93], v[94:95], v[92:93]
	v_fma_f64 v[12:13], v[94:95], v[90:91], -v[12:13]
	s_delay_alu instid0(VALU_DEP_2) | instskip(NEXT) | instid1(VALU_DEP_2)
	v_fmac_f64_e32 v[92:93], v[96:97], v[90:91]
	v_add_f64_e32 v[4:5], v[4:5], v[12:13]
	s_delay_alu instid0(VALU_DEP_2)
	v_add_f64_e32 v[2:3], v[2:3], v[92:93]
	s_and_not1_b32 exec_lo, exec_lo, s3
	s_cbranch_execnz .LBB100_101
; %bb.102:
	s_or_b32 exec_lo, exec_lo, s3
	v_mov_b32_e32 v8, 0
	ds_load_b128 v[8:11], v8 offset:352
	s_wait_dscnt 0x0
	v_mul_f64_e32 v[90:91], v[2:3], v[10:11]
	v_mul_f64_e32 v[12:13], v[4:5], v[10:11]
	s_delay_alu instid0(VALU_DEP_2) | instskip(NEXT) | instid1(VALU_DEP_2)
	v_fma_f64 v[10:11], v[4:5], v[8:9], -v[90:91]
	v_fmac_f64_e32 v[12:13], v[2:3], v[8:9]
	scratch_store_b128 off, v[10:13], off offset:352
.LBB100_103:
	s_wait_xcnt 0x0
	s_or_b32 exec_lo, exec_lo, s2
	s_wait_storecnt 0x0
	s_barrier_signal -1
	s_barrier_wait -1
	scratch_load_b128 v[2:5], off, s29
	s_mov_b32 s2, exec_lo
	s_wait_loadcnt 0x0
	ds_store_b128 v6, v[2:5]
	s_wait_dscnt 0x0
	s_barrier_signal -1
	s_barrier_wait -1
	v_cmpx_gt_u32_e32 23, v1
	s_cbranch_execz .LBB100_107
; %bb.104:
	v_dual_mov_b32 v10, v88 :: v_dual_add_nc_u32 v8, -1, v1
	v_mov_b64_e32 v[2:3], 0
	v_mov_b64_e32 v[4:5], 0
	v_add_nc_u32_e32 v9, 0x250, v88
	s_delay_alu instid0(VALU_DEP_4)
	v_or_b32_e32 v10, 8, v10
	s_mov_b32 s3, 0
.LBB100_105:                            ; =>This Inner Loop Header: Depth=1
	scratch_load_b128 v[90:93], v10, off offset:-8
	ds_load_b128 v[94:97], v9
	s_wait_xcnt 0x0
	v_dual_add_nc_u32 v9, 16, v9 :: v_dual_add_nc_u32 v10, 16, v10
	v_add_nc_u32_e32 v8, 1, v8
	s_delay_alu instid0(VALU_DEP_1) | instskip(SKIP_4) | instid1(VALU_DEP_2)
	v_cmp_lt_u32_e32 vcc_lo, 21, v8
	s_or_b32 s3, vcc_lo, s3
	s_wait_loadcnt_dscnt 0x0
	v_mul_f64_e32 v[12:13], v[96:97], v[92:93]
	v_mul_f64_e32 v[92:93], v[94:95], v[92:93]
	v_fma_f64 v[12:13], v[94:95], v[90:91], -v[12:13]
	s_delay_alu instid0(VALU_DEP_2) | instskip(NEXT) | instid1(VALU_DEP_2)
	v_fmac_f64_e32 v[92:93], v[96:97], v[90:91]
	v_add_f64_e32 v[4:5], v[4:5], v[12:13]
	s_delay_alu instid0(VALU_DEP_2)
	v_add_f64_e32 v[2:3], v[2:3], v[92:93]
	s_and_not1_b32 exec_lo, exec_lo, s3
	s_cbranch_execnz .LBB100_105
; %bb.106:
	s_or_b32 exec_lo, exec_lo, s3
	v_mov_b32_e32 v8, 0
	ds_load_b128 v[8:11], v8 offset:368
	s_wait_dscnt 0x0
	v_mul_f64_e32 v[90:91], v[2:3], v[10:11]
	v_mul_f64_e32 v[12:13], v[4:5], v[10:11]
	s_delay_alu instid0(VALU_DEP_2) | instskip(NEXT) | instid1(VALU_DEP_2)
	v_fma_f64 v[10:11], v[4:5], v[8:9], -v[90:91]
	v_fmac_f64_e32 v[12:13], v[2:3], v[8:9]
	scratch_store_b128 off, v[10:13], off offset:368
.LBB100_107:
	s_wait_xcnt 0x0
	s_or_b32 exec_lo, exec_lo, s2
	s_wait_storecnt 0x0
	s_barrier_signal -1
	s_barrier_wait -1
	scratch_load_b128 v[2:5], off, s28
	;; [unrolled: 54-line block ×14, first 2 shown]
	s_mov_b32 s2, exec_lo
	s_wait_loadcnt 0x0
	ds_store_b128 v6, v[2:5]
	s_wait_dscnt 0x0
	s_barrier_signal -1
	s_barrier_wait -1
	v_cmpx_ne_u32_e32 36, v1
	s_cbranch_execz .LBB100_159
; %bb.156:
	v_mov_b32_e32 v8, v88
	v_mov_b64_e32 v[2:3], 0
	v_mov_b64_e32 v[4:5], 0
	s_mov_b32 s3, 0
	s_delay_alu instid0(VALU_DEP_3)
	v_or_b32_e32 v8, 8, v8
.LBB100_157:                            ; =>This Inner Loop Header: Depth=1
	scratch_load_b128 v[10:13], v8, off offset:-8
	ds_load_b128 v[88:91], v6
	v_dual_add_nc_u32 v7, 1, v7 :: v_dual_add_nc_u32 v6, 16, v6
	s_wait_xcnt 0x0
	v_add_nc_u32_e32 v8, 16, v8
	s_delay_alu instid0(VALU_DEP_2) | instskip(SKIP_4) | instid1(VALU_DEP_2)
	v_cmp_lt_u32_e32 vcc_lo, 34, v7
	s_or_b32 s3, vcc_lo, s3
	s_wait_loadcnt_dscnt 0x0
	v_mul_f64_e32 v[92:93], v[90:91], v[12:13]
	v_mul_f64_e32 v[12:13], v[88:89], v[12:13]
	v_fma_f64 v[88:89], v[88:89], v[10:11], -v[92:93]
	s_delay_alu instid0(VALU_DEP_2) | instskip(NEXT) | instid1(VALU_DEP_2)
	v_fmac_f64_e32 v[12:13], v[90:91], v[10:11]
	v_add_f64_e32 v[4:5], v[4:5], v[88:89]
	s_delay_alu instid0(VALU_DEP_2)
	v_add_f64_e32 v[2:3], v[2:3], v[12:13]
	s_and_not1_b32 exec_lo, exec_lo, s3
	s_cbranch_execnz .LBB100_157
; %bb.158:
	s_or_b32 exec_lo, exec_lo, s3
	v_mov_b32_e32 v6, 0
	ds_load_b128 v[6:9], v6 offset:576
	s_wait_dscnt 0x0
	v_mul_f64_e32 v[12:13], v[2:3], v[8:9]
	v_mul_f64_e32 v[10:11], v[4:5], v[8:9]
	s_delay_alu instid0(VALU_DEP_2) | instskip(NEXT) | instid1(VALU_DEP_2)
	v_fma_f64 v[8:9], v[4:5], v[6:7], -v[12:13]
	v_fmac_f64_e32 v[10:11], v[2:3], v[6:7]
	scratch_store_b128 off, v[8:11], off offset:576
.LBB100_159:
	s_wait_xcnt 0x0
	s_or_b32 exec_lo, exec_lo, s2
	s_mov_b32 s3, -1
	s_wait_storecnt 0x0
	s_barrier_signal -1
	s_barrier_wait -1
.LBB100_160:
	s_and_b32 vcc_lo, exec_lo, s3
	s_cbranch_vccz .LBB100_162
; %bb.161:
	s_wait_xcnt 0x0
	v_mov_b32_e32 v2, 0
	s_lshl_b64 s[2:3], s[10:11], 2
	s_delay_alu instid0(SALU_CYCLE_1)
	s_add_nc_u64 s[2:3], s[6:7], s[2:3]
	global_load_b32 v2, v2, s[2:3]
	s_wait_loadcnt 0x0
	v_cmp_ne_u32_e32 vcc_lo, 0, v2
	s_cbranch_vccz .LBB100_163
.LBB100_162:
	s_sendmsg sendmsg(MSG_DEALLOC_VGPRS)
	s_endpgm
.LBB100_163:
	v_lshl_add_u32 v6, v1, 4, 0x250
	s_wait_xcnt 0x0
	s_mov_b32 s2, exec_lo
	v_cmpx_eq_u32_e32 36, v1
	s_cbranch_execz .LBB100_165
; %bb.164:
	scratch_load_b128 v[2:5], off, s15
	v_mov_b32_e32 v8, 0
	s_delay_alu instid0(VALU_DEP_1)
	v_dual_mov_b32 v9, v8 :: v_dual_mov_b32 v10, v8
	v_mov_b32_e32 v11, v8
	scratch_store_b128 off, v[8:11], off offset:560
	s_wait_loadcnt 0x0
	ds_store_b128 v6, v[2:5]
.LBB100_165:
	s_wait_xcnt 0x0
	s_or_b32 exec_lo, exec_lo, s2
	s_wait_storecnt_dscnt 0x0
	s_barrier_signal -1
	s_barrier_wait -1
	s_clause 0x1
	scratch_load_b128 v[8:11], off, off offset:576
	scratch_load_b128 v[88:91], off, off offset:560
	v_mov_b32_e32 v2, 0
	s_mov_b32 s2, exec_lo
	ds_load_b128 v[92:95], v2 offset:1168
	s_wait_loadcnt_dscnt 0x100
	v_mul_f64_e32 v[4:5], v[94:95], v[10:11]
	v_mul_f64_e32 v[10:11], v[92:93], v[10:11]
	s_delay_alu instid0(VALU_DEP_2) | instskip(NEXT) | instid1(VALU_DEP_2)
	v_fma_f64 v[4:5], v[92:93], v[8:9], -v[4:5]
	v_fmac_f64_e32 v[10:11], v[94:95], v[8:9]
	s_delay_alu instid0(VALU_DEP_2) | instskip(NEXT) | instid1(VALU_DEP_2)
	v_add_f64_e32 v[4:5], 0, v[4:5]
	v_add_f64_e32 v[10:11], 0, v[10:11]
	s_wait_loadcnt 0x0
	s_delay_alu instid0(VALU_DEP_2) | instskip(NEXT) | instid1(VALU_DEP_2)
	v_add_f64_e64 v[8:9], v[88:89], -v[4:5]
	v_add_f64_e64 v[10:11], v[90:91], -v[10:11]
	scratch_store_b128 off, v[8:11], off offset:560
	s_wait_xcnt 0x0
	v_cmpx_lt_u32_e32 34, v1
	s_cbranch_execz .LBB100_167
; %bb.166:
	scratch_load_b128 v[8:11], off, s17
	v_dual_mov_b32 v3, v2 :: v_dual_mov_b32 v4, v2
	v_mov_b32_e32 v5, v2
	scratch_store_b128 off, v[2:5], off offset:544
	s_wait_loadcnt 0x0
	ds_store_b128 v6, v[8:11]
.LBB100_167:
	s_wait_xcnt 0x0
	s_or_b32 exec_lo, exec_lo, s2
	s_wait_storecnt_dscnt 0x0
	s_barrier_signal -1
	s_barrier_wait -1
	s_clause 0x2
	scratch_load_b128 v[8:11], off, off offset:560
	scratch_load_b128 v[88:91], off, off offset:576
	scratch_load_b128 v[92:95], off, off offset:544
	ds_load_b128 v[96:99], v2 offset:1152
	ds_load_b128 v[2:5], v2 offset:1168
	s_mov_b32 s2, exec_lo
	s_wait_loadcnt_dscnt 0x201
	v_mul_f64_e32 v[12:13], v[98:99], v[10:11]
	v_mul_f64_e32 v[10:11], v[96:97], v[10:11]
	s_wait_loadcnt_dscnt 0x100
	v_mul_f64_e32 v[100:101], v[2:3], v[90:91]
	v_mul_f64_e32 v[90:91], v[4:5], v[90:91]
	s_delay_alu instid0(VALU_DEP_4) | instskip(NEXT) | instid1(VALU_DEP_4)
	v_fma_f64 v[12:13], v[96:97], v[8:9], -v[12:13]
	v_fmac_f64_e32 v[10:11], v[98:99], v[8:9]
	s_delay_alu instid0(VALU_DEP_4) | instskip(NEXT) | instid1(VALU_DEP_4)
	v_fmac_f64_e32 v[100:101], v[4:5], v[88:89]
	v_fma_f64 v[2:3], v[2:3], v[88:89], -v[90:91]
	s_delay_alu instid0(VALU_DEP_4) | instskip(NEXT) | instid1(VALU_DEP_4)
	v_add_f64_e32 v[4:5], 0, v[12:13]
	v_add_f64_e32 v[8:9], 0, v[10:11]
	s_delay_alu instid0(VALU_DEP_2) | instskip(NEXT) | instid1(VALU_DEP_2)
	v_add_f64_e32 v[2:3], v[4:5], v[2:3]
	v_add_f64_e32 v[4:5], v[8:9], v[100:101]
	s_wait_loadcnt 0x0
	s_delay_alu instid0(VALU_DEP_2) | instskip(NEXT) | instid1(VALU_DEP_2)
	v_add_f64_e64 v[2:3], v[92:93], -v[2:3]
	v_add_f64_e64 v[4:5], v[94:95], -v[4:5]
	scratch_store_b128 off, v[2:5], off offset:544
	s_wait_xcnt 0x0
	v_cmpx_lt_u32_e32 33, v1
	s_cbranch_execz .LBB100_169
; %bb.168:
	scratch_load_b128 v[2:5], off, s19
	v_mov_b32_e32 v8, 0
	s_delay_alu instid0(VALU_DEP_1)
	v_dual_mov_b32 v9, v8 :: v_dual_mov_b32 v10, v8
	v_mov_b32_e32 v11, v8
	scratch_store_b128 off, v[8:11], off offset:528
	s_wait_loadcnt 0x0
	ds_store_b128 v6, v[2:5]
.LBB100_169:
	s_wait_xcnt 0x0
	s_or_b32 exec_lo, exec_lo, s2
	s_wait_storecnt_dscnt 0x0
	s_barrier_signal -1
	s_barrier_wait -1
	s_clause 0x3
	scratch_load_b128 v[8:11], off, off offset:544
	scratch_load_b128 v[88:91], off, off offset:560
	;; [unrolled: 1-line block ×4, first 2 shown]
	v_mov_b32_e32 v2, 0
	ds_load_b128 v[100:103], v2 offset:1136
	ds_load_b128 v[104:107], v2 offset:1152
	s_mov_b32 s2, exec_lo
	s_wait_loadcnt_dscnt 0x301
	v_mul_f64_e32 v[4:5], v[102:103], v[10:11]
	v_mul_f64_e32 v[12:13], v[100:101], v[10:11]
	s_wait_loadcnt_dscnt 0x200
	v_mul_f64_e32 v[108:109], v[104:105], v[90:91]
	v_mul_f64_e32 v[90:91], v[106:107], v[90:91]
	s_delay_alu instid0(VALU_DEP_4) | instskip(NEXT) | instid1(VALU_DEP_4)
	v_fma_f64 v[4:5], v[100:101], v[8:9], -v[4:5]
	v_fmac_f64_e32 v[12:13], v[102:103], v[8:9]
	ds_load_b128 v[8:11], v2 offset:1168
	v_fmac_f64_e32 v[108:109], v[106:107], v[88:89]
	v_fma_f64 v[88:89], v[104:105], v[88:89], -v[90:91]
	s_wait_loadcnt_dscnt 0x100
	v_mul_f64_e32 v[100:101], v[8:9], v[94:95]
	v_mul_f64_e32 v[94:95], v[10:11], v[94:95]
	v_add_f64_e32 v[4:5], 0, v[4:5]
	v_add_f64_e32 v[12:13], 0, v[12:13]
	s_delay_alu instid0(VALU_DEP_4) | instskip(NEXT) | instid1(VALU_DEP_4)
	v_fmac_f64_e32 v[100:101], v[10:11], v[92:93]
	v_fma_f64 v[8:9], v[8:9], v[92:93], -v[94:95]
	s_delay_alu instid0(VALU_DEP_4) | instskip(NEXT) | instid1(VALU_DEP_4)
	v_add_f64_e32 v[4:5], v[4:5], v[88:89]
	v_add_f64_e32 v[10:11], v[12:13], v[108:109]
	s_delay_alu instid0(VALU_DEP_2) | instskip(NEXT) | instid1(VALU_DEP_2)
	v_add_f64_e32 v[4:5], v[4:5], v[8:9]
	v_add_f64_e32 v[10:11], v[10:11], v[100:101]
	s_wait_loadcnt 0x0
	s_delay_alu instid0(VALU_DEP_2) | instskip(NEXT) | instid1(VALU_DEP_2)
	v_add_f64_e64 v[8:9], v[96:97], -v[4:5]
	v_add_f64_e64 v[10:11], v[98:99], -v[10:11]
	scratch_store_b128 off, v[8:11], off offset:528
	s_wait_xcnt 0x0
	v_cmpx_lt_u32_e32 32, v1
	s_cbranch_execz .LBB100_171
; %bb.170:
	scratch_load_b128 v[8:11], off, s20
	v_dual_mov_b32 v3, v2 :: v_dual_mov_b32 v4, v2
	v_mov_b32_e32 v5, v2
	scratch_store_b128 off, v[2:5], off offset:512
	s_wait_loadcnt 0x0
	ds_store_b128 v6, v[8:11]
.LBB100_171:
	s_wait_xcnt 0x0
	s_or_b32 exec_lo, exec_lo, s2
	s_wait_storecnt_dscnt 0x0
	s_barrier_signal -1
	s_barrier_wait -1
	s_clause 0x4
	scratch_load_b128 v[8:11], off, off offset:528
	scratch_load_b128 v[88:91], off, off offset:544
	;; [unrolled: 1-line block ×5, first 2 shown]
	ds_load_b128 v[104:107], v2 offset:1120
	ds_load_b128 v[108:111], v2 offset:1136
	s_mov_b32 s2, exec_lo
	s_wait_loadcnt_dscnt 0x401
	v_mul_f64_e32 v[4:5], v[106:107], v[10:11]
	v_mul_f64_e32 v[12:13], v[104:105], v[10:11]
	s_wait_loadcnt_dscnt 0x300
	v_mul_f64_e32 v[112:113], v[108:109], v[90:91]
	v_mul_f64_e32 v[90:91], v[110:111], v[90:91]
	s_delay_alu instid0(VALU_DEP_4) | instskip(NEXT) | instid1(VALU_DEP_4)
	v_fma_f64 v[104:105], v[104:105], v[8:9], -v[4:5]
	v_fmac_f64_e32 v[12:13], v[106:107], v[8:9]
	ds_load_b128 v[8:11], v2 offset:1152
	ds_load_b128 v[2:5], v2 offset:1168
	v_fmac_f64_e32 v[112:113], v[110:111], v[88:89]
	v_fma_f64 v[88:89], v[108:109], v[88:89], -v[90:91]
	s_wait_loadcnt_dscnt 0x201
	v_mul_f64_e32 v[106:107], v[8:9], v[94:95]
	v_mul_f64_e32 v[94:95], v[10:11], v[94:95]
	v_add_f64_e32 v[90:91], 0, v[104:105]
	v_add_f64_e32 v[12:13], 0, v[12:13]
	s_wait_loadcnt_dscnt 0x100
	v_mul_f64_e32 v[104:105], v[2:3], v[98:99]
	v_mul_f64_e32 v[98:99], v[4:5], v[98:99]
	v_fmac_f64_e32 v[106:107], v[10:11], v[92:93]
	v_fma_f64 v[8:9], v[8:9], v[92:93], -v[94:95]
	v_add_f64_e32 v[10:11], v[90:91], v[88:89]
	v_add_f64_e32 v[12:13], v[12:13], v[112:113]
	v_fmac_f64_e32 v[104:105], v[4:5], v[96:97]
	v_fma_f64 v[2:3], v[2:3], v[96:97], -v[98:99]
	s_delay_alu instid0(VALU_DEP_4) | instskip(NEXT) | instid1(VALU_DEP_4)
	v_add_f64_e32 v[4:5], v[10:11], v[8:9]
	v_add_f64_e32 v[8:9], v[12:13], v[106:107]
	s_delay_alu instid0(VALU_DEP_2) | instskip(NEXT) | instid1(VALU_DEP_2)
	v_add_f64_e32 v[2:3], v[4:5], v[2:3]
	v_add_f64_e32 v[4:5], v[8:9], v[104:105]
	s_wait_loadcnt 0x0
	s_delay_alu instid0(VALU_DEP_2) | instskip(NEXT) | instid1(VALU_DEP_2)
	v_add_f64_e64 v[2:3], v[100:101], -v[2:3]
	v_add_f64_e64 v[4:5], v[102:103], -v[4:5]
	scratch_store_b128 off, v[2:5], off offset:512
	s_wait_xcnt 0x0
	v_cmpx_lt_u32_e32 31, v1
	s_cbranch_execz .LBB100_173
; %bb.172:
	scratch_load_b128 v[2:5], off, s21
	v_mov_b32_e32 v8, 0
	s_delay_alu instid0(VALU_DEP_1)
	v_dual_mov_b32 v9, v8 :: v_dual_mov_b32 v10, v8
	v_mov_b32_e32 v11, v8
	scratch_store_b128 off, v[8:11], off offset:496
	s_wait_loadcnt 0x0
	ds_store_b128 v6, v[2:5]
.LBB100_173:
	s_wait_xcnt 0x0
	s_or_b32 exec_lo, exec_lo, s2
	s_wait_storecnt_dscnt 0x0
	s_barrier_signal -1
	s_barrier_wait -1
	s_clause 0x5
	scratch_load_b128 v[8:11], off, off offset:512
	scratch_load_b128 v[88:91], off, off offset:528
	;; [unrolled: 1-line block ×6, first 2 shown]
	v_mov_b32_e32 v2, 0
	ds_load_b128 v[108:111], v2 offset:1104
	ds_load_b128 v[112:115], v2 offset:1120
	s_mov_b32 s2, exec_lo
	s_wait_loadcnt_dscnt 0x501
	v_mul_f64_e32 v[4:5], v[110:111], v[10:11]
	v_mul_f64_e32 v[12:13], v[108:109], v[10:11]
	s_wait_loadcnt_dscnt 0x400
	v_mul_f64_e32 v[116:117], v[112:113], v[90:91]
	v_mul_f64_e32 v[90:91], v[114:115], v[90:91]
	s_delay_alu instid0(VALU_DEP_4) | instskip(NEXT) | instid1(VALU_DEP_4)
	v_fma_f64 v[4:5], v[108:109], v[8:9], -v[4:5]
	v_fmac_f64_e32 v[12:13], v[110:111], v[8:9]
	ds_load_b128 v[8:11], v2 offset:1136
	ds_load_b128 v[108:111], v2 offset:1152
	v_fmac_f64_e32 v[116:117], v[114:115], v[88:89]
	v_fma_f64 v[88:89], v[112:113], v[88:89], -v[90:91]
	s_wait_loadcnt_dscnt 0x301
	v_mul_f64_e32 v[118:119], v[8:9], v[94:95]
	v_mul_f64_e32 v[94:95], v[10:11], v[94:95]
	s_wait_loadcnt_dscnt 0x200
	v_mul_f64_e32 v[90:91], v[108:109], v[98:99]
	v_mul_f64_e32 v[98:99], v[110:111], v[98:99]
	v_add_f64_e32 v[4:5], 0, v[4:5]
	v_add_f64_e32 v[12:13], 0, v[12:13]
	v_fmac_f64_e32 v[118:119], v[10:11], v[92:93]
	v_fma_f64 v[92:93], v[8:9], v[92:93], -v[94:95]
	ds_load_b128 v[8:11], v2 offset:1168
	v_fmac_f64_e32 v[90:91], v[110:111], v[96:97]
	v_fma_f64 v[96:97], v[108:109], v[96:97], -v[98:99]
	v_add_f64_e32 v[4:5], v[4:5], v[88:89]
	v_add_f64_e32 v[12:13], v[12:13], v[116:117]
	s_wait_loadcnt_dscnt 0x100
	v_mul_f64_e32 v[88:89], v[8:9], v[102:103]
	v_mul_f64_e32 v[94:95], v[10:11], v[102:103]
	s_delay_alu instid0(VALU_DEP_4) | instskip(NEXT) | instid1(VALU_DEP_4)
	v_add_f64_e32 v[4:5], v[4:5], v[92:93]
	v_add_f64_e32 v[12:13], v[12:13], v[118:119]
	s_delay_alu instid0(VALU_DEP_4) | instskip(NEXT) | instid1(VALU_DEP_4)
	v_fmac_f64_e32 v[88:89], v[10:11], v[100:101]
	v_fma_f64 v[8:9], v[8:9], v[100:101], -v[94:95]
	s_delay_alu instid0(VALU_DEP_4) | instskip(NEXT) | instid1(VALU_DEP_4)
	v_add_f64_e32 v[4:5], v[4:5], v[96:97]
	v_add_f64_e32 v[10:11], v[12:13], v[90:91]
	s_delay_alu instid0(VALU_DEP_2) | instskip(NEXT) | instid1(VALU_DEP_2)
	v_add_f64_e32 v[4:5], v[4:5], v[8:9]
	v_add_f64_e32 v[10:11], v[10:11], v[88:89]
	s_wait_loadcnt 0x0
	s_delay_alu instid0(VALU_DEP_2) | instskip(NEXT) | instid1(VALU_DEP_2)
	v_add_f64_e64 v[8:9], v[104:105], -v[4:5]
	v_add_f64_e64 v[10:11], v[106:107], -v[10:11]
	scratch_store_b128 off, v[8:11], off offset:496
	s_wait_xcnt 0x0
	v_cmpx_lt_u32_e32 30, v1
	s_cbranch_execz .LBB100_175
; %bb.174:
	scratch_load_b128 v[8:11], off, s22
	v_dual_mov_b32 v3, v2 :: v_dual_mov_b32 v4, v2
	v_mov_b32_e32 v5, v2
	scratch_store_b128 off, v[2:5], off offset:480
	s_wait_loadcnt 0x0
	ds_store_b128 v6, v[8:11]
.LBB100_175:
	s_wait_xcnt 0x0
	s_or_b32 exec_lo, exec_lo, s2
	s_wait_storecnt_dscnt 0x0
	s_barrier_signal -1
	s_barrier_wait -1
	s_clause 0x6
	scratch_load_b128 v[8:11], off, off offset:496
	scratch_load_b128 v[88:91], off, off offset:512
	;; [unrolled: 1-line block ×7, first 2 shown]
	ds_load_b128 v[112:115], v2 offset:1088
	ds_load_b128 v[116:119], v2 offset:1104
	s_mov_b32 s2, exec_lo
	s_wait_loadcnt_dscnt 0x601
	v_mul_f64_e32 v[4:5], v[114:115], v[10:11]
	v_mul_f64_e32 v[12:13], v[112:113], v[10:11]
	s_wait_loadcnt_dscnt 0x500
	v_mul_f64_e32 v[120:121], v[116:117], v[90:91]
	v_mul_f64_e32 v[90:91], v[118:119], v[90:91]
	s_delay_alu instid0(VALU_DEP_4) | instskip(NEXT) | instid1(VALU_DEP_4)
	v_fma_f64 v[4:5], v[112:113], v[8:9], -v[4:5]
	v_fmac_f64_e32 v[12:13], v[114:115], v[8:9]
	ds_load_b128 v[8:11], v2 offset:1120
	ds_load_b128 v[112:115], v2 offset:1136
	v_fmac_f64_e32 v[120:121], v[118:119], v[88:89]
	v_fma_f64 v[88:89], v[116:117], v[88:89], -v[90:91]
	s_wait_loadcnt_dscnt 0x401
	v_mul_f64_e32 v[122:123], v[8:9], v[94:95]
	v_mul_f64_e32 v[94:95], v[10:11], v[94:95]
	s_wait_loadcnt_dscnt 0x300
	v_mul_f64_e32 v[90:91], v[112:113], v[98:99]
	v_mul_f64_e32 v[98:99], v[114:115], v[98:99]
	v_add_f64_e32 v[4:5], 0, v[4:5]
	v_add_f64_e32 v[12:13], 0, v[12:13]
	v_fmac_f64_e32 v[122:123], v[10:11], v[92:93]
	v_fma_f64 v[92:93], v[8:9], v[92:93], -v[94:95]
	v_fmac_f64_e32 v[90:91], v[114:115], v[96:97]
	v_fma_f64 v[96:97], v[112:113], v[96:97], -v[98:99]
	v_add_f64_e32 v[88:89], v[4:5], v[88:89]
	v_add_f64_e32 v[12:13], v[12:13], v[120:121]
	ds_load_b128 v[8:11], v2 offset:1152
	ds_load_b128 v[2:5], v2 offset:1168
	s_wait_loadcnt_dscnt 0x201
	v_mul_f64_e32 v[94:95], v[8:9], v[102:103]
	v_mul_f64_e32 v[102:103], v[10:11], v[102:103]
	s_wait_loadcnt_dscnt 0x100
	v_mul_f64_e32 v[98:99], v[4:5], v[106:107]
	v_add_f64_e32 v[88:89], v[88:89], v[92:93]
	v_add_f64_e32 v[12:13], v[12:13], v[122:123]
	v_mul_f64_e32 v[92:93], v[2:3], v[106:107]
	v_fmac_f64_e32 v[94:95], v[10:11], v[100:101]
	v_fma_f64 v[8:9], v[8:9], v[100:101], -v[102:103]
	v_fma_f64 v[2:3], v[2:3], v[104:105], -v[98:99]
	v_add_f64_e32 v[10:11], v[88:89], v[96:97]
	v_add_f64_e32 v[12:13], v[12:13], v[90:91]
	v_fmac_f64_e32 v[92:93], v[4:5], v[104:105]
	s_delay_alu instid0(VALU_DEP_3) | instskip(NEXT) | instid1(VALU_DEP_3)
	v_add_f64_e32 v[4:5], v[10:11], v[8:9]
	v_add_f64_e32 v[8:9], v[12:13], v[94:95]
	s_delay_alu instid0(VALU_DEP_2) | instskip(NEXT) | instid1(VALU_DEP_2)
	v_add_f64_e32 v[2:3], v[4:5], v[2:3]
	v_add_f64_e32 v[4:5], v[8:9], v[92:93]
	s_wait_loadcnt 0x0
	s_delay_alu instid0(VALU_DEP_2) | instskip(NEXT) | instid1(VALU_DEP_2)
	v_add_f64_e64 v[2:3], v[108:109], -v[2:3]
	v_add_f64_e64 v[4:5], v[110:111], -v[4:5]
	scratch_store_b128 off, v[2:5], off offset:480
	s_wait_xcnt 0x0
	v_cmpx_lt_u32_e32 29, v1
	s_cbranch_execz .LBB100_177
; %bb.176:
	scratch_load_b128 v[2:5], off, s23
	v_mov_b32_e32 v8, 0
	s_delay_alu instid0(VALU_DEP_1)
	v_dual_mov_b32 v9, v8 :: v_dual_mov_b32 v10, v8
	v_mov_b32_e32 v11, v8
	scratch_store_b128 off, v[8:11], off offset:464
	s_wait_loadcnt 0x0
	ds_store_b128 v6, v[2:5]
.LBB100_177:
	s_wait_xcnt 0x0
	s_or_b32 exec_lo, exec_lo, s2
	s_wait_storecnt_dscnt 0x0
	s_barrier_signal -1
	s_barrier_wait -1
	s_clause 0x7
	scratch_load_b128 v[8:11], off, off offset:480
	scratch_load_b128 v[88:91], off, off offset:496
	;; [unrolled: 1-line block ×8, first 2 shown]
	v_mov_b32_e32 v2, 0
	ds_load_b128 v[116:119], v2 offset:1072
	ds_load_b128 v[120:123], v2 offset:1088
	s_mov_b32 s2, exec_lo
	s_wait_loadcnt_dscnt 0x701
	v_mul_f64_e32 v[4:5], v[118:119], v[10:11]
	v_mul_f64_e32 v[12:13], v[116:117], v[10:11]
	s_wait_loadcnt_dscnt 0x600
	v_mul_f64_e32 v[124:125], v[120:121], v[90:91]
	v_mul_f64_e32 v[90:91], v[122:123], v[90:91]
	s_delay_alu instid0(VALU_DEP_4) | instskip(NEXT) | instid1(VALU_DEP_4)
	v_fma_f64 v[4:5], v[116:117], v[8:9], -v[4:5]
	v_fmac_f64_e32 v[12:13], v[118:119], v[8:9]
	ds_load_b128 v[8:11], v2 offset:1104
	ds_load_b128 v[116:119], v2 offset:1120
	v_fmac_f64_e32 v[124:125], v[122:123], v[88:89]
	v_fma_f64 v[88:89], v[120:121], v[88:89], -v[90:91]
	s_wait_loadcnt_dscnt 0x501
	v_mul_f64_e32 v[126:127], v[8:9], v[94:95]
	v_mul_f64_e32 v[94:95], v[10:11], v[94:95]
	s_wait_loadcnt_dscnt 0x400
	v_mul_f64_e32 v[120:121], v[116:117], v[98:99]
	v_mul_f64_e32 v[98:99], v[118:119], v[98:99]
	v_add_f64_e32 v[4:5], 0, v[4:5]
	v_add_f64_e32 v[12:13], 0, v[12:13]
	v_fmac_f64_e32 v[126:127], v[10:11], v[92:93]
	v_fma_f64 v[92:93], v[8:9], v[92:93], -v[94:95]
	v_fmac_f64_e32 v[120:121], v[118:119], v[96:97]
	v_fma_f64 v[96:97], v[116:117], v[96:97], -v[98:99]
	v_add_f64_e32 v[4:5], v[4:5], v[88:89]
	v_add_f64_e32 v[12:13], v[12:13], v[124:125]
	ds_load_b128 v[8:11], v2 offset:1136
	ds_load_b128 v[88:91], v2 offset:1152
	s_wait_loadcnt_dscnt 0x301
	v_mul_f64_e32 v[94:95], v[8:9], v[102:103]
	v_mul_f64_e32 v[102:103], v[10:11], v[102:103]
	s_wait_loadcnt_dscnt 0x200
	v_mul_f64_e32 v[98:99], v[90:91], v[106:107]
	v_add_f64_e32 v[4:5], v[4:5], v[92:93]
	v_add_f64_e32 v[12:13], v[12:13], v[126:127]
	v_mul_f64_e32 v[92:93], v[88:89], v[106:107]
	v_fmac_f64_e32 v[94:95], v[10:11], v[100:101]
	v_fma_f64 v[100:101], v[8:9], v[100:101], -v[102:103]
	ds_load_b128 v[8:11], v2 offset:1168
	v_fma_f64 v[88:89], v[88:89], v[104:105], -v[98:99]
	v_add_f64_e32 v[4:5], v[4:5], v[96:97]
	v_add_f64_e32 v[12:13], v[12:13], v[120:121]
	v_fmac_f64_e32 v[92:93], v[90:91], v[104:105]
	s_wait_loadcnt_dscnt 0x100
	v_mul_f64_e32 v[96:97], v[8:9], v[110:111]
	v_mul_f64_e32 v[102:103], v[10:11], v[110:111]
	v_add_f64_e32 v[4:5], v[4:5], v[100:101]
	v_add_f64_e32 v[12:13], v[12:13], v[94:95]
	s_delay_alu instid0(VALU_DEP_4) | instskip(NEXT) | instid1(VALU_DEP_4)
	v_fmac_f64_e32 v[96:97], v[10:11], v[108:109]
	v_fma_f64 v[8:9], v[8:9], v[108:109], -v[102:103]
	s_delay_alu instid0(VALU_DEP_4) | instskip(NEXT) | instid1(VALU_DEP_4)
	v_add_f64_e32 v[4:5], v[4:5], v[88:89]
	v_add_f64_e32 v[10:11], v[12:13], v[92:93]
	s_delay_alu instid0(VALU_DEP_2) | instskip(NEXT) | instid1(VALU_DEP_2)
	v_add_f64_e32 v[4:5], v[4:5], v[8:9]
	v_add_f64_e32 v[10:11], v[10:11], v[96:97]
	s_wait_loadcnt 0x0
	s_delay_alu instid0(VALU_DEP_2) | instskip(NEXT) | instid1(VALU_DEP_2)
	v_add_f64_e64 v[8:9], v[112:113], -v[4:5]
	v_add_f64_e64 v[10:11], v[114:115], -v[10:11]
	scratch_store_b128 off, v[8:11], off offset:464
	s_wait_xcnt 0x0
	v_cmpx_lt_u32_e32 28, v1
	s_cbranch_execz .LBB100_179
; %bb.178:
	scratch_load_b128 v[8:11], off, s24
	v_dual_mov_b32 v3, v2 :: v_dual_mov_b32 v4, v2
	v_mov_b32_e32 v5, v2
	scratch_store_b128 off, v[2:5], off offset:448
	s_wait_loadcnt 0x0
	ds_store_b128 v6, v[8:11]
.LBB100_179:
	s_wait_xcnt 0x0
	s_or_b32 exec_lo, exec_lo, s2
	s_wait_storecnt_dscnt 0x0
	s_barrier_signal -1
	s_barrier_wait -1
	s_clause 0x7
	scratch_load_b128 v[8:11], off, off offset:464
	scratch_load_b128 v[88:91], off, off offset:480
	;; [unrolled: 1-line block ×8, first 2 shown]
	ds_load_b128 v[116:119], v2 offset:1056
	ds_load_b128 v[120:123], v2 offset:1072
	scratch_load_b128 v[124:127], off, off offset:448
	s_mov_b32 s2, exec_lo
	s_wait_loadcnt_dscnt 0x801
	v_mul_f64_e32 v[4:5], v[118:119], v[10:11]
	v_mul_f64_e32 v[12:13], v[116:117], v[10:11]
	s_wait_loadcnt_dscnt 0x700
	v_mul_f64_e32 v[128:129], v[120:121], v[90:91]
	v_mul_f64_e32 v[90:91], v[122:123], v[90:91]
	s_delay_alu instid0(VALU_DEP_4) | instskip(NEXT) | instid1(VALU_DEP_4)
	v_fma_f64 v[4:5], v[116:117], v[8:9], -v[4:5]
	v_fmac_f64_e32 v[12:13], v[118:119], v[8:9]
	ds_load_b128 v[8:11], v2 offset:1088
	ds_load_b128 v[116:119], v2 offset:1104
	v_fmac_f64_e32 v[128:129], v[122:123], v[88:89]
	v_fma_f64 v[88:89], v[120:121], v[88:89], -v[90:91]
	s_wait_loadcnt_dscnt 0x601
	v_mul_f64_e32 v[130:131], v[8:9], v[94:95]
	v_mul_f64_e32 v[94:95], v[10:11], v[94:95]
	s_wait_loadcnt_dscnt 0x500
	v_mul_f64_e32 v[120:121], v[116:117], v[98:99]
	v_mul_f64_e32 v[98:99], v[118:119], v[98:99]
	v_add_f64_e32 v[4:5], 0, v[4:5]
	v_add_f64_e32 v[12:13], 0, v[12:13]
	v_fmac_f64_e32 v[130:131], v[10:11], v[92:93]
	v_fma_f64 v[92:93], v[8:9], v[92:93], -v[94:95]
	v_fmac_f64_e32 v[120:121], v[118:119], v[96:97]
	v_fma_f64 v[96:97], v[116:117], v[96:97], -v[98:99]
	v_add_f64_e32 v[4:5], v[4:5], v[88:89]
	v_add_f64_e32 v[12:13], v[12:13], v[128:129]
	ds_load_b128 v[8:11], v2 offset:1120
	ds_load_b128 v[88:91], v2 offset:1136
	s_wait_loadcnt_dscnt 0x401
	v_mul_f64_e32 v[94:95], v[8:9], v[102:103]
	v_mul_f64_e32 v[102:103], v[10:11], v[102:103]
	s_wait_loadcnt_dscnt 0x300
	v_mul_f64_e32 v[98:99], v[90:91], v[106:107]
	v_add_f64_e32 v[4:5], v[4:5], v[92:93]
	v_add_f64_e32 v[12:13], v[12:13], v[130:131]
	v_mul_f64_e32 v[92:93], v[88:89], v[106:107]
	v_fmac_f64_e32 v[94:95], v[10:11], v[100:101]
	v_fma_f64 v[100:101], v[8:9], v[100:101], -v[102:103]
	v_fma_f64 v[88:89], v[88:89], v[104:105], -v[98:99]
	v_add_f64_e32 v[96:97], v[4:5], v[96:97]
	v_add_f64_e32 v[12:13], v[12:13], v[120:121]
	ds_load_b128 v[8:11], v2 offset:1152
	ds_load_b128 v[2:5], v2 offset:1168
	v_fmac_f64_e32 v[92:93], v[90:91], v[104:105]
	s_wait_loadcnt_dscnt 0x201
	v_mul_f64_e32 v[102:103], v[8:9], v[110:111]
	v_mul_f64_e32 v[106:107], v[10:11], v[110:111]
	v_add_f64_e32 v[90:91], v[96:97], v[100:101]
	v_add_f64_e32 v[12:13], v[12:13], v[94:95]
	s_wait_loadcnt_dscnt 0x100
	v_mul_f64_e32 v[94:95], v[2:3], v[114:115]
	v_mul_f64_e32 v[96:97], v[4:5], v[114:115]
	v_fmac_f64_e32 v[102:103], v[10:11], v[108:109]
	v_fma_f64 v[8:9], v[8:9], v[108:109], -v[106:107]
	v_add_f64_e32 v[10:11], v[90:91], v[88:89]
	v_add_f64_e32 v[12:13], v[12:13], v[92:93]
	v_fmac_f64_e32 v[94:95], v[4:5], v[112:113]
	v_fma_f64 v[2:3], v[2:3], v[112:113], -v[96:97]
	s_delay_alu instid0(VALU_DEP_4) | instskip(NEXT) | instid1(VALU_DEP_4)
	v_add_f64_e32 v[4:5], v[10:11], v[8:9]
	v_add_f64_e32 v[8:9], v[12:13], v[102:103]
	s_delay_alu instid0(VALU_DEP_2) | instskip(NEXT) | instid1(VALU_DEP_2)
	v_add_f64_e32 v[2:3], v[4:5], v[2:3]
	v_add_f64_e32 v[4:5], v[8:9], v[94:95]
	s_wait_loadcnt 0x0
	s_delay_alu instid0(VALU_DEP_2) | instskip(NEXT) | instid1(VALU_DEP_2)
	v_add_f64_e64 v[2:3], v[124:125], -v[2:3]
	v_add_f64_e64 v[4:5], v[126:127], -v[4:5]
	scratch_store_b128 off, v[2:5], off offset:448
	s_wait_xcnt 0x0
	v_cmpx_lt_u32_e32 27, v1
	s_cbranch_execz .LBB100_181
; %bb.180:
	scratch_load_b128 v[2:5], off, s25
	v_mov_b32_e32 v8, 0
	s_delay_alu instid0(VALU_DEP_1)
	v_dual_mov_b32 v9, v8 :: v_dual_mov_b32 v10, v8
	v_mov_b32_e32 v11, v8
	scratch_store_b128 off, v[8:11], off offset:432
	s_wait_loadcnt 0x0
	ds_store_b128 v6, v[2:5]
.LBB100_181:
	s_wait_xcnt 0x0
	s_or_b32 exec_lo, exec_lo, s2
	s_wait_storecnt_dscnt 0x0
	s_barrier_signal -1
	s_barrier_wait -1
	s_clause 0x8
	scratch_load_b128 v[8:11], off, off offset:448
	scratch_load_b128 v[88:91], off, off offset:464
	;; [unrolled: 1-line block ×9, first 2 shown]
	v_mov_b32_e32 v2, 0
	scratch_load_b128 v[124:127], off, off offset:432
	s_mov_b32 s2, exec_lo
	ds_load_b128 v[120:123], v2 offset:1040
	ds_load_b128 v[128:131], v2 offset:1056
	s_wait_loadcnt_dscnt 0x901
	v_mul_f64_e32 v[4:5], v[122:123], v[10:11]
	v_mul_f64_e32 v[12:13], v[120:121], v[10:11]
	s_wait_loadcnt_dscnt 0x800
	v_mul_f64_e32 v[132:133], v[128:129], v[90:91]
	v_mul_f64_e32 v[90:91], v[130:131], v[90:91]
	s_delay_alu instid0(VALU_DEP_4) | instskip(NEXT) | instid1(VALU_DEP_4)
	v_fma_f64 v[4:5], v[120:121], v[8:9], -v[4:5]
	v_fmac_f64_e32 v[12:13], v[122:123], v[8:9]
	ds_load_b128 v[8:11], v2 offset:1072
	ds_load_b128 v[120:123], v2 offset:1088
	v_fmac_f64_e32 v[132:133], v[130:131], v[88:89]
	v_fma_f64 v[88:89], v[128:129], v[88:89], -v[90:91]
	s_wait_loadcnt_dscnt 0x701
	v_mul_f64_e32 v[134:135], v[8:9], v[94:95]
	v_mul_f64_e32 v[94:95], v[10:11], v[94:95]
	s_wait_loadcnt_dscnt 0x600
	v_mul_f64_e32 v[128:129], v[120:121], v[98:99]
	v_mul_f64_e32 v[98:99], v[122:123], v[98:99]
	v_add_f64_e32 v[4:5], 0, v[4:5]
	v_add_f64_e32 v[12:13], 0, v[12:13]
	v_fmac_f64_e32 v[134:135], v[10:11], v[92:93]
	v_fma_f64 v[92:93], v[8:9], v[92:93], -v[94:95]
	v_fmac_f64_e32 v[128:129], v[122:123], v[96:97]
	v_fma_f64 v[96:97], v[120:121], v[96:97], -v[98:99]
	v_add_f64_e32 v[4:5], v[4:5], v[88:89]
	v_add_f64_e32 v[12:13], v[12:13], v[132:133]
	ds_load_b128 v[8:11], v2 offset:1104
	ds_load_b128 v[88:91], v2 offset:1120
	s_wait_loadcnt_dscnt 0x501
	v_mul_f64_e32 v[130:131], v[8:9], v[102:103]
	v_mul_f64_e32 v[94:95], v[10:11], v[102:103]
	s_wait_loadcnt_dscnt 0x400
	v_mul_f64_e32 v[98:99], v[88:89], v[106:107]
	v_mul_f64_e32 v[102:103], v[90:91], v[106:107]
	v_add_f64_e32 v[4:5], v[4:5], v[92:93]
	v_add_f64_e32 v[12:13], v[12:13], v[134:135]
	v_fmac_f64_e32 v[130:131], v[10:11], v[100:101]
	v_fma_f64 v[100:101], v[8:9], v[100:101], -v[94:95]
	ds_load_b128 v[8:11], v2 offset:1136
	ds_load_b128 v[92:95], v2 offset:1152
	v_fmac_f64_e32 v[98:99], v[90:91], v[104:105]
	v_fma_f64 v[88:89], v[88:89], v[104:105], -v[102:103]
	v_add_f64_e32 v[4:5], v[4:5], v[96:97]
	v_add_f64_e32 v[12:13], v[12:13], v[128:129]
	s_wait_loadcnt_dscnt 0x301
	v_mul_f64_e32 v[96:97], v[8:9], v[110:111]
	v_mul_f64_e32 v[106:107], v[10:11], v[110:111]
	s_wait_loadcnt_dscnt 0x200
	v_mul_f64_e32 v[90:91], v[92:93], v[114:115]
	v_add_f64_e32 v[4:5], v[4:5], v[100:101]
	v_add_f64_e32 v[12:13], v[12:13], v[130:131]
	v_mul_f64_e32 v[100:101], v[94:95], v[114:115]
	v_fmac_f64_e32 v[96:97], v[10:11], v[108:109]
	v_fma_f64 v[102:103], v[8:9], v[108:109], -v[106:107]
	ds_load_b128 v[8:11], v2 offset:1168
	v_fmac_f64_e32 v[90:91], v[94:95], v[112:113]
	v_add_f64_e32 v[4:5], v[4:5], v[88:89]
	v_add_f64_e32 v[12:13], v[12:13], v[98:99]
	s_wait_loadcnt_dscnt 0x100
	v_mul_f64_e32 v[88:89], v[8:9], v[118:119]
	v_mul_f64_e32 v[98:99], v[10:11], v[118:119]
	v_fma_f64 v[92:93], v[92:93], v[112:113], -v[100:101]
	v_add_f64_e32 v[4:5], v[4:5], v[102:103]
	v_add_f64_e32 v[12:13], v[12:13], v[96:97]
	v_fmac_f64_e32 v[88:89], v[10:11], v[116:117]
	v_fma_f64 v[8:9], v[8:9], v[116:117], -v[98:99]
	s_delay_alu instid0(VALU_DEP_4) | instskip(NEXT) | instid1(VALU_DEP_4)
	v_add_f64_e32 v[4:5], v[4:5], v[92:93]
	v_add_f64_e32 v[10:11], v[12:13], v[90:91]
	s_delay_alu instid0(VALU_DEP_2) | instskip(NEXT) | instid1(VALU_DEP_2)
	v_add_f64_e32 v[4:5], v[4:5], v[8:9]
	v_add_f64_e32 v[10:11], v[10:11], v[88:89]
	s_wait_loadcnt 0x0
	s_delay_alu instid0(VALU_DEP_2) | instskip(NEXT) | instid1(VALU_DEP_2)
	v_add_f64_e64 v[8:9], v[124:125], -v[4:5]
	v_add_f64_e64 v[10:11], v[126:127], -v[10:11]
	scratch_store_b128 off, v[8:11], off offset:432
	s_wait_xcnt 0x0
	v_cmpx_lt_u32_e32 26, v1
	s_cbranch_execz .LBB100_183
; %bb.182:
	scratch_load_b128 v[8:11], off, s26
	v_dual_mov_b32 v3, v2 :: v_dual_mov_b32 v4, v2
	v_mov_b32_e32 v5, v2
	scratch_store_b128 off, v[2:5], off offset:416
	s_wait_loadcnt 0x0
	ds_store_b128 v6, v[8:11]
.LBB100_183:
	s_wait_xcnt 0x0
	s_or_b32 exec_lo, exec_lo, s2
	s_wait_storecnt_dscnt 0x0
	s_barrier_signal -1
	s_barrier_wait -1
	s_clause 0x9
	scratch_load_b128 v[8:11], off, off offset:432
	scratch_load_b128 v[88:91], off, off offset:448
	scratch_load_b128 v[92:95], off, off offset:464
	scratch_load_b128 v[96:99], off, off offset:480
	scratch_load_b128 v[100:103], off, off offset:496
	scratch_load_b128 v[104:107], off, off offset:512
	scratch_load_b128 v[108:111], off, off offset:528
	scratch_load_b128 v[112:115], off, off offset:544
	scratch_load_b128 v[116:119], off, off offset:560
	scratch_load_b128 v[120:123], off, off offset:576
	ds_load_b128 v[124:127], v2 offset:1024
	ds_load_b128 v[128:131], v2 offset:1040
	scratch_load_b128 v[132:135], off, off offset:416
	s_mov_b32 s2, exec_lo
	s_wait_loadcnt_dscnt 0xa01
	v_mul_f64_e32 v[4:5], v[126:127], v[10:11]
	v_mul_f64_e32 v[12:13], v[124:125], v[10:11]
	s_wait_loadcnt_dscnt 0x900
	v_mul_f64_e32 v[136:137], v[128:129], v[90:91]
	v_mul_f64_e32 v[90:91], v[130:131], v[90:91]
	s_delay_alu instid0(VALU_DEP_4) | instskip(NEXT) | instid1(VALU_DEP_4)
	v_fma_f64 v[4:5], v[124:125], v[8:9], -v[4:5]
	v_fmac_f64_e32 v[12:13], v[126:127], v[8:9]
	ds_load_b128 v[8:11], v2 offset:1056
	ds_load_b128 v[124:127], v2 offset:1072
	v_fmac_f64_e32 v[136:137], v[130:131], v[88:89]
	v_fma_f64 v[88:89], v[128:129], v[88:89], -v[90:91]
	s_wait_loadcnt_dscnt 0x801
	v_mul_f64_e32 v[138:139], v[8:9], v[94:95]
	v_mul_f64_e32 v[94:95], v[10:11], v[94:95]
	s_wait_loadcnt_dscnt 0x700
	v_mul_f64_e32 v[128:129], v[124:125], v[98:99]
	v_mul_f64_e32 v[98:99], v[126:127], v[98:99]
	v_add_f64_e32 v[4:5], 0, v[4:5]
	v_add_f64_e32 v[12:13], 0, v[12:13]
	v_fmac_f64_e32 v[138:139], v[10:11], v[92:93]
	v_fma_f64 v[92:93], v[8:9], v[92:93], -v[94:95]
	v_fmac_f64_e32 v[128:129], v[126:127], v[96:97]
	v_fma_f64 v[96:97], v[124:125], v[96:97], -v[98:99]
	v_add_f64_e32 v[4:5], v[4:5], v[88:89]
	v_add_f64_e32 v[12:13], v[12:13], v[136:137]
	ds_load_b128 v[8:11], v2 offset:1088
	ds_load_b128 v[88:91], v2 offset:1104
	s_wait_loadcnt_dscnt 0x601
	v_mul_f64_e32 v[130:131], v[8:9], v[102:103]
	v_mul_f64_e32 v[94:95], v[10:11], v[102:103]
	s_wait_loadcnt_dscnt 0x500
	v_mul_f64_e32 v[98:99], v[88:89], v[106:107]
	v_mul_f64_e32 v[102:103], v[90:91], v[106:107]
	v_add_f64_e32 v[4:5], v[4:5], v[92:93]
	v_add_f64_e32 v[12:13], v[12:13], v[138:139]
	v_fmac_f64_e32 v[130:131], v[10:11], v[100:101]
	v_fma_f64 v[100:101], v[8:9], v[100:101], -v[94:95]
	ds_load_b128 v[8:11], v2 offset:1120
	ds_load_b128 v[92:95], v2 offset:1136
	v_fmac_f64_e32 v[98:99], v[90:91], v[104:105]
	v_fma_f64 v[88:89], v[88:89], v[104:105], -v[102:103]
	v_add_f64_e32 v[4:5], v[4:5], v[96:97]
	v_add_f64_e32 v[12:13], v[12:13], v[128:129]
	s_wait_loadcnt_dscnt 0x401
	v_mul_f64_e32 v[96:97], v[8:9], v[110:111]
	v_mul_f64_e32 v[106:107], v[10:11], v[110:111]
	s_wait_loadcnt_dscnt 0x300
	v_mul_f64_e32 v[90:91], v[92:93], v[114:115]
	v_add_f64_e32 v[4:5], v[4:5], v[100:101]
	v_add_f64_e32 v[12:13], v[12:13], v[130:131]
	v_mul_f64_e32 v[100:101], v[94:95], v[114:115]
	v_fmac_f64_e32 v[96:97], v[10:11], v[108:109]
	v_fma_f64 v[102:103], v[8:9], v[108:109], -v[106:107]
	v_fmac_f64_e32 v[90:91], v[94:95], v[112:113]
	v_add_f64_e32 v[88:89], v[4:5], v[88:89]
	v_add_f64_e32 v[12:13], v[12:13], v[98:99]
	ds_load_b128 v[8:11], v2 offset:1152
	ds_load_b128 v[2:5], v2 offset:1168
	v_fma_f64 v[92:93], v[92:93], v[112:113], -v[100:101]
	s_wait_loadcnt_dscnt 0x201
	v_mul_f64_e32 v[98:99], v[8:9], v[118:119]
	v_mul_f64_e32 v[104:105], v[10:11], v[118:119]
	s_wait_loadcnt_dscnt 0x100
	v_mul_f64_e32 v[94:95], v[2:3], v[122:123]
	v_add_f64_e32 v[88:89], v[88:89], v[102:103]
	v_add_f64_e32 v[12:13], v[12:13], v[96:97]
	v_mul_f64_e32 v[96:97], v[4:5], v[122:123]
	v_fmac_f64_e32 v[98:99], v[10:11], v[116:117]
	v_fma_f64 v[8:9], v[8:9], v[116:117], -v[104:105]
	v_fmac_f64_e32 v[94:95], v[4:5], v[120:121]
	v_add_f64_e32 v[10:11], v[88:89], v[92:93]
	v_add_f64_e32 v[12:13], v[12:13], v[90:91]
	v_fma_f64 v[2:3], v[2:3], v[120:121], -v[96:97]
	s_delay_alu instid0(VALU_DEP_3) | instskip(NEXT) | instid1(VALU_DEP_3)
	v_add_f64_e32 v[4:5], v[10:11], v[8:9]
	v_add_f64_e32 v[8:9], v[12:13], v[98:99]
	s_delay_alu instid0(VALU_DEP_2) | instskip(NEXT) | instid1(VALU_DEP_2)
	v_add_f64_e32 v[2:3], v[4:5], v[2:3]
	v_add_f64_e32 v[4:5], v[8:9], v[94:95]
	s_wait_loadcnt 0x0
	s_delay_alu instid0(VALU_DEP_2) | instskip(NEXT) | instid1(VALU_DEP_2)
	v_add_f64_e64 v[2:3], v[132:133], -v[2:3]
	v_add_f64_e64 v[4:5], v[134:135], -v[4:5]
	scratch_store_b128 off, v[2:5], off offset:416
	s_wait_xcnt 0x0
	v_cmpx_lt_u32_e32 25, v1
	s_cbranch_execz .LBB100_185
; %bb.184:
	scratch_load_b128 v[2:5], off, s27
	v_mov_b32_e32 v8, 0
	s_delay_alu instid0(VALU_DEP_1)
	v_dual_mov_b32 v9, v8 :: v_dual_mov_b32 v10, v8
	v_mov_b32_e32 v11, v8
	scratch_store_b128 off, v[8:11], off offset:400
	s_wait_loadcnt 0x0
	ds_store_b128 v6, v[2:5]
.LBB100_185:
	s_wait_xcnt 0x0
	s_or_b32 exec_lo, exec_lo, s2
	s_wait_storecnt_dscnt 0x0
	s_barrier_signal -1
	s_barrier_wait -1
	s_clause 0x9
	scratch_load_b128 v[8:11], off, off offset:416
	scratch_load_b128 v[88:91], off, off offset:432
	;; [unrolled: 1-line block ×10, first 2 shown]
	v_mov_b32_e32 v2, 0
	s_mov_b32 s2, exec_lo
	ds_load_b128 v[124:127], v2 offset:1008
	s_clause 0x1
	scratch_load_b128 v[128:131], off, off offset:576
	scratch_load_b128 v[132:135], off, off offset:400
	s_wait_loadcnt_dscnt 0xb00
	v_mul_f64_e32 v[4:5], v[126:127], v[10:11]
	v_mul_f64_e32 v[12:13], v[124:125], v[10:11]
	ds_load_b128 v[136:139], v2 offset:1024
	s_wait_loadcnt_dscnt 0xa00
	v_mul_f64_e32 v[140:141], v[136:137], v[90:91]
	v_mul_f64_e32 v[90:91], v[138:139], v[90:91]
	v_fma_f64 v[4:5], v[124:125], v[8:9], -v[4:5]
	v_fmac_f64_e32 v[12:13], v[126:127], v[8:9]
	ds_load_b128 v[8:11], v2 offset:1040
	ds_load_b128 v[124:127], v2 offset:1056
	s_wait_loadcnt_dscnt 0x901
	v_mul_f64_e32 v[142:143], v[8:9], v[94:95]
	v_mul_f64_e32 v[94:95], v[10:11], v[94:95]
	v_fmac_f64_e32 v[140:141], v[138:139], v[88:89]
	v_fma_f64 v[88:89], v[136:137], v[88:89], -v[90:91]
	s_wait_loadcnt_dscnt 0x800
	v_mul_f64_e32 v[136:137], v[124:125], v[98:99]
	v_mul_f64_e32 v[98:99], v[126:127], v[98:99]
	v_add_f64_e32 v[4:5], 0, v[4:5]
	v_add_f64_e32 v[12:13], 0, v[12:13]
	v_fmac_f64_e32 v[142:143], v[10:11], v[92:93]
	v_fma_f64 v[92:93], v[8:9], v[92:93], -v[94:95]
	v_fmac_f64_e32 v[136:137], v[126:127], v[96:97]
	v_fma_f64 v[96:97], v[124:125], v[96:97], -v[98:99]
	v_add_f64_e32 v[4:5], v[4:5], v[88:89]
	v_add_f64_e32 v[12:13], v[12:13], v[140:141]
	ds_load_b128 v[8:11], v2 offset:1072
	ds_load_b128 v[88:91], v2 offset:1088
	s_wait_loadcnt_dscnt 0x701
	v_mul_f64_e32 v[138:139], v[8:9], v[102:103]
	v_mul_f64_e32 v[94:95], v[10:11], v[102:103]
	s_wait_loadcnt_dscnt 0x600
	v_mul_f64_e32 v[98:99], v[88:89], v[106:107]
	v_mul_f64_e32 v[102:103], v[90:91], v[106:107]
	v_add_f64_e32 v[4:5], v[4:5], v[92:93]
	v_add_f64_e32 v[12:13], v[12:13], v[142:143]
	v_fmac_f64_e32 v[138:139], v[10:11], v[100:101]
	v_fma_f64 v[100:101], v[8:9], v[100:101], -v[94:95]
	ds_load_b128 v[8:11], v2 offset:1104
	ds_load_b128 v[92:95], v2 offset:1120
	v_fmac_f64_e32 v[98:99], v[90:91], v[104:105]
	v_fma_f64 v[88:89], v[88:89], v[104:105], -v[102:103]
	v_add_f64_e32 v[4:5], v[4:5], v[96:97]
	v_add_f64_e32 v[12:13], v[12:13], v[136:137]
	s_wait_loadcnt_dscnt 0x501
	v_mul_f64_e32 v[96:97], v[8:9], v[110:111]
	v_mul_f64_e32 v[106:107], v[10:11], v[110:111]
	s_wait_loadcnt_dscnt 0x400
	v_mul_f64_e32 v[102:103], v[94:95], v[114:115]
	v_add_f64_e32 v[4:5], v[4:5], v[100:101]
	v_add_f64_e32 v[12:13], v[12:13], v[138:139]
	v_mul_f64_e32 v[100:101], v[92:93], v[114:115]
	v_fmac_f64_e32 v[96:97], v[10:11], v[108:109]
	v_fma_f64 v[104:105], v[8:9], v[108:109], -v[106:107]
	v_fma_f64 v[92:93], v[92:93], v[112:113], -v[102:103]
	v_add_f64_e32 v[4:5], v[4:5], v[88:89]
	v_add_f64_e32 v[12:13], v[12:13], v[98:99]
	ds_load_b128 v[8:11], v2 offset:1136
	ds_load_b128 v[88:91], v2 offset:1152
	v_fmac_f64_e32 v[100:101], v[94:95], v[112:113]
	s_wait_loadcnt_dscnt 0x301
	v_mul_f64_e32 v[98:99], v[8:9], v[118:119]
	v_mul_f64_e32 v[106:107], v[10:11], v[118:119]
	s_wait_loadcnt_dscnt 0x200
	v_mul_f64_e32 v[94:95], v[88:89], v[122:123]
	v_add_f64_e32 v[4:5], v[4:5], v[104:105]
	v_add_f64_e32 v[12:13], v[12:13], v[96:97]
	v_mul_f64_e32 v[96:97], v[90:91], v[122:123]
	v_fmac_f64_e32 v[98:99], v[10:11], v[116:117]
	v_fma_f64 v[102:103], v[8:9], v[116:117], -v[106:107]
	ds_load_b128 v[8:11], v2 offset:1168
	v_fmac_f64_e32 v[94:95], v[90:91], v[120:121]
	v_add_f64_e32 v[4:5], v[4:5], v[92:93]
	v_add_f64_e32 v[12:13], v[12:13], v[100:101]
	v_fma_f64 v[88:89], v[88:89], v[120:121], -v[96:97]
	s_wait_loadcnt_dscnt 0x100
	v_mul_f64_e32 v[92:93], v[8:9], v[130:131]
	v_mul_f64_e32 v[100:101], v[10:11], v[130:131]
	v_add_f64_e32 v[4:5], v[4:5], v[102:103]
	v_add_f64_e32 v[12:13], v[12:13], v[98:99]
	s_delay_alu instid0(VALU_DEP_4) | instskip(NEXT) | instid1(VALU_DEP_4)
	v_fmac_f64_e32 v[92:93], v[10:11], v[128:129]
	v_fma_f64 v[8:9], v[8:9], v[128:129], -v[100:101]
	s_delay_alu instid0(VALU_DEP_4) | instskip(NEXT) | instid1(VALU_DEP_4)
	v_add_f64_e32 v[4:5], v[4:5], v[88:89]
	v_add_f64_e32 v[10:11], v[12:13], v[94:95]
	s_delay_alu instid0(VALU_DEP_2) | instskip(NEXT) | instid1(VALU_DEP_2)
	v_add_f64_e32 v[4:5], v[4:5], v[8:9]
	v_add_f64_e32 v[10:11], v[10:11], v[92:93]
	s_wait_loadcnt 0x0
	s_delay_alu instid0(VALU_DEP_2) | instskip(NEXT) | instid1(VALU_DEP_2)
	v_add_f64_e64 v[8:9], v[132:133], -v[4:5]
	v_add_f64_e64 v[10:11], v[134:135], -v[10:11]
	scratch_store_b128 off, v[8:11], off offset:400
	s_wait_xcnt 0x0
	v_cmpx_lt_u32_e32 24, v1
	s_cbranch_execz .LBB100_187
; %bb.186:
	scratch_load_b128 v[8:11], off, s28
	v_dual_mov_b32 v3, v2 :: v_dual_mov_b32 v4, v2
	v_mov_b32_e32 v5, v2
	scratch_store_b128 off, v[2:5], off offset:384
	s_wait_loadcnt 0x0
	ds_store_b128 v6, v[8:11]
.LBB100_187:
	s_wait_xcnt 0x0
	s_or_b32 exec_lo, exec_lo, s2
	s_wait_storecnt_dscnt 0x0
	s_barrier_signal -1
	s_barrier_wait -1
	s_clause 0x9
	scratch_load_b128 v[8:11], off, off offset:400
	scratch_load_b128 v[88:91], off, off offset:416
	;; [unrolled: 1-line block ×10, first 2 shown]
	ds_load_b128 v[124:127], v2 offset:992
	ds_load_b128 v[132:135], v2 offset:1008
	s_clause 0x1
	scratch_load_b128 v[128:131], off, off offset:560
	scratch_load_b128 v[136:139], off, off offset:384
	s_mov_b32 s2, exec_lo
	s_wait_loadcnt_dscnt 0xb01
	v_mul_f64_e32 v[4:5], v[126:127], v[10:11]
	v_mul_f64_e32 v[144:145], v[124:125], v[10:11]
	scratch_load_b128 v[10:13], off, off offset:576
	s_wait_loadcnt_dscnt 0xb00
	v_mul_f64_e32 v[146:147], v[132:133], v[90:91]
	v_mul_f64_e32 v[90:91], v[134:135], v[90:91]
	v_fma_f64 v[4:5], v[124:125], v[8:9], -v[4:5]
	v_fmac_f64_e32 v[144:145], v[126:127], v[8:9]
	ds_load_b128 v[124:127], v2 offset:1024
	ds_load_b128 v[140:143], v2 offset:1040
	v_fmac_f64_e32 v[146:147], v[134:135], v[88:89]
	v_fma_f64 v[88:89], v[132:133], v[88:89], -v[90:91]
	s_wait_loadcnt_dscnt 0xa01
	v_mul_f64_e32 v[8:9], v[124:125], v[94:95]
	v_mul_f64_e32 v[94:95], v[126:127], v[94:95]
	s_wait_loadcnt_dscnt 0x900
	v_mul_f64_e32 v[132:133], v[140:141], v[98:99]
	v_mul_f64_e32 v[98:99], v[142:143], v[98:99]
	v_add_f64_e32 v[4:5], 0, v[4:5]
	v_add_f64_e32 v[90:91], 0, v[144:145]
	v_fmac_f64_e32 v[8:9], v[126:127], v[92:93]
	v_fma_f64 v[124:125], v[124:125], v[92:93], -v[94:95]
	v_fmac_f64_e32 v[132:133], v[142:143], v[96:97]
	v_fma_f64 v[96:97], v[140:141], v[96:97], -v[98:99]
	v_add_f64_e32 v[4:5], v[4:5], v[88:89]
	v_add_f64_e32 v[126:127], v[90:91], v[146:147]
	ds_load_b128 v[88:91], v2 offset:1056
	ds_load_b128 v[92:95], v2 offset:1072
	s_wait_loadcnt_dscnt 0x801
	v_mul_f64_e32 v[134:135], v[88:89], v[102:103]
	v_mul_f64_e32 v[102:103], v[90:91], v[102:103]
	v_add_f64_e32 v[4:5], v[4:5], v[124:125]
	v_add_f64_e32 v[8:9], v[126:127], v[8:9]
	s_wait_loadcnt_dscnt 0x700
	v_mul_f64_e32 v[124:125], v[92:93], v[106:107]
	v_mul_f64_e32 v[106:107], v[94:95], v[106:107]
	v_fmac_f64_e32 v[134:135], v[90:91], v[100:101]
	v_fma_f64 v[100:101], v[88:89], v[100:101], -v[102:103]
	v_add_f64_e32 v[4:5], v[4:5], v[96:97]
	v_add_f64_e32 v[8:9], v[8:9], v[132:133]
	ds_load_b128 v[88:91], v2 offset:1088
	ds_load_b128 v[96:99], v2 offset:1104
	v_fmac_f64_e32 v[124:125], v[94:95], v[104:105]
	v_fma_f64 v[92:93], v[92:93], v[104:105], -v[106:107]
	s_wait_loadcnt_dscnt 0x601
	v_mul_f64_e32 v[102:103], v[88:89], v[110:111]
	v_mul_f64_e32 v[110:111], v[90:91], v[110:111]
	s_wait_loadcnt_dscnt 0x500
	v_mul_f64_e32 v[104:105], v[98:99], v[114:115]
	v_add_f64_e32 v[4:5], v[4:5], v[100:101]
	v_add_f64_e32 v[8:9], v[8:9], v[134:135]
	v_mul_f64_e32 v[100:101], v[96:97], v[114:115]
	v_fmac_f64_e32 v[102:103], v[90:91], v[108:109]
	v_fma_f64 v[106:107], v[88:89], v[108:109], -v[110:111]
	v_fma_f64 v[96:97], v[96:97], v[112:113], -v[104:105]
	v_add_f64_e32 v[4:5], v[4:5], v[92:93]
	v_add_f64_e32 v[8:9], v[8:9], v[124:125]
	ds_load_b128 v[88:91], v2 offset:1120
	ds_load_b128 v[92:95], v2 offset:1136
	v_fmac_f64_e32 v[100:101], v[98:99], v[112:113]
	s_wait_loadcnt_dscnt 0x401
	v_mul_f64_e32 v[108:109], v[88:89], v[118:119]
	v_mul_f64_e32 v[110:111], v[90:91], v[118:119]
	s_wait_loadcnt_dscnt 0x300
	v_mul_f64_e32 v[98:99], v[92:93], v[122:123]
	v_add_f64_e32 v[4:5], v[4:5], v[106:107]
	v_add_f64_e32 v[8:9], v[8:9], v[102:103]
	v_mul_f64_e32 v[102:103], v[94:95], v[122:123]
	v_fmac_f64_e32 v[108:109], v[90:91], v[116:117]
	v_fma_f64 v[104:105], v[88:89], v[116:117], -v[110:111]
	v_fmac_f64_e32 v[98:99], v[94:95], v[120:121]
	v_add_f64_e32 v[96:97], v[4:5], v[96:97]
	v_add_f64_e32 v[8:9], v[8:9], v[100:101]
	ds_load_b128 v[88:91], v2 offset:1152
	ds_load_b128 v[2:5], v2 offset:1168
	v_fma_f64 v[92:93], v[92:93], v[120:121], -v[102:103]
	s_wait_loadcnt_dscnt 0x201
	v_mul_f64_e32 v[100:101], v[88:89], v[130:131]
	v_mul_f64_e32 v[106:107], v[90:91], v[130:131]
	v_add_f64_e32 v[94:95], v[96:97], v[104:105]
	v_add_f64_e32 v[8:9], v[8:9], v[108:109]
	s_wait_loadcnt_dscnt 0x0
	v_mul_f64_e32 v[96:97], v[2:3], v[12:13]
	v_mul_f64_e32 v[12:13], v[4:5], v[12:13]
	v_fmac_f64_e32 v[100:101], v[90:91], v[128:129]
	v_fma_f64 v[88:89], v[88:89], v[128:129], -v[106:107]
	v_add_f64_e32 v[90:91], v[94:95], v[92:93]
	v_add_f64_e32 v[8:9], v[8:9], v[98:99]
	v_fmac_f64_e32 v[96:97], v[4:5], v[10:11]
	v_fma_f64 v[2:3], v[2:3], v[10:11], -v[12:13]
	s_delay_alu instid0(VALU_DEP_4) | instskip(NEXT) | instid1(VALU_DEP_4)
	v_add_f64_e32 v[4:5], v[90:91], v[88:89]
	v_add_f64_e32 v[8:9], v[8:9], v[100:101]
	s_delay_alu instid0(VALU_DEP_2) | instskip(NEXT) | instid1(VALU_DEP_2)
	v_add_f64_e32 v[2:3], v[4:5], v[2:3]
	v_add_f64_e32 v[4:5], v[8:9], v[96:97]
	s_delay_alu instid0(VALU_DEP_2) | instskip(NEXT) | instid1(VALU_DEP_2)
	v_add_f64_e64 v[2:3], v[136:137], -v[2:3]
	v_add_f64_e64 v[4:5], v[138:139], -v[4:5]
	scratch_store_b128 off, v[2:5], off offset:384
	s_wait_xcnt 0x0
	v_cmpx_lt_u32_e32 23, v1
	s_cbranch_execz .LBB100_189
; %bb.188:
	scratch_load_b128 v[2:5], off, s29
	v_mov_b32_e32 v8, 0
	s_delay_alu instid0(VALU_DEP_1)
	v_dual_mov_b32 v9, v8 :: v_dual_mov_b32 v10, v8
	v_mov_b32_e32 v11, v8
	scratch_store_b128 off, v[8:11], off offset:368
	s_wait_loadcnt 0x0
	ds_store_b128 v6, v[2:5]
.LBB100_189:
	s_wait_xcnt 0x0
	s_or_b32 exec_lo, exec_lo, s2
	s_wait_storecnt_dscnt 0x0
	s_barrier_signal -1
	s_barrier_wait -1
	s_clause 0x9
	scratch_load_b128 v[8:11], off, off offset:384
	scratch_load_b128 v[88:91], off, off offset:400
	;; [unrolled: 1-line block ×10, first 2 shown]
	v_mov_b32_e32 v2, 0
	s_mov_b32 s2, exec_lo
	ds_load_b128 v[124:127], v2 offset:976
	s_clause 0x2
	scratch_load_b128 v[128:131], off, off offset:544
	scratch_load_b128 v[132:135], off, off offset:368
	;; [unrolled: 1-line block ×3, first 2 shown]
	s_wait_loadcnt_dscnt 0xc00
	v_mul_f64_e32 v[4:5], v[126:127], v[10:11]
	v_mul_f64_e32 v[148:149], v[124:125], v[10:11]
	ds_load_b128 v[136:139], v2 offset:992
	scratch_load_b128 v[10:13], off, off offset:560
	ds_load_b128 v[144:147], v2 offset:1024
	v_fma_f64 v[4:5], v[124:125], v[8:9], -v[4:5]
	v_fmac_f64_e32 v[148:149], v[126:127], v[8:9]
	ds_load_b128 v[124:127], v2 offset:1008
	s_wait_loadcnt_dscnt 0xc02
	v_mul_f64_e32 v[150:151], v[136:137], v[90:91]
	v_mul_f64_e32 v[90:91], v[138:139], v[90:91]
	s_wait_loadcnt_dscnt 0xb00
	v_mul_f64_e32 v[8:9], v[124:125], v[94:95]
	v_mul_f64_e32 v[94:95], v[126:127], v[94:95]
	v_add_f64_e32 v[4:5], 0, v[4:5]
	v_fmac_f64_e32 v[150:151], v[138:139], v[88:89]
	v_fma_f64 v[88:89], v[136:137], v[88:89], -v[90:91]
	v_add_f64_e32 v[90:91], 0, v[148:149]
	s_wait_loadcnt 0xa
	v_mul_f64_e32 v[136:137], v[144:145], v[98:99]
	v_mul_f64_e32 v[98:99], v[146:147], v[98:99]
	v_fmac_f64_e32 v[8:9], v[126:127], v[92:93]
	v_fma_f64 v[124:125], v[124:125], v[92:93], -v[94:95]
	v_add_f64_e32 v[4:5], v[4:5], v[88:89]
	v_add_f64_e32 v[126:127], v[90:91], v[150:151]
	ds_load_b128 v[88:91], v2 offset:1040
	ds_load_b128 v[92:95], v2 offset:1056
	v_fmac_f64_e32 v[136:137], v[146:147], v[96:97]
	v_fma_f64 v[96:97], v[144:145], v[96:97], -v[98:99]
	s_wait_loadcnt_dscnt 0x901
	v_mul_f64_e32 v[138:139], v[88:89], v[102:103]
	v_mul_f64_e32 v[102:103], v[90:91], v[102:103]
	v_add_f64_e32 v[4:5], v[4:5], v[124:125]
	v_add_f64_e32 v[8:9], v[126:127], v[8:9]
	s_wait_loadcnt_dscnt 0x800
	v_mul_f64_e32 v[124:125], v[92:93], v[106:107]
	v_mul_f64_e32 v[106:107], v[94:95], v[106:107]
	v_fmac_f64_e32 v[138:139], v[90:91], v[100:101]
	v_fma_f64 v[100:101], v[88:89], v[100:101], -v[102:103]
	v_add_f64_e32 v[4:5], v[4:5], v[96:97]
	v_add_f64_e32 v[8:9], v[8:9], v[136:137]
	ds_load_b128 v[88:91], v2 offset:1072
	ds_load_b128 v[96:99], v2 offset:1088
	v_fmac_f64_e32 v[124:125], v[94:95], v[104:105]
	v_fma_f64 v[92:93], v[92:93], v[104:105], -v[106:107]
	s_wait_loadcnt_dscnt 0x701
	v_mul_f64_e32 v[102:103], v[88:89], v[110:111]
	v_mul_f64_e32 v[110:111], v[90:91], v[110:111]
	s_wait_loadcnt_dscnt 0x600
	v_mul_f64_e32 v[104:105], v[98:99], v[114:115]
	v_add_f64_e32 v[4:5], v[4:5], v[100:101]
	v_add_f64_e32 v[8:9], v[8:9], v[138:139]
	v_mul_f64_e32 v[100:101], v[96:97], v[114:115]
	v_fmac_f64_e32 v[102:103], v[90:91], v[108:109]
	v_fma_f64 v[106:107], v[88:89], v[108:109], -v[110:111]
	v_fma_f64 v[96:97], v[96:97], v[112:113], -v[104:105]
	v_add_f64_e32 v[4:5], v[4:5], v[92:93]
	v_add_f64_e32 v[8:9], v[8:9], v[124:125]
	ds_load_b128 v[88:91], v2 offset:1104
	ds_load_b128 v[92:95], v2 offset:1120
	v_fmac_f64_e32 v[100:101], v[98:99], v[112:113]
	s_wait_loadcnt_dscnt 0x501
	v_mul_f64_e32 v[108:109], v[88:89], v[118:119]
	v_mul_f64_e32 v[110:111], v[90:91], v[118:119]
	s_wait_loadcnt_dscnt 0x400
	v_mul_f64_e32 v[104:105], v[94:95], v[122:123]
	v_add_f64_e32 v[4:5], v[4:5], v[106:107]
	v_add_f64_e32 v[8:9], v[8:9], v[102:103]
	v_mul_f64_e32 v[102:103], v[92:93], v[122:123]
	v_fmac_f64_e32 v[108:109], v[90:91], v[116:117]
	v_fma_f64 v[106:107], v[88:89], v[116:117], -v[110:111]
	v_fma_f64 v[92:93], v[92:93], v[120:121], -v[104:105]
	v_add_f64_e32 v[4:5], v[4:5], v[96:97]
	v_add_f64_e32 v[8:9], v[8:9], v[100:101]
	ds_load_b128 v[88:91], v2 offset:1136
	ds_load_b128 v[96:99], v2 offset:1152
	v_fmac_f64_e32 v[102:103], v[94:95], v[120:121]
	s_wait_loadcnt_dscnt 0x301
	v_mul_f64_e32 v[100:101], v[88:89], v[130:131]
	v_mul_f64_e32 v[110:111], v[90:91], v[130:131]
	s_wait_loadcnt_dscnt 0x0
	v_mul_f64_e32 v[94:95], v[96:97], v[12:13]
	v_add_f64_e32 v[4:5], v[4:5], v[106:107]
	v_add_f64_e32 v[8:9], v[8:9], v[108:109]
	v_mul_f64_e32 v[12:13], v[98:99], v[12:13]
	v_fmac_f64_e32 v[100:101], v[90:91], v[128:129]
	v_fma_f64 v[104:105], v[88:89], v[128:129], -v[110:111]
	ds_load_b128 v[88:91], v2 offset:1168
	v_fmac_f64_e32 v[94:95], v[98:99], v[10:11]
	v_add_f64_e32 v[4:5], v[4:5], v[92:93]
	v_add_f64_e32 v[8:9], v[8:9], v[102:103]
	v_fma_f64 v[10:11], v[96:97], v[10:11], -v[12:13]
	s_wait_dscnt 0x0
	v_mul_f64_e32 v[92:93], v[88:89], v[142:143]
	v_mul_f64_e32 v[102:103], v[90:91], v[142:143]
	v_add_f64_e32 v[4:5], v[4:5], v[104:105]
	v_add_f64_e32 v[8:9], v[8:9], v[100:101]
	s_delay_alu instid0(VALU_DEP_4) | instskip(NEXT) | instid1(VALU_DEP_4)
	v_fmac_f64_e32 v[92:93], v[90:91], v[140:141]
	v_fma_f64 v[12:13], v[88:89], v[140:141], -v[102:103]
	s_delay_alu instid0(VALU_DEP_4) | instskip(NEXT) | instid1(VALU_DEP_4)
	v_add_f64_e32 v[4:5], v[4:5], v[10:11]
	v_add_f64_e32 v[8:9], v[8:9], v[94:95]
	s_delay_alu instid0(VALU_DEP_2) | instskip(NEXT) | instid1(VALU_DEP_2)
	v_add_f64_e32 v[4:5], v[4:5], v[12:13]
	v_add_f64_e32 v[10:11], v[8:9], v[92:93]
	s_delay_alu instid0(VALU_DEP_2) | instskip(NEXT) | instid1(VALU_DEP_2)
	v_add_f64_e64 v[8:9], v[132:133], -v[4:5]
	v_add_f64_e64 v[10:11], v[134:135], -v[10:11]
	scratch_store_b128 off, v[8:11], off offset:368
	s_wait_xcnt 0x0
	v_cmpx_lt_u32_e32 22, v1
	s_cbranch_execz .LBB100_191
; %bb.190:
	scratch_load_b128 v[8:11], off, s30
	v_dual_mov_b32 v3, v2 :: v_dual_mov_b32 v4, v2
	v_mov_b32_e32 v5, v2
	scratch_store_b128 off, v[2:5], off offset:352
	s_wait_loadcnt 0x0
	ds_store_b128 v6, v[8:11]
.LBB100_191:
	s_wait_xcnt 0x0
	s_or_b32 exec_lo, exec_lo, s2
	s_wait_storecnt_dscnt 0x0
	s_barrier_signal -1
	s_barrier_wait -1
	s_clause 0x9
	scratch_load_b128 v[8:11], off, off offset:368
	scratch_load_b128 v[88:91], off, off offset:384
	;; [unrolled: 1-line block ×10, first 2 shown]
	ds_load_b128 v[124:127], v2 offset:960
	ds_load_b128 v[132:135], v2 offset:976
	s_clause 0x1
	scratch_load_b128 v[128:131], off, off offset:528
	scratch_load_b128 v[136:139], off, off offset:352
	s_mov_b32 s2, exec_lo
	s_wait_loadcnt_dscnt 0xb01
	v_mul_f64_e32 v[4:5], v[126:127], v[10:11]
	v_mul_f64_e32 v[148:149], v[124:125], v[10:11]
	scratch_load_b128 v[10:13], off, off offset:544
	s_wait_loadcnt_dscnt 0xb00
	v_mul_f64_e32 v[150:151], v[132:133], v[90:91]
	v_mul_f64_e32 v[90:91], v[134:135], v[90:91]
	v_fma_f64 v[4:5], v[124:125], v[8:9], -v[4:5]
	v_fmac_f64_e32 v[148:149], v[126:127], v[8:9]
	ds_load_b128 v[124:127], v2 offset:992
	ds_load_b128 v[140:143], v2 offset:1008
	scratch_load_b128 v[144:147], off, off offset:560
	v_fmac_f64_e32 v[150:151], v[134:135], v[88:89]
	v_fma_f64 v[132:133], v[132:133], v[88:89], -v[90:91]
	scratch_load_b128 v[88:91], off, off offset:576
	s_wait_loadcnt_dscnt 0xc01
	v_mul_f64_e32 v[8:9], v[124:125], v[94:95]
	v_mul_f64_e32 v[94:95], v[126:127], v[94:95]
	v_add_f64_e32 v[4:5], 0, v[4:5]
	v_add_f64_e32 v[134:135], 0, v[148:149]
	s_wait_loadcnt_dscnt 0xb00
	v_mul_f64_e32 v[148:149], v[140:141], v[98:99]
	v_mul_f64_e32 v[98:99], v[142:143], v[98:99]
	v_fmac_f64_e32 v[8:9], v[126:127], v[92:93]
	v_fma_f64 v[152:153], v[124:125], v[92:93], -v[94:95]
	ds_load_b128 v[92:95], v2 offset:1024
	ds_load_b128 v[124:127], v2 offset:1040
	v_add_f64_e32 v[4:5], v[4:5], v[132:133]
	v_add_f64_e32 v[132:133], v[134:135], v[150:151]
	v_fmac_f64_e32 v[148:149], v[142:143], v[96:97]
	v_fma_f64 v[96:97], v[140:141], v[96:97], -v[98:99]
	s_wait_loadcnt_dscnt 0xa01
	v_mul_f64_e32 v[134:135], v[92:93], v[102:103]
	v_mul_f64_e32 v[102:103], v[94:95], v[102:103]
	v_add_f64_e32 v[4:5], v[4:5], v[152:153]
	v_add_f64_e32 v[8:9], v[132:133], v[8:9]
	s_wait_loadcnt_dscnt 0x900
	v_mul_f64_e32 v[132:133], v[124:125], v[106:107]
	v_mul_f64_e32 v[106:107], v[126:127], v[106:107]
	v_fmac_f64_e32 v[134:135], v[94:95], v[100:101]
	v_fma_f64 v[100:101], v[92:93], v[100:101], -v[102:103]
	v_add_f64_e32 v[4:5], v[4:5], v[96:97]
	v_add_f64_e32 v[8:9], v[8:9], v[148:149]
	ds_load_b128 v[92:95], v2 offset:1056
	ds_load_b128 v[96:99], v2 offset:1072
	v_fmac_f64_e32 v[132:133], v[126:127], v[104:105]
	v_fma_f64 v[104:105], v[124:125], v[104:105], -v[106:107]
	s_wait_loadcnt_dscnt 0x801
	v_mul_f64_e32 v[140:141], v[92:93], v[110:111]
	v_mul_f64_e32 v[102:103], v[94:95], v[110:111]
	s_wait_loadcnt_dscnt 0x700
	v_mul_f64_e32 v[106:107], v[96:97], v[114:115]
	v_mul_f64_e32 v[110:111], v[98:99], v[114:115]
	v_add_f64_e32 v[4:5], v[4:5], v[100:101]
	v_add_f64_e32 v[8:9], v[8:9], v[134:135]
	v_fmac_f64_e32 v[140:141], v[94:95], v[108:109]
	v_fma_f64 v[108:109], v[92:93], v[108:109], -v[102:103]
	ds_load_b128 v[92:95], v2 offset:1088
	ds_load_b128 v[100:103], v2 offset:1104
	v_fmac_f64_e32 v[106:107], v[98:99], v[112:113]
	v_fma_f64 v[96:97], v[96:97], v[112:113], -v[110:111]
	v_add_f64_e32 v[4:5], v[4:5], v[104:105]
	v_add_f64_e32 v[8:9], v[8:9], v[132:133]
	s_wait_loadcnt_dscnt 0x601
	v_mul_f64_e32 v[104:105], v[92:93], v[118:119]
	v_mul_f64_e32 v[114:115], v[94:95], v[118:119]
	s_wait_loadcnt_dscnt 0x500
	v_mul_f64_e32 v[110:111], v[102:103], v[122:123]
	v_add_f64_e32 v[4:5], v[4:5], v[108:109]
	v_add_f64_e32 v[8:9], v[8:9], v[140:141]
	v_mul_f64_e32 v[108:109], v[100:101], v[122:123]
	v_fmac_f64_e32 v[104:105], v[94:95], v[116:117]
	v_fma_f64 v[112:113], v[92:93], v[116:117], -v[114:115]
	v_fma_f64 v[100:101], v[100:101], v[120:121], -v[110:111]
	v_add_f64_e32 v[4:5], v[4:5], v[96:97]
	v_add_f64_e32 v[8:9], v[8:9], v[106:107]
	ds_load_b128 v[92:95], v2 offset:1120
	ds_load_b128 v[96:99], v2 offset:1136
	v_fmac_f64_e32 v[108:109], v[102:103], v[120:121]
	s_wait_loadcnt_dscnt 0x401
	v_mul_f64_e32 v[106:107], v[92:93], v[130:131]
	v_mul_f64_e32 v[114:115], v[94:95], v[130:131]
	v_add_f64_e32 v[4:5], v[4:5], v[112:113]
	v_add_f64_e32 v[8:9], v[8:9], v[104:105]
	s_wait_loadcnt_dscnt 0x200
	v_mul_f64_e32 v[102:103], v[96:97], v[12:13]
	v_mul_f64_e32 v[12:13], v[98:99], v[12:13]
	v_fmac_f64_e32 v[106:107], v[94:95], v[128:129]
	v_fma_f64 v[104:105], v[92:93], v[128:129], -v[114:115]
	v_add_f64_e32 v[100:101], v[4:5], v[100:101]
	v_add_f64_e32 v[8:9], v[8:9], v[108:109]
	ds_load_b128 v[92:95], v2 offset:1152
	ds_load_b128 v[2:5], v2 offset:1168
	v_fmac_f64_e32 v[102:103], v[98:99], v[10:11]
	v_fma_f64 v[10:11], v[96:97], v[10:11], -v[12:13]
	s_wait_loadcnt_dscnt 0x101
	v_mul_f64_e32 v[108:109], v[92:93], v[146:147]
	v_mul_f64_e32 v[110:111], v[94:95], v[146:147]
	s_wait_loadcnt_dscnt 0x0
	v_mul_f64_e32 v[96:97], v[2:3], v[90:91]
	v_mul_f64_e32 v[90:91], v[4:5], v[90:91]
	v_add_f64_e32 v[12:13], v[100:101], v[104:105]
	v_add_f64_e32 v[8:9], v[8:9], v[106:107]
	v_fmac_f64_e32 v[108:109], v[94:95], v[144:145]
	v_fma_f64 v[92:93], v[92:93], v[144:145], -v[110:111]
	v_fmac_f64_e32 v[96:97], v[4:5], v[88:89]
	v_fma_f64 v[2:3], v[2:3], v[88:89], -v[90:91]
	v_add_f64_e32 v[10:11], v[12:13], v[10:11]
	v_add_f64_e32 v[8:9], v[8:9], v[102:103]
	s_delay_alu instid0(VALU_DEP_2) | instskip(NEXT) | instid1(VALU_DEP_2)
	v_add_f64_e32 v[4:5], v[10:11], v[92:93]
	v_add_f64_e32 v[8:9], v[8:9], v[108:109]
	s_delay_alu instid0(VALU_DEP_2) | instskip(NEXT) | instid1(VALU_DEP_2)
	;; [unrolled: 3-line block ×3, first 2 shown]
	v_add_f64_e64 v[2:3], v[136:137], -v[2:3]
	v_add_f64_e64 v[4:5], v[138:139], -v[4:5]
	scratch_store_b128 off, v[2:5], off offset:352
	s_wait_xcnt 0x0
	v_cmpx_lt_u32_e32 21, v1
	s_cbranch_execz .LBB100_193
; %bb.192:
	scratch_load_b128 v[2:5], off, s31
	v_mov_b32_e32 v8, 0
	s_delay_alu instid0(VALU_DEP_1)
	v_dual_mov_b32 v9, v8 :: v_dual_mov_b32 v10, v8
	v_mov_b32_e32 v11, v8
	scratch_store_b128 off, v[8:11], off offset:336
	s_wait_loadcnt 0x0
	ds_store_b128 v6, v[2:5]
.LBB100_193:
	s_wait_xcnt 0x0
	s_or_b32 exec_lo, exec_lo, s2
	s_wait_storecnt_dscnt 0x0
	s_barrier_signal -1
	s_barrier_wait -1
	s_clause 0x9
	scratch_load_b128 v[8:11], off, off offset:352
	scratch_load_b128 v[88:91], off, off offset:368
	;; [unrolled: 1-line block ×10, first 2 shown]
	v_mov_b32_e32 v2, 0
	s_mov_b32 s2, exec_lo
	ds_load_b128 v[124:127], v2 offset:944
	s_clause 0x2
	scratch_load_b128 v[128:131], off, off offset:512
	scratch_load_b128 v[132:135], off, off offset:336
	;; [unrolled: 1-line block ×3, first 2 shown]
	s_wait_loadcnt_dscnt 0xc00
	v_mul_f64_e32 v[4:5], v[126:127], v[10:11]
	v_mul_f64_e32 v[148:149], v[124:125], v[10:11]
	ds_load_b128 v[136:139], v2 offset:960
	scratch_load_b128 v[10:13], off, off offset:528
	ds_load_b128 v[144:147], v2 offset:992
	v_fma_f64 v[4:5], v[124:125], v[8:9], -v[4:5]
	v_fmac_f64_e32 v[148:149], v[126:127], v[8:9]
	ds_load_b128 v[124:127], v2 offset:976
	s_wait_loadcnt_dscnt 0xc02
	v_mul_f64_e32 v[150:151], v[136:137], v[90:91]
	v_mul_f64_e32 v[90:91], v[138:139], v[90:91]
	s_wait_loadcnt_dscnt 0xb00
	v_mul_f64_e32 v[8:9], v[124:125], v[94:95]
	v_mul_f64_e32 v[94:95], v[126:127], v[94:95]
	v_add_f64_e32 v[4:5], 0, v[4:5]
	v_fmac_f64_e32 v[150:151], v[138:139], v[88:89]
	v_fma_f64 v[136:137], v[136:137], v[88:89], -v[90:91]
	v_add_f64_e32 v[138:139], 0, v[148:149]
	scratch_load_b128 v[88:91], off, off offset:560
	v_fmac_f64_e32 v[8:9], v[126:127], v[92:93]
	v_fma_f64 v[152:153], v[124:125], v[92:93], -v[94:95]
	ds_load_b128 v[92:95], v2 offset:1008
	s_wait_loadcnt 0xb
	v_mul_f64_e32 v[148:149], v[144:145], v[98:99]
	v_mul_f64_e32 v[98:99], v[146:147], v[98:99]
	scratch_load_b128 v[124:127], off, off offset:576
	v_add_f64_e32 v[4:5], v[4:5], v[136:137]
	v_add_f64_e32 v[150:151], v[138:139], v[150:151]
	ds_load_b128 v[136:139], v2 offset:1024
	s_wait_loadcnt_dscnt 0xb01
	v_mul_f64_e32 v[154:155], v[92:93], v[102:103]
	v_mul_f64_e32 v[102:103], v[94:95], v[102:103]
	v_fmac_f64_e32 v[148:149], v[146:147], v[96:97]
	v_fma_f64 v[96:97], v[144:145], v[96:97], -v[98:99]
	s_wait_loadcnt_dscnt 0xa00
	v_mul_f64_e32 v[144:145], v[136:137], v[106:107]
	v_mul_f64_e32 v[106:107], v[138:139], v[106:107]
	v_add_f64_e32 v[4:5], v[4:5], v[152:153]
	v_add_f64_e32 v[8:9], v[150:151], v[8:9]
	v_fmac_f64_e32 v[154:155], v[94:95], v[100:101]
	v_fma_f64 v[100:101], v[92:93], v[100:101], -v[102:103]
	v_fmac_f64_e32 v[144:145], v[138:139], v[104:105]
	v_fma_f64 v[104:105], v[136:137], v[104:105], -v[106:107]
	v_add_f64_e32 v[4:5], v[4:5], v[96:97]
	v_add_f64_e32 v[8:9], v[8:9], v[148:149]
	ds_load_b128 v[92:95], v2 offset:1040
	ds_load_b128 v[96:99], v2 offset:1056
	s_wait_loadcnt_dscnt 0x901
	v_mul_f64_e32 v[146:147], v[92:93], v[110:111]
	v_mul_f64_e32 v[102:103], v[94:95], v[110:111]
	s_wait_loadcnt_dscnt 0x800
	v_mul_f64_e32 v[106:107], v[96:97], v[114:115]
	v_mul_f64_e32 v[110:111], v[98:99], v[114:115]
	v_add_f64_e32 v[4:5], v[4:5], v[100:101]
	v_add_f64_e32 v[8:9], v[8:9], v[154:155]
	v_fmac_f64_e32 v[146:147], v[94:95], v[108:109]
	v_fma_f64 v[108:109], v[92:93], v[108:109], -v[102:103]
	ds_load_b128 v[92:95], v2 offset:1072
	ds_load_b128 v[100:103], v2 offset:1088
	v_fmac_f64_e32 v[106:107], v[98:99], v[112:113]
	v_fma_f64 v[96:97], v[96:97], v[112:113], -v[110:111]
	v_add_f64_e32 v[4:5], v[4:5], v[104:105]
	v_add_f64_e32 v[8:9], v[8:9], v[144:145]
	s_wait_loadcnt_dscnt 0x701
	v_mul_f64_e32 v[104:105], v[92:93], v[118:119]
	v_mul_f64_e32 v[114:115], v[94:95], v[118:119]
	s_wait_loadcnt_dscnt 0x600
	v_mul_f64_e32 v[110:111], v[102:103], v[122:123]
	v_add_f64_e32 v[4:5], v[4:5], v[108:109]
	v_add_f64_e32 v[8:9], v[8:9], v[146:147]
	v_mul_f64_e32 v[108:109], v[100:101], v[122:123]
	v_fmac_f64_e32 v[104:105], v[94:95], v[116:117]
	v_fma_f64 v[112:113], v[92:93], v[116:117], -v[114:115]
	v_fma_f64 v[100:101], v[100:101], v[120:121], -v[110:111]
	v_add_f64_e32 v[4:5], v[4:5], v[96:97]
	v_add_f64_e32 v[8:9], v[8:9], v[106:107]
	ds_load_b128 v[92:95], v2 offset:1104
	ds_load_b128 v[96:99], v2 offset:1120
	v_fmac_f64_e32 v[108:109], v[102:103], v[120:121]
	s_wait_loadcnt_dscnt 0x501
	v_mul_f64_e32 v[106:107], v[92:93], v[130:131]
	v_mul_f64_e32 v[114:115], v[94:95], v[130:131]
	v_add_f64_e32 v[4:5], v[4:5], v[112:113]
	v_add_f64_e32 v[8:9], v[8:9], v[104:105]
	s_wait_loadcnt_dscnt 0x200
	v_mul_f64_e32 v[104:105], v[96:97], v[12:13]
	v_mul_f64_e32 v[12:13], v[98:99], v[12:13]
	v_fmac_f64_e32 v[106:107], v[94:95], v[128:129]
	v_fma_f64 v[110:111], v[92:93], v[128:129], -v[114:115]
	v_add_f64_e32 v[4:5], v[4:5], v[100:101]
	v_add_f64_e32 v[8:9], v[8:9], v[108:109]
	ds_load_b128 v[92:95], v2 offset:1136
	ds_load_b128 v[100:103], v2 offset:1152
	v_fmac_f64_e32 v[104:105], v[98:99], v[10:11]
	v_fma_f64 v[10:11], v[96:97], v[10:11], -v[12:13]
	s_wait_dscnt 0x1
	v_mul_f64_e32 v[108:109], v[92:93], v[142:143]
	v_mul_f64_e32 v[112:113], v[94:95], v[142:143]
	v_add_f64_e32 v[4:5], v[4:5], v[110:111]
	v_add_f64_e32 v[8:9], v[8:9], v[106:107]
	s_wait_loadcnt_dscnt 0x100
	v_mul_f64_e32 v[12:13], v[100:101], v[90:91]
	v_mul_f64_e32 v[90:91], v[102:103], v[90:91]
	v_fmac_f64_e32 v[108:109], v[94:95], v[140:141]
	v_fma_f64 v[92:93], v[92:93], v[140:141], -v[112:113]
	v_add_f64_e32 v[4:5], v[4:5], v[10:11]
	v_add_f64_e32 v[94:95], v[8:9], v[104:105]
	ds_load_b128 v[8:11], v2 offset:1168
	v_fmac_f64_e32 v[12:13], v[102:103], v[88:89]
	v_fma_f64 v[88:89], v[100:101], v[88:89], -v[90:91]
	s_wait_loadcnt_dscnt 0x0
	v_mul_f64_e32 v[96:97], v[8:9], v[126:127]
	v_mul_f64_e32 v[98:99], v[10:11], v[126:127]
	v_add_f64_e32 v[4:5], v[4:5], v[92:93]
	v_add_f64_e32 v[90:91], v[94:95], v[108:109]
	s_delay_alu instid0(VALU_DEP_4) | instskip(NEXT) | instid1(VALU_DEP_4)
	v_fmac_f64_e32 v[96:97], v[10:11], v[124:125]
	v_fma_f64 v[8:9], v[8:9], v[124:125], -v[98:99]
	s_delay_alu instid0(VALU_DEP_4) | instskip(NEXT) | instid1(VALU_DEP_4)
	v_add_f64_e32 v[4:5], v[4:5], v[88:89]
	v_add_f64_e32 v[10:11], v[90:91], v[12:13]
	s_delay_alu instid0(VALU_DEP_2) | instskip(NEXT) | instid1(VALU_DEP_2)
	v_add_f64_e32 v[4:5], v[4:5], v[8:9]
	v_add_f64_e32 v[10:11], v[10:11], v[96:97]
	s_delay_alu instid0(VALU_DEP_2) | instskip(NEXT) | instid1(VALU_DEP_2)
	v_add_f64_e64 v[8:9], v[132:133], -v[4:5]
	v_add_f64_e64 v[10:11], v[134:135], -v[10:11]
	scratch_store_b128 off, v[8:11], off offset:336
	s_wait_xcnt 0x0
	v_cmpx_lt_u32_e32 20, v1
	s_cbranch_execz .LBB100_195
; %bb.194:
	scratch_load_b128 v[8:11], off, s33
	v_dual_mov_b32 v3, v2 :: v_dual_mov_b32 v4, v2
	v_mov_b32_e32 v5, v2
	scratch_store_b128 off, v[2:5], off offset:320
	s_wait_loadcnt 0x0
	ds_store_b128 v6, v[8:11]
.LBB100_195:
	s_wait_xcnt 0x0
	s_or_b32 exec_lo, exec_lo, s2
	s_wait_storecnt_dscnt 0x0
	s_barrier_signal -1
	s_barrier_wait -1
	s_clause 0x9
	scratch_load_b128 v[8:11], off, off offset:336
	scratch_load_b128 v[88:91], off, off offset:352
	;; [unrolled: 1-line block ×10, first 2 shown]
	ds_load_b128 v[124:127], v2 offset:928
	ds_load_b128 v[132:135], v2 offset:944
	s_clause 0x1
	scratch_load_b128 v[128:131], off, off offset:496
	scratch_load_b128 v[136:139], off, off offset:320
	s_mov_b32 s2, exec_lo
	s_wait_loadcnt_dscnt 0xb01
	v_mul_f64_e32 v[4:5], v[126:127], v[10:11]
	v_mul_f64_e32 v[148:149], v[124:125], v[10:11]
	scratch_load_b128 v[10:13], off, off offset:512
	s_wait_loadcnt_dscnt 0xb00
	v_mul_f64_e32 v[150:151], v[132:133], v[90:91]
	v_mul_f64_e32 v[90:91], v[134:135], v[90:91]
	v_fma_f64 v[4:5], v[124:125], v[8:9], -v[4:5]
	v_fmac_f64_e32 v[148:149], v[126:127], v[8:9]
	ds_load_b128 v[124:127], v2 offset:960
	ds_load_b128 v[140:143], v2 offset:976
	scratch_load_b128 v[144:147], off, off offset:528
	v_fmac_f64_e32 v[150:151], v[134:135], v[88:89]
	v_fma_f64 v[132:133], v[132:133], v[88:89], -v[90:91]
	scratch_load_b128 v[88:91], off, off offset:544
	s_wait_loadcnt_dscnt 0xc01
	v_mul_f64_e32 v[8:9], v[124:125], v[94:95]
	v_mul_f64_e32 v[94:95], v[126:127], v[94:95]
	v_add_f64_e32 v[4:5], 0, v[4:5]
	v_add_f64_e32 v[134:135], 0, v[148:149]
	s_wait_loadcnt_dscnt 0xb00
	v_mul_f64_e32 v[148:149], v[140:141], v[98:99]
	v_mul_f64_e32 v[98:99], v[142:143], v[98:99]
	v_fmac_f64_e32 v[8:9], v[126:127], v[92:93]
	v_fma_f64 v[152:153], v[124:125], v[92:93], -v[94:95]
	ds_load_b128 v[92:95], v2 offset:992
	ds_load_b128 v[124:127], v2 offset:1008
	v_add_f64_e32 v[4:5], v[4:5], v[132:133]
	v_add_f64_e32 v[150:151], v[134:135], v[150:151]
	scratch_load_b128 v[132:135], off, off offset:560
	v_fmac_f64_e32 v[148:149], v[142:143], v[96:97]
	v_fma_f64 v[140:141], v[140:141], v[96:97], -v[98:99]
	scratch_load_b128 v[96:99], off, off offset:576
	s_wait_loadcnt_dscnt 0xc01
	v_mul_f64_e32 v[154:155], v[92:93], v[102:103]
	v_mul_f64_e32 v[102:103], v[94:95], v[102:103]
	s_wait_loadcnt_dscnt 0xb00
	v_mul_f64_e32 v[142:143], v[124:125], v[106:107]
	v_mul_f64_e32 v[106:107], v[126:127], v[106:107]
	v_add_f64_e32 v[4:5], v[4:5], v[152:153]
	v_add_f64_e32 v[8:9], v[150:151], v[8:9]
	v_fmac_f64_e32 v[154:155], v[94:95], v[100:101]
	v_fma_f64 v[150:151], v[92:93], v[100:101], -v[102:103]
	ds_load_b128 v[92:95], v2 offset:1024
	ds_load_b128 v[100:103], v2 offset:1040
	v_fmac_f64_e32 v[142:143], v[126:127], v[104:105]
	v_fma_f64 v[104:105], v[124:125], v[104:105], -v[106:107]
	s_wait_loadcnt_dscnt 0x900
	v_mul_f64_e32 v[124:125], v[100:101], v[114:115]
	v_add_f64_e32 v[4:5], v[4:5], v[140:141]
	v_add_f64_e32 v[8:9], v[8:9], v[148:149]
	v_mul_f64_e32 v[140:141], v[92:93], v[110:111]
	v_mul_f64_e32 v[110:111], v[94:95], v[110:111]
	v_mul_f64_e32 v[114:115], v[102:103], v[114:115]
	v_fmac_f64_e32 v[124:125], v[102:103], v[112:113]
	v_add_f64_e32 v[4:5], v[4:5], v[150:151]
	v_add_f64_e32 v[8:9], v[8:9], v[154:155]
	v_fmac_f64_e32 v[140:141], v[94:95], v[108:109]
	v_fma_f64 v[108:109], v[92:93], v[108:109], -v[110:111]
	v_fma_f64 v[100:101], v[100:101], v[112:113], -v[114:115]
	v_add_f64_e32 v[4:5], v[4:5], v[104:105]
	v_add_f64_e32 v[8:9], v[8:9], v[142:143]
	ds_load_b128 v[92:95], v2 offset:1056
	ds_load_b128 v[104:107], v2 offset:1072
	s_wait_loadcnt_dscnt 0x801
	v_mul_f64_e32 v[110:111], v[92:93], v[118:119]
	v_mul_f64_e32 v[118:119], v[94:95], v[118:119]
	s_wait_loadcnt_dscnt 0x700
	v_mul_f64_e32 v[112:113], v[106:107], v[122:123]
	v_add_f64_e32 v[4:5], v[4:5], v[108:109]
	v_add_f64_e32 v[8:9], v[8:9], v[140:141]
	v_mul_f64_e32 v[108:109], v[104:105], v[122:123]
	v_fmac_f64_e32 v[110:111], v[94:95], v[116:117]
	v_fma_f64 v[114:115], v[92:93], v[116:117], -v[118:119]
	v_fma_f64 v[104:105], v[104:105], v[120:121], -v[112:113]
	v_add_f64_e32 v[4:5], v[4:5], v[100:101]
	v_add_f64_e32 v[8:9], v[8:9], v[124:125]
	ds_load_b128 v[92:95], v2 offset:1088
	ds_load_b128 v[100:103], v2 offset:1104
	v_fmac_f64_e32 v[108:109], v[106:107], v[120:121]
	s_wait_loadcnt_dscnt 0x601
	v_mul_f64_e32 v[116:117], v[92:93], v[130:131]
	v_mul_f64_e32 v[118:119], v[94:95], v[130:131]
	v_add_f64_e32 v[4:5], v[4:5], v[114:115]
	v_add_f64_e32 v[8:9], v[8:9], v[110:111]
	s_wait_loadcnt_dscnt 0x400
	v_mul_f64_e32 v[110:111], v[100:101], v[12:13]
	v_mul_f64_e32 v[12:13], v[102:103], v[12:13]
	v_fmac_f64_e32 v[116:117], v[94:95], v[128:129]
	v_fma_f64 v[112:113], v[92:93], v[128:129], -v[118:119]
	v_add_f64_e32 v[4:5], v[4:5], v[104:105]
	v_add_f64_e32 v[8:9], v[8:9], v[108:109]
	ds_load_b128 v[92:95], v2 offset:1120
	ds_load_b128 v[104:107], v2 offset:1136
	v_fmac_f64_e32 v[110:111], v[102:103], v[10:11]
	v_fma_f64 v[10:11], v[100:101], v[10:11], -v[12:13]
	s_wait_loadcnt_dscnt 0x301
	v_mul_f64_e32 v[108:109], v[92:93], v[146:147]
	v_mul_f64_e32 v[114:115], v[94:95], v[146:147]
	s_wait_loadcnt_dscnt 0x200
	v_mul_f64_e32 v[12:13], v[104:105], v[90:91]
	v_mul_f64_e32 v[90:91], v[106:107], v[90:91]
	v_add_f64_e32 v[4:5], v[4:5], v[112:113]
	v_add_f64_e32 v[8:9], v[8:9], v[116:117]
	v_fmac_f64_e32 v[108:109], v[94:95], v[144:145]
	v_fma_f64 v[92:93], v[92:93], v[144:145], -v[114:115]
	v_fmac_f64_e32 v[12:13], v[106:107], v[88:89]
	v_fma_f64 v[88:89], v[104:105], v[88:89], -v[90:91]
	v_add_f64_e32 v[94:95], v[4:5], v[10:11]
	v_add_f64_e32 v[100:101], v[8:9], v[110:111]
	ds_load_b128 v[8:11], v2 offset:1152
	ds_load_b128 v[2:5], v2 offset:1168
	s_wait_loadcnt_dscnt 0x101
	v_mul_f64_e32 v[102:103], v[8:9], v[134:135]
	v_mul_f64_e32 v[110:111], v[10:11], v[134:135]
	v_add_f64_e32 v[90:91], v[94:95], v[92:93]
	v_add_f64_e32 v[92:93], v[100:101], v[108:109]
	s_wait_loadcnt_dscnt 0x0
	v_mul_f64_e32 v[94:95], v[2:3], v[98:99]
	v_mul_f64_e32 v[98:99], v[4:5], v[98:99]
	v_fmac_f64_e32 v[102:103], v[10:11], v[132:133]
	v_fma_f64 v[8:9], v[8:9], v[132:133], -v[110:111]
	v_add_f64_e32 v[10:11], v[90:91], v[88:89]
	v_add_f64_e32 v[12:13], v[92:93], v[12:13]
	v_fmac_f64_e32 v[94:95], v[4:5], v[96:97]
	v_fma_f64 v[2:3], v[2:3], v[96:97], -v[98:99]
	s_delay_alu instid0(VALU_DEP_4) | instskip(NEXT) | instid1(VALU_DEP_4)
	v_add_f64_e32 v[4:5], v[10:11], v[8:9]
	v_add_f64_e32 v[8:9], v[12:13], v[102:103]
	s_delay_alu instid0(VALU_DEP_2) | instskip(NEXT) | instid1(VALU_DEP_2)
	v_add_f64_e32 v[2:3], v[4:5], v[2:3]
	v_add_f64_e32 v[4:5], v[8:9], v[94:95]
	s_delay_alu instid0(VALU_DEP_2) | instskip(NEXT) | instid1(VALU_DEP_2)
	v_add_f64_e64 v[2:3], v[136:137], -v[2:3]
	v_add_f64_e64 v[4:5], v[138:139], -v[4:5]
	scratch_store_b128 off, v[2:5], off offset:320
	s_wait_xcnt 0x0
	v_cmpx_lt_u32_e32 19, v1
	s_cbranch_execz .LBB100_197
; %bb.196:
	scratch_load_b128 v[2:5], off, s34
	v_mov_b32_e32 v8, 0
	s_delay_alu instid0(VALU_DEP_1)
	v_dual_mov_b32 v9, v8 :: v_dual_mov_b32 v10, v8
	v_mov_b32_e32 v11, v8
	scratch_store_b128 off, v[8:11], off offset:304
	s_wait_loadcnt 0x0
	ds_store_b128 v6, v[2:5]
.LBB100_197:
	s_wait_xcnt 0x0
	s_or_b32 exec_lo, exec_lo, s2
	s_wait_storecnt_dscnt 0x0
	s_barrier_signal -1
	s_barrier_wait -1
	s_clause 0x9
	scratch_load_b128 v[8:11], off, off offset:320
	scratch_load_b128 v[88:91], off, off offset:336
	;; [unrolled: 1-line block ×10, first 2 shown]
	v_mov_b32_e32 v2, 0
	s_mov_b32 s2, exec_lo
	ds_load_b128 v[124:127], v2 offset:912
	s_clause 0x2
	scratch_load_b128 v[128:131], off, off offset:480
	scratch_load_b128 v[132:135], off, off offset:304
	;; [unrolled: 1-line block ×3, first 2 shown]
	s_wait_loadcnt_dscnt 0xc00
	v_mul_f64_e32 v[4:5], v[126:127], v[10:11]
	v_mul_f64_e32 v[148:149], v[124:125], v[10:11]
	ds_load_b128 v[136:139], v2 offset:928
	scratch_load_b128 v[10:13], off, off offset:496
	ds_load_b128 v[144:147], v2 offset:960
	v_fma_f64 v[4:5], v[124:125], v[8:9], -v[4:5]
	v_fmac_f64_e32 v[148:149], v[126:127], v[8:9]
	ds_load_b128 v[124:127], v2 offset:944
	s_wait_loadcnt_dscnt 0xc02
	v_mul_f64_e32 v[150:151], v[136:137], v[90:91]
	v_mul_f64_e32 v[90:91], v[138:139], v[90:91]
	s_wait_loadcnt_dscnt 0xb00
	v_mul_f64_e32 v[8:9], v[124:125], v[94:95]
	v_mul_f64_e32 v[94:95], v[126:127], v[94:95]
	v_add_f64_e32 v[4:5], 0, v[4:5]
	v_fmac_f64_e32 v[150:151], v[138:139], v[88:89]
	v_fma_f64 v[136:137], v[136:137], v[88:89], -v[90:91]
	v_add_f64_e32 v[138:139], 0, v[148:149]
	scratch_load_b128 v[88:91], off, off offset:528
	v_fmac_f64_e32 v[8:9], v[126:127], v[92:93]
	v_fma_f64 v[152:153], v[124:125], v[92:93], -v[94:95]
	ds_load_b128 v[92:95], v2 offset:976
	s_wait_loadcnt 0xb
	v_mul_f64_e32 v[148:149], v[144:145], v[98:99]
	v_mul_f64_e32 v[98:99], v[146:147], v[98:99]
	scratch_load_b128 v[124:127], off, off offset:544
	v_add_f64_e32 v[4:5], v[4:5], v[136:137]
	v_add_f64_e32 v[150:151], v[138:139], v[150:151]
	ds_load_b128 v[136:139], v2 offset:992
	s_wait_loadcnt_dscnt 0xb01
	v_mul_f64_e32 v[154:155], v[92:93], v[102:103]
	v_mul_f64_e32 v[102:103], v[94:95], v[102:103]
	v_fmac_f64_e32 v[148:149], v[146:147], v[96:97]
	v_fma_f64 v[144:145], v[144:145], v[96:97], -v[98:99]
	scratch_load_b128 v[96:99], off, off offset:560
	v_add_f64_e32 v[4:5], v[4:5], v[152:153]
	v_add_f64_e32 v[8:9], v[150:151], v[8:9]
	v_fmac_f64_e32 v[154:155], v[94:95], v[100:101]
	v_fma_f64 v[152:153], v[92:93], v[100:101], -v[102:103]
	ds_load_b128 v[92:95], v2 offset:1008
	s_wait_loadcnt_dscnt 0xb01
	v_mul_f64_e32 v[150:151], v[136:137], v[106:107]
	v_mul_f64_e32 v[106:107], v[138:139], v[106:107]
	scratch_load_b128 v[100:103], off, off offset:576
	v_add_f64_e32 v[4:5], v[4:5], v[144:145]
	v_add_f64_e32 v[8:9], v[8:9], v[148:149]
	s_wait_loadcnt_dscnt 0xb00
	v_mul_f64_e32 v[148:149], v[92:93], v[110:111]
	v_mul_f64_e32 v[110:111], v[94:95], v[110:111]
	ds_load_b128 v[144:147], v2 offset:1024
	v_fmac_f64_e32 v[150:151], v[138:139], v[104:105]
	v_fma_f64 v[104:105], v[136:137], v[104:105], -v[106:107]
	s_wait_loadcnt_dscnt 0xa00
	v_mul_f64_e32 v[136:137], v[144:145], v[114:115]
	v_mul_f64_e32 v[114:115], v[146:147], v[114:115]
	v_add_f64_e32 v[4:5], v[4:5], v[152:153]
	v_add_f64_e32 v[8:9], v[8:9], v[154:155]
	v_fmac_f64_e32 v[148:149], v[94:95], v[108:109]
	v_fma_f64 v[108:109], v[92:93], v[108:109], -v[110:111]
	v_fmac_f64_e32 v[136:137], v[146:147], v[112:113]
	v_fma_f64 v[112:113], v[144:145], v[112:113], -v[114:115]
	v_add_f64_e32 v[4:5], v[4:5], v[104:105]
	v_add_f64_e32 v[8:9], v[8:9], v[150:151]
	ds_load_b128 v[92:95], v2 offset:1040
	ds_load_b128 v[104:107], v2 offset:1056
	s_wait_loadcnt_dscnt 0x901
	v_mul_f64_e32 v[138:139], v[92:93], v[118:119]
	v_mul_f64_e32 v[110:111], v[94:95], v[118:119]
	s_wait_loadcnt_dscnt 0x800
	v_mul_f64_e32 v[114:115], v[104:105], v[122:123]
	v_mul_f64_e32 v[118:119], v[106:107], v[122:123]
	v_add_f64_e32 v[4:5], v[4:5], v[108:109]
	v_add_f64_e32 v[8:9], v[8:9], v[148:149]
	v_fmac_f64_e32 v[138:139], v[94:95], v[116:117]
	v_fma_f64 v[116:117], v[92:93], v[116:117], -v[110:111]
	ds_load_b128 v[92:95], v2 offset:1072
	ds_load_b128 v[108:111], v2 offset:1088
	v_fmac_f64_e32 v[114:115], v[106:107], v[120:121]
	v_fma_f64 v[104:105], v[104:105], v[120:121], -v[118:119]
	v_add_f64_e32 v[4:5], v[4:5], v[112:113]
	v_add_f64_e32 v[8:9], v[8:9], v[136:137]
	s_wait_loadcnt_dscnt 0x701
	v_mul_f64_e32 v[112:113], v[92:93], v[130:131]
	v_mul_f64_e32 v[122:123], v[94:95], v[130:131]
	s_delay_alu instid0(VALU_DEP_4) | instskip(NEXT) | instid1(VALU_DEP_4)
	v_add_f64_e32 v[4:5], v[4:5], v[116:117]
	v_add_f64_e32 v[8:9], v[8:9], v[138:139]
	s_wait_loadcnt_dscnt 0x400
	v_mul_f64_e32 v[116:117], v[108:109], v[12:13]
	v_mul_f64_e32 v[12:13], v[110:111], v[12:13]
	v_fmac_f64_e32 v[112:113], v[94:95], v[128:129]
	v_fma_f64 v[118:119], v[92:93], v[128:129], -v[122:123]
	v_add_f64_e32 v[4:5], v[4:5], v[104:105]
	v_add_f64_e32 v[8:9], v[8:9], v[114:115]
	ds_load_b128 v[92:95], v2 offset:1104
	ds_load_b128 v[104:107], v2 offset:1120
	v_fmac_f64_e32 v[116:117], v[110:111], v[10:11]
	v_fma_f64 v[10:11], v[108:109], v[10:11], -v[12:13]
	s_wait_dscnt 0x1
	v_mul_f64_e32 v[114:115], v[92:93], v[142:143]
	v_mul_f64_e32 v[120:121], v[94:95], v[142:143]
	v_add_f64_e32 v[4:5], v[4:5], v[118:119]
	v_add_f64_e32 v[8:9], v[8:9], v[112:113]
	s_wait_loadcnt_dscnt 0x300
	v_mul_f64_e32 v[12:13], v[104:105], v[90:91]
	v_mul_f64_e32 v[108:109], v[106:107], v[90:91]
	v_fmac_f64_e32 v[114:115], v[94:95], v[140:141]
	v_fma_f64 v[94:95], v[92:93], v[140:141], -v[120:121]
	v_add_f64_e32 v[4:5], v[4:5], v[10:11]
	v_add_f64_e32 v[110:111], v[8:9], v[116:117]
	ds_load_b128 v[8:11], v2 offset:1136
	ds_load_b128 v[90:93], v2 offset:1152
	v_fmac_f64_e32 v[12:13], v[106:107], v[88:89]
	v_fma_f64 v[88:89], v[104:105], v[88:89], -v[108:109]
	s_wait_loadcnt_dscnt 0x201
	v_mul_f64_e32 v[112:113], v[8:9], v[126:127]
	v_mul_f64_e32 v[116:117], v[10:11], v[126:127]
	s_wait_loadcnt_dscnt 0x100
	v_mul_f64_e32 v[104:105], v[90:91], v[98:99]
	v_mul_f64_e32 v[98:99], v[92:93], v[98:99]
	v_add_f64_e32 v[4:5], v[4:5], v[94:95]
	v_add_f64_e32 v[94:95], v[110:111], v[114:115]
	v_fmac_f64_e32 v[112:113], v[10:11], v[124:125]
	v_fma_f64 v[106:107], v[8:9], v[124:125], -v[116:117]
	ds_load_b128 v[8:11], v2 offset:1168
	v_fmac_f64_e32 v[104:105], v[92:93], v[96:97]
	v_fma_f64 v[90:91], v[90:91], v[96:97], -v[98:99]
	v_add_f64_e32 v[4:5], v[4:5], v[88:89]
	v_add_f64_e32 v[12:13], v[94:95], v[12:13]
	s_wait_loadcnt_dscnt 0x0
	v_mul_f64_e32 v[88:89], v[8:9], v[102:103]
	v_mul_f64_e32 v[94:95], v[10:11], v[102:103]
	s_delay_alu instid0(VALU_DEP_4) | instskip(NEXT) | instid1(VALU_DEP_4)
	v_add_f64_e32 v[4:5], v[4:5], v[106:107]
	v_add_f64_e32 v[12:13], v[12:13], v[112:113]
	s_delay_alu instid0(VALU_DEP_4) | instskip(NEXT) | instid1(VALU_DEP_4)
	v_fmac_f64_e32 v[88:89], v[10:11], v[100:101]
	v_fma_f64 v[8:9], v[8:9], v[100:101], -v[94:95]
	s_delay_alu instid0(VALU_DEP_4) | instskip(NEXT) | instid1(VALU_DEP_4)
	v_add_f64_e32 v[4:5], v[4:5], v[90:91]
	v_add_f64_e32 v[10:11], v[12:13], v[104:105]
	s_delay_alu instid0(VALU_DEP_2) | instskip(NEXT) | instid1(VALU_DEP_2)
	v_add_f64_e32 v[4:5], v[4:5], v[8:9]
	v_add_f64_e32 v[10:11], v[10:11], v[88:89]
	s_delay_alu instid0(VALU_DEP_2) | instskip(NEXT) | instid1(VALU_DEP_2)
	v_add_f64_e64 v[8:9], v[132:133], -v[4:5]
	v_add_f64_e64 v[10:11], v[134:135], -v[10:11]
	scratch_store_b128 off, v[8:11], off offset:304
	s_wait_xcnt 0x0
	v_cmpx_lt_u32_e32 18, v1
	s_cbranch_execz .LBB100_199
; %bb.198:
	scratch_load_b128 v[8:11], off, s35
	v_dual_mov_b32 v3, v2 :: v_dual_mov_b32 v4, v2
	v_mov_b32_e32 v5, v2
	scratch_store_b128 off, v[2:5], off offset:288
	s_wait_loadcnt 0x0
	ds_store_b128 v6, v[8:11]
.LBB100_199:
	s_wait_xcnt 0x0
	s_or_b32 exec_lo, exec_lo, s2
	s_wait_storecnt_dscnt 0x0
	s_barrier_signal -1
	s_barrier_wait -1
	s_clause 0x9
	scratch_load_b128 v[8:11], off, off offset:304
	scratch_load_b128 v[88:91], off, off offset:320
	;; [unrolled: 1-line block ×10, first 2 shown]
	ds_load_b128 v[124:127], v2 offset:896
	ds_load_b128 v[132:135], v2 offset:912
	s_clause 0x1
	scratch_load_b128 v[128:131], off, off offset:464
	scratch_load_b128 v[136:139], off, off offset:288
	s_mov_b32 s2, exec_lo
	s_wait_loadcnt_dscnt 0xb01
	v_mul_f64_e32 v[4:5], v[126:127], v[10:11]
	v_mul_f64_e32 v[148:149], v[124:125], v[10:11]
	scratch_load_b128 v[10:13], off, off offset:480
	s_wait_loadcnt_dscnt 0xb00
	v_mul_f64_e32 v[150:151], v[132:133], v[90:91]
	v_mul_f64_e32 v[90:91], v[134:135], v[90:91]
	v_fma_f64 v[4:5], v[124:125], v[8:9], -v[4:5]
	v_fmac_f64_e32 v[148:149], v[126:127], v[8:9]
	ds_load_b128 v[124:127], v2 offset:928
	ds_load_b128 v[140:143], v2 offset:944
	scratch_load_b128 v[144:147], off, off offset:496
	v_fmac_f64_e32 v[150:151], v[134:135], v[88:89]
	v_fma_f64 v[132:133], v[132:133], v[88:89], -v[90:91]
	scratch_load_b128 v[88:91], off, off offset:512
	s_wait_loadcnt_dscnt 0xc01
	v_mul_f64_e32 v[8:9], v[124:125], v[94:95]
	v_mul_f64_e32 v[94:95], v[126:127], v[94:95]
	v_add_f64_e32 v[4:5], 0, v[4:5]
	v_add_f64_e32 v[134:135], 0, v[148:149]
	s_wait_loadcnt_dscnt 0xb00
	v_mul_f64_e32 v[148:149], v[140:141], v[98:99]
	v_mul_f64_e32 v[98:99], v[142:143], v[98:99]
	v_fmac_f64_e32 v[8:9], v[126:127], v[92:93]
	v_fma_f64 v[152:153], v[124:125], v[92:93], -v[94:95]
	ds_load_b128 v[92:95], v2 offset:960
	ds_load_b128 v[124:127], v2 offset:976
	v_add_f64_e32 v[4:5], v[4:5], v[132:133]
	v_add_f64_e32 v[150:151], v[134:135], v[150:151]
	scratch_load_b128 v[132:135], off, off offset:528
	v_fmac_f64_e32 v[148:149], v[142:143], v[96:97]
	v_fma_f64 v[140:141], v[140:141], v[96:97], -v[98:99]
	scratch_load_b128 v[96:99], off, off offset:544
	s_wait_loadcnt_dscnt 0xc01
	v_mul_f64_e32 v[154:155], v[92:93], v[102:103]
	v_mul_f64_e32 v[102:103], v[94:95], v[102:103]
	v_add_f64_e32 v[4:5], v[4:5], v[152:153]
	v_add_f64_e32 v[8:9], v[150:151], v[8:9]
	s_wait_loadcnt_dscnt 0xb00
	v_mul_f64_e32 v[150:151], v[124:125], v[106:107]
	v_mul_f64_e32 v[106:107], v[126:127], v[106:107]
	v_fmac_f64_e32 v[154:155], v[94:95], v[100:101]
	v_fma_f64 v[152:153], v[92:93], v[100:101], -v[102:103]
	ds_load_b128 v[92:95], v2 offset:992
	ds_load_b128 v[100:103], v2 offset:1008
	v_add_f64_e32 v[4:5], v[4:5], v[140:141]
	v_add_f64_e32 v[8:9], v[8:9], v[148:149]
	scratch_load_b128 v[140:143], off, off offset:560
	s_wait_loadcnt_dscnt 0xb01
	v_mul_f64_e32 v[148:149], v[92:93], v[110:111]
	v_mul_f64_e32 v[110:111], v[94:95], v[110:111]
	v_fmac_f64_e32 v[150:151], v[126:127], v[104:105]
	v_fma_f64 v[124:125], v[124:125], v[104:105], -v[106:107]
	scratch_load_b128 v[104:107], off, off offset:576
	s_wait_loadcnt_dscnt 0xb00
	v_mul_f64_e32 v[126:127], v[100:101], v[114:115]
	v_mul_f64_e32 v[114:115], v[102:103], v[114:115]
	v_add_f64_e32 v[4:5], v[4:5], v[152:153]
	v_add_f64_e32 v[8:9], v[8:9], v[154:155]
	v_fmac_f64_e32 v[148:149], v[94:95], v[108:109]
	v_fma_f64 v[152:153], v[92:93], v[108:109], -v[110:111]
	ds_load_b128 v[92:95], v2 offset:1024
	ds_load_b128 v[108:111], v2 offset:1040
	v_fmac_f64_e32 v[126:127], v[102:103], v[112:113]
	v_fma_f64 v[100:101], v[100:101], v[112:113], -v[114:115]
	s_wait_loadcnt_dscnt 0x900
	v_mul_f64_e32 v[112:113], v[108:109], v[122:123]
	v_mul_f64_e32 v[114:115], v[110:111], v[122:123]
	v_add_f64_e32 v[4:5], v[4:5], v[124:125]
	v_add_f64_e32 v[8:9], v[8:9], v[150:151]
	v_mul_f64_e32 v[124:125], v[92:93], v[118:119]
	v_mul_f64_e32 v[118:119], v[94:95], v[118:119]
	v_fmac_f64_e32 v[112:113], v[110:111], v[120:121]
	v_fma_f64 v[108:109], v[108:109], v[120:121], -v[114:115]
	v_add_f64_e32 v[4:5], v[4:5], v[152:153]
	v_add_f64_e32 v[8:9], v[8:9], v[148:149]
	v_fmac_f64_e32 v[124:125], v[94:95], v[116:117]
	v_fma_f64 v[116:117], v[92:93], v[116:117], -v[118:119]
	s_delay_alu instid0(VALU_DEP_4) | instskip(NEXT) | instid1(VALU_DEP_4)
	v_add_f64_e32 v[4:5], v[4:5], v[100:101]
	v_add_f64_e32 v[8:9], v[8:9], v[126:127]
	ds_load_b128 v[92:95], v2 offset:1056
	ds_load_b128 v[100:103], v2 offset:1072
	s_wait_loadcnt_dscnt 0x801
	v_mul_f64_e32 v[118:119], v[92:93], v[130:131]
	v_mul_f64_e32 v[122:123], v[94:95], v[130:131]
	v_add_f64_e32 v[4:5], v[4:5], v[116:117]
	v_add_f64_e32 v[8:9], v[8:9], v[124:125]
	s_wait_loadcnt_dscnt 0x600
	v_mul_f64_e32 v[114:115], v[100:101], v[12:13]
	v_mul_f64_e32 v[12:13], v[102:103], v[12:13]
	v_fmac_f64_e32 v[118:119], v[94:95], v[128:129]
	v_fma_f64 v[116:117], v[92:93], v[128:129], -v[122:123]
	v_add_f64_e32 v[4:5], v[4:5], v[108:109]
	v_add_f64_e32 v[8:9], v[8:9], v[112:113]
	ds_load_b128 v[92:95], v2 offset:1088
	ds_load_b128 v[108:111], v2 offset:1104
	v_fmac_f64_e32 v[114:115], v[102:103], v[10:11]
	v_fma_f64 v[10:11], v[100:101], v[10:11], -v[12:13]
	s_wait_loadcnt_dscnt 0x501
	v_mul_f64_e32 v[112:113], v[92:93], v[146:147]
	v_mul_f64_e32 v[120:121], v[94:95], v[146:147]
	s_wait_loadcnt_dscnt 0x400
	v_mul_f64_e32 v[12:13], v[108:109], v[90:91]
	v_mul_f64_e32 v[100:101], v[110:111], v[90:91]
	v_add_f64_e32 v[4:5], v[4:5], v[116:117]
	v_add_f64_e32 v[8:9], v[8:9], v[118:119]
	v_fmac_f64_e32 v[112:113], v[94:95], v[144:145]
	v_fma_f64 v[94:95], v[92:93], v[144:145], -v[120:121]
	v_fmac_f64_e32 v[12:13], v[110:111], v[88:89]
	v_fma_f64 v[88:89], v[108:109], v[88:89], -v[100:101]
	v_add_f64_e32 v[4:5], v[4:5], v[10:11]
	v_add_f64_e32 v[102:103], v[8:9], v[114:115]
	ds_load_b128 v[8:11], v2 offset:1120
	ds_load_b128 v[90:93], v2 offset:1136
	s_wait_loadcnt_dscnt 0x301
	v_mul_f64_e32 v[114:115], v[8:9], v[134:135]
	v_mul_f64_e32 v[116:117], v[10:11], v[134:135]
	s_wait_loadcnt_dscnt 0x200
	v_mul_f64_e32 v[100:101], v[90:91], v[98:99]
	v_mul_f64_e32 v[98:99], v[92:93], v[98:99]
	v_add_f64_e32 v[4:5], v[4:5], v[94:95]
	v_add_f64_e32 v[94:95], v[102:103], v[112:113]
	v_fmac_f64_e32 v[114:115], v[10:11], v[132:133]
	v_fma_f64 v[102:103], v[8:9], v[132:133], -v[116:117]
	v_fmac_f64_e32 v[100:101], v[92:93], v[96:97]
	v_fma_f64 v[90:91], v[90:91], v[96:97], -v[98:99]
	v_add_f64_e32 v[88:89], v[4:5], v[88:89]
	v_add_f64_e32 v[12:13], v[94:95], v[12:13]
	ds_load_b128 v[8:11], v2 offset:1152
	ds_load_b128 v[2:5], v2 offset:1168
	s_wait_loadcnt_dscnt 0x101
	v_mul_f64_e32 v[94:95], v[8:9], v[142:143]
	v_mul_f64_e32 v[108:109], v[10:11], v[142:143]
	s_wait_loadcnt_dscnt 0x0
	v_mul_f64_e32 v[92:93], v[2:3], v[106:107]
	v_mul_f64_e32 v[96:97], v[4:5], v[106:107]
	v_add_f64_e32 v[88:89], v[88:89], v[102:103]
	v_add_f64_e32 v[12:13], v[12:13], v[114:115]
	v_fmac_f64_e32 v[94:95], v[10:11], v[140:141]
	v_fma_f64 v[8:9], v[8:9], v[140:141], -v[108:109]
	v_fmac_f64_e32 v[92:93], v[4:5], v[104:105]
	v_fma_f64 v[2:3], v[2:3], v[104:105], -v[96:97]
	v_add_f64_e32 v[10:11], v[88:89], v[90:91]
	v_add_f64_e32 v[12:13], v[12:13], v[100:101]
	s_delay_alu instid0(VALU_DEP_2) | instskip(NEXT) | instid1(VALU_DEP_2)
	v_add_f64_e32 v[4:5], v[10:11], v[8:9]
	v_add_f64_e32 v[8:9], v[12:13], v[94:95]
	s_delay_alu instid0(VALU_DEP_2) | instskip(NEXT) | instid1(VALU_DEP_2)
	;; [unrolled: 3-line block ×3, first 2 shown]
	v_add_f64_e64 v[2:3], v[136:137], -v[2:3]
	v_add_f64_e64 v[4:5], v[138:139], -v[4:5]
	scratch_store_b128 off, v[2:5], off offset:288
	s_wait_xcnt 0x0
	v_cmpx_lt_u32_e32 17, v1
	s_cbranch_execz .LBB100_201
; %bb.200:
	scratch_load_b128 v[2:5], off, s36
	v_mov_b32_e32 v8, 0
	s_delay_alu instid0(VALU_DEP_1)
	v_dual_mov_b32 v9, v8 :: v_dual_mov_b32 v10, v8
	v_mov_b32_e32 v11, v8
	scratch_store_b128 off, v[8:11], off offset:272
	s_wait_loadcnt 0x0
	ds_store_b128 v6, v[2:5]
.LBB100_201:
	s_wait_xcnt 0x0
	s_or_b32 exec_lo, exec_lo, s2
	s_wait_storecnt_dscnt 0x0
	s_barrier_signal -1
	s_barrier_wait -1
	s_clause 0x9
	scratch_load_b128 v[8:11], off, off offset:288
	scratch_load_b128 v[88:91], off, off offset:304
	;; [unrolled: 1-line block ×10, first 2 shown]
	v_mov_b32_e32 v2, 0
	s_mov_b32 s2, exec_lo
	ds_load_b128 v[124:127], v2 offset:880
	s_clause 0x2
	scratch_load_b128 v[128:131], off, off offset:448
	scratch_load_b128 v[132:135], off, off offset:272
	;; [unrolled: 1-line block ×3, first 2 shown]
	s_wait_loadcnt_dscnt 0xc00
	v_mul_f64_e32 v[4:5], v[126:127], v[10:11]
	v_mul_f64_e32 v[148:149], v[124:125], v[10:11]
	ds_load_b128 v[136:139], v2 offset:896
	scratch_load_b128 v[10:13], off, off offset:464
	ds_load_b128 v[144:147], v2 offset:928
	v_fma_f64 v[4:5], v[124:125], v[8:9], -v[4:5]
	v_fmac_f64_e32 v[148:149], v[126:127], v[8:9]
	ds_load_b128 v[124:127], v2 offset:912
	s_wait_loadcnt_dscnt 0xc02
	v_mul_f64_e32 v[150:151], v[136:137], v[90:91]
	v_mul_f64_e32 v[90:91], v[138:139], v[90:91]
	s_wait_loadcnt_dscnt 0xb00
	v_mul_f64_e32 v[8:9], v[124:125], v[94:95]
	v_mul_f64_e32 v[94:95], v[126:127], v[94:95]
	v_add_f64_e32 v[4:5], 0, v[4:5]
	v_fmac_f64_e32 v[150:151], v[138:139], v[88:89]
	v_fma_f64 v[136:137], v[136:137], v[88:89], -v[90:91]
	v_add_f64_e32 v[138:139], 0, v[148:149]
	scratch_load_b128 v[88:91], off, off offset:496
	v_fmac_f64_e32 v[8:9], v[126:127], v[92:93]
	v_fma_f64 v[152:153], v[124:125], v[92:93], -v[94:95]
	ds_load_b128 v[92:95], v2 offset:944
	s_wait_loadcnt 0xb
	v_mul_f64_e32 v[148:149], v[144:145], v[98:99]
	v_mul_f64_e32 v[98:99], v[146:147], v[98:99]
	scratch_load_b128 v[124:127], off, off offset:512
	v_add_f64_e32 v[4:5], v[4:5], v[136:137]
	v_add_f64_e32 v[150:151], v[138:139], v[150:151]
	ds_load_b128 v[136:139], v2 offset:960
	s_wait_loadcnt_dscnt 0xb01
	v_mul_f64_e32 v[154:155], v[92:93], v[102:103]
	v_mul_f64_e32 v[102:103], v[94:95], v[102:103]
	v_fmac_f64_e32 v[148:149], v[146:147], v[96:97]
	v_fma_f64 v[144:145], v[144:145], v[96:97], -v[98:99]
	scratch_load_b128 v[96:99], off, off offset:528
	v_add_f64_e32 v[4:5], v[4:5], v[152:153]
	v_add_f64_e32 v[8:9], v[150:151], v[8:9]
	v_fmac_f64_e32 v[154:155], v[94:95], v[100:101]
	v_fma_f64 v[152:153], v[92:93], v[100:101], -v[102:103]
	ds_load_b128 v[92:95], v2 offset:976
	s_wait_loadcnt_dscnt 0xb01
	v_mul_f64_e32 v[150:151], v[136:137], v[106:107]
	v_mul_f64_e32 v[106:107], v[138:139], v[106:107]
	scratch_load_b128 v[100:103], off, off offset:544
	v_add_f64_e32 v[4:5], v[4:5], v[144:145]
	v_add_f64_e32 v[8:9], v[8:9], v[148:149]
	s_wait_loadcnt_dscnt 0xb00
	v_mul_f64_e32 v[148:149], v[92:93], v[110:111]
	v_mul_f64_e32 v[110:111], v[94:95], v[110:111]
	ds_load_b128 v[144:147], v2 offset:992
	v_fmac_f64_e32 v[150:151], v[138:139], v[104:105]
	v_fma_f64 v[136:137], v[136:137], v[104:105], -v[106:107]
	scratch_load_b128 v[104:107], off, off offset:560
	v_add_f64_e32 v[4:5], v[4:5], v[152:153]
	v_add_f64_e32 v[8:9], v[8:9], v[154:155]
	v_fmac_f64_e32 v[148:149], v[94:95], v[108:109]
	v_fma_f64 v[154:155], v[92:93], v[108:109], -v[110:111]
	ds_load_b128 v[92:95], v2 offset:1008
	s_wait_loadcnt_dscnt 0xb01
	v_mul_f64_e32 v[152:153], v[144:145], v[114:115]
	v_mul_f64_e32 v[114:115], v[146:147], v[114:115]
	scratch_load_b128 v[108:111], off, off offset:576
	v_add_f64_e32 v[4:5], v[4:5], v[136:137]
	v_add_f64_e32 v[8:9], v[8:9], v[150:151]
	s_wait_loadcnt_dscnt 0xb00
	v_mul_f64_e32 v[150:151], v[92:93], v[118:119]
	v_mul_f64_e32 v[118:119], v[94:95], v[118:119]
	ds_load_b128 v[136:139], v2 offset:1024
	v_fmac_f64_e32 v[152:153], v[146:147], v[112:113]
	v_fma_f64 v[112:113], v[144:145], v[112:113], -v[114:115]
	s_wait_loadcnt_dscnt 0xa00
	v_mul_f64_e32 v[144:145], v[136:137], v[122:123]
	v_mul_f64_e32 v[122:123], v[138:139], v[122:123]
	v_add_f64_e32 v[4:5], v[4:5], v[154:155]
	v_add_f64_e32 v[8:9], v[8:9], v[148:149]
	v_fmac_f64_e32 v[150:151], v[94:95], v[116:117]
	v_fma_f64 v[116:117], v[92:93], v[116:117], -v[118:119]
	v_fmac_f64_e32 v[144:145], v[138:139], v[120:121]
	v_fma_f64 v[120:121], v[136:137], v[120:121], -v[122:123]
	v_add_f64_e32 v[4:5], v[4:5], v[112:113]
	v_add_f64_e32 v[8:9], v[8:9], v[152:153]
	ds_load_b128 v[92:95], v2 offset:1040
	ds_load_b128 v[112:115], v2 offset:1056
	s_wait_loadcnt_dscnt 0x901
	v_mul_f64_e32 v[146:147], v[92:93], v[130:131]
	v_mul_f64_e32 v[118:119], v[94:95], v[130:131]
	s_wait_loadcnt_dscnt 0x600
	v_mul_f64_e32 v[122:123], v[112:113], v[12:13]
	v_add_f64_e32 v[4:5], v[4:5], v[116:117]
	v_add_f64_e32 v[8:9], v[8:9], v[150:151]
	v_mul_f64_e32 v[12:13], v[114:115], v[12:13]
	v_fmac_f64_e32 v[146:147], v[94:95], v[128:129]
	v_fma_f64 v[128:129], v[92:93], v[128:129], -v[118:119]
	ds_load_b128 v[92:95], v2 offset:1072
	ds_load_b128 v[116:119], v2 offset:1088
	v_fmac_f64_e32 v[122:123], v[114:115], v[10:11]
	v_add_f64_e32 v[4:5], v[4:5], v[120:121]
	v_add_f64_e32 v[8:9], v[8:9], v[144:145]
	v_fma_f64 v[10:11], v[112:113], v[10:11], -v[12:13]
	s_wait_dscnt 0x1
	v_mul_f64_e32 v[120:121], v[92:93], v[142:143]
	v_mul_f64_e32 v[130:131], v[94:95], v[142:143]
	v_add_f64_e32 v[4:5], v[4:5], v[128:129]
	v_add_f64_e32 v[8:9], v[8:9], v[146:147]
	s_wait_loadcnt_dscnt 0x500
	v_mul_f64_e32 v[12:13], v[116:117], v[90:91]
	v_mul_f64_e32 v[112:113], v[118:119], v[90:91]
	v_fmac_f64_e32 v[120:121], v[94:95], v[140:141]
	v_fma_f64 v[94:95], v[92:93], v[140:141], -v[130:131]
	v_add_f64_e32 v[4:5], v[4:5], v[10:11]
	v_add_f64_e32 v[114:115], v[8:9], v[122:123]
	ds_load_b128 v[8:11], v2 offset:1104
	ds_load_b128 v[90:93], v2 offset:1120
	v_fmac_f64_e32 v[12:13], v[118:119], v[88:89]
	v_fma_f64 v[88:89], v[116:117], v[88:89], -v[112:113]
	s_wait_loadcnt_dscnt 0x401
	v_mul_f64_e32 v[122:123], v[8:9], v[126:127]
	v_mul_f64_e32 v[126:127], v[10:11], v[126:127]
	s_wait_loadcnt_dscnt 0x300
	v_mul_f64_e32 v[116:117], v[90:91], v[98:99]
	v_mul_f64_e32 v[98:99], v[92:93], v[98:99]
	v_add_f64_e32 v[4:5], v[4:5], v[94:95]
	v_add_f64_e32 v[94:95], v[114:115], v[120:121]
	v_fmac_f64_e32 v[122:123], v[10:11], v[124:125]
	v_fma_f64 v[118:119], v[8:9], v[124:125], -v[126:127]
	ds_load_b128 v[8:11], v2 offset:1136
	ds_load_b128 v[112:115], v2 offset:1152
	v_fmac_f64_e32 v[116:117], v[92:93], v[96:97]
	v_fma_f64 v[90:91], v[90:91], v[96:97], -v[98:99]
	v_add_f64_e32 v[4:5], v[4:5], v[88:89]
	v_add_f64_e32 v[12:13], v[94:95], v[12:13]
	s_wait_loadcnt_dscnt 0x201
	v_mul_f64_e32 v[88:89], v[8:9], v[102:103]
	v_mul_f64_e32 v[94:95], v[10:11], v[102:103]
	s_wait_loadcnt_dscnt 0x100
	v_mul_f64_e32 v[92:93], v[112:113], v[106:107]
	v_mul_f64_e32 v[96:97], v[114:115], v[106:107]
	v_add_f64_e32 v[4:5], v[4:5], v[118:119]
	v_add_f64_e32 v[12:13], v[12:13], v[122:123]
	v_fmac_f64_e32 v[88:89], v[10:11], v[100:101]
	v_fma_f64 v[94:95], v[8:9], v[100:101], -v[94:95]
	ds_load_b128 v[8:11], v2 offset:1168
	v_fmac_f64_e32 v[92:93], v[114:115], v[104:105]
	v_fma_f64 v[96:97], v[112:113], v[104:105], -v[96:97]
	s_wait_loadcnt_dscnt 0x0
	v_mul_f64_e32 v[98:99], v[10:11], v[110:111]
	v_add_f64_e32 v[4:5], v[4:5], v[90:91]
	v_add_f64_e32 v[12:13], v[12:13], v[116:117]
	v_mul_f64_e32 v[90:91], v[8:9], v[110:111]
	s_delay_alu instid0(VALU_DEP_4) | instskip(NEXT) | instid1(VALU_DEP_4)
	v_fma_f64 v[8:9], v[8:9], v[108:109], -v[98:99]
	v_add_f64_e32 v[4:5], v[4:5], v[94:95]
	s_delay_alu instid0(VALU_DEP_4) | instskip(NEXT) | instid1(VALU_DEP_4)
	v_add_f64_e32 v[12:13], v[12:13], v[88:89]
	v_fmac_f64_e32 v[90:91], v[10:11], v[108:109]
	s_delay_alu instid0(VALU_DEP_3) | instskip(NEXT) | instid1(VALU_DEP_3)
	v_add_f64_e32 v[4:5], v[4:5], v[96:97]
	v_add_f64_e32 v[10:11], v[12:13], v[92:93]
	s_delay_alu instid0(VALU_DEP_2) | instskip(NEXT) | instid1(VALU_DEP_2)
	v_add_f64_e32 v[4:5], v[4:5], v[8:9]
	v_add_f64_e32 v[10:11], v[10:11], v[90:91]
	s_delay_alu instid0(VALU_DEP_2) | instskip(NEXT) | instid1(VALU_DEP_2)
	v_add_f64_e64 v[8:9], v[132:133], -v[4:5]
	v_add_f64_e64 v[10:11], v[134:135], -v[10:11]
	scratch_store_b128 off, v[8:11], off offset:272
	s_wait_xcnt 0x0
	v_cmpx_lt_u32_e32 16, v1
	s_cbranch_execz .LBB100_203
; %bb.202:
	scratch_load_b128 v[8:11], off, s37
	v_dual_mov_b32 v3, v2 :: v_dual_mov_b32 v4, v2
	v_mov_b32_e32 v5, v2
	scratch_store_b128 off, v[2:5], off offset:256
	s_wait_loadcnt 0x0
	ds_store_b128 v6, v[8:11]
.LBB100_203:
	s_wait_xcnt 0x0
	s_or_b32 exec_lo, exec_lo, s2
	s_wait_storecnt_dscnt 0x0
	s_barrier_signal -1
	s_barrier_wait -1
	s_clause 0x9
	scratch_load_b128 v[8:11], off, off offset:272
	scratch_load_b128 v[88:91], off, off offset:288
	;; [unrolled: 1-line block ×10, first 2 shown]
	ds_load_b128 v[124:127], v2 offset:864
	ds_load_b128 v[132:135], v2 offset:880
	s_clause 0x1
	scratch_load_b128 v[128:131], off, off offset:432
	scratch_load_b128 v[136:139], off, off offset:256
	s_mov_b32 s2, exec_lo
	s_wait_loadcnt_dscnt 0xb01
	v_mul_f64_e32 v[4:5], v[126:127], v[10:11]
	v_mul_f64_e32 v[148:149], v[124:125], v[10:11]
	scratch_load_b128 v[10:13], off, off offset:448
	s_wait_loadcnt_dscnt 0xb00
	v_mul_f64_e32 v[150:151], v[132:133], v[90:91]
	v_mul_f64_e32 v[90:91], v[134:135], v[90:91]
	v_fma_f64 v[4:5], v[124:125], v[8:9], -v[4:5]
	v_fmac_f64_e32 v[148:149], v[126:127], v[8:9]
	ds_load_b128 v[124:127], v2 offset:896
	ds_load_b128 v[140:143], v2 offset:912
	scratch_load_b128 v[144:147], off, off offset:464
	v_fmac_f64_e32 v[150:151], v[134:135], v[88:89]
	v_fma_f64 v[132:133], v[132:133], v[88:89], -v[90:91]
	scratch_load_b128 v[88:91], off, off offset:480
	s_wait_loadcnt_dscnt 0xc01
	v_mul_f64_e32 v[8:9], v[124:125], v[94:95]
	v_mul_f64_e32 v[94:95], v[126:127], v[94:95]
	v_add_f64_e32 v[4:5], 0, v[4:5]
	v_add_f64_e32 v[134:135], 0, v[148:149]
	s_wait_loadcnt_dscnt 0xb00
	v_mul_f64_e32 v[148:149], v[140:141], v[98:99]
	v_mul_f64_e32 v[98:99], v[142:143], v[98:99]
	v_fmac_f64_e32 v[8:9], v[126:127], v[92:93]
	v_fma_f64 v[152:153], v[124:125], v[92:93], -v[94:95]
	ds_load_b128 v[92:95], v2 offset:928
	ds_load_b128 v[124:127], v2 offset:944
	v_add_f64_e32 v[4:5], v[4:5], v[132:133]
	v_add_f64_e32 v[150:151], v[134:135], v[150:151]
	scratch_load_b128 v[132:135], off, off offset:496
	v_fmac_f64_e32 v[148:149], v[142:143], v[96:97]
	v_fma_f64 v[140:141], v[140:141], v[96:97], -v[98:99]
	scratch_load_b128 v[96:99], off, off offset:512
	s_wait_loadcnt_dscnt 0xc01
	v_mul_f64_e32 v[154:155], v[92:93], v[102:103]
	v_mul_f64_e32 v[102:103], v[94:95], v[102:103]
	v_add_f64_e32 v[4:5], v[4:5], v[152:153]
	v_add_f64_e32 v[8:9], v[150:151], v[8:9]
	s_wait_loadcnt_dscnt 0xb00
	v_mul_f64_e32 v[150:151], v[124:125], v[106:107]
	v_mul_f64_e32 v[106:107], v[126:127], v[106:107]
	v_fmac_f64_e32 v[154:155], v[94:95], v[100:101]
	v_fma_f64 v[152:153], v[92:93], v[100:101], -v[102:103]
	ds_load_b128 v[92:95], v2 offset:960
	ds_load_b128 v[100:103], v2 offset:976
	v_add_f64_e32 v[4:5], v[4:5], v[140:141]
	v_add_f64_e32 v[8:9], v[8:9], v[148:149]
	scratch_load_b128 v[140:143], off, off offset:528
	s_wait_loadcnt_dscnt 0xb01
	v_mul_f64_e32 v[148:149], v[92:93], v[110:111]
	v_mul_f64_e32 v[110:111], v[94:95], v[110:111]
	v_fmac_f64_e32 v[150:151], v[126:127], v[104:105]
	v_fma_f64 v[124:125], v[124:125], v[104:105], -v[106:107]
	scratch_load_b128 v[104:107], off, off offset:544
	v_add_f64_e32 v[4:5], v[4:5], v[152:153]
	v_add_f64_e32 v[8:9], v[8:9], v[154:155]
	s_wait_loadcnt_dscnt 0xb00
	v_mul_f64_e32 v[152:153], v[100:101], v[114:115]
	v_mul_f64_e32 v[114:115], v[102:103], v[114:115]
	v_fmac_f64_e32 v[148:149], v[94:95], v[108:109]
	v_fma_f64 v[154:155], v[92:93], v[108:109], -v[110:111]
	ds_load_b128 v[92:95], v2 offset:992
	ds_load_b128 v[108:111], v2 offset:1008
	v_add_f64_e32 v[4:5], v[4:5], v[124:125]
	v_add_f64_e32 v[8:9], v[8:9], v[150:151]
	scratch_load_b128 v[124:127], off, off offset:560
	s_wait_loadcnt_dscnt 0xb01
	v_mul_f64_e32 v[150:151], v[92:93], v[118:119]
	v_mul_f64_e32 v[118:119], v[94:95], v[118:119]
	v_fmac_f64_e32 v[152:153], v[102:103], v[112:113]
	v_fma_f64 v[112:113], v[100:101], v[112:113], -v[114:115]
	scratch_load_b128 v[100:103], off, off offset:576
	v_add_f64_e32 v[4:5], v[4:5], v[154:155]
	v_add_f64_e32 v[8:9], v[8:9], v[148:149]
	s_wait_loadcnt_dscnt 0xb00
	v_mul_f64_e32 v[148:149], v[108:109], v[122:123]
	v_mul_f64_e32 v[122:123], v[110:111], v[122:123]
	v_fmac_f64_e32 v[150:151], v[94:95], v[116:117]
	v_fma_f64 v[116:117], v[92:93], v[116:117], -v[118:119]
	v_add_f64_e32 v[4:5], v[4:5], v[112:113]
	v_add_f64_e32 v[8:9], v[8:9], v[152:153]
	ds_load_b128 v[92:95], v2 offset:1024
	ds_load_b128 v[112:115], v2 offset:1040
	v_fmac_f64_e32 v[148:149], v[110:111], v[120:121]
	v_fma_f64 v[108:109], v[108:109], v[120:121], -v[122:123]
	s_wait_loadcnt_dscnt 0xa01
	v_mul_f64_e32 v[118:119], v[92:93], v[130:131]
	v_mul_f64_e32 v[130:131], v[94:95], v[130:131]
	v_add_f64_e32 v[4:5], v[4:5], v[116:117]
	v_add_f64_e32 v[8:9], v[8:9], v[150:151]
	s_wait_loadcnt_dscnt 0x800
	v_mul_f64_e32 v[116:117], v[112:113], v[12:13]
	v_mul_f64_e32 v[12:13], v[114:115], v[12:13]
	v_fmac_f64_e32 v[118:119], v[94:95], v[128:129]
	v_fma_f64 v[120:121], v[92:93], v[128:129], -v[130:131]
	v_add_f64_e32 v[4:5], v[4:5], v[108:109]
	v_add_f64_e32 v[8:9], v[8:9], v[148:149]
	ds_load_b128 v[92:95], v2 offset:1056
	ds_load_b128 v[108:111], v2 offset:1072
	v_fmac_f64_e32 v[116:117], v[114:115], v[10:11]
	v_fma_f64 v[10:11], v[112:113], v[10:11], -v[12:13]
	s_wait_loadcnt_dscnt 0x701
	v_mul_f64_e32 v[122:123], v[92:93], v[146:147]
	v_mul_f64_e32 v[128:129], v[94:95], v[146:147]
	s_wait_loadcnt_dscnt 0x600
	v_mul_f64_e32 v[12:13], v[108:109], v[90:91]
	v_mul_f64_e32 v[112:113], v[110:111], v[90:91]
	v_add_f64_e32 v[4:5], v[4:5], v[120:121]
	v_add_f64_e32 v[8:9], v[8:9], v[118:119]
	v_fmac_f64_e32 v[122:123], v[94:95], v[144:145]
	v_fma_f64 v[94:95], v[92:93], v[144:145], -v[128:129]
	v_fmac_f64_e32 v[12:13], v[110:111], v[88:89]
	v_fma_f64 v[88:89], v[108:109], v[88:89], -v[112:113]
	v_add_f64_e32 v[4:5], v[4:5], v[10:11]
	v_add_f64_e32 v[114:115], v[8:9], v[116:117]
	ds_load_b128 v[8:11], v2 offset:1088
	ds_load_b128 v[90:93], v2 offset:1104
	s_wait_loadcnt_dscnt 0x501
	v_mul_f64_e32 v[116:117], v[8:9], v[134:135]
	v_mul_f64_e32 v[118:119], v[10:11], v[134:135]
	s_wait_loadcnt_dscnt 0x400
	v_mul_f64_e32 v[112:113], v[90:91], v[98:99]
	v_mul_f64_e32 v[98:99], v[92:93], v[98:99]
	v_add_f64_e32 v[4:5], v[4:5], v[94:95]
	v_add_f64_e32 v[94:95], v[114:115], v[122:123]
	v_fmac_f64_e32 v[116:117], v[10:11], v[132:133]
	v_fma_f64 v[114:115], v[8:9], v[132:133], -v[118:119]
	ds_load_b128 v[8:11], v2 offset:1120
	ds_load_b128 v[108:111], v2 offset:1136
	v_fmac_f64_e32 v[112:113], v[92:93], v[96:97]
	v_fma_f64 v[90:91], v[90:91], v[96:97], -v[98:99]
	v_add_f64_e32 v[4:5], v[4:5], v[88:89]
	v_add_f64_e32 v[12:13], v[94:95], v[12:13]
	s_wait_loadcnt_dscnt 0x301
	v_mul_f64_e32 v[88:89], v[8:9], v[142:143]
	v_mul_f64_e32 v[94:95], v[10:11], v[142:143]
	s_wait_loadcnt_dscnt 0x200
	v_mul_f64_e32 v[92:93], v[108:109], v[106:107]
	v_mul_f64_e32 v[96:97], v[110:111], v[106:107]
	v_add_f64_e32 v[4:5], v[4:5], v[114:115]
	v_add_f64_e32 v[12:13], v[12:13], v[116:117]
	v_fmac_f64_e32 v[88:89], v[10:11], v[140:141]
	v_fma_f64 v[94:95], v[8:9], v[140:141], -v[94:95]
	v_fmac_f64_e32 v[92:93], v[110:111], v[104:105]
	v_fma_f64 v[96:97], v[108:109], v[104:105], -v[96:97]
	v_add_f64_e32 v[90:91], v[4:5], v[90:91]
	v_add_f64_e32 v[12:13], v[12:13], v[112:113]
	ds_load_b128 v[8:11], v2 offset:1152
	ds_load_b128 v[2:5], v2 offset:1168
	s_wait_loadcnt_dscnt 0x101
	v_mul_f64_e32 v[98:99], v[8:9], v[126:127]
	v_mul_f64_e32 v[106:107], v[10:11], v[126:127]
	v_add_f64_e32 v[90:91], v[90:91], v[94:95]
	v_add_f64_e32 v[12:13], v[12:13], v[88:89]
	s_wait_loadcnt_dscnt 0x0
	v_mul_f64_e32 v[88:89], v[2:3], v[102:103]
	v_mul_f64_e32 v[94:95], v[4:5], v[102:103]
	v_fmac_f64_e32 v[98:99], v[10:11], v[124:125]
	v_fma_f64 v[8:9], v[8:9], v[124:125], -v[106:107]
	v_add_f64_e32 v[10:11], v[90:91], v[96:97]
	v_add_f64_e32 v[12:13], v[12:13], v[92:93]
	v_fmac_f64_e32 v[88:89], v[4:5], v[100:101]
	v_fma_f64 v[2:3], v[2:3], v[100:101], -v[94:95]
	s_delay_alu instid0(VALU_DEP_4) | instskip(NEXT) | instid1(VALU_DEP_4)
	v_add_f64_e32 v[4:5], v[10:11], v[8:9]
	v_add_f64_e32 v[8:9], v[12:13], v[98:99]
	s_delay_alu instid0(VALU_DEP_2) | instskip(NEXT) | instid1(VALU_DEP_2)
	v_add_f64_e32 v[2:3], v[4:5], v[2:3]
	v_add_f64_e32 v[4:5], v[8:9], v[88:89]
	s_delay_alu instid0(VALU_DEP_2) | instskip(NEXT) | instid1(VALU_DEP_2)
	v_add_f64_e64 v[2:3], v[136:137], -v[2:3]
	v_add_f64_e64 v[4:5], v[138:139], -v[4:5]
	scratch_store_b128 off, v[2:5], off offset:256
	s_wait_xcnt 0x0
	v_cmpx_lt_u32_e32 15, v1
	s_cbranch_execz .LBB100_205
; %bb.204:
	scratch_load_b128 v[2:5], off, s38
	v_mov_b32_e32 v8, 0
	s_delay_alu instid0(VALU_DEP_1)
	v_dual_mov_b32 v9, v8 :: v_dual_mov_b32 v10, v8
	v_mov_b32_e32 v11, v8
	scratch_store_b128 off, v[8:11], off offset:240
	s_wait_loadcnt 0x0
	ds_store_b128 v6, v[2:5]
.LBB100_205:
	s_wait_xcnt 0x0
	s_or_b32 exec_lo, exec_lo, s2
	s_wait_storecnt_dscnt 0x0
	s_barrier_signal -1
	s_barrier_wait -1
	s_clause 0x9
	scratch_load_b128 v[8:11], off, off offset:256
	scratch_load_b128 v[88:91], off, off offset:272
	;; [unrolled: 1-line block ×10, first 2 shown]
	v_mov_b32_e32 v2, 0
	s_mov_b32 s2, exec_lo
	ds_load_b128 v[124:127], v2 offset:848
	s_clause 0x2
	scratch_load_b128 v[128:131], off, off offset:416
	scratch_load_b128 v[132:135], off, off offset:240
	;; [unrolled: 1-line block ×3, first 2 shown]
	s_wait_loadcnt_dscnt 0xc00
	v_mul_f64_e32 v[4:5], v[126:127], v[10:11]
	v_mul_f64_e32 v[148:149], v[124:125], v[10:11]
	ds_load_b128 v[136:139], v2 offset:864
	scratch_load_b128 v[10:13], off, off offset:432
	ds_load_b128 v[144:147], v2 offset:896
	v_fma_f64 v[4:5], v[124:125], v[8:9], -v[4:5]
	v_fmac_f64_e32 v[148:149], v[126:127], v[8:9]
	ds_load_b128 v[124:127], v2 offset:880
	s_wait_loadcnt_dscnt 0xc02
	v_mul_f64_e32 v[150:151], v[136:137], v[90:91]
	v_mul_f64_e32 v[90:91], v[138:139], v[90:91]
	s_wait_loadcnt_dscnt 0xb00
	v_mul_f64_e32 v[8:9], v[124:125], v[94:95]
	v_mul_f64_e32 v[94:95], v[126:127], v[94:95]
	v_add_f64_e32 v[4:5], 0, v[4:5]
	v_fmac_f64_e32 v[150:151], v[138:139], v[88:89]
	v_fma_f64 v[136:137], v[136:137], v[88:89], -v[90:91]
	v_add_f64_e32 v[138:139], 0, v[148:149]
	scratch_load_b128 v[88:91], off, off offset:464
	v_fmac_f64_e32 v[8:9], v[126:127], v[92:93]
	v_fma_f64 v[152:153], v[124:125], v[92:93], -v[94:95]
	ds_load_b128 v[92:95], v2 offset:912
	s_wait_loadcnt 0xb
	v_mul_f64_e32 v[148:149], v[144:145], v[98:99]
	v_mul_f64_e32 v[98:99], v[146:147], v[98:99]
	scratch_load_b128 v[124:127], off, off offset:480
	v_add_f64_e32 v[4:5], v[4:5], v[136:137]
	v_add_f64_e32 v[150:151], v[138:139], v[150:151]
	ds_load_b128 v[136:139], v2 offset:928
	s_wait_loadcnt_dscnt 0xb01
	v_mul_f64_e32 v[154:155], v[92:93], v[102:103]
	v_mul_f64_e32 v[102:103], v[94:95], v[102:103]
	v_fmac_f64_e32 v[148:149], v[146:147], v[96:97]
	v_fma_f64 v[144:145], v[144:145], v[96:97], -v[98:99]
	scratch_load_b128 v[96:99], off, off offset:496
	v_add_f64_e32 v[4:5], v[4:5], v[152:153]
	v_add_f64_e32 v[8:9], v[150:151], v[8:9]
	v_fmac_f64_e32 v[154:155], v[94:95], v[100:101]
	v_fma_f64 v[152:153], v[92:93], v[100:101], -v[102:103]
	ds_load_b128 v[92:95], v2 offset:944
	s_wait_loadcnt_dscnt 0xb01
	v_mul_f64_e32 v[150:151], v[136:137], v[106:107]
	v_mul_f64_e32 v[106:107], v[138:139], v[106:107]
	scratch_load_b128 v[100:103], off, off offset:512
	v_add_f64_e32 v[4:5], v[4:5], v[144:145]
	v_add_f64_e32 v[8:9], v[8:9], v[148:149]
	s_wait_loadcnt_dscnt 0xb00
	v_mul_f64_e32 v[148:149], v[92:93], v[110:111]
	v_mul_f64_e32 v[110:111], v[94:95], v[110:111]
	ds_load_b128 v[144:147], v2 offset:960
	v_fmac_f64_e32 v[150:151], v[138:139], v[104:105]
	v_fma_f64 v[136:137], v[136:137], v[104:105], -v[106:107]
	scratch_load_b128 v[104:107], off, off offset:528
	v_add_f64_e32 v[4:5], v[4:5], v[152:153]
	v_add_f64_e32 v[8:9], v[8:9], v[154:155]
	v_fmac_f64_e32 v[148:149], v[94:95], v[108:109]
	v_fma_f64 v[154:155], v[92:93], v[108:109], -v[110:111]
	ds_load_b128 v[92:95], v2 offset:976
	s_wait_loadcnt_dscnt 0xb01
	v_mul_f64_e32 v[152:153], v[144:145], v[114:115]
	v_mul_f64_e32 v[114:115], v[146:147], v[114:115]
	scratch_load_b128 v[108:111], off, off offset:544
	v_add_f64_e32 v[4:5], v[4:5], v[136:137]
	v_add_f64_e32 v[8:9], v[8:9], v[150:151]
	s_wait_loadcnt_dscnt 0xb00
	v_mul_f64_e32 v[150:151], v[92:93], v[118:119]
	v_mul_f64_e32 v[118:119], v[94:95], v[118:119]
	ds_load_b128 v[136:139], v2 offset:992
	;; [unrolled: 18-line block ×3, first 2 shown]
	v_fmac_f64_e32 v[148:149], v[138:139], v[120:121]
	v_fma_f64 v[120:121], v[136:137], v[120:121], -v[122:123]
	s_wait_loadcnt_dscnt 0x800
	v_mul_f64_e32 v[136:137], v[144:145], v[12:13]
	v_add_f64_e32 v[4:5], v[4:5], v[154:155]
	v_add_f64_e32 v[8:9], v[8:9], v[150:151]
	v_mul_f64_e32 v[12:13], v[146:147], v[12:13]
	v_fmac_f64_e32 v[152:153], v[94:95], v[128:129]
	v_fma_f64 v[128:129], v[92:93], v[128:129], -v[130:131]
	v_fmac_f64_e32 v[136:137], v[146:147], v[10:11]
	v_add_f64_e32 v[4:5], v[4:5], v[120:121]
	v_add_f64_e32 v[8:9], v[8:9], v[148:149]
	ds_load_b128 v[92:95], v2 offset:1040
	ds_load_b128 v[120:123], v2 offset:1056
	v_fma_f64 v[10:11], v[144:145], v[10:11], -v[12:13]
	s_wait_dscnt 0x1
	v_mul_f64_e32 v[130:131], v[92:93], v[142:143]
	v_mul_f64_e32 v[138:139], v[94:95], v[142:143]
	v_add_f64_e32 v[4:5], v[4:5], v[128:129]
	v_add_f64_e32 v[8:9], v[8:9], v[152:153]
	s_wait_loadcnt_dscnt 0x700
	v_mul_f64_e32 v[12:13], v[120:121], v[90:91]
	v_mul_f64_e32 v[128:129], v[122:123], v[90:91]
	v_fmac_f64_e32 v[130:131], v[94:95], v[140:141]
	v_fma_f64 v[94:95], v[92:93], v[140:141], -v[138:139]
	v_add_f64_e32 v[4:5], v[4:5], v[10:11]
	v_add_f64_e32 v[136:137], v[8:9], v[136:137]
	ds_load_b128 v[8:11], v2 offset:1072
	ds_load_b128 v[90:93], v2 offset:1088
	v_fmac_f64_e32 v[12:13], v[122:123], v[88:89]
	v_fma_f64 v[88:89], v[120:121], v[88:89], -v[128:129]
	s_wait_loadcnt_dscnt 0x601
	v_mul_f64_e32 v[138:139], v[8:9], v[126:127]
	v_mul_f64_e32 v[126:127], v[10:11], v[126:127]
	s_wait_loadcnt_dscnt 0x500
	v_mul_f64_e32 v[128:129], v[90:91], v[98:99]
	v_mul_f64_e32 v[98:99], v[92:93], v[98:99]
	v_add_f64_e32 v[4:5], v[4:5], v[94:95]
	v_add_f64_e32 v[94:95], v[136:137], v[130:131]
	v_fmac_f64_e32 v[138:139], v[10:11], v[124:125]
	v_fma_f64 v[124:125], v[8:9], v[124:125], -v[126:127]
	ds_load_b128 v[8:11], v2 offset:1104
	ds_load_b128 v[120:123], v2 offset:1120
	v_fmac_f64_e32 v[128:129], v[92:93], v[96:97]
	v_fma_f64 v[90:91], v[90:91], v[96:97], -v[98:99]
	v_add_f64_e32 v[4:5], v[4:5], v[88:89]
	v_add_f64_e32 v[12:13], v[94:95], v[12:13]
	s_wait_loadcnt_dscnt 0x401
	v_mul_f64_e32 v[94:95], v[8:9], v[102:103]
	v_mul_f64_e32 v[88:89], v[10:11], v[102:103]
	s_wait_loadcnt_dscnt 0x300
	v_mul_f64_e32 v[92:93], v[120:121], v[106:107]
	v_mul_f64_e32 v[96:97], v[122:123], v[106:107]
	v_add_f64_e32 v[4:5], v[4:5], v[124:125]
	v_add_f64_e32 v[12:13], v[12:13], v[138:139]
	v_fmac_f64_e32 v[94:95], v[10:11], v[100:101]
	v_fma_f64 v[98:99], v[8:9], v[100:101], -v[88:89]
	v_fmac_f64_e32 v[92:93], v[122:123], v[104:105]
	v_fma_f64 v[96:97], v[120:121], v[104:105], -v[96:97]
	v_add_f64_e32 v[4:5], v[4:5], v[90:91]
	v_add_f64_e32 v[12:13], v[12:13], v[128:129]
	ds_load_b128 v[8:11], v2 offset:1136
	ds_load_b128 v[88:91], v2 offset:1152
	s_wait_loadcnt_dscnt 0x201
	v_mul_f64_e32 v[100:101], v[8:9], v[110:111]
	v_mul_f64_e32 v[102:103], v[10:11], v[110:111]
	v_add_f64_e32 v[4:5], v[4:5], v[98:99]
	v_add_f64_e32 v[12:13], v[12:13], v[94:95]
	s_wait_loadcnt_dscnt 0x100
	v_mul_f64_e32 v[94:95], v[88:89], v[114:115]
	v_mul_f64_e32 v[98:99], v[90:91], v[114:115]
	v_fmac_f64_e32 v[100:101], v[10:11], v[108:109]
	v_fma_f64 v[102:103], v[8:9], v[108:109], -v[102:103]
	ds_load_b128 v[8:11], v2 offset:1168
	v_add_f64_e32 v[4:5], v[4:5], v[96:97]
	v_add_f64_e32 v[12:13], v[12:13], v[92:93]
	v_fmac_f64_e32 v[94:95], v[90:91], v[112:113]
	v_fma_f64 v[88:89], v[88:89], v[112:113], -v[98:99]
	s_wait_loadcnt_dscnt 0x0
	v_mul_f64_e32 v[92:93], v[8:9], v[118:119]
	v_mul_f64_e32 v[96:97], v[10:11], v[118:119]
	v_add_f64_e32 v[4:5], v[4:5], v[102:103]
	v_add_f64_e32 v[12:13], v[12:13], v[100:101]
	s_delay_alu instid0(VALU_DEP_4) | instskip(NEXT) | instid1(VALU_DEP_4)
	v_fmac_f64_e32 v[92:93], v[10:11], v[116:117]
	v_fma_f64 v[8:9], v[8:9], v[116:117], -v[96:97]
	s_delay_alu instid0(VALU_DEP_4) | instskip(NEXT) | instid1(VALU_DEP_4)
	v_add_f64_e32 v[4:5], v[4:5], v[88:89]
	v_add_f64_e32 v[10:11], v[12:13], v[94:95]
	s_delay_alu instid0(VALU_DEP_2) | instskip(NEXT) | instid1(VALU_DEP_2)
	v_add_f64_e32 v[4:5], v[4:5], v[8:9]
	v_add_f64_e32 v[10:11], v[10:11], v[92:93]
	s_delay_alu instid0(VALU_DEP_2) | instskip(NEXT) | instid1(VALU_DEP_2)
	v_add_f64_e64 v[8:9], v[132:133], -v[4:5]
	v_add_f64_e64 v[10:11], v[134:135], -v[10:11]
	scratch_store_b128 off, v[8:11], off offset:240
	s_wait_xcnt 0x0
	v_cmpx_lt_u32_e32 14, v1
	s_cbranch_execz .LBB100_207
; %bb.206:
	scratch_load_b128 v[8:11], off, s39
	v_dual_mov_b32 v3, v2 :: v_dual_mov_b32 v4, v2
	v_mov_b32_e32 v5, v2
	scratch_store_b128 off, v[2:5], off offset:224
	s_wait_loadcnt 0x0
	ds_store_b128 v6, v[8:11]
.LBB100_207:
	s_wait_xcnt 0x0
	s_or_b32 exec_lo, exec_lo, s2
	s_wait_storecnt_dscnt 0x0
	s_barrier_signal -1
	s_barrier_wait -1
	s_clause 0x9
	scratch_load_b128 v[8:11], off, off offset:240
	scratch_load_b128 v[88:91], off, off offset:256
	;; [unrolled: 1-line block ×10, first 2 shown]
	ds_load_b128 v[124:127], v2 offset:832
	ds_load_b128 v[132:135], v2 offset:848
	s_clause 0x1
	scratch_load_b128 v[128:131], off, off offset:400
	scratch_load_b128 v[136:139], off, off offset:224
	s_mov_b32 s2, exec_lo
	s_wait_loadcnt_dscnt 0xb01
	v_mul_f64_e32 v[4:5], v[126:127], v[10:11]
	v_mul_f64_e32 v[148:149], v[124:125], v[10:11]
	scratch_load_b128 v[10:13], off, off offset:416
	s_wait_loadcnt_dscnt 0xb00
	v_mul_f64_e32 v[150:151], v[132:133], v[90:91]
	v_mul_f64_e32 v[90:91], v[134:135], v[90:91]
	v_fma_f64 v[4:5], v[124:125], v[8:9], -v[4:5]
	v_fmac_f64_e32 v[148:149], v[126:127], v[8:9]
	ds_load_b128 v[124:127], v2 offset:864
	ds_load_b128 v[140:143], v2 offset:880
	scratch_load_b128 v[144:147], off, off offset:432
	v_fmac_f64_e32 v[150:151], v[134:135], v[88:89]
	v_fma_f64 v[132:133], v[132:133], v[88:89], -v[90:91]
	scratch_load_b128 v[88:91], off, off offset:448
	s_wait_loadcnt_dscnt 0xc01
	v_mul_f64_e32 v[8:9], v[124:125], v[94:95]
	v_mul_f64_e32 v[94:95], v[126:127], v[94:95]
	v_add_f64_e32 v[4:5], 0, v[4:5]
	v_add_f64_e32 v[134:135], 0, v[148:149]
	s_wait_loadcnt_dscnt 0xb00
	v_mul_f64_e32 v[148:149], v[140:141], v[98:99]
	v_mul_f64_e32 v[98:99], v[142:143], v[98:99]
	v_fmac_f64_e32 v[8:9], v[126:127], v[92:93]
	v_fma_f64 v[152:153], v[124:125], v[92:93], -v[94:95]
	ds_load_b128 v[92:95], v2 offset:896
	ds_load_b128 v[124:127], v2 offset:912
	v_add_f64_e32 v[4:5], v[4:5], v[132:133]
	v_add_f64_e32 v[150:151], v[134:135], v[150:151]
	scratch_load_b128 v[132:135], off, off offset:464
	v_fmac_f64_e32 v[148:149], v[142:143], v[96:97]
	v_fma_f64 v[140:141], v[140:141], v[96:97], -v[98:99]
	scratch_load_b128 v[96:99], off, off offset:480
	s_wait_loadcnt_dscnt 0xc01
	v_mul_f64_e32 v[154:155], v[92:93], v[102:103]
	v_mul_f64_e32 v[102:103], v[94:95], v[102:103]
	v_add_f64_e32 v[4:5], v[4:5], v[152:153]
	v_add_f64_e32 v[8:9], v[150:151], v[8:9]
	s_wait_loadcnt_dscnt 0xb00
	v_mul_f64_e32 v[150:151], v[124:125], v[106:107]
	v_mul_f64_e32 v[106:107], v[126:127], v[106:107]
	v_fmac_f64_e32 v[154:155], v[94:95], v[100:101]
	v_fma_f64 v[152:153], v[92:93], v[100:101], -v[102:103]
	ds_load_b128 v[92:95], v2 offset:928
	ds_load_b128 v[100:103], v2 offset:944
	v_add_f64_e32 v[4:5], v[4:5], v[140:141]
	v_add_f64_e32 v[8:9], v[8:9], v[148:149]
	scratch_load_b128 v[140:143], off, off offset:496
	s_wait_loadcnt_dscnt 0xb01
	v_mul_f64_e32 v[148:149], v[92:93], v[110:111]
	v_mul_f64_e32 v[110:111], v[94:95], v[110:111]
	v_fmac_f64_e32 v[150:151], v[126:127], v[104:105]
	v_fma_f64 v[124:125], v[124:125], v[104:105], -v[106:107]
	scratch_load_b128 v[104:107], off, off offset:512
	v_add_f64_e32 v[4:5], v[4:5], v[152:153]
	v_add_f64_e32 v[8:9], v[8:9], v[154:155]
	s_wait_loadcnt_dscnt 0xb00
	v_mul_f64_e32 v[152:153], v[100:101], v[114:115]
	v_mul_f64_e32 v[114:115], v[102:103], v[114:115]
	v_fmac_f64_e32 v[148:149], v[94:95], v[108:109]
	v_fma_f64 v[154:155], v[92:93], v[108:109], -v[110:111]
	ds_load_b128 v[92:95], v2 offset:960
	ds_load_b128 v[108:111], v2 offset:976
	v_add_f64_e32 v[4:5], v[4:5], v[124:125]
	v_add_f64_e32 v[8:9], v[8:9], v[150:151]
	scratch_load_b128 v[124:127], off, off offset:528
	s_wait_loadcnt_dscnt 0xb01
	v_mul_f64_e32 v[150:151], v[92:93], v[118:119]
	v_mul_f64_e32 v[118:119], v[94:95], v[118:119]
	v_fmac_f64_e32 v[152:153], v[102:103], v[112:113]
	v_fma_f64 v[112:113], v[100:101], v[112:113], -v[114:115]
	scratch_load_b128 v[100:103], off, off offset:544
	v_add_f64_e32 v[4:5], v[4:5], v[154:155]
	v_add_f64_e32 v[8:9], v[8:9], v[148:149]
	s_wait_loadcnt_dscnt 0xb00
	v_mul_f64_e32 v[148:149], v[108:109], v[122:123]
	v_mul_f64_e32 v[122:123], v[110:111], v[122:123]
	v_fmac_f64_e32 v[150:151], v[94:95], v[116:117]
	v_fma_f64 v[154:155], v[92:93], v[116:117], -v[118:119]
	v_add_f64_e32 v[4:5], v[4:5], v[112:113]
	v_add_f64_e32 v[8:9], v[8:9], v[152:153]
	ds_load_b128 v[92:95], v2 offset:992
	ds_load_b128 v[112:115], v2 offset:1008
	scratch_load_b128 v[116:119], off, off offset:560
	v_fmac_f64_e32 v[148:149], v[110:111], v[120:121]
	v_fma_f64 v[120:121], v[108:109], v[120:121], -v[122:123]
	scratch_load_b128 v[108:111], off, off offset:576
	s_wait_loadcnt_dscnt 0xc01
	v_mul_f64_e32 v[152:153], v[92:93], v[130:131]
	v_mul_f64_e32 v[130:131], v[94:95], v[130:131]
	v_add_f64_e32 v[4:5], v[4:5], v[154:155]
	v_add_f64_e32 v[8:9], v[8:9], v[150:151]
	s_wait_loadcnt_dscnt 0xa00
	v_mul_f64_e32 v[150:151], v[112:113], v[12:13]
	v_mul_f64_e32 v[12:13], v[114:115], v[12:13]
	v_fmac_f64_e32 v[152:153], v[94:95], v[128:129]
	v_fma_f64 v[128:129], v[92:93], v[128:129], -v[130:131]
	v_add_f64_e32 v[4:5], v[4:5], v[120:121]
	v_add_f64_e32 v[8:9], v[8:9], v[148:149]
	ds_load_b128 v[92:95], v2 offset:1024
	ds_load_b128 v[120:123], v2 offset:1040
	v_fmac_f64_e32 v[150:151], v[114:115], v[10:11]
	v_fma_f64 v[10:11], v[112:113], v[10:11], -v[12:13]
	s_wait_loadcnt_dscnt 0x901
	v_mul_f64_e32 v[130:131], v[92:93], v[146:147]
	v_mul_f64_e32 v[146:147], v[94:95], v[146:147]
	s_wait_loadcnt_dscnt 0x800
	v_mul_f64_e32 v[12:13], v[120:121], v[90:91]
	v_mul_f64_e32 v[112:113], v[122:123], v[90:91]
	v_add_f64_e32 v[4:5], v[4:5], v[128:129]
	v_add_f64_e32 v[8:9], v[8:9], v[152:153]
	v_fmac_f64_e32 v[130:131], v[94:95], v[144:145]
	v_fma_f64 v[94:95], v[92:93], v[144:145], -v[146:147]
	v_fmac_f64_e32 v[12:13], v[122:123], v[88:89]
	v_fma_f64 v[88:89], v[120:121], v[88:89], -v[112:113]
	v_add_f64_e32 v[4:5], v[4:5], v[10:11]
	v_add_f64_e32 v[114:115], v[8:9], v[150:151]
	ds_load_b128 v[8:11], v2 offset:1056
	ds_load_b128 v[90:93], v2 offset:1072
	s_wait_loadcnt_dscnt 0x701
	v_mul_f64_e32 v[128:129], v[8:9], v[134:135]
	v_mul_f64_e32 v[134:135], v[10:11], v[134:135]
	s_wait_loadcnt_dscnt 0x600
	v_mul_f64_e32 v[120:121], v[90:91], v[98:99]
	v_mul_f64_e32 v[98:99], v[92:93], v[98:99]
	v_add_f64_e32 v[4:5], v[4:5], v[94:95]
	v_add_f64_e32 v[94:95], v[114:115], v[130:131]
	v_fmac_f64_e32 v[128:129], v[10:11], v[132:133]
	v_fma_f64 v[122:123], v[8:9], v[132:133], -v[134:135]
	ds_load_b128 v[8:11], v2 offset:1088
	ds_load_b128 v[112:115], v2 offset:1104
	v_fmac_f64_e32 v[120:121], v[92:93], v[96:97]
	v_fma_f64 v[90:91], v[90:91], v[96:97], -v[98:99]
	v_add_f64_e32 v[4:5], v[4:5], v[88:89]
	v_add_f64_e32 v[12:13], v[94:95], v[12:13]
	s_wait_loadcnt_dscnt 0x501
	v_mul_f64_e32 v[94:95], v[8:9], v[142:143]
	v_mul_f64_e32 v[88:89], v[10:11], v[142:143]
	s_wait_loadcnt_dscnt 0x400
	v_mul_f64_e32 v[92:93], v[112:113], v[106:107]
	v_mul_f64_e32 v[96:97], v[114:115], v[106:107]
	v_add_f64_e32 v[4:5], v[4:5], v[122:123]
	v_add_f64_e32 v[12:13], v[12:13], v[128:129]
	v_fmac_f64_e32 v[94:95], v[10:11], v[140:141]
	v_fma_f64 v[98:99], v[8:9], v[140:141], -v[88:89]
	v_fmac_f64_e32 v[92:93], v[114:115], v[104:105]
	v_fma_f64 v[96:97], v[112:113], v[104:105], -v[96:97]
	v_add_f64_e32 v[4:5], v[4:5], v[90:91]
	v_add_f64_e32 v[12:13], v[12:13], v[120:121]
	ds_load_b128 v[8:11], v2 offset:1120
	ds_load_b128 v[88:91], v2 offset:1136
	s_wait_loadcnt_dscnt 0x301
	v_mul_f64_e32 v[106:107], v[8:9], v[126:127]
	v_mul_f64_e32 v[120:121], v[10:11], v[126:127]
	v_add_f64_e32 v[4:5], v[4:5], v[98:99]
	v_add_f64_e32 v[12:13], v[12:13], v[94:95]
	s_wait_loadcnt_dscnt 0x200
	v_mul_f64_e32 v[94:95], v[88:89], v[102:103]
	v_mul_f64_e32 v[98:99], v[90:91], v[102:103]
	v_fmac_f64_e32 v[106:107], v[10:11], v[124:125]
	v_fma_f64 v[102:103], v[8:9], v[124:125], -v[120:121]
	v_add_f64_e32 v[96:97], v[4:5], v[96:97]
	v_add_f64_e32 v[12:13], v[12:13], v[92:93]
	ds_load_b128 v[8:11], v2 offset:1152
	ds_load_b128 v[2:5], v2 offset:1168
	v_fmac_f64_e32 v[94:95], v[90:91], v[100:101]
	v_fma_f64 v[88:89], v[88:89], v[100:101], -v[98:99]
	s_wait_loadcnt_dscnt 0x101
	v_mul_f64_e32 v[92:93], v[8:9], v[118:119]
	v_mul_f64_e32 v[104:105], v[10:11], v[118:119]
	s_wait_loadcnt_dscnt 0x0
	v_mul_f64_e32 v[98:99], v[4:5], v[110:111]
	v_add_f64_e32 v[90:91], v[96:97], v[102:103]
	v_add_f64_e32 v[12:13], v[12:13], v[106:107]
	v_mul_f64_e32 v[96:97], v[2:3], v[110:111]
	v_fmac_f64_e32 v[92:93], v[10:11], v[116:117]
	v_fma_f64 v[8:9], v[8:9], v[116:117], -v[104:105]
	v_fma_f64 v[2:3], v[2:3], v[108:109], -v[98:99]
	v_add_f64_e32 v[10:11], v[90:91], v[88:89]
	v_add_f64_e32 v[12:13], v[12:13], v[94:95]
	v_fmac_f64_e32 v[96:97], v[4:5], v[108:109]
	s_delay_alu instid0(VALU_DEP_3) | instskip(NEXT) | instid1(VALU_DEP_3)
	v_add_f64_e32 v[4:5], v[10:11], v[8:9]
	v_add_f64_e32 v[8:9], v[12:13], v[92:93]
	s_delay_alu instid0(VALU_DEP_2) | instskip(NEXT) | instid1(VALU_DEP_2)
	v_add_f64_e32 v[2:3], v[4:5], v[2:3]
	v_add_f64_e32 v[4:5], v[8:9], v[96:97]
	s_delay_alu instid0(VALU_DEP_2) | instskip(NEXT) | instid1(VALU_DEP_2)
	v_add_f64_e64 v[2:3], v[136:137], -v[2:3]
	v_add_f64_e64 v[4:5], v[138:139], -v[4:5]
	scratch_store_b128 off, v[2:5], off offset:224
	s_wait_xcnt 0x0
	v_cmpx_lt_u32_e32 13, v1
	s_cbranch_execz .LBB100_209
; %bb.208:
	scratch_load_b128 v[2:5], off, s40
	v_mov_b32_e32 v8, 0
	s_delay_alu instid0(VALU_DEP_1)
	v_dual_mov_b32 v9, v8 :: v_dual_mov_b32 v10, v8
	v_mov_b32_e32 v11, v8
	scratch_store_b128 off, v[8:11], off offset:208
	s_wait_loadcnt 0x0
	ds_store_b128 v6, v[2:5]
.LBB100_209:
	s_wait_xcnt 0x0
	s_or_b32 exec_lo, exec_lo, s2
	s_wait_storecnt_dscnt 0x0
	s_barrier_signal -1
	s_barrier_wait -1
	s_clause 0x9
	scratch_load_b128 v[8:11], off, off offset:224
	scratch_load_b128 v[88:91], off, off offset:240
	;; [unrolled: 1-line block ×10, first 2 shown]
	v_mov_b32_e32 v2, 0
	s_mov_b32 s2, exec_lo
	ds_load_b128 v[124:127], v2 offset:816
	s_clause 0x2
	scratch_load_b128 v[128:131], off, off offset:384
	scratch_load_b128 v[132:135], off, off offset:208
	;; [unrolled: 1-line block ×3, first 2 shown]
	s_wait_loadcnt_dscnt 0xc00
	v_mul_f64_e32 v[4:5], v[126:127], v[10:11]
	v_mul_f64_e32 v[148:149], v[124:125], v[10:11]
	ds_load_b128 v[136:139], v2 offset:832
	scratch_load_b128 v[10:13], off, off offset:400
	ds_load_b128 v[144:147], v2 offset:864
	v_fma_f64 v[4:5], v[124:125], v[8:9], -v[4:5]
	v_fmac_f64_e32 v[148:149], v[126:127], v[8:9]
	ds_load_b128 v[124:127], v2 offset:848
	s_wait_loadcnt_dscnt 0xc02
	v_mul_f64_e32 v[150:151], v[136:137], v[90:91]
	v_mul_f64_e32 v[90:91], v[138:139], v[90:91]
	s_wait_loadcnt_dscnt 0xb00
	v_mul_f64_e32 v[8:9], v[124:125], v[94:95]
	v_mul_f64_e32 v[94:95], v[126:127], v[94:95]
	v_add_f64_e32 v[4:5], 0, v[4:5]
	v_fmac_f64_e32 v[150:151], v[138:139], v[88:89]
	v_fma_f64 v[136:137], v[136:137], v[88:89], -v[90:91]
	v_add_f64_e32 v[138:139], 0, v[148:149]
	scratch_load_b128 v[88:91], off, off offset:432
	v_fmac_f64_e32 v[8:9], v[126:127], v[92:93]
	v_fma_f64 v[152:153], v[124:125], v[92:93], -v[94:95]
	ds_load_b128 v[92:95], v2 offset:880
	s_wait_loadcnt 0xb
	v_mul_f64_e32 v[148:149], v[144:145], v[98:99]
	v_mul_f64_e32 v[98:99], v[146:147], v[98:99]
	scratch_load_b128 v[124:127], off, off offset:448
	v_add_f64_e32 v[4:5], v[4:5], v[136:137]
	v_add_f64_e32 v[150:151], v[138:139], v[150:151]
	ds_load_b128 v[136:139], v2 offset:896
	s_wait_loadcnt_dscnt 0xb01
	v_mul_f64_e32 v[154:155], v[92:93], v[102:103]
	v_mul_f64_e32 v[102:103], v[94:95], v[102:103]
	v_fmac_f64_e32 v[148:149], v[146:147], v[96:97]
	v_fma_f64 v[144:145], v[144:145], v[96:97], -v[98:99]
	scratch_load_b128 v[96:99], off, off offset:464
	v_add_f64_e32 v[4:5], v[4:5], v[152:153]
	v_add_f64_e32 v[8:9], v[150:151], v[8:9]
	v_fmac_f64_e32 v[154:155], v[94:95], v[100:101]
	v_fma_f64 v[152:153], v[92:93], v[100:101], -v[102:103]
	ds_load_b128 v[92:95], v2 offset:912
	s_wait_loadcnt_dscnt 0xb01
	v_mul_f64_e32 v[150:151], v[136:137], v[106:107]
	v_mul_f64_e32 v[106:107], v[138:139], v[106:107]
	scratch_load_b128 v[100:103], off, off offset:480
	v_add_f64_e32 v[4:5], v[4:5], v[144:145]
	v_add_f64_e32 v[8:9], v[8:9], v[148:149]
	s_wait_loadcnt_dscnt 0xb00
	v_mul_f64_e32 v[148:149], v[92:93], v[110:111]
	v_mul_f64_e32 v[110:111], v[94:95], v[110:111]
	ds_load_b128 v[144:147], v2 offset:928
	v_fmac_f64_e32 v[150:151], v[138:139], v[104:105]
	v_fma_f64 v[136:137], v[136:137], v[104:105], -v[106:107]
	scratch_load_b128 v[104:107], off, off offset:496
	v_add_f64_e32 v[4:5], v[4:5], v[152:153]
	v_add_f64_e32 v[8:9], v[8:9], v[154:155]
	v_fmac_f64_e32 v[148:149], v[94:95], v[108:109]
	v_fma_f64 v[154:155], v[92:93], v[108:109], -v[110:111]
	ds_load_b128 v[92:95], v2 offset:944
	s_wait_loadcnt_dscnt 0xb01
	v_mul_f64_e32 v[152:153], v[144:145], v[114:115]
	v_mul_f64_e32 v[114:115], v[146:147], v[114:115]
	scratch_load_b128 v[108:111], off, off offset:512
	v_add_f64_e32 v[4:5], v[4:5], v[136:137]
	v_add_f64_e32 v[8:9], v[8:9], v[150:151]
	s_wait_loadcnt_dscnt 0xb00
	v_mul_f64_e32 v[150:151], v[92:93], v[118:119]
	v_mul_f64_e32 v[118:119], v[94:95], v[118:119]
	ds_load_b128 v[136:139], v2 offset:960
	;; [unrolled: 18-line block ×3, first 2 shown]
	v_fmac_f64_e32 v[148:149], v[138:139], v[120:121]
	v_fma_f64 v[136:137], v[136:137], v[120:121], -v[122:123]
	scratch_load_b128 v[120:123], off, off offset:560
	v_add_f64_e32 v[4:5], v[4:5], v[154:155]
	v_add_f64_e32 v[8:9], v[8:9], v[150:151]
	v_fmac_f64_e32 v[152:153], v[94:95], v[128:129]
	v_fma_f64 v[154:155], v[92:93], v[128:129], -v[130:131]
	ds_load_b128 v[92:95], v2 offset:1008
	s_wait_loadcnt_dscnt 0x901
	v_mul_f64_e32 v[150:151], v[144:145], v[12:13]
	v_mul_f64_e32 v[12:13], v[146:147], v[12:13]
	scratch_load_b128 v[128:131], off, off offset:576
	v_add_f64_e32 v[4:5], v[4:5], v[136:137]
	v_add_f64_e32 v[8:9], v[8:9], v[148:149]
	s_wait_dscnt 0x0
	v_mul_f64_e32 v[148:149], v[92:93], v[142:143]
	v_mul_f64_e32 v[142:143], v[94:95], v[142:143]
	ds_load_b128 v[136:139], v2 offset:1024
	v_fmac_f64_e32 v[150:151], v[146:147], v[10:11]
	v_fma_f64 v[10:11], v[144:145], v[10:11], -v[12:13]
	v_add_f64_e32 v[4:5], v[4:5], v[154:155]
	v_add_f64_e32 v[8:9], v[8:9], v[152:153]
	s_wait_loadcnt_dscnt 0x900
	v_mul_f64_e32 v[12:13], v[136:137], v[90:91]
	v_mul_f64_e32 v[144:145], v[138:139], v[90:91]
	v_fmac_f64_e32 v[148:149], v[94:95], v[140:141]
	v_fma_f64 v[94:95], v[92:93], v[140:141], -v[142:143]
	v_add_f64_e32 v[4:5], v[4:5], v[10:11]
	v_add_f64_e32 v[140:141], v[8:9], v[150:151]
	ds_load_b128 v[8:11], v2 offset:1040
	ds_load_b128 v[90:93], v2 offset:1056
	v_fmac_f64_e32 v[12:13], v[138:139], v[88:89]
	v_fma_f64 v[88:89], v[136:137], v[88:89], -v[144:145]
	s_wait_loadcnt_dscnt 0x801
	v_mul_f64_e32 v[142:143], v[8:9], v[126:127]
	v_mul_f64_e32 v[126:127], v[10:11], v[126:127]
	s_wait_loadcnt_dscnt 0x700
	v_mul_f64_e32 v[136:137], v[90:91], v[98:99]
	v_mul_f64_e32 v[98:99], v[92:93], v[98:99]
	v_add_f64_e32 v[4:5], v[4:5], v[94:95]
	v_add_f64_e32 v[94:95], v[140:141], v[148:149]
	v_fmac_f64_e32 v[142:143], v[10:11], v[124:125]
	v_fma_f64 v[138:139], v[8:9], v[124:125], -v[126:127]
	ds_load_b128 v[8:11], v2 offset:1072
	ds_load_b128 v[124:127], v2 offset:1088
	v_fmac_f64_e32 v[136:137], v[92:93], v[96:97]
	v_fma_f64 v[90:91], v[90:91], v[96:97], -v[98:99]
	v_add_f64_e32 v[4:5], v[4:5], v[88:89]
	v_add_f64_e32 v[12:13], v[94:95], v[12:13]
	s_wait_loadcnt_dscnt 0x601
	v_mul_f64_e32 v[94:95], v[8:9], v[102:103]
	v_mul_f64_e32 v[88:89], v[10:11], v[102:103]
	s_wait_loadcnt_dscnt 0x500
	v_mul_f64_e32 v[92:93], v[124:125], v[106:107]
	v_mul_f64_e32 v[96:97], v[126:127], v[106:107]
	v_add_f64_e32 v[4:5], v[4:5], v[138:139]
	v_add_f64_e32 v[12:13], v[12:13], v[142:143]
	v_fmac_f64_e32 v[94:95], v[10:11], v[100:101]
	v_fma_f64 v[98:99], v[8:9], v[100:101], -v[88:89]
	v_fmac_f64_e32 v[92:93], v[126:127], v[104:105]
	v_fma_f64 v[96:97], v[124:125], v[104:105], -v[96:97]
	v_add_f64_e32 v[4:5], v[4:5], v[90:91]
	v_add_f64_e32 v[12:13], v[12:13], v[136:137]
	ds_load_b128 v[8:11], v2 offset:1104
	ds_load_b128 v[88:91], v2 offset:1120
	s_wait_loadcnt_dscnt 0x401
	v_mul_f64_e32 v[100:101], v[8:9], v[110:111]
	v_mul_f64_e32 v[102:103], v[10:11], v[110:111]
	s_wait_loadcnt_dscnt 0x300
	v_mul_f64_e32 v[104:105], v[90:91], v[114:115]
	v_add_f64_e32 v[4:5], v[4:5], v[98:99]
	v_add_f64_e32 v[12:13], v[12:13], v[94:95]
	v_mul_f64_e32 v[98:99], v[88:89], v[114:115]
	v_fmac_f64_e32 v[100:101], v[10:11], v[108:109]
	v_fma_f64 v[102:103], v[8:9], v[108:109], -v[102:103]
	v_fma_f64 v[88:89], v[88:89], v[112:113], -v[104:105]
	v_add_f64_e32 v[4:5], v[4:5], v[96:97]
	v_add_f64_e32 v[12:13], v[12:13], v[92:93]
	ds_load_b128 v[8:11], v2 offset:1136
	ds_load_b128 v[92:95], v2 offset:1152
	v_fmac_f64_e32 v[98:99], v[90:91], v[112:113]
	s_wait_loadcnt_dscnt 0x201
	v_mul_f64_e32 v[96:97], v[8:9], v[118:119]
	v_mul_f64_e32 v[106:107], v[10:11], v[118:119]
	s_wait_loadcnt_dscnt 0x100
	v_mul_f64_e32 v[90:91], v[92:93], v[122:123]
	v_add_f64_e32 v[4:5], v[4:5], v[102:103]
	v_add_f64_e32 v[12:13], v[12:13], v[100:101]
	v_mul_f64_e32 v[100:101], v[94:95], v[122:123]
	v_fmac_f64_e32 v[96:97], v[10:11], v[116:117]
	v_fma_f64 v[102:103], v[8:9], v[116:117], -v[106:107]
	ds_load_b128 v[8:11], v2 offset:1168
	v_fmac_f64_e32 v[90:91], v[94:95], v[120:121]
	v_add_f64_e32 v[4:5], v[4:5], v[88:89]
	v_add_f64_e32 v[12:13], v[12:13], v[98:99]
	v_fma_f64 v[92:93], v[92:93], v[120:121], -v[100:101]
	s_wait_loadcnt_dscnt 0x0
	v_mul_f64_e32 v[88:89], v[8:9], v[130:131]
	v_mul_f64_e32 v[98:99], v[10:11], v[130:131]
	v_add_f64_e32 v[4:5], v[4:5], v[102:103]
	v_add_f64_e32 v[12:13], v[12:13], v[96:97]
	s_delay_alu instid0(VALU_DEP_4) | instskip(NEXT) | instid1(VALU_DEP_4)
	v_fmac_f64_e32 v[88:89], v[10:11], v[128:129]
	v_fma_f64 v[8:9], v[8:9], v[128:129], -v[98:99]
	s_delay_alu instid0(VALU_DEP_4) | instskip(NEXT) | instid1(VALU_DEP_4)
	v_add_f64_e32 v[4:5], v[4:5], v[92:93]
	v_add_f64_e32 v[10:11], v[12:13], v[90:91]
	s_delay_alu instid0(VALU_DEP_2) | instskip(NEXT) | instid1(VALU_DEP_2)
	v_add_f64_e32 v[4:5], v[4:5], v[8:9]
	v_add_f64_e32 v[10:11], v[10:11], v[88:89]
	s_delay_alu instid0(VALU_DEP_2) | instskip(NEXT) | instid1(VALU_DEP_2)
	v_add_f64_e64 v[8:9], v[132:133], -v[4:5]
	v_add_f64_e64 v[10:11], v[134:135], -v[10:11]
	scratch_store_b128 off, v[8:11], off offset:208
	s_wait_xcnt 0x0
	v_cmpx_lt_u32_e32 12, v1
	s_cbranch_execz .LBB100_211
; %bb.210:
	scratch_load_b128 v[8:11], off, s41
	v_dual_mov_b32 v3, v2 :: v_dual_mov_b32 v4, v2
	v_mov_b32_e32 v5, v2
	scratch_store_b128 off, v[2:5], off offset:192
	s_wait_loadcnt 0x0
	ds_store_b128 v6, v[8:11]
.LBB100_211:
	s_wait_xcnt 0x0
	s_or_b32 exec_lo, exec_lo, s2
	s_wait_storecnt_dscnt 0x0
	s_barrier_signal -1
	s_barrier_wait -1
	s_clause 0x9
	scratch_load_b128 v[8:11], off, off offset:208
	scratch_load_b128 v[88:91], off, off offset:224
	;; [unrolled: 1-line block ×10, first 2 shown]
	ds_load_b128 v[124:127], v2 offset:800
	ds_load_b128 v[132:135], v2 offset:816
	s_clause 0x1
	scratch_load_b128 v[128:131], off, off offset:368
	scratch_load_b128 v[136:139], off, off offset:192
	s_mov_b32 s2, exec_lo
	s_wait_loadcnt_dscnt 0xb01
	v_mul_f64_e32 v[4:5], v[126:127], v[10:11]
	v_mul_f64_e32 v[148:149], v[124:125], v[10:11]
	scratch_load_b128 v[10:13], off, off offset:384
	s_wait_loadcnt_dscnt 0xb00
	v_mul_f64_e32 v[150:151], v[132:133], v[90:91]
	v_mul_f64_e32 v[90:91], v[134:135], v[90:91]
	v_fma_f64 v[4:5], v[124:125], v[8:9], -v[4:5]
	v_fmac_f64_e32 v[148:149], v[126:127], v[8:9]
	ds_load_b128 v[124:127], v2 offset:832
	ds_load_b128 v[140:143], v2 offset:848
	scratch_load_b128 v[144:147], off, off offset:400
	v_fmac_f64_e32 v[150:151], v[134:135], v[88:89]
	v_fma_f64 v[132:133], v[132:133], v[88:89], -v[90:91]
	scratch_load_b128 v[88:91], off, off offset:416
	s_wait_loadcnt_dscnt 0xc01
	v_mul_f64_e32 v[8:9], v[124:125], v[94:95]
	v_mul_f64_e32 v[94:95], v[126:127], v[94:95]
	v_add_f64_e32 v[4:5], 0, v[4:5]
	v_add_f64_e32 v[134:135], 0, v[148:149]
	s_wait_loadcnt_dscnt 0xb00
	v_mul_f64_e32 v[148:149], v[140:141], v[98:99]
	v_mul_f64_e32 v[98:99], v[142:143], v[98:99]
	v_fmac_f64_e32 v[8:9], v[126:127], v[92:93]
	v_fma_f64 v[152:153], v[124:125], v[92:93], -v[94:95]
	ds_load_b128 v[92:95], v2 offset:864
	ds_load_b128 v[124:127], v2 offset:880
	v_add_f64_e32 v[4:5], v[4:5], v[132:133]
	v_add_f64_e32 v[150:151], v[134:135], v[150:151]
	scratch_load_b128 v[132:135], off, off offset:432
	v_fmac_f64_e32 v[148:149], v[142:143], v[96:97]
	v_fma_f64 v[140:141], v[140:141], v[96:97], -v[98:99]
	scratch_load_b128 v[96:99], off, off offset:448
	s_wait_loadcnt_dscnt 0xc01
	v_mul_f64_e32 v[154:155], v[92:93], v[102:103]
	v_mul_f64_e32 v[102:103], v[94:95], v[102:103]
	v_add_f64_e32 v[4:5], v[4:5], v[152:153]
	v_add_f64_e32 v[8:9], v[150:151], v[8:9]
	s_wait_loadcnt_dscnt 0xb00
	v_mul_f64_e32 v[150:151], v[124:125], v[106:107]
	v_mul_f64_e32 v[106:107], v[126:127], v[106:107]
	v_fmac_f64_e32 v[154:155], v[94:95], v[100:101]
	v_fma_f64 v[152:153], v[92:93], v[100:101], -v[102:103]
	ds_load_b128 v[92:95], v2 offset:896
	ds_load_b128 v[100:103], v2 offset:912
	v_add_f64_e32 v[4:5], v[4:5], v[140:141]
	v_add_f64_e32 v[8:9], v[8:9], v[148:149]
	scratch_load_b128 v[140:143], off, off offset:464
	s_wait_loadcnt_dscnt 0xb01
	v_mul_f64_e32 v[148:149], v[92:93], v[110:111]
	v_mul_f64_e32 v[110:111], v[94:95], v[110:111]
	v_fmac_f64_e32 v[150:151], v[126:127], v[104:105]
	v_fma_f64 v[124:125], v[124:125], v[104:105], -v[106:107]
	scratch_load_b128 v[104:107], off, off offset:480
	v_add_f64_e32 v[4:5], v[4:5], v[152:153]
	v_add_f64_e32 v[8:9], v[8:9], v[154:155]
	s_wait_loadcnt_dscnt 0xb00
	v_mul_f64_e32 v[152:153], v[100:101], v[114:115]
	v_mul_f64_e32 v[114:115], v[102:103], v[114:115]
	v_fmac_f64_e32 v[148:149], v[94:95], v[108:109]
	v_fma_f64 v[154:155], v[92:93], v[108:109], -v[110:111]
	ds_load_b128 v[92:95], v2 offset:928
	ds_load_b128 v[108:111], v2 offset:944
	v_add_f64_e32 v[4:5], v[4:5], v[124:125]
	v_add_f64_e32 v[8:9], v[8:9], v[150:151]
	scratch_load_b128 v[124:127], off, off offset:496
	s_wait_loadcnt_dscnt 0xb01
	v_mul_f64_e32 v[150:151], v[92:93], v[118:119]
	v_mul_f64_e32 v[118:119], v[94:95], v[118:119]
	v_fmac_f64_e32 v[152:153], v[102:103], v[112:113]
	v_fma_f64 v[112:113], v[100:101], v[112:113], -v[114:115]
	scratch_load_b128 v[100:103], off, off offset:512
	v_add_f64_e32 v[4:5], v[4:5], v[154:155]
	v_add_f64_e32 v[8:9], v[8:9], v[148:149]
	s_wait_loadcnt_dscnt 0xb00
	v_mul_f64_e32 v[148:149], v[108:109], v[122:123]
	v_mul_f64_e32 v[122:123], v[110:111], v[122:123]
	v_fmac_f64_e32 v[150:151], v[94:95], v[116:117]
	v_fma_f64 v[154:155], v[92:93], v[116:117], -v[118:119]
	v_add_f64_e32 v[4:5], v[4:5], v[112:113]
	v_add_f64_e32 v[8:9], v[8:9], v[152:153]
	ds_load_b128 v[92:95], v2 offset:960
	ds_load_b128 v[112:115], v2 offset:976
	scratch_load_b128 v[116:119], off, off offset:528
	v_fmac_f64_e32 v[148:149], v[110:111], v[120:121]
	v_fma_f64 v[120:121], v[108:109], v[120:121], -v[122:123]
	scratch_load_b128 v[108:111], off, off offset:544
	s_wait_loadcnt_dscnt 0xc01
	v_mul_f64_e32 v[152:153], v[92:93], v[130:131]
	v_mul_f64_e32 v[130:131], v[94:95], v[130:131]
	v_add_f64_e32 v[4:5], v[4:5], v[154:155]
	v_add_f64_e32 v[8:9], v[8:9], v[150:151]
	s_wait_loadcnt_dscnt 0xa00
	v_mul_f64_e32 v[150:151], v[112:113], v[12:13]
	v_mul_f64_e32 v[12:13], v[114:115], v[12:13]
	v_fmac_f64_e32 v[152:153], v[94:95], v[128:129]
	v_fma_f64 v[154:155], v[92:93], v[128:129], -v[130:131]
	v_add_f64_e32 v[4:5], v[4:5], v[120:121]
	v_add_f64_e32 v[8:9], v[8:9], v[148:149]
	ds_load_b128 v[92:95], v2 offset:992
	ds_load_b128 v[120:123], v2 offset:1008
	scratch_load_b128 v[128:131], off, off offset:560
	v_fmac_f64_e32 v[150:151], v[114:115], v[10:11]
	v_fma_f64 v[12:13], v[112:113], v[10:11], -v[12:13]
	s_wait_loadcnt_dscnt 0xa01
	v_mul_f64_e32 v[148:149], v[92:93], v[146:147]
	v_mul_f64_e32 v[146:147], v[94:95], v[146:147]
	v_add_f64_e32 v[4:5], v[4:5], v[154:155]
	v_add_f64_e32 v[112:113], v[8:9], v[152:153]
	scratch_load_b128 v[8:11], off, off offset:576
	s_wait_loadcnt_dscnt 0xa00
	v_mul_f64_e32 v[152:153], v[120:121], v[90:91]
	v_mul_f64_e32 v[154:155], v[122:123], v[90:91]
	v_fmac_f64_e32 v[148:149], v[94:95], v[144:145]
	v_fma_f64 v[94:95], v[92:93], v[144:145], -v[146:147]
	v_add_f64_e32 v[4:5], v[4:5], v[12:13]
	v_add_f64_e32 v[12:13], v[112:113], v[150:151]
	ds_load_b128 v[90:93], v2 offset:1024
	ds_load_b128 v[112:115], v2 offset:1040
	v_fmac_f64_e32 v[152:153], v[122:123], v[88:89]
	v_fma_f64 v[88:89], v[120:121], v[88:89], -v[154:155]
	s_wait_loadcnt_dscnt 0x901
	v_mul_f64_e32 v[144:145], v[90:91], v[134:135]
	v_mul_f64_e32 v[134:135], v[92:93], v[134:135]
	s_wait_loadcnt_dscnt 0x800
	v_mul_f64_e32 v[120:121], v[112:113], v[98:99]
	v_mul_f64_e32 v[98:99], v[114:115], v[98:99]
	v_add_f64_e32 v[4:5], v[4:5], v[94:95]
	v_add_f64_e32 v[12:13], v[12:13], v[148:149]
	v_fmac_f64_e32 v[144:145], v[92:93], v[132:133]
	v_fma_f64 v[122:123], v[90:91], v[132:133], -v[134:135]
	v_fmac_f64_e32 v[120:121], v[114:115], v[96:97]
	v_fma_f64 v[96:97], v[112:113], v[96:97], -v[98:99]
	v_add_f64_e32 v[4:5], v[4:5], v[88:89]
	v_add_f64_e32 v[12:13], v[12:13], v[152:153]
	ds_load_b128 v[88:91], v2 offset:1056
	ds_load_b128 v[92:95], v2 offset:1072
	s_wait_loadcnt_dscnt 0x701
	v_mul_f64_e32 v[132:133], v[88:89], v[142:143]
	v_mul_f64_e32 v[134:135], v[90:91], v[142:143]
	s_wait_loadcnt_dscnt 0x600
	v_mul_f64_e32 v[112:113], v[92:93], v[106:107]
	v_mul_f64_e32 v[106:107], v[94:95], v[106:107]
	v_add_f64_e32 v[4:5], v[4:5], v[122:123]
	v_add_f64_e32 v[12:13], v[12:13], v[144:145]
	v_fmac_f64_e32 v[132:133], v[90:91], v[140:141]
	v_fma_f64 v[114:115], v[88:89], v[140:141], -v[134:135]
	v_fmac_f64_e32 v[112:113], v[94:95], v[104:105]
	v_fma_f64 v[92:93], v[92:93], v[104:105], -v[106:107]
	v_add_f64_e32 v[4:5], v[4:5], v[96:97]
	v_add_f64_e32 v[12:13], v[12:13], v[120:121]
	ds_load_b128 v[88:91], v2 offset:1088
	ds_load_b128 v[96:99], v2 offset:1104
	;; [unrolled: 16-line block ×4, first 2 shown]
	s_wait_loadcnt_dscnt 0x101
	v_mul_f64_e32 v[104:105], v[88:89], v[130:131]
	v_mul_f64_e32 v[106:107], v[90:91], v[130:131]
	v_add_f64_e32 v[94:95], v[96:97], v[102:103]
	v_add_f64_e32 v[12:13], v[12:13], v[112:113]
	s_wait_loadcnt_dscnt 0x0
	v_mul_f64_e32 v[96:97], v[2:3], v[10:11]
	v_mul_f64_e32 v[10:11], v[4:5], v[10:11]
	v_fmac_f64_e32 v[104:105], v[90:91], v[128:129]
	v_fma_f64 v[88:89], v[88:89], v[128:129], -v[106:107]
	v_add_f64_e32 v[90:91], v[94:95], v[92:93]
	v_add_f64_e32 v[12:13], v[12:13], v[98:99]
	v_fmac_f64_e32 v[96:97], v[4:5], v[8:9]
	v_fma_f64 v[2:3], v[2:3], v[8:9], -v[10:11]
	s_delay_alu instid0(VALU_DEP_4) | instskip(NEXT) | instid1(VALU_DEP_4)
	v_add_f64_e32 v[4:5], v[90:91], v[88:89]
	v_add_f64_e32 v[8:9], v[12:13], v[104:105]
	s_delay_alu instid0(VALU_DEP_2) | instskip(NEXT) | instid1(VALU_DEP_2)
	v_add_f64_e32 v[2:3], v[4:5], v[2:3]
	v_add_f64_e32 v[4:5], v[8:9], v[96:97]
	s_delay_alu instid0(VALU_DEP_2) | instskip(NEXT) | instid1(VALU_DEP_2)
	v_add_f64_e64 v[2:3], v[136:137], -v[2:3]
	v_add_f64_e64 v[4:5], v[138:139], -v[4:5]
	scratch_store_b128 off, v[2:5], off offset:192
	s_wait_xcnt 0x0
	v_cmpx_lt_u32_e32 11, v1
	s_cbranch_execz .LBB100_213
; %bb.212:
	scratch_load_b128 v[2:5], off, s42
	v_mov_b32_e32 v8, 0
	s_delay_alu instid0(VALU_DEP_1)
	v_dual_mov_b32 v9, v8 :: v_dual_mov_b32 v10, v8
	v_mov_b32_e32 v11, v8
	scratch_store_b128 off, v[8:11], off offset:176
	s_wait_loadcnt 0x0
	ds_store_b128 v6, v[2:5]
.LBB100_213:
	s_wait_xcnt 0x0
	s_or_b32 exec_lo, exec_lo, s2
	s_wait_storecnt_dscnt 0x0
	s_barrier_signal -1
	s_barrier_wait -1
	s_clause 0x9
	scratch_load_b128 v[8:11], off, off offset:192
	scratch_load_b128 v[88:91], off, off offset:208
	;; [unrolled: 1-line block ×10, first 2 shown]
	v_mov_b32_e32 v2, 0
	s_mov_b32 s2, exec_lo
	ds_load_b128 v[124:127], v2 offset:784
	s_clause 0x2
	scratch_load_b128 v[128:131], off, off offset:352
	scratch_load_b128 v[132:135], off, off offset:176
	;; [unrolled: 1-line block ×3, first 2 shown]
	s_wait_loadcnt_dscnt 0xc00
	v_mul_f64_e32 v[4:5], v[126:127], v[10:11]
	v_mul_f64_e32 v[148:149], v[124:125], v[10:11]
	ds_load_b128 v[136:139], v2 offset:800
	scratch_load_b128 v[10:13], off, off offset:368
	ds_load_b128 v[144:147], v2 offset:832
	v_fma_f64 v[4:5], v[124:125], v[8:9], -v[4:5]
	v_fmac_f64_e32 v[148:149], v[126:127], v[8:9]
	ds_load_b128 v[124:127], v2 offset:816
	s_wait_loadcnt_dscnt 0xc02
	v_mul_f64_e32 v[150:151], v[136:137], v[90:91]
	v_mul_f64_e32 v[90:91], v[138:139], v[90:91]
	s_wait_loadcnt_dscnt 0xb00
	v_mul_f64_e32 v[8:9], v[124:125], v[94:95]
	v_mul_f64_e32 v[94:95], v[126:127], v[94:95]
	v_add_f64_e32 v[4:5], 0, v[4:5]
	v_fmac_f64_e32 v[150:151], v[138:139], v[88:89]
	v_fma_f64 v[136:137], v[136:137], v[88:89], -v[90:91]
	v_add_f64_e32 v[138:139], 0, v[148:149]
	scratch_load_b128 v[88:91], off, off offset:400
	v_fmac_f64_e32 v[8:9], v[126:127], v[92:93]
	v_fma_f64 v[152:153], v[124:125], v[92:93], -v[94:95]
	ds_load_b128 v[92:95], v2 offset:848
	s_wait_loadcnt 0xb
	v_mul_f64_e32 v[148:149], v[144:145], v[98:99]
	v_mul_f64_e32 v[98:99], v[146:147], v[98:99]
	scratch_load_b128 v[124:127], off, off offset:416
	v_add_f64_e32 v[4:5], v[4:5], v[136:137]
	v_add_f64_e32 v[150:151], v[138:139], v[150:151]
	ds_load_b128 v[136:139], v2 offset:864
	s_wait_loadcnt_dscnt 0xb01
	v_mul_f64_e32 v[154:155], v[92:93], v[102:103]
	v_mul_f64_e32 v[102:103], v[94:95], v[102:103]
	v_fmac_f64_e32 v[148:149], v[146:147], v[96:97]
	v_fma_f64 v[144:145], v[144:145], v[96:97], -v[98:99]
	scratch_load_b128 v[96:99], off, off offset:432
	v_add_f64_e32 v[4:5], v[4:5], v[152:153]
	v_add_f64_e32 v[8:9], v[150:151], v[8:9]
	v_fmac_f64_e32 v[154:155], v[94:95], v[100:101]
	v_fma_f64 v[152:153], v[92:93], v[100:101], -v[102:103]
	ds_load_b128 v[92:95], v2 offset:880
	s_wait_loadcnt_dscnt 0xb01
	v_mul_f64_e32 v[150:151], v[136:137], v[106:107]
	v_mul_f64_e32 v[106:107], v[138:139], v[106:107]
	scratch_load_b128 v[100:103], off, off offset:448
	v_add_f64_e32 v[4:5], v[4:5], v[144:145]
	v_add_f64_e32 v[8:9], v[8:9], v[148:149]
	s_wait_loadcnt_dscnt 0xb00
	v_mul_f64_e32 v[148:149], v[92:93], v[110:111]
	v_mul_f64_e32 v[110:111], v[94:95], v[110:111]
	ds_load_b128 v[144:147], v2 offset:896
	v_fmac_f64_e32 v[150:151], v[138:139], v[104:105]
	v_fma_f64 v[136:137], v[136:137], v[104:105], -v[106:107]
	scratch_load_b128 v[104:107], off, off offset:464
	v_add_f64_e32 v[4:5], v[4:5], v[152:153]
	v_add_f64_e32 v[8:9], v[8:9], v[154:155]
	v_fmac_f64_e32 v[148:149], v[94:95], v[108:109]
	v_fma_f64 v[154:155], v[92:93], v[108:109], -v[110:111]
	ds_load_b128 v[92:95], v2 offset:912
	s_wait_loadcnt_dscnt 0xb01
	v_mul_f64_e32 v[152:153], v[144:145], v[114:115]
	v_mul_f64_e32 v[114:115], v[146:147], v[114:115]
	scratch_load_b128 v[108:111], off, off offset:480
	v_add_f64_e32 v[4:5], v[4:5], v[136:137]
	v_add_f64_e32 v[8:9], v[8:9], v[150:151]
	s_wait_loadcnt_dscnt 0xb00
	v_mul_f64_e32 v[150:151], v[92:93], v[118:119]
	v_mul_f64_e32 v[118:119], v[94:95], v[118:119]
	ds_load_b128 v[136:139], v2 offset:928
	;; [unrolled: 18-line block ×3, first 2 shown]
	v_fmac_f64_e32 v[148:149], v[138:139], v[120:121]
	v_fma_f64 v[136:137], v[136:137], v[120:121], -v[122:123]
	scratch_load_b128 v[120:123], off, off offset:528
	v_add_f64_e32 v[4:5], v[4:5], v[154:155]
	v_add_f64_e32 v[8:9], v[8:9], v[150:151]
	v_fmac_f64_e32 v[152:153], v[94:95], v[128:129]
	v_fma_f64 v[154:155], v[92:93], v[128:129], -v[130:131]
	ds_load_b128 v[92:95], v2 offset:976
	s_wait_loadcnt_dscnt 0x901
	v_mul_f64_e32 v[150:151], v[144:145], v[12:13]
	v_mul_f64_e32 v[12:13], v[146:147], v[12:13]
	scratch_load_b128 v[128:131], off, off offset:544
	v_add_f64_e32 v[4:5], v[4:5], v[136:137]
	v_add_f64_e32 v[8:9], v[8:9], v[148:149]
	s_wait_dscnt 0x0
	v_mul_f64_e32 v[148:149], v[92:93], v[142:143]
	v_mul_f64_e32 v[142:143], v[94:95], v[142:143]
	ds_load_b128 v[136:139], v2 offset:992
	v_fmac_f64_e32 v[150:151], v[146:147], v[10:11]
	v_fma_f64 v[12:13], v[144:145], v[10:11], -v[12:13]
	v_add_f64_e32 v[4:5], v[4:5], v[154:155]
	v_add_f64_e32 v[144:145], v[8:9], v[152:153]
	scratch_load_b128 v[8:11], off, off offset:560
	v_fmac_f64_e32 v[148:149], v[94:95], v[140:141]
	v_fma_f64 v[94:95], v[92:93], v[140:141], -v[142:143]
	scratch_load_b128 v[140:143], off, off offset:576
	v_add_f64_e32 v[4:5], v[4:5], v[12:13]
	v_add_f64_e32 v[12:13], v[144:145], v[150:151]
	ds_load_b128 v[144:147], v2 offset:1024
	s_wait_loadcnt_dscnt 0xb01
	v_mul_f64_e32 v[152:153], v[136:137], v[90:91]
	v_mul_f64_e32 v[154:155], v[138:139], v[90:91]
	ds_load_b128 v[90:93], v2 offset:1008
	s_wait_loadcnt_dscnt 0xa00
	v_mul_f64_e32 v[150:151], v[90:91], v[126:127]
	v_mul_f64_e32 v[126:127], v[92:93], v[126:127]
	v_add_f64_e32 v[4:5], v[4:5], v[94:95]
	v_add_f64_e32 v[12:13], v[12:13], v[148:149]
	v_fmac_f64_e32 v[152:153], v[138:139], v[88:89]
	v_fma_f64 v[88:89], v[136:137], v[88:89], -v[154:155]
	s_wait_loadcnt 0x9
	v_mul_f64_e32 v[136:137], v[144:145], v[98:99]
	v_mul_f64_e32 v[98:99], v[146:147], v[98:99]
	v_fmac_f64_e32 v[150:151], v[92:93], v[124:125]
	v_fma_f64 v[124:125], v[90:91], v[124:125], -v[126:127]
	v_add_f64_e32 v[12:13], v[12:13], v[152:153]
	v_add_f64_e32 v[4:5], v[4:5], v[88:89]
	ds_load_b128 v[88:91], v2 offset:1040
	ds_load_b128 v[92:95], v2 offset:1056
	v_fmac_f64_e32 v[136:137], v[146:147], v[96:97]
	v_fma_f64 v[96:97], v[144:145], v[96:97], -v[98:99]
	s_wait_loadcnt_dscnt 0x801
	v_mul_f64_e32 v[126:127], v[88:89], v[102:103]
	v_mul_f64_e32 v[102:103], v[90:91], v[102:103]
	v_add_f64_e32 v[12:13], v[12:13], v[150:151]
	v_add_f64_e32 v[4:5], v[4:5], v[124:125]
	s_wait_loadcnt_dscnt 0x700
	v_mul_f64_e32 v[124:125], v[92:93], v[106:107]
	v_mul_f64_e32 v[106:107], v[94:95], v[106:107]
	v_fmac_f64_e32 v[126:127], v[90:91], v[100:101]
	v_fma_f64 v[100:101], v[88:89], v[100:101], -v[102:103]
	v_add_f64_e32 v[12:13], v[12:13], v[136:137]
	v_add_f64_e32 v[4:5], v[4:5], v[96:97]
	ds_load_b128 v[88:91], v2 offset:1072
	ds_load_b128 v[96:99], v2 offset:1088
	v_fmac_f64_e32 v[124:125], v[94:95], v[104:105]
	v_fma_f64 v[92:93], v[92:93], v[104:105], -v[106:107]
	s_wait_loadcnt_dscnt 0x601
	v_mul_f64_e32 v[102:103], v[88:89], v[110:111]
	v_mul_f64_e32 v[110:111], v[90:91], v[110:111]
	s_wait_loadcnt_dscnt 0x500
	v_mul_f64_e32 v[104:105], v[98:99], v[114:115]
	v_add_f64_e32 v[12:13], v[12:13], v[126:127]
	v_add_f64_e32 v[4:5], v[4:5], v[100:101]
	v_mul_f64_e32 v[100:101], v[96:97], v[114:115]
	v_fmac_f64_e32 v[102:103], v[90:91], v[108:109]
	v_fma_f64 v[106:107], v[88:89], v[108:109], -v[110:111]
	v_fma_f64 v[96:97], v[96:97], v[112:113], -v[104:105]
	v_add_f64_e32 v[12:13], v[12:13], v[124:125]
	v_add_f64_e32 v[4:5], v[4:5], v[92:93]
	ds_load_b128 v[88:91], v2 offset:1104
	ds_load_b128 v[92:95], v2 offset:1120
	v_fmac_f64_e32 v[100:101], v[98:99], v[112:113]
	s_wait_loadcnt_dscnt 0x401
	v_mul_f64_e32 v[108:109], v[88:89], v[118:119]
	v_mul_f64_e32 v[110:111], v[90:91], v[118:119]
	s_wait_loadcnt_dscnt 0x300
	v_mul_f64_e32 v[104:105], v[94:95], v[122:123]
	v_add_f64_e32 v[12:13], v[12:13], v[102:103]
	v_add_f64_e32 v[4:5], v[4:5], v[106:107]
	v_mul_f64_e32 v[102:103], v[92:93], v[122:123]
	v_fmac_f64_e32 v[108:109], v[90:91], v[116:117]
	v_fma_f64 v[106:107], v[88:89], v[116:117], -v[110:111]
	v_fma_f64 v[92:93], v[92:93], v[120:121], -v[104:105]
	v_add_f64_e32 v[12:13], v[12:13], v[100:101]
	v_add_f64_e32 v[4:5], v[4:5], v[96:97]
	ds_load_b128 v[88:91], v2 offset:1136
	ds_load_b128 v[96:99], v2 offset:1152
	v_fmac_f64_e32 v[102:103], v[94:95], v[120:121]
	s_wait_loadcnt_dscnt 0x201
	v_mul_f64_e32 v[100:101], v[88:89], v[130:131]
	v_mul_f64_e32 v[110:111], v[90:91], v[130:131]
	s_wait_loadcnt_dscnt 0x100
	v_mul_f64_e32 v[94:95], v[96:97], v[10:11]
	v_add_f64_e32 v[12:13], v[12:13], v[108:109]
	v_add_f64_e32 v[4:5], v[4:5], v[106:107]
	v_mul_f64_e32 v[104:105], v[98:99], v[10:11]
	v_fmac_f64_e32 v[100:101], v[90:91], v[128:129]
	v_fma_f64 v[88:89], v[88:89], v[128:129], -v[110:111]
	v_fmac_f64_e32 v[94:95], v[98:99], v[8:9]
	v_add_f64_e32 v[90:91], v[12:13], v[102:103]
	v_add_f64_e32 v[4:5], v[4:5], v[92:93]
	ds_load_b128 v[10:13], v2 offset:1168
	v_fma_f64 v[8:9], v[96:97], v[8:9], -v[104:105]
	s_wait_loadcnt_dscnt 0x0
	v_mul_f64_e32 v[92:93], v[10:11], v[142:143]
	v_mul_f64_e32 v[102:103], v[12:13], v[142:143]
	v_add_f64_e32 v[4:5], v[4:5], v[88:89]
	v_add_f64_e32 v[88:89], v[90:91], v[100:101]
	s_delay_alu instid0(VALU_DEP_4) | instskip(NEXT) | instid1(VALU_DEP_4)
	v_fmac_f64_e32 v[92:93], v[12:13], v[140:141]
	v_fma_f64 v[10:11], v[10:11], v[140:141], -v[102:103]
	s_delay_alu instid0(VALU_DEP_4) | instskip(NEXT) | instid1(VALU_DEP_4)
	v_add_f64_e32 v[4:5], v[4:5], v[8:9]
	v_add_f64_e32 v[8:9], v[88:89], v[94:95]
	s_delay_alu instid0(VALU_DEP_2) | instskip(NEXT) | instid1(VALU_DEP_2)
	v_add_f64_e32 v[4:5], v[4:5], v[10:11]
	v_add_f64_e32 v[10:11], v[8:9], v[92:93]
	s_delay_alu instid0(VALU_DEP_2) | instskip(NEXT) | instid1(VALU_DEP_2)
	v_add_f64_e64 v[8:9], v[132:133], -v[4:5]
	v_add_f64_e64 v[10:11], v[134:135], -v[10:11]
	scratch_store_b128 off, v[8:11], off offset:176
	s_wait_xcnt 0x0
	v_cmpx_lt_u32_e32 10, v1
	s_cbranch_execz .LBB100_215
; %bb.214:
	scratch_load_b128 v[8:11], off, s43
	v_dual_mov_b32 v3, v2 :: v_dual_mov_b32 v4, v2
	v_mov_b32_e32 v5, v2
	scratch_store_b128 off, v[2:5], off offset:160
	s_wait_loadcnt 0x0
	ds_store_b128 v6, v[8:11]
.LBB100_215:
	s_wait_xcnt 0x0
	s_or_b32 exec_lo, exec_lo, s2
	s_wait_storecnt_dscnt 0x0
	s_barrier_signal -1
	s_barrier_wait -1
	s_clause 0x9
	scratch_load_b128 v[8:11], off, off offset:176
	scratch_load_b128 v[88:91], off, off offset:192
	;; [unrolled: 1-line block ×10, first 2 shown]
	ds_load_b128 v[124:127], v2 offset:768
	ds_load_b128 v[132:135], v2 offset:784
	s_clause 0x1
	scratch_load_b128 v[128:131], off, off offset:336
	scratch_load_b128 v[136:139], off, off offset:160
	s_mov_b32 s2, exec_lo
	s_wait_loadcnt_dscnt 0xb01
	v_mul_f64_e32 v[4:5], v[126:127], v[10:11]
	v_mul_f64_e32 v[148:149], v[124:125], v[10:11]
	scratch_load_b128 v[10:13], off, off offset:352
	s_wait_loadcnt_dscnt 0xb00
	v_mul_f64_e32 v[150:151], v[132:133], v[90:91]
	v_mul_f64_e32 v[90:91], v[134:135], v[90:91]
	v_fma_f64 v[4:5], v[124:125], v[8:9], -v[4:5]
	v_fmac_f64_e32 v[148:149], v[126:127], v[8:9]
	ds_load_b128 v[124:127], v2 offset:800
	ds_load_b128 v[140:143], v2 offset:816
	scratch_load_b128 v[144:147], off, off offset:368
	v_fmac_f64_e32 v[150:151], v[134:135], v[88:89]
	v_fma_f64 v[132:133], v[132:133], v[88:89], -v[90:91]
	scratch_load_b128 v[88:91], off, off offset:384
	s_wait_loadcnt_dscnt 0xc01
	v_mul_f64_e32 v[8:9], v[124:125], v[94:95]
	v_mul_f64_e32 v[94:95], v[126:127], v[94:95]
	v_add_f64_e32 v[4:5], 0, v[4:5]
	v_add_f64_e32 v[134:135], 0, v[148:149]
	s_wait_loadcnt_dscnt 0xb00
	v_mul_f64_e32 v[148:149], v[140:141], v[98:99]
	v_mul_f64_e32 v[98:99], v[142:143], v[98:99]
	v_fmac_f64_e32 v[8:9], v[126:127], v[92:93]
	v_fma_f64 v[152:153], v[124:125], v[92:93], -v[94:95]
	ds_load_b128 v[92:95], v2 offset:832
	ds_load_b128 v[124:127], v2 offset:848
	v_add_f64_e32 v[4:5], v[4:5], v[132:133]
	v_add_f64_e32 v[150:151], v[134:135], v[150:151]
	scratch_load_b128 v[132:135], off, off offset:400
	v_fmac_f64_e32 v[148:149], v[142:143], v[96:97]
	v_fma_f64 v[140:141], v[140:141], v[96:97], -v[98:99]
	scratch_load_b128 v[96:99], off, off offset:416
	s_wait_loadcnt_dscnt 0xc01
	v_mul_f64_e32 v[154:155], v[92:93], v[102:103]
	v_mul_f64_e32 v[102:103], v[94:95], v[102:103]
	v_add_f64_e32 v[4:5], v[4:5], v[152:153]
	v_add_f64_e32 v[8:9], v[150:151], v[8:9]
	s_wait_loadcnt_dscnt 0xb00
	v_mul_f64_e32 v[150:151], v[124:125], v[106:107]
	v_mul_f64_e32 v[106:107], v[126:127], v[106:107]
	v_fmac_f64_e32 v[154:155], v[94:95], v[100:101]
	v_fma_f64 v[152:153], v[92:93], v[100:101], -v[102:103]
	ds_load_b128 v[92:95], v2 offset:864
	ds_load_b128 v[100:103], v2 offset:880
	v_add_f64_e32 v[4:5], v[4:5], v[140:141]
	v_add_f64_e32 v[8:9], v[8:9], v[148:149]
	scratch_load_b128 v[140:143], off, off offset:432
	s_wait_loadcnt_dscnt 0xb01
	v_mul_f64_e32 v[148:149], v[92:93], v[110:111]
	v_mul_f64_e32 v[110:111], v[94:95], v[110:111]
	v_fmac_f64_e32 v[150:151], v[126:127], v[104:105]
	v_fma_f64 v[124:125], v[124:125], v[104:105], -v[106:107]
	scratch_load_b128 v[104:107], off, off offset:448
	v_add_f64_e32 v[4:5], v[4:5], v[152:153]
	v_add_f64_e32 v[8:9], v[8:9], v[154:155]
	s_wait_loadcnt_dscnt 0xb00
	v_mul_f64_e32 v[152:153], v[100:101], v[114:115]
	v_mul_f64_e32 v[114:115], v[102:103], v[114:115]
	v_fmac_f64_e32 v[148:149], v[94:95], v[108:109]
	v_fma_f64 v[154:155], v[92:93], v[108:109], -v[110:111]
	ds_load_b128 v[92:95], v2 offset:896
	ds_load_b128 v[108:111], v2 offset:912
	v_add_f64_e32 v[4:5], v[4:5], v[124:125]
	v_add_f64_e32 v[8:9], v[8:9], v[150:151]
	scratch_load_b128 v[124:127], off, off offset:464
	s_wait_loadcnt_dscnt 0xb01
	v_mul_f64_e32 v[150:151], v[92:93], v[118:119]
	v_mul_f64_e32 v[118:119], v[94:95], v[118:119]
	v_fmac_f64_e32 v[152:153], v[102:103], v[112:113]
	v_fma_f64 v[112:113], v[100:101], v[112:113], -v[114:115]
	scratch_load_b128 v[100:103], off, off offset:480
	v_add_f64_e32 v[4:5], v[4:5], v[154:155]
	v_add_f64_e32 v[8:9], v[8:9], v[148:149]
	s_wait_loadcnt_dscnt 0xb00
	v_mul_f64_e32 v[148:149], v[108:109], v[122:123]
	v_mul_f64_e32 v[122:123], v[110:111], v[122:123]
	v_fmac_f64_e32 v[150:151], v[94:95], v[116:117]
	v_fma_f64 v[154:155], v[92:93], v[116:117], -v[118:119]
	v_add_f64_e32 v[4:5], v[4:5], v[112:113]
	v_add_f64_e32 v[8:9], v[8:9], v[152:153]
	ds_load_b128 v[92:95], v2 offset:928
	ds_load_b128 v[112:115], v2 offset:944
	scratch_load_b128 v[116:119], off, off offset:496
	v_fmac_f64_e32 v[148:149], v[110:111], v[120:121]
	v_fma_f64 v[120:121], v[108:109], v[120:121], -v[122:123]
	scratch_load_b128 v[108:111], off, off offset:512
	s_wait_loadcnt_dscnt 0xc01
	v_mul_f64_e32 v[152:153], v[92:93], v[130:131]
	v_mul_f64_e32 v[130:131], v[94:95], v[130:131]
	v_add_f64_e32 v[4:5], v[4:5], v[154:155]
	v_add_f64_e32 v[8:9], v[8:9], v[150:151]
	s_wait_loadcnt_dscnt 0xa00
	v_mul_f64_e32 v[150:151], v[112:113], v[12:13]
	v_mul_f64_e32 v[12:13], v[114:115], v[12:13]
	v_fmac_f64_e32 v[152:153], v[94:95], v[128:129]
	v_fma_f64 v[154:155], v[92:93], v[128:129], -v[130:131]
	v_add_f64_e32 v[4:5], v[4:5], v[120:121]
	v_add_f64_e32 v[8:9], v[8:9], v[148:149]
	ds_load_b128 v[92:95], v2 offset:960
	ds_load_b128 v[120:123], v2 offset:976
	scratch_load_b128 v[128:131], off, off offset:528
	v_fmac_f64_e32 v[150:151], v[114:115], v[10:11]
	v_fma_f64 v[12:13], v[112:113], v[10:11], -v[12:13]
	s_wait_loadcnt_dscnt 0xa01
	v_mul_f64_e32 v[148:149], v[92:93], v[146:147]
	v_mul_f64_e32 v[146:147], v[94:95], v[146:147]
	v_add_f64_e32 v[4:5], v[4:5], v[154:155]
	v_add_f64_e32 v[112:113], v[8:9], v[152:153]
	scratch_load_b128 v[8:11], off, off offset:544
	s_wait_loadcnt_dscnt 0xa00
	v_mul_f64_e32 v[152:153], v[120:121], v[90:91]
	v_mul_f64_e32 v[154:155], v[122:123], v[90:91]
	v_fmac_f64_e32 v[148:149], v[94:95], v[144:145]
	v_fma_f64 v[94:95], v[92:93], v[144:145], -v[146:147]
	v_add_f64_e32 v[4:5], v[4:5], v[12:13]
	v_add_f64_e32 v[12:13], v[112:113], v[150:151]
	ds_load_b128 v[90:93], v2 offset:992
	ds_load_b128 v[112:115], v2 offset:1008
	scratch_load_b128 v[144:147], off, off offset:560
	v_fmac_f64_e32 v[152:153], v[122:123], v[88:89]
	v_fma_f64 v[88:89], v[120:121], v[88:89], -v[154:155]
	scratch_load_b128 v[120:123], off, off offset:576
	s_wait_loadcnt_dscnt 0xb01
	v_mul_f64_e32 v[150:151], v[90:91], v[134:135]
	v_mul_f64_e32 v[134:135], v[92:93], v[134:135]
	v_add_f64_e32 v[4:5], v[4:5], v[94:95]
	v_add_f64_e32 v[12:13], v[12:13], v[148:149]
	s_wait_loadcnt_dscnt 0xa00
	v_mul_f64_e32 v[148:149], v[112:113], v[98:99]
	v_mul_f64_e32 v[98:99], v[114:115], v[98:99]
	v_fmac_f64_e32 v[150:151], v[92:93], v[132:133]
	v_fma_f64 v[132:133], v[90:91], v[132:133], -v[134:135]
	v_add_f64_e32 v[4:5], v[4:5], v[88:89]
	v_add_f64_e32 v[12:13], v[12:13], v[152:153]
	ds_load_b128 v[88:91], v2 offset:1024
	ds_load_b128 v[92:95], v2 offset:1040
	v_fmac_f64_e32 v[148:149], v[114:115], v[96:97]
	v_fma_f64 v[96:97], v[112:113], v[96:97], -v[98:99]
	s_wait_loadcnt_dscnt 0x901
	v_mul_f64_e32 v[134:135], v[88:89], v[142:143]
	v_mul_f64_e32 v[142:143], v[90:91], v[142:143]
	s_wait_loadcnt_dscnt 0x800
	v_mul_f64_e32 v[112:113], v[92:93], v[106:107]
	v_mul_f64_e32 v[106:107], v[94:95], v[106:107]
	v_add_f64_e32 v[4:5], v[4:5], v[132:133]
	v_add_f64_e32 v[12:13], v[12:13], v[150:151]
	v_fmac_f64_e32 v[134:135], v[90:91], v[140:141]
	v_fma_f64 v[114:115], v[88:89], v[140:141], -v[142:143]
	v_fmac_f64_e32 v[112:113], v[94:95], v[104:105]
	v_fma_f64 v[92:93], v[92:93], v[104:105], -v[106:107]
	v_add_f64_e32 v[4:5], v[4:5], v[96:97]
	v_add_f64_e32 v[12:13], v[12:13], v[148:149]
	ds_load_b128 v[88:91], v2 offset:1056
	ds_load_b128 v[96:99], v2 offset:1072
	s_wait_loadcnt_dscnt 0x701
	v_mul_f64_e32 v[132:133], v[88:89], v[126:127]
	v_mul_f64_e32 v[126:127], v[90:91], v[126:127]
	s_wait_loadcnt_dscnt 0x600
	v_mul_f64_e32 v[104:105], v[96:97], v[102:103]
	v_mul_f64_e32 v[102:103], v[98:99], v[102:103]
	v_add_f64_e32 v[4:5], v[4:5], v[114:115]
	v_add_f64_e32 v[12:13], v[12:13], v[134:135]
	v_fmac_f64_e32 v[132:133], v[90:91], v[124:125]
	v_fma_f64 v[106:107], v[88:89], v[124:125], -v[126:127]
	v_fmac_f64_e32 v[104:105], v[98:99], v[100:101]
	v_fma_f64 v[96:97], v[96:97], v[100:101], -v[102:103]
	v_add_f64_e32 v[4:5], v[4:5], v[92:93]
	v_add_f64_e32 v[12:13], v[12:13], v[112:113]
	ds_load_b128 v[88:91], v2 offset:1088
	ds_load_b128 v[92:95], v2 offset:1104
	s_wait_loadcnt_dscnt 0x501
	v_mul_f64_e32 v[112:113], v[88:89], v[118:119]
	v_mul_f64_e32 v[114:115], v[90:91], v[118:119]
	s_wait_loadcnt_dscnt 0x400
	v_mul_f64_e32 v[100:101], v[92:93], v[110:111]
	v_mul_f64_e32 v[102:103], v[94:95], v[110:111]
	v_add_f64_e32 v[4:5], v[4:5], v[106:107]
	v_add_f64_e32 v[12:13], v[12:13], v[132:133]
	v_fmac_f64_e32 v[112:113], v[90:91], v[116:117]
	v_fma_f64 v[106:107], v[88:89], v[116:117], -v[114:115]
	v_fmac_f64_e32 v[100:101], v[94:95], v[108:109]
	v_fma_f64 v[92:93], v[92:93], v[108:109], -v[102:103]
	v_add_f64_e32 v[4:5], v[4:5], v[96:97]
	v_add_f64_e32 v[12:13], v[12:13], v[104:105]
	ds_load_b128 v[88:91], v2 offset:1120
	ds_load_b128 v[96:99], v2 offset:1136
	s_wait_loadcnt_dscnt 0x301
	v_mul_f64_e32 v[104:105], v[88:89], v[130:131]
	v_mul_f64_e32 v[110:111], v[90:91], v[130:131]
	v_add_f64_e32 v[4:5], v[4:5], v[106:107]
	v_add_f64_e32 v[12:13], v[12:13], v[112:113]
	s_wait_loadcnt_dscnt 0x200
	v_mul_f64_e32 v[94:95], v[96:97], v[10:11]
	v_mul_f64_e32 v[102:103], v[98:99], v[10:11]
	v_fmac_f64_e32 v[104:105], v[90:91], v[128:129]
	v_fma_f64 v[88:89], v[88:89], v[128:129], -v[110:111]
	v_add_f64_e32 v[90:91], v[4:5], v[92:93]
	v_add_f64_e32 v[92:93], v[12:13], v[100:101]
	ds_load_b128 v[10:13], v2 offset:1152
	ds_load_b128 v[2:5], v2 offset:1168
	v_fmac_f64_e32 v[94:95], v[98:99], v[8:9]
	v_fma_f64 v[8:9], v[96:97], v[8:9], -v[102:103]
	s_wait_loadcnt_dscnt 0x101
	v_mul_f64_e32 v[100:101], v[10:11], v[146:147]
	v_mul_f64_e32 v[106:107], v[12:13], v[146:147]
	s_wait_loadcnt_dscnt 0x0
	v_mul_f64_e32 v[96:97], v[4:5], v[122:123]
	v_add_f64_e32 v[88:89], v[90:91], v[88:89]
	v_add_f64_e32 v[90:91], v[92:93], v[104:105]
	v_mul_f64_e32 v[92:93], v[2:3], v[122:123]
	v_fmac_f64_e32 v[100:101], v[12:13], v[144:145]
	v_fma_f64 v[10:11], v[10:11], v[144:145], -v[106:107]
	v_fma_f64 v[2:3], v[2:3], v[120:121], -v[96:97]
	v_add_f64_e32 v[8:9], v[88:89], v[8:9]
	v_add_f64_e32 v[12:13], v[90:91], v[94:95]
	v_fmac_f64_e32 v[92:93], v[4:5], v[120:121]
	s_delay_alu instid0(VALU_DEP_3) | instskip(NEXT) | instid1(VALU_DEP_3)
	v_add_f64_e32 v[4:5], v[8:9], v[10:11]
	v_add_f64_e32 v[8:9], v[12:13], v[100:101]
	s_delay_alu instid0(VALU_DEP_2) | instskip(NEXT) | instid1(VALU_DEP_2)
	v_add_f64_e32 v[2:3], v[4:5], v[2:3]
	v_add_f64_e32 v[4:5], v[8:9], v[92:93]
	s_delay_alu instid0(VALU_DEP_2) | instskip(NEXT) | instid1(VALU_DEP_2)
	v_add_f64_e64 v[2:3], v[136:137], -v[2:3]
	v_add_f64_e64 v[4:5], v[138:139], -v[4:5]
	scratch_store_b128 off, v[2:5], off offset:160
	s_wait_xcnt 0x0
	v_cmpx_lt_u32_e32 9, v1
	s_cbranch_execz .LBB100_217
; %bb.216:
	scratch_load_b128 v[2:5], off, s44
	v_mov_b32_e32 v8, 0
	s_delay_alu instid0(VALU_DEP_1)
	v_dual_mov_b32 v9, v8 :: v_dual_mov_b32 v10, v8
	v_mov_b32_e32 v11, v8
	scratch_store_b128 off, v[8:11], off offset:144
	s_wait_loadcnt 0x0
	ds_store_b128 v6, v[2:5]
.LBB100_217:
	s_wait_xcnt 0x0
	s_or_b32 exec_lo, exec_lo, s2
	s_wait_storecnt_dscnt 0x0
	s_barrier_signal -1
	s_barrier_wait -1
	s_clause 0x9
	scratch_load_b128 v[8:11], off, off offset:160
	scratch_load_b128 v[88:91], off, off offset:176
	scratch_load_b128 v[92:95], off, off offset:192
	scratch_load_b128 v[96:99], off, off offset:208
	scratch_load_b128 v[100:103], off, off offset:224
	scratch_load_b128 v[104:107], off, off offset:240
	scratch_load_b128 v[108:111], off, off offset:256
	scratch_load_b128 v[112:115], off, off offset:272
	scratch_load_b128 v[116:119], off, off offset:288
	scratch_load_b128 v[120:123], off, off offset:304
	v_mov_b32_e32 v2, 0
	s_mov_b32 s2, exec_lo
	ds_load_b128 v[124:127], v2 offset:752
	s_clause 0x2
	scratch_load_b128 v[128:131], off, off offset:320
	scratch_load_b128 v[132:135], off, off offset:144
	scratch_load_b128 v[140:143], off, off offset:352
	s_wait_loadcnt_dscnt 0xc00
	v_mul_f64_e32 v[4:5], v[126:127], v[10:11]
	v_mul_f64_e32 v[148:149], v[124:125], v[10:11]
	ds_load_b128 v[136:139], v2 offset:768
	scratch_load_b128 v[10:13], off, off offset:336
	ds_load_b128 v[144:147], v2 offset:800
	v_fma_f64 v[4:5], v[124:125], v[8:9], -v[4:5]
	v_fmac_f64_e32 v[148:149], v[126:127], v[8:9]
	ds_load_b128 v[124:127], v2 offset:784
	s_wait_loadcnt_dscnt 0xc02
	v_mul_f64_e32 v[150:151], v[136:137], v[90:91]
	v_mul_f64_e32 v[90:91], v[138:139], v[90:91]
	s_wait_loadcnt_dscnt 0xb00
	v_mul_f64_e32 v[8:9], v[124:125], v[94:95]
	v_mul_f64_e32 v[94:95], v[126:127], v[94:95]
	v_add_f64_e32 v[4:5], 0, v[4:5]
	v_fmac_f64_e32 v[150:151], v[138:139], v[88:89]
	v_fma_f64 v[136:137], v[136:137], v[88:89], -v[90:91]
	v_add_f64_e32 v[138:139], 0, v[148:149]
	scratch_load_b128 v[88:91], off, off offset:368
	v_fmac_f64_e32 v[8:9], v[126:127], v[92:93]
	v_fma_f64 v[152:153], v[124:125], v[92:93], -v[94:95]
	ds_load_b128 v[92:95], v2 offset:816
	s_wait_loadcnt 0xb
	v_mul_f64_e32 v[148:149], v[144:145], v[98:99]
	v_mul_f64_e32 v[98:99], v[146:147], v[98:99]
	scratch_load_b128 v[124:127], off, off offset:384
	v_add_f64_e32 v[4:5], v[4:5], v[136:137]
	v_add_f64_e32 v[150:151], v[138:139], v[150:151]
	ds_load_b128 v[136:139], v2 offset:832
	s_wait_loadcnt_dscnt 0xb01
	v_mul_f64_e32 v[154:155], v[92:93], v[102:103]
	v_mul_f64_e32 v[102:103], v[94:95], v[102:103]
	v_fmac_f64_e32 v[148:149], v[146:147], v[96:97]
	v_fma_f64 v[144:145], v[144:145], v[96:97], -v[98:99]
	scratch_load_b128 v[96:99], off, off offset:400
	v_add_f64_e32 v[4:5], v[4:5], v[152:153]
	v_add_f64_e32 v[8:9], v[150:151], v[8:9]
	v_fmac_f64_e32 v[154:155], v[94:95], v[100:101]
	v_fma_f64 v[152:153], v[92:93], v[100:101], -v[102:103]
	ds_load_b128 v[92:95], v2 offset:848
	s_wait_loadcnt_dscnt 0xb01
	v_mul_f64_e32 v[150:151], v[136:137], v[106:107]
	v_mul_f64_e32 v[106:107], v[138:139], v[106:107]
	scratch_load_b128 v[100:103], off, off offset:416
	v_add_f64_e32 v[4:5], v[4:5], v[144:145]
	v_add_f64_e32 v[8:9], v[8:9], v[148:149]
	s_wait_loadcnt_dscnt 0xb00
	v_mul_f64_e32 v[148:149], v[92:93], v[110:111]
	v_mul_f64_e32 v[110:111], v[94:95], v[110:111]
	ds_load_b128 v[144:147], v2 offset:864
	v_fmac_f64_e32 v[150:151], v[138:139], v[104:105]
	v_fma_f64 v[136:137], v[136:137], v[104:105], -v[106:107]
	scratch_load_b128 v[104:107], off, off offset:432
	v_add_f64_e32 v[4:5], v[4:5], v[152:153]
	v_add_f64_e32 v[8:9], v[8:9], v[154:155]
	v_fmac_f64_e32 v[148:149], v[94:95], v[108:109]
	v_fma_f64 v[154:155], v[92:93], v[108:109], -v[110:111]
	ds_load_b128 v[92:95], v2 offset:880
	s_wait_loadcnt_dscnt 0xb01
	v_mul_f64_e32 v[152:153], v[144:145], v[114:115]
	v_mul_f64_e32 v[114:115], v[146:147], v[114:115]
	scratch_load_b128 v[108:111], off, off offset:448
	v_add_f64_e32 v[4:5], v[4:5], v[136:137]
	v_add_f64_e32 v[8:9], v[8:9], v[150:151]
	s_wait_loadcnt_dscnt 0xb00
	v_mul_f64_e32 v[150:151], v[92:93], v[118:119]
	v_mul_f64_e32 v[118:119], v[94:95], v[118:119]
	ds_load_b128 v[136:139], v2 offset:896
	;; [unrolled: 18-line block ×3, first 2 shown]
	v_fmac_f64_e32 v[148:149], v[138:139], v[120:121]
	v_fma_f64 v[136:137], v[136:137], v[120:121], -v[122:123]
	scratch_load_b128 v[120:123], off, off offset:496
	v_add_f64_e32 v[4:5], v[4:5], v[154:155]
	v_add_f64_e32 v[8:9], v[8:9], v[150:151]
	v_fmac_f64_e32 v[152:153], v[94:95], v[128:129]
	v_fma_f64 v[154:155], v[92:93], v[128:129], -v[130:131]
	ds_load_b128 v[92:95], v2 offset:944
	s_wait_loadcnt_dscnt 0x901
	v_mul_f64_e32 v[150:151], v[144:145], v[12:13]
	v_mul_f64_e32 v[12:13], v[146:147], v[12:13]
	scratch_load_b128 v[128:131], off, off offset:512
	v_add_f64_e32 v[4:5], v[4:5], v[136:137]
	v_add_f64_e32 v[8:9], v[8:9], v[148:149]
	s_wait_dscnt 0x0
	v_mul_f64_e32 v[148:149], v[92:93], v[142:143]
	v_mul_f64_e32 v[142:143], v[94:95], v[142:143]
	ds_load_b128 v[136:139], v2 offset:960
	v_fmac_f64_e32 v[150:151], v[146:147], v[10:11]
	v_fma_f64 v[12:13], v[144:145], v[10:11], -v[12:13]
	v_add_f64_e32 v[4:5], v[4:5], v[154:155]
	v_add_f64_e32 v[144:145], v[8:9], v[152:153]
	scratch_load_b128 v[8:11], off, off offset:528
	v_fmac_f64_e32 v[148:149], v[94:95], v[140:141]
	v_fma_f64 v[94:95], v[92:93], v[140:141], -v[142:143]
	scratch_load_b128 v[140:143], off, off offset:544
	v_add_f64_e32 v[4:5], v[4:5], v[12:13]
	v_add_f64_e32 v[12:13], v[144:145], v[150:151]
	ds_load_b128 v[144:147], v2 offset:992
	s_wait_loadcnt_dscnt 0xb01
	v_mul_f64_e32 v[152:153], v[136:137], v[90:91]
	v_mul_f64_e32 v[154:155], v[138:139], v[90:91]
	ds_load_b128 v[90:93], v2 offset:976
	s_wait_loadcnt_dscnt 0xa00
	v_mul_f64_e32 v[150:151], v[90:91], v[126:127]
	v_mul_f64_e32 v[126:127], v[92:93], v[126:127]
	v_add_f64_e32 v[4:5], v[4:5], v[94:95]
	v_add_f64_e32 v[12:13], v[12:13], v[148:149]
	s_wait_loadcnt 0x9
	v_mul_f64_e32 v[148:149], v[144:145], v[98:99]
	v_fmac_f64_e32 v[152:153], v[138:139], v[88:89]
	v_fma_f64 v[88:89], v[136:137], v[88:89], -v[154:155]
	scratch_load_b128 v[136:139], off, off offset:560
	v_mul_f64_e32 v[98:99], v[146:147], v[98:99]
	v_fmac_f64_e32 v[150:151], v[92:93], v[124:125]
	v_fma_f64 v[154:155], v[90:91], v[124:125], -v[126:127]
	scratch_load_b128 v[92:95], off, off offset:576
	ds_load_b128 v[124:127], v2 offset:1024
	v_fmac_f64_e32 v[148:149], v[146:147], v[96:97]
	v_add_f64_e32 v[12:13], v[12:13], v[152:153]
	v_add_f64_e32 v[4:5], v[4:5], v[88:89]
	ds_load_b128 v[88:91], v2 offset:1008
	v_fma_f64 v[96:97], v[144:145], v[96:97], -v[98:99]
	s_wait_loadcnt_dscnt 0x901
	v_mul_f64_e32 v[144:145], v[124:125], v[106:107]
	v_mul_f64_e32 v[106:107], v[126:127], v[106:107]
	s_wait_dscnt 0x0
	v_mul_f64_e32 v[152:153], v[88:89], v[102:103]
	v_mul_f64_e32 v[102:103], v[90:91], v[102:103]
	v_add_f64_e32 v[12:13], v[12:13], v[150:151]
	v_add_f64_e32 v[4:5], v[4:5], v[154:155]
	v_fmac_f64_e32 v[144:145], v[126:127], v[104:105]
	v_fma_f64 v[104:105], v[124:125], v[104:105], -v[106:107]
	v_fmac_f64_e32 v[152:153], v[90:91], v[100:101]
	v_fma_f64 v[100:101], v[88:89], v[100:101], -v[102:103]
	v_add_f64_e32 v[12:13], v[12:13], v[148:149]
	v_add_f64_e32 v[4:5], v[4:5], v[96:97]
	ds_load_b128 v[88:91], v2 offset:1040
	ds_load_b128 v[96:99], v2 offset:1056
	s_wait_loadcnt_dscnt 0x801
	v_mul_f64_e32 v[146:147], v[88:89], v[110:111]
	v_mul_f64_e32 v[102:103], v[90:91], v[110:111]
	s_wait_loadcnt_dscnt 0x700
	v_mul_f64_e32 v[106:107], v[96:97], v[114:115]
	v_mul_f64_e32 v[110:111], v[98:99], v[114:115]
	v_add_f64_e32 v[12:13], v[12:13], v[152:153]
	v_add_f64_e32 v[4:5], v[4:5], v[100:101]
	v_fmac_f64_e32 v[146:147], v[90:91], v[108:109]
	v_fma_f64 v[108:109], v[88:89], v[108:109], -v[102:103]
	ds_load_b128 v[88:91], v2 offset:1072
	ds_load_b128 v[100:103], v2 offset:1088
	v_fmac_f64_e32 v[106:107], v[98:99], v[112:113]
	v_fma_f64 v[96:97], v[96:97], v[112:113], -v[110:111]
	v_add_f64_e32 v[12:13], v[12:13], v[144:145]
	v_add_f64_e32 v[4:5], v[4:5], v[104:105]
	s_wait_loadcnt_dscnt 0x601
	v_mul_f64_e32 v[104:105], v[88:89], v[118:119]
	v_mul_f64_e32 v[114:115], v[90:91], v[118:119]
	s_wait_loadcnt_dscnt 0x500
	v_mul_f64_e32 v[110:111], v[102:103], v[122:123]
	v_add_f64_e32 v[12:13], v[12:13], v[146:147]
	v_add_f64_e32 v[4:5], v[4:5], v[108:109]
	v_mul_f64_e32 v[108:109], v[100:101], v[122:123]
	v_fmac_f64_e32 v[104:105], v[90:91], v[116:117]
	v_fma_f64 v[112:113], v[88:89], v[116:117], -v[114:115]
	v_fma_f64 v[100:101], v[100:101], v[120:121], -v[110:111]
	v_add_f64_e32 v[12:13], v[12:13], v[106:107]
	v_add_f64_e32 v[4:5], v[4:5], v[96:97]
	ds_load_b128 v[88:91], v2 offset:1104
	ds_load_b128 v[96:99], v2 offset:1120
	v_fmac_f64_e32 v[108:109], v[102:103], v[120:121]
	s_wait_loadcnt_dscnt 0x401
	v_mul_f64_e32 v[106:107], v[88:89], v[130:131]
	v_mul_f64_e32 v[114:115], v[90:91], v[130:131]
	s_wait_loadcnt_dscnt 0x300
	v_mul_f64_e32 v[102:103], v[96:97], v[10:11]
	v_add_f64_e32 v[12:13], v[12:13], v[104:105]
	v_add_f64_e32 v[4:5], v[4:5], v[112:113]
	v_mul_f64_e32 v[104:105], v[98:99], v[10:11]
	v_fmac_f64_e32 v[106:107], v[90:91], v[128:129]
	v_fma_f64 v[110:111], v[88:89], v[128:129], -v[114:115]
	v_fmac_f64_e32 v[102:103], v[98:99], v[8:9]
	v_add_f64_e32 v[4:5], v[4:5], v[100:101]
	v_add_f64_e32 v[100:101], v[12:13], v[108:109]
	ds_load_b128 v[10:13], v2 offset:1136
	ds_load_b128 v[88:91], v2 offset:1152
	v_fma_f64 v[8:9], v[96:97], v[8:9], -v[104:105]
	s_wait_loadcnt_dscnt 0x201
	v_mul_f64_e32 v[108:109], v[10:11], v[142:143]
	v_mul_f64_e32 v[112:113], v[12:13], v[142:143]
	v_add_f64_e32 v[4:5], v[4:5], v[110:111]
	v_add_f64_e32 v[96:97], v[100:101], v[106:107]
	s_wait_loadcnt_dscnt 0x100
	v_mul_f64_e32 v[98:99], v[88:89], v[138:139]
	v_mul_f64_e32 v[100:101], v[90:91], v[138:139]
	v_fmac_f64_e32 v[108:109], v[12:13], v[140:141]
	v_fma_f64 v[12:13], v[10:11], v[140:141], -v[112:113]
	v_add_f64_e32 v[4:5], v[4:5], v[8:9]
	v_add_f64_e32 v[96:97], v[96:97], v[102:103]
	ds_load_b128 v[8:11], v2 offset:1168
	v_fmac_f64_e32 v[98:99], v[90:91], v[136:137]
	v_fma_f64 v[88:89], v[88:89], v[136:137], -v[100:101]
	s_wait_loadcnt_dscnt 0x0
	v_mul_f64_e32 v[102:103], v[8:9], v[94:95]
	v_mul_f64_e32 v[94:95], v[10:11], v[94:95]
	v_add_f64_e32 v[4:5], v[4:5], v[12:13]
	v_add_f64_e32 v[12:13], v[96:97], v[108:109]
	s_delay_alu instid0(VALU_DEP_4) | instskip(NEXT) | instid1(VALU_DEP_4)
	v_fmac_f64_e32 v[102:103], v[10:11], v[92:93]
	v_fma_f64 v[8:9], v[8:9], v[92:93], -v[94:95]
	s_delay_alu instid0(VALU_DEP_4) | instskip(NEXT) | instid1(VALU_DEP_4)
	v_add_f64_e32 v[4:5], v[4:5], v[88:89]
	v_add_f64_e32 v[10:11], v[12:13], v[98:99]
	s_delay_alu instid0(VALU_DEP_2) | instskip(NEXT) | instid1(VALU_DEP_2)
	v_add_f64_e32 v[4:5], v[4:5], v[8:9]
	v_add_f64_e32 v[10:11], v[10:11], v[102:103]
	s_delay_alu instid0(VALU_DEP_2) | instskip(NEXT) | instid1(VALU_DEP_2)
	v_add_f64_e64 v[8:9], v[132:133], -v[4:5]
	v_add_f64_e64 v[10:11], v[134:135], -v[10:11]
	scratch_store_b128 off, v[8:11], off offset:144
	s_wait_xcnt 0x0
	v_cmpx_lt_u32_e32 8, v1
	s_cbranch_execz .LBB100_219
; %bb.218:
	scratch_load_b128 v[8:11], off, s45
	v_dual_mov_b32 v3, v2 :: v_dual_mov_b32 v4, v2
	v_mov_b32_e32 v5, v2
	scratch_store_b128 off, v[2:5], off offset:128
	s_wait_loadcnt 0x0
	ds_store_b128 v6, v[8:11]
.LBB100_219:
	s_wait_xcnt 0x0
	s_or_b32 exec_lo, exec_lo, s2
	s_wait_storecnt_dscnt 0x0
	s_barrier_signal -1
	s_barrier_wait -1
	s_clause 0x9
	scratch_load_b128 v[8:11], off, off offset:144
	scratch_load_b128 v[88:91], off, off offset:160
	;; [unrolled: 1-line block ×10, first 2 shown]
	ds_load_b128 v[124:127], v2 offset:736
	ds_load_b128 v[132:135], v2 offset:752
	s_clause 0x1
	scratch_load_b128 v[128:131], off, off offset:304
	scratch_load_b128 v[136:139], off, off offset:128
	s_mov_b32 s2, exec_lo
	s_wait_loadcnt_dscnt 0xb01
	v_mul_f64_e32 v[4:5], v[126:127], v[10:11]
	v_mul_f64_e32 v[148:149], v[124:125], v[10:11]
	scratch_load_b128 v[10:13], off, off offset:320
	s_wait_loadcnt_dscnt 0xb00
	v_mul_f64_e32 v[150:151], v[132:133], v[90:91]
	v_mul_f64_e32 v[90:91], v[134:135], v[90:91]
	v_fma_f64 v[4:5], v[124:125], v[8:9], -v[4:5]
	v_fmac_f64_e32 v[148:149], v[126:127], v[8:9]
	ds_load_b128 v[124:127], v2 offset:768
	ds_load_b128 v[140:143], v2 offset:784
	scratch_load_b128 v[144:147], off, off offset:336
	v_fmac_f64_e32 v[150:151], v[134:135], v[88:89]
	v_fma_f64 v[132:133], v[132:133], v[88:89], -v[90:91]
	scratch_load_b128 v[88:91], off, off offset:352
	s_wait_loadcnt_dscnt 0xc01
	v_mul_f64_e32 v[8:9], v[124:125], v[94:95]
	v_mul_f64_e32 v[94:95], v[126:127], v[94:95]
	v_add_f64_e32 v[4:5], 0, v[4:5]
	v_add_f64_e32 v[134:135], 0, v[148:149]
	s_wait_loadcnt_dscnt 0xb00
	v_mul_f64_e32 v[148:149], v[140:141], v[98:99]
	v_mul_f64_e32 v[98:99], v[142:143], v[98:99]
	v_fmac_f64_e32 v[8:9], v[126:127], v[92:93]
	v_fma_f64 v[152:153], v[124:125], v[92:93], -v[94:95]
	ds_load_b128 v[92:95], v2 offset:800
	ds_load_b128 v[124:127], v2 offset:816
	v_add_f64_e32 v[4:5], v[4:5], v[132:133]
	v_add_f64_e32 v[150:151], v[134:135], v[150:151]
	scratch_load_b128 v[132:135], off, off offset:368
	v_fmac_f64_e32 v[148:149], v[142:143], v[96:97]
	v_fma_f64 v[140:141], v[140:141], v[96:97], -v[98:99]
	scratch_load_b128 v[96:99], off, off offset:384
	s_wait_loadcnt_dscnt 0xc01
	v_mul_f64_e32 v[154:155], v[92:93], v[102:103]
	v_mul_f64_e32 v[102:103], v[94:95], v[102:103]
	v_add_f64_e32 v[4:5], v[4:5], v[152:153]
	v_add_f64_e32 v[8:9], v[150:151], v[8:9]
	s_wait_loadcnt_dscnt 0xb00
	v_mul_f64_e32 v[150:151], v[124:125], v[106:107]
	v_mul_f64_e32 v[106:107], v[126:127], v[106:107]
	v_fmac_f64_e32 v[154:155], v[94:95], v[100:101]
	v_fma_f64 v[152:153], v[92:93], v[100:101], -v[102:103]
	ds_load_b128 v[92:95], v2 offset:832
	ds_load_b128 v[100:103], v2 offset:848
	v_add_f64_e32 v[4:5], v[4:5], v[140:141]
	v_add_f64_e32 v[8:9], v[8:9], v[148:149]
	scratch_load_b128 v[140:143], off, off offset:400
	s_wait_loadcnt_dscnt 0xb01
	v_mul_f64_e32 v[148:149], v[92:93], v[110:111]
	v_mul_f64_e32 v[110:111], v[94:95], v[110:111]
	v_fmac_f64_e32 v[150:151], v[126:127], v[104:105]
	v_fma_f64 v[124:125], v[124:125], v[104:105], -v[106:107]
	scratch_load_b128 v[104:107], off, off offset:416
	v_add_f64_e32 v[4:5], v[4:5], v[152:153]
	v_add_f64_e32 v[8:9], v[8:9], v[154:155]
	s_wait_loadcnt_dscnt 0xb00
	v_mul_f64_e32 v[152:153], v[100:101], v[114:115]
	v_mul_f64_e32 v[114:115], v[102:103], v[114:115]
	v_fmac_f64_e32 v[148:149], v[94:95], v[108:109]
	v_fma_f64 v[154:155], v[92:93], v[108:109], -v[110:111]
	ds_load_b128 v[92:95], v2 offset:864
	ds_load_b128 v[108:111], v2 offset:880
	v_add_f64_e32 v[4:5], v[4:5], v[124:125]
	v_add_f64_e32 v[8:9], v[8:9], v[150:151]
	scratch_load_b128 v[124:127], off, off offset:432
	s_wait_loadcnt_dscnt 0xb01
	v_mul_f64_e32 v[150:151], v[92:93], v[118:119]
	v_mul_f64_e32 v[118:119], v[94:95], v[118:119]
	v_fmac_f64_e32 v[152:153], v[102:103], v[112:113]
	v_fma_f64 v[112:113], v[100:101], v[112:113], -v[114:115]
	scratch_load_b128 v[100:103], off, off offset:448
	v_add_f64_e32 v[4:5], v[4:5], v[154:155]
	v_add_f64_e32 v[8:9], v[8:9], v[148:149]
	s_wait_loadcnt_dscnt 0xb00
	v_mul_f64_e32 v[148:149], v[108:109], v[122:123]
	v_mul_f64_e32 v[122:123], v[110:111], v[122:123]
	v_fmac_f64_e32 v[150:151], v[94:95], v[116:117]
	v_fma_f64 v[154:155], v[92:93], v[116:117], -v[118:119]
	v_add_f64_e32 v[4:5], v[4:5], v[112:113]
	v_add_f64_e32 v[8:9], v[8:9], v[152:153]
	ds_load_b128 v[92:95], v2 offset:896
	ds_load_b128 v[112:115], v2 offset:912
	scratch_load_b128 v[116:119], off, off offset:464
	v_fmac_f64_e32 v[148:149], v[110:111], v[120:121]
	v_fma_f64 v[120:121], v[108:109], v[120:121], -v[122:123]
	scratch_load_b128 v[108:111], off, off offset:480
	s_wait_loadcnt_dscnt 0xc01
	v_mul_f64_e32 v[152:153], v[92:93], v[130:131]
	v_mul_f64_e32 v[130:131], v[94:95], v[130:131]
	v_add_f64_e32 v[4:5], v[4:5], v[154:155]
	v_add_f64_e32 v[8:9], v[8:9], v[150:151]
	s_wait_loadcnt_dscnt 0xa00
	v_mul_f64_e32 v[150:151], v[112:113], v[12:13]
	v_mul_f64_e32 v[12:13], v[114:115], v[12:13]
	v_fmac_f64_e32 v[152:153], v[94:95], v[128:129]
	v_fma_f64 v[154:155], v[92:93], v[128:129], -v[130:131]
	v_add_f64_e32 v[4:5], v[4:5], v[120:121]
	v_add_f64_e32 v[8:9], v[8:9], v[148:149]
	ds_load_b128 v[92:95], v2 offset:928
	ds_load_b128 v[120:123], v2 offset:944
	scratch_load_b128 v[128:131], off, off offset:496
	v_fmac_f64_e32 v[150:151], v[114:115], v[10:11]
	v_fma_f64 v[12:13], v[112:113], v[10:11], -v[12:13]
	s_wait_loadcnt_dscnt 0xa01
	v_mul_f64_e32 v[148:149], v[92:93], v[146:147]
	v_mul_f64_e32 v[146:147], v[94:95], v[146:147]
	v_add_f64_e32 v[4:5], v[4:5], v[154:155]
	v_add_f64_e32 v[112:113], v[8:9], v[152:153]
	scratch_load_b128 v[8:11], off, off offset:512
	s_wait_loadcnt_dscnt 0xa00
	v_mul_f64_e32 v[152:153], v[120:121], v[90:91]
	v_mul_f64_e32 v[154:155], v[122:123], v[90:91]
	v_fmac_f64_e32 v[148:149], v[94:95], v[144:145]
	v_fma_f64 v[94:95], v[92:93], v[144:145], -v[146:147]
	v_add_f64_e32 v[4:5], v[4:5], v[12:13]
	v_add_f64_e32 v[12:13], v[112:113], v[150:151]
	ds_load_b128 v[90:93], v2 offset:960
	ds_load_b128 v[112:115], v2 offset:976
	scratch_load_b128 v[144:147], off, off offset:528
	v_fmac_f64_e32 v[152:153], v[122:123], v[88:89]
	v_fma_f64 v[88:89], v[120:121], v[88:89], -v[154:155]
	scratch_load_b128 v[120:123], off, off offset:544
	s_wait_loadcnt_dscnt 0xb01
	v_mul_f64_e32 v[150:151], v[90:91], v[134:135]
	v_mul_f64_e32 v[134:135], v[92:93], v[134:135]
	v_add_f64_e32 v[4:5], v[4:5], v[94:95]
	v_add_f64_e32 v[12:13], v[12:13], v[148:149]
	s_wait_loadcnt_dscnt 0xa00
	v_mul_f64_e32 v[148:149], v[112:113], v[98:99]
	v_mul_f64_e32 v[98:99], v[114:115], v[98:99]
	v_fmac_f64_e32 v[150:151], v[92:93], v[132:133]
	v_fma_f64 v[154:155], v[90:91], v[132:133], -v[134:135]
	v_add_f64_e32 v[4:5], v[4:5], v[88:89]
	v_add_f64_e32 v[12:13], v[12:13], v[152:153]
	ds_load_b128 v[88:91], v2 offset:992
	ds_load_b128 v[92:95], v2 offset:1008
	scratch_load_b128 v[132:135], off, off offset:560
	v_fmac_f64_e32 v[148:149], v[114:115], v[96:97]
	v_fma_f64 v[112:113], v[112:113], v[96:97], -v[98:99]
	scratch_load_b128 v[96:99], off, off offset:576
	s_wait_loadcnt_dscnt 0xb01
	v_mul_f64_e32 v[152:153], v[88:89], v[142:143]
	v_mul_f64_e32 v[142:143], v[90:91], v[142:143]
	v_add_f64_e32 v[4:5], v[4:5], v[154:155]
	v_add_f64_e32 v[12:13], v[12:13], v[150:151]
	s_wait_loadcnt_dscnt 0xa00
	v_mul_f64_e32 v[150:151], v[92:93], v[106:107]
	v_mul_f64_e32 v[106:107], v[94:95], v[106:107]
	v_fmac_f64_e32 v[152:153], v[90:91], v[140:141]
	v_fma_f64 v[140:141], v[88:89], v[140:141], -v[142:143]
	v_add_f64_e32 v[4:5], v[4:5], v[112:113]
	v_add_f64_e32 v[12:13], v[12:13], v[148:149]
	ds_load_b128 v[88:91], v2 offset:1024
	ds_load_b128 v[112:115], v2 offset:1040
	v_fmac_f64_e32 v[150:151], v[94:95], v[104:105]
	v_fma_f64 v[92:93], v[92:93], v[104:105], -v[106:107]
	s_wait_loadcnt_dscnt 0x901
	v_mul_f64_e32 v[142:143], v[88:89], v[126:127]
	v_mul_f64_e32 v[126:127], v[90:91], v[126:127]
	s_wait_loadcnt_dscnt 0x800
	v_mul_f64_e32 v[104:105], v[112:113], v[102:103]
	v_mul_f64_e32 v[102:103], v[114:115], v[102:103]
	v_add_f64_e32 v[4:5], v[4:5], v[140:141]
	v_add_f64_e32 v[12:13], v[12:13], v[152:153]
	v_fmac_f64_e32 v[142:143], v[90:91], v[124:125]
	v_fma_f64 v[106:107], v[88:89], v[124:125], -v[126:127]
	v_fmac_f64_e32 v[104:105], v[114:115], v[100:101]
	v_fma_f64 v[100:101], v[112:113], v[100:101], -v[102:103]
	v_add_f64_e32 v[4:5], v[4:5], v[92:93]
	v_add_f64_e32 v[12:13], v[12:13], v[150:151]
	ds_load_b128 v[88:91], v2 offset:1056
	ds_load_b128 v[92:95], v2 offset:1072
	s_wait_loadcnt_dscnt 0x701
	v_mul_f64_e32 v[124:125], v[88:89], v[118:119]
	v_mul_f64_e32 v[118:119], v[90:91], v[118:119]
	v_add_f64_e32 v[4:5], v[4:5], v[106:107]
	v_add_f64_e32 v[12:13], v[12:13], v[142:143]
	s_wait_loadcnt_dscnt 0x600
	v_mul_f64_e32 v[106:107], v[92:93], v[110:111]
	v_mul_f64_e32 v[110:111], v[94:95], v[110:111]
	v_fmac_f64_e32 v[124:125], v[90:91], v[116:117]
	v_fma_f64 v[112:113], v[88:89], v[116:117], -v[118:119]
	v_add_f64_e32 v[4:5], v[4:5], v[100:101]
	v_add_f64_e32 v[12:13], v[12:13], v[104:105]
	ds_load_b128 v[88:91], v2 offset:1088
	ds_load_b128 v[100:103], v2 offset:1104
	v_fmac_f64_e32 v[106:107], v[94:95], v[108:109]
	v_fma_f64 v[92:93], v[92:93], v[108:109], -v[110:111]
	s_wait_loadcnt_dscnt 0x501
	v_mul_f64_e32 v[104:105], v[88:89], v[130:131]
	v_mul_f64_e32 v[114:115], v[90:91], v[130:131]
	v_add_f64_e32 v[4:5], v[4:5], v[112:113]
	v_add_f64_e32 v[12:13], v[12:13], v[124:125]
	s_wait_loadcnt_dscnt 0x400
	v_mul_f64_e32 v[94:95], v[100:101], v[10:11]
	v_mul_f64_e32 v[108:109], v[102:103], v[10:11]
	v_fmac_f64_e32 v[104:105], v[90:91], v[128:129]
	v_fma_f64 v[110:111], v[88:89], v[128:129], -v[114:115]
	v_add_f64_e32 v[4:5], v[4:5], v[92:93]
	v_add_f64_e32 v[92:93], v[12:13], v[106:107]
	ds_load_b128 v[10:13], v2 offset:1120
	ds_load_b128 v[88:91], v2 offset:1136
	v_fmac_f64_e32 v[94:95], v[102:103], v[8:9]
	v_fma_f64 v[8:9], v[100:101], v[8:9], -v[108:109]
	s_wait_loadcnt_dscnt 0x301
	v_mul_f64_e32 v[106:107], v[10:11], v[146:147]
	v_mul_f64_e32 v[112:113], v[12:13], v[146:147]
	s_wait_loadcnt_dscnt 0x200
	v_mul_f64_e32 v[100:101], v[88:89], v[122:123]
	v_mul_f64_e32 v[102:103], v[90:91], v[122:123]
	v_add_f64_e32 v[4:5], v[4:5], v[110:111]
	v_add_f64_e32 v[92:93], v[92:93], v[104:105]
	v_fmac_f64_e32 v[106:107], v[12:13], v[144:145]
	v_fma_f64 v[12:13], v[10:11], v[144:145], -v[112:113]
	v_fmac_f64_e32 v[100:101], v[90:91], v[120:121]
	v_fma_f64 v[88:89], v[88:89], v[120:121], -v[102:103]
	v_add_f64_e32 v[104:105], v[4:5], v[8:9]
	v_add_f64_e32 v[92:93], v[92:93], v[94:95]
	ds_load_b128 v[8:11], v2 offset:1152
	ds_load_b128 v[2:5], v2 offset:1168
	s_wait_loadcnt_dscnt 0x101
	v_mul_f64_e32 v[94:95], v[8:9], v[134:135]
	v_mul_f64_e32 v[108:109], v[10:11], v[134:135]
	v_add_f64_e32 v[12:13], v[104:105], v[12:13]
	v_add_f64_e32 v[90:91], v[92:93], v[106:107]
	s_wait_loadcnt_dscnt 0x0
	v_mul_f64_e32 v[92:93], v[2:3], v[98:99]
	v_mul_f64_e32 v[98:99], v[4:5], v[98:99]
	v_fmac_f64_e32 v[94:95], v[10:11], v[132:133]
	v_fma_f64 v[8:9], v[8:9], v[132:133], -v[108:109]
	v_add_f64_e32 v[10:11], v[12:13], v[88:89]
	v_add_f64_e32 v[12:13], v[90:91], v[100:101]
	v_fmac_f64_e32 v[92:93], v[4:5], v[96:97]
	v_fma_f64 v[2:3], v[2:3], v[96:97], -v[98:99]
	s_delay_alu instid0(VALU_DEP_4) | instskip(NEXT) | instid1(VALU_DEP_4)
	v_add_f64_e32 v[4:5], v[10:11], v[8:9]
	v_add_f64_e32 v[8:9], v[12:13], v[94:95]
	s_delay_alu instid0(VALU_DEP_2) | instskip(NEXT) | instid1(VALU_DEP_2)
	v_add_f64_e32 v[2:3], v[4:5], v[2:3]
	v_add_f64_e32 v[4:5], v[8:9], v[92:93]
	s_delay_alu instid0(VALU_DEP_2) | instskip(NEXT) | instid1(VALU_DEP_2)
	v_add_f64_e64 v[2:3], v[136:137], -v[2:3]
	v_add_f64_e64 v[4:5], v[138:139], -v[4:5]
	scratch_store_b128 off, v[2:5], off offset:128
	s_wait_xcnt 0x0
	v_cmpx_lt_u32_e32 7, v1
	s_cbranch_execz .LBB100_221
; %bb.220:
	scratch_load_b128 v[2:5], off, s46
	v_mov_b32_e32 v8, 0
	s_delay_alu instid0(VALU_DEP_1)
	v_dual_mov_b32 v9, v8 :: v_dual_mov_b32 v10, v8
	v_mov_b32_e32 v11, v8
	scratch_store_b128 off, v[8:11], off offset:112
	s_wait_loadcnt 0x0
	ds_store_b128 v6, v[2:5]
.LBB100_221:
	s_wait_xcnt 0x0
	s_or_b32 exec_lo, exec_lo, s2
	s_wait_storecnt_dscnt 0x0
	s_barrier_signal -1
	s_barrier_wait -1
	s_clause 0x9
	scratch_load_b128 v[8:11], off, off offset:128
	scratch_load_b128 v[88:91], off, off offset:144
	;; [unrolled: 1-line block ×10, first 2 shown]
	v_mov_b32_e32 v2, 0
	s_mov_b32 s2, exec_lo
	ds_load_b128 v[124:127], v2 offset:720
	s_clause 0x2
	scratch_load_b128 v[128:131], off, off offset:288
	scratch_load_b128 v[132:135], off, off offset:112
	;; [unrolled: 1-line block ×3, first 2 shown]
	s_wait_loadcnt_dscnt 0xc00
	v_mul_f64_e32 v[4:5], v[126:127], v[10:11]
	v_mul_f64_e32 v[148:149], v[124:125], v[10:11]
	ds_load_b128 v[136:139], v2 offset:736
	scratch_load_b128 v[10:13], off, off offset:304
	ds_load_b128 v[144:147], v2 offset:768
	v_fma_f64 v[4:5], v[124:125], v[8:9], -v[4:5]
	v_fmac_f64_e32 v[148:149], v[126:127], v[8:9]
	ds_load_b128 v[124:127], v2 offset:752
	s_wait_loadcnt_dscnt 0xc02
	v_mul_f64_e32 v[150:151], v[136:137], v[90:91]
	v_mul_f64_e32 v[90:91], v[138:139], v[90:91]
	s_wait_loadcnt_dscnt 0xb00
	v_mul_f64_e32 v[8:9], v[124:125], v[94:95]
	v_mul_f64_e32 v[94:95], v[126:127], v[94:95]
	v_add_f64_e32 v[4:5], 0, v[4:5]
	v_fmac_f64_e32 v[150:151], v[138:139], v[88:89]
	v_fma_f64 v[136:137], v[136:137], v[88:89], -v[90:91]
	v_add_f64_e32 v[138:139], 0, v[148:149]
	scratch_load_b128 v[88:91], off, off offset:336
	v_fmac_f64_e32 v[8:9], v[126:127], v[92:93]
	v_fma_f64 v[152:153], v[124:125], v[92:93], -v[94:95]
	ds_load_b128 v[92:95], v2 offset:784
	s_wait_loadcnt 0xb
	v_mul_f64_e32 v[148:149], v[144:145], v[98:99]
	v_mul_f64_e32 v[98:99], v[146:147], v[98:99]
	scratch_load_b128 v[124:127], off, off offset:352
	v_add_f64_e32 v[4:5], v[4:5], v[136:137]
	v_add_f64_e32 v[150:151], v[138:139], v[150:151]
	ds_load_b128 v[136:139], v2 offset:800
	s_wait_loadcnt_dscnt 0xb01
	v_mul_f64_e32 v[154:155], v[92:93], v[102:103]
	v_mul_f64_e32 v[102:103], v[94:95], v[102:103]
	v_fmac_f64_e32 v[148:149], v[146:147], v[96:97]
	v_fma_f64 v[144:145], v[144:145], v[96:97], -v[98:99]
	scratch_load_b128 v[96:99], off, off offset:368
	v_add_f64_e32 v[4:5], v[4:5], v[152:153]
	v_add_f64_e32 v[8:9], v[150:151], v[8:9]
	v_fmac_f64_e32 v[154:155], v[94:95], v[100:101]
	v_fma_f64 v[152:153], v[92:93], v[100:101], -v[102:103]
	ds_load_b128 v[92:95], v2 offset:816
	s_wait_loadcnt_dscnt 0xb01
	v_mul_f64_e32 v[150:151], v[136:137], v[106:107]
	v_mul_f64_e32 v[106:107], v[138:139], v[106:107]
	scratch_load_b128 v[100:103], off, off offset:384
	v_add_f64_e32 v[4:5], v[4:5], v[144:145]
	v_add_f64_e32 v[8:9], v[8:9], v[148:149]
	s_wait_loadcnt_dscnt 0xb00
	v_mul_f64_e32 v[148:149], v[92:93], v[110:111]
	v_mul_f64_e32 v[110:111], v[94:95], v[110:111]
	ds_load_b128 v[144:147], v2 offset:832
	v_fmac_f64_e32 v[150:151], v[138:139], v[104:105]
	v_fma_f64 v[136:137], v[136:137], v[104:105], -v[106:107]
	scratch_load_b128 v[104:107], off, off offset:400
	v_add_f64_e32 v[4:5], v[4:5], v[152:153]
	v_add_f64_e32 v[8:9], v[8:9], v[154:155]
	v_fmac_f64_e32 v[148:149], v[94:95], v[108:109]
	v_fma_f64 v[154:155], v[92:93], v[108:109], -v[110:111]
	ds_load_b128 v[92:95], v2 offset:848
	s_wait_loadcnt_dscnt 0xb01
	v_mul_f64_e32 v[152:153], v[144:145], v[114:115]
	v_mul_f64_e32 v[114:115], v[146:147], v[114:115]
	scratch_load_b128 v[108:111], off, off offset:416
	v_add_f64_e32 v[4:5], v[4:5], v[136:137]
	v_add_f64_e32 v[8:9], v[8:9], v[150:151]
	s_wait_loadcnt_dscnt 0xb00
	v_mul_f64_e32 v[150:151], v[92:93], v[118:119]
	v_mul_f64_e32 v[118:119], v[94:95], v[118:119]
	ds_load_b128 v[136:139], v2 offset:864
	;; [unrolled: 18-line block ×3, first 2 shown]
	v_fmac_f64_e32 v[148:149], v[138:139], v[120:121]
	v_fma_f64 v[136:137], v[136:137], v[120:121], -v[122:123]
	scratch_load_b128 v[120:123], off, off offset:464
	v_add_f64_e32 v[4:5], v[4:5], v[154:155]
	v_add_f64_e32 v[8:9], v[8:9], v[150:151]
	v_fmac_f64_e32 v[152:153], v[94:95], v[128:129]
	v_fma_f64 v[154:155], v[92:93], v[128:129], -v[130:131]
	ds_load_b128 v[92:95], v2 offset:912
	s_wait_loadcnt_dscnt 0x901
	v_mul_f64_e32 v[150:151], v[144:145], v[12:13]
	v_mul_f64_e32 v[12:13], v[146:147], v[12:13]
	scratch_load_b128 v[128:131], off, off offset:480
	v_add_f64_e32 v[4:5], v[4:5], v[136:137]
	v_add_f64_e32 v[8:9], v[8:9], v[148:149]
	s_wait_dscnt 0x0
	v_mul_f64_e32 v[148:149], v[92:93], v[142:143]
	v_mul_f64_e32 v[142:143], v[94:95], v[142:143]
	ds_load_b128 v[136:139], v2 offset:928
	v_fmac_f64_e32 v[150:151], v[146:147], v[10:11]
	v_fma_f64 v[12:13], v[144:145], v[10:11], -v[12:13]
	v_add_f64_e32 v[4:5], v[4:5], v[154:155]
	v_add_f64_e32 v[144:145], v[8:9], v[152:153]
	scratch_load_b128 v[8:11], off, off offset:496
	v_fmac_f64_e32 v[148:149], v[94:95], v[140:141]
	v_fma_f64 v[94:95], v[92:93], v[140:141], -v[142:143]
	scratch_load_b128 v[140:143], off, off offset:512
	v_add_f64_e32 v[4:5], v[4:5], v[12:13]
	v_add_f64_e32 v[12:13], v[144:145], v[150:151]
	ds_load_b128 v[144:147], v2 offset:960
	s_wait_loadcnt_dscnt 0xb01
	v_mul_f64_e32 v[152:153], v[136:137], v[90:91]
	v_mul_f64_e32 v[154:155], v[138:139], v[90:91]
	ds_load_b128 v[90:93], v2 offset:944
	s_wait_loadcnt_dscnt 0xa00
	v_mul_f64_e32 v[150:151], v[90:91], v[126:127]
	v_mul_f64_e32 v[126:127], v[92:93], v[126:127]
	v_add_f64_e32 v[4:5], v[4:5], v[94:95]
	v_add_f64_e32 v[12:13], v[12:13], v[148:149]
	s_wait_loadcnt 0x9
	v_mul_f64_e32 v[148:149], v[144:145], v[98:99]
	v_fmac_f64_e32 v[152:153], v[138:139], v[88:89]
	v_fma_f64 v[88:89], v[136:137], v[88:89], -v[154:155]
	scratch_load_b128 v[136:139], off, off offset:528
	v_mul_f64_e32 v[98:99], v[146:147], v[98:99]
	v_fmac_f64_e32 v[150:151], v[92:93], v[124:125]
	v_fma_f64 v[154:155], v[90:91], v[124:125], -v[126:127]
	scratch_load_b128 v[92:95], off, off offset:544
	ds_load_b128 v[124:127], v2 offset:992
	v_fmac_f64_e32 v[148:149], v[146:147], v[96:97]
	v_add_f64_e32 v[12:13], v[12:13], v[152:153]
	v_add_f64_e32 v[4:5], v[4:5], v[88:89]
	ds_load_b128 v[88:91], v2 offset:976
	v_fma_f64 v[144:145], v[144:145], v[96:97], -v[98:99]
	scratch_load_b128 v[96:99], off, off offset:560
	s_wait_loadcnt_dscnt 0xb00
	v_mul_f64_e32 v[152:153], v[88:89], v[102:103]
	v_mul_f64_e32 v[102:103], v[90:91], v[102:103]
	v_add_f64_e32 v[12:13], v[12:13], v[150:151]
	v_add_f64_e32 v[4:5], v[4:5], v[154:155]
	s_wait_loadcnt 0xa
	v_mul_f64_e32 v[150:151], v[124:125], v[106:107]
	v_mul_f64_e32 v[106:107], v[126:127], v[106:107]
	v_fmac_f64_e32 v[152:153], v[90:91], v[100:101]
	v_fma_f64 v[154:155], v[88:89], v[100:101], -v[102:103]
	ds_load_b128 v[88:91], v2 offset:1008
	scratch_load_b128 v[100:103], off, off offset:576
	v_add_f64_e32 v[12:13], v[12:13], v[148:149]
	v_add_f64_e32 v[4:5], v[4:5], v[144:145]
	ds_load_b128 v[144:147], v2 offset:1024
	v_fmac_f64_e32 v[150:151], v[126:127], v[104:105]
	v_fma_f64 v[104:105], v[124:125], v[104:105], -v[106:107]
	s_wait_loadcnt_dscnt 0xa01
	v_mul_f64_e32 v[148:149], v[88:89], v[110:111]
	v_mul_f64_e32 v[110:111], v[90:91], v[110:111]
	s_wait_loadcnt_dscnt 0x900
	v_mul_f64_e32 v[124:125], v[144:145], v[114:115]
	v_mul_f64_e32 v[114:115], v[146:147], v[114:115]
	v_add_f64_e32 v[12:13], v[12:13], v[152:153]
	v_add_f64_e32 v[4:5], v[4:5], v[154:155]
	v_fmac_f64_e32 v[148:149], v[90:91], v[108:109]
	v_fma_f64 v[108:109], v[88:89], v[108:109], -v[110:111]
	v_fmac_f64_e32 v[124:125], v[146:147], v[112:113]
	v_fma_f64 v[112:113], v[144:145], v[112:113], -v[114:115]
	v_add_f64_e32 v[12:13], v[12:13], v[150:151]
	v_add_f64_e32 v[4:5], v[4:5], v[104:105]
	ds_load_b128 v[88:91], v2 offset:1040
	ds_load_b128 v[104:107], v2 offset:1056
	s_wait_loadcnt_dscnt 0x801
	v_mul_f64_e32 v[126:127], v[88:89], v[118:119]
	v_mul_f64_e32 v[110:111], v[90:91], v[118:119]
	s_wait_loadcnt_dscnt 0x700
	v_mul_f64_e32 v[114:115], v[104:105], v[122:123]
	v_mul_f64_e32 v[118:119], v[106:107], v[122:123]
	v_add_f64_e32 v[12:13], v[12:13], v[148:149]
	v_add_f64_e32 v[4:5], v[4:5], v[108:109]
	v_fmac_f64_e32 v[126:127], v[90:91], v[116:117]
	v_fma_f64 v[116:117], v[88:89], v[116:117], -v[110:111]
	ds_load_b128 v[88:91], v2 offset:1072
	ds_load_b128 v[108:111], v2 offset:1088
	v_fmac_f64_e32 v[114:115], v[106:107], v[120:121]
	v_fma_f64 v[104:105], v[104:105], v[120:121], -v[118:119]
	v_add_f64_e32 v[12:13], v[12:13], v[124:125]
	v_add_f64_e32 v[4:5], v[4:5], v[112:113]
	s_wait_loadcnt_dscnt 0x601
	v_mul_f64_e32 v[112:113], v[88:89], v[130:131]
	v_mul_f64_e32 v[122:123], v[90:91], v[130:131]
	s_wait_loadcnt_dscnt 0x500
	v_mul_f64_e32 v[106:107], v[108:109], v[10:11]
	v_add_f64_e32 v[12:13], v[12:13], v[126:127]
	v_add_f64_e32 v[4:5], v[4:5], v[116:117]
	v_mul_f64_e32 v[116:117], v[110:111], v[10:11]
	v_fmac_f64_e32 v[112:113], v[90:91], v[128:129]
	v_fma_f64 v[118:119], v[88:89], v[128:129], -v[122:123]
	v_fmac_f64_e32 v[106:107], v[110:111], v[8:9]
	v_add_f64_e32 v[4:5], v[4:5], v[104:105]
	v_add_f64_e32 v[104:105], v[12:13], v[114:115]
	ds_load_b128 v[10:13], v2 offset:1104
	ds_load_b128 v[88:91], v2 offset:1120
	v_fma_f64 v[8:9], v[108:109], v[8:9], -v[116:117]
	s_wait_loadcnt_dscnt 0x401
	v_mul_f64_e32 v[114:115], v[10:11], v[142:143]
	v_mul_f64_e32 v[120:121], v[12:13], v[142:143]
	v_add_f64_e32 v[4:5], v[4:5], v[118:119]
	v_add_f64_e32 v[104:105], v[104:105], v[112:113]
	s_wait_loadcnt_dscnt 0x300
	v_mul_f64_e32 v[108:109], v[88:89], v[138:139]
	v_mul_f64_e32 v[110:111], v[90:91], v[138:139]
	v_fmac_f64_e32 v[114:115], v[12:13], v[140:141]
	v_fma_f64 v[12:13], v[10:11], v[140:141], -v[120:121]
	v_add_f64_e32 v[4:5], v[4:5], v[8:9]
	v_add_f64_e32 v[112:113], v[104:105], v[106:107]
	ds_load_b128 v[8:11], v2 offset:1136
	ds_load_b128 v[104:107], v2 offset:1152
	v_fmac_f64_e32 v[108:109], v[90:91], v[136:137]
	v_fma_f64 v[88:89], v[88:89], v[136:137], -v[110:111]
	s_wait_loadcnt_dscnt 0x201
	v_mul_f64_e32 v[116:117], v[8:9], v[94:95]
	v_mul_f64_e32 v[94:95], v[10:11], v[94:95]
	s_wait_loadcnt_dscnt 0x100
	v_mul_f64_e32 v[90:91], v[104:105], v[98:99]
	v_mul_f64_e32 v[98:99], v[106:107], v[98:99]
	v_add_f64_e32 v[4:5], v[4:5], v[12:13]
	v_add_f64_e32 v[12:13], v[112:113], v[114:115]
	v_fmac_f64_e32 v[116:117], v[10:11], v[92:93]
	v_fma_f64 v[92:93], v[8:9], v[92:93], -v[94:95]
	ds_load_b128 v[8:11], v2 offset:1168
	v_fmac_f64_e32 v[90:91], v[106:107], v[96:97]
	v_fma_f64 v[96:97], v[104:105], v[96:97], -v[98:99]
	v_add_f64_e32 v[4:5], v[4:5], v[88:89]
	v_add_f64_e32 v[12:13], v[12:13], v[108:109]
	s_wait_loadcnt_dscnt 0x0
	v_mul_f64_e32 v[88:89], v[8:9], v[102:103]
	v_mul_f64_e32 v[94:95], v[10:11], v[102:103]
	s_delay_alu instid0(VALU_DEP_4) | instskip(NEXT) | instid1(VALU_DEP_4)
	v_add_f64_e32 v[4:5], v[4:5], v[92:93]
	v_add_f64_e32 v[12:13], v[12:13], v[116:117]
	s_delay_alu instid0(VALU_DEP_4) | instskip(NEXT) | instid1(VALU_DEP_4)
	v_fmac_f64_e32 v[88:89], v[10:11], v[100:101]
	v_fma_f64 v[8:9], v[8:9], v[100:101], -v[94:95]
	s_delay_alu instid0(VALU_DEP_4) | instskip(NEXT) | instid1(VALU_DEP_4)
	v_add_f64_e32 v[4:5], v[4:5], v[96:97]
	v_add_f64_e32 v[10:11], v[12:13], v[90:91]
	s_delay_alu instid0(VALU_DEP_2) | instskip(NEXT) | instid1(VALU_DEP_2)
	v_add_f64_e32 v[4:5], v[4:5], v[8:9]
	v_add_f64_e32 v[10:11], v[10:11], v[88:89]
	s_delay_alu instid0(VALU_DEP_2) | instskip(NEXT) | instid1(VALU_DEP_2)
	v_add_f64_e64 v[8:9], v[132:133], -v[4:5]
	v_add_f64_e64 v[10:11], v[134:135], -v[10:11]
	scratch_store_b128 off, v[8:11], off offset:112
	s_wait_xcnt 0x0
	v_cmpx_lt_u32_e32 6, v1
	s_cbranch_execz .LBB100_223
; %bb.222:
	scratch_load_b128 v[8:11], off, s47
	v_dual_mov_b32 v3, v2 :: v_dual_mov_b32 v4, v2
	v_mov_b32_e32 v5, v2
	scratch_store_b128 off, v[2:5], off offset:96
	s_wait_loadcnt 0x0
	ds_store_b128 v6, v[8:11]
.LBB100_223:
	s_wait_xcnt 0x0
	s_or_b32 exec_lo, exec_lo, s2
	s_wait_storecnt_dscnt 0x0
	s_barrier_signal -1
	s_barrier_wait -1
	s_clause 0x9
	scratch_load_b128 v[8:11], off, off offset:112
	scratch_load_b128 v[88:91], off, off offset:128
	;; [unrolled: 1-line block ×10, first 2 shown]
	ds_load_b128 v[124:127], v2 offset:704
	ds_load_b128 v[132:135], v2 offset:720
	s_clause 0x1
	scratch_load_b128 v[128:131], off, off offset:272
	scratch_load_b128 v[136:139], off, off offset:96
	s_mov_b32 s2, exec_lo
	s_wait_loadcnt_dscnt 0xb01
	v_mul_f64_e32 v[4:5], v[126:127], v[10:11]
	v_mul_f64_e32 v[148:149], v[124:125], v[10:11]
	scratch_load_b128 v[10:13], off, off offset:288
	s_wait_loadcnt_dscnt 0xb00
	v_mul_f64_e32 v[150:151], v[132:133], v[90:91]
	v_mul_f64_e32 v[90:91], v[134:135], v[90:91]
	v_fma_f64 v[4:5], v[124:125], v[8:9], -v[4:5]
	v_fmac_f64_e32 v[148:149], v[126:127], v[8:9]
	ds_load_b128 v[124:127], v2 offset:736
	ds_load_b128 v[140:143], v2 offset:752
	scratch_load_b128 v[144:147], off, off offset:304
	v_fmac_f64_e32 v[150:151], v[134:135], v[88:89]
	v_fma_f64 v[132:133], v[132:133], v[88:89], -v[90:91]
	scratch_load_b128 v[88:91], off, off offset:320
	s_wait_loadcnt_dscnt 0xc01
	v_mul_f64_e32 v[8:9], v[124:125], v[94:95]
	v_mul_f64_e32 v[94:95], v[126:127], v[94:95]
	v_add_f64_e32 v[4:5], 0, v[4:5]
	v_add_f64_e32 v[134:135], 0, v[148:149]
	s_wait_loadcnt_dscnt 0xb00
	v_mul_f64_e32 v[148:149], v[140:141], v[98:99]
	v_mul_f64_e32 v[98:99], v[142:143], v[98:99]
	v_fmac_f64_e32 v[8:9], v[126:127], v[92:93]
	v_fma_f64 v[152:153], v[124:125], v[92:93], -v[94:95]
	ds_load_b128 v[92:95], v2 offset:768
	ds_load_b128 v[124:127], v2 offset:784
	v_add_f64_e32 v[4:5], v[4:5], v[132:133]
	v_add_f64_e32 v[150:151], v[134:135], v[150:151]
	scratch_load_b128 v[132:135], off, off offset:336
	v_fmac_f64_e32 v[148:149], v[142:143], v[96:97]
	v_fma_f64 v[140:141], v[140:141], v[96:97], -v[98:99]
	scratch_load_b128 v[96:99], off, off offset:352
	s_wait_loadcnt_dscnt 0xc01
	v_mul_f64_e32 v[154:155], v[92:93], v[102:103]
	v_mul_f64_e32 v[102:103], v[94:95], v[102:103]
	v_add_f64_e32 v[4:5], v[4:5], v[152:153]
	v_add_f64_e32 v[8:9], v[150:151], v[8:9]
	s_wait_loadcnt_dscnt 0xb00
	v_mul_f64_e32 v[150:151], v[124:125], v[106:107]
	v_mul_f64_e32 v[106:107], v[126:127], v[106:107]
	v_fmac_f64_e32 v[154:155], v[94:95], v[100:101]
	v_fma_f64 v[152:153], v[92:93], v[100:101], -v[102:103]
	ds_load_b128 v[92:95], v2 offset:800
	ds_load_b128 v[100:103], v2 offset:816
	v_add_f64_e32 v[4:5], v[4:5], v[140:141]
	v_add_f64_e32 v[8:9], v[8:9], v[148:149]
	scratch_load_b128 v[140:143], off, off offset:368
	s_wait_loadcnt_dscnt 0xb01
	v_mul_f64_e32 v[148:149], v[92:93], v[110:111]
	v_mul_f64_e32 v[110:111], v[94:95], v[110:111]
	v_fmac_f64_e32 v[150:151], v[126:127], v[104:105]
	v_fma_f64 v[124:125], v[124:125], v[104:105], -v[106:107]
	scratch_load_b128 v[104:107], off, off offset:384
	v_add_f64_e32 v[4:5], v[4:5], v[152:153]
	v_add_f64_e32 v[8:9], v[8:9], v[154:155]
	s_wait_loadcnt_dscnt 0xb00
	v_mul_f64_e32 v[152:153], v[100:101], v[114:115]
	v_mul_f64_e32 v[114:115], v[102:103], v[114:115]
	v_fmac_f64_e32 v[148:149], v[94:95], v[108:109]
	v_fma_f64 v[154:155], v[92:93], v[108:109], -v[110:111]
	ds_load_b128 v[92:95], v2 offset:832
	ds_load_b128 v[108:111], v2 offset:848
	v_add_f64_e32 v[4:5], v[4:5], v[124:125]
	v_add_f64_e32 v[8:9], v[8:9], v[150:151]
	scratch_load_b128 v[124:127], off, off offset:400
	s_wait_loadcnt_dscnt 0xb01
	v_mul_f64_e32 v[150:151], v[92:93], v[118:119]
	v_mul_f64_e32 v[118:119], v[94:95], v[118:119]
	v_fmac_f64_e32 v[152:153], v[102:103], v[112:113]
	v_fma_f64 v[112:113], v[100:101], v[112:113], -v[114:115]
	scratch_load_b128 v[100:103], off, off offset:416
	v_add_f64_e32 v[4:5], v[4:5], v[154:155]
	v_add_f64_e32 v[8:9], v[8:9], v[148:149]
	s_wait_loadcnt_dscnt 0xb00
	v_mul_f64_e32 v[148:149], v[108:109], v[122:123]
	v_mul_f64_e32 v[122:123], v[110:111], v[122:123]
	v_fmac_f64_e32 v[150:151], v[94:95], v[116:117]
	v_fma_f64 v[154:155], v[92:93], v[116:117], -v[118:119]
	v_add_f64_e32 v[4:5], v[4:5], v[112:113]
	v_add_f64_e32 v[8:9], v[8:9], v[152:153]
	ds_load_b128 v[92:95], v2 offset:864
	ds_load_b128 v[112:115], v2 offset:880
	scratch_load_b128 v[116:119], off, off offset:432
	v_fmac_f64_e32 v[148:149], v[110:111], v[120:121]
	v_fma_f64 v[120:121], v[108:109], v[120:121], -v[122:123]
	scratch_load_b128 v[108:111], off, off offset:448
	s_wait_loadcnt_dscnt 0xc01
	v_mul_f64_e32 v[152:153], v[92:93], v[130:131]
	v_mul_f64_e32 v[130:131], v[94:95], v[130:131]
	v_add_f64_e32 v[4:5], v[4:5], v[154:155]
	v_add_f64_e32 v[8:9], v[8:9], v[150:151]
	s_wait_loadcnt_dscnt 0xa00
	v_mul_f64_e32 v[150:151], v[112:113], v[12:13]
	v_mul_f64_e32 v[12:13], v[114:115], v[12:13]
	v_fmac_f64_e32 v[152:153], v[94:95], v[128:129]
	v_fma_f64 v[154:155], v[92:93], v[128:129], -v[130:131]
	v_add_f64_e32 v[4:5], v[4:5], v[120:121]
	v_add_f64_e32 v[8:9], v[8:9], v[148:149]
	ds_load_b128 v[92:95], v2 offset:896
	ds_load_b128 v[120:123], v2 offset:912
	scratch_load_b128 v[128:131], off, off offset:464
	v_fmac_f64_e32 v[150:151], v[114:115], v[10:11]
	v_fma_f64 v[12:13], v[112:113], v[10:11], -v[12:13]
	s_wait_loadcnt_dscnt 0xa01
	v_mul_f64_e32 v[148:149], v[92:93], v[146:147]
	v_mul_f64_e32 v[146:147], v[94:95], v[146:147]
	v_add_f64_e32 v[4:5], v[4:5], v[154:155]
	v_add_f64_e32 v[112:113], v[8:9], v[152:153]
	scratch_load_b128 v[8:11], off, off offset:480
	s_wait_loadcnt_dscnt 0xa00
	v_mul_f64_e32 v[152:153], v[120:121], v[90:91]
	v_mul_f64_e32 v[154:155], v[122:123], v[90:91]
	v_fmac_f64_e32 v[148:149], v[94:95], v[144:145]
	v_fma_f64 v[94:95], v[92:93], v[144:145], -v[146:147]
	v_add_f64_e32 v[4:5], v[4:5], v[12:13]
	v_add_f64_e32 v[12:13], v[112:113], v[150:151]
	ds_load_b128 v[90:93], v2 offset:928
	ds_load_b128 v[112:115], v2 offset:944
	scratch_load_b128 v[144:147], off, off offset:496
	v_fmac_f64_e32 v[152:153], v[122:123], v[88:89]
	v_fma_f64 v[88:89], v[120:121], v[88:89], -v[154:155]
	scratch_load_b128 v[120:123], off, off offset:512
	s_wait_loadcnt_dscnt 0xb01
	v_mul_f64_e32 v[150:151], v[90:91], v[134:135]
	v_mul_f64_e32 v[134:135], v[92:93], v[134:135]
	v_add_f64_e32 v[4:5], v[4:5], v[94:95]
	v_add_f64_e32 v[12:13], v[12:13], v[148:149]
	s_wait_loadcnt_dscnt 0xa00
	v_mul_f64_e32 v[148:149], v[112:113], v[98:99]
	v_mul_f64_e32 v[98:99], v[114:115], v[98:99]
	v_fmac_f64_e32 v[150:151], v[92:93], v[132:133]
	v_fma_f64 v[154:155], v[90:91], v[132:133], -v[134:135]
	v_add_f64_e32 v[4:5], v[4:5], v[88:89]
	v_add_f64_e32 v[12:13], v[12:13], v[152:153]
	ds_load_b128 v[88:91], v2 offset:960
	ds_load_b128 v[92:95], v2 offset:976
	scratch_load_b128 v[132:135], off, off offset:528
	v_fmac_f64_e32 v[148:149], v[114:115], v[96:97]
	v_fma_f64 v[112:113], v[112:113], v[96:97], -v[98:99]
	scratch_load_b128 v[96:99], off, off offset:544
	s_wait_loadcnt_dscnt 0xb01
	v_mul_f64_e32 v[152:153], v[88:89], v[142:143]
	v_mul_f64_e32 v[142:143], v[90:91], v[142:143]
	v_add_f64_e32 v[4:5], v[4:5], v[154:155]
	v_add_f64_e32 v[12:13], v[12:13], v[150:151]
	s_wait_loadcnt_dscnt 0xa00
	v_mul_f64_e32 v[150:151], v[92:93], v[106:107]
	v_mul_f64_e32 v[106:107], v[94:95], v[106:107]
	v_fmac_f64_e32 v[152:153], v[90:91], v[140:141]
	v_fma_f64 v[154:155], v[88:89], v[140:141], -v[142:143]
	v_add_f64_e32 v[4:5], v[4:5], v[112:113]
	v_add_f64_e32 v[12:13], v[12:13], v[148:149]
	ds_load_b128 v[88:91], v2 offset:992
	ds_load_b128 v[112:115], v2 offset:1008
	scratch_load_b128 v[140:143], off, off offset:560
	v_fmac_f64_e32 v[150:151], v[94:95], v[104:105]
	v_fma_f64 v[104:105], v[92:93], v[104:105], -v[106:107]
	scratch_load_b128 v[92:95], off, off offset:576
	s_wait_loadcnt_dscnt 0xb01
	v_mul_f64_e32 v[148:149], v[88:89], v[126:127]
	v_mul_f64_e32 v[126:127], v[90:91], v[126:127]
	s_wait_loadcnt_dscnt 0xa00
	v_mul_f64_e32 v[106:107], v[112:113], v[102:103]
	v_add_f64_e32 v[4:5], v[4:5], v[154:155]
	v_add_f64_e32 v[12:13], v[12:13], v[152:153]
	v_mul_f64_e32 v[152:153], v[114:115], v[102:103]
	v_fmac_f64_e32 v[148:149], v[90:91], v[124:125]
	v_fma_f64 v[124:125], v[88:89], v[124:125], -v[126:127]
	v_fmac_f64_e32 v[106:107], v[114:115], v[100:101]
	v_add_f64_e32 v[4:5], v[4:5], v[104:105]
	v_add_f64_e32 v[12:13], v[12:13], v[150:151]
	ds_load_b128 v[88:91], v2 offset:1024
	ds_load_b128 v[102:105], v2 offset:1040
	v_fma_f64 v[100:101], v[112:113], v[100:101], -v[152:153]
	s_wait_loadcnt_dscnt 0x901
	v_mul_f64_e32 v[126:127], v[88:89], v[118:119]
	v_mul_f64_e32 v[118:119], v[90:91], v[118:119]
	s_wait_loadcnt_dscnt 0x800
	v_mul_f64_e32 v[114:115], v[102:103], v[110:111]
	v_add_f64_e32 v[4:5], v[4:5], v[124:125]
	v_add_f64_e32 v[12:13], v[12:13], v[148:149]
	v_mul_f64_e32 v[124:125], v[104:105], v[110:111]
	v_fmac_f64_e32 v[126:127], v[90:91], v[116:117]
	v_fma_f64 v[116:117], v[88:89], v[116:117], -v[118:119]
	ds_load_b128 v[88:91], v2 offset:1056
	ds_load_b128 v[110:113], v2 offset:1072
	v_fmac_f64_e32 v[114:115], v[104:105], v[108:109]
	v_add_f64_e32 v[4:5], v[4:5], v[100:101]
	v_add_f64_e32 v[12:13], v[12:13], v[106:107]
	v_fma_f64 v[102:103], v[102:103], v[108:109], -v[124:125]
	s_wait_loadcnt_dscnt 0x701
	v_mul_f64_e32 v[100:101], v[88:89], v[130:131]
	v_mul_f64_e32 v[106:107], v[90:91], v[130:131]
	v_add_f64_e32 v[4:5], v[4:5], v[116:117]
	v_add_f64_e32 v[12:13], v[12:13], v[126:127]
	s_wait_loadcnt_dscnt 0x600
	v_mul_f64_e32 v[104:105], v[110:111], v[10:11]
	v_mul_f64_e32 v[108:109], v[112:113], v[10:11]
	v_fmac_f64_e32 v[100:101], v[90:91], v[128:129]
	v_fma_f64 v[106:107], v[88:89], v[128:129], -v[106:107]
	v_add_f64_e32 v[4:5], v[4:5], v[102:103]
	v_add_f64_e32 v[102:103], v[12:13], v[114:115]
	ds_load_b128 v[10:13], v2 offset:1088
	ds_load_b128 v[88:91], v2 offset:1104
	v_fmac_f64_e32 v[104:105], v[112:113], v[8:9]
	v_fma_f64 v[8:9], v[110:111], v[8:9], -v[108:109]
	s_wait_loadcnt_dscnt 0x501
	v_mul_f64_e32 v[114:115], v[10:11], v[146:147]
	v_mul_f64_e32 v[116:117], v[12:13], v[146:147]
	s_wait_loadcnt_dscnt 0x400
	v_mul_f64_e32 v[108:109], v[90:91], v[122:123]
	v_add_f64_e32 v[4:5], v[4:5], v[106:107]
	v_add_f64_e32 v[100:101], v[102:103], v[100:101]
	v_mul_f64_e32 v[106:107], v[88:89], v[122:123]
	v_fmac_f64_e32 v[114:115], v[12:13], v[144:145]
	v_fma_f64 v[12:13], v[10:11], v[144:145], -v[116:117]
	v_fma_f64 v[88:89], v[88:89], v[120:121], -v[108:109]
	v_add_f64_e32 v[4:5], v[4:5], v[8:9]
	v_add_f64_e32 v[104:105], v[100:101], v[104:105]
	ds_load_b128 v[8:11], v2 offset:1120
	ds_load_b128 v[100:103], v2 offset:1136
	v_fmac_f64_e32 v[106:107], v[90:91], v[120:121]
	s_wait_loadcnt_dscnt 0x301
	v_mul_f64_e32 v[110:111], v[8:9], v[134:135]
	v_mul_f64_e32 v[112:113], v[10:11], v[134:135]
	s_wait_loadcnt_dscnt 0x200
	v_mul_f64_e32 v[90:91], v[100:101], v[98:99]
	v_mul_f64_e32 v[98:99], v[102:103], v[98:99]
	v_add_f64_e32 v[4:5], v[4:5], v[12:13]
	v_add_f64_e32 v[12:13], v[104:105], v[114:115]
	v_fmac_f64_e32 v[110:111], v[10:11], v[132:133]
	v_fma_f64 v[104:105], v[8:9], v[132:133], -v[112:113]
	v_fmac_f64_e32 v[90:91], v[102:103], v[96:97]
	v_fma_f64 v[96:97], v[100:101], v[96:97], -v[98:99]
	v_add_f64_e32 v[88:89], v[4:5], v[88:89]
	v_add_f64_e32 v[12:13], v[12:13], v[106:107]
	ds_load_b128 v[8:11], v2 offset:1152
	ds_load_b128 v[2:5], v2 offset:1168
	s_wait_loadcnt_dscnt 0x101
	v_mul_f64_e32 v[106:107], v[8:9], v[142:143]
	v_mul_f64_e32 v[108:109], v[10:11], v[142:143]
	s_wait_loadcnt_dscnt 0x0
	v_mul_f64_e32 v[98:99], v[2:3], v[94:95]
	v_mul_f64_e32 v[94:95], v[4:5], v[94:95]
	v_add_f64_e32 v[88:89], v[88:89], v[104:105]
	v_add_f64_e32 v[12:13], v[12:13], v[110:111]
	v_fmac_f64_e32 v[106:107], v[10:11], v[140:141]
	v_fma_f64 v[8:9], v[8:9], v[140:141], -v[108:109]
	v_fmac_f64_e32 v[98:99], v[4:5], v[92:93]
	v_fma_f64 v[2:3], v[2:3], v[92:93], -v[94:95]
	v_add_f64_e32 v[10:11], v[88:89], v[96:97]
	v_add_f64_e32 v[12:13], v[12:13], v[90:91]
	s_delay_alu instid0(VALU_DEP_2) | instskip(NEXT) | instid1(VALU_DEP_2)
	v_add_f64_e32 v[4:5], v[10:11], v[8:9]
	v_add_f64_e32 v[8:9], v[12:13], v[106:107]
	s_delay_alu instid0(VALU_DEP_2) | instskip(NEXT) | instid1(VALU_DEP_2)
	;; [unrolled: 3-line block ×3, first 2 shown]
	v_add_f64_e64 v[2:3], v[136:137], -v[2:3]
	v_add_f64_e64 v[4:5], v[138:139], -v[4:5]
	scratch_store_b128 off, v[2:5], off offset:96
	s_wait_xcnt 0x0
	v_cmpx_lt_u32_e32 5, v1
	s_cbranch_execz .LBB100_225
; %bb.224:
	scratch_load_b128 v[2:5], off, s48
	v_mov_b32_e32 v8, 0
	s_delay_alu instid0(VALU_DEP_1)
	v_dual_mov_b32 v9, v8 :: v_dual_mov_b32 v10, v8
	v_mov_b32_e32 v11, v8
	scratch_store_b128 off, v[8:11], off offset:80
	s_wait_loadcnt 0x0
	ds_store_b128 v6, v[2:5]
.LBB100_225:
	s_wait_xcnt 0x0
	s_or_b32 exec_lo, exec_lo, s2
	s_wait_storecnt_dscnt 0x0
	s_barrier_signal -1
	s_barrier_wait -1
	s_clause 0x9
	scratch_load_b128 v[8:11], off, off offset:96
	scratch_load_b128 v[88:91], off, off offset:112
	;; [unrolled: 1-line block ×10, first 2 shown]
	v_mov_b32_e32 v2, 0
	s_mov_b32 s2, exec_lo
	ds_load_b128 v[124:127], v2 offset:688
	s_clause 0x2
	scratch_load_b128 v[128:131], off, off offset:256
	scratch_load_b128 v[132:135], off, off offset:80
	;; [unrolled: 1-line block ×3, first 2 shown]
	s_wait_loadcnt_dscnt 0xc00
	v_mul_f64_e32 v[4:5], v[126:127], v[10:11]
	v_mul_f64_e32 v[148:149], v[124:125], v[10:11]
	ds_load_b128 v[136:139], v2 offset:704
	scratch_load_b128 v[10:13], off, off offset:272
	ds_load_b128 v[144:147], v2 offset:736
	v_fma_f64 v[4:5], v[124:125], v[8:9], -v[4:5]
	v_fmac_f64_e32 v[148:149], v[126:127], v[8:9]
	ds_load_b128 v[124:127], v2 offset:720
	s_wait_loadcnt_dscnt 0xc02
	v_mul_f64_e32 v[150:151], v[136:137], v[90:91]
	v_mul_f64_e32 v[90:91], v[138:139], v[90:91]
	s_wait_loadcnt_dscnt 0xb00
	v_mul_f64_e32 v[8:9], v[124:125], v[94:95]
	v_mul_f64_e32 v[94:95], v[126:127], v[94:95]
	v_add_f64_e32 v[4:5], 0, v[4:5]
	v_fmac_f64_e32 v[150:151], v[138:139], v[88:89]
	v_fma_f64 v[136:137], v[136:137], v[88:89], -v[90:91]
	v_add_f64_e32 v[138:139], 0, v[148:149]
	scratch_load_b128 v[88:91], off, off offset:304
	v_fmac_f64_e32 v[8:9], v[126:127], v[92:93]
	v_fma_f64 v[152:153], v[124:125], v[92:93], -v[94:95]
	ds_load_b128 v[92:95], v2 offset:752
	s_wait_loadcnt 0xb
	v_mul_f64_e32 v[148:149], v[144:145], v[98:99]
	v_mul_f64_e32 v[98:99], v[146:147], v[98:99]
	scratch_load_b128 v[124:127], off, off offset:320
	v_add_f64_e32 v[4:5], v[4:5], v[136:137]
	v_add_f64_e32 v[150:151], v[138:139], v[150:151]
	ds_load_b128 v[136:139], v2 offset:768
	s_wait_loadcnt_dscnt 0xb01
	v_mul_f64_e32 v[154:155], v[92:93], v[102:103]
	v_mul_f64_e32 v[102:103], v[94:95], v[102:103]
	v_fmac_f64_e32 v[148:149], v[146:147], v[96:97]
	v_fma_f64 v[144:145], v[144:145], v[96:97], -v[98:99]
	scratch_load_b128 v[96:99], off, off offset:336
	v_add_f64_e32 v[4:5], v[4:5], v[152:153]
	v_add_f64_e32 v[8:9], v[150:151], v[8:9]
	v_fmac_f64_e32 v[154:155], v[94:95], v[100:101]
	v_fma_f64 v[152:153], v[92:93], v[100:101], -v[102:103]
	ds_load_b128 v[92:95], v2 offset:784
	s_wait_loadcnt_dscnt 0xb01
	v_mul_f64_e32 v[150:151], v[136:137], v[106:107]
	v_mul_f64_e32 v[106:107], v[138:139], v[106:107]
	scratch_load_b128 v[100:103], off, off offset:352
	v_add_f64_e32 v[4:5], v[4:5], v[144:145]
	v_add_f64_e32 v[8:9], v[8:9], v[148:149]
	s_wait_loadcnt_dscnt 0xb00
	v_mul_f64_e32 v[148:149], v[92:93], v[110:111]
	v_mul_f64_e32 v[110:111], v[94:95], v[110:111]
	ds_load_b128 v[144:147], v2 offset:800
	v_fmac_f64_e32 v[150:151], v[138:139], v[104:105]
	v_fma_f64 v[136:137], v[136:137], v[104:105], -v[106:107]
	scratch_load_b128 v[104:107], off, off offset:368
	v_add_f64_e32 v[4:5], v[4:5], v[152:153]
	v_add_f64_e32 v[8:9], v[8:9], v[154:155]
	v_fmac_f64_e32 v[148:149], v[94:95], v[108:109]
	v_fma_f64 v[154:155], v[92:93], v[108:109], -v[110:111]
	ds_load_b128 v[92:95], v2 offset:816
	s_wait_loadcnt_dscnt 0xb01
	v_mul_f64_e32 v[152:153], v[144:145], v[114:115]
	v_mul_f64_e32 v[114:115], v[146:147], v[114:115]
	scratch_load_b128 v[108:111], off, off offset:384
	v_add_f64_e32 v[4:5], v[4:5], v[136:137]
	v_add_f64_e32 v[8:9], v[8:9], v[150:151]
	s_wait_loadcnt_dscnt 0xb00
	v_mul_f64_e32 v[150:151], v[92:93], v[118:119]
	v_mul_f64_e32 v[118:119], v[94:95], v[118:119]
	ds_load_b128 v[136:139], v2 offset:832
	;; [unrolled: 18-line block ×3, first 2 shown]
	v_fmac_f64_e32 v[148:149], v[138:139], v[120:121]
	v_fma_f64 v[136:137], v[136:137], v[120:121], -v[122:123]
	scratch_load_b128 v[120:123], off, off offset:432
	v_add_f64_e32 v[4:5], v[4:5], v[154:155]
	v_add_f64_e32 v[8:9], v[8:9], v[150:151]
	v_fmac_f64_e32 v[152:153], v[94:95], v[128:129]
	v_fma_f64 v[154:155], v[92:93], v[128:129], -v[130:131]
	ds_load_b128 v[92:95], v2 offset:880
	s_wait_loadcnt_dscnt 0x901
	v_mul_f64_e32 v[150:151], v[144:145], v[12:13]
	v_mul_f64_e32 v[12:13], v[146:147], v[12:13]
	scratch_load_b128 v[128:131], off, off offset:448
	v_add_f64_e32 v[4:5], v[4:5], v[136:137]
	v_add_f64_e32 v[8:9], v[8:9], v[148:149]
	s_wait_dscnt 0x0
	v_mul_f64_e32 v[148:149], v[92:93], v[142:143]
	v_mul_f64_e32 v[142:143], v[94:95], v[142:143]
	ds_load_b128 v[136:139], v2 offset:896
	v_fmac_f64_e32 v[150:151], v[146:147], v[10:11]
	v_fma_f64 v[12:13], v[144:145], v[10:11], -v[12:13]
	v_add_f64_e32 v[4:5], v[4:5], v[154:155]
	v_add_f64_e32 v[144:145], v[8:9], v[152:153]
	scratch_load_b128 v[8:11], off, off offset:464
	v_fmac_f64_e32 v[148:149], v[94:95], v[140:141]
	v_fma_f64 v[94:95], v[92:93], v[140:141], -v[142:143]
	scratch_load_b128 v[140:143], off, off offset:480
	v_add_f64_e32 v[4:5], v[4:5], v[12:13]
	v_add_f64_e32 v[12:13], v[144:145], v[150:151]
	ds_load_b128 v[144:147], v2 offset:928
	s_wait_loadcnt_dscnt 0xb01
	v_mul_f64_e32 v[152:153], v[136:137], v[90:91]
	v_mul_f64_e32 v[154:155], v[138:139], v[90:91]
	ds_load_b128 v[90:93], v2 offset:912
	s_wait_loadcnt_dscnt 0xa00
	v_mul_f64_e32 v[150:151], v[90:91], v[126:127]
	v_mul_f64_e32 v[126:127], v[92:93], v[126:127]
	v_add_f64_e32 v[4:5], v[4:5], v[94:95]
	v_add_f64_e32 v[12:13], v[12:13], v[148:149]
	s_wait_loadcnt 0x9
	v_mul_f64_e32 v[148:149], v[144:145], v[98:99]
	v_fmac_f64_e32 v[152:153], v[138:139], v[88:89]
	v_fma_f64 v[88:89], v[136:137], v[88:89], -v[154:155]
	scratch_load_b128 v[136:139], off, off offset:496
	v_mul_f64_e32 v[98:99], v[146:147], v[98:99]
	v_fmac_f64_e32 v[150:151], v[92:93], v[124:125]
	v_fma_f64 v[154:155], v[90:91], v[124:125], -v[126:127]
	scratch_load_b128 v[92:95], off, off offset:512
	ds_load_b128 v[124:127], v2 offset:960
	v_fmac_f64_e32 v[148:149], v[146:147], v[96:97]
	v_add_f64_e32 v[12:13], v[12:13], v[152:153]
	v_add_f64_e32 v[4:5], v[4:5], v[88:89]
	ds_load_b128 v[88:91], v2 offset:944
	v_fma_f64 v[144:145], v[144:145], v[96:97], -v[98:99]
	scratch_load_b128 v[96:99], off, off offset:528
	s_wait_loadcnt_dscnt 0xb00
	v_mul_f64_e32 v[152:153], v[88:89], v[102:103]
	v_mul_f64_e32 v[102:103], v[90:91], v[102:103]
	v_add_f64_e32 v[12:13], v[12:13], v[150:151]
	v_add_f64_e32 v[4:5], v[4:5], v[154:155]
	s_wait_loadcnt 0xa
	v_mul_f64_e32 v[150:151], v[124:125], v[106:107]
	v_mul_f64_e32 v[106:107], v[126:127], v[106:107]
	v_fmac_f64_e32 v[152:153], v[90:91], v[100:101]
	v_fma_f64 v[154:155], v[88:89], v[100:101], -v[102:103]
	ds_load_b128 v[88:91], v2 offset:976
	scratch_load_b128 v[100:103], off, off offset:544
	v_add_f64_e32 v[12:13], v[12:13], v[148:149]
	v_add_f64_e32 v[4:5], v[4:5], v[144:145]
	ds_load_b128 v[144:147], v2 offset:992
	v_fmac_f64_e32 v[150:151], v[126:127], v[104:105]
	v_fma_f64 v[124:125], v[124:125], v[104:105], -v[106:107]
	scratch_load_b128 v[104:107], off, off offset:560
	s_wait_loadcnt_dscnt 0xb01
	v_mul_f64_e32 v[148:149], v[88:89], v[110:111]
	v_mul_f64_e32 v[110:111], v[90:91], v[110:111]
	v_add_f64_e32 v[12:13], v[12:13], v[152:153]
	v_add_f64_e32 v[4:5], v[4:5], v[154:155]
	s_wait_loadcnt_dscnt 0xa00
	v_mul_f64_e32 v[152:153], v[144:145], v[114:115]
	v_mul_f64_e32 v[114:115], v[146:147], v[114:115]
	v_fmac_f64_e32 v[148:149], v[90:91], v[108:109]
	v_fma_f64 v[154:155], v[88:89], v[108:109], -v[110:111]
	ds_load_b128 v[88:91], v2 offset:1008
	scratch_load_b128 v[108:111], off, off offset:576
	v_add_f64_e32 v[12:13], v[12:13], v[150:151]
	v_add_f64_e32 v[4:5], v[4:5], v[124:125]
	ds_load_b128 v[124:127], v2 offset:1024
	s_wait_loadcnt_dscnt 0xa01
	v_mul_f64_e32 v[150:151], v[88:89], v[118:119]
	v_mul_f64_e32 v[118:119], v[90:91], v[118:119]
	v_fmac_f64_e32 v[152:153], v[146:147], v[112:113]
	v_fma_f64 v[112:113], v[144:145], v[112:113], -v[114:115]
	s_wait_loadcnt_dscnt 0x900
	v_mul_f64_e32 v[144:145], v[124:125], v[122:123]
	v_mul_f64_e32 v[122:123], v[126:127], v[122:123]
	v_add_f64_e32 v[12:13], v[12:13], v[148:149]
	v_add_f64_e32 v[4:5], v[4:5], v[154:155]
	v_fmac_f64_e32 v[150:151], v[90:91], v[116:117]
	v_fma_f64 v[116:117], v[88:89], v[116:117], -v[118:119]
	v_fmac_f64_e32 v[144:145], v[126:127], v[120:121]
	v_fma_f64 v[120:121], v[124:125], v[120:121], -v[122:123]
	v_add_f64_e32 v[12:13], v[12:13], v[152:153]
	v_add_f64_e32 v[4:5], v[4:5], v[112:113]
	ds_load_b128 v[88:91], v2 offset:1040
	ds_load_b128 v[112:115], v2 offset:1056
	s_wait_loadcnt_dscnt 0x801
	v_mul_f64_e32 v[118:119], v[88:89], v[130:131]
	v_mul_f64_e32 v[130:131], v[90:91], v[130:131]
	s_wait_loadcnt_dscnt 0x700
	v_mul_f64_e32 v[122:123], v[114:115], v[10:11]
	v_add_f64_e32 v[12:13], v[12:13], v[150:151]
	v_add_f64_e32 v[4:5], v[4:5], v[116:117]
	v_mul_f64_e32 v[116:117], v[112:113], v[10:11]
	v_fmac_f64_e32 v[118:119], v[90:91], v[128:129]
	v_fma_f64 v[124:125], v[88:89], v[128:129], -v[130:131]
	s_delay_alu instid0(VALU_DEP_4)
	v_add_f64_e32 v[4:5], v[4:5], v[120:121]
	v_add_f64_e32 v[120:121], v[12:13], v[144:145]
	ds_load_b128 v[10:13], v2 offset:1072
	ds_load_b128 v[88:91], v2 offset:1088
	v_fmac_f64_e32 v[116:117], v[114:115], v[8:9]
	v_fma_f64 v[8:9], v[112:113], v[8:9], -v[122:123]
	s_wait_loadcnt_dscnt 0x601
	v_mul_f64_e32 v[126:127], v[10:11], v[142:143]
	v_mul_f64_e32 v[128:129], v[12:13], v[142:143]
	v_add_f64_e32 v[4:5], v[4:5], v[124:125]
	v_add_f64_e32 v[112:113], v[120:121], v[118:119]
	s_wait_loadcnt_dscnt 0x500
	v_mul_f64_e32 v[118:119], v[88:89], v[138:139]
	v_mul_f64_e32 v[120:121], v[90:91], v[138:139]
	v_fmac_f64_e32 v[126:127], v[12:13], v[140:141]
	v_fma_f64 v[12:13], v[10:11], v[140:141], -v[128:129]
	v_add_f64_e32 v[4:5], v[4:5], v[8:9]
	v_add_f64_e32 v[116:117], v[112:113], v[116:117]
	ds_load_b128 v[8:11], v2 offset:1104
	ds_load_b128 v[112:115], v2 offset:1120
	v_fmac_f64_e32 v[118:119], v[90:91], v[136:137]
	v_fma_f64 v[88:89], v[88:89], v[136:137], -v[120:121]
	s_wait_loadcnt_dscnt 0x401
	v_mul_f64_e32 v[122:123], v[8:9], v[94:95]
	v_mul_f64_e32 v[94:95], v[10:11], v[94:95]
	v_add_f64_e32 v[4:5], v[4:5], v[12:13]
	v_add_f64_e32 v[12:13], v[116:117], v[126:127]
	s_wait_loadcnt_dscnt 0x300
	v_mul_f64_e32 v[116:117], v[112:113], v[98:99]
	v_mul_f64_e32 v[98:99], v[114:115], v[98:99]
	v_fmac_f64_e32 v[122:123], v[10:11], v[92:93]
	v_fma_f64 v[92:93], v[8:9], v[92:93], -v[94:95]
	v_add_f64_e32 v[4:5], v[4:5], v[88:89]
	v_add_f64_e32 v[12:13], v[12:13], v[118:119]
	ds_load_b128 v[8:11], v2 offset:1136
	ds_load_b128 v[88:91], v2 offset:1152
	v_fmac_f64_e32 v[116:117], v[114:115], v[96:97]
	v_fma_f64 v[96:97], v[112:113], v[96:97], -v[98:99]
	s_wait_loadcnt_dscnt 0x201
	v_mul_f64_e32 v[94:95], v[8:9], v[102:103]
	v_mul_f64_e32 v[102:103], v[10:11], v[102:103]
	s_wait_loadcnt_dscnt 0x100
	v_mul_f64_e32 v[98:99], v[90:91], v[106:107]
	v_add_f64_e32 v[4:5], v[4:5], v[92:93]
	v_add_f64_e32 v[12:13], v[12:13], v[122:123]
	v_mul_f64_e32 v[92:93], v[88:89], v[106:107]
	v_fmac_f64_e32 v[94:95], v[10:11], v[100:101]
	v_fma_f64 v[100:101], v[8:9], v[100:101], -v[102:103]
	ds_load_b128 v[8:11], v2 offset:1168
	v_fma_f64 v[88:89], v[88:89], v[104:105], -v[98:99]
	v_add_f64_e32 v[4:5], v[4:5], v[96:97]
	v_add_f64_e32 v[12:13], v[12:13], v[116:117]
	v_fmac_f64_e32 v[92:93], v[90:91], v[104:105]
	s_wait_loadcnt_dscnt 0x0
	v_mul_f64_e32 v[96:97], v[8:9], v[110:111]
	v_mul_f64_e32 v[102:103], v[10:11], v[110:111]
	v_add_f64_e32 v[4:5], v[4:5], v[100:101]
	v_add_f64_e32 v[12:13], v[12:13], v[94:95]
	s_delay_alu instid0(VALU_DEP_4) | instskip(NEXT) | instid1(VALU_DEP_4)
	v_fmac_f64_e32 v[96:97], v[10:11], v[108:109]
	v_fma_f64 v[8:9], v[8:9], v[108:109], -v[102:103]
	s_delay_alu instid0(VALU_DEP_4) | instskip(NEXT) | instid1(VALU_DEP_4)
	v_add_f64_e32 v[4:5], v[4:5], v[88:89]
	v_add_f64_e32 v[10:11], v[12:13], v[92:93]
	s_delay_alu instid0(VALU_DEP_2) | instskip(NEXT) | instid1(VALU_DEP_2)
	v_add_f64_e32 v[4:5], v[4:5], v[8:9]
	v_add_f64_e32 v[10:11], v[10:11], v[96:97]
	s_delay_alu instid0(VALU_DEP_2) | instskip(NEXT) | instid1(VALU_DEP_2)
	v_add_f64_e64 v[8:9], v[132:133], -v[4:5]
	v_add_f64_e64 v[10:11], v[134:135], -v[10:11]
	scratch_store_b128 off, v[8:11], off offset:80
	s_wait_xcnt 0x0
	v_cmpx_lt_u32_e32 4, v1
	s_cbranch_execz .LBB100_227
; %bb.226:
	scratch_load_b128 v[8:11], off, s12
	v_dual_mov_b32 v3, v2 :: v_dual_mov_b32 v4, v2
	v_mov_b32_e32 v5, v2
	scratch_store_b128 off, v[2:5], off offset:64
	s_wait_loadcnt 0x0
	ds_store_b128 v6, v[8:11]
.LBB100_227:
	s_wait_xcnt 0x0
	s_or_b32 exec_lo, exec_lo, s2
	s_wait_storecnt_dscnt 0x0
	s_barrier_signal -1
	s_barrier_wait -1
	s_clause 0x9
	scratch_load_b128 v[8:11], off, off offset:80
	scratch_load_b128 v[88:91], off, off offset:96
	;; [unrolled: 1-line block ×10, first 2 shown]
	ds_load_b128 v[124:127], v2 offset:672
	ds_load_b128 v[132:135], v2 offset:688
	s_clause 0x1
	scratch_load_b128 v[128:131], off, off offset:240
	scratch_load_b128 v[136:139], off, off offset:64
	s_mov_b32 s2, exec_lo
	s_wait_loadcnt_dscnt 0xb01
	v_mul_f64_e32 v[4:5], v[126:127], v[10:11]
	v_mul_f64_e32 v[148:149], v[124:125], v[10:11]
	scratch_load_b128 v[10:13], off, off offset:256
	s_wait_loadcnt_dscnt 0xb00
	v_mul_f64_e32 v[150:151], v[132:133], v[90:91]
	v_mul_f64_e32 v[90:91], v[134:135], v[90:91]
	v_fma_f64 v[4:5], v[124:125], v[8:9], -v[4:5]
	v_fmac_f64_e32 v[148:149], v[126:127], v[8:9]
	ds_load_b128 v[124:127], v2 offset:704
	ds_load_b128 v[140:143], v2 offset:720
	scratch_load_b128 v[144:147], off, off offset:272
	v_fmac_f64_e32 v[150:151], v[134:135], v[88:89]
	v_fma_f64 v[132:133], v[132:133], v[88:89], -v[90:91]
	scratch_load_b128 v[88:91], off, off offset:288
	s_wait_loadcnt_dscnt 0xc01
	v_mul_f64_e32 v[8:9], v[124:125], v[94:95]
	v_mul_f64_e32 v[94:95], v[126:127], v[94:95]
	v_add_f64_e32 v[4:5], 0, v[4:5]
	v_add_f64_e32 v[134:135], 0, v[148:149]
	s_wait_loadcnt_dscnt 0xb00
	v_mul_f64_e32 v[148:149], v[140:141], v[98:99]
	v_mul_f64_e32 v[98:99], v[142:143], v[98:99]
	v_fmac_f64_e32 v[8:9], v[126:127], v[92:93]
	v_fma_f64 v[152:153], v[124:125], v[92:93], -v[94:95]
	ds_load_b128 v[92:95], v2 offset:736
	ds_load_b128 v[124:127], v2 offset:752
	v_add_f64_e32 v[4:5], v[4:5], v[132:133]
	v_add_f64_e32 v[150:151], v[134:135], v[150:151]
	scratch_load_b128 v[132:135], off, off offset:304
	v_fmac_f64_e32 v[148:149], v[142:143], v[96:97]
	v_fma_f64 v[140:141], v[140:141], v[96:97], -v[98:99]
	scratch_load_b128 v[96:99], off, off offset:320
	s_wait_loadcnt_dscnt 0xc01
	v_mul_f64_e32 v[154:155], v[92:93], v[102:103]
	v_mul_f64_e32 v[102:103], v[94:95], v[102:103]
	v_add_f64_e32 v[4:5], v[4:5], v[152:153]
	v_add_f64_e32 v[8:9], v[150:151], v[8:9]
	s_wait_loadcnt_dscnt 0xb00
	v_mul_f64_e32 v[150:151], v[124:125], v[106:107]
	v_mul_f64_e32 v[106:107], v[126:127], v[106:107]
	v_fmac_f64_e32 v[154:155], v[94:95], v[100:101]
	v_fma_f64 v[152:153], v[92:93], v[100:101], -v[102:103]
	ds_load_b128 v[92:95], v2 offset:768
	ds_load_b128 v[100:103], v2 offset:784
	v_add_f64_e32 v[4:5], v[4:5], v[140:141]
	v_add_f64_e32 v[8:9], v[8:9], v[148:149]
	scratch_load_b128 v[140:143], off, off offset:336
	s_wait_loadcnt_dscnt 0xb01
	v_mul_f64_e32 v[148:149], v[92:93], v[110:111]
	v_mul_f64_e32 v[110:111], v[94:95], v[110:111]
	v_fmac_f64_e32 v[150:151], v[126:127], v[104:105]
	v_fma_f64 v[124:125], v[124:125], v[104:105], -v[106:107]
	scratch_load_b128 v[104:107], off, off offset:352
	v_add_f64_e32 v[4:5], v[4:5], v[152:153]
	v_add_f64_e32 v[8:9], v[8:9], v[154:155]
	s_wait_loadcnt_dscnt 0xb00
	v_mul_f64_e32 v[152:153], v[100:101], v[114:115]
	v_mul_f64_e32 v[114:115], v[102:103], v[114:115]
	v_fmac_f64_e32 v[148:149], v[94:95], v[108:109]
	v_fma_f64 v[154:155], v[92:93], v[108:109], -v[110:111]
	ds_load_b128 v[92:95], v2 offset:800
	ds_load_b128 v[108:111], v2 offset:816
	v_add_f64_e32 v[4:5], v[4:5], v[124:125]
	v_add_f64_e32 v[8:9], v[8:9], v[150:151]
	scratch_load_b128 v[124:127], off, off offset:368
	s_wait_loadcnt_dscnt 0xb01
	v_mul_f64_e32 v[150:151], v[92:93], v[118:119]
	v_mul_f64_e32 v[118:119], v[94:95], v[118:119]
	v_fmac_f64_e32 v[152:153], v[102:103], v[112:113]
	v_fma_f64 v[112:113], v[100:101], v[112:113], -v[114:115]
	scratch_load_b128 v[100:103], off, off offset:384
	v_add_f64_e32 v[4:5], v[4:5], v[154:155]
	v_add_f64_e32 v[8:9], v[8:9], v[148:149]
	s_wait_loadcnt_dscnt 0xb00
	v_mul_f64_e32 v[148:149], v[108:109], v[122:123]
	v_mul_f64_e32 v[122:123], v[110:111], v[122:123]
	v_fmac_f64_e32 v[150:151], v[94:95], v[116:117]
	v_fma_f64 v[154:155], v[92:93], v[116:117], -v[118:119]
	v_add_f64_e32 v[4:5], v[4:5], v[112:113]
	v_add_f64_e32 v[8:9], v[8:9], v[152:153]
	ds_load_b128 v[92:95], v2 offset:832
	ds_load_b128 v[112:115], v2 offset:848
	scratch_load_b128 v[116:119], off, off offset:400
	v_fmac_f64_e32 v[148:149], v[110:111], v[120:121]
	v_fma_f64 v[120:121], v[108:109], v[120:121], -v[122:123]
	scratch_load_b128 v[108:111], off, off offset:416
	s_wait_loadcnt_dscnt 0xc01
	v_mul_f64_e32 v[152:153], v[92:93], v[130:131]
	v_mul_f64_e32 v[130:131], v[94:95], v[130:131]
	v_add_f64_e32 v[4:5], v[4:5], v[154:155]
	v_add_f64_e32 v[8:9], v[8:9], v[150:151]
	s_wait_loadcnt_dscnt 0xa00
	v_mul_f64_e32 v[150:151], v[112:113], v[12:13]
	v_mul_f64_e32 v[12:13], v[114:115], v[12:13]
	v_fmac_f64_e32 v[152:153], v[94:95], v[128:129]
	v_fma_f64 v[154:155], v[92:93], v[128:129], -v[130:131]
	v_add_f64_e32 v[4:5], v[4:5], v[120:121]
	v_add_f64_e32 v[8:9], v[8:9], v[148:149]
	ds_load_b128 v[92:95], v2 offset:864
	ds_load_b128 v[120:123], v2 offset:880
	scratch_load_b128 v[128:131], off, off offset:432
	v_fmac_f64_e32 v[150:151], v[114:115], v[10:11]
	v_fma_f64 v[12:13], v[112:113], v[10:11], -v[12:13]
	s_wait_loadcnt_dscnt 0xa01
	v_mul_f64_e32 v[148:149], v[92:93], v[146:147]
	v_mul_f64_e32 v[146:147], v[94:95], v[146:147]
	v_add_f64_e32 v[4:5], v[4:5], v[154:155]
	v_add_f64_e32 v[112:113], v[8:9], v[152:153]
	scratch_load_b128 v[8:11], off, off offset:448
	s_wait_loadcnt_dscnt 0xa00
	v_mul_f64_e32 v[152:153], v[120:121], v[90:91]
	v_mul_f64_e32 v[154:155], v[122:123], v[90:91]
	v_fmac_f64_e32 v[148:149], v[94:95], v[144:145]
	v_fma_f64 v[94:95], v[92:93], v[144:145], -v[146:147]
	v_add_f64_e32 v[4:5], v[4:5], v[12:13]
	v_add_f64_e32 v[12:13], v[112:113], v[150:151]
	ds_load_b128 v[90:93], v2 offset:896
	ds_load_b128 v[112:115], v2 offset:912
	scratch_load_b128 v[144:147], off, off offset:464
	v_fmac_f64_e32 v[152:153], v[122:123], v[88:89]
	v_fma_f64 v[88:89], v[120:121], v[88:89], -v[154:155]
	scratch_load_b128 v[120:123], off, off offset:480
	s_wait_loadcnt_dscnt 0xb01
	v_mul_f64_e32 v[150:151], v[90:91], v[134:135]
	v_mul_f64_e32 v[134:135], v[92:93], v[134:135]
	v_add_f64_e32 v[4:5], v[4:5], v[94:95]
	v_add_f64_e32 v[12:13], v[12:13], v[148:149]
	s_wait_loadcnt_dscnt 0xa00
	v_mul_f64_e32 v[148:149], v[112:113], v[98:99]
	v_mul_f64_e32 v[98:99], v[114:115], v[98:99]
	v_fmac_f64_e32 v[150:151], v[92:93], v[132:133]
	v_fma_f64 v[154:155], v[90:91], v[132:133], -v[134:135]
	v_add_f64_e32 v[4:5], v[4:5], v[88:89]
	v_add_f64_e32 v[12:13], v[12:13], v[152:153]
	ds_load_b128 v[88:91], v2 offset:928
	ds_load_b128 v[92:95], v2 offset:944
	scratch_load_b128 v[132:135], off, off offset:496
	v_fmac_f64_e32 v[148:149], v[114:115], v[96:97]
	v_fma_f64 v[112:113], v[112:113], v[96:97], -v[98:99]
	scratch_load_b128 v[96:99], off, off offset:512
	s_wait_loadcnt_dscnt 0xb01
	v_mul_f64_e32 v[152:153], v[88:89], v[142:143]
	v_mul_f64_e32 v[142:143], v[90:91], v[142:143]
	v_add_f64_e32 v[4:5], v[4:5], v[154:155]
	v_add_f64_e32 v[12:13], v[12:13], v[150:151]
	s_wait_loadcnt_dscnt 0xa00
	v_mul_f64_e32 v[150:151], v[92:93], v[106:107]
	v_mul_f64_e32 v[106:107], v[94:95], v[106:107]
	v_fmac_f64_e32 v[152:153], v[90:91], v[140:141]
	v_fma_f64 v[154:155], v[88:89], v[140:141], -v[142:143]
	v_add_f64_e32 v[4:5], v[4:5], v[112:113]
	v_add_f64_e32 v[12:13], v[12:13], v[148:149]
	ds_load_b128 v[88:91], v2 offset:960
	ds_load_b128 v[112:115], v2 offset:976
	scratch_load_b128 v[140:143], off, off offset:528
	v_fmac_f64_e32 v[150:151], v[94:95], v[104:105]
	v_fma_f64 v[104:105], v[92:93], v[104:105], -v[106:107]
	scratch_load_b128 v[92:95], off, off offset:544
	s_wait_loadcnt_dscnt 0xb01
	v_mul_f64_e32 v[148:149], v[88:89], v[126:127]
	v_mul_f64_e32 v[126:127], v[90:91], v[126:127]
	s_wait_loadcnt_dscnt 0xa00
	v_mul_f64_e32 v[106:107], v[112:113], v[102:103]
	v_add_f64_e32 v[4:5], v[4:5], v[154:155]
	v_add_f64_e32 v[12:13], v[12:13], v[152:153]
	v_mul_f64_e32 v[152:153], v[114:115], v[102:103]
	v_fmac_f64_e32 v[148:149], v[90:91], v[124:125]
	v_fma_f64 v[154:155], v[88:89], v[124:125], -v[126:127]
	v_fmac_f64_e32 v[106:107], v[114:115], v[100:101]
	v_add_f64_e32 v[4:5], v[4:5], v[104:105]
	v_add_f64_e32 v[12:13], v[12:13], v[150:151]
	ds_load_b128 v[88:91], v2 offset:992
	ds_load_b128 v[102:105], v2 offset:1008
	scratch_load_b128 v[124:127], off, off offset:560
	v_fma_f64 v[100:101], v[112:113], v[100:101], -v[152:153]
	scratch_load_b128 v[112:115], off, off offset:576
	s_wait_loadcnt_dscnt 0xb01
	v_mul_f64_e32 v[150:151], v[88:89], v[118:119]
	v_mul_f64_e32 v[118:119], v[90:91], v[118:119]
	v_add_f64_e32 v[4:5], v[4:5], v[154:155]
	v_add_f64_e32 v[12:13], v[12:13], v[148:149]
	s_wait_loadcnt_dscnt 0xa00
	v_mul_f64_e32 v[148:149], v[102:103], v[110:111]
	v_mul_f64_e32 v[110:111], v[104:105], v[110:111]
	v_fmac_f64_e32 v[150:151], v[90:91], v[116:117]
	v_fma_f64 v[152:153], v[88:89], v[116:117], -v[118:119]
	ds_load_b128 v[88:91], v2 offset:1024
	ds_load_b128 v[116:119], v2 offset:1040
	v_add_f64_e32 v[4:5], v[4:5], v[100:101]
	v_add_f64_e32 v[12:13], v[12:13], v[106:107]
	v_fmac_f64_e32 v[148:149], v[104:105], v[108:109]
	v_fma_f64 v[102:103], v[102:103], v[108:109], -v[110:111]
	s_wait_loadcnt_dscnt 0x901
	v_mul_f64_e32 v[100:101], v[88:89], v[130:131]
	v_mul_f64_e32 v[106:107], v[90:91], v[130:131]
	v_add_f64_e32 v[4:5], v[4:5], v[152:153]
	v_add_f64_e32 v[12:13], v[12:13], v[150:151]
	s_wait_loadcnt_dscnt 0x800
	v_mul_f64_e32 v[104:105], v[116:117], v[10:11]
	v_mul_f64_e32 v[108:109], v[118:119], v[10:11]
	v_fmac_f64_e32 v[100:101], v[90:91], v[128:129]
	v_fma_f64 v[106:107], v[88:89], v[128:129], -v[106:107]
	v_add_f64_e32 v[4:5], v[4:5], v[102:103]
	v_add_f64_e32 v[102:103], v[12:13], v[148:149]
	ds_load_b128 v[10:13], v2 offset:1056
	ds_load_b128 v[88:91], v2 offset:1072
	v_fmac_f64_e32 v[104:105], v[118:119], v[8:9]
	v_fma_f64 v[8:9], v[116:117], v[8:9], -v[108:109]
	s_wait_loadcnt_dscnt 0x701
	v_mul_f64_e32 v[110:111], v[10:11], v[146:147]
	v_mul_f64_e32 v[128:129], v[12:13], v[146:147]
	s_wait_loadcnt_dscnt 0x600
	v_mul_f64_e32 v[108:109], v[90:91], v[122:123]
	v_add_f64_e32 v[4:5], v[4:5], v[106:107]
	v_add_f64_e32 v[100:101], v[102:103], v[100:101]
	v_mul_f64_e32 v[106:107], v[88:89], v[122:123]
	v_fmac_f64_e32 v[110:111], v[12:13], v[144:145]
	v_fma_f64 v[12:13], v[10:11], v[144:145], -v[128:129]
	v_fma_f64 v[88:89], v[88:89], v[120:121], -v[108:109]
	v_add_f64_e32 v[4:5], v[4:5], v[8:9]
	v_add_f64_e32 v[104:105], v[100:101], v[104:105]
	ds_load_b128 v[8:11], v2 offset:1088
	ds_load_b128 v[100:103], v2 offset:1104
	v_fmac_f64_e32 v[106:107], v[90:91], v[120:121]
	s_wait_loadcnt_dscnt 0x501
	v_mul_f64_e32 v[116:117], v[8:9], v[134:135]
	v_mul_f64_e32 v[118:119], v[10:11], v[134:135]
	v_add_f64_e32 v[4:5], v[4:5], v[12:13]
	v_add_f64_e32 v[12:13], v[104:105], v[110:111]
	s_wait_loadcnt_dscnt 0x400
	v_mul_f64_e32 v[104:105], v[100:101], v[98:99]
	v_mul_f64_e32 v[98:99], v[102:103], v[98:99]
	v_fmac_f64_e32 v[116:117], v[10:11], v[132:133]
	v_fma_f64 v[108:109], v[8:9], v[132:133], -v[118:119]
	v_add_f64_e32 v[4:5], v[4:5], v[88:89]
	v_add_f64_e32 v[12:13], v[12:13], v[106:107]
	ds_load_b128 v[8:11], v2 offset:1120
	ds_load_b128 v[88:91], v2 offset:1136
	v_fmac_f64_e32 v[104:105], v[102:103], v[96:97]
	v_fma_f64 v[96:97], v[100:101], v[96:97], -v[98:99]
	s_wait_loadcnt_dscnt 0x301
	v_mul_f64_e32 v[106:107], v[8:9], v[142:143]
	v_mul_f64_e32 v[110:111], v[10:11], v[142:143]
	s_wait_loadcnt_dscnt 0x200
	v_mul_f64_e32 v[98:99], v[88:89], v[94:95]
	v_mul_f64_e32 v[94:95], v[90:91], v[94:95]
	v_add_f64_e32 v[4:5], v[4:5], v[108:109]
	v_add_f64_e32 v[12:13], v[12:13], v[116:117]
	v_fmac_f64_e32 v[106:107], v[10:11], v[140:141]
	v_fma_f64 v[100:101], v[8:9], v[140:141], -v[110:111]
	v_fmac_f64_e32 v[98:99], v[90:91], v[92:93]
	v_fma_f64 v[88:89], v[88:89], v[92:93], -v[94:95]
	v_add_f64_e32 v[96:97], v[4:5], v[96:97]
	v_add_f64_e32 v[12:13], v[12:13], v[104:105]
	ds_load_b128 v[8:11], v2 offset:1152
	ds_load_b128 v[2:5], v2 offset:1168
	s_wait_loadcnt_dscnt 0x101
	v_mul_f64_e32 v[102:103], v[8:9], v[126:127]
	v_mul_f64_e32 v[104:105], v[10:11], v[126:127]
	s_wait_loadcnt_dscnt 0x0
	v_mul_f64_e32 v[92:93], v[2:3], v[114:115]
	v_mul_f64_e32 v[94:95], v[4:5], v[114:115]
	v_add_f64_e32 v[90:91], v[96:97], v[100:101]
	v_add_f64_e32 v[12:13], v[12:13], v[106:107]
	v_fmac_f64_e32 v[102:103], v[10:11], v[124:125]
	v_fma_f64 v[8:9], v[8:9], v[124:125], -v[104:105]
	v_fmac_f64_e32 v[92:93], v[4:5], v[112:113]
	v_fma_f64 v[2:3], v[2:3], v[112:113], -v[94:95]
	v_add_f64_e32 v[10:11], v[90:91], v[88:89]
	v_add_f64_e32 v[12:13], v[12:13], v[98:99]
	s_delay_alu instid0(VALU_DEP_2) | instskip(NEXT) | instid1(VALU_DEP_2)
	v_add_f64_e32 v[4:5], v[10:11], v[8:9]
	v_add_f64_e32 v[8:9], v[12:13], v[102:103]
	s_delay_alu instid0(VALU_DEP_2) | instskip(NEXT) | instid1(VALU_DEP_2)
	;; [unrolled: 3-line block ×3, first 2 shown]
	v_add_f64_e64 v[2:3], v[136:137], -v[2:3]
	v_add_f64_e64 v[4:5], v[138:139], -v[4:5]
	scratch_store_b128 off, v[2:5], off offset:64
	s_wait_xcnt 0x0
	v_cmpx_lt_u32_e32 3, v1
	s_cbranch_execz .LBB100_229
; %bb.228:
	scratch_load_b128 v[2:5], off, s14
	v_mov_b32_e32 v8, 0
	s_delay_alu instid0(VALU_DEP_1)
	v_dual_mov_b32 v9, v8 :: v_dual_mov_b32 v10, v8
	v_mov_b32_e32 v11, v8
	scratch_store_b128 off, v[8:11], off offset:48
	s_wait_loadcnt 0x0
	ds_store_b128 v6, v[2:5]
.LBB100_229:
	s_wait_xcnt 0x0
	s_or_b32 exec_lo, exec_lo, s2
	s_wait_storecnt_dscnt 0x0
	s_barrier_signal -1
	s_barrier_wait -1
	s_clause 0x9
	scratch_load_b128 v[8:11], off, off offset:64
	scratch_load_b128 v[88:91], off, off offset:80
	scratch_load_b128 v[92:95], off, off offset:96
	scratch_load_b128 v[96:99], off, off offset:112
	scratch_load_b128 v[100:103], off, off offset:128
	scratch_load_b128 v[104:107], off, off offset:144
	scratch_load_b128 v[108:111], off, off offset:160
	scratch_load_b128 v[112:115], off, off offset:176
	scratch_load_b128 v[116:119], off, off offset:192
	scratch_load_b128 v[120:123], off, off offset:208
	v_mov_b32_e32 v2, 0
	s_mov_b32 s2, exec_lo
	ds_load_b128 v[124:127], v2 offset:656
	s_clause 0x2
	scratch_load_b128 v[128:131], off, off offset:224
	scratch_load_b128 v[132:135], off, off offset:48
	;; [unrolled: 1-line block ×3, first 2 shown]
	s_wait_loadcnt_dscnt 0xc00
	v_mul_f64_e32 v[4:5], v[126:127], v[10:11]
	v_mul_f64_e32 v[148:149], v[124:125], v[10:11]
	ds_load_b128 v[136:139], v2 offset:672
	scratch_load_b128 v[10:13], off, off offset:240
	ds_load_b128 v[144:147], v2 offset:704
	v_fma_f64 v[4:5], v[124:125], v[8:9], -v[4:5]
	v_fmac_f64_e32 v[148:149], v[126:127], v[8:9]
	ds_load_b128 v[124:127], v2 offset:688
	s_wait_loadcnt_dscnt 0xc02
	v_mul_f64_e32 v[150:151], v[136:137], v[90:91]
	v_mul_f64_e32 v[90:91], v[138:139], v[90:91]
	s_wait_loadcnt_dscnt 0xb00
	v_mul_f64_e32 v[8:9], v[124:125], v[94:95]
	v_mul_f64_e32 v[94:95], v[126:127], v[94:95]
	v_add_f64_e32 v[4:5], 0, v[4:5]
	v_fmac_f64_e32 v[150:151], v[138:139], v[88:89]
	v_fma_f64 v[136:137], v[136:137], v[88:89], -v[90:91]
	v_add_f64_e32 v[138:139], 0, v[148:149]
	scratch_load_b128 v[88:91], off, off offset:272
	v_fmac_f64_e32 v[8:9], v[126:127], v[92:93]
	v_fma_f64 v[152:153], v[124:125], v[92:93], -v[94:95]
	ds_load_b128 v[92:95], v2 offset:720
	s_wait_loadcnt 0xb
	v_mul_f64_e32 v[148:149], v[144:145], v[98:99]
	v_mul_f64_e32 v[98:99], v[146:147], v[98:99]
	scratch_load_b128 v[124:127], off, off offset:288
	v_add_f64_e32 v[4:5], v[4:5], v[136:137]
	v_add_f64_e32 v[150:151], v[138:139], v[150:151]
	ds_load_b128 v[136:139], v2 offset:736
	s_wait_loadcnt_dscnt 0xb01
	v_mul_f64_e32 v[154:155], v[92:93], v[102:103]
	v_mul_f64_e32 v[102:103], v[94:95], v[102:103]
	v_fmac_f64_e32 v[148:149], v[146:147], v[96:97]
	v_fma_f64 v[144:145], v[144:145], v[96:97], -v[98:99]
	scratch_load_b128 v[96:99], off, off offset:304
	v_add_f64_e32 v[4:5], v[4:5], v[152:153]
	v_add_f64_e32 v[8:9], v[150:151], v[8:9]
	v_fmac_f64_e32 v[154:155], v[94:95], v[100:101]
	v_fma_f64 v[152:153], v[92:93], v[100:101], -v[102:103]
	ds_load_b128 v[92:95], v2 offset:752
	s_wait_loadcnt_dscnt 0xb01
	v_mul_f64_e32 v[150:151], v[136:137], v[106:107]
	v_mul_f64_e32 v[106:107], v[138:139], v[106:107]
	scratch_load_b128 v[100:103], off, off offset:320
	v_add_f64_e32 v[4:5], v[4:5], v[144:145]
	v_add_f64_e32 v[8:9], v[8:9], v[148:149]
	s_wait_loadcnt_dscnt 0xb00
	v_mul_f64_e32 v[148:149], v[92:93], v[110:111]
	v_mul_f64_e32 v[110:111], v[94:95], v[110:111]
	ds_load_b128 v[144:147], v2 offset:768
	v_fmac_f64_e32 v[150:151], v[138:139], v[104:105]
	v_fma_f64 v[136:137], v[136:137], v[104:105], -v[106:107]
	scratch_load_b128 v[104:107], off, off offset:336
	v_add_f64_e32 v[4:5], v[4:5], v[152:153]
	v_add_f64_e32 v[8:9], v[8:9], v[154:155]
	v_fmac_f64_e32 v[148:149], v[94:95], v[108:109]
	v_fma_f64 v[154:155], v[92:93], v[108:109], -v[110:111]
	ds_load_b128 v[92:95], v2 offset:784
	s_wait_loadcnt_dscnt 0xb01
	v_mul_f64_e32 v[152:153], v[144:145], v[114:115]
	v_mul_f64_e32 v[114:115], v[146:147], v[114:115]
	scratch_load_b128 v[108:111], off, off offset:352
	v_add_f64_e32 v[4:5], v[4:5], v[136:137]
	v_add_f64_e32 v[8:9], v[8:9], v[150:151]
	s_wait_loadcnt_dscnt 0xb00
	v_mul_f64_e32 v[150:151], v[92:93], v[118:119]
	v_mul_f64_e32 v[118:119], v[94:95], v[118:119]
	ds_load_b128 v[136:139], v2 offset:800
	;; [unrolled: 18-line block ×3, first 2 shown]
	v_fmac_f64_e32 v[148:149], v[138:139], v[120:121]
	v_fma_f64 v[136:137], v[136:137], v[120:121], -v[122:123]
	scratch_load_b128 v[120:123], off, off offset:400
	v_add_f64_e32 v[4:5], v[4:5], v[154:155]
	v_add_f64_e32 v[8:9], v[8:9], v[150:151]
	v_fmac_f64_e32 v[152:153], v[94:95], v[128:129]
	v_fma_f64 v[154:155], v[92:93], v[128:129], -v[130:131]
	ds_load_b128 v[92:95], v2 offset:848
	s_wait_loadcnt_dscnt 0x901
	v_mul_f64_e32 v[150:151], v[144:145], v[12:13]
	v_mul_f64_e32 v[12:13], v[146:147], v[12:13]
	scratch_load_b128 v[128:131], off, off offset:416
	v_add_f64_e32 v[4:5], v[4:5], v[136:137]
	v_add_f64_e32 v[8:9], v[8:9], v[148:149]
	s_wait_dscnt 0x0
	v_mul_f64_e32 v[148:149], v[92:93], v[142:143]
	v_mul_f64_e32 v[142:143], v[94:95], v[142:143]
	ds_load_b128 v[136:139], v2 offset:864
	v_fmac_f64_e32 v[150:151], v[146:147], v[10:11]
	v_fma_f64 v[12:13], v[144:145], v[10:11], -v[12:13]
	v_add_f64_e32 v[4:5], v[4:5], v[154:155]
	v_add_f64_e32 v[144:145], v[8:9], v[152:153]
	scratch_load_b128 v[8:11], off, off offset:432
	v_fmac_f64_e32 v[148:149], v[94:95], v[140:141]
	v_fma_f64 v[94:95], v[92:93], v[140:141], -v[142:143]
	scratch_load_b128 v[140:143], off, off offset:448
	v_add_f64_e32 v[4:5], v[4:5], v[12:13]
	v_add_f64_e32 v[12:13], v[144:145], v[150:151]
	ds_load_b128 v[144:147], v2 offset:896
	s_wait_loadcnt_dscnt 0xb01
	v_mul_f64_e32 v[152:153], v[136:137], v[90:91]
	v_mul_f64_e32 v[154:155], v[138:139], v[90:91]
	ds_load_b128 v[90:93], v2 offset:880
	s_wait_loadcnt_dscnt 0xa00
	v_mul_f64_e32 v[150:151], v[90:91], v[126:127]
	v_mul_f64_e32 v[126:127], v[92:93], v[126:127]
	v_add_f64_e32 v[4:5], v[4:5], v[94:95]
	v_add_f64_e32 v[12:13], v[12:13], v[148:149]
	s_wait_loadcnt 0x9
	v_mul_f64_e32 v[148:149], v[144:145], v[98:99]
	v_fmac_f64_e32 v[152:153], v[138:139], v[88:89]
	v_fma_f64 v[88:89], v[136:137], v[88:89], -v[154:155]
	scratch_load_b128 v[136:139], off, off offset:464
	v_mul_f64_e32 v[98:99], v[146:147], v[98:99]
	v_fmac_f64_e32 v[150:151], v[92:93], v[124:125]
	v_fma_f64 v[154:155], v[90:91], v[124:125], -v[126:127]
	scratch_load_b128 v[92:95], off, off offset:480
	ds_load_b128 v[124:127], v2 offset:928
	v_fmac_f64_e32 v[148:149], v[146:147], v[96:97]
	v_add_f64_e32 v[12:13], v[12:13], v[152:153]
	v_add_f64_e32 v[4:5], v[4:5], v[88:89]
	ds_load_b128 v[88:91], v2 offset:912
	v_fma_f64 v[144:145], v[144:145], v[96:97], -v[98:99]
	scratch_load_b128 v[96:99], off, off offset:496
	s_wait_loadcnt_dscnt 0xb00
	v_mul_f64_e32 v[152:153], v[88:89], v[102:103]
	v_mul_f64_e32 v[102:103], v[90:91], v[102:103]
	v_add_f64_e32 v[12:13], v[12:13], v[150:151]
	v_add_f64_e32 v[4:5], v[4:5], v[154:155]
	s_wait_loadcnt 0xa
	v_mul_f64_e32 v[150:151], v[124:125], v[106:107]
	v_mul_f64_e32 v[106:107], v[126:127], v[106:107]
	v_fmac_f64_e32 v[152:153], v[90:91], v[100:101]
	v_fma_f64 v[154:155], v[88:89], v[100:101], -v[102:103]
	ds_load_b128 v[88:91], v2 offset:944
	scratch_load_b128 v[100:103], off, off offset:512
	v_add_f64_e32 v[12:13], v[12:13], v[148:149]
	v_add_f64_e32 v[4:5], v[4:5], v[144:145]
	ds_load_b128 v[144:147], v2 offset:960
	v_fmac_f64_e32 v[150:151], v[126:127], v[104:105]
	v_fma_f64 v[124:125], v[124:125], v[104:105], -v[106:107]
	scratch_load_b128 v[104:107], off, off offset:528
	s_wait_loadcnt_dscnt 0xb01
	v_mul_f64_e32 v[148:149], v[88:89], v[110:111]
	v_mul_f64_e32 v[110:111], v[90:91], v[110:111]
	v_add_f64_e32 v[12:13], v[12:13], v[152:153]
	v_add_f64_e32 v[4:5], v[4:5], v[154:155]
	s_wait_loadcnt_dscnt 0xa00
	v_mul_f64_e32 v[152:153], v[144:145], v[114:115]
	v_mul_f64_e32 v[114:115], v[146:147], v[114:115]
	v_fmac_f64_e32 v[148:149], v[90:91], v[108:109]
	v_fma_f64 v[154:155], v[88:89], v[108:109], -v[110:111]
	ds_load_b128 v[88:91], v2 offset:976
	scratch_load_b128 v[108:111], off, off offset:544
	v_add_f64_e32 v[12:13], v[12:13], v[150:151]
	v_add_f64_e32 v[4:5], v[4:5], v[124:125]
	ds_load_b128 v[124:127], v2 offset:992
	s_wait_loadcnt_dscnt 0xa01
	v_mul_f64_e32 v[150:151], v[88:89], v[118:119]
	v_mul_f64_e32 v[118:119], v[90:91], v[118:119]
	v_fmac_f64_e32 v[152:153], v[146:147], v[112:113]
	v_fma_f64 v[144:145], v[144:145], v[112:113], -v[114:115]
	scratch_load_b128 v[112:115], off, off offset:560
	v_add_f64_e32 v[12:13], v[12:13], v[148:149]
	v_add_f64_e32 v[4:5], v[4:5], v[154:155]
	s_wait_loadcnt_dscnt 0xa00
	v_mul_f64_e32 v[148:149], v[124:125], v[122:123]
	v_mul_f64_e32 v[122:123], v[126:127], v[122:123]
	v_fmac_f64_e32 v[150:151], v[90:91], v[116:117]
	v_fma_f64 v[154:155], v[88:89], v[116:117], -v[118:119]
	ds_load_b128 v[88:91], v2 offset:1008
	scratch_load_b128 v[116:119], off, off offset:576
	v_add_f64_e32 v[12:13], v[12:13], v[152:153]
	v_add_f64_e32 v[4:5], v[4:5], v[144:145]
	ds_load_b128 v[144:147], v2 offset:1024
	s_wait_loadcnt_dscnt 0xa01
	v_mul_f64_e32 v[152:153], v[88:89], v[130:131]
	v_mul_f64_e32 v[130:131], v[90:91], v[130:131]
	v_fmac_f64_e32 v[148:149], v[126:127], v[120:121]
	v_fma_f64 v[120:121], v[124:125], v[120:121], -v[122:123]
	s_wait_loadcnt_dscnt 0x900
	v_mul_f64_e32 v[122:123], v[144:145], v[10:11]
	v_add_f64_e32 v[12:13], v[12:13], v[150:151]
	v_add_f64_e32 v[4:5], v[4:5], v[154:155]
	v_mul_f64_e32 v[124:125], v[146:147], v[10:11]
	v_fmac_f64_e32 v[152:153], v[90:91], v[128:129]
	v_fma_f64 v[126:127], v[88:89], v[128:129], -v[130:131]
	v_fmac_f64_e32 v[122:123], v[146:147], v[8:9]
	v_add_f64_e32 v[4:5], v[4:5], v[120:121]
	v_add_f64_e32 v[120:121], v[12:13], v[148:149]
	ds_load_b128 v[10:13], v2 offset:1040
	ds_load_b128 v[88:91], v2 offset:1056
	v_fma_f64 v[8:9], v[144:145], v[8:9], -v[124:125]
	s_wait_loadcnt_dscnt 0x801
	v_mul_f64_e32 v[128:129], v[10:11], v[142:143]
	v_mul_f64_e32 v[130:131], v[12:13], v[142:143]
	v_add_f64_e32 v[4:5], v[4:5], v[126:127]
	v_add_f64_e32 v[120:121], v[120:121], v[152:153]
	s_wait_loadcnt_dscnt 0x700
	v_mul_f64_e32 v[124:125], v[88:89], v[138:139]
	v_mul_f64_e32 v[126:127], v[90:91], v[138:139]
	v_fmac_f64_e32 v[128:129], v[12:13], v[140:141]
	v_fma_f64 v[12:13], v[10:11], v[140:141], -v[130:131]
	v_add_f64_e32 v[4:5], v[4:5], v[8:9]
	v_add_f64_e32 v[130:131], v[120:121], v[122:123]
	ds_load_b128 v[8:11], v2 offset:1072
	ds_load_b128 v[120:123], v2 offset:1088
	v_fmac_f64_e32 v[124:125], v[90:91], v[136:137]
	v_fma_f64 v[88:89], v[88:89], v[136:137], -v[126:127]
	s_wait_loadcnt_dscnt 0x601
	v_mul_f64_e32 v[138:139], v[8:9], v[94:95]
	v_mul_f64_e32 v[94:95], v[10:11], v[94:95]
	s_wait_loadcnt_dscnt 0x500
	v_mul_f64_e32 v[126:127], v[120:121], v[98:99]
	v_mul_f64_e32 v[98:99], v[122:123], v[98:99]
	v_add_f64_e32 v[4:5], v[4:5], v[12:13]
	v_add_f64_e32 v[12:13], v[130:131], v[128:129]
	v_fmac_f64_e32 v[138:139], v[10:11], v[92:93]
	v_fma_f64 v[92:93], v[8:9], v[92:93], -v[94:95]
	v_fmac_f64_e32 v[126:127], v[122:123], v[96:97]
	v_fma_f64 v[96:97], v[120:121], v[96:97], -v[98:99]
	v_add_f64_e32 v[4:5], v[4:5], v[88:89]
	v_add_f64_e32 v[12:13], v[12:13], v[124:125]
	ds_load_b128 v[8:11], v2 offset:1104
	ds_load_b128 v[88:91], v2 offset:1120
	s_wait_loadcnt_dscnt 0x401
	v_mul_f64_e32 v[124:125], v[8:9], v[102:103]
	v_mul_f64_e32 v[94:95], v[10:11], v[102:103]
	s_wait_loadcnt_dscnt 0x300
	v_mul_f64_e32 v[98:99], v[88:89], v[106:107]
	v_mul_f64_e32 v[102:103], v[90:91], v[106:107]
	v_add_f64_e32 v[4:5], v[4:5], v[92:93]
	v_add_f64_e32 v[12:13], v[12:13], v[138:139]
	v_fmac_f64_e32 v[124:125], v[10:11], v[100:101]
	v_fma_f64 v[100:101], v[8:9], v[100:101], -v[94:95]
	ds_load_b128 v[8:11], v2 offset:1136
	ds_load_b128 v[92:95], v2 offset:1152
	v_fmac_f64_e32 v[98:99], v[90:91], v[104:105]
	v_fma_f64 v[88:89], v[88:89], v[104:105], -v[102:103]
	v_add_f64_e32 v[4:5], v[4:5], v[96:97]
	v_add_f64_e32 v[12:13], v[12:13], v[126:127]
	s_wait_loadcnt_dscnt 0x201
	v_mul_f64_e32 v[96:97], v[8:9], v[110:111]
	v_mul_f64_e32 v[106:107], v[10:11], v[110:111]
	s_wait_loadcnt_dscnt 0x100
	v_mul_f64_e32 v[90:91], v[92:93], v[114:115]
	v_add_f64_e32 v[4:5], v[4:5], v[100:101]
	v_add_f64_e32 v[12:13], v[12:13], v[124:125]
	v_mul_f64_e32 v[100:101], v[94:95], v[114:115]
	v_fmac_f64_e32 v[96:97], v[10:11], v[108:109]
	v_fma_f64 v[102:103], v[8:9], v[108:109], -v[106:107]
	ds_load_b128 v[8:11], v2 offset:1168
	v_fmac_f64_e32 v[90:91], v[94:95], v[112:113]
	v_add_f64_e32 v[4:5], v[4:5], v[88:89]
	v_add_f64_e32 v[12:13], v[12:13], v[98:99]
	s_wait_loadcnt_dscnt 0x0
	v_mul_f64_e32 v[88:89], v[8:9], v[118:119]
	v_mul_f64_e32 v[98:99], v[10:11], v[118:119]
	v_fma_f64 v[92:93], v[92:93], v[112:113], -v[100:101]
	v_add_f64_e32 v[4:5], v[4:5], v[102:103]
	v_add_f64_e32 v[12:13], v[12:13], v[96:97]
	v_fmac_f64_e32 v[88:89], v[10:11], v[116:117]
	v_fma_f64 v[8:9], v[8:9], v[116:117], -v[98:99]
	s_delay_alu instid0(VALU_DEP_4) | instskip(NEXT) | instid1(VALU_DEP_4)
	v_add_f64_e32 v[4:5], v[4:5], v[92:93]
	v_add_f64_e32 v[10:11], v[12:13], v[90:91]
	s_delay_alu instid0(VALU_DEP_2) | instskip(NEXT) | instid1(VALU_DEP_2)
	v_add_f64_e32 v[4:5], v[4:5], v[8:9]
	v_add_f64_e32 v[10:11], v[10:11], v[88:89]
	s_delay_alu instid0(VALU_DEP_2) | instskip(NEXT) | instid1(VALU_DEP_2)
	v_add_f64_e64 v[8:9], v[132:133], -v[4:5]
	v_add_f64_e64 v[10:11], v[134:135], -v[10:11]
	scratch_store_b128 off, v[8:11], off offset:48
	s_wait_xcnt 0x0
	v_cmpx_lt_u32_e32 2, v1
	s_cbranch_execz .LBB100_231
; %bb.230:
	scratch_load_b128 v[8:11], off, s16
	v_dual_mov_b32 v3, v2 :: v_dual_mov_b32 v4, v2
	v_mov_b32_e32 v5, v2
	scratch_store_b128 off, v[2:5], off offset:32
	s_wait_loadcnt 0x0
	ds_store_b128 v6, v[8:11]
.LBB100_231:
	s_wait_xcnt 0x0
	s_or_b32 exec_lo, exec_lo, s2
	s_wait_storecnt_dscnt 0x0
	s_barrier_signal -1
	s_barrier_wait -1
	s_clause 0x9
	scratch_load_b128 v[8:11], off, off offset:48
	scratch_load_b128 v[88:91], off, off offset:64
	;; [unrolled: 1-line block ×10, first 2 shown]
	ds_load_b128 v[124:127], v2 offset:640
	ds_load_b128 v[132:135], v2 offset:656
	s_clause 0x1
	scratch_load_b128 v[128:131], off, off offset:208
	scratch_load_b128 v[136:139], off, off offset:32
	s_mov_b32 s2, exec_lo
	v_ashrrev_i32_e32 v21, 31, v20
	v_ashrrev_i32_e32 v25, 31, v24
	scratch_load_b128 v[140:143], off, off offset:240
	v_ashrrev_i32_e32 v29, 31, v28
	v_ashrrev_i32_e32 v33, 31, v32
	ds_load_b128 v[144:147], v2 offset:688
	v_ashrrev_i32_e32 v19, 31, v18
	v_dual_ashrrev_i32 v23, 31, v22 :: v_dual_ashrrev_i32 v37, 31, v36
	v_dual_ashrrev_i32 v41, 31, v40 :: v_dual_ashrrev_i32 v27, 31, v26
	;; [unrolled: 1-line block ×9, first 2 shown]
	v_ashrrev_i32_e32 v59, 31, v58
	v_ashrrev_i32_e32 v63, 31, v62
	v_dual_ashrrev_i32 v67, 31, v66 :: v_dual_ashrrev_i32 v73, 31, v72
	v_dual_ashrrev_i32 v77, 31, v76 :: v_dual_ashrrev_i32 v71, 31, v70
	;; [unrolled: 1-line block ×4, first 2 shown]
	v_ashrrev_i32_e32 v83, 31, v82
	v_ashrrev_i32_e32 v87, 31, v86
	s_wait_loadcnt_dscnt 0xc02
	v_mul_f64_e32 v[4:5], v[126:127], v[10:11]
	v_mul_f64_e32 v[148:149], v[124:125], v[10:11]
	scratch_load_b128 v[10:13], off, off offset:224
	s_wait_loadcnt_dscnt 0xc01
	v_mul_f64_e32 v[150:151], v[132:133], v[90:91]
	v_mul_f64_e32 v[90:91], v[134:135], v[90:91]
	v_fma_f64 v[4:5], v[124:125], v[8:9], -v[4:5]
	v_fmac_f64_e32 v[148:149], v[126:127], v[8:9]
	ds_load_b128 v[124:127], v2 offset:672
	v_fmac_f64_e32 v[150:151], v[134:135], v[88:89]
	v_fma_f64 v[132:133], v[132:133], v[88:89], -v[90:91]
	scratch_load_b128 v[88:91], off, off offset:256
	s_wait_loadcnt_dscnt 0xc00
	v_mul_f64_e32 v[8:9], v[124:125], v[94:95]
	v_mul_f64_e32 v[94:95], v[126:127], v[94:95]
	v_add_f64_e32 v[4:5], 0, v[4:5]
	v_add_f64_e32 v[134:135], 0, v[148:149]
	s_wait_loadcnt 0xb
	v_mul_f64_e32 v[148:149], v[144:145], v[98:99]
	v_mul_f64_e32 v[98:99], v[146:147], v[98:99]
	v_fmac_f64_e32 v[8:9], v[126:127], v[92:93]
	v_fma_f64 v[152:153], v[124:125], v[92:93], -v[94:95]
	ds_load_b128 v[92:95], v2 offset:704
	scratch_load_b128 v[124:127], off, off offset:272
	v_add_f64_e32 v[4:5], v[4:5], v[132:133]
	v_add_f64_e32 v[150:151], v[134:135], v[150:151]
	ds_load_b128 v[132:135], v2 offset:720
	v_fmac_f64_e32 v[148:149], v[146:147], v[96:97]
	v_fma_f64 v[144:145], v[144:145], v[96:97], -v[98:99]
	scratch_load_b128 v[96:99], off, off offset:288
	s_wait_loadcnt_dscnt 0xc01
	v_mul_f64_e32 v[154:155], v[92:93], v[102:103]
	v_mul_f64_e32 v[102:103], v[94:95], v[102:103]
	v_add_f64_e32 v[4:5], v[4:5], v[152:153]
	v_add_f64_e32 v[8:9], v[150:151], v[8:9]
	s_wait_loadcnt_dscnt 0xb00
	v_mul_f64_e32 v[150:151], v[132:133], v[106:107]
	v_mul_f64_e32 v[106:107], v[134:135], v[106:107]
	v_fmac_f64_e32 v[154:155], v[94:95], v[100:101]
	v_fma_f64 v[152:153], v[92:93], v[100:101], -v[102:103]
	ds_load_b128 v[92:95], v2 offset:736
	scratch_load_b128 v[100:103], off, off offset:304
	v_add_f64_e32 v[4:5], v[4:5], v[144:145]
	v_add_f64_e32 v[8:9], v[8:9], v[148:149]
	ds_load_b128 v[144:147], v2 offset:752
	s_wait_loadcnt_dscnt 0xb01
	v_mul_f64_e32 v[148:149], v[92:93], v[110:111]
	v_mul_f64_e32 v[110:111], v[94:95], v[110:111]
	v_fmac_f64_e32 v[150:151], v[134:135], v[104:105]
	v_fma_f64 v[132:133], v[132:133], v[104:105], -v[106:107]
	scratch_load_b128 v[104:107], off, off offset:320
	v_add_f64_e32 v[4:5], v[4:5], v[152:153]
	v_add_f64_e32 v[8:9], v[8:9], v[154:155]
	s_wait_loadcnt_dscnt 0xb00
	v_mul_f64_e32 v[152:153], v[144:145], v[114:115]
	v_mul_f64_e32 v[114:115], v[146:147], v[114:115]
	v_fmac_f64_e32 v[148:149], v[94:95], v[108:109]
	v_fma_f64 v[154:155], v[92:93], v[108:109], -v[110:111]
	ds_load_b128 v[92:95], v2 offset:768
	scratch_load_b128 v[108:111], off, off offset:336
	v_add_f64_e32 v[4:5], v[4:5], v[132:133]
	v_add_f64_e32 v[8:9], v[8:9], v[150:151]
	ds_load_b128 v[132:135], v2 offset:784
	s_wait_loadcnt_dscnt 0xb01
	v_mul_f64_e32 v[150:151], v[92:93], v[118:119]
	v_mul_f64_e32 v[118:119], v[94:95], v[118:119]
	v_fmac_f64_e32 v[152:153], v[146:147], v[112:113]
	v_fma_f64 v[144:145], v[144:145], v[112:113], -v[114:115]
	scratch_load_b128 v[112:115], off, off offset:352
	;; [unrolled: 18-line block ×3, first 2 shown]
	v_add_f64_e32 v[4:5], v[4:5], v[154:155]
	v_add_f64_e32 v[8:9], v[8:9], v[150:151]
	s_wait_loadcnt_dscnt 0x900
	v_mul_f64_e32 v[150:151], v[144:145], v[12:13]
	v_mul_f64_e32 v[12:13], v[146:147], v[12:13]
	v_fmac_f64_e32 v[152:153], v[94:95], v[128:129]
	v_fma_f64 v[154:155], v[92:93], v[128:129], -v[130:131]
	ds_load_b128 v[92:95], v2 offset:832
	scratch_load_b128 v[128:131], off, off offset:400
	v_add_f64_e32 v[4:5], v[4:5], v[132:133]
	v_add_f64_e32 v[8:9], v[8:9], v[148:149]
	ds_load_b128 v[132:135], v2 offset:848
	s_wait_dscnt 0x1
	v_mul_f64_e32 v[148:149], v[92:93], v[142:143]
	v_mul_f64_e32 v[142:143], v[94:95], v[142:143]
	v_fmac_f64_e32 v[150:151], v[146:147], v[10:11]
	v_fma_f64 v[12:13], v[144:145], v[10:11], -v[12:13]
	v_add_f64_e32 v[4:5], v[4:5], v[154:155]
	v_add_f64_e32 v[144:145], v[8:9], v[152:153]
	scratch_load_b128 v[8:11], off, off offset:416
	s_wait_loadcnt_dscnt 0xa00
	v_mul_f64_e32 v[152:153], v[132:133], v[90:91]
	v_mul_f64_e32 v[154:155], v[134:135], v[90:91]
	v_fmac_f64_e32 v[148:149], v[94:95], v[140:141]
	v_fma_f64 v[94:95], v[92:93], v[140:141], -v[142:143]
	ds_load_b128 v[90:93], v2 offset:864
	scratch_load_b128 v[140:143], off, off offset:432
	v_add_f64_e32 v[4:5], v[4:5], v[12:13]
	v_add_f64_e32 v[12:13], v[144:145], v[150:151]
	ds_load_b128 v[144:147], v2 offset:880
	s_wait_loadcnt_dscnt 0xa01
	v_mul_f64_e32 v[150:151], v[90:91], v[126:127]
	v_mul_f64_e32 v[126:127], v[92:93], v[126:127]
	v_fmac_f64_e32 v[152:153], v[134:135], v[88:89]
	v_fma_f64 v[88:89], v[132:133], v[88:89], -v[154:155]
	scratch_load_b128 v[132:135], off, off offset:448
	v_add_f64_e32 v[4:5], v[4:5], v[94:95]
	v_add_f64_e32 v[12:13], v[12:13], v[148:149]
	s_wait_loadcnt_dscnt 0xa00
	v_mul_f64_e32 v[148:149], v[144:145], v[98:99]
	v_mul_f64_e32 v[98:99], v[146:147], v[98:99]
	v_fmac_f64_e32 v[150:151], v[92:93], v[124:125]
	v_fma_f64 v[154:155], v[90:91], v[124:125], -v[126:127]
	scratch_load_b128 v[92:95], off, off offset:464
	ds_load_b128 v[124:127], v2 offset:912
	v_add_f64_e32 v[4:5], v[4:5], v[88:89]
	v_add_f64_e32 v[12:13], v[12:13], v[152:153]
	ds_load_b128 v[88:91], v2 offset:896
	v_fmac_f64_e32 v[148:149], v[146:147], v[96:97]
	v_fma_f64 v[144:145], v[144:145], v[96:97], -v[98:99]
	scratch_load_b128 v[96:99], off, off offset:480
	s_wait_loadcnt_dscnt 0xb00
	v_mul_f64_e32 v[152:153], v[88:89], v[102:103]
	v_mul_f64_e32 v[102:103], v[90:91], v[102:103]
	v_add_f64_e32 v[4:5], v[4:5], v[154:155]
	v_add_f64_e32 v[12:13], v[12:13], v[150:151]
	s_wait_loadcnt 0xa
	v_mul_f64_e32 v[150:151], v[124:125], v[106:107]
	v_mul_f64_e32 v[106:107], v[126:127], v[106:107]
	v_fmac_f64_e32 v[152:153], v[90:91], v[100:101]
	v_fma_f64 v[154:155], v[88:89], v[100:101], -v[102:103]
	ds_load_b128 v[88:91], v2 offset:928
	scratch_load_b128 v[100:103], off, off offset:496
	v_add_f64_e32 v[4:5], v[4:5], v[144:145]
	v_add_f64_e32 v[12:13], v[12:13], v[148:149]
	ds_load_b128 v[144:147], v2 offset:944
	v_fmac_f64_e32 v[150:151], v[126:127], v[104:105]
	v_fma_f64 v[124:125], v[124:125], v[104:105], -v[106:107]
	scratch_load_b128 v[104:107], off, off offset:512
	s_wait_loadcnt_dscnt 0xb01
	v_mul_f64_e32 v[148:149], v[88:89], v[110:111]
	v_mul_f64_e32 v[110:111], v[90:91], v[110:111]
	v_add_f64_e32 v[4:5], v[4:5], v[154:155]
	v_add_f64_e32 v[12:13], v[12:13], v[152:153]
	s_wait_loadcnt_dscnt 0xa00
	v_mul_f64_e32 v[152:153], v[144:145], v[114:115]
	v_mul_f64_e32 v[114:115], v[146:147], v[114:115]
	v_fmac_f64_e32 v[148:149], v[90:91], v[108:109]
	v_fma_f64 v[154:155], v[88:89], v[108:109], -v[110:111]
	ds_load_b128 v[88:91], v2 offset:960
	scratch_load_b128 v[108:111], off, off offset:528
	v_add_f64_e32 v[4:5], v[4:5], v[124:125]
	v_add_f64_e32 v[12:13], v[12:13], v[150:151]
	ds_load_b128 v[124:127], v2 offset:976
	s_wait_loadcnt_dscnt 0xa01
	v_mul_f64_e32 v[150:151], v[88:89], v[118:119]
	v_mul_f64_e32 v[118:119], v[90:91], v[118:119]
	v_fmac_f64_e32 v[152:153], v[146:147], v[112:113]
	v_fma_f64 v[144:145], v[144:145], v[112:113], -v[114:115]
	scratch_load_b128 v[112:115], off, off offset:544
	v_add_f64_e32 v[4:5], v[4:5], v[154:155]
	v_add_f64_e32 v[12:13], v[12:13], v[148:149]
	s_wait_loadcnt_dscnt 0xa00
	v_mul_f64_e32 v[148:149], v[124:125], v[122:123]
	v_mul_f64_e32 v[122:123], v[126:127], v[122:123]
	v_fmac_f64_e32 v[150:151], v[90:91], v[116:117]
	v_fma_f64 v[154:155], v[88:89], v[116:117], -v[118:119]
	ds_load_b128 v[88:91], v2 offset:992
	scratch_load_b128 v[116:119], off, off offset:560
	v_add_f64_e32 v[4:5], v[4:5], v[144:145]
	v_add_f64_e32 v[12:13], v[12:13], v[152:153]
	ds_load_b128 v[144:147], v2 offset:1008
	s_wait_loadcnt_dscnt 0xa01
	v_mul_f64_e32 v[152:153], v[88:89], v[130:131]
	v_mul_f64_e32 v[130:131], v[90:91], v[130:131]
	v_fmac_f64_e32 v[148:149], v[126:127], v[120:121]
	v_fma_f64 v[124:125], v[124:125], v[120:121], -v[122:123]
	scratch_load_b128 v[120:123], off, off offset:576
	v_add_f64_e32 v[4:5], v[4:5], v[154:155]
	v_add_f64_e32 v[12:13], v[12:13], v[150:151]
	s_wait_loadcnt_dscnt 0xa00
	v_mul_f64_e32 v[126:127], v[144:145], v[10:11]
	v_mul_f64_e32 v[150:151], v[146:147], v[10:11]
	v_fmac_f64_e32 v[152:153], v[90:91], v[128:129]
	v_fma_f64 v[128:129], v[88:89], v[128:129], -v[130:131]
	v_add_f64_e32 v[4:5], v[4:5], v[124:125]
	v_add_f64_e32 v[124:125], v[12:13], v[148:149]
	ds_load_b128 v[10:13], v2 offset:1024
	ds_load_b128 v[88:91], v2 offset:1040
	v_fmac_f64_e32 v[126:127], v[146:147], v[8:9]
	v_fma_f64 v[8:9], v[144:145], v[8:9], -v[150:151]
	s_wait_loadcnt_dscnt 0x901
	v_mul_f64_e32 v[130:131], v[10:11], v[142:143]
	v_mul_f64_e32 v[142:143], v[12:13], v[142:143]
	v_add_f64_e32 v[4:5], v[4:5], v[128:129]
	v_add_f64_e32 v[124:125], v[124:125], v[152:153]
	s_wait_loadcnt_dscnt 0x800
	v_mul_f64_e32 v[128:129], v[88:89], v[134:135]
	v_mul_f64_e32 v[134:135], v[90:91], v[134:135]
	v_fmac_f64_e32 v[130:131], v[12:13], v[140:141]
	v_fma_f64 v[12:13], v[10:11], v[140:141], -v[142:143]
	v_add_f64_e32 v[4:5], v[4:5], v[8:9]
	v_add_f64_e32 v[140:141], v[124:125], v[126:127]
	ds_load_b128 v[8:11], v2 offset:1056
	ds_load_b128 v[124:127], v2 offset:1072
	v_fmac_f64_e32 v[128:129], v[90:91], v[132:133]
	v_fma_f64 v[88:89], v[88:89], v[132:133], -v[134:135]
	s_wait_loadcnt_dscnt 0x701
	v_mul_f64_e32 v[142:143], v[8:9], v[94:95]
	v_mul_f64_e32 v[94:95], v[10:11], v[94:95]
	;; [unrolled: 16-line block ×3, first 2 shown]
	s_wait_loadcnt_dscnt 0x400
	v_mul_f64_e32 v[98:99], v[88:89], v[106:107]
	v_mul_f64_e32 v[102:103], v[90:91], v[106:107]
	v_add_f64_e32 v[4:5], v[4:5], v[92:93]
	v_add_f64_e32 v[12:13], v[12:13], v[142:143]
	v_fmac_f64_e32 v[128:129], v[10:11], v[100:101]
	v_fma_f64 v[100:101], v[8:9], v[100:101], -v[94:95]
	ds_load_b128 v[8:11], v2 offset:1120
	ds_load_b128 v[92:95], v2 offset:1136
	v_fmac_f64_e32 v[98:99], v[90:91], v[104:105]
	v_fma_f64 v[88:89], v[88:89], v[104:105], -v[102:103]
	v_add_f64_e32 v[4:5], v[4:5], v[96:97]
	v_add_f64_e32 v[12:13], v[12:13], v[130:131]
	s_wait_loadcnt_dscnt 0x301
	v_mul_f64_e32 v[96:97], v[8:9], v[110:111]
	v_mul_f64_e32 v[106:107], v[10:11], v[110:111]
	s_wait_loadcnt_dscnt 0x200
	v_mul_f64_e32 v[90:91], v[92:93], v[114:115]
	v_add_f64_e32 v[4:5], v[4:5], v[100:101]
	v_add_f64_e32 v[12:13], v[12:13], v[128:129]
	v_mul_f64_e32 v[100:101], v[94:95], v[114:115]
	v_fmac_f64_e32 v[96:97], v[10:11], v[108:109]
	v_fma_f64 v[102:103], v[8:9], v[108:109], -v[106:107]
	v_fmac_f64_e32 v[90:91], v[94:95], v[112:113]
	v_add_f64_e32 v[88:89], v[4:5], v[88:89]
	v_add_f64_e32 v[12:13], v[12:13], v[98:99]
	ds_load_b128 v[8:11], v2 offset:1152
	ds_load_b128 v[2:5], v2 offset:1168
	v_fma_f64 v[92:93], v[92:93], v[112:113], -v[100:101]
	s_wait_loadcnt_dscnt 0x101
	v_mul_f64_e32 v[98:99], v[8:9], v[118:119]
	v_mul_f64_e32 v[104:105], v[10:11], v[118:119]
	s_wait_loadcnt_dscnt 0x0
	v_mul_f64_e32 v[94:95], v[2:3], v[122:123]
	v_add_f64_e32 v[88:89], v[88:89], v[102:103]
	v_add_f64_e32 v[12:13], v[12:13], v[96:97]
	v_mul_f64_e32 v[96:97], v[4:5], v[122:123]
	v_fmac_f64_e32 v[98:99], v[10:11], v[116:117]
	v_fma_f64 v[8:9], v[8:9], v[116:117], -v[104:105]
	v_fmac_f64_e32 v[94:95], v[4:5], v[120:121]
	v_add_f64_e32 v[10:11], v[88:89], v[92:93]
	v_add_f64_e32 v[12:13], v[12:13], v[90:91]
	v_fma_f64 v[2:3], v[2:3], v[120:121], -v[96:97]
	s_delay_alu instid0(VALU_DEP_3) | instskip(NEXT) | instid1(VALU_DEP_3)
	v_add_f64_e32 v[4:5], v[10:11], v[8:9]
	v_add_f64_e32 v[8:9], v[12:13], v[98:99]
	s_delay_alu instid0(VALU_DEP_2) | instskip(NEXT) | instid1(VALU_DEP_2)
	v_add_f64_e32 v[2:3], v[4:5], v[2:3]
	v_add_f64_e32 v[4:5], v[8:9], v[94:95]
	s_delay_alu instid0(VALU_DEP_2) | instskip(NEXT) | instid1(VALU_DEP_2)
	v_add_f64_e64 v[2:3], v[136:137], -v[2:3]
	v_add_f64_e64 v[4:5], v[138:139], -v[4:5]
	scratch_store_b128 off, v[2:5], off offset:32
	s_wait_xcnt 0x0
	v_cmpx_lt_u32_e32 1, v1
	s_cbranch_execz .LBB100_233
; %bb.232:
	scratch_load_b128 v[2:5], off, s18
	v_mov_b32_e32 v8, 0
	s_delay_alu instid0(VALU_DEP_1)
	v_dual_mov_b32 v9, v8 :: v_dual_mov_b32 v10, v8
	v_mov_b32_e32 v11, v8
	scratch_store_b128 off, v[8:11], off offset:16
	s_wait_loadcnt 0x0
	ds_store_b128 v6, v[2:5]
.LBB100_233:
	s_wait_xcnt 0x0
	s_or_b32 exec_lo, exec_lo, s2
	s_wait_storecnt_dscnt 0x0
	s_barrier_signal -1
	s_barrier_wait -1
	s_clause 0x9
	scratch_load_b128 v[8:11], off, off offset:32
	scratch_load_b128 v[88:91], off, off offset:48
	;; [unrolled: 1-line block ×10, first 2 shown]
	v_mov_b32_e32 v2, 0
	s_mov_b32 s2, exec_lo
	ds_load_b128 v[124:127], v2 offset:624
	s_clause 0x2
	scratch_load_b128 v[128:131], off, off offset:192
	scratch_load_b128 v[132:135], off, off offset:16
	;; [unrolled: 1-line block ×3, first 2 shown]
	s_wait_loadcnt_dscnt 0xc00
	v_mul_f64_e32 v[4:5], v[126:127], v[10:11]
	v_mul_f64_e32 v[148:149], v[124:125], v[10:11]
	ds_load_b128 v[136:139], v2 offset:640
	scratch_load_b128 v[10:13], off, off offset:208
	ds_load_b128 v[144:147], v2 offset:672
	v_fma_f64 v[4:5], v[124:125], v[8:9], -v[4:5]
	v_fmac_f64_e32 v[148:149], v[126:127], v[8:9]
	ds_load_b128 v[124:127], v2 offset:656
	s_wait_loadcnt_dscnt 0xc02
	v_mul_f64_e32 v[150:151], v[136:137], v[90:91]
	v_mul_f64_e32 v[90:91], v[138:139], v[90:91]
	s_wait_loadcnt_dscnt 0xb00
	v_mul_f64_e32 v[8:9], v[124:125], v[94:95]
	v_mul_f64_e32 v[94:95], v[126:127], v[94:95]
	v_add_f64_e32 v[4:5], 0, v[4:5]
	v_fmac_f64_e32 v[150:151], v[138:139], v[88:89]
	v_fma_f64 v[136:137], v[136:137], v[88:89], -v[90:91]
	v_add_f64_e32 v[138:139], 0, v[148:149]
	scratch_load_b128 v[88:91], off, off offset:240
	v_fmac_f64_e32 v[8:9], v[126:127], v[92:93]
	v_fma_f64 v[152:153], v[124:125], v[92:93], -v[94:95]
	ds_load_b128 v[92:95], v2 offset:688
	s_wait_loadcnt 0xb
	v_mul_f64_e32 v[148:149], v[144:145], v[98:99]
	v_mul_f64_e32 v[98:99], v[146:147], v[98:99]
	scratch_load_b128 v[124:127], off, off offset:256
	v_add_f64_e32 v[4:5], v[4:5], v[136:137]
	v_add_f64_e32 v[150:151], v[138:139], v[150:151]
	ds_load_b128 v[136:139], v2 offset:704
	s_wait_loadcnt_dscnt 0xb01
	v_mul_f64_e32 v[154:155], v[92:93], v[102:103]
	v_mul_f64_e32 v[102:103], v[94:95], v[102:103]
	v_fmac_f64_e32 v[148:149], v[146:147], v[96:97]
	v_fma_f64 v[144:145], v[144:145], v[96:97], -v[98:99]
	scratch_load_b128 v[96:99], off, off offset:272
	v_add_f64_e32 v[4:5], v[4:5], v[152:153]
	v_add_f64_e32 v[8:9], v[150:151], v[8:9]
	v_fmac_f64_e32 v[154:155], v[94:95], v[100:101]
	v_fma_f64 v[152:153], v[92:93], v[100:101], -v[102:103]
	ds_load_b128 v[92:95], v2 offset:720
	s_wait_loadcnt_dscnt 0xb01
	v_mul_f64_e32 v[150:151], v[136:137], v[106:107]
	v_mul_f64_e32 v[106:107], v[138:139], v[106:107]
	scratch_load_b128 v[100:103], off, off offset:288
	v_add_f64_e32 v[4:5], v[4:5], v[144:145]
	v_add_f64_e32 v[8:9], v[8:9], v[148:149]
	s_wait_loadcnt_dscnt 0xb00
	v_mul_f64_e32 v[148:149], v[92:93], v[110:111]
	v_mul_f64_e32 v[110:111], v[94:95], v[110:111]
	ds_load_b128 v[144:147], v2 offset:736
	v_fmac_f64_e32 v[150:151], v[138:139], v[104:105]
	v_fma_f64 v[136:137], v[136:137], v[104:105], -v[106:107]
	scratch_load_b128 v[104:107], off, off offset:304
	v_add_f64_e32 v[4:5], v[4:5], v[152:153]
	v_add_f64_e32 v[8:9], v[8:9], v[154:155]
	v_fmac_f64_e32 v[148:149], v[94:95], v[108:109]
	v_fma_f64 v[154:155], v[92:93], v[108:109], -v[110:111]
	ds_load_b128 v[92:95], v2 offset:752
	s_wait_loadcnt_dscnt 0xb01
	v_mul_f64_e32 v[152:153], v[144:145], v[114:115]
	v_mul_f64_e32 v[114:115], v[146:147], v[114:115]
	scratch_load_b128 v[108:111], off, off offset:320
	v_add_f64_e32 v[4:5], v[4:5], v[136:137]
	v_add_f64_e32 v[8:9], v[8:9], v[150:151]
	s_wait_loadcnt_dscnt 0xb00
	v_mul_f64_e32 v[150:151], v[92:93], v[118:119]
	v_mul_f64_e32 v[118:119], v[94:95], v[118:119]
	ds_load_b128 v[136:139], v2 offset:768
	;; [unrolled: 18-line block ×3, first 2 shown]
	v_fmac_f64_e32 v[148:149], v[138:139], v[120:121]
	v_fma_f64 v[136:137], v[136:137], v[120:121], -v[122:123]
	scratch_load_b128 v[120:123], off, off offset:368
	v_add_f64_e32 v[4:5], v[4:5], v[154:155]
	v_add_f64_e32 v[8:9], v[8:9], v[150:151]
	v_fmac_f64_e32 v[152:153], v[94:95], v[128:129]
	v_fma_f64 v[154:155], v[92:93], v[128:129], -v[130:131]
	ds_load_b128 v[92:95], v2 offset:816
	s_wait_loadcnt_dscnt 0x901
	v_mul_f64_e32 v[150:151], v[144:145], v[12:13]
	v_mul_f64_e32 v[12:13], v[146:147], v[12:13]
	scratch_load_b128 v[128:131], off, off offset:384
	v_add_f64_e32 v[4:5], v[4:5], v[136:137]
	v_add_f64_e32 v[8:9], v[8:9], v[148:149]
	s_wait_dscnt 0x0
	v_mul_f64_e32 v[148:149], v[92:93], v[142:143]
	v_mul_f64_e32 v[142:143], v[94:95], v[142:143]
	ds_load_b128 v[136:139], v2 offset:832
	v_fmac_f64_e32 v[150:151], v[146:147], v[10:11]
	v_fma_f64 v[12:13], v[144:145], v[10:11], -v[12:13]
	v_add_f64_e32 v[4:5], v[4:5], v[154:155]
	v_add_f64_e32 v[144:145], v[8:9], v[152:153]
	scratch_load_b128 v[8:11], off, off offset:400
	v_fmac_f64_e32 v[148:149], v[94:95], v[140:141]
	v_fma_f64 v[94:95], v[92:93], v[140:141], -v[142:143]
	scratch_load_b128 v[140:143], off, off offset:416
	v_add_f64_e32 v[4:5], v[4:5], v[12:13]
	v_add_f64_e32 v[12:13], v[144:145], v[150:151]
	ds_load_b128 v[144:147], v2 offset:864
	s_wait_loadcnt_dscnt 0xb01
	v_mul_f64_e32 v[152:153], v[136:137], v[90:91]
	v_mul_f64_e32 v[154:155], v[138:139], v[90:91]
	ds_load_b128 v[90:93], v2 offset:848
	s_wait_loadcnt_dscnt 0xa00
	v_mul_f64_e32 v[150:151], v[90:91], v[126:127]
	v_mul_f64_e32 v[126:127], v[92:93], v[126:127]
	v_add_f64_e32 v[4:5], v[4:5], v[94:95]
	v_add_f64_e32 v[12:13], v[12:13], v[148:149]
	s_wait_loadcnt 0x9
	v_mul_f64_e32 v[148:149], v[144:145], v[98:99]
	v_fmac_f64_e32 v[152:153], v[138:139], v[88:89]
	v_fma_f64 v[88:89], v[136:137], v[88:89], -v[154:155]
	scratch_load_b128 v[136:139], off, off offset:432
	v_mul_f64_e32 v[98:99], v[146:147], v[98:99]
	v_fmac_f64_e32 v[150:151], v[92:93], v[124:125]
	v_fma_f64 v[154:155], v[90:91], v[124:125], -v[126:127]
	scratch_load_b128 v[92:95], off, off offset:448
	ds_load_b128 v[124:127], v2 offset:896
	v_fmac_f64_e32 v[148:149], v[146:147], v[96:97]
	v_add_f64_e32 v[12:13], v[12:13], v[152:153]
	v_add_f64_e32 v[4:5], v[4:5], v[88:89]
	ds_load_b128 v[88:91], v2 offset:880
	v_fma_f64 v[144:145], v[144:145], v[96:97], -v[98:99]
	scratch_load_b128 v[96:99], off, off offset:464
	s_wait_loadcnt_dscnt 0xb00
	v_mul_f64_e32 v[152:153], v[88:89], v[102:103]
	v_mul_f64_e32 v[102:103], v[90:91], v[102:103]
	v_add_f64_e32 v[12:13], v[12:13], v[150:151]
	v_add_f64_e32 v[4:5], v[4:5], v[154:155]
	s_wait_loadcnt 0xa
	v_mul_f64_e32 v[150:151], v[124:125], v[106:107]
	v_mul_f64_e32 v[106:107], v[126:127], v[106:107]
	v_fmac_f64_e32 v[152:153], v[90:91], v[100:101]
	v_fma_f64 v[154:155], v[88:89], v[100:101], -v[102:103]
	ds_load_b128 v[88:91], v2 offset:912
	scratch_load_b128 v[100:103], off, off offset:480
	v_add_f64_e32 v[12:13], v[12:13], v[148:149]
	v_add_f64_e32 v[4:5], v[4:5], v[144:145]
	ds_load_b128 v[144:147], v2 offset:928
	v_fmac_f64_e32 v[150:151], v[126:127], v[104:105]
	v_fma_f64 v[124:125], v[124:125], v[104:105], -v[106:107]
	scratch_load_b128 v[104:107], off, off offset:496
	s_wait_loadcnt_dscnt 0xb01
	v_mul_f64_e32 v[148:149], v[88:89], v[110:111]
	v_mul_f64_e32 v[110:111], v[90:91], v[110:111]
	v_add_f64_e32 v[12:13], v[12:13], v[152:153]
	v_add_f64_e32 v[4:5], v[4:5], v[154:155]
	s_wait_loadcnt_dscnt 0xa00
	v_mul_f64_e32 v[152:153], v[144:145], v[114:115]
	v_mul_f64_e32 v[114:115], v[146:147], v[114:115]
	v_fmac_f64_e32 v[148:149], v[90:91], v[108:109]
	v_fma_f64 v[154:155], v[88:89], v[108:109], -v[110:111]
	ds_load_b128 v[88:91], v2 offset:944
	scratch_load_b128 v[108:111], off, off offset:512
	v_add_f64_e32 v[12:13], v[12:13], v[150:151]
	v_add_f64_e32 v[4:5], v[4:5], v[124:125]
	ds_load_b128 v[124:127], v2 offset:960
	s_wait_loadcnt_dscnt 0xa01
	v_mul_f64_e32 v[150:151], v[88:89], v[118:119]
	v_mul_f64_e32 v[118:119], v[90:91], v[118:119]
	v_fmac_f64_e32 v[152:153], v[146:147], v[112:113]
	v_fma_f64 v[144:145], v[144:145], v[112:113], -v[114:115]
	scratch_load_b128 v[112:115], off, off offset:528
	v_add_f64_e32 v[12:13], v[12:13], v[148:149]
	v_add_f64_e32 v[4:5], v[4:5], v[154:155]
	s_wait_loadcnt_dscnt 0xa00
	v_mul_f64_e32 v[148:149], v[124:125], v[122:123]
	v_mul_f64_e32 v[122:123], v[126:127], v[122:123]
	v_fmac_f64_e32 v[150:151], v[90:91], v[116:117]
	v_fma_f64 v[154:155], v[88:89], v[116:117], -v[118:119]
	ds_load_b128 v[88:91], v2 offset:976
	scratch_load_b128 v[116:119], off, off offset:544
	v_add_f64_e32 v[12:13], v[12:13], v[152:153]
	v_add_f64_e32 v[4:5], v[4:5], v[144:145]
	ds_load_b128 v[144:147], v2 offset:992
	s_wait_loadcnt_dscnt 0xa01
	v_mul_f64_e32 v[152:153], v[88:89], v[130:131]
	v_mul_f64_e32 v[130:131], v[90:91], v[130:131]
	v_fmac_f64_e32 v[148:149], v[126:127], v[120:121]
	v_fma_f64 v[124:125], v[124:125], v[120:121], -v[122:123]
	scratch_load_b128 v[120:123], off, off offset:560
	v_add_f64_e32 v[12:13], v[12:13], v[150:151]
	v_add_f64_e32 v[4:5], v[4:5], v[154:155]
	s_wait_loadcnt_dscnt 0xa00
	v_mul_f64_e32 v[150:151], v[144:145], v[10:11]
	v_mul_f64_e32 v[154:155], v[146:147], v[10:11]
	v_fmac_f64_e32 v[152:153], v[90:91], v[128:129]
	v_fma_f64 v[128:129], v[88:89], v[128:129], -v[130:131]
	scratch_load_b128 v[88:91], off, off offset:576
	v_add_f64_e32 v[130:131], v[12:13], v[148:149]
	v_add_f64_e32 v[4:5], v[4:5], v[124:125]
	ds_load_b128 v[10:13], v2 offset:1008
	ds_load_b128 v[124:127], v2 offset:1024
	v_fmac_f64_e32 v[150:151], v[146:147], v[8:9]
	v_fma_f64 v[8:9], v[144:145], v[8:9], -v[154:155]
	s_wait_loadcnt_dscnt 0xa01
	v_mul_f64_e32 v[148:149], v[10:11], v[142:143]
	v_mul_f64_e32 v[142:143], v[12:13], v[142:143]
	v_add_f64_e32 v[4:5], v[4:5], v[128:129]
	v_add_f64_e32 v[128:129], v[130:131], v[152:153]
	s_wait_loadcnt_dscnt 0x900
	v_mul_f64_e32 v[144:145], v[124:125], v[138:139]
	v_mul_f64_e32 v[138:139], v[126:127], v[138:139]
	v_fmac_f64_e32 v[148:149], v[12:13], v[140:141]
	v_fma_f64 v[12:13], v[10:11], v[140:141], -v[142:143]
	v_add_f64_e32 v[4:5], v[4:5], v[8:9]
	v_add_f64_e32 v[140:141], v[128:129], v[150:151]
	ds_load_b128 v[8:11], v2 offset:1040
	ds_load_b128 v[128:131], v2 offset:1056
	v_fmac_f64_e32 v[144:145], v[126:127], v[136:137]
	v_fma_f64 v[124:125], v[124:125], v[136:137], -v[138:139]
	s_wait_loadcnt_dscnt 0x801
	v_mul_f64_e32 v[142:143], v[8:9], v[94:95]
	v_mul_f64_e32 v[94:95], v[10:11], v[94:95]
	s_wait_loadcnt_dscnt 0x700
	v_mul_f64_e32 v[126:127], v[128:129], v[98:99]
	v_mul_f64_e32 v[98:99], v[130:131], v[98:99]
	v_add_f64_e32 v[4:5], v[4:5], v[12:13]
	v_add_f64_e32 v[12:13], v[140:141], v[148:149]
	v_fmac_f64_e32 v[142:143], v[10:11], v[92:93]
	v_fma_f64 v[136:137], v[8:9], v[92:93], -v[94:95]
	ds_load_b128 v[8:11], v2 offset:1072
	ds_load_b128 v[92:95], v2 offset:1088
	v_fmac_f64_e32 v[126:127], v[130:131], v[96:97]
	v_fma_f64 v[96:97], v[128:129], v[96:97], -v[98:99]
	v_add_f64_e32 v[4:5], v[4:5], v[124:125]
	v_add_f64_e32 v[12:13], v[12:13], v[144:145]
	s_wait_loadcnt_dscnt 0x601
	v_mul_f64_e32 v[124:125], v[8:9], v[102:103]
	v_mul_f64_e32 v[102:103], v[10:11], v[102:103]
	s_wait_loadcnt_dscnt 0x500
	v_mul_f64_e32 v[128:129], v[92:93], v[106:107]
	v_mul_f64_e32 v[106:107], v[94:95], v[106:107]
	v_add_f64_e32 v[4:5], v[4:5], v[136:137]
	v_add_f64_e32 v[12:13], v[12:13], v[142:143]
	v_fmac_f64_e32 v[124:125], v[10:11], v[100:101]
	v_fma_f64 v[100:101], v[8:9], v[100:101], -v[102:103]
	v_fmac_f64_e32 v[128:129], v[94:95], v[104:105]
	v_fma_f64 v[92:93], v[92:93], v[104:105], -v[106:107]
	v_add_f64_e32 v[4:5], v[4:5], v[96:97]
	v_add_f64_e32 v[12:13], v[12:13], v[126:127]
	ds_load_b128 v[8:11], v2 offset:1104
	ds_load_b128 v[96:99], v2 offset:1120
	s_wait_loadcnt_dscnt 0x401
	v_mul_f64_e32 v[102:103], v[8:9], v[110:111]
	v_mul_f64_e32 v[110:111], v[10:11], v[110:111]
	s_wait_loadcnt_dscnt 0x300
	v_mul_f64_e32 v[104:105], v[98:99], v[114:115]
	v_add_f64_e32 v[4:5], v[4:5], v[100:101]
	v_add_f64_e32 v[12:13], v[12:13], v[124:125]
	v_mul_f64_e32 v[100:101], v[96:97], v[114:115]
	v_fmac_f64_e32 v[102:103], v[10:11], v[108:109]
	v_fma_f64 v[106:107], v[8:9], v[108:109], -v[110:111]
	v_fma_f64 v[96:97], v[96:97], v[112:113], -v[104:105]
	v_add_f64_e32 v[4:5], v[4:5], v[92:93]
	v_add_f64_e32 v[12:13], v[12:13], v[128:129]
	ds_load_b128 v[8:11], v2 offset:1136
	ds_load_b128 v[92:95], v2 offset:1152
	v_fmac_f64_e32 v[100:101], v[98:99], v[112:113]
	s_wait_loadcnt_dscnt 0x201
	v_mul_f64_e32 v[108:109], v[8:9], v[118:119]
	v_mul_f64_e32 v[110:111], v[10:11], v[118:119]
	s_wait_loadcnt_dscnt 0x100
	v_mul_f64_e32 v[98:99], v[92:93], v[122:123]
	v_add_f64_e32 v[4:5], v[4:5], v[106:107]
	v_add_f64_e32 v[12:13], v[12:13], v[102:103]
	v_mul_f64_e32 v[102:103], v[94:95], v[122:123]
	v_fmac_f64_e32 v[108:109], v[10:11], v[116:117]
	v_fma_f64 v[104:105], v[8:9], v[116:117], -v[110:111]
	ds_load_b128 v[8:11], v2 offset:1168
	v_fmac_f64_e32 v[98:99], v[94:95], v[120:121]
	v_add_f64_e32 v[4:5], v[4:5], v[96:97]
	v_add_f64_e32 v[12:13], v[12:13], v[100:101]
	v_fma_f64 v[92:93], v[92:93], v[120:121], -v[102:103]
	s_wait_loadcnt_dscnt 0x0
	v_mul_f64_e32 v[96:97], v[8:9], v[90:91]
	v_mul_f64_e32 v[90:91], v[10:11], v[90:91]
	v_add_f64_e32 v[4:5], v[4:5], v[104:105]
	v_add_f64_e32 v[12:13], v[12:13], v[108:109]
	s_delay_alu instid0(VALU_DEP_4) | instskip(NEXT) | instid1(VALU_DEP_4)
	v_fmac_f64_e32 v[96:97], v[10:11], v[88:89]
	v_fma_f64 v[8:9], v[8:9], v[88:89], -v[90:91]
	s_delay_alu instid0(VALU_DEP_4) | instskip(NEXT) | instid1(VALU_DEP_4)
	v_add_f64_e32 v[4:5], v[4:5], v[92:93]
	v_add_f64_e32 v[10:11], v[12:13], v[98:99]
	s_delay_alu instid0(VALU_DEP_2) | instskip(NEXT) | instid1(VALU_DEP_2)
	v_add_f64_e32 v[4:5], v[4:5], v[8:9]
	v_add_f64_e32 v[10:11], v[10:11], v[96:97]
	s_delay_alu instid0(VALU_DEP_2) | instskip(NEXT) | instid1(VALU_DEP_2)
	v_add_f64_e64 v[8:9], v[132:133], -v[4:5]
	v_add_f64_e64 v[10:11], v[134:135], -v[10:11]
	scratch_store_b128 off, v[8:11], off offset:16
	s_wait_xcnt 0x0
	v_cmpx_ne_u32_e32 0, v1
	s_cbranch_execz .LBB100_235
; %bb.234:
	scratch_load_b128 v[8:11], off, off
	v_dual_mov_b32 v3, v2 :: v_dual_mov_b32 v4, v2
	v_mov_b32_e32 v5, v2
	scratch_store_b128 off, v[2:5], off
	s_wait_loadcnt 0x0
	ds_store_b128 v6, v[8:11]
.LBB100_235:
	s_wait_xcnt 0x0
	s_or_b32 exec_lo, exec_lo, s2
	s_wait_storecnt_dscnt 0x0
	s_barrier_signal -1
	s_barrier_wait -1
	s_clause 0x9
	scratch_load_b128 v[4:7], off, off offset:16
	scratch_load_b128 v[8:11], off, off offset:32
	;; [unrolled: 1-line block ×10, first 2 shown]
	ds_load_b128 v[120:123], v2 offset:608
	ds_load_b128 v[128:131], v2 offset:624
	s_clause 0x2
	scratch_load_b128 v[124:127], off, off offset:176
	scratch_load_b128 v[132:135], off, off
	scratch_load_b128 v[136:139], off, off offset:192
	v_lshl_add_u64 v[46:47], v[46:47], 4, s[4:5]
	s_and_b32 vcc_lo, exec_lo, s49
	s_wait_loadcnt_dscnt 0xc01
	v_mul_f64_e32 v[12:13], v[122:123], v[6:7]
	v_mul_f64_e32 v[140:141], v[120:121], v[6:7]
	s_wait_loadcnt_dscnt 0xb00
	v_mul_f64_e32 v[142:143], v[128:129], v[10:11]
	v_mul_f64_e32 v[144:145], v[130:131], v[10:11]
	s_delay_alu instid0(VALU_DEP_4) | instskip(NEXT) | instid1(VALU_DEP_4)
	v_fma_f64 v[146:147], v[120:121], v[4:5], -v[12:13]
	v_fmac_f64_e32 v[140:141], v[122:123], v[4:5]
	ds_load_b128 v[4:7], v2 offset:640
	ds_load_b128 v[10:13], v2 offset:656
	scratch_load_b128 v[120:123], off, off offset:208
	v_fmac_f64_e32 v[142:143], v[130:131], v[8:9]
	v_fma_f64 v[8:9], v[128:129], v[8:9], -v[144:145]
	scratch_load_b128 v[128:131], off, off offset:224
	s_wait_loadcnt_dscnt 0xc01
	v_mul_f64_e32 v[148:149], v[4:5], v[90:91]
	v_mul_f64_e32 v[90:91], v[6:7], v[90:91]
	v_add_f64_e32 v[144:145], 0, v[146:147]
	v_add_f64_e32 v[140:141], 0, v[140:141]
	s_wait_loadcnt_dscnt 0xb00
	v_mul_f64_e32 v[146:147], v[10:11], v[94:95]
	v_mul_f64_e32 v[94:95], v[12:13], v[94:95]
	v_fmac_f64_e32 v[148:149], v[6:7], v[88:89]
	v_fma_f64 v[150:151], v[4:5], v[88:89], -v[90:91]
	ds_load_b128 v[4:7], v2 offset:672
	ds_load_b128 v[88:91], v2 offset:688
	v_add_f64_e32 v[8:9], v[144:145], v[8:9]
	v_add_f64_e32 v[144:145], v[140:141], v[142:143]
	scratch_load_b128 v[140:143], off, off offset:240
	v_fmac_f64_e32 v[146:147], v[12:13], v[92:93]
	v_fma_f64 v[12:13], v[10:11], v[92:93], -v[94:95]
	s_wait_loadcnt_dscnt 0xb01
	v_mul_f64_e32 v[152:153], v[4:5], v[98:99]
	v_mul_f64_e32 v[98:99], v[6:7], v[98:99]
	v_add_f64_e32 v[92:93], v[8:9], v[150:151]
	v_add_f64_e32 v[94:95], v[144:145], v[148:149]
	scratch_load_b128 v[8:11], off, off offset:256
	s_wait_loadcnt_dscnt 0xb00
	v_mul_f64_e32 v[144:145], v[88:89], v[102:103]
	v_mul_f64_e32 v[102:103], v[90:91], v[102:103]
	v_fmac_f64_e32 v[152:153], v[6:7], v[96:97]
	v_fma_f64 v[148:149], v[4:5], v[96:97], -v[98:99]
	v_add_f64_e32 v[12:13], v[92:93], v[12:13]
	v_add_f64_e32 v[146:147], v[94:95], v[146:147]
	ds_load_b128 v[4:7], v2 offset:704
	ds_load_b128 v[92:95], v2 offset:720
	scratch_load_b128 v[96:99], off, off offset:272
	v_fmac_f64_e32 v[144:145], v[90:91], v[100:101]
	v_fma_f64 v[100:101], v[88:89], v[100:101], -v[102:103]
	scratch_load_b128 v[88:91], off, off offset:288
	s_wait_loadcnt_dscnt 0xc01
	v_mul_f64_e32 v[150:151], v[4:5], v[106:107]
	v_mul_f64_e32 v[106:107], v[6:7], v[106:107]
	v_add_f64_e32 v[12:13], v[12:13], v[148:149]
	v_add_f64_e32 v[102:103], v[146:147], v[152:153]
	s_wait_loadcnt_dscnt 0xb00
	v_mul_f64_e32 v[146:147], v[92:93], v[110:111]
	v_mul_f64_e32 v[110:111], v[94:95], v[110:111]
	v_fmac_f64_e32 v[150:151], v[6:7], v[104:105]
	v_fma_f64 v[148:149], v[4:5], v[104:105], -v[106:107]
	v_add_f64_e32 v[12:13], v[12:13], v[100:101]
	v_add_f64_e32 v[144:145], v[102:103], v[144:145]
	ds_load_b128 v[4:7], v2 offset:736
	ds_load_b128 v[100:103], v2 offset:752
	scratch_load_b128 v[104:107], off, off offset:304
	v_fmac_f64_e32 v[146:147], v[94:95], v[108:109]
	v_fma_f64 v[108:109], v[92:93], v[108:109], -v[110:111]
	scratch_load_b128 v[92:95], off, off offset:320
	s_wait_loadcnt_dscnt 0xc01
	v_mul_f64_e32 v[152:153], v[4:5], v[114:115]
	v_mul_f64_e32 v[114:115], v[6:7], v[114:115]
	v_add_f64_e32 v[12:13], v[12:13], v[148:149]
	v_add_f64_e32 v[110:111], v[144:145], v[150:151]
	;; [unrolled: 18-line block ×4, first 2 shown]
	s_wait_loadcnt_dscnt 0xa00
	v_mul_f64_e32 v[144:145], v[116:117], v[130:131]
	v_mul_f64_e32 v[130:131], v[118:119], v[130:131]
	v_fmac_f64_e32 v[152:153], v[6:7], v[120:121]
	v_fma_f64 v[148:149], v[4:5], v[120:121], -v[122:123]
	ds_load_b128 v[4:7], v2 offset:832
	ds_load_b128 v[120:123], v2 offset:848
	v_add_f64_e32 v[12:13], v[12:13], v[136:137]
	v_add_f64_e32 v[146:147], v[138:139], v[146:147]
	scratch_load_b128 v[136:139], off, off offset:400
	v_fmac_f64_e32 v[144:145], v[118:119], v[128:129]
	v_fma_f64 v[128:129], v[116:117], v[128:129], -v[130:131]
	scratch_load_b128 v[116:119], off, off offset:416
	s_wait_loadcnt_dscnt 0xb01
	v_mul_f64_e32 v[150:151], v[4:5], v[142:143]
	v_mul_f64_e32 v[142:143], v[6:7], v[142:143]
	v_add_f64_e32 v[12:13], v[12:13], v[148:149]
	v_add_f64_e32 v[130:131], v[146:147], v[152:153]
	s_wait_loadcnt_dscnt 0xa00
	v_mul_f64_e32 v[146:147], v[120:121], v[10:11]
	v_mul_f64_e32 v[148:149], v[122:123], v[10:11]
	v_fmac_f64_e32 v[150:151], v[6:7], v[140:141]
	v_fma_f64 v[140:141], v[4:5], v[140:141], -v[142:143]
	v_add_f64_e32 v[142:143], v[12:13], v[128:129]
	v_add_f64_e32 v[144:145], v[130:131], v[144:145]
	ds_load_b128 v[4:7], v2 offset:864
	ds_load_b128 v[10:13], v2 offset:880
	scratch_load_b128 v[128:131], off, off offset:432
	v_fmac_f64_e32 v[146:147], v[122:123], v[8:9]
	v_fma_f64 v[8:9], v[120:121], v[8:9], -v[148:149]
	scratch_load_b128 v[120:123], off, off offset:448
	s_wait_loadcnt_dscnt 0xb01
	v_mul_f64_e32 v[152:153], v[4:5], v[98:99]
	v_mul_f64_e32 v[98:99], v[6:7], v[98:99]
	v_add_f64_e32 v[140:141], v[142:143], v[140:141]
	v_add_f64_e32 v[142:143], v[144:145], v[150:151]
	s_wait_loadcnt_dscnt 0xa00
	v_mul_f64_e32 v[144:145], v[10:11], v[90:91]
	v_mul_f64_e32 v[90:91], v[12:13], v[90:91]
	v_fmac_f64_e32 v[152:153], v[6:7], v[96:97]
	v_fma_f64 v[148:149], v[4:5], v[96:97], -v[98:99]
	ds_load_b128 v[4:7], v2 offset:896
	ds_load_b128 v[96:99], v2 offset:912
	v_add_f64_e32 v[8:9], v[140:141], v[8:9]
	v_add_f64_e32 v[146:147], v[142:143], v[146:147]
	scratch_load_b128 v[140:143], off, off offset:464
	v_fmac_f64_e32 v[144:145], v[12:13], v[88:89]
	v_fma_f64 v[12:13], v[10:11], v[88:89], -v[90:91]
	s_wait_loadcnt_dscnt 0xa01
	v_mul_f64_e32 v[150:151], v[4:5], v[106:107]
	v_mul_f64_e32 v[106:107], v[6:7], v[106:107]
	v_add_f64_e32 v[88:89], v[8:9], v[148:149]
	v_add_f64_e32 v[90:91], v[146:147], v[152:153]
	scratch_load_b128 v[8:11], off, off offset:480
	s_wait_loadcnt_dscnt 0xa00
	v_mul_f64_e32 v[146:147], v[96:97], v[94:95]
	v_mul_f64_e32 v[94:95], v[98:99], v[94:95]
	v_fmac_f64_e32 v[150:151], v[6:7], v[104:105]
	v_fma_f64 v[148:149], v[4:5], v[104:105], -v[106:107]
	v_add_f64_e32 v[12:13], v[88:89], v[12:13]
	v_add_f64_e32 v[144:145], v[90:91], v[144:145]
	ds_load_b128 v[4:7], v2 offset:928
	ds_load_b128 v[88:91], v2 offset:944
	scratch_load_b128 v[104:107], off, off offset:496
	v_fmac_f64_e32 v[146:147], v[98:99], v[92:93]
	v_fma_f64 v[96:97], v[96:97], v[92:93], -v[94:95]
	scratch_load_b128 v[92:95], off, off offset:512
	s_wait_loadcnt_dscnt 0xb01
	v_mul_f64_e32 v[152:153], v[4:5], v[114:115]
	v_mul_f64_e32 v[114:115], v[6:7], v[114:115]
	v_add_f64_e32 v[12:13], v[12:13], v[148:149]
	v_add_f64_e32 v[98:99], v[144:145], v[150:151]
	s_wait_loadcnt_dscnt 0xa00
	v_mul_f64_e32 v[144:145], v[88:89], v[102:103]
	v_mul_f64_e32 v[102:103], v[90:91], v[102:103]
	v_fmac_f64_e32 v[152:153], v[6:7], v[112:113]
	v_fma_f64 v[148:149], v[4:5], v[112:113], -v[114:115]
	v_add_f64_e32 v[12:13], v[12:13], v[96:97]
	v_add_f64_e32 v[146:147], v[98:99], v[146:147]
	ds_load_b128 v[4:7], v2 offset:960
	ds_load_b128 v[96:99], v2 offset:976
	scratch_load_b128 v[112:115], off, off offset:528
	v_fmac_f64_e32 v[144:145], v[90:91], v[100:101]
	v_fma_f64 v[100:101], v[88:89], v[100:101], -v[102:103]
	scratch_load_b128 v[88:91], off, off offset:544
	s_wait_loadcnt_dscnt 0xb01
	v_mul_f64_e32 v[150:151], v[4:5], v[126:127]
	v_mul_f64_e32 v[126:127], v[6:7], v[126:127]
	v_add_f64_e32 v[12:13], v[12:13], v[148:149]
	v_add_f64_e32 v[102:103], v[146:147], v[152:153]
	;; [unrolled: 18-line block ×3, first 2 shown]
	s_wait_loadcnt_dscnt 0xa00
	v_mul_f64_e32 v[144:145], v[100:101], v[118:119]
	v_mul_f64_e32 v[118:119], v[102:103], v[118:119]
	v_fmac_f64_e32 v[152:153], v[6:7], v[136:137]
	v_fma_f64 v[136:137], v[4:5], v[136:137], -v[138:139]
	v_add_f64_e32 v[12:13], v[12:13], v[108:109]
	v_add_f64_e32 v[138:139], v[110:111], v[146:147]
	ds_load_b128 v[4:7], v2 offset:1024
	ds_load_b128 v[108:111], v2 offset:1040
	v_fmac_f64_e32 v[144:145], v[102:103], v[116:117]
	v_fma_f64 v[100:101], v[100:101], v[116:117], -v[118:119]
	s_wait_loadcnt_dscnt 0x901
	v_mul_f64_e32 v[146:147], v[4:5], v[130:131]
	v_mul_f64_e32 v[130:131], v[6:7], v[130:131]
	s_wait_loadcnt_dscnt 0x800
	v_mul_f64_e32 v[116:117], v[108:109], v[122:123]
	v_mul_f64_e32 v[118:119], v[110:111], v[122:123]
	v_add_f64_e32 v[12:13], v[12:13], v[136:137]
	v_add_f64_e32 v[102:103], v[138:139], v[152:153]
	v_fmac_f64_e32 v[146:147], v[6:7], v[128:129]
	v_fma_f64 v[122:123], v[4:5], v[128:129], -v[130:131]
	v_fmac_f64_e32 v[116:117], v[110:111], v[120:121]
	v_fma_f64 v[108:109], v[108:109], v[120:121], -v[118:119]
	v_add_f64_e32 v[12:13], v[12:13], v[100:101]
	v_add_f64_e32 v[128:129], v[102:103], v[144:145]
	ds_load_b128 v[4:7], v2 offset:1056
	ds_load_b128 v[100:103], v2 offset:1072
	s_wait_loadcnt_dscnt 0x701
	v_mul_f64_e32 v[130:131], v[4:5], v[142:143]
	v_mul_f64_e32 v[136:137], v[6:7], v[142:143]
	v_add_f64_e32 v[12:13], v[12:13], v[122:123]
	v_add_f64_e32 v[110:111], v[128:129], v[146:147]
	s_wait_loadcnt_dscnt 0x600
	v_mul_f64_e32 v[118:119], v[100:101], v[10:11]
	v_mul_f64_e32 v[120:121], v[102:103], v[10:11]
	v_fmac_f64_e32 v[130:131], v[6:7], v[140:141]
	v_fma_f64 v[122:123], v[4:5], v[140:141], -v[136:137]
	v_add_f64_e32 v[108:109], v[12:13], v[108:109]
	v_add_f64_e32 v[110:111], v[110:111], v[116:117]
	ds_load_b128 v[4:7], v2 offset:1088
	ds_load_b128 v[10:13], v2 offset:1104
	v_fmac_f64_e32 v[118:119], v[102:103], v[8:9]
	v_fma_f64 v[8:9], v[100:101], v[8:9], -v[120:121]
	s_wait_loadcnt_dscnt 0x501
	v_mul_f64_e32 v[116:117], v[4:5], v[106:107]
	v_mul_f64_e32 v[106:107], v[6:7], v[106:107]
	v_add_f64_e32 v[100:101], v[108:109], v[122:123]
	v_add_f64_e32 v[102:103], v[110:111], v[130:131]
	s_wait_loadcnt_dscnt 0x400
	v_mul_f64_e32 v[108:109], v[10:11], v[94:95]
	v_mul_f64_e32 v[94:95], v[12:13], v[94:95]
	v_fmac_f64_e32 v[116:117], v[6:7], v[104:105]
	v_fma_f64 v[104:105], v[4:5], v[104:105], -v[106:107]
	v_add_f64_e32 v[8:9], v[100:101], v[8:9]
	v_add_f64_e32 v[106:107], v[102:103], v[118:119]
	ds_load_b128 v[4:7], v2 offset:1120
	ds_load_b128 v[100:103], v2 offset:1136
	v_fmac_f64_e32 v[108:109], v[12:13], v[92:93]
	v_fma_f64 v[10:11], v[10:11], v[92:93], -v[94:95]
	s_wait_loadcnt_dscnt 0x301
	v_mul_f64_e32 v[110:111], v[4:5], v[114:115]
	v_mul_f64_e32 v[114:115], v[6:7], v[114:115]
	s_wait_loadcnt_dscnt 0x200
	v_mul_f64_e32 v[92:93], v[100:101], v[90:91]
	v_mul_f64_e32 v[90:91], v[102:103], v[90:91]
	v_add_f64_e32 v[8:9], v[8:9], v[104:105]
	v_add_f64_e32 v[12:13], v[106:107], v[116:117]
	v_fmac_f64_e32 v[110:111], v[6:7], v[112:113]
	v_fma_f64 v[94:95], v[4:5], v[112:113], -v[114:115]
	v_fmac_f64_e32 v[92:93], v[102:103], v[88:89]
	v_fma_f64 v[88:89], v[100:101], v[88:89], -v[90:91]
	v_lshl_add_u64 v[102:103], v[22:23], 4, s[4:5]
	v_lshl_add_u64 v[114:115], v[26:27], 4, s[4:5]
	;; [unrolled: 1-line block ×7, first 2 shown]
	v_add_f64_e32 v[104:105], v[8:9], v[10:11]
	v_add_f64_e32 v[12:13], v[12:13], v[108:109]
	ds_load_b128 v[4:7], v2 offset:1152
	ds_load_b128 v[8:11], v2 offset:1168
	v_lshl_add_u64 v[108:109], v[32:33], 4, s[4:5]
	v_lshl_add_u64 v[32:33], v[60:61], 4, s[4:5]
	;; [unrolled: 1-line block ×3, first 2 shown]
	s_wait_loadcnt_dscnt 0x101
	v_mul_f64_e32 v[2:3], v[4:5], v[126:127]
	v_mul_f64_e32 v[106:107], v[6:7], v[126:127]
	v_add_f64_e32 v[90:91], v[104:105], v[94:95]
	v_add_f64_e32 v[12:13], v[12:13], v[110:111]
	s_wait_loadcnt_dscnt 0x0
	v_mul_f64_e32 v[94:95], v[8:9], v[98:99]
	v_mul_f64_e32 v[98:99], v[10:11], v[98:99]
	v_lshl_add_u64 v[110:111], v[18:19], 4, s[4:5]
	v_lshl_add_u64 v[104:105], v[34:35], 4, s[4:5]
	;; [unrolled: 1-line block ×4, first 2 shown]
	v_fmac_f64_e32 v[2:3], v[6:7], v[124:125]
	v_fma_f64 v[4:5], v[4:5], v[124:125], -v[106:107]
	v_lshl_add_u64 v[106:107], v[20:21], 4, s[4:5]
	v_lshl_add_u64 v[20:21], v[72:73], 4, s[4:5]
	v_add_f64_e32 v[6:7], v[90:91], v[88:89]
	v_add_f64_e32 v[12:13], v[12:13], v[92:93]
	v_fmac_f64_e32 v[94:95], v[10:11], v[96:97]
	v_fma_f64 v[8:9], v[8:9], v[96:97], -v[98:99]
	v_lshl_add_u64 v[98:99], v[24:25], 4, s[4:5]
	v_lshl_add_u64 v[96:97], v[38:39], 4, s[4:5]
	;; [unrolled: 1-line block ×11, first 2 shown]
	v_add_f64_e32 v[4:5], v[6:7], v[4:5]
	v_add_f64_e32 v[2:3], v[12:13], v[2:3]
	v_lshl_add_u64 v[12:13], v[76:77], 4, s[4:5]
	v_lshl_add_u64 v[6:7], v[82:83], 4, s[4:5]
	s_delay_alu instid0(VALU_DEP_4) | instskip(NEXT) | instid1(VALU_DEP_4)
	v_add_f64_e32 v[4:5], v[4:5], v[8:9]
	v_add_f64_e32 v[2:3], v[2:3], v[94:95]
	v_lshl_add_u64 v[94:95], v[28:29], 4, s[4:5]
	v_lshl_add_u64 v[28:29], v[64:65], 4, s[4:5]
	;; [unrolled: 1-line block ×3, first 2 shown]
	v_add_f64_e64 v[116:117], v[132:133], -v[4:5]
	v_add_f64_e64 v[118:119], v[134:135], -v[2:3]
	v_lshl_add_u64 v[4:5], v[84:85], 4, s[4:5]
	v_lshl_add_u64 v[2:3], v[86:87], 4, s[4:5]
	scratch_store_b128 off, v[116:119], off
	s_cbranch_vccz .LBB100_308
; %bb.236:
	v_mov_b32_e32 v48, 0
	s_load_b64 s[2:3], s[0:1], 0x4
	v_bfe_u32 v50, v0, 10, 10
	v_bfe_u32 v0, v0, 20, 10
	global_load_b32 v49, v48, s[8:9] offset:140
	s_wait_kmcnt 0x0
	s_lshr_b32 s0, s2, 16
	v_mul_u32_u24_e32 v50, s3, v50
	s_mul_i32 s0, s0, s3
	s_delay_alu instid0(SALU_CYCLE_1) | instskip(NEXT) | instid1(VALU_DEP_1)
	v_mul_u32_u24_e32 v1, s0, v1
	v_add3_u32 v0, v1, v50, v0
	s_delay_alu instid0(VALU_DEP_1)
	v_lshl_add_u32 v0, v0, 4, 0x4a8
	s_wait_loadcnt 0x0
	v_cmp_ne_u32_e32 vcc_lo, 36, v49
	s_cbranch_vccz .LBB100_238
; %bb.237:
	v_lshlrev_b32_e32 v1, 4, v49
	s_clause 0x1
	scratch_load_b128 v[50:53], off, s15
	scratch_load_b128 v[54:57], v1, off offset:-16
	s_wait_loadcnt 0x1
	ds_store_2addr_b64 v0, v[50:51], v[52:53] offset1:1
	s_wait_loadcnt 0x0
	s_clause 0x1
	scratch_store_b128 off, v[54:57], s15
	scratch_store_b128 v1, v[50:53], off offset:-16
.LBB100_238:
	global_load_b32 v1, v48, s[8:9] offset:136
	s_wait_loadcnt 0x0
	v_cmp_eq_u32_e32 vcc_lo, 35, v1
	s_cbranch_vccnz .LBB100_240
; %bb.239:
	v_lshlrev_b32_e32 v1, 4, v1
	s_clause 0x1
	scratch_load_b128 v[48:51], off, s17
	scratch_load_b128 v[52:55], v1, off offset:-16
	s_wait_loadcnt 0x1
	ds_store_2addr_b64 v0, v[48:49], v[50:51] offset1:1
	s_wait_loadcnt 0x0
	s_clause 0x1
	scratch_store_b128 off, v[52:55], s17
	scratch_store_b128 v1, v[48:51], off offset:-16
.LBB100_240:
	s_wait_xcnt 0x0
	v_mov_b32_e32 v1, 0
	global_load_b32 v48, v1, s[8:9] offset:132
	s_wait_loadcnt 0x0
	v_cmp_eq_u32_e32 vcc_lo, 34, v48
	s_cbranch_vccnz .LBB100_242
; %bb.241:
	v_lshlrev_b32_e32 v48, 4, v48
	s_delay_alu instid0(VALU_DEP_1)
	v_mov_b32_e32 v56, v48
	s_clause 0x1
	scratch_load_b128 v[48:51], off, s19
	scratch_load_b128 v[52:55], v56, off offset:-16
	s_wait_loadcnt 0x1
	ds_store_2addr_b64 v0, v[48:49], v[50:51] offset1:1
	s_wait_loadcnt 0x0
	s_clause 0x1
	scratch_store_b128 off, v[52:55], s19
	scratch_store_b128 v56, v[48:51], off offset:-16
.LBB100_242:
	global_load_b32 v1, v1, s[8:9] offset:128
	s_wait_loadcnt 0x0
	v_cmp_eq_u32_e32 vcc_lo, 33, v1
	s_cbranch_vccnz .LBB100_244
; %bb.243:
	s_wait_xcnt 0x0
	v_lshlrev_b32_e32 v1, 4, v1
	s_clause 0x1
	scratch_load_b128 v[48:51], off, s20
	scratch_load_b128 v[52:55], v1, off offset:-16
	s_wait_loadcnt 0x1
	ds_store_2addr_b64 v0, v[48:49], v[50:51] offset1:1
	s_wait_loadcnt 0x0
	s_clause 0x1
	scratch_store_b128 off, v[52:55], s20
	scratch_store_b128 v1, v[48:51], off offset:-16
.LBB100_244:
	s_wait_xcnt 0x0
	v_mov_b32_e32 v1, 0
	global_load_b32 v48, v1, s[8:9] offset:124
	s_wait_loadcnt 0x0
	v_cmp_eq_u32_e32 vcc_lo, 32, v48
	s_cbranch_vccnz .LBB100_246
; %bb.245:
	v_lshlrev_b32_e32 v48, 4, v48
	s_delay_alu instid0(VALU_DEP_1)
	v_mov_b32_e32 v56, v48
	s_clause 0x1
	scratch_load_b128 v[48:51], off, s21
	scratch_load_b128 v[52:55], v56, off offset:-16
	s_wait_loadcnt 0x1
	ds_store_2addr_b64 v0, v[48:49], v[50:51] offset1:1
	s_wait_loadcnt 0x0
	s_clause 0x1
	scratch_store_b128 off, v[52:55], s21
	scratch_store_b128 v56, v[48:51], off offset:-16
.LBB100_246:
	global_load_b32 v1, v1, s[8:9] offset:120
	s_wait_loadcnt 0x0
	v_cmp_eq_u32_e32 vcc_lo, 31, v1
	s_cbranch_vccnz .LBB100_248
; %bb.247:
	s_wait_xcnt 0x0
	v_lshlrev_b32_e32 v1, 4, v1
	s_clause 0x1
	scratch_load_b128 v[48:51], off, s22
	scratch_load_b128 v[52:55], v1, off offset:-16
	s_wait_loadcnt 0x1
	ds_store_2addr_b64 v0, v[48:49], v[50:51] offset1:1
	s_wait_loadcnt 0x0
	s_clause 0x1
	scratch_store_b128 off, v[52:55], s22
	scratch_store_b128 v1, v[48:51], off offset:-16
.LBB100_248:
	;; [unrolled: 37-line block ×16, first 2 shown]
	s_wait_xcnt 0x0
	v_mov_b32_e32 v1, 0
	global_load_b32 v48, v1, s[8:9] offset:4
	s_wait_loadcnt 0x0
	v_cmp_eq_u32_e32 vcc_lo, 2, v48
	s_cbranch_vccnz .LBB100_306
; %bb.305:
	v_lshlrev_b32_e32 v48, 4, v48
	s_delay_alu instid0(VALU_DEP_1)
	v_mov_b32_e32 v56, v48
	s_clause 0x1
	scratch_load_b128 v[48:51], off, s18
	scratch_load_b128 v[52:55], v56, off offset:-16
	s_wait_loadcnt 0x1
	ds_store_2addr_b64 v0, v[48:49], v[50:51] offset1:1
	s_wait_loadcnt 0x0
	s_clause 0x1
	scratch_store_b128 off, v[52:55], s18
	scratch_store_b128 v56, v[48:51], off offset:-16
.LBB100_306:
	global_load_b32 v1, v1, s[8:9]
	s_wait_loadcnt 0x0
	v_cmp_eq_u32_e32 vcc_lo, 1, v1
	s_cbranch_vccnz .LBB100_308
; %bb.307:
	s_wait_xcnt 0x0
	v_lshlrev_b32_e32 v1, 4, v1
	scratch_load_b128 v[48:51], off, off
	scratch_load_b128 v[52:55], v1, off offset:-16
	s_wait_loadcnt 0x1
	ds_store_2addr_b64 v0, v[48:49], v[50:51] offset1:1
	s_wait_loadcnt 0x0
	scratch_store_b128 off, v[52:55], off
	scratch_store_b128 v1, v[48:51], off offset:-16
.LBB100_308:
	scratch_load_b128 v[48:51], off, off
	s_wait_loadcnt 0x0
	flat_store_b128 v[14:15], v[48:51]
	scratch_load_b128 v[48:51], off, s18
	s_wait_loadcnt 0x0
	flat_store_b128 v[16:17], v[48:51]
	scratch_load_b128 v[14:17], off, s16
	;; [unrolled: 3-line block ×36, first 2 shown]
	s_wait_loadcnt 0x0
	flat_store_b128 v[2:3], v[4:7]
	s_sendmsg sendmsg(MSG_DEALLOC_VGPRS)
	s_endpgm
	.section	.rodata,"a",@progbits
	.p2align	6, 0x0
	.amdhsa_kernel _ZN9rocsolver6v33100L18getri_kernel_smallILi37E19rocblas_complex_numIdEPKPS3_EEvT1_iilPiilS8_bb
		.amdhsa_group_segment_fixed_size 2216
		.amdhsa_private_segment_fixed_size 608
		.amdhsa_kernarg_size 60
		.amdhsa_user_sgpr_count 4
		.amdhsa_user_sgpr_dispatch_ptr 1
		.amdhsa_user_sgpr_queue_ptr 0
		.amdhsa_user_sgpr_kernarg_segment_ptr 1
		.amdhsa_user_sgpr_dispatch_id 0
		.amdhsa_user_sgpr_kernarg_preload_length 0
		.amdhsa_user_sgpr_kernarg_preload_offset 0
		.amdhsa_user_sgpr_private_segment_size 0
		.amdhsa_wavefront_size32 1
		.amdhsa_uses_dynamic_stack 0
		.amdhsa_enable_private_segment 1
		.amdhsa_system_sgpr_workgroup_id_x 1
		.amdhsa_system_sgpr_workgroup_id_y 0
		.amdhsa_system_sgpr_workgroup_id_z 0
		.amdhsa_system_sgpr_workgroup_info 0
		.amdhsa_system_vgpr_workitem_id 2
		.amdhsa_next_free_vgpr 156
		.amdhsa_next_free_sgpr 66
		.amdhsa_named_barrier_count 0
		.amdhsa_reserve_vcc 1
		.amdhsa_float_round_mode_32 0
		.amdhsa_float_round_mode_16_64 0
		.amdhsa_float_denorm_mode_32 3
		.amdhsa_float_denorm_mode_16_64 3
		.amdhsa_fp16_overflow 0
		.amdhsa_memory_ordered 1
		.amdhsa_forward_progress 1
		.amdhsa_inst_pref_size 255
		.amdhsa_round_robin_scheduling 0
		.amdhsa_exception_fp_ieee_invalid_op 0
		.amdhsa_exception_fp_denorm_src 0
		.amdhsa_exception_fp_ieee_div_zero 0
		.amdhsa_exception_fp_ieee_overflow 0
		.amdhsa_exception_fp_ieee_underflow 0
		.amdhsa_exception_fp_ieee_inexact 0
		.amdhsa_exception_int_div_zero 0
	.end_amdhsa_kernel
	.section	.text._ZN9rocsolver6v33100L18getri_kernel_smallILi37E19rocblas_complex_numIdEPKPS3_EEvT1_iilPiilS8_bb,"axG",@progbits,_ZN9rocsolver6v33100L18getri_kernel_smallILi37E19rocblas_complex_numIdEPKPS3_EEvT1_iilPiilS8_bb,comdat
.Lfunc_end100:
	.size	_ZN9rocsolver6v33100L18getri_kernel_smallILi37E19rocblas_complex_numIdEPKPS3_EEvT1_iilPiilS8_bb, .Lfunc_end100-_ZN9rocsolver6v33100L18getri_kernel_smallILi37E19rocblas_complex_numIdEPKPS3_EEvT1_iilPiilS8_bb
                                        ; -- End function
	.set _ZN9rocsolver6v33100L18getri_kernel_smallILi37E19rocblas_complex_numIdEPKPS3_EEvT1_iilPiilS8_bb.num_vgpr, 156
	.set _ZN9rocsolver6v33100L18getri_kernel_smallILi37E19rocblas_complex_numIdEPKPS3_EEvT1_iilPiilS8_bb.num_agpr, 0
	.set _ZN9rocsolver6v33100L18getri_kernel_smallILi37E19rocblas_complex_numIdEPKPS3_EEvT1_iilPiilS8_bb.numbered_sgpr, 66
	.set _ZN9rocsolver6v33100L18getri_kernel_smallILi37E19rocblas_complex_numIdEPKPS3_EEvT1_iilPiilS8_bb.num_named_barrier, 0
	.set _ZN9rocsolver6v33100L18getri_kernel_smallILi37E19rocblas_complex_numIdEPKPS3_EEvT1_iilPiilS8_bb.private_seg_size, 608
	.set _ZN9rocsolver6v33100L18getri_kernel_smallILi37E19rocblas_complex_numIdEPKPS3_EEvT1_iilPiilS8_bb.uses_vcc, 1
	.set _ZN9rocsolver6v33100L18getri_kernel_smallILi37E19rocblas_complex_numIdEPKPS3_EEvT1_iilPiilS8_bb.uses_flat_scratch, 1
	.set _ZN9rocsolver6v33100L18getri_kernel_smallILi37E19rocblas_complex_numIdEPKPS3_EEvT1_iilPiilS8_bb.has_dyn_sized_stack, 0
	.set _ZN9rocsolver6v33100L18getri_kernel_smallILi37E19rocblas_complex_numIdEPKPS3_EEvT1_iilPiilS8_bb.has_recursion, 0
	.set _ZN9rocsolver6v33100L18getri_kernel_smallILi37E19rocblas_complex_numIdEPKPS3_EEvT1_iilPiilS8_bb.has_indirect_call, 0
	.section	.AMDGPU.csdata,"",@progbits
; Kernel info:
; codeLenInByte = 57724
; TotalNumSgprs: 68
; NumVgprs: 156
; ScratchSize: 608
; MemoryBound: 0
; FloatMode: 240
; IeeeMode: 1
; LDSByteSize: 2216 bytes/workgroup (compile time only)
; SGPRBlocks: 0
; VGPRBlocks: 9
; NumSGPRsForWavesPerEU: 68
; NumVGPRsForWavesPerEU: 156
; NamedBarCnt: 0
; Occupancy: 6
; WaveLimiterHint : 1
; COMPUTE_PGM_RSRC2:SCRATCH_EN: 1
; COMPUTE_PGM_RSRC2:USER_SGPR: 4
; COMPUTE_PGM_RSRC2:TRAP_HANDLER: 0
; COMPUTE_PGM_RSRC2:TGID_X_EN: 1
; COMPUTE_PGM_RSRC2:TGID_Y_EN: 0
; COMPUTE_PGM_RSRC2:TGID_Z_EN: 0
; COMPUTE_PGM_RSRC2:TIDIG_COMP_CNT: 2
	.section	.text._ZN9rocsolver6v33100L18getri_kernel_smallILi38E19rocblas_complex_numIdEPKPS3_EEvT1_iilPiilS8_bb,"axG",@progbits,_ZN9rocsolver6v33100L18getri_kernel_smallILi38E19rocblas_complex_numIdEPKPS3_EEvT1_iilPiilS8_bb,comdat
	.globl	_ZN9rocsolver6v33100L18getri_kernel_smallILi38E19rocblas_complex_numIdEPKPS3_EEvT1_iilPiilS8_bb ; -- Begin function _ZN9rocsolver6v33100L18getri_kernel_smallILi38E19rocblas_complex_numIdEPKPS3_EEvT1_iilPiilS8_bb
	.p2align	8
	.type	_ZN9rocsolver6v33100L18getri_kernel_smallILi38E19rocblas_complex_numIdEPKPS3_EEvT1_iilPiilS8_bb,@function
_ZN9rocsolver6v33100L18getri_kernel_smallILi38E19rocblas_complex_numIdEPKPS3_EEvT1_iilPiilS8_bb: ; @_ZN9rocsolver6v33100L18getri_kernel_smallILi38E19rocblas_complex_numIdEPKPS3_EEvT1_iilPiilS8_bb
; %bb.0:
	v_and_b32_e32 v1, 0x3ff, v0
	s_mov_b32 s4, exec_lo
	s_delay_alu instid0(VALU_DEP_1)
	v_cmpx_gt_u32_e32 38, v1
	s_cbranch_execz .LBB101_166
; %bb.1:
	s_clause 0x1
	s_load_b32 s16, s[2:3], 0x38
	s_load_b64 s[8:9], s[2:3], 0x0
	s_getreg_b32 s6, hwreg(HW_REG_IB_STS2, 6, 4)
	s_wait_kmcnt 0x0
	s_bitcmp1_b32 s16, 8
	s_cselect_b32 s50, -1, 0
	s_bfe_u32 s4, ttmp6, 0x4000c
	s_and_b32 s5, ttmp6, 15
	s_add_co_i32 s4, s4, 1
	s_delay_alu instid0(SALU_CYCLE_1) | instskip(NEXT) | instid1(SALU_CYCLE_1)
	s_mul_i32 s4, ttmp9, s4
	s_add_co_i32 s5, s5, s4
	s_cmp_eq_u32 s6, 0
	s_cselect_b32 s10, ttmp9, s5
	s_load_b128 s[4:7], s[2:3], 0x28
	s_ashr_i32 s11, s10, 31
	s_delay_alu instid0(SALU_CYCLE_1) | instskip(NEXT) | instid1(SALU_CYCLE_1)
	s_lshl_b64 s[12:13], s[10:11], 3
	s_add_nc_u64 s[8:9], s[8:9], s[12:13]
	s_load_b64 s[14:15], s[8:9], 0x0
	s_wait_xcnt 0x0
	s_bfe_u32 s8, s16, 0x10008
	s_delay_alu instid0(SALU_CYCLE_1)
	s_cmp_eq_u32 s8, 0
                                        ; implicit-def: $sgpr8_sgpr9
	s_cbranch_scc1 .LBB101_3
; %bb.2:
	s_load_b96 s[16:18], s[2:3], 0x18
	s_wait_kmcnt 0x0
	s_mul_u64 s[4:5], s[4:5], s[10:11]
	s_delay_alu instid0(SALU_CYCLE_1) | instskip(SKIP_4) | instid1(SALU_CYCLE_1)
	s_lshl_b64 s[4:5], s[4:5], 2
	s_ashr_i32 s9, s18, 31
	s_mov_b32 s8, s18
	s_add_nc_u64 s[4:5], s[16:17], s[4:5]
	s_lshl_b64 s[8:9], s[8:9], 2
	s_add_nc_u64 s[8:9], s[4:5], s[8:9]
.LBB101_3:
	s_clause 0x1
	s_load_b64 s[12:13], s[2:3], 0x8
	s_load_b32 s51, s[2:3], 0x38
	v_dual_mov_b32 v91, 0 :: v_dual_lshlrev_b32 v90, 4, v1
	s_movk_i32 s52, 0x170
	s_movk_i32 s53, 0x180
	s_movk_i32 s54, 0x190
	s_movk_i32 s55, 0x1a0
	s_movk_i32 s56, 0x1b0
	s_movk_i32 s57, 0x1c0
	s_movk_i32 s58, 0x1d0
	s_movk_i32 s59, 0x1e0
	s_movk_i32 s60, 0x1f0
	s_movk_i32 s61, 0x200
	s_movk_i32 s62, 0x210
	s_movk_i32 s63, 0x220
	s_movk_i32 s64, 0x230
	s_movk_i32 s65, 0x240
	s_movk_i32 s66, 0x250
	s_mov_b32 s18, 16
	s_wait_kmcnt 0x0
	s_ashr_i32 s3, s12, 31
	s_mov_b32 s2, s12
	v_add3_u32 v18, s13, s13, v1
	s_lshl_b64 s[2:3], s[2:3], 4
	s_mov_b32 s16, 32
	s_add_nc_u64 s[4:5], s[14:15], s[2:3]
	s_ashr_i32 s3, s13, 31
	flat_load_b128 v[2:5], v1, s[4:5] scale_offset
	v_add_nc_u64_e32 v[14:15], s[4:5], v[90:91]
	s_mov_b32 s2, s13
	v_add_nc_u32_e32 v20, s13, v18
	s_mov_b32 s14, 48
	s_mov_b32 s12, 64
	s_movk_i32 s49, 0x50
	s_movk_i32 s48, 0x60
	v_lshl_add_u64 v[16:17], s[2:3], 4, v[14:15]
	v_add_nc_u32_e32 v22, s13, v20
	s_movk_i32 s47, 0x70
	s_movk_i32 s46, 0x80
	s_movk_i32 s45, 0x90
	s_movk_i32 s44, 0xa0
	v_add_nc_u32_e32 v24, s13, v22
	s_movk_i32 s43, 0xb0
	s_movk_i32 s42, 0xc0
	s_movk_i32 s41, 0xd0
	s_movk_i32 s40, 0xe0
	;; [unrolled: 5-line block ×4, first 2 shown]
	v_add_nc_u32_e32 v28, s13, v30
	s_mov_b32 s30, s52
	s_mov_b32 s29, s53
	s_mov_b32 s28, s54
	s_mov_b32 s27, s55
	v_add_nc_u32_e32 v32, s13, v28
	s_mov_b32 s26, s56
	s_mov_b32 s25, s57
	s_mov_b32 s24, s58
	s_mov_b32 s23, s59
	;; [unrolled: 5-line block ×3, first 2 shown]
	v_add_nc_u32_e32 v36, s13, v34
	s_mov_b32 s17, s64
	s_mov_b32 s15, s65
	s_bitcmp0_b32 s51, 0
	s_mov_b32 s3, -1
	v_add_nc_u32_e32 v38, s13, v36
	s_delay_alu instid0(VALU_DEP_1) | instskip(NEXT) | instid1(VALU_DEP_1)
	v_add_nc_u32_e32 v40, s13, v38
	v_add_nc_u32_e32 v42, s13, v40
	s_delay_alu instid0(VALU_DEP_1) | instskip(NEXT) | instid1(VALU_DEP_1)
	v_add_nc_u32_e32 v44, s13, v42
	;; [unrolled: 3-line block ×12, first 2 shown]
	v_add_nc_u32_e32 v86, s13, v84
	s_delay_alu instid0(VALU_DEP_1)
	v_add_nc_u32_e32 v88, s13, v86
	s_mov_b32 s13, s66
	s_wait_loadcnt_dscnt 0x0
	scratch_store_b128 off, v[2:5], off
	flat_load_b128 v[2:5], v[16:17]
	s_wait_loadcnt_dscnt 0x0
	scratch_store_b128 off, v[2:5], off offset:16
	flat_load_b128 v[2:5], v18, s[4:5] scale_offset
	s_wait_loadcnt_dscnt 0x0
	scratch_store_b128 off, v[2:5], off offset:32
	flat_load_b128 v[2:5], v20, s[4:5] scale_offset
	s_wait_loadcnt_dscnt 0x0
	scratch_store_b128 off, v[2:5], off offset:48
	flat_load_b128 v[2:5], v22, s[4:5] scale_offset
	s_wait_loadcnt_dscnt 0x0
	scratch_store_b128 off, v[2:5], off offset:64
	flat_load_b128 v[2:5], v24, s[4:5] scale_offset
	s_wait_loadcnt_dscnt 0x0
	scratch_store_b128 off, v[2:5], off offset:80
	flat_load_b128 v[2:5], v26, s[4:5] scale_offset
	s_wait_loadcnt_dscnt 0x0
	scratch_store_b128 off, v[2:5], off offset:96
	flat_load_b128 v[2:5], v30, s[4:5] scale_offset
	s_wait_loadcnt_dscnt 0x0
	scratch_store_b128 off, v[2:5], off offset:112
	flat_load_b128 v[2:5], v28, s[4:5] scale_offset
	s_wait_loadcnt_dscnt 0x0
	scratch_store_b128 off, v[2:5], off offset:128
	flat_load_b128 v[2:5], v32, s[4:5] scale_offset
	s_wait_loadcnt_dscnt 0x0
	scratch_store_b128 off, v[2:5], off offset:144
	flat_load_b128 v[2:5], v34, s[4:5] scale_offset
	s_wait_loadcnt_dscnt 0x0
	scratch_store_b128 off, v[2:5], off offset:160
	flat_load_b128 v[2:5], v36, s[4:5] scale_offset
	s_wait_loadcnt_dscnt 0x0
	scratch_store_b128 off, v[2:5], off offset:176
	flat_load_b128 v[2:5], v38, s[4:5] scale_offset
	s_wait_loadcnt_dscnt 0x0
	scratch_store_b128 off, v[2:5], off offset:192
	flat_load_b128 v[2:5], v40, s[4:5] scale_offset
	s_wait_loadcnt_dscnt 0x0
	scratch_store_b128 off, v[2:5], off offset:208
	flat_load_b128 v[2:5], v42, s[4:5] scale_offset
	s_wait_loadcnt_dscnt 0x0
	scratch_store_b128 off, v[2:5], off offset:224
	flat_load_b128 v[2:5], v44, s[4:5] scale_offset
	s_wait_loadcnt_dscnt 0x0
	scratch_store_b128 off, v[2:5], off offset:240
	flat_load_b128 v[2:5], v46, s[4:5] scale_offset
	s_wait_loadcnt_dscnt 0x0
	scratch_store_b128 off, v[2:5], off offset:256
	flat_load_b128 v[2:5], v48, s[4:5] scale_offset
	s_wait_loadcnt_dscnt 0x0
	scratch_store_b128 off, v[2:5], off offset:272
	flat_load_b128 v[2:5], v50, s[4:5] scale_offset
	s_wait_loadcnt_dscnt 0x0
	scratch_store_b128 off, v[2:5], off offset:288
	flat_load_b128 v[2:5], v52, s[4:5] scale_offset
	s_wait_loadcnt_dscnt 0x0
	scratch_store_b128 off, v[2:5], off offset:304
	flat_load_b128 v[2:5], v54, s[4:5] scale_offset
	s_wait_loadcnt_dscnt 0x0
	scratch_store_b128 off, v[2:5], off offset:320
	flat_load_b128 v[2:5], v56, s[4:5] scale_offset
	s_wait_loadcnt_dscnt 0x0
	scratch_store_b128 off, v[2:5], off offset:336
	flat_load_b128 v[2:5], v58, s[4:5] scale_offset
	s_wait_loadcnt_dscnt 0x0
	scratch_store_b128 off, v[2:5], off offset:352
	flat_load_b128 v[2:5], v60, s[4:5] scale_offset
	s_wait_loadcnt_dscnt 0x0
	scratch_store_b128 off, v[2:5], off offset:368
	flat_load_b128 v[2:5], v62, s[4:5] scale_offset
	s_wait_loadcnt_dscnt 0x0
	scratch_store_b128 off, v[2:5], off offset:384
	flat_load_b128 v[2:5], v64, s[4:5] scale_offset
	s_wait_loadcnt_dscnt 0x0
	scratch_store_b128 off, v[2:5], off offset:400
	flat_load_b128 v[2:5], v66, s[4:5] scale_offset
	s_wait_loadcnt_dscnt 0x0
	scratch_store_b128 off, v[2:5], off offset:416
	flat_load_b128 v[2:5], v68, s[4:5] scale_offset
	s_wait_loadcnt_dscnt 0x0
	scratch_store_b128 off, v[2:5], off offset:432
	flat_load_b128 v[2:5], v70, s[4:5] scale_offset
	s_wait_loadcnt_dscnt 0x0
	scratch_store_b128 off, v[2:5], off offset:448
	flat_load_b128 v[2:5], v72, s[4:5] scale_offset
	s_wait_loadcnt_dscnt 0x0
	scratch_store_b128 off, v[2:5], off offset:464
	flat_load_b128 v[2:5], v74, s[4:5] scale_offset
	s_wait_loadcnt_dscnt 0x0
	scratch_store_b128 off, v[2:5], off offset:480
	flat_load_b128 v[2:5], v76, s[4:5] scale_offset
	s_wait_loadcnt_dscnt 0x0
	scratch_store_b128 off, v[2:5], off offset:496
	flat_load_b128 v[2:5], v78, s[4:5] scale_offset
	s_wait_loadcnt_dscnt 0x0
	scratch_store_b128 off, v[2:5], off offset:512
	flat_load_b128 v[2:5], v80, s[4:5] scale_offset
	s_wait_loadcnt_dscnt 0x0
	scratch_store_b128 off, v[2:5], off offset:528
	flat_load_b128 v[2:5], v82, s[4:5] scale_offset
	s_wait_loadcnt_dscnt 0x0
	scratch_store_b128 off, v[2:5], off offset:544
	flat_load_b128 v[2:5], v84, s[4:5] scale_offset
	s_wait_loadcnt_dscnt 0x0
	scratch_store_b128 off, v[2:5], off offset:560
	flat_load_b128 v[2:5], v86, s[4:5] scale_offset
	s_wait_loadcnt_dscnt 0x0
	scratch_store_b128 off, v[2:5], off offset:576
	flat_load_b128 v[2:5], v88, s[4:5] scale_offset
	s_wait_loadcnt_dscnt 0x0
	scratch_store_b128 off, v[2:5], off offset:592
	s_cbranch_scc1 .LBB101_164
; %bb.4:
	v_cmp_eq_u32_e64 s2, 0, v1
	s_wait_xcnt 0x0
	s_and_saveexec_b32 s3, s2
; %bb.5:
	v_mov_b32_e32 v2, 0
	ds_store_b32 v2, v2 offset:1216
; %bb.6:
	s_or_b32 exec_lo, exec_lo, s3
	s_wait_storecnt_dscnt 0x0
	s_barrier_signal -1
	s_barrier_wait -1
	scratch_load_b128 v[2:5], v1, off scale_offset
	s_wait_loadcnt 0x0
	v_cmp_eq_f64_e32 vcc_lo, 0, v[2:3]
	v_cmp_eq_f64_e64 s3, 0, v[4:5]
	s_and_b32 s3, vcc_lo, s3
	s_delay_alu instid0(SALU_CYCLE_1)
	s_and_saveexec_b32 s51, s3
	s_cbranch_execz .LBB101_10
; %bb.7:
	v_mov_b32_e32 v2, 0
	s_mov_b32 s52, 0
	ds_load_b32 v3, v2 offset:1216
	s_wait_dscnt 0x0
	v_readfirstlane_b32 s3, v3
	v_add_nc_u32_e32 v3, 1, v1
	s_cmp_eq_u32 s3, 0
	s_delay_alu instid0(VALU_DEP_1) | instskip(SKIP_1) | instid1(SALU_CYCLE_1)
	v_cmp_gt_i32_e32 vcc_lo, s3, v3
	s_cselect_b32 s53, -1, 0
	s_or_b32 s53, s53, vcc_lo
	s_delay_alu instid0(SALU_CYCLE_1)
	s_and_b32 exec_lo, exec_lo, s53
	s_cbranch_execz .LBB101_10
; %bb.8:
	v_mov_b32_e32 v4, s3
.LBB101_9:                              ; =>This Inner Loop Header: Depth=1
	ds_cmpstore_rtn_b32 v4, v2, v3, v4 offset:1216
	s_wait_dscnt 0x0
	v_cmp_ne_u32_e32 vcc_lo, 0, v4
	v_cmp_le_i32_e64 s3, v4, v3
	s_and_b32 s3, vcc_lo, s3
	s_delay_alu instid0(SALU_CYCLE_1) | instskip(NEXT) | instid1(SALU_CYCLE_1)
	s_and_b32 s3, exec_lo, s3
	s_or_b32 s52, s3, s52
	s_delay_alu instid0(SALU_CYCLE_1)
	s_and_not1_b32 exec_lo, exec_lo, s52
	s_cbranch_execnz .LBB101_9
.LBB101_10:
	s_or_b32 exec_lo, exec_lo, s51
	v_mov_b32_e32 v2, 0
	s_barrier_signal -1
	s_barrier_wait -1
	ds_load_b32 v3, v2 offset:1216
	s_and_saveexec_b32 s3, s2
	s_cbranch_execz .LBB101_12
; %bb.11:
	s_lshl_b64 s[52:53], s[10:11], 2
	s_delay_alu instid0(SALU_CYCLE_1)
	s_add_nc_u64 s[52:53], s[6:7], s[52:53]
	s_wait_dscnt 0x0
	global_store_b32 v2, v3, s[52:53]
.LBB101_12:
	s_wait_xcnt 0x0
	s_or_b32 exec_lo, exec_lo, s3
	s_wait_dscnt 0x0
	v_cmp_ne_u32_e32 vcc_lo, 0, v3
	s_mov_b32 s3, 0
	s_cbranch_vccnz .LBB101_164
; %bb.13:
	v_lshl_add_u32 v19, v1, 4, 0
                                        ; implicit-def: $vgpr6_vgpr7
                                        ; implicit-def: $vgpr10_vgpr11
	scratch_load_b128 v[2:5], v19, off
	s_wait_loadcnt 0x0
	v_cmp_ngt_f64_e64 s3, |v[2:3]|, |v[4:5]|
	s_wait_xcnt 0x0
	s_and_saveexec_b32 s51, s3
	s_delay_alu instid0(SALU_CYCLE_1)
	s_xor_b32 s3, exec_lo, s51
	s_cbranch_execz .LBB101_15
; %bb.14:
	v_div_scale_f64 v[6:7], null, v[4:5], v[4:5], v[2:3]
	v_div_scale_f64 v[12:13], vcc_lo, v[2:3], v[4:5], v[2:3]
	s_delay_alu instid0(VALU_DEP_2) | instskip(SKIP_1) | instid1(TRANS32_DEP_1)
	v_rcp_f64_e32 v[8:9], v[6:7]
	v_nop
	v_fma_f64 v[10:11], -v[6:7], v[8:9], 1.0
	s_delay_alu instid0(VALU_DEP_1) | instskip(NEXT) | instid1(VALU_DEP_1)
	v_fmac_f64_e32 v[8:9], v[8:9], v[10:11]
	v_fma_f64 v[10:11], -v[6:7], v[8:9], 1.0
	s_delay_alu instid0(VALU_DEP_1) | instskip(NEXT) | instid1(VALU_DEP_1)
	v_fmac_f64_e32 v[8:9], v[8:9], v[10:11]
	v_mul_f64_e32 v[10:11], v[12:13], v[8:9]
	s_delay_alu instid0(VALU_DEP_1) | instskip(NEXT) | instid1(VALU_DEP_1)
	v_fma_f64 v[6:7], -v[6:7], v[10:11], v[12:13]
	v_div_fmas_f64 v[6:7], v[6:7], v[8:9], v[10:11]
	s_delay_alu instid0(VALU_DEP_1) | instskip(NEXT) | instid1(VALU_DEP_1)
	v_div_fixup_f64 v[6:7], v[6:7], v[4:5], v[2:3]
	v_fmac_f64_e32 v[4:5], v[2:3], v[6:7]
	s_delay_alu instid0(VALU_DEP_1) | instskip(SKIP_1) | instid1(VALU_DEP_2)
	v_div_scale_f64 v[2:3], null, v[4:5], v[4:5], 1.0
	v_div_scale_f64 v[12:13], vcc_lo, 1.0, v[4:5], 1.0
	v_rcp_f64_e32 v[8:9], v[2:3]
	v_nop
	s_delay_alu instid0(TRANS32_DEP_1) | instskip(NEXT) | instid1(VALU_DEP_1)
	v_fma_f64 v[10:11], -v[2:3], v[8:9], 1.0
	v_fmac_f64_e32 v[8:9], v[8:9], v[10:11]
	s_delay_alu instid0(VALU_DEP_1) | instskip(NEXT) | instid1(VALU_DEP_1)
	v_fma_f64 v[10:11], -v[2:3], v[8:9], 1.0
	v_fmac_f64_e32 v[8:9], v[8:9], v[10:11]
	s_delay_alu instid0(VALU_DEP_1) | instskip(NEXT) | instid1(VALU_DEP_1)
	v_mul_f64_e32 v[10:11], v[12:13], v[8:9]
	v_fma_f64 v[2:3], -v[2:3], v[10:11], v[12:13]
	s_delay_alu instid0(VALU_DEP_1) | instskip(NEXT) | instid1(VALU_DEP_1)
	v_div_fmas_f64 v[2:3], v[2:3], v[8:9], v[10:11]
	v_div_fixup_f64 v[8:9], v[2:3], v[4:5], 1.0
                                        ; implicit-def: $vgpr2_vgpr3
	s_delay_alu instid0(VALU_DEP_1) | instskip(SKIP_1) | instid1(VALU_DEP_2)
	v_mul_f64_e32 v[6:7], v[6:7], v[8:9]
	v_xor_b32_e32 v9, 0x80000000, v9
	v_xor_b32_e32 v11, 0x80000000, v7
	s_delay_alu instid0(VALU_DEP_3)
	v_mov_b32_e32 v10, v6
.LBB101_15:
	s_and_not1_saveexec_b32 s3, s3
	s_cbranch_execz .LBB101_17
; %bb.16:
	v_div_scale_f64 v[6:7], null, v[2:3], v[2:3], v[4:5]
	v_div_scale_f64 v[12:13], vcc_lo, v[4:5], v[2:3], v[4:5]
	s_delay_alu instid0(VALU_DEP_2) | instskip(SKIP_1) | instid1(TRANS32_DEP_1)
	v_rcp_f64_e32 v[8:9], v[6:7]
	v_nop
	v_fma_f64 v[10:11], -v[6:7], v[8:9], 1.0
	s_delay_alu instid0(VALU_DEP_1) | instskip(NEXT) | instid1(VALU_DEP_1)
	v_fmac_f64_e32 v[8:9], v[8:9], v[10:11]
	v_fma_f64 v[10:11], -v[6:7], v[8:9], 1.0
	s_delay_alu instid0(VALU_DEP_1) | instskip(NEXT) | instid1(VALU_DEP_1)
	v_fmac_f64_e32 v[8:9], v[8:9], v[10:11]
	v_mul_f64_e32 v[10:11], v[12:13], v[8:9]
	s_delay_alu instid0(VALU_DEP_1) | instskip(NEXT) | instid1(VALU_DEP_1)
	v_fma_f64 v[6:7], -v[6:7], v[10:11], v[12:13]
	v_div_fmas_f64 v[6:7], v[6:7], v[8:9], v[10:11]
	s_delay_alu instid0(VALU_DEP_1) | instskip(NEXT) | instid1(VALU_DEP_1)
	v_div_fixup_f64 v[8:9], v[6:7], v[2:3], v[4:5]
	v_fmac_f64_e32 v[2:3], v[4:5], v[8:9]
	s_delay_alu instid0(VALU_DEP_1) | instskip(NEXT) | instid1(VALU_DEP_1)
	v_div_scale_f64 v[4:5], null, v[2:3], v[2:3], 1.0
	v_rcp_f64_e32 v[6:7], v[4:5]
	v_nop
	s_delay_alu instid0(TRANS32_DEP_1) | instskip(NEXT) | instid1(VALU_DEP_1)
	v_fma_f64 v[10:11], -v[4:5], v[6:7], 1.0
	v_fmac_f64_e32 v[6:7], v[6:7], v[10:11]
	s_delay_alu instid0(VALU_DEP_1) | instskip(NEXT) | instid1(VALU_DEP_1)
	v_fma_f64 v[10:11], -v[4:5], v[6:7], 1.0
	v_fmac_f64_e32 v[6:7], v[6:7], v[10:11]
	v_div_scale_f64 v[10:11], vcc_lo, 1.0, v[2:3], 1.0
	s_delay_alu instid0(VALU_DEP_1) | instskip(NEXT) | instid1(VALU_DEP_1)
	v_mul_f64_e32 v[12:13], v[10:11], v[6:7]
	v_fma_f64 v[4:5], -v[4:5], v[12:13], v[10:11]
	s_delay_alu instid0(VALU_DEP_1) | instskip(NEXT) | instid1(VALU_DEP_1)
	v_div_fmas_f64 v[4:5], v[4:5], v[6:7], v[12:13]
	v_div_fixup_f64 v[6:7], v[4:5], v[2:3], 1.0
	s_delay_alu instid0(VALU_DEP_1)
	v_mul_f64_e64 v[8:9], v[8:9], -v[6:7]
	v_xor_b32_e32 v11, 0x80000000, v7
	v_mov_b32_e32 v10, v6
.LBB101_17:
	s_or_b32 exec_lo, exec_lo, s3
	s_clause 0x1
	scratch_store_b128 v19, v[6:9], off
	scratch_load_b128 v[2:5], off, s18
	v_xor_b32_e32 v13, 0x80000000, v9
	v_mov_b32_e32 v12, v8
	s_wait_xcnt 0x1
	v_add_nc_u32_e32 v6, 0x260, v90
	ds_store_b128 v90, v[10:13]
	s_wait_loadcnt 0x0
	ds_store_b128 v90, v[2:5] offset:608
	s_wait_storecnt_dscnt 0x0
	s_barrier_signal -1
	s_barrier_wait -1
	s_wait_xcnt 0x0
	s_and_saveexec_b32 s3, s2
	s_cbranch_execz .LBB101_19
; %bb.18:
	scratch_load_b128 v[2:5], v19, off
	ds_load_b128 v[8:11], v6
	v_mov_b32_e32 v7, 0
	ds_load_b128 v[92:95], v7 offset:16
	s_wait_loadcnt_dscnt 0x1
	v_mul_f64_e32 v[12:13], v[8:9], v[4:5]
	v_mul_f64_e32 v[4:5], v[10:11], v[4:5]
	s_delay_alu instid0(VALU_DEP_2) | instskip(NEXT) | instid1(VALU_DEP_2)
	v_fmac_f64_e32 v[12:13], v[10:11], v[2:3]
	v_fma_f64 v[2:3], v[8:9], v[2:3], -v[4:5]
	s_delay_alu instid0(VALU_DEP_2) | instskip(NEXT) | instid1(VALU_DEP_2)
	v_add_f64_e32 v[8:9], 0, v[12:13]
	v_add_f64_e32 v[2:3], 0, v[2:3]
	s_wait_dscnt 0x0
	s_delay_alu instid0(VALU_DEP_2) | instskip(NEXT) | instid1(VALU_DEP_2)
	v_mul_f64_e32 v[10:11], v[8:9], v[94:95]
	v_mul_f64_e32 v[4:5], v[2:3], v[94:95]
	s_delay_alu instid0(VALU_DEP_2) | instskip(NEXT) | instid1(VALU_DEP_2)
	v_fma_f64 v[2:3], v[2:3], v[92:93], -v[10:11]
	v_fmac_f64_e32 v[4:5], v[8:9], v[92:93]
	scratch_store_b128 off, v[2:5], off offset:16
.LBB101_19:
	s_wait_xcnt 0x0
	s_or_b32 exec_lo, exec_lo, s3
	s_wait_storecnt 0x0
	s_barrier_signal -1
	s_barrier_wait -1
	scratch_load_b128 v[2:5], off, s16
	s_mov_b32 s3, exec_lo
	s_wait_loadcnt 0x0
	ds_store_b128 v6, v[2:5]
	s_wait_dscnt 0x0
	s_barrier_signal -1
	s_barrier_wait -1
	v_cmpx_gt_u32_e32 2, v1
	s_cbranch_execz .LBB101_23
; %bb.20:
	scratch_load_b128 v[2:5], v19, off
	ds_load_b128 v[8:11], v6
	s_wait_loadcnt_dscnt 0x0
	v_mul_f64_e32 v[12:13], v[10:11], v[4:5]
	v_mul_f64_e32 v[92:93], v[8:9], v[4:5]
	s_delay_alu instid0(VALU_DEP_2) | instskip(NEXT) | instid1(VALU_DEP_2)
	v_fma_f64 v[4:5], v[8:9], v[2:3], -v[12:13]
	v_fmac_f64_e32 v[92:93], v[10:11], v[2:3]
	s_delay_alu instid0(VALU_DEP_2) | instskip(NEXT) | instid1(VALU_DEP_2)
	v_add_f64_e32 v[4:5], 0, v[4:5]
	v_add_f64_e32 v[2:3], 0, v[92:93]
	s_and_saveexec_b32 s51, s2
	s_cbranch_execz .LBB101_22
; %bb.21:
	scratch_load_b128 v[8:11], off, off offset:16
	v_mov_b32_e32 v7, 0
	ds_load_b128 v[92:95], v7 offset:624
	s_wait_loadcnt_dscnt 0x0
	v_mul_f64_e32 v[12:13], v[92:93], v[10:11]
	v_mul_f64_e32 v[10:11], v[94:95], v[10:11]
	s_delay_alu instid0(VALU_DEP_2) | instskip(NEXT) | instid1(VALU_DEP_2)
	v_fmac_f64_e32 v[12:13], v[94:95], v[8:9]
	v_fma_f64 v[8:9], v[92:93], v[8:9], -v[10:11]
	s_delay_alu instid0(VALU_DEP_2) | instskip(NEXT) | instid1(VALU_DEP_2)
	v_add_f64_e32 v[2:3], v[2:3], v[12:13]
	v_add_f64_e32 v[4:5], v[4:5], v[8:9]
.LBB101_22:
	s_or_b32 exec_lo, exec_lo, s51
	v_mov_b32_e32 v7, 0
	ds_load_b128 v[8:11], v7 offset:32
	s_wait_dscnt 0x0
	v_mul_f64_e32 v[92:93], v[2:3], v[10:11]
	v_mul_f64_e32 v[12:13], v[4:5], v[10:11]
	s_delay_alu instid0(VALU_DEP_2) | instskip(NEXT) | instid1(VALU_DEP_2)
	v_fma_f64 v[10:11], v[4:5], v[8:9], -v[92:93]
	v_fmac_f64_e32 v[12:13], v[2:3], v[8:9]
	scratch_store_b128 off, v[10:13], off offset:32
.LBB101_23:
	s_wait_xcnt 0x0
	s_or_b32 exec_lo, exec_lo, s3
	s_wait_storecnt 0x0
	s_barrier_signal -1
	s_barrier_wait -1
	scratch_load_b128 v[2:5], off, s14
	v_add_nc_u32_e32 v7, -1, v1
	s_mov_b32 s2, exec_lo
	s_wait_loadcnt 0x0
	ds_store_b128 v6, v[2:5]
	s_wait_dscnt 0x0
	s_barrier_signal -1
	s_barrier_wait -1
	v_cmpx_gt_u32_e32 3, v1
	s_cbranch_execz .LBB101_27
; %bb.24:
	v_dual_mov_b32 v10, v90 :: v_dual_add_nc_u32 v8, -1, v1
	v_mov_b64_e32 v[2:3], 0
	v_mov_b64_e32 v[4:5], 0
	v_add_nc_u32_e32 v9, 0x260, v90
	s_delay_alu instid0(VALU_DEP_4)
	v_or_b32_e32 v10, 8, v10
	s_mov_b32 s3, 0
.LBB101_25:                             ; =>This Inner Loop Header: Depth=1
	scratch_load_b128 v[92:95], v10, off offset:-8
	ds_load_b128 v[96:99], v9
	v_dual_add_nc_u32 v8, 1, v8 :: v_dual_add_nc_u32 v9, 16, v9
	s_wait_xcnt 0x0
	v_add_nc_u32_e32 v10, 16, v10
	s_delay_alu instid0(VALU_DEP_2) | instskip(SKIP_4) | instid1(VALU_DEP_2)
	v_cmp_lt_u32_e32 vcc_lo, 1, v8
	s_or_b32 s3, vcc_lo, s3
	s_wait_loadcnt_dscnt 0x0
	v_mul_f64_e32 v[12:13], v[98:99], v[94:95]
	v_mul_f64_e32 v[94:95], v[96:97], v[94:95]
	v_fma_f64 v[12:13], v[96:97], v[92:93], -v[12:13]
	s_delay_alu instid0(VALU_DEP_2) | instskip(NEXT) | instid1(VALU_DEP_2)
	v_fmac_f64_e32 v[94:95], v[98:99], v[92:93]
	v_add_f64_e32 v[4:5], v[4:5], v[12:13]
	s_delay_alu instid0(VALU_DEP_2)
	v_add_f64_e32 v[2:3], v[2:3], v[94:95]
	s_and_not1_b32 exec_lo, exec_lo, s3
	s_cbranch_execnz .LBB101_25
; %bb.26:
	s_or_b32 exec_lo, exec_lo, s3
	v_mov_b32_e32 v8, 0
	ds_load_b128 v[8:11], v8 offset:48
	s_wait_dscnt 0x0
	v_mul_f64_e32 v[92:93], v[2:3], v[10:11]
	v_mul_f64_e32 v[12:13], v[4:5], v[10:11]
	s_delay_alu instid0(VALU_DEP_2) | instskip(NEXT) | instid1(VALU_DEP_2)
	v_fma_f64 v[10:11], v[4:5], v[8:9], -v[92:93]
	v_fmac_f64_e32 v[12:13], v[2:3], v[8:9]
	scratch_store_b128 off, v[10:13], off offset:48
.LBB101_27:
	s_wait_xcnt 0x0
	s_or_b32 exec_lo, exec_lo, s2
	s_wait_storecnt 0x0
	s_barrier_signal -1
	s_barrier_wait -1
	scratch_load_b128 v[2:5], off, s12
	s_mov_b32 s2, exec_lo
	s_wait_loadcnt 0x0
	ds_store_b128 v6, v[2:5]
	s_wait_dscnt 0x0
	s_barrier_signal -1
	s_barrier_wait -1
	v_cmpx_gt_u32_e32 4, v1
	s_cbranch_execz .LBB101_31
; %bb.28:
	v_dual_mov_b32 v10, v90 :: v_dual_add_nc_u32 v8, -1, v1
	v_mov_b64_e32 v[2:3], 0
	v_mov_b64_e32 v[4:5], 0
	v_add_nc_u32_e32 v9, 0x260, v90
	s_delay_alu instid0(VALU_DEP_4)
	v_or_b32_e32 v10, 8, v10
	s_mov_b32 s3, 0
.LBB101_29:                             ; =>This Inner Loop Header: Depth=1
	scratch_load_b128 v[92:95], v10, off offset:-8
	ds_load_b128 v[96:99], v9
	v_dual_add_nc_u32 v8, 1, v8 :: v_dual_add_nc_u32 v9, 16, v9
	s_wait_xcnt 0x0
	v_add_nc_u32_e32 v10, 16, v10
	s_delay_alu instid0(VALU_DEP_2) | instskip(SKIP_4) | instid1(VALU_DEP_2)
	v_cmp_lt_u32_e32 vcc_lo, 2, v8
	s_or_b32 s3, vcc_lo, s3
	s_wait_loadcnt_dscnt 0x0
	v_mul_f64_e32 v[12:13], v[98:99], v[94:95]
	v_mul_f64_e32 v[94:95], v[96:97], v[94:95]
	v_fma_f64 v[12:13], v[96:97], v[92:93], -v[12:13]
	s_delay_alu instid0(VALU_DEP_2) | instskip(NEXT) | instid1(VALU_DEP_2)
	v_fmac_f64_e32 v[94:95], v[98:99], v[92:93]
	v_add_f64_e32 v[4:5], v[4:5], v[12:13]
	s_delay_alu instid0(VALU_DEP_2)
	v_add_f64_e32 v[2:3], v[2:3], v[94:95]
	s_and_not1_b32 exec_lo, exec_lo, s3
	s_cbranch_execnz .LBB101_29
; %bb.30:
	s_or_b32 exec_lo, exec_lo, s3
	v_mov_b32_e32 v8, 0
	ds_load_b128 v[8:11], v8 offset:64
	s_wait_dscnt 0x0
	v_mul_f64_e32 v[92:93], v[2:3], v[10:11]
	v_mul_f64_e32 v[12:13], v[4:5], v[10:11]
	s_delay_alu instid0(VALU_DEP_2) | instskip(NEXT) | instid1(VALU_DEP_2)
	v_fma_f64 v[10:11], v[4:5], v[8:9], -v[92:93]
	v_fmac_f64_e32 v[12:13], v[2:3], v[8:9]
	scratch_store_b128 off, v[10:13], off offset:64
.LBB101_31:
	s_wait_xcnt 0x0
	s_or_b32 exec_lo, exec_lo, s2
	s_wait_storecnt 0x0
	s_barrier_signal -1
	s_barrier_wait -1
	scratch_load_b128 v[2:5], off, s49
	;; [unrolled: 54-line block ×19, first 2 shown]
	s_mov_b32 s2, exec_lo
	s_wait_loadcnt 0x0
	ds_store_b128 v6, v[2:5]
	s_wait_dscnt 0x0
	s_barrier_signal -1
	s_barrier_wait -1
	v_cmpx_gt_u32_e32 22, v1
	s_cbranch_execz .LBB101_103
; %bb.100:
	v_dual_mov_b32 v10, v90 :: v_dual_add_nc_u32 v8, -1, v1
	v_mov_b64_e32 v[2:3], 0
	v_mov_b64_e32 v[4:5], 0
	v_add_nc_u32_e32 v9, 0x260, v90
	s_delay_alu instid0(VALU_DEP_4)
	v_or_b32_e32 v10, 8, v10
	s_mov_b32 s3, 0
.LBB101_101:                            ; =>This Inner Loop Header: Depth=1
	scratch_load_b128 v[92:95], v10, off offset:-8
	ds_load_b128 v[96:99], v9
	v_dual_add_nc_u32 v8, 1, v8 :: v_dual_add_nc_u32 v9, 16, v9
	s_wait_xcnt 0x0
	v_add_nc_u32_e32 v10, 16, v10
	s_delay_alu instid0(VALU_DEP_2) | instskip(SKIP_4) | instid1(VALU_DEP_2)
	v_cmp_lt_u32_e32 vcc_lo, 20, v8
	s_or_b32 s3, vcc_lo, s3
	s_wait_loadcnt_dscnt 0x0
	v_mul_f64_e32 v[12:13], v[98:99], v[94:95]
	v_mul_f64_e32 v[94:95], v[96:97], v[94:95]
	v_fma_f64 v[12:13], v[96:97], v[92:93], -v[12:13]
	s_delay_alu instid0(VALU_DEP_2) | instskip(NEXT) | instid1(VALU_DEP_2)
	v_fmac_f64_e32 v[94:95], v[98:99], v[92:93]
	v_add_f64_e32 v[4:5], v[4:5], v[12:13]
	s_delay_alu instid0(VALU_DEP_2)
	v_add_f64_e32 v[2:3], v[2:3], v[94:95]
	s_and_not1_b32 exec_lo, exec_lo, s3
	s_cbranch_execnz .LBB101_101
; %bb.102:
	s_or_b32 exec_lo, exec_lo, s3
	v_mov_b32_e32 v8, 0
	ds_load_b128 v[8:11], v8 offset:352
	s_wait_dscnt 0x0
	v_mul_f64_e32 v[92:93], v[2:3], v[10:11]
	v_mul_f64_e32 v[12:13], v[4:5], v[10:11]
	s_delay_alu instid0(VALU_DEP_2) | instskip(NEXT) | instid1(VALU_DEP_2)
	v_fma_f64 v[10:11], v[4:5], v[8:9], -v[92:93]
	v_fmac_f64_e32 v[12:13], v[2:3], v[8:9]
	scratch_store_b128 off, v[10:13], off offset:352
.LBB101_103:
	s_wait_xcnt 0x0
	s_or_b32 exec_lo, exec_lo, s2
	s_wait_storecnt 0x0
	s_barrier_signal -1
	s_barrier_wait -1
	scratch_load_b128 v[2:5], off, s30
	s_mov_b32 s2, exec_lo
	s_wait_loadcnt 0x0
	ds_store_b128 v6, v[2:5]
	s_wait_dscnt 0x0
	s_barrier_signal -1
	s_barrier_wait -1
	v_cmpx_gt_u32_e32 23, v1
	s_cbranch_execz .LBB101_107
; %bb.104:
	v_dual_mov_b32 v10, v90 :: v_dual_add_nc_u32 v8, -1, v1
	v_mov_b64_e32 v[2:3], 0
	v_mov_b64_e32 v[4:5], 0
	v_add_nc_u32_e32 v9, 0x260, v90
	s_delay_alu instid0(VALU_DEP_4)
	v_or_b32_e32 v10, 8, v10
	s_mov_b32 s3, 0
.LBB101_105:                            ; =>This Inner Loop Header: Depth=1
	scratch_load_b128 v[92:95], v10, off offset:-8
	ds_load_b128 v[96:99], v9
	v_dual_add_nc_u32 v8, 1, v8 :: v_dual_add_nc_u32 v9, 16, v9
	s_wait_xcnt 0x0
	v_add_nc_u32_e32 v10, 16, v10
	s_delay_alu instid0(VALU_DEP_2) | instskip(SKIP_4) | instid1(VALU_DEP_2)
	v_cmp_lt_u32_e32 vcc_lo, 21, v8
	s_or_b32 s3, vcc_lo, s3
	s_wait_loadcnt_dscnt 0x0
	v_mul_f64_e32 v[12:13], v[98:99], v[94:95]
	v_mul_f64_e32 v[94:95], v[96:97], v[94:95]
	v_fma_f64 v[12:13], v[96:97], v[92:93], -v[12:13]
	s_delay_alu instid0(VALU_DEP_2) | instskip(NEXT) | instid1(VALU_DEP_2)
	v_fmac_f64_e32 v[94:95], v[98:99], v[92:93]
	v_add_f64_e32 v[4:5], v[4:5], v[12:13]
	s_delay_alu instid0(VALU_DEP_2)
	v_add_f64_e32 v[2:3], v[2:3], v[94:95]
	s_and_not1_b32 exec_lo, exec_lo, s3
	s_cbranch_execnz .LBB101_105
; %bb.106:
	s_or_b32 exec_lo, exec_lo, s3
	v_mov_b32_e32 v8, 0
	ds_load_b128 v[8:11], v8 offset:368
	s_wait_dscnt 0x0
	v_mul_f64_e32 v[92:93], v[2:3], v[10:11]
	v_mul_f64_e32 v[12:13], v[4:5], v[10:11]
	s_delay_alu instid0(VALU_DEP_2) | instskip(NEXT) | instid1(VALU_DEP_2)
	v_fma_f64 v[10:11], v[4:5], v[8:9], -v[92:93]
	v_fmac_f64_e32 v[12:13], v[2:3], v[8:9]
	scratch_store_b128 off, v[10:13], off offset:368
.LBB101_107:
	s_wait_xcnt 0x0
	s_or_b32 exec_lo, exec_lo, s2
	s_wait_storecnt 0x0
	s_barrier_signal -1
	s_barrier_wait -1
	scratch_load_b128 v[2:5], off, s29
	;; [unrolled: 54-line block ×15, first 2 shown]
	s_mov_b32 s2, exec_lo
	s_wait_loadcnt 0x0
	ds_store_b128 v6, v[2:5]
	s_wait_dscnt 0x0
	s_barrier_signal -1
	s_barrier_wait -1
	v_cmpx_ne_u32_e32 37, v1
	s_cbranch_execz .LBB101_163
; %bb.160:
	v_mov_b32_e32 v8, v90
	v_mov_b64_e32 v[2:3], 0
	v_mov_b64_e32 v[4:5], 0
	s_mov_b32 s3, 0
	s_delay_alu instid0(VALU_DEP_3)
	v_or_b32_e32 v8, 8, v8
.LBB101_161:                            ; =>This Inner Loop Header: Depth=1
	scratch_load_b128 v[10:13], v8, off offset:-8
	ds_load_b128 v[90:93], v6
	v_dual_add_nc_u32 v7, 1, v7 :: v_dual_add_nc_u32 v6, 16, v6
	s_wait_xcnt 0x0
	v_add_nc_u32_e32 v8, 16, v8
	s_delay_alu instid0(VALU_DEP_2) | instskip(SKIP_4) | instid1(VALU_DEP_2)
	v_cmp_lt_u32_e32 vcc_lo, 35, v7
	s_or_b32 s3, vcc_lo, s3
	s_wait_loadcnt_dscnt 0x0
	v_mul_f64_e32 v[94:95], v[92:93], v[12:13]
	v_mul_f64_e32 v[12:13], v[90:91], v[12:13]
	v_fma_f64 v[90:91], v[90:91], v[10:11], -v[94:95]
	s_delay_alu instid0(VALU_DEP_2) | instskip(NEXT) | instid1(VALU_DEP_2)
	v_fmac_f64_e32 v[12:13], v[92:93], v[10:11]
	v_add_f64_e32 v[4:5], v[4:5], v[90:91]
	s_delay_alu instid0(VALU_DEP_2)
	v_add_f64_e32 v[2:3], v[2:3], v[12:13]
	s_and_not1_b32 exec_lo, exec_lo, s3
	s_cbranch_execnz .LBB101_161
; %bb.162:
	s_or_b32 exec_lo, exec_lo, s3
	v_mov_b32_e32 v6, 0
	ds_load_b128 v[6:9], v6 offset:592
	s_wait_dscnt 0x0
	v_mul_f64_e32 v[12:13], v[2:3], v[8:9]
	v_mul_f64_e32 v[10:11], v[4:5], v[8:9]
	s_delay_alu instid0(VALU_DEP_2) | instskip(NEXT) | instid1(VALU_DEP_2)
	v_fma_f64 v[8:9], v[4:5], v[6:7], -v[12:13]
	v_fmac_f64_e32 v[10:11], v[2:3], v[6:7]
	scratch_store_b128 off, v[8:11], off offset:592
.LBB101_163:
	s_wait_xcnt 0x0
	s_or_b32 exec_lo, exec_lo, s2
	s_mov_b32 s3, -1
	s_wait_storecnt 0x0
	s_barrier_signal -1
	s_barrier_wait -1
.LBB101_164:
	s_and_b32 vcc_lo, exec_lo, s3
	s_cbranch_vccz .LBB101_166
; %bb.165:
	s_wait_xcnt 0x0
	v_mov_b32_e32 v2, 0
	s_lshl_b64 s[2:3], s[10:11], 2
	s_delay_alu instid0(SALU_CYCLE_1)
	s_add_nc_u64 s[2:3], s[6:7], s[2:3]
	global_load_b32 v2, v2, s[2:3]
	s_wait_loadcnt 0x0
	v_cmp_ne_u32_e32 vcc_lo, 0, v2
	s_cbranch_vccz .LBB101_167
.LBB101_166:
	s_sendmsg sendmsg(MSG_DEALLOC_VGPRS)
	s_endpgm
.LBB101_167:
	v_lshl_add_u32 v6, v1, 4, 0x260
	s_wait_xcnt 0x0
	s_mov_b32 s2, exec_lo
	v_cmpx_eq_u32_e32 37, v1
	s_cbranch_execz .LBB101_169
; %bb.168:
	scratch_load_b128 v[2:5], off, s15
	v_mov_b32_e32 v8, 0
	s_delay_alu instid0(VALU_DEP_1)
	v_dual_mov_b32 v9, v8 :: v_dual_mov_b32 v10, v8
	v_mov_b32_e32 v11, v8
	scratch_store_b128 off, v[8:11], off offset:576
	s_wait_loadcnt 0x0
	ds_store_b128 v6, v[2:5]
.LBB101_169:
	s_wait_xcnt 0x0
	s_or_b32 exec_lo, exec_lo, s2
	s_wait_storecnt_dscnt 0x0
	s_barrier_signal -1
	s_barrier_wait -1
	s_clause 0x1
	scratch_load_b128 v[8:11], off, off offset:592
	scratch_load_b128 v[90:93], off, off offset:576
	v_mov_b32_e32 v2, 0
	s_mov_b32 s2, exec_lo
	ds_load_b128 v[94:97], v2 offset:1200
	s_wait_loadcnt_dscnt 0x100
	v_mul_f64_e32 v[4:5], v[96:97], v[10:11]
	v_mul_f64_e32 v[10:11], v[94:95], v[10:11]
	s_delay_alu instid0(VALU_DEP_2) | instskip(NEXT) | instid1(VALU_DEP_2)
	v_fma_f64 v[4:5], v[94:95], v[8:9], -v[4:5]
	v_fmac_f64_e32 v[10:11], v[96:97], v[8:9]
	s_delay_alu instid0(VALU_DEP_2) | instskip(NEXT) | instid1(VALU_DEP_2)
	v_add_f64_e32 v[4:5], 0, v[4:5]
	v_add_f64_e32 v[10:11], 0, v[10:11]
	s_wait_loadcnt 0x0
	s_delay_alu instid0(VALU_DEP_2) | instskip(NEXT) | instid1(VALU_DEP_2)
	v_add_f64_e64 v[8:9], v[90:91], -v[4:5]
	v_add_f64_e64 v[10:11], v[92:93], -v[10:11]
	scratch_store_b128 off, v[8:11], off offset:576
	s_wait_xcnt 0x0
	v_cmpx_lt_u32_e32 35, v1
	s_cbranch_execz .LBB101_171
; %bb.170:
	scratch_load_b128 v[8:11], off, s17
	v_dual_mov_b32 v3, v2 :: v_dual_mov_b32 v4, v2
	v_mov_b32_e32 v5, v2
	scratch_store_b128 off, v[2:5], off offset:560
	s_wait_loadcnt 0x0
	ds_store_b128 v6, v[8:11]
.LBB101_171:
	s_wait_xcnt 0x0
	s_or_b32 exec_lo, exec_lo, s2
	s_wait_storecnt_dscnt 0x0
	s_barrier_signal -1
	s_barrier_wait -1
	s_clause 0x2
	scratch_load_b128 v[8:11], off, off offset:576
	scratch_load_b128 v[90:93], off, off offset:592
	scratch_load_b128 v[94:97], off, off offset:560
	ds_load_b128 v[98:101], v2 offset:1184
	ds_load_b128 v[2:5], v2 offset:1200
	s_mov_b32 s2, exec_lo
	s_wait_loadcnt_dscnt 0x201
	v_mul_f64_e32 v[12:13], v[100:101], v[10:11]
	v_mul_f64_e32 v[10:11], v[98:99], v[10:11]
	s_wait_loadcnt_dscnt 0x100
	v_mul_f64_e32 v[102:103], v[2:3], v[92:93]
	v_mul_f64_e32 v[92:93], v[4:5], v[92:93]
	s_delay_alu instid0(VALU_DEP_4) | instskip(NEXT) | instid1(VALU_DEP_4)
	v_fma_f64 v[12:13], v[98:99], v[8:9], -v[12:13]
	v_fmac_f64_e32 v[10:11], v[100:101], v[8:9]
	s_delay_alu instid0(VALU_DEP_4) | instskip(NEXT) | instid1(VALU_DEP_4)
	v_fmac_f64_e32 v[102:103], v[4:5], v[90:91]
	v_fma_f64 v[2:3], v[2:3], v[90:91], -v[92:93]
	s_delay_alu instid0(VALU_DEP_4) | instskip(NEXT) | instid1(VALU_DEP_4)
	v_add_f64_e32 v[4:5], 0, v[12:13]
	v_add_f64_e32 v[8:9], 0, v[10:11]
	s_delay_alu instid0(VALU_DEP_2) | instskip(NEXT) | instid1(VALU_DEP_2)
	v_add_f64_e32 v[2:3], v[4:5], v[2:3]
	v_add_f64_e32 v[4:5], v[8:9], v[102:103]
	s_wait_loadcnt 0x0
	s_delay_alu instid0(VALU_DEP_2) | instskip(NEXT) | instid1(VALU_DEP_2)
	v_add_f64_e64 v[2:3], v[94:95], -v[2:3]
	v_add_f64_e64 v[4:5], v[96:97], -v[4:5]
	scratch_store_b128 off, v[2:5], off offset:560
	s_wait_xcnt 0x0
	v_cmpx_lt_u32_e32 34, v1
	s_cbranch_execz .LBB101_173
; %bb.172:
	scratch_load_b128 v[2:5], off, s19
	v_mov_b32_e32 v8, 0
	s_delay_alu instid0(VALU_DEP_1)
	v_dual_mov_b32 v9, v8 :: v_dual_mov_b32 v10, v8
	v_mov_b32_e32 v11, v8
	scratch_store_b128 off, v[8:11], off offset:544
	s_wait_loadcnt 0x0
	ds_store_b128 v6, v[2:5]
.LBB101_173:
	s_wait_xcnt 0x0
	s_or_b32 exec_lo, exec_lo, s2
	s_wait_storecnt_dscnt 0x0
	s_barrier_signal -1
	s_barrier_wait -1
	s_clause 0x3
	scratch_load_b128 v[8:11], off, off offset:560
	scratch_load_b128 v[90:93], off, off offset:576
	;; [unrolled: 1-line block ×4, first 2 shown]
	v_mov_b32_e32 v2, 0
	ds_load_b128 v[102:105], v2 offset:1168
	ds_load_b128 v[106:109], v2 offset:1184
	s_mov_b32 s2, exec_lo
	s_wait_loadcnt_dscnt 0x301
	v_mul_f64_e32 v[4:5], v[104:105], v[10:11]
	v_mul_f64_e32 v[12:13], v[102:103], v[10:11]
	s_wait_loadcnt_dscnt 0x200
	v_mul_f64_e32 v[110:111], v[106:107], v[92:93]
	v_mul_f64_e32 v[92:93], v[108:109], v[92:93]
	s_delay_alu instid0(VALU_DEP_4) | instskip(NEXT) | instid1(VALU_DEP_4)
	v_fma_f64 v[4:5], v[102:103], v[8:9], -v[4:5]
	v_fmac_f64_e32 v[12:13], v[104:105], v[8:9]
	ds_load_b128 v[8:11], v2 offset:1200
	v_fmac_f64_e32 v[110:111], v[108:109], v[90:91]
	v_fma_f64 v[90:91], v[106:107], v[90:91], -v[92:93]
	s_wait_loadcnt_dscnt 0x100
	v_mul_f64_e32 v[102:103], v[8:9], v[96:97]
	v_mul_f64_e32 v[96:97], v[10:11], v[96:97]
	v_add_f64_e32 v[4:5], 0, v[4:5]
	v_add_f64_e32 v[12:13], 0, v[12:13]
	s_delay_alu instid0(VALU_DEP_4) | instskip(NEXT) | instid1(VALU_DEP_4)
	v_fmac_f64_e32 v[102:103], v[10:11], v[94:95]
	v_fma_f64 v[8:9], v[8:9], v[94:95], -v[96:97]
	s_delay_alu instid0(VALU_DEP_4) | instskip(NEXT) | instid1(VALU_DEP_4)
	v_add_f64_e32 v[4:5], v[4:5], v[90:91]
	v_add_f64_e32 v[10:11], v[12:13], v[110:111]
	s_delay_alu instid0(VALU_DEP_2) | instskip(NEXT) | instid1(VALU_DEP_2)
	v_add_f64_e32 v[4:5], v[4:5], v[8:9]
	v_add_f64_e32 v[10:11], v[10:11], v[102:103]
	s_wait_loadcnt 0x0
	s_delay_alu instid0(VALU_DEP_2) | instskip(NEXT) | instid1(VALU_DEP_2)
	v_add_f64_e64 v[8:9], v[98:99], -v[4:5]
	v_add_f64_e64 v[10:11], v[100:101], -v[10:11]
	scratch_store_b128 off, v[8:11], off offset:544
	s_wait_xcnt 0x0
	v_cmpx_lt_u32_e32 33, v1
	s_cbranch_execz .LBB101_175
; %bb.174:
	scratch_load_b128 v[8:11], off, s20
	v_dual_mov_b32 v3, v2 :: v_dual_mov_b32 v4, v2
	v_mov_b32_e32 v5, v2
	scratch_store_b128 off, v[2:5], off offset:528
	s_wait_loadcnt 0x0
	ds_store_b128 v6, v[8:11]
.LBB101_175:
	s_wait_xcnt 0x0
	s_or_b32 exec_lo, exec_lo, s2
	s_wait_storecnt_dscnt 0x0
	s_barrier_signal -1
	s_barrier_wait -1
	s_clause 0x4
	scratch_load_b128 v[8:11], off, off offset:544
	scratch_load_b128 v[90:93], off, off offset:560
	;; [unrolled: 1-line block ×5, first 2 shown]
	ds_load_b128 v[106:109], v2 offset:1152
	ds_load_b128 v[110:113], v2 offset:1168
	s_mov_b32 s2, exec_lo
	s_wait_loadcnt_dscnt 0x401
	v_mul_f64_e32 v[4:5], v[108:109], v[10:11]
	v_mul_f64_e32 v[12:13], v[106:107], v[10:11]
	s_wait_loadcnt_dscnt 0x300
	v_mul_f64_e32 v[114:115], v[110:111], v[92:93]
	v_mul_f64_e32 v[92:93], v[112:113], v[92:93]
	s_delay_alu instid0(VALU_DEP_4) | instskip(NEXT) | instid1(VALU_DEP_4)
	v_fma_f64 v[106:107], v[106:107], v[8:9], -v[4:5]
	v_fmac_f64_e32 v[12:13], v[108:109], v[8:9]
	ds_load_b128 v[8:11], v2 offset:1184
	ds_load_b128 v[2:5], v2 offset:1200
	v_fmac_f64_e32 v[114:115], v[112:113], v[90:91]
	v_fma_f64 v[90:91], v[110:111], v[90:91], -v[92:93]
	s_wait_loadcnt_dscnt 0x201
	v_mul_f64_e32 v[108:109], v[8:9], v[96:97]
	v_mul_f64_e32 v[96:97], v[10:11], v[96:97]
	v_add_f64_e32 v[92:93], 0, v[106:107]
	v_add_f64_e32 v[12:13], 0, v[12:13]
	s_wait_loadcnt_dscnt 0x100
	v_mul_f64_e32 v[106:107], v[2:3], v[100:101]
	v_mul_f64_e32 v[100:101], v[4:5], v[100:101]
	v_fmac_f64_e32 v[108:109], v[10:11], v[94:95]
	v_fma_f64 v[8:9], v[8:9], v[94:95], -v[96:97]
	v_add_f64_e32 v[10:11], v[92:93], v[90:91]
	v_add_f64_e32 v[12:13], v[12:13], v[114:115]
	v_fmac_f64_e32 v[106:107], v[4:5], v[98:99]
	v_fma_f64 v[2:3], v[2:3], v[98:99], -v[100:101]
	s_delay_alu instid0(VALU_DEP_4) | instskip(NEXT) | instid1(VALU_DEP_4)
	v_add_f64_e32 v[4:5], v[10:11], v[8:9]
	v_add_f64_e32 v[8:9], v[12:13], v[108:109]
	s_delay_alu instid0(VALU_DEP_2) | instskip(NEXT) | instid1(VALU_DEP_2)
	v_add_f64_e32 v[2:3], v[4:5], v[2:3]
	v_add_f64_e32 v[4:5], v[8:9], v[106:107]
	s_wait_loadcnt 0x0
	s_delay_alu instid0(VALU_DEP_2) | instskip(NEXT) | instid1(VALU_DEP_2)
	v_add_f64_e64 v[2:3], v[102:103], -v[2:3]
	v_add_f64_e64 v[4:5], v[104:105], -v[4:5]
	scratch_store_b128 off, v[2:5], off offset:528
	s_wait_xcnt 0x0
	v_cmpx_lt_u32_e32 32, v1
	s_cbranch_execz .LBB101_177
; %bb.176:
	scratch_load_b128 v[2:5], off, s21
	v_mov_b32_e32 v8, 0
	s_delay_alu instid0(VALU_DEP_1)
	v_dual_mov_b32 v9, v8 :: v_dual_mov_b32 v10, v8
	v_mov_b32_e32 v11, v8
	scratch_store_b128 off, v[8:11], off offset:512
	s_wait_loadcnt 0x0
	ds_store_b128 v6, v[2:5]
.LBB101_177:
	s_wait_xcnt 0x0
	s_or_b32 exec_lo, exec_lo, s2
	s_wait_storecnt_dscnt 0x0
	s_barrier_signal -1
	s_barrier_wait -1
	s_clause 0x5
	scratch_load_b128 v[8:11], off, off offset:528
	scratch_load_b128 v[90:93], off, off offset:544
	;; [unrolled: 1-line block ×6, first 2 shown]
	v_mov_b32_e32 v2, 0
	ds_load_b128 v[110:113], v2 offset:1136
	ds_load_b128 v[114:117], v2 offset:1152
	s_mov_b32 s2, exec_lo
	s_wait_loadcnt_dscnt 0x501
	v_mul_f64_e32 v[4:5], v[112:113], v[10:11]
	v_mul_f64_e32 v[12:13], v[110:111], v[10:11]
	s_wait_loadcnt_dscnt 0x400
	v_mul_f64_e32 v[118:119], v[114:115], v[92:93]
	v_mul_f64_e32 v[92:93], v[116:117], v[92:93]
	s_delay_alu instid0(VALU_DEP_4) | instskip(NEXT) | instid1(VALU_DEP_4)
	v_fma_f64 v[4:5], v[110:111], v[8:9], -v[4:5]
	v_fmac_f64_e32 v[12:13], v[112:113], v[8:9]
	ds_load_b128 v[8:11], v2 offset:1168
	ds_load_b128 v[110:113], v2 offset:1184
	v_fmac_f64_e32 v[118:119], v[116:117], v[90:91]
	v_fma_f64 v[90:91], v[114:115], v[90:91], -v[92:93]
	s_wait_loadcnt_dscnt 0x301
	v_mul_f64_e32 v[120:121], v[8:9], v[96:97]
	v_mul_f64_e32 v[96:97], v[10:11], v[96:97]
	s_wait_loadcnt_dscnt 0x200
	v_mul_f64_e32 v[92:93], v[110:111], v[100:101]
	v_mul_f64_e32 v[100:101], v[112:113], v[100:101]
	v_add_f64_e32 v[4:5], 0, v[4:5]
	v_add_f64_e32 v[12:13], 0, v[12:13]
	v_fmac_f64_e32 v[120:121], v[10:11], v[94:95]
	v_fma_f64 v[94:95], v[8:9], v[94:95], -v[96:97]
	ds_load_b128 v[8:11], v2 offset:1200
	v_fmac_f64_e32 v[92:93], v[112:113], v[98:99]
	v_fma_f64 v[98:99], v[110:111], v[98:99], -v[100:101]
	v_add_f64_e32 v[4:5], v[4:5], v[90:91]
	v_add_f64_e32 v[12:13], v[12:13], v[118:119]
	s_wait_loadcnt_dscnt 0x100
	v_mul_f64_e32 v[90:91], v[8:9], v[104:105]
	v_mul_f64_e32 v[96:97], v[10:11], v[104:105]
	s_delay_alu instid0(VALU_DEP_4) | instskip(NEXT) | instid1(VALU_DEP_4)
	v_add_f64_e32 v[4:5], v[4:5], v[94:95]
	v_add_f64_e32 v[12:13], v[12:13], v[120:121]
	s_delay_alu instid0(VALU_DEP_4) | instskip(NEXT) | instid1(VALU_DEP_4)
	v_fmac_f64_e32 v[90:91], v[10:11], v[102:103]
	v_fma_f64 v[8:9], v[8:9], v[102:103], -v[96:97]
	s_delay_alu instid0(VALU_DEP_4) | instskip(NEXT) | instid1(VALU_DEP_4)
	v_add_f64_e32 v[4:5], v[4:5], v[98:99]
	v_add_f64_e32 v[10:11], v[12:13], v[92:93]
	s_delay_alu instid0(VALU_DEP_2) | instskip(NEXT) | instid1(VALU_DEP_2)
	v_add_f64_e32 v[4:5], v[4:5], v[8:9]
	v_add_f64_e32 v[10:11], v[10:11], v[90:91]
	s_wait_loadcnt 0x0
	s_delay_alu instid0(VALU_DEP_2) | instskip(NEXT) | instid1(VALU_DEP_2)
	v_add_f64_e64 v[8:9], v[106:107], -v[4:5]
	v_add_f64_e64 v[10:11], v[108:109], -v[10:11]
	scratch_store_b128 off, v[8:11], off offset:512
	s_wait_xcnt 0x0
	v_cmpx_lt_u32_e32 31, v1
	s_cbranch_execz .LBB101_179
; %bb.178:
	scratch_load_b128 v[8:11], off, s22
	v_dual_mov_b32 v3, v2 :: v_dual_mov_b32 v4, v2
	v_mov_b32_e32 v5, v2
	scratch_store_b128 off, v[2:5], off offset:496
	s_wait_loadcnt 0x0
	ds_store_b128 v6, v[8:11]
.LBB101_179:
	s_wait_xcnt 0x0
	s_or_b32 exec_lo, exec_lo, s2
	s_wait_storecnt_dscnt 0x0
	s_barrier_signal -1
	s_barrier_wait -1
	s_clause 0x6
	scratch_load_b128 v[8:11], off, off offset:512
	scratch_load_b128 v[90:93], off, off offset:528
	;; [unrolled: 1-line block ×7, first 2 shown]
	ds_load_b128 v[114:117], v2 offset:1120
	ds_load_b128 v[118:121], v2 offset:1136
	s_mov_b32 s2, exec_lo
	s_wait_loadcnt_dscnt 0x601
	v_mul_f64_e32 v[4:5], v[116:117], v[10:11]
	v_mul_f64_e32 v[12:13], v[114:115], v[10:11]
	s_wait_loadcnt_dscnt 0x500
	v_mul_f64_e32 v[122:123], v[118:119], v[92:93]
	v_mul_f64_e32 v[92:93], v[120:121], v[92:93]
	s_delay_alu instid0(VALU_DEP_4) | instskip(NEXT) | instid1(VALU_DEP_4)
	v_fma_f64 v[4:5], v[114:115], v[8:9], -v[4:5]
	v_fmac_f64_e32 v[12:13], v[116:117], v[8:9]
	ds_load_b128 v[8:11], v2 offset:1152
	ds_load_b128 v[114:117], v2 offset:1168
	v_fmac_f64_e32 v[122:123], v[120:121], v[90:91]
	v_fma_f64 v[90:91], v[118:119], v[90:91], -v[92:93]
	s_wait_loadcnt_dscnt 0x401
	v_mul_f64_e32 v[124:125], v[8:9], v[96:97]
	v_mul_f64_e32 v[96:97], v[10:11], v[96:97]
	s_wait_loadcnt_dscnt 0x300
	v_mul_f64_e32 v[92:93], v[114:115], v[100:101]
	v_mul_f64_e32 v[100:101], v[116:117], v[100:101]
	v_add_f64_e32 v[4:5], 0, v[4:5]
	v_add_f64_e32 v[12:13], 0, v[12:13]
	v_fmac_f64_e32 v[124:125], v[10:11], v[94:95]
	v_fma_f64 v[94:95], v[8:9], v[94:95], -v[96:97]
	v_fmac_f64_e32 v[92:93], v[116:117], v[98:99]
	v_fma_f64 v[98:99], v[114:115], v[98:99], -v[100:101]
	v_add_f64_e32 v[90:91], v[4:5], v[90:91]
	v_add_f64_e32 v[12:13], v[12:13], v[122:123]
	ds_load_b128 v[8:11], v2 offset:1184
	ds_load_b128 v[2:5], v2 offset:1200
	s_wait_loadcnt_dscnt 0x201
	v_mul_f64_e32 v[96:97], v[8:9], v[104:105]
	v_mul_f64_e32 v[104:105], v[10:11], v[104:105]
	s_wait_loadcnt_dscnt 0x100
	v_mul_f64_e32 v[100:101], v[4:5], v[108:109]
	v_add_f64_e32 v[90:91], v[90:91], v[94:95]
	v_add_f64_e32 v[12:13], v[12:13], v[124:125]
	v_mul_f64_e32 v[94:95], v[2:3], v[108:109]
	v_fmac_f64_e32 v[96:97], v[10:11], v[102:103]
	v_fma_f64 v[8:9], v[8:9], v[102:103], -v[104:105]
	v_fma_f64 v[2:3], v[2:3], v[106:107], -v[100:101]
	v_add_f64_e32 v[10:11], v[90:91], v[98:99]
	v_add_f64_e32 v[12:13], v[12:13], v[92:93]
	v_fmac_f64_e32 v[94:95], v[4:5], v[106:107]
	s_delay_alu instid0(VALU_DEP_3) | instskip(NEXT) | instid1(VALU_DEP_3)
	v_add_f64_e32 v[4:5], v[10:11], v[8:9]
	v_add_f64_e32 v[8:9], v[12:13], v[96:97]
	s_delay_alu instid0(VALU_DEP_2) | instskip(NEXT) | instid1(VALU_DEP_2)
	v_add_f64_e32 v[2:3], v[4:5], v[2:3]
	v_add_f64_e32 v[4:5], v[8:9], v[94:95]
	s_wait_loadcnt 0x0
	s_delay_alu instid0(VALU_DEP_2) | instskip(NEXT) | instid1(VALU_DEP_2)
	v_add_f64_e64 v[2:3], v[110:111], -v[2:3]
	v_add_f64_e64 v[4:5], v[112:113], -v[4:5]
	scratch_store_b128 off, v[2:5], off offset:496
	s_wait_xcnt 0x0
	v_cmpx_lt_u32_e32 30, v1
	s_cbranch_execz .LBB101_181
; %bb.180:
	scratch_load_b128 v[2:5], off, s23
	v_mov_b32_e32 v8, 0
	s_delay_alu instid0(VALU_DEP_1)
	v_dual_mov_b32 v9, v8 :: v_dual_mov_b32 v10, v8
	v_mov_b32_e32 v11, v8
	scratch_store_b128 off, v[8:11], off offset:480
	s_wait_loadcnt 0x0
	ds_store_b128 v6, v[2:5]
.LBB101_181:
	s_wait_xcnt 0x0
	s_or_b32 exec_lo, exec_lo, s2
	s_wait_storecnt_dscnt 0x0
	s_barrier_signal -1
	s_barrier_wait -1
	s_clause 0x7
	scratch_load_b128 v[8:11], off, off offset:496
	scratch_load_b128 v[90:93], off, off offset:512
	;; [unrolled: 1-line block ×8, first 2 shown]
	v_mov_b32_e32 v2, 0
	ds_load_b128 v[118:121], v2 offset:1104
	ds_load_b128 v[122:125], v2 offset:1120
	s_mov_b32 s2, exec_lo
	s_wait_loadcnt_dscnt 0x701
	v_mul_f64_e32 v[4:5], v[120:121], v[10:11]
	v_mul_f64_e32 v[12:13], v[118:119], v[10:11]
	s_wait_loadcnt_dscnt 0x600
	v_mul_f64_e32 v[126:127], v[122:123], v[92:93]
	v_mul_f64_e32 v[92:93], v[124:125], v[92:93]
	s_delay_alu instid0(VALU_DEP_4) | instskip(NEXT) | instid1(VALU_DEP_4)
	v_fma_f64 v[4:5], v[118:119], v[8:9], -v[4:5]
	v_fmac_f64_e32 v[12:13], v[120:121], v[8:9]
	ds_load_b128 v[8:11], v2 offset:1136
	ds_load_b128 v[118:121], v2 offset:1152
	v_fmac_f64_e32 v[126:127], v[124:125], v[90:91]
	v_fma_f64 v[90:91], v[122:123], v[90:91], -v[92:93]
	s_wait_loadcnt_dscnt 0x501
	v_mul_f64_e32 v[128:129], v[8:9], v[96:97]
	v_mul_f64_e32 v[96:97], v[10:11], v[96:97]
	s_wait_loadcnt_dscnt 0x400
	v_mul_f64_e32 v[122:123], v[118:119], v[100:101]
	v_mul_f64_e32 v[100:101], v[120:121], v[100:101]
	v_add_f64_e32 v[4:5], 0, v[4:5]
	v_add_f64_e32 v[12:13], 0, v[12:13]
	v_fmac_f64_e32 v[128:129], v[10:11], v[94:95]
	v_fma_f64 v[94:95], v[8:9], v[94:95], -v[96:97]
	v_fmac_f64_e32 v[122:123], v[120:121], v[98:99]
	v_fma_f64 v[98:99], v[118:119], v[98:99], -v[100:101]
	v_add_f64_e32 v[4:5], v[4:5], v[90:91]
	v_add_f64_e32 v[12:13], v[12:13], v[126:127]
	ds_load_b128 v[8:11], v2 offset:1168
	ds_load_b128 v[90:93], v2 offset:1184
	s_wait_loadcnt_dscnt 0x301
	v_mul_f64_e32 v[96:97], v[8:9], v[104:105]
	v_mul_f64_e32 v[104:105], v[10:11], v[104:105]
	s_wait_loadcnt_dscnt 0x200
	v_mul_f64_e32 v[100:101], v[92:93], v[108:109]
	v_add_f64_e32 v[4:5], v[4:5], v[94:95]
	v_add_f64_e32 v[12:13], v[12:13], v[128:129]
	v_mul_f64_e32 v[94:95], v[90:91], v[108:109]
	v_fmac_f64_e32 v[96:97], v[10:11], v[102:103]
	v_fma_f64 v[102:103], v[8:9], v[102:103], -v[104:105]
	ds_load_b128 v[8:11], v2 offset:1200
	v_fma_f64 v[90:91], v[90:91], v[106:107], -v[100:101]
	v_add_f64_e32 v[4:5], v[4:5], v[98:99]
	v_add_f64_e32 v[12:13], v[12:13], v[122:123]
	v_fmac_f64_e32 v[94:95], v[92:93], v[106:107]
	s_wait_loadcnt_dscnt 0x100
	v_mul_f64_e32 v[98:99], v[8:9], v[112:113]
	v_mul_f64_e32 v[104:105], v[10:11], v[112:113]
	v_add_f64_e32 v[4:5], v[4:5], v[102:103]
	v_add_f64_e32 v[12:13], v[12:13], v[96:97]
	s_delay_alu instid0(VALU_DEP_4) | instskip(NEXT) | instid1(VALU_DEP_4)
	v_fmac_f64_e32 v[98:99], v[10:11], v[110:111]
	v_fma_f64 v[8:9], v[8:9], v[110:111], -v[104:105]
	s_delay_alu instid0(VALU_DEP_4) | instskip(NEXT) | instid1(VALU_DEP_4)
	v_add_f64_e32 v[4:5], v[4:5], v[90:91]
	v_add_f64_e32 v[10:11], v[12:13], v[94:95]
	s_delay_alu instid0(VALU_DEP_2) | instskip(NEXT) | instid1(VALU_DEP_2)
	v_add_f64_e32 v[4:5], v[4:5], v[8:9]
	v_add_f64_e32 v[10:11], v[10:11], v[98:99]
	s_wait_loadcnt 0x0
	s_delay_alu instid0(VALU_DEP_2) | instskip(NEXT) | instid1(VALU_DEP_2)
	v_add_f64_e64 v[8:9], v[114:115], -v[4:5]
	v_add_f64_e64 v[10:11], v[116:117], -v[10:11]
	scratch_store_b128 off, v[8:11], off offset:480
	s_wait_xcnt 0x0
	v_cmpx_lt_u32_e32 29, v1
	s_cbranch_execz .LBB101_183
; %bb.182:
	scratch_load_b128 v[8:11], off, s24
	v_dual_mov_b32 v3, v2 :: v_dual_mov_b32 v4, v2
	v_mov_b32_e32 v5, v2
	scratch_store_b128 off, v[2:5], off offset:464
	s_wait_loadcnt 0x0
	ds_store_b128 v6, v[8:11]
.LBB101_183:
	s_wait_xcnt 0x0
	s_or_b32 exec_lo, exec_lo, s2
	s_wait_storecnt_dscnt 0x0
	s_barrier_signal -1
	s_barrier_wait -1
	s_clause 0x7
	scratch_load_b128 v[8:11], off, off offset:480
	scratch_load_b128 v[90:93], off, off offset:496
	;; [unrolled: 1-line block ×8, first 2 shown]
	ds_load_b128 v[118:121], v2 offset:1088
	ds_load_b128 v[122:125], v2 offset:1104
	scratch_load_b128 v[126:129], off, off offset:464
	s_mov_b32 s2, exec_lo
	s_wait_loadcnt_dscnt 0x801
	v_mul_f64_e32 v[4:5], v[120:121], v[10:11]
	v_mul_f64_e32 v[12:13], v[118:119], v[10:11]
	s_wait_loadcnt_dscnt 0x700
	v_mul_f64_e32 v[130:131], v[122:123], v[92:93]
	v_mul_f64_e32 v[92:93], v[124:125], v[92:93]
	s_delay_alu instid0(VALU_DEP_4) | instskip(NEXT) | instid1(VALU_DEP_4)
	v_fma_f64 v[4:5], v[118:119], v[8:9], -v[4:5]
	v_fmac_f64_e32 v[12:13], v[120:121], v[8:9]
	ds_load_b128 v[8:11], v2 offset:1120
	ds_load_b128 v[118:121], v2 offset:1136
	v_fmac_f64_e32 v[130:131], v[124:125], v[90:91]
	v_fma_f64 v[90:91], v[122:123], v[90:91], -v[92:93]
	s_wait_loadcnt_dscnt 0x601
	v_mul_f64_e32 v[132:133], v[8:9], v[96:97]
	v_mul_f64_e32 v[96:97], v[10:11], v[96:97]
	s_wait_loadcnt_dscnt 0x500
	v_mul_f64_e32 v[122:123], v[118:119], v[100:101]
	v_mul_f64_e32 v[100:101], v[120:121], v[100:101]
	v_add_f64_e32 v[4:5], 0, v[4:5]
	v_add_f64_e32 v[12:13], 0, v[12:13]
	v_fmac_f64_e32 v[132:133], v[10:11], v[94:95]
	v_fma_f64 v[94:95], v[8:9], v[94:95], -v[96:97]
	v_fmac_f64_e32 v[122:123], v[120:121], v[98:99]
	v_fma_f64 v[98:99], v[118:119], v[98:99], -v[100:101]
	v_add_f64_e32 v[4:5], v[4:5], v[90:91]
	v_add_f64_e32 v[12:13], v[12:13], v[130:131]
	ds_load_b128 v[8:11], v2 offset:1152
	ds_load_b128 v[90:93], v2 offset:1168
	s_wait_loadcnt_dscnt 0x401
	v_mul_f64_e32 v[96:97], v[8:9], v[104:105]
	v_mul_f64_e32 v[104:105], v[10:11], v[104:105]
	s_wait_loadcnt_dscnt 0x300
	v_mul_f64_e32 v[100:101], v[92:93], v[108:109]
	v_add_f64_e32 v[4:5], v[4:5], v[94:95]
	v_add_f64_e32 v[12:13], v[12:13], v[132:133]
	v_mul_f64_e32 v[94:95], v[90:91], v[108:109]
	v_fmac_f64_e32 v[96:97], v[10:11], v[102:103]
	v_fma_f64 v[102:103], v[8:9], v[102:103], -v[104:105]
	v_fma_f64 v[90:91], v[90:91], v[106:107], -v[100:101]
	v_add_f64_e32 v[98:99], v[4:5], v[98:99]
	v_add_f64_e32 v[12:13], v[12:13], v[122:123]
	ds_load_b128 v[8:11], v2 offset:1184
	ds_load_b128 v[2:5], v2 offset:1200
	v_fmac_f64_e32 v[94:95], v[92:93], v[106:107]
	s_wait_loadcnt_dscnt 0x201
	v_mul_f64_e32 v[104:105], v[8:9], v[112:113]
	v_mul_f64_e32 v[108:109], v[10:11], v[112:113]
	v_add_f64_e32 v[92:93], v[98:99], v[102:103]
	v_add_f64_e32 v[12:13], v[12:13], v[96:97]
	s_wait_loadcnt_dscnt 0x100
	v_mul_f64_e32 v[96:97], v[2:3], v[116:117]
	v_mul_f64_e32 v[98:99], v[4:5], v[116:117]
	v_fmac_f64_e32 v[104:105], v[10:11], v[110:111]
	v_fma_f64 v[8:9], v[8:9], v[110:111], -v[108:109]
	v_add_f64_e32 v[10:11], v[92:93], v[90:91]
	v_add_f64_e32 v[12:13], v[12:13], v[94:95]
	v_fmac_f64_e32 v[96:97], v[4:5], v[114:115]
	v_fma_f64 v[2:3], v[2:3], v[114:115], -v[98:99]
	s_delay_alu instid0(VALU_DEP_4) | instskip(NEXT) | instid1(VALU_DEP_4)
	v_add_f64_e32 v[4:5], v[10:11], v[8:9]
	v_add_f64_e32 v[8:9], v[12:13], v[104:105]
	s_delay_alu instid0(VALU_DEP_2) | instskip(NEXT) | instid1(VALU_DEP_2)
	v_add_f64_e32 v[2:3], v[4:5], v[2:3]
	v_add_f64_e32 v[4:5], v[8:9], v[96:97]
	s_wait_loadcnt 0x0
	s_delay_alu instid0(VALU_DEP_2) | instskip(NEXT) | instid1(VALU_DEP_2)
	v_add_f64_e64 v[2:3], v[126:127], -v[2:3]
	v_add_f64_e64 v[4:5], v[128:129], -v[4:5]
	scratch_store_b128 off, v[2:5], off offset:464
	s_wait_xcnt 0x0
	v_cmpx_lt_u32_e32 28, v1
	s_cbranch_execz .LBB101_185
; %bb.184:
	scratch_load_b128 v[2:5], off, s25
	v_mov_b32_e32 v8, 0
	s_delay_alu instid0(VALU_DEP_1)
	v_dual_mov_b32 v9, v8 :: v_dual_mov_b32 v10, v8
	v_mov_b32_e32 v11, v8
	scratch_store_b128 off, v[8:11], off offset:448
	s_wait_loadcnt 0x0
	ds_store_b128 v6, v[2:5]
.LBB101_185:
	s_wait_xcnt 0x0
	s_or_b32 exec_lo, exec_lo, s2
	s_wait_storecnt_dscnt 0x0
	s_barrier_signal -1
	s_barrier_wait -1
	s_clause 0x8
	scratch_load_b128 v[8:11], off, off offset:464
	scratch_load_b128 v[90:93], off, off offset:480
	;; [unrolled: 1-line block ×9, first 2 shown]
	v_mov_b32_e32 v2, 0
	scratch_load_b128 v[126:129], off, off offset:448
	s_mov_b32 s2, exec_lo
	ds_load_b128 v[122:125], v2 offset:1072
	ds_load_b128 v[130:133], v2 offset:1088
	s_wait_loadcnt_dscnt 0x901
	v_mul_f64_e32 v[4:5], v[124:125], v[10:11]
	v_mul_f64_e32 v[12:13], v[122:123], v[10:11]
	s_wait_loadcnt_dscnt 0x800
	v_mul_f64_e32 v[134:135], v[130:131], v[92:93]
	v_mul_f64_e32 v[92:93], v[132:133], v[92:93]
	s_delay_alu instid0(VALU_DEP_4) | instskip(NEXT) | instid1(VALU_DEP_4)
	v_fma_f64 v[4:5], v[122:123], v[8:9], -v[4:5]
	v_fmac_f64_e32 v[12:13], v[124:125], v[8:9]
	ds_load_b128 v[8:11], v2 offset:1104
	ds_load_b128 v[122:125], v2 offset:1120
	v_fmac_f64_e32 v[134:135], v[132:133], v[90:91]
	v_fma_f64 v[90:91], v[130:131], v[90:91], -v[92:93]
	s_wait_loadcnt_dscnt 0x701
	v_mul_f64_e32 v[136:137], v[8:9], v[96:97]
	v_mul_f64_e32 v[96:97], v[10:11], v[96:97]
	s_wait_loadcnt_dscnt 0x600
	v_mul_f64_e32 v[130:131], v[122:123], v[100:101]
	v_mul_f64_e32 v[100:101], v[124:125], v[100:101]
	v_add_f64_e32 v[4:5], 0, v[4:5]
	v_add_f64_e32 v[12:13], 0, v[12:13]
	v_fmac_f64_e32 v[136:137], v[10:11], v[94:95]
	v_fma_f64 v[94:95], v[8:9], v[94:95], -v[96:97]
	v_fmac_f64_e32 v[130:131], v[124:125], v[98:99]
	v_fma_f64 v[98:99], v[122:123], v[98:99], -v[100:101]
	v_add_f64_e32 v[4:5], v[4:5], v[90:91]
	v_add_f64_e32 v[12:13], v[12:13], v[134:135]
	ds_load_b128 v[8:11], v2 offset:1136
	ds_load_b128 v[90:93], v2 offset:1152
	s_wait_loadcnt_dscnt 0x501
	v_mul_f64_e32 v[132:133], v[8:9], v[104:105]
	v_mul_f64_e32 v[96:97], v[10:11], v[104:105]
	s_wait_loadcnt_dscnt 0x400
	v_mul_f64_e32 v[100:101], v[90:91], v[108:109]
	v_mul_f64_e32 v[104:105], v[92:93], v[108:109]
	v_add_f64_e32 v[4:5], v[4:5], v[94:95]
	v_add_f64_e32 v[12:13], v[12:13], v[136:137]
	v_fmac_f64_e32 v[132:133], v[10:11], v[102:103]
	v_fma_f64 v[102:103], v[8:9], v[102:103], -v[96:97]
	ds_load_b128 v[8:11], v2 offset:1168
	ds_load_b128 v[94:97], v2 offset:1184
	v_fmac_f64_e32 v[100:101], v[92:93], v[106:107]
	v_fma_f64 v[90:91], v[90:91], v[106:107], -v[104:105]
	v_add_f64_e32 v[4:5], v[4:5], v[98:99]
	v_add_f64_e32 v[12:13], v[12:13], v[130:131]
	s_wait_loadcnt_dscnt 0x301
	v_mul_f64_e32 v[98:99], v[8:9], v[112:113]
	v_mul_f64_e32 v[108:109], v[10:11], v[112:113]
	s_wait_loadcnt_dscnt 0x200
	v_mul_f64_e32 v[92:93], v[94:95], v[116:117]
	v_add_f64_e32 v[4:5], v[4:5], v[102:103]
	v_add_f64_e32 v[12:13], v[12:13], v[132:133]
	v_mul_f64_e32 v[102:103], v[96:97], v[116:117]
	v_fmac_f64_e32 v[98:99], v[10:11], v[110:111]
	v_fma_f64 v[104:105], v[8:9], v[110:111], -v[108:109]
	ds_load_b128 v[8:11], v2 offset:1200
	v_fmac_f64_e32 v[92:93], v[96:97], v[114:115]
	v_add_f64_e32 v[4:5], v[4:5], v[90:91]
	v_add_f64_e32 v[12:13], v[12:13], v[100:101]
	s_wait_loadcnt_dscnt 0x100
	v_mul_f64_e32 v[90:91], v[8:9], v[120:121]
	v_mul_f64_e32 v[100:101], v[10:11], v[120:121]
	v_fma_f64 v[94:95], v[94:95], v[114:115], -v[102:103]
	v_add_f64_e32 v[4:5], v[4:5], v[104:105]
	v_add_f64_e32 v[12:13], v[12:13], v[98:99]
	v_fmac_f64_e32 v[90:91], v[10:11], v[118:119]
	v_fma_f64 v[8:9], v[8:9], v[118:119], -v[100:101]
	s_delay_alu instid0(VALU_DEP_4) | instskip(NEXT) | instid1(VALU_DEP_4)
	v_add_f64_e32 v[4:5], v[4:5], v[94:95]
	v_add_f64_e32 v[10:11], v[12:13], v[92:93]
	s_delay_alu instid0(VALU_DEP_2) | instskip(NEXT) | instid1(VALU_DEP_2)
	v_add_f64_e32 v[4:5], v[4:5], v[8:9]
	v_add_f64_e32 v[10:11], v[10:11], v[90:91]
	s_wait_loadcnt 0x0
	s_delay_alu instid0(VALU_DEP_2) | instskip(NEXT) | instid1(VALU_DEP_2)
	v_add_f64_e64 v[8:9], v[126:127], -v[4:5]
	v_add_f64_e64 v[10:11], v[128:129], -v[10:11]
	scratch_store_b128 off, v[8:11], off offset:448
	s_wait_xcnt 0x0
	v_cmpx_lt_u32_e32 27, v1
	s_cbranch_execz .LBB101_187
; %bb.186:
	scratch_load_b128 v[8:11], off, s26
	v_dual_mov_b32 v3, v2 :: v_dual_mov_b32 v4, v2
	v_mov_b32_e32 v5, v2
	scratch_store_b128 off, v[2:5], off offset:432
	s_wait_loadcnt 0x0
	ds_store_b128 v6, v[8:11]
.LBB101_187:
	s_wait_xcnt 0x0
	s_or_b32 exec_lo, exec_lo, s2
	s_wait_storecnt_dscnt 0x0
	s_barrier_signal -1
	s_barrier_wait -1
	s_clause 0x9
	scratch_load_b128 v[8:11], off, off offset:448
	scratch_load_b128 v[90:93], off, off offset:464
	;; [unrolled: 1-line block ×10, first 2 shown]
	ds_load_b128 v[126:129], v2 offset:1056
	ds_load_b128 v[130:133], v2 offset:1072
	scratch_load_b128 v[134:137], off, off offset:432
	s_mov_b32 s2, exec_lo
	s_wait_loadcnt_dscnt 0xa01
	v_mul_f64_e32 v[4:5], v[128:129], v[10:11]
	v_mul_f64_e32 v[12:13], v[126:127], v[10:11]
	s_wait_loadcnt_dscnt 0x900
	v_mul_f64_e32 v[138:139], v[130:131], v[92:93]
	v_mul_f64_e32 v[92:93], v[132:133], v[92:93]
	s_delay_alu instid0(VALU_DEP_4) | instskip(NEXT) | instid1(VALU_DEP_4)
	v_fma_f64 v[4:5], v[126:127], v[8:9], -v[4:5]
	v_fmac_f64_e32 v[12:13], v[128:129], v[8:9]
	ds_load_b128 v[8:11], v2 offset:1088
	ds_load_b128 v[126:129], v2 offset:1104
	v_fmac_f64_e32 v[138:139], v[132:133], v[90:91]
	v_fma_f64 v[90:91], v[130:131], v[90:91], -v[92:93]
	s_wait_loadcnt_dscnt 0x801
	v_mul_f64_e32 v[140:141], v[8:9], v[96:97]
	v_mul_f64_e32 v[96:97], v[10:11], v[96:97]
	s_wait_loadcnt_dscnt 0x700
	v_mul_f64_e32 v[130:131], v[126:127], v[100:101]
	v_mul_f64_e32 v[100:101], v[128:129], v[100:101]
	v_add_f64_e32 v[4:5], 0, v[4:5]
	v_add_f64_e32 v[12:13], 0, v[12:13]
	v_fmac_f64_e32 v[140:141], v[10:11], v[94:95]
	v_fma_f64 v[94:95], v[8:9], v[94:95], -v[96:97]
	v_fmac_f64_e32 v[130:131], v[128:129], v[98:99]
	v_fma_f64 v[98:99], v[126:127], v[98:99], -v[100:101]
	v_add_f64_e32 v[4:5], v[4:5], v[90:91]
	v_add_f64_e32 v[12:13], v[12:13], v[138:139]
	ds_load_b128 v[8:11], v2 offset:1120
	ds_load_b128 v[90:93], v2 offset:1136
	s_wait_loadcnt_dscnt 0x601
	v_mul_f64_e32 v[132:133], v[8:9], v[104:105]
	v_mul_f64_e32 v[96:97], v[10:11], v[104:105]
	s_wait_loadcnt_dscnt 0x500
	v_mul_f64_e32 v[100:101], v[90:91], v[108:109]
	v_mul_f64_e32 v[104:105], v[92:93], v[108:109]
	v_add_f64_e32 v[4:5], v[4:5], v[94:95]
	v_add_f64_e32 v[12:13], v[12:13], v[140:141]
	v_fmac_f64_e32 v[132:133], v[10:11], v[102:103]
	v_fma_f64 v[102:103], v[8:9], v[102:103], -v[96:97]
	ds_load_b128 v[8:11], v2 offset:1152
	ds_load_b128 v[94:97], v2 offset:1168
	v_fmac_f64_e32 v[100:101], v[92:93], v[106:107]
	v_fma_f64 v[90:91], v[90:91], v[106:107], -v[104:105]
	v_add_f64_e32 v[4:5], v[4:5], v[98:99]
	v_add_f64_e32 v[12:13], v[12:13], v[130:131]
	s_wait_loadcnt_dscnt 0x401
	v_mul_f64_e32 v[98:99], v[8:9], v[112:113]
	v_mul_f64_e32 v[108:109], v[10:11], v[112:113]
	s_wait_loadcnt_dscnt 0x300
	v_mul_f64_e32 v[92:93], v[94:95], v[116:117]
	v_add_f64_e32 v[4:5], v[4:5], v[102:103]
	v_add_f64_e32 v[12:13], v[12:13], v[132:133]
	v_mul_f64_e32 v[102:103], v[96:97], v[116:117]
	v_fmac_f64_e32 v[98:99], v[10:11], v[110:111]
	v_fma_f64 v[104:105], v[8:9], v[110:111], -v[108:109]
	v_fmac_f64_e32 v[92:93], v[96:97], v[114:115]
	v_add_f64_e32 v[90:91], v[4:5], v[90:91]
	v_add_f64_e32 v[12:13], v[12:13], v[100:101]
	ds_load_b128 v[8:11], v2 offset:1184
	ds_load_b128 v[2:5], v2 offset:1200
	v_fma_f64 v[94:95], v[94:95], v[114:115], -v[102:103]
	s_wait_loadcnt_dscnt 0x201
	v_mul_f64_e32 v[100:101], v[8:9], v[120:121]
	v_mul_f64_e32 v[106:107], v[10:11], v[120:121]
	s_wait_loadcnt_dscnt 0x100
	v_mul_f64_e32 v[96:97], v[2:3], v[124:125]
	v_add_f64_e32 v[90:91], v[90:91], v[104:105]
	v_add_f64_e32 v[12:13], v[12:13], v[98:99]
	v_mul_f64_e32 v[98:99], v[4:5], v[124:125]
	v_fmac_f64_e32 v[100:101], v[10:11], v[118:119]
	v_fma_f64 v[8:9], v[8:9], v[118:119], -v[106:107]
	v_fmac_f64_e32 v[96:97], v[4:5], v[122:123]
	v_add_f64_e32 v[10:11], v[90:91], v[94:95]
	v_add_f64_e32 v[12:13], v[12:13], v[92:93]
	v_fma_f64 v[2:3], v[2:3], v[122:123], -v[98:99]
	s_delay_alu instid0(VALU_DEP_3) | instskip(NEXT) | instid1(VALU_DEP_3)
	v_add_f64_e32 v[4:5], v[10:11], v[8:9]
	v_add_f64_e32 v[8:9], v[12:13], v[100:101]
	s_delay_alu instid0(VALU_DEP_2) | instskip(NEXT) | instid1(VALU_DEP_2)
	v_add_f64_e32 v[2:3], v[4:5], v[2:3]
	v_add_f64_e32 v[4:5], v[8:9], v[96:97]
	s_wait_loadcnt 0x0
	s_delay_alu instid0(VALU_DEP_2) | instskip(NEXT) | instid1(VALU_DEP_2)
	v_add_f64_e64 v[2:3], v[134:135], -v[2:3]
	v_add_f64_e64 v[4:5], v[136:137], -v[4:5]
	scratch_store_b128 off, v[2:5], off offset:432
	s_wait_xcnt 0x0
	v_cmpx_lt_u32_e32 26, v1
	s_cbranch_execz .LBB101_189
; %bb.188:
	scratch_load_b128 v[2:5], off, s27
	v_mov_b32_e32 v8, 0
	s_delay_alu instid0(VALU_DEP_1)
	v_dual_mov_b32 v9, v8 :: v_dual_mov_b32 v10, v8
	v_mov_b32_e32 v11, v8
	scratch_store_b128 off, v[8:11], off offset:416
	s_wait_loadcnt 0x0
	ds_store_b128 v6, v[2:5]
.LBB101_189:
	s_wait_xcnt 0x0
	s_or_b32 exec_lo, exec_lo, s2
	s_wait_storecnt_dscnt 0x0
	s_barrier_signal -1
	s_barrier_wait -1
	s_clause 0x9
	scratch_load_b128 v[8:11], off, off offset:432
	scratch_load_b128 v[90:93], off, off offset:448
	;; [unrolled: 1-line block ×10, first 2 shown]
	v_mov_b32_e32 v2, 0
	s_mov_b32 s2, exec_lo
	ds_load_b128 v[126:129], v2 offset:1040
	s_clause 0x1
	scratch_load_b128 v[130:133], off, off offset:592
	scratch_load_b128 v[134:137], off, off offset:416
	s_wait_loadcnt_dscnt 0xb00
	v_mul_f64_e32 v[4:5], v[128:129], v[10:11]
	v_mul_f64_e32 v[12:13], v[126:127], v[10:11]
	ds_load_b128 v[138:141], v2 offset:1056
	s_wait_loadcnt_dscnt 0xa00
	v_mul_f64_e32 v[142:143], v[138:139], v[92:93]
	v_mul_f64_e32 v[92:93], v[140:141], v[92:93]
	v_fma_f64 v[4:5], v[126:127], v[8:9], -v[4:5]
	v_fmac_f64_e32 v[12:13], v[128:129], v[8:9]
	ds_load_b128 v[8:11], v2 offset:1072
	ds_load_b128 v[126:129], v2 offset:1088
	s_wait_loadcnt_dscnt 0x901
	v_mul_f64_e32 v[144:145], v[8:9], v[96:97]
	v_mul_f64_e32 v[96:97], v[10:11], v[96:97]
	v_fmac_f64_e32 v[142:143], v[140:141], v[90:91]
	v_fma_f64 v[90:91], v[138:139], v[90:91], -v[92:93]
	s_wait_loadcnt_dscnt 0x800
	v_mul_f64_e32 v[138:139], v[126:127], v[100:101]
	v_mul_f64_e32 v[100:101], v[128:129], v[100:101]
	v_add_f64_e32 v[4:5], 0, v[4:5]
	v_add_f64_e32 v[12:13], 0, v[12:13]
	v_fmac_f64_e32 v[144:145], v[10:11], v[94:95]
	v_fma_f64 v[94:95], v[8:9], v[94:95], -v[96:97]
	v_fmac_f64_e32 v[138:139], v[128:129], v[98:99]
	v_fma_f64 v[98:99], v[126:127], v[98:99], -v[100:101]
	v_add_f64_e32 v[4:5], v[4:5], v[90:91]
	v_add_f64_e32 v[12:13], v[12:13], v[142:143]
	ds_load_b128 v[8:11], v2 offset:1104
	ds_load_b128 v[90:93], v2 offset:1120
	s_wait_loadcnt_dscnt 0x701
	v_mul_f64_e32 v[140:141], v[8:9], v[104:105]
	v_mul_f64_e32 v[96:97], v[10:11], v[104:105]
	s_wait_loadcnt_dscnt 0x600
	v_mul_f64_e32 v[100:101], v[90:91], v[108:109]
	v_mul_f64_e32 v[104:105], v[92:93], v[108:109]
	v_add_f64_e32 v[4:5], v[4:5], v[94:95]
	v_add_f64_e32 v[12:13], v[12:13], v[144:145]
	v_fmac_f64_e32 v[140:141], v[10:11], v[102:103]
	v_fma_f64 v[102:103], v[8:9], v[102:103], -v[96:97]
	ds_load_b128 v[8:11], v2 offset:1136
	ds_load_b128 v[94:97], v2 offset:1152
	v_fmac_f64_e32 v[100:101], v[92:93], v[106:107]
	v_fma_f64 v[90:91], v[90:91], v[106:107], -v[104:105]
	v_add_f64_e32 v[4:5], v[4:5], v[98:99]
	v_add_f64_e32 v[12:13], v[12:13], v[138:139]
	s_wait_loadcnt_dscnt 0x501
	v_mul_f64_e32 v[98:99], v[8:9], v[112:113]
	v_mul_f64_e32 v[108:109], v[10:11], v[112:113]
	s_wait_loadcnt_dscnt 0x400
	v_mul_f64_e32 v[104:105], v[96:97], v[116:117]
	v_add_f64_e32 v[4:5], v[4:5], v[102:103]
	v_add_f64_e32 v[12:13], v[12:13], v[140:141]
	v_mul_f64_e32 v[102:103], v[94:95], v[116:117]
	v_fmac_f64_e32 v[98:99], v[10:11], v[110:111]
	v_fma_f64 v[106:107], v[8:9], v[110:111], -v[108:109]
	v_fma_f64 v[94:95], v[94:95], v[114:115], -v[104:105]
	v_add_f64_e32 v[4:5], v[4:5], v[90:91]
	v_add_f64_e32 v[12:13], v[12:13], v[100:101]
	ds_load_b128 v[8:11], v2 offset:1168
	ds_load_b128 v[90:93], v2 offset:1184
	v_fmac_f64_e32 v[102:103], v[96:97], v[114:115]
	s_wait_loadcnt_dscnt 0x301
	v_mul_f64_e32 v[100:101], v[8:9], v[120:121]
	v_mul_f64_e32 v[108:109], v[10:11], v[120:121]
	s_wait_loadcnt_dscnt 0x200
	v_mul_f64_e32 v[96:97], v[90:91], v[124:125]
	v_add_f64_e32 v[4:5], v[4:5], v[106:107]
	v_add_f64_e32 v[12:13], v[12:13], v[98:99]
	v_mul_f64_e32 v[98:99], v[92:93], v[124:125]
	v_fmac_f64_e32 v[100:101], v[10:11], v[118:119]
	v_fma_f64 v[104:105], v[8:9], v[118:119], -v[108:109]
	ds_load_b128 v[8:11], v2 offset:1200
	v_fmac_f64_e32 v[96:97], v[92:93], v[122:123]
	v_add_f64_e32 v[4:5], v[4:5], v[94:95]
	v_add_f64_e32 v[12:13], v[12:13], v[102:103]
	v_fma_f64 v[90:91], v[90:91], v[122:123], -v[98:99]
	s_wait_loadcnt_dscnt 0x100
	v_mul_f64_e32 v[94:95], v[8:9], v[132:133]
	v_mul_f64_e32 v[102:103], v[10:11], v[132:133]
	v_add_f64_e32 v[4:5], v[4:5], v[104:105]
	v_add_f64_e32 v[12:13], v[12:13], v[100:101]
	s_delay_alu instid0(VALU_DEP_4) | instskip(NEXT) | instid1(VALU_DEP_4)
	v_fmac_f64_e32 v[94:95], v[10:11], v[130:131]
	v_fma_f64 v[8:9], v[8:9], v[130:131], -v[102:103]
	s_delay_alu instid0(VALU_DEP_4) | instskip(NEXT) | instid1(VALU_DEP_4)
	v_add_f64_e32 v[4:5], v[4:5], v[90:91]
	v_add_f64_e32 v[10:11], v[12:13], v[96:97]
	s_delay_alu instid0(VALU_DEP_2) | instskip(NEXT) | instid1(VALU_DEP_2)
	v_add_f64_e32 v[4:5], v[4:5], v[8:9]
	v_add_f64_e32 v[10:11], v[10:11], v[94:95]
	s_wait_loadcnt 0x0
	s_delay_alu instid0(VALU_DEP_2) | instskip(NEXT) | instid1(VALU_DEP_2)
	v_add_f64_e64 v[8:9], v[134:135], -v[4:5]
	v_add_f64_e64 v[10:11], v[136:137], -v[10:11]
	scratch_store_b128 off, v[8:11], off offset:416
	s_wait_xcnt 0x0
	v_cmpx_lt_u32_e32 25, v1
	s_cbranch_execz .LBB101_191
; %bb.190:
	scratch_load_b128 v[8:11], off, s28
	v_dual_mov_b32 v3, v2 :: v_dual_mov_b32 v4, v2
	v_mov_b32_e32 v5, v2
	scratch_store_b128 off, v[2:5], off offset:400
	s_wait_loadcnt 0x0
	ds_store_b128 v6, v[8:11]
.LBB101_191:
	s_wait_xcnt 0x0
	s_or_b32 exec_lo, exec_lo, s2
	s_wait_storecnt_dscnt 0x0
	s_barrier_signal -1
	s_barrier_wait -1
	s_clause 0x9
	scratch_load_b128 v[8:11], off, off offset:416
	scratch_load_b128 v[90:93], off, off offset:432
	;; [unrolled: 1-line block ×10, first 2 shown]
	ds_load_b128 v[126:129], v2 offset:1024
	ds_load_b128 v[134:137], v2 offset:1040
	s_clause 0x1
	scratch_load_b128 v[130:133], off, off offset:576
	scratch_load_b128 v[138:141], off, off offset:400
	s_mov_b32 s2, exec_lo
	s_wait_loadcnt_dscnt 0xb01
	v_mul_f64_e32 v[4:5], v[128:129], v[10:11]
	v_mul_f64_e32 v[146:147], v[126:127], v[10:11]
	scratch_load_b128 v[10:13], off, off offset:592
	s_wait_loadcnt_dscnt 0xb00
	v_mul_f64_e32 v[148:149], v[134:135], v[92:93]
	v_mul_f64_e32 v[92:93], v[136:137], v[92:93]
	v_fma_f64 v[4:5], v[126:127], v[8:9], -v[4:5]
	v_fmac_f64_e32 v[146:147], v[128:129], v[8:9]
	ds_load_b128 v[126:129], v2 offset:1056
	ds_load_b128 v[142:145], v2 offset:1072
	v_fmac_f64_e32 v[148:149], v[136:137], v[90:91]
	v_fma_f64 v[90:91], v[134:135], v[90:91], -v[92:93]
	s_wait_loadcnt_dscnt 0xa01
	v_mul_f64_e32 v[8:9], v[126:127], v[96:97]
	v_mul_f64_e32 v[96:97], v[128:129], v[96:97]
	s_wait_loadcnt_dscnt 0x900
	v_mul_f64_e32 v[134:135], v[142:143], v[100:101]
	v_mul_f64_e32 v[100:101], v[144:145], v[100:101]
	v_add_f64_e32 v[4:5], 0, v[4:5]
	v_add_f64_e32 v[92:93], 0, v[146:147]
	v_fmac_f64_e32 v[8:9], v[128:129], v[94:95]
	v_fma_f64 v[126:127], v[126:127], v[94:95], -v[96:97]
	v_fmac_f64_e32 v[134:135], v[144:145], v[98:99]
	v_fma_f64 v[98:99], v[142:143], v[98:99], -v[100:101]
	v_add_f64_e32 v[4:5], v[4:5], v[90:91]
	v_add_f64_e32 v[128:129], v[92:93], v[148:149]
	ds_load_b128 v[90:93], v2 offset:1088
	ds_load_b128 v[94:97], v2 offset:1104
	s_wait_loadcnt_dscnt 0x801
	v_mul_f64_e32 v[136:137], v[90:91], v[104:105]
	v_mul_f64_e32 v[104:105], v[92:93], v[104:105]
	v_add_f64_e32 v[4:5], v[4:5], v[126:127]
	v_add_f64_e32 v[8:9], v[128:129], v[8:9]
	s_wait_loadcnt_dscnt 0x700
	v_mul_f64_e32 v[126:127], v[94:95], v[108:109]
	v_mul_f64_e32 v[108:109], v[96:97], v[108:109]
	v_fmac_f64_e32 v[136:137], v[92:93], v[102:103]
	v_fma_f64 v[102:103], v[90:91], v[102:103], -v[104:105]
	v_add_f64_e32 v[4:5], v[4:5], v[98:99]
	v_add_f64_e32 v[8:9], v[8:9], v[134:135]
	ds_load_b128 v[90:93], v2 offset:1120
	ds_load_b128 v[98:101], v2 offset:1136
	v_fmac_f64_e32 v[126:127], v[96:97], v[106:107]
	v_fma_f64 v[94:95], v[94:95], v[106:107], -v[108:109]
	s_wait_loadcnt_dscnt 0x601
	v_mul_f64_e32 v[104:105], v[90:91], v[112:113]
	v_mul_f64_e32 v[112:113], v[92:93], v[112:113]
	s_wait_loadcnt_dscnt 0x500
	v_mul_f64_e32 v[106:107], v[100:101], v[116:117]
	v_add_f64_e32 v[4:5], v[4:5], v[102:103]
	v_add_f64_e32 v[8:9], v[8:9], v[136:137]
	v_mul_f64_e32 v[102:103], v[98:99], v[116:117]
	v_fmac_f64_e32 v[104:105], v[92:93], v[110:111]
	v_fma_f64 v[108:109], v[90:91], v[110:111], -v[112:113]
	v_fma_f64 v[98:99], v[98:99], v[114:115], -v[106:107]
	v_add_f64_e32 v[4:5], v[4:5], v[94:95]
	v_add_f64_e32 v[8:9], v[8:9], v[126:127]
	ds_load_b128 v[90:93], v2 offset:1152
	ds_load_b128 v[94:97], v2 offset:1168
	v_fmac_f64_e32 v[102:103], v[100:101], v[114:115]
	s_wait_loadcnt_dscnt 0x401
	v_mul_f64_e32 v[110:111], v[90:91], v[120:121]
	v_mul_f64_e32 v[112:113], v[92:93], v[120:121]
	s_wait_loadcnt_dscnt 0x300
	v_mul_f64_e32 v[100:101], v[94:95], v[124:125]
	v_add_f64_e32 v[4:5], v[4:5], v[108:109]
	v_add_f64_e32 v[8:9], v[8:9], v[104:105]
	v_mul_f64_e32 v[104:105], v[96:97], v[124:125]
	v_fmac_f64_e32 v[110:111], v[92:93], v[118:119]
	v_fma_f64 v[106:107], v[90:91], v[118:119], -v[112:113]
	v_fmac_f64_e32 v[100:101], v[96:97], v[122:123]
	v_add_f64_e32 v[98:99], v[4:5], v[98:99]
	v_add_f64_e32 v[8:9], v[8:9], v[102:103]
	ds_load_b128 v[90:93], v2 offset:1184
	ds_load_b128 v[2:5], v2 offset:1200
	v_fma_f64 v[94:95], v[94:95], v[122:123], -v[104:105]
	s_wait_loadcnt_dscnt 0x201
	v_mul_f64_e32 v[102:103], v[90:91], v[132:133]
	v_mul_f64_e32 v[108:109], v[92:93], v[132:133]
	v_add_f64_e32 v[96:97], v[98:99], v[106:107]
	v_add_f64_e32 v[8:9], v[8:9], v[110:111]
	s_wait_loadcnt_dscnt 0x0
	v_mul_f64_e32 v[98:99], v[2:3], v[12:13]
	v_mul_f64_e32 v[12:13], v[4:5], v[12:13]
	v_fmac_f64_e32 v[102:103], v[92:93], v[130:131]
	v_fma_f64 v[90:91], v[90:91], v[130:131], -v[108:109]
	v_add_f64_e32 v[92:93], v[96:97], v[94:95]
	v_add_f64_e32 v[8:9], v[8:9], v[100:101]
	v_fmac_f64_e32 v[98:99], v[4:5], v[10:11]
	v_fma_f64 v[2:3], v[2:3], v[10:11], -v[12:13]
	s_delay_alu instid0(VALU_DEP_4) | instskip(NEXT) | instid1(VALU_DEP_4)
	v_add_f64_e32 v[4:5], v[92:93], v[90:91]
	v_add_f64_e32 v[8:9], v[8:9], v[102:103]
	s_delay_alu instid0(VALU_DEP_2) | instskip(NEXT) | instid1(VALU_DEP_2)
	v_add_f64_e32 v[2:3], v[4:5], v[2:3]
	v_add_f64_e32 v[4:5], v[8:9], v[98:99]
	s_delay_alu instid0(VALU_DEP_2) | instskip(NEXT) | instid1(VALU_DEP_2)
	v_add_f64_e64 v[2:3], v[138:139], -v[2:3]
	v_add_f64_e64 v[4:5], v[140:141], -v[4:5]
	scratch_store_b128 off, v[2:5], off offset:400
	s_wait_xcnt 0x0
	v_cmpx_lt_u32_e32 24, v1
	s_cbranch_execz .LBB101_193
; %bb.192:
	scratch_load_b128 v[2:5], off, s29
	v_mov_b32_e32 v8, 0
	s_delay_alu instid0(VALU_DEP_1)
	v_dual_mov_b32 v9, v8 :: v_dual_mov_b32 v10, v8
	v_mov_b32_e32 v11, v8
	scratch_store_b128 off, v[8:11], off offset:384
	s_wait_loadcnt 0x0
	ds_store_b128 v6, v[2:5]
.LBB101_193:
	s_wait_xcnt 0x0
	s_or_b32 exec_lo, exec_lo, s2
	s_wait_storecnt_dscnt 0x0
	s_barrier_signal -1
	s_barrier_wait -1
	s_clause 0x9
	scratch_load_b128 v[8:11], off, off offset:400
	scratch_load_b128 v[90:93], off, off offset:416
	;; [unrolled: 1-line block ×10, first 2 shown]
	v_mov_b32_e32 v2, 0
	s_mov_b32 s2, exec_lo
	ds_load_b128 v[126:129], v2 offset:1008
	s_clause 0x2
	scratch_load_b128 v[130:133], off, off offset:560
	scratch_load_b128 v[134:137], off, off offset:384
	;; [unrolled: 1-line block ×3, first 2 shown]
	s_wait_loadcnt_dscnt 0xc00
	v_mul_f64_e32 v[4:5], v[128:129], v[10:11]
	v_mul_f64_e32 v[150:151], v[126:127], v[10:11]
	ds_load_b128 v[138:141], v2 offset:1024
	scratch_load_b128 v[10:13], off, off offset:576
	ds_load_b128 v[146:149], v2 offset:1056
	v_fma_f64 v[4:5], v[126:127], v[8:9], -v[4:5]
	v_fmac_f64_e32 v[150:151], v[128:129], v[8:9]
	ds_load_b128 v[126:129], v2 offset:1040
	s_wait_loadcnt_dscnt 0xc02
	v_mul_f64_e32 v[152:153], v[138:139], v[92:93]
	v_mul_f64_e32 v[92:93], v[140:141], v[92:93]
	s_wait_loadcnt_dscnt 0xb00
	v_mul_f64_e32 v[8:9], v[126:127], v[96:97]
	v_mul_f64_e32 v[96:97], v[128:129], v[96:97]
	v_add_f64_e32 v[4:5], 0, v[4:5]
	v_fmac_f64_e32 v[152:153], v[140:141], v[90:91]
	v_fma_f64 v[90:91], v[138:139], v[90:91], -v[92:93]
	v_add_f64_e32 v[92:93], 0, v[150:151]
	s_wait_loadcnt 0xa
	v_mul_f64_e32 v[138:139], v[146:147], v[100:101]
	v_mul_f64_e32 v[100:101], v[148:149], v[100:101]
	v_fmac_f64_e32 v[8:9], v[128:129], v[94:95]
	v_fma_f64 v[126:127], v[126:127], v[94:95], -v[96:97]
	v_add_f64_e32 v[4:5], v[4:5], v[90:91]
	v_add_f64_e32 v[128:129], v[92:93], v[152:153]
	ds_load_b128 v[90:93], v2 offset:1072
	ds_load_b128 v[94:97], v2 offset:1088
	v_fmac_f64_e32 v[138:139], v[148:149], v[98:99]
	v_fma_f64 v[98:99], v[146:147], v[98:99], -v[100:101]
	s_wait_loadcnt_dscnt 0x901
	v_mul_f64_e32 v[140:141], v[90:91], v[104:105]
	v_mul_f64_e32 v[104:105], v[92:93], v[104:105]
	v_add_f64_e32 v[4:5], v[4:5], v[126:127]
	v_add_f64_e32 v[8:9], v[128:129], v[8:9]
	s_wait_loadcnt_dscnt 0x800
	v_mul_f64_e32 v[126:127], v[94:95], v[108:109]
	v_mul_f64_e32 v[108:109], v[96:97], v[108:109]
	v_fmac_f64_e32 v[140:141], v[92:93], v[102:103]
	v_fma_f64 v[102:103], v[90:91], v[102:103], -v[104:105]
	v_add_f64_e32 v[4:5], v[4:5], v[98:99]
	v_add_f64_e32 v[8:9], v[8:9], v[138:139]
	ds_load_b128 v[90:93], v2 offset:1104
	ds_load_b128 v[98:101], v2 offset:1120
	v_fmac_f64_e32 v[126:127], v[96:97], v[106:107]
	v_fma_f64 v[94:95], v[94:95], v[106:107], -v[108:109]
	s_wait_loadcnt_dscnt 0x701
	v_mul_f64_e32 v[104:105], v[90:91], v[112:113]
	v_mul_f64_e32 v[112:113], v[92:93], v[112:113]
	s_wait_loadcnt_dscnt 0x600
	v_mul_f64_e32 v[106:107], v[100:101], v[116:117]
	v_add_f64_e32 v[4:5], v[4:5], v[102:103]
	v_add_f64_e32 v[8:9], v[8:9], v[140:141]
	v_mul_f64_e32 v[102:103], v[98:99], v[116:117]
	v_fmac_f64_e32 v[104:105], v[92:93], v[110:111]
	v_fma_f64 v[108:109], v[90:91], v[110:111], -v[112:113]
	v_fma_f64 v[98:99], v[98:99], v[114:115], -v[106:107]
	v_add_f64_e32 v[4:5], v[4:5], v[94:95]
	v_add_f64_e32 v[8:9], v[8:9], v[126:127]
	ds_load_b128 v[90:93], v2 offset:1136
	ds_load_b128 v[94:97], v2 offset:1152
	v_fmac_f64_e32 v[102:103], v[100:101], v[114:115]
	s_wait_loadcnt_dscnt 0x501
	v_mul_f64_e32 v[110:111], v[90:91], v[120:121]
	v_mul_f64_e32 v[112:113], v[92:93], v[120:121]
	s_wait_loadcnt_dscnt 0x400
	v_mul_f64_e32 v[106:107], v[96:97], v[124:125]
	v_add_f64_e32 v[4:5], v[4:5], v[108:109]
	v_add_f64_e32 v[8:9], v[8:9], v[104:105]
	v_mul_f64_e32 v[104:105], v[94:95], v[124:125]
	v_fmac_f64_e32 v[110:111], v[92:93], v[118:119]
	v_fma_f64 v[108:109], v[90:91], v[118:119], -v[112:113]
	v_fma_f64 v[94:95], v[94:95], v[122:123], -v[106:107]
	v_add_f64_e32 v[4:5], v[4:5], v[98:99]
	v_add_f64_e32 v[8:9], v[8:9], v[102:103]
	ds_load_b128 v[90:93], v2 offset:1168
	ds_load_b128 v[98:101], v2 offset:1184
	v_fmac_f64_e32 v[104:105], v[96:97], v[122:123]
	s_wait_loadcnt_dscnt 0x301
	v_mul_f64_e32 v[102:103], v[90:91], v[132:133]
	v_mul_f64_e32 v[112:113], v[92:93], v[132:133]
	s_wait_loadcnt_dscnt 0x0
	v_mul_f64_e32 v[96:97], v[98:99], v[12:13]
	v_add_f64_e32 v[4:5], v[4:5], v[108:109]
	v_add_f64_e32 v[8:9], v[8:9], v[110:111]
	v_mul_f64_e32 v[12:13], v[100:101], v[12:13]
	v_fmac_f64_e32 v[102:103], v[92:93], v[130:131]
	v_fma_f64 v[106:107], v[90:91], v[130:131], -v[112:113]
	ds_load_b128 v[90:93], v2 offset:1200
	v_fmac_f64_e32 v[96:97], v[100:101], v[10:11]
	v_add_f64_e32 v[4:5], v[4:5], v[94:95]
	v_add_f64_e32 v[8:9], v[8:9], v[104:105]
	v_fma_f64 v[10:11], v[98:99], v[10:11], -v[12:13]
	s_wait_dscnt 0x0
	v_mul_f64_e32 v[94:95], v[90:91], v[144:145]
	v_mul_f64_e32 v[104:105], v[92:93], v[144:145]
	v_add_f64_e32 v[4:5], v[4:5], v[106:107]
	v_add_f64_e32 v[8:9], v[8:9], v[102:103]
	s_delay_alu instid0(VALU_DEP_4) | instskip(NEXT) | instid1(VALU_DEP_4)
	v_fmac_f64_e32 v[94:95], v[92:93], v[142:143]
	v_fma_f64 v[12:13], v[90:91], v[142:143], -v[104:105]
	s_delay_alu instid0(VALU_DEP_4) | instskip(NEXT) | instid1(VALU_DEP_4)
	v_add_f64_e32 v[4:5], v[4:5], v[10:11]
	v_add_f64_e32 v[8:9], v[8:9], v[96:97]
	s_delay_alu instid0(VALU_DEP_2) | instskip(NEXT) | instid1(VALU_DEP_2)
	v_add_f64_e32 v[4:5], v[4:5], v[12:13]
	v_add_f64_e32 v[10:11], v[8:9], v[94:95]
	s_delay_alu instid0(VALU_DEP_2) | instskip(NEXT) | instid1(VALU_DEP_2)
	v_add_f64_e64 v[8:9], v[134:135], -v[4:5]
	v_add_f64_e64 v[10:11], v[136:137], -v[10:11]
	scratch_store_b128 off, v[8:11], off offset:384
	s_wait_xcnt 0x0
	v_cmpx_lt_u32_e32 23, v1
	s_cbranch_execz .LBB101_195
; %bb.194:
	scratch_load_b128 v[8:11], off, s30
	v_dual_mov_b32 v3, v2 :: v_dual_mov_b32 v4, v2
	v_mov_b32_e32 v5, v2
	scratch_store_b128 off, v[2:5], off offset:368
	s_wait_loadcnt 0x0
	ds_store_b128 v6, v[8:11]
.LBB101_195:
	s_wait_xcnt 0x0
	s_or_b32 exec_lo, exec_lo, s2
	s_wait_storecnt_dscnt 0x0
	s_barrier_signal -1
	s_barrier_wait -1
	s_clause 0x9
	scratch_load_b128 v[8:11], off, off offset:384
	scratch_load_b128 v[90:93], off, off offset:400
	scratch_load_b128 v[94:97], off, off offset:416
	scratch_load_b128 v[98:101], off, off offset:432
	scratch_load_b128 v[102:105], off, off offset:448
	scratch_load_b128 v[106:109], off, off offset:464
	scratch_load_b128 v[110:113], off, off offset:480
	scratch_load_b128 v[114:117], off, off offset:496
	scratch_load_b128 v[118:121], off, off offset:512
	scratch_load_b128 v[122:125], off, off offset:528
	ds_load_b128 v[126:129], v2 offset:992
	ds_load_b128 v[134:137], v2 offset:1008
	s_clause 0x1
	scratch_load_b128 v[130:133], off, off offset:544
	scratch_load_b128 v[138:141], off, off offset:368
	s_mov_b32 s2, exec_lo
	s_wait_loadcnt_dscnt 0xb01
	v_mul_f64_e32 v[4:5], v[128:129], v[10:11]
	v_mul_f64_e32 v[150:151], v[126:127], v[10:11]
	scratch_load_b128 v[10:13], off, off offset:560
	s_wait_loadcnt_dscnt 0xb00
	v_mul_f64_e32 v[152:153], v[134:135], v[92:93]
	v_mul_f64_e32 v[92:93], v[136:137], v[92:93]
	v_fma_f64 v[4:5], v[126:127], v[8:9], -v[4:5]
	v_fmac_f64_e32 v[150:151], v[128:129], v[8:9]
	ds_load_b128 v[126:129], v2 offset:1024
	ds_load_b128 v[142:145], v2 offset:1040
	scratch_load_b128 v[146:149], off, off offset:576
	v_fmac_f64_e32 v[152:153], v[136:137], v[90:91]
	v_fma_f64 v[134:135], v[134:135], v[90:91], -v[92:93]
	scratch_load_b128 v[90:93], off, off offset:592
	s_wait_loadcnt_dscnt 0xc01
	v_mul_f64_e32 v[8:9], v[126:127], v[96:97]
	v_mul_f64_e32 v[96:97], v[128:129], v[96:97]
	v_add_f64_e32 v[4:5], 0, v[4:5]
	v_add_f64_e32 v[136:137], 0, v[150:151]
	s_wait_loadcnt_dscnt 0xb00
	v_mul_f64_e32 v[150:151], v[142:143], v[100:101]
	v_mul_f64_e32 v[100:101], v[144:145], v[100:101]
	v_fmac_f64_e32 v[8:9], v[128:129], v[94:95]
	v_fma_f64 v[154:155], v[126:127], v[94:95], -v[96:97]
	ds_load_b128 v[94:97], v2 offset:1056
	ds_load_b128 v[126:129], v2 offset:1072
	v_add_f64_e32 v[4:5], v[4:5], v[134:135]
	v_add_f64_e32 v[134:135], v[136:137], v[152:153]
	v_fmac_f64_e32 v[150:151], v[144:145], v[98:99]
	v_fma_f64 v[98:99], v[142:143], v[98:99], -v[100:101]
	s_wait_loadcnt_dscnt 0xa01
	v_mul_f64_e32 v[136:137], v[94:95], v[104:105]
	v_mul_f64_e32 v[104:105], v[96:97], v[104:105]
	v_add_f64_e32 v[4:5], v[4:5], v[154:155]
	v_add_f64_e32 v[8:9], v[134:135], v[8:9]
	s_wait_loadcnt_dscnt 0x900
	v_mul_f64_e32 v[134:135], v[126:127], v[108:109]
	v_mul_f64_e32 v[108:109], v[128:129], v[108:109]
	v_fmac_f64_e32 v[136:137], v[96:97], v[102:103]
	v_fma_f64 v[102:103], v[94:95], v[102:103], -v[104:105]
	v_add_f64_e32 v[4:5], v[4:5], v[98:99]
	v_add_f64_e32 v[8:9], v[8:9], v[150:151]
	ds_load_b128 v[94:97], v2 offset:1088
	ds_load_b128 v[98:101], v2 offset:1104
	v_fmac_f64_e32 v[134:135], v[128:129], v[106:107]
	v_fma_f64 v[106:107], v[126:127], v[106:107], -v[108:109]
	s_wait_loadcnt_dscnt 0x801
	v_mul_f64_e32 v[142:143], v[94:95], v[112:113]
	v_mul_f64_e32 v[104:105], v[96:97], v[112:113]
	s_wait_loadcnt_dscnt 0x700
	v_mul_f64_e32 v[108:109], v[98:99], v[116:117]
	v_mul_f64_e32 v[112:113], v[100:101], v[116:117]
	v_add_f64_e32 v[4:5], v[4:5], v[102:103]
	v_add_f64_e32 v[8:9], v[8:9], v[136:137]
	v_fmac_f64_e32 v[142:143], v[96:97], v[110:111]
	v_fma_f64 v[110:111], v[94:95], v[110:111], -v[104:105]
	ds_load_b128 v[94:97], v2 offset:1120
	ds_load_b128 v[102:105], v2 offset:1136
	v_fmac_f64_e32 v[108:109], v[100:101], v[114:115]
	v_fma_f64 v[98:99], v[98:99], v[114:115], -v[112:113]
	v_add_f64_e32 v[4:5], v[4:5], v[106:107]
	v_add_f64_e32 v[8:9], v[8:9], v[134:135]
	s_wait_loadcnt_dscnt 0x601
	v_mul_f64_e32 v[106:107], v[94:95], v[120:121]
	v_mul_f64_e32 v[116:117], v[96:97], v[120:121]
	s_wait_loadcnt_dscnt 0x500
	v_mul_f64_e32 v[112:113], v[104:105], v[124:125]
	v_add_f64_e32 v[4:5], v[4:5], v[110:111]
	v_add_f64_e32 v[8:9], v[8:9], v[142:143]
	v_mul_f64_e32 v[110:111], v[102:103], v[124:125]
	v_fmac_f64_e32 v[106:107], v[96:97], v[118:119]
	v_fma_f64 v[114:115], v[94:95], v[118:119], -v[116:117]
	v_fma_f64 v[102:103], v[102:103], v[122:123], -v[112:113]
	v_add_f64_e32 v[4:5], v[4:5], v[98:99]
	v_add_f64_e32 v[8:9], v[8:9], v[108:109]
	ds_load_b128 v[94:97], v2 offset:1152
	ds_load_b128 v[98:101], v2 offset:1168
	v_fmac_f64_e32 v[110:111], v[104:105], v[122:123]
	s_wait_loadcnt_dscnt 0x401
	v_mul_f64_e32 v[108:109], v[94:95], v[132:133]
	v_mul_f64_e32 v[116:117], v[96:97], v[132:133]
	v_add_f64_e32 v[4:5], v[4:5], v[114:115]
	v_add_f64_e32 v[8:9], v[8:9], v[106:107]
	s_wait_loadcnt_dscnt 0x200
	v_mul_f64_e32 v[104:105], v[98:99], v[12:13]
	v_mul_f64_e32 v[12:13], v[100:101], v[12:13]
	v_fmac_f64_e32 v[108:109], v[96:97], v[130:131]
	v_fma_f64 v[106:107], v[94:95], v[130:131], -v[116:117]
	v_add_f64_e32 v[102:103], v[4:5], v[102:103]
	v_add_f64_e32 v[8:9], v[8:9], v[110:111]
	ds_load_b128 v[94:97], v2 offset:1184
	ds_load_b128 v[2:5], v2 offset:1200
	v_fmac_f64_e32 v[104:105], v[100:101], v[10:11]
	v_fma_f64 v[10:11], v[98:99], v[10:11], -v[12:13]
	s_wait_loadcnt_dscnt 0x101
	v_mul_f64_e32 v[110:111], v[94:95], v[148:149]
	v_mul_f64_e32 v[112:113], v[96:97], v[148:149]
	s_wait_loadcnt_dscnt 0x0
	v_mul_f64_e32 v[98:99], v[2:3], v[92:93]
	v_mul_f64_e32 v[92:93], v[4:5], v[92:93]
	v_add_f64_e32 v[12:13], v[102:103], v[106:107]
	v_add_f64_e32 v[8:9], v[8:9], v[108:109]
	v_fmac_f64_e32 v[110:111], v[96:97], v[146:147]
	v_fma_f64 v[94:95], v[94:95], v[146:147], -v[112:113]
	v_fmac_f64_e32 v[98:99], v[4:5], v[90:91]
	v_fma_f64 v[2:3], v[2:3], v[90:91], -v[92:93]
	v_add_f64_e32 v[10:11], v[12:13], v[10:11]
	v_add_f64_e32 v[8:9], v[8:9], v[104:105]
	s_delay_alu instid0(VALU_DEP_2) | instskip(NEXT) | instid1(VALU_DEP_2)
	v_add_f64_e32 v[4:5], v[10:11], v[94:95]
	v_add_f64_e32 v[8:9], v[8:9], v[110:111]
	s_delay_alu instid0(VALU_DEP_2) | instskip(NEXT) | instid1(VALU_DEP_2)
	v_add_f64_e32 v[2:3], v[4:5], v[2:3]
	v_add_f64_e32 v[4:5], v[8:9], v[98:99]
	s_delay_alu instid0(VALU_DEP_2) | instskip(NEXT) | instid1(VALU_DEP_2)
	v_add_f64_e64 v[2:3], v[138:139], -v[2:3]
	v_add_f64_e64 v[4:5], v[140:141], -v[4:5]
	scratch_store_b128 off, v[2:5], off offset:368
	s_wait_xcnt 0x0
	v_cmpx_lt_u32_e32 22, v1
	s_cbranch_execz .LBB101_197
; %bb.196:
	scratch_load_b128 v[2:5], off, s31
	v_mov_b32_e32 v8, 0
	s_delay_alu instid0(VALU_DEP_1)
	v_dual_mov_b32 v9, v8 :: v_dual_mov_b32 v10, v8
	v_mov_b32_e32 v11, v8
	scratch_store_b128 off, v[8:11], off offset:352
	s_wait_loadcnt 0x0
	ds_store_b128 v6, v[2:5]
.LBB101_197:
	s_wait_xcnt 0x0
	s_or_b32 exec_lo, exec_lo, s2
	s_wait_storecnt_dscnt 0x0
	s_barrier_signal -1
	s_barrier_wait -1
	s_clause 0x9
	scratch_load_b128 v[8:11], off, off offset:368
	scratch_load_b128 v[90:93], off, off offset:384
	scratch_load_b128 v[94:97], off, off offset:400
	scratch_load_b128 v[98:101], off, off offset:416
	scratch_load_b128 v[102:105], off, off offset:432
	scratch_load_b128 v[106:109], off, off offset:448
	scratch_load_b128 v[110:113], off, off offset:464
	scratch_load_b128 v[114:117], off, off offset:480
	scratch_load_b128 v[118:121], off, off offset:496
	scratch_load_b128 v[122:125], off, off offset:512
	v_mov_b32_e32 v2, 0
	s_mov_b32 s2, exec_lo
	ds_load_b128 v[126:129], v2 offset:976
	s_clause 0x2
	scratch_load_b128 v[130:133], off, off offset:528
	scratch_load_b128 v[134:137], off, off offset:352
	;; [unrolled: 1-line block ×3, first 2 shown]
	s_wait_loadcnt_dscnt 0xc00
	v_mul_f64_e32 v[4:5], v[128:129], v[10:11]
	v_mul_f64_e32 v[150:151], v[126:127], v[10:11]
	ds_load_b128 v[138:141], v2 offset:992
	scratch_load_b128 v[10:13], off, off offset:544
	ds_load_b128 v[146:149], v2 offset:1024
	v_fma_f64 v[4:5], v[126:127], v[8:9], -v[4:5]
	v_fmac_f64_e32 v[150:151], v[128:129], v[8:9]
	ds_load_b128 v[126:129], v2 offset:1008
	s_wait_loadcnt_dscnt 0xc02
	v_mul_f64_e32 v[152:153], v[138:139], v[92:93]
	v_mul_f64_e32 v[92:93], v[140:141], v[92:93]
	s_wait_loadcnt_dscnt 0xb00
	v_mul_f64_e32 v[8:9], v[126:127], v[96:97]
	v_mul_f64_e32 v[96:97], v[128:129], v[96:97]
	v_add_f64_e32 v[4:5], 0, v[4:5]
	v_fmac_f64_e32 v[152:153], v[140:141], v[90:91]
	v_fma_f64 v[138:139], v[138:139], v[90:91], -v[92:93]
	v_add_f64_e32 v[140:141], 0, v[150:151]
	scratch_load_b128 v[90:93], off, off offset:576
	v_fmac_f64_e32 v[8:9], v[128:129], v[94:95]
	v_fma_f64 v[154:155], v[126:127], v[94:95], -v[96:97]
	ds_load_b128 v[94:97], v2 offset:1040
	s_wait_loadcnt 0xb
	v_mul_f64_e32 v[150:151], v[146:147], v[100:101]
	v_mul_f64_e32 v[100:101], v[148:149], v[100:101]
	scratch_load_b128 v[126:129], off, off offset:592
	v_add_f64_e32 v[4:5], v[4:5], v[138:139]
	v_add_f64_e32 v[152:153], v[140:141], v[152:153]
	ds_load_b128 v[138:141], v2 offset:1056
	s_wait_loadcnt_dscnt 0xb01
	v_mul_f64_e32 v[156:157], v[94:95], v[104:105]
	v_mul_f64_e32 v[104:105], v[96:97], v[104:105]
	v_fmac_f64_e32 v[150:151], v[148:149], v[98:99]
	v_fma_f64 v[98:99], v[146:147], v[98:99], -v[100:101]
	s_wait_loadcnt_dscnt 0xa00
	v_mul_f64_e32 v[146:147], v[138:139], v[108:109]
	v_mul_f64_e32 v[108:109], v[140:141], v[108:109]
	v_add_f64_e32 v[4:5], v[4:5], v[154:155]
	v_add_f64_e32 v[8:9], v[152:153], v[8:9]
	v_fmac_f64_e32 v[156:157], v[96:97], v[102:103]
	v_fma_f64 v[102:103], v[94:95], v[102:103], -v[104:105]
	v_fmac_f64_e32 v[146:147], v[140:141], v[106:107]
	v_fma_f64 v[106:107], v[138:139], v[106:107], -v[108:109]
	v_add_f64_e32 v[4:5], v[4:5], v[98:99]
	v_add_f64_e32 v[8:9], v[8:9], v[150:151]
	ds_load_b128 v[94:97], v2 offset:1072
	ds_load_b128 v[98:101], v2 offset:1088
	s_wait_loadcnt_dscnt 0x901
	v_mul_f64_e32 v[148:149], v[94:95], v[112:113]
	v_mul_f64_e32 v[104:105], v[96:97], v[112:113]
	s_wait_loadcnt_dscnt 0x800
	v_mul_f64_e32 v[108:109], v[98:99], v[116:117]
	v_mul_f64_e32 v[112:113], v[100:101], v[116:117]
	v_add_f64_e32 v[4:5], v[4:5], v[102:103]
	v_add_f64_e32 v[8:9], v[8:9], v[156:157]
	v_fmac_f64_e32 v[148:149], v[96:97], v[110:111]
	v_fma_f64 v[110:111], v[94:95], v[110:111], -v[104:105]
	ds_load_b128 v[94:97], v2 offset:1104
	ds_load_b128 v[102:105], v2 offset:1120
	v_fmac_f64_e32 v[108:109], v[100:101], v[114:115]
	v_fma_f64 v[98:99], v[98:99], v[114:115], -v[112:113]
	v_add_f64_e32 v[4:5], v[4:5], v[106:107]
	v_add_f64_e32 v[8:9], v[8:9], v[146:147]
	s_wait_loadcnt_dscnt 0x701
	v_mul_f64_e32 v[106:107], v[94:95], v[120:121]
	v_mul_f64_e32 v[116:117], v[96:97], v[120:121]
	s_wait_loadcnt_dscnt 0x600
	v_mul_f64_e32 v[112:113], v[104:105], v[124:125]
	v_add_f64_e32 v[4:5], v[4:5], v[110:111]
	v_add_f64_e32 v[8:9], v[8:9], v[148:149]
	v_mul_f64_e32 v[110:111], v[102:103], v[124:125]
	v_fmac_f64_e32 v[106:107], v[96:97], v[118:119]
	v_fma_f64 v[114:115], v[94:95], v[118:119], -v[116:117]
	v_fma_f64 v[102:103], v[102:103], v[122:123], -v[112:113]
	v_add_f64_e32 v[4:5], v[4:5], v[98:99]
	v_add_f64_e32 v[8:9], v[8:9], v[108:109]
	ds_load_b128 v[94:97], v2 offset:1136
	ds_load_b128 v[98:101], v2 offset:1152
	v_fmac_f64_e32 v[110:111], v[104:105], v[122:123]
	s_wait_loadcnt_dscnt 0x501
	v_mul_f64_e32 v[108:109], v[94:95], v[132:133]
	v_mul_f64_e32 v[116:117], v[96:97], v[132:133]
	v_add_f64_e32 v[4:5], v[4:5], v[114:115]
	v_add_f64_e32 v[8:9], v[8:9], v[106:107]
	s_wait_loadcnt_dscnt 0x200
	v_mul_f64_e32 v[106:107], v[98:99], v[12:13]
	v_mul_f64_e32 v[12:13], v[100:101], v[12:13]
	v_fmac_f64_e32 v[108:109], v[96:97], v[130:131]
	v_fma_f64 v[112:113], v[94:95], v[130:131], -v[116:117]
	v_add_f64_e32 v[4:5], v[4:5], v[102:103]
	v_add_f64_e32 v[8:9], v[8:9], v[110:111]
	ds_load_b128 v[94:97], v2 offset:1168
	ds_load_b128 v[102:105], v2 offset:1184
	v_fmac_f64_e32 v[106:107], v[100:101], v[10:11]
	v_fma_f64 v[10:11], v[98:99], v[10:11], -v[12:13]
	s_wait_dscnt 0x1
	v_mul_f64_e32 v[110:111], v[94:95], v[144:145]
	v_mul_f64_e32 v[114:115], v[96:97], v[144:145]
	v_add_f64_e32 v[4:5], v[4:5], v[112:113]
	v_add_f64_e32 v[8:9], v[8:9], v[108:109]
	s_wait_loadcnt_dscnt 0x100
	v_mul_f64_e32 v[12:13], v[102:103], v[92:93]
	v_mul_f64_e32 v[92:93], v[104:105], v[92:93]
	v_fmac_f64_e32 v[110:111], v[96:97], v[142:143]
	v_fma_f64 v[94:95], v[94:95], v[142:143], -v[114:115]
	v_add_f64_e32 v[4:5], v[4:5], v[10:11]
	v_add_f64_e32 v[96:97], v[8:9], v[106:107]
	ds_load_b128 v[8:11], v2 offset:1200
	v_fmac_f64_e32 v[12:13], v[104:105], v[90:91]
	v_fma_f64 v[90:91], v[102:103], v[90:91], -v[92:93]
	s_wait_loadcnt_dscnt 0x0
	v_mul_f64_e32 v[98:99], v[8:9], v[128:129]
	v_mul_f64_e32 v[100:101], v[10:11], v[128:129]
	v_add_f64_e32 v[4:5], v[4:5], v[94:95]
	v_add_f64_e32 v[92:93], v[96:97], v[110:111]
	s_delay_alu instid0(VALU_DEP_4) | instskip(NEXT) | instid1(VALU_DEP_4)
	v_fmac_f64_e32 v[98:99], v[10:11], v[126:127]
	v_fma_f64 v[8:9], v[8:9], v[126:127], -v[100:101]
	s_delay_alu instid0(VALU_DEP_4) | instskip(NEXT) | instid1(VALU_DEP_4)
	v_add_f64_e32 v[4:5], v[4:5], v[90:91]
	v_add_f64_e32 v[10:11], v[92:93], v[12:13]
	s_delay_alu instid0(VALU_DEP_2) | instskip(NEXT) | instid1(VALU_DEP_2)
	v_add_f64_e32 v[4:5], v[4:5], v[8:9]
	v_add_f64_e32 v[10:11], v[10:11], v[98:99]
	s_delay_alu instid0(VALU_DEP_2) | instskip(NEXT) | instid1(VALU_DEP_2)
	v_add_f64_e64 v[8:9], v[134:135], -v[4:5]
	v_add_f64_e64 v[10:11], v[136:137], -v[10:11]
	scratch_store_b128 off, v[8:11], off offset:352
	s_wait_xcnt 0x0
	v_cmpx_lt_u32_e32 21, v1
	s_cbranch_execz .LBB101_199
; %bb.198:
	scratch_load_b128 v[8:11], off, s33
	v_dual_mov_b32 v3, v2 :: v_dual_mov_b32 v4, v2
	v_mov_b32_e32 v5, v2
	scratch_store_b128 off, v[2:5], off offset:336
	s_wait_loadcnt 0x0
	ds_store_b128 v6, v[8:11]
.LBB101_199:
	s_wait_xcnt 0x0
	s_or_b32 exec_lo, exec_lo, s2
	s_wait_storecnt_dscnt 0x0
	s_barrier_signal -1
	s_barrier_wait -1
	s_clause 0x9
	scratch_load_b128 v[8:11], off, off offset:352
	scratch_load_b128 v[90:93], off, off offset:368
	;; [unrolled: 1-line block ×10, first 2 shown]
	ds_load_b128 v[126:129], v2 offset:960
	ds_load_b128 v[134:137], v2 offset:976
	s_clause 0x1
	scratch_load_b128 v[130:133], off, off offset:512
	scratch_load_b128 v[138:141], off, off offset:336
	s_mov_b32 s2, exec_lo
	s_wait_loadcnt_dscnt 0xb01
	v_mul_f64_e32 v[4:5], v[128:129], v[10:11]
	v_mul_f64_e32 v[150:151], v[126:127], v[10:11]
	scratch_load_b128 v[10:13], off, off offset:528
	s_wait_loadcnt_dscnt 0xb00
	v_mul_f64_e32 v[152:153], v[134:135], v[92:93]
	v_mul_f64_e32 v[92:93], v[136:137], v[92:93]
	v_fma_f64 v[4:5], v[126:127], v[8:9], -v[4:5]
	v_fmac_f64_e32 v[150:151], v[128:129], v[8:9]
	ds_load_b128 v[126:129], v2 offset:992
	ds_load_b128 v[142:145], v2 offset:1008
	scratch_load_b128 v[146:149], off, off offset:544
	v_fmac_f64_e32 v[152:153], v[136:137], v[90:91]
	v_fma_f64 v[134:135], v[134:135], v[90:91], -v[92:93]
	scratch_load_b128 v[90:93], off, off offset:560
	s_wait_loadcnt_dscnt 0xc01
	v_mul_f64_e32 v[8:9], v[126:127], v[96:97]
	v_mul_f64_e32 v[96:97], v[128:129], v[96:97]
	v_add_f64_e32 v[4:5], 0, v[4:5]
	v_add_f64_e32 v[136:137], 0, v[150:151]
	s_wait_loadcnt_dscnt 0xb00
	v_mul_f64_e32 v[150:151], v[142:143], v[100:101]
	v_mul_f64_e32 v[100:101], v[144:145], v[100:101]
	v_fmac_f64_e32 v[8:9], v[128:129], v[94:95]
	v_fma_f64 v[154:155], v[126:127], v[94:95], -v[96:97]
	ds_load_b128 v[94:97], v2 offset:1024
	ds_load_b128 v[126:129], v2 offset:1040
	v_add_f64_e32 v[4:5], v[4:5], v[134:135]
	v_add_f64_e32 v[152:153], v[136:137], v[152:153]
	scratch_load_b128 v[134:137], off, off offset:576
	v_fmac_f64_e32 v[150:151], v[144:145], v[98:99]
	v_fma_f64 v[142:143], v[142:143], v[98:99], -v[100:101]
	scratch_load_b128 v[98:101], off, off offset:592
	s_wait_loadcnt_dscnt 0xc01
	v_mul_f64_e32 v[156:157], v[94:95], v[104:105]
	v_mul_f64_e32 v[104:105], v[96:97], v[104:105]
	s_wait_loadcnt_dscnt 0xb00
	v_mul_f64_e32 v[144:145], v[126:127], v[108:109]
	v_mul_f64_e32 v[108:109], v[128:129], v[108:109]
	v_add_f64_e32 v[4:5], v[4:5], v[154:155]
	v_add_f64_e32 v[8:9], v[152:153], v[8:9]
	v_fmac_f64_e32 v[156:157], v[96:97], v[102:103]
	v_fma_f64 v[152:153], v[94:95], v[102:103], -v[104:105]
	ds_load_b128 v[94:97], v2 offset:1056
	ds_load_b128 v[102:105], v2 offset:1072
	v_fmac_f64_e32 v[144:145], v[128:129], v[106:107]
	v_fma_f64 v[106:107], v[126:127], v[106:107], -v[108:109]
	s_wait_loadcnt_dscnt 0x900
	v_mul_f64_e32 v[126:127], v[102:103], v[116:117]
	v_add_f64_e32 v[4:5], v[4:5], v[142:143]
	v_add_f64_e32 v[8:9], v[8:9], v[150:151]
	v_mul_f64_e32 v[142:143], v[94:95], v[112:113]
	v_mul_f64_e32 v[112:113], v[96:97], v[112:113]
	;; [unrolled: 1-line block ×3, first 2 shown]
	v_fmac_f64_e32 v[126:127], v[104:105], v[114:115]
	v_add_f64_e32 v[4:5], v[4:5], v[152:153]
	v_add_f64_e32 v[8:9], v[8:9], v[156:157]
	v_fmac_f64_e32 v[142:143], v[96:97], v[110:111]
	v_fma_f64 v[110:111], v[94:95], v[110:111], -v[112:113]
	v_fma_f64 v[102:103], v[102:103], v[114:115], -v[116:117]
	v_add_f64_e32 v[4:5], v[4:5], v[106:107]
	v_add_f64_e32 v[8:9], v[8:9], v[144:145]
	ds_load_b128 v[94:97], v2 offset:1088
	ds_load_b128 v[106:109], v2 offset:1104
	s_wait_loadcnt_dscnt 0x801
	v_mul_f64_e32 v[112:113], v[94:95], v[120:121]
	v_mul_f64_e32 v[120:121], v[96:97], v[120:121]
	s_wait_loadcnt_dscnt 0x700
	v_mul_f64_e32 v[114:115], v[108:109], v[124:125]
	v_add_f64_e32 v[4:5], v[4:5], v[110:111]
	v_add_f64_e32 v[8:9], v[8:9], v[142:143]
	v_mul_f64_e32 v[110:111], v[106:107], v[124:125]
	v_fmac_f64_e32 v[112:113], v[96:97], v[118:119]
	v_fma_f64 v[116:117], v[94:95], v[118:119], -v[120:121]
	v_fma_f64 v[106:107], v[106:107], v[122:123], -v[114:115]
	v_add_f64_e32 v[4:5], v[4:5], v[102:103]
	v_add_f64_e32 v[8:9], v[8:9], v[126:127]
	ds_load_b128 v[94:97], v2 offset:1120
	ds_load_b128 v[102:105], v2 offset:1136
	v_fmac_f64_e32 v[110:111], v[108:109], v[122:123]
	s_wait_loadcnt_dscnt 0x601
	v_mul_f64_e32 v[118:119], v[94:95], v[132:133]
	v_mul_f64_e32 v[120:121], v[96:97], v[132:133]
	v_add_f64_e32 v[4:5], v[4:5], v[116:117]
	v_add_f64_e32 v[8:9], v[8:9], v[112:113]
	s_wait_loadcnt_dscnt 0x400
	v_mul_f64_e32 v[112:113], v[102:103], v[12:13]
	v_mul_f64_e32 v[12:13], v[104:105], v[12:13]
	v_fmac_f64_e32 v[118:119], v[96:97], v[130:131]
	v_fma_f64 v[114:115], v[94:95], v[130:131], -v[120:121]
	v_add_f64_e32 v[4:5], v[4:5], v[106:107]
	v_add_f64_e32 v[8:9], v[8:9], v[110:111]
	ds_load_b128 v[94:97], v2 offset:1152
	ds_load_b128 v[106:109], v2 offset:1168
	v_fmac_f64_e32 v[112:113], v[104:105], v[10:11]
	v_fma_f64 v[10:11], v[102:103], v[10:11], -v[12:13]
	s_wait_loadcnt_dscnt 0x301
	v_mul_f64_e32 v[110:111], v[94:95], v[148:149]
	v_mul_f64_e32 v[116:117], v[96:97], v[148:149]
	s_wait_loadcnt_dscnt 0x200
	v_mul_f64_e32 v[12:13], v[106:107], v[92:93]
	v_mul_f64_e32 v[92:93], v[108:109], v[92:93]
	v_add_f64_e32 v[4:5], v[4:5], v[114:115]
	v_add_f64_e32 v[8:9], v[8:9], v[118:119]
	v_fmac_f64_e32 v[110:111], v[96:97], v[146:147]
	v_fma_f64 v[94:95], v[94:95], v[146:147], -v[116:117]
	v_fmac_f64_e32 v[12:13], v[108:109], v[90:91]
	v_fma_f64 v[90:91], v[106:107], v[90:91], -v[92:93]
	v_add_f64_e32 v[96:97], v[4:5], v[10:11]
	v_add_f64_e32 v[102:103], v[8:9], v[112:113]
	ds_load_b128 v[8:11], v2 offset:1184
	ds_load_b128 v[2:5], v2 offset:1200
	s_wait_loadcnt_dscnt 0x101
	v_mul_f64_e32 v[104:105], v[8:9], v[136:137]
	v_mul_f64_e32 v[112:113], v[10:11], v[136:137]
	v_add_f64_e32 v[92:93], v[96:97], v[94:95]
	v_add_f64_e32 v[94:95], v[102:103], v[110:111]
	s_wait_loadcnt_dscnt 0x0
	v_mul_f64_e32 v[96:97], v[2:3], v[100:101]
	v_mul_f64_e32 v[100:101], v[4:5], v[100:101]
	v_fmac_f64_e32 v[104:105], v[10:11], v[134:135]
	v_fma_f64 v[8:9], v[8:9], v[134:135], -v[112:113]
	v_add_f64_e32 v[10:11], v[92:93], v[90:91]
	v_add_f64_e32 v[12:13], v[94:95], v[12:13]
	v_fmac_f64_e32 v[96:97], v[4:5], v[98:99]
	v_fma_f64 v[2:3], v[2:3], v[98:99], -v[100:101]
	s_delay_alu instid0(VALU_DEP_4) | instskip(NEXT) | instid1(VALU_DEP_4)
	v_add_f64_e32 v[4:5], v[10:11], v[8:9]
	v_add_f64_e32 v[8:9], v[12:13], v[104:105]
	s_delay_alu instid0(VALU_DEP_2) | instskip(NEXT) | instid1(VALU_DEP_2)
	v_add_f64_e32 v[2:3], v[4:5], v[2:3]
	v_add_f64_e32 v[4:5], v[8:9], v[96:97]
	s_delay_alu instid0(VALU_DEP_2) | instskip(NEXT) | instid1(VALU_DEP_2)
	v_add_f64_e64 v[2:3], v[138:139], -v[2:3]
	v_add_f64_e64 v[4:5], v[140:141], -v[4:5]
	scratch_store_b128 off, v[2:5], off offset:336
	s_wait_xcnt 0x0
	v_cmpx_lt_u32_e32 20, v1
	s_cbranch_execz .LBB101_201
; %bb.200:
	scratch_load_b128 v[2:5], off, s34
	v_mov_b32_e32 v8, 0
	s_delay_alu instid0(VALU_DEP_1)
	v_dual_mov_b32 v9, v8 :: v_dual_mov_b32 v10, v8
	v_mov_b32_e32 v11, v8
	scratch_store_b128 off, v[8:11], off offset:320
	s_wait_loadcnt 0x0
	ds_store_b128 v6, v[2:5]
.LBB101_201:
	s_wait_xcnt 0x0
	s_or_b32 exec_lo, exec_lo, s2
	s_wait_storecnt_dscnt 0x0
	s_barrier_signal -1
	s_barrier_wait -1
	s_clause 0x9
	scratch_load_b128 v[8:11], off, off offset:336
	scratch_load_b128 v[90:93], off, off offset:352
	;; [unrolled: 1-line block ×10, first 2 shown]
	v_mov_b32_e32 v2, 0
	s_mov_b32 s2, exec_lo
	ds_load_b128 v[126:129], v2 offset:944
	s_clause 0x2
	scratch_load_b128 v[130:133], off, off offset:496
	scratch_load_b128 v[134:137], off, off offset:320
	;; [unrolled: 1-line block ×3, first 2 shown]
	s_wait_loadcnt_dscnt 0xc00
	v_mul_f64_e32 v[4:5], v[128:129], v[10:11]
	v_mul_f64_e32 v[150:151], v[126:127], v[10:11]
	ds_load_b128 v[138:141], v2 offset:960
	scratch_load_b128 v[10:13], off, off offset:512
	ds_load_b128 v[146:149], v2 offset:992
	v_fma_f64 v[4:5], v[126:127], v[8:9], -v[4:5]
	v_fmac_f64_e32 v[150:151], v[128:129], v[8:9]
	ds_load_b128 v[126:129], v2 offset:976
	s_wait_loadcnt_dscnt 0xc02
	v_mul_f64_e32 v[152:153], v[138:139], v[92:93]
	v_mul_f64_e32 v[92:93], v[140:141], v[92:93]
	s_wait_loadcnt_dscnt 0xb00
	v_mul_f64_e32 v[8:9], v[126:127], v[96:97]
	v_mul_f64_e32 v[96:97], v[128:129], v[96:97]
	v_add_f64_e32 v[4:5], 0, v[4:5]
	v_fmac_f64_e32 v[152:153], v[140:141], v[90:91]
	v_fma_f64 v[138:139], v[138:139], v[90:91], -v[92:93]
	v_add_f64_e32 v[140:141], 0, v[150:151]
	scratch_load_b128 v[90:93], off, off offset:544
	v_fmac_f64_e32 v[8:9], v[128:129], v[94:95]
	v_fma_f64 v[154:155], v[126:127], v[94:95], -v[96:97]
	ds_load_b128 v[94:97], v2 offset:1008
	s_wait_loadcnt 0xb
	v_mul_f64_e32 v[150:151], v[146:147], v[100:101]
	v_mul_f64_e32 v[100:101], v[148:149], v[100:101]
	scratch_load_b128 v[126:129], off, off offset:560
	v_add_f64_e32 v[4:5], v[4:5], v[138:139]
	v_add_f64_e32 v[152:153], v[140:141], v[152:153]
	ds_load_b128 v[138:141], v2 offset:1024
	s_wait_loadcnt_dscnt 0xb01
	v_mul_f64_e32 v[156:157], v[94:95], v[104:105]
	v_mul_f64_e32 v[104:105], v[96:97], v[104:105]
	v_fmac_f64_e32 v[150:151], v[148:149], v[98:99]
	v_fma_f64 v[146:147], v[146:147], v[98:99], -v[100:101]
	scratch_load_b128 v[98:101], off, off offset:576
	v_add_f64_e32 v[4:5], v[4:5], v[154:155]
	v_add_f64_e32 v[8:9], v[152:153], v[8:9]
	v_fmac_f64_e32 v[156:157], v[96:97], v[102:103]
	v_fma_f64 v[154:155], v[94:95], v[102:103], -v[104:105]
	ds_load_b128 v[94:97], v2 offset:1040
	s_wait_loadcnt_dscnt 0xb01
	v_mul_f64_e32 v[152:153], v[138:139], v[108:109]
	v_mul_f64_e32 v[108:109], v[140:141], v[108:109]
	scratch_load_b128 v[102:105], off, off offset:592
	v_add_f64_e32 v[4:5], v[4:5], v[146:147]
	v_add_f64_e32 v[8:9], v[8:9], v[150:151]
	s_wait_loadcnt_dscnt 0xb00
	v_mul_f64_e32 v[150:151], v[94:95], v[112:113]
	v_mul_f64_e32 v[112:113], v[96:97], v[112:113]
	ds_load_b128 v[146:149], v2 offset:1056
	v_fmac_f64_e32 v[152:153], v[140:141], v[106:107]
	v_fma_f64 v[106:107], v[138:139], v[106:107], -v[108:109]
	s_wait_loadcnt_dscnt 0xa00
	v_mul_f64_e32 v[138:139], v[146:147], v[116:117]
	v_mul_f64_e32 v[116:117], v[148:149], v[116:117]
	v_add_f64_e32 v[4:5], v[4:5], v[154:155]
	v_add_f64_e32 v[8:9], v[8:9], v[156:157]
	v_fmac_f64_e32 v[150:151], v[96:97], v[110:111]
	v_fma_f64 v[110:111], v[94:95], v[110:111], -v[112:113]
	v_fmac_f64_e32 v[138:139], v[148:149], v[114:115]
	v_fma_f64 v[114:115], v[146:147], v[114:115], -v[116:117]
	v_add_f64_e32 v[4:5], v[4:5], v[106:107]
	v_add_f64_e32 v[8:9], v[8:9], v[152:153]
	ds_load_b128 v[94:97], v2 offset:1072
	ds_load_b128 v[106:109], v2 offset:1088
	s_wait_loadcnt_dscnt 0x901
	v_mul_f64_e32 v[140:141], v[94:95], v[120:121]
	v_mul_f64_e32 v[112:113], v[96:97], v[120:121]
	s_wait_loadcnt_dscnt 0x800
	v_mul_f64_e32 v[116:117], v[106:107], v[124:125]
	v_mul_f64_e32 v[120:121], v[108:109], v[124:125]
	v_add_f64_e32 v[4:5], v[4:5], v[110:111]
	v_add_f64_e32 v[8:9], v[8:9], v[150:151]
	v_fmac_f64_e32 v[140:141], v[96:97], v[118:119]
	v_fma_f64 v[118:119], v[94:95], v[118:119], -v[112:113]
	ds_load_b128 v[94:97], v2 offset:1104
	ds_load_b128 v[110:113], v2 offset:1120
	v_fmac_f64_e32 v[116:117], v[108:109], v[122:123]
	v_fma_f64 v[106:107], v[106:107], v[122:123], -v[120:121]
	v_add_f64_e32 v[4:5], v[4:5], v[114:115]
	v_add_f64_e32 v[8:9], v[8:9], v[138:139]
	s_wait_loadcnt_dscnt 0x701
	v_mul_f64_e32 v[114:115], v[94:95], v[132:133]
	v_mul_f64_e32 v[124:125], v[96:97], v[132:133]
	s_delay_alu instid0(VALU_DEP_4) | instskip(NEXT) | instid1(VALU_DEP_4)
	v_add_f64_e32 v[4:5], v[4:5], v[118:119]
	v_add_f64_e32 v[8:9], v[8:9], v[140:141]
	s_wait_loadcnt_dscnt 0x400
	v_mul_f64_e32 v[118:119], v[110:111], v[12:13]
	v_mul_f64_e32 v[12:13], v[112:113], v[12:13]
	v_fmac_f64_e32 v[114:115], v[96:97], v[130:131]
	v_fma_f64 v[120:121], v[94:95], v[130:131], -v[124:125]
	v_add_f64_e32 v[4:5], v[4:5], v[106:107]
	v_add_f64_e32 v[8:9], v[8:9], v[116:117]
	ds_load_b128 v[94:97], v2 offset:1136
	ds_load_b128 v[106:109], v2 offset:1152
	v_fmac_f64_e32 v[118:119], v[112:113], v[10:11]
	v_fma_f64 v[10:11], v[110:111], v[10:11], -v[12:13]
	s_wait_dscnt 0x1
	v_mul_f64_e32 v[116:117], v[94:95], v[144:145]
	v_mul_f64_e32 v[122:123], v[96:97], v[144:145]
	v_add_f64_e32 v[4:5], v[4:5], v[120:121]
	v_add_f64_e32 v[8:9], v[8:9], v[114:115]
	s_wait_loadcnt_dscnt 0x300
	v_mul_f64_e32 v[12:13], v[106:107], v[92:93]
	v_mul_f64_e32 v[110:111], v[108:109], v[92:93]
	v_fmac_f64_e32 v[116:117], v[96:97], v[142:143]
	v_fma_f64 v[96:97], v[94:95], v[142:143], -v[122:123]
	v_add_f64_e32 v[4:5], v[4:5], v[10:11]
	v_add_f64_e32 v[112:113], v[8:9], v[118:119]
	ds_load_b128 v[8:11], v2 offset:1168
	ds_load_b128 v[92:95], v2 offset:1184
	v_fmac_f64_e32 v[12:13], v[108:109], v[90:91]
	v_fma_f64 v[90:91], v[106:107], v[90:91], -v[110:111]
	s_wait_loadcnt_dscnt 0x201
	v_mul_f64_e32 v[114:115], v[8:9], v[128:129]
	v_mul_f64_e32 v[118:119], v[10:11], v[128:129]
	s_wait_loadcnt_dscnt 0x100
	v_mul_f64_e32 v[106:107], v[92:93], v[100:101]
	v_mul_f64_e32 v[100:101], v[94:95], v[100:101]
	v_add_f64_e32 v[4:5], v[4:5], v[96:97]
	v_add_f64_e32 v[96:97], v[112:113], v[116:117]
	v_fmac_f64_e32 v[114:115], v[10:11], v[126:127]
	v_fma_f64 v[108:109], v[8:9], v[126:127], -v[118:119]
	ds_load_b128 v[8:11], v2 offset:1200
	v_fmac_f64_e32 v[106:107], v[94:95], v[98:99]
	v_fma_f64 v[92:93], v[92:93], v[98:99], -v[100:101]
	v_add_f64_e32 v[4:5], v[4:5], v[90:91]
	v_add_f64_e32 v[12:13], v[96:97], v[12:13]
	s_wait_loadcnt_dscnt 0x0
	v_mul_f64_e32 v[90:91], v[8:9], v[104:105]
	v_mul_f64_e32 v[96:97], v[10:11], v[104:105]
	s_delay_alu instid0(VALU_DEP_4) | instskip(NEXT) | instid1(VALU_DEP_4)
	v_add_f64_e32 v[4:5], v[4:5], v[108:109]
	v_add_f64_e32 v[12:13], v[12:13], v[114:115]
	s_delay_alu instid0(VALU_DEP_4) | instskip(NEXT) | instid1(VALU_DEP_4)
	v_fmac_f64_e32 v[90:91], v[10:11], v[102:103]
	v_fma_f64 v[8:9], v[8:9], v[102:103], -v[96:97]
	s_delay_alu instid0(VALU_DEP_4) | instskip(NEXT) | instid1(VALU_DEP_4)
	v_add_f64_e32 v[4:5], v[4:5], v[92:93]
	v_add_f64_e32 v[10:11], v[12:13], v[106:107]
	s_delay_alu instid0(VALU_DEP_2) | instskip(NEXT) | instid1(VALU_DEP_2)
	v_add_f64_e32 v[4:5], v[4:5], v[8:9]
	v_add_f64_e32 v[10:11], v[10:11], v[90:91]
	s_delay_alu instid0(VALU_DEP_2) | instskip(NEXT) | instid1(VALU_DEP_2)
	v_add_f64_e64 v[8:9], v[134:135], -v[4:5]
	v_add_f64_e64 v[10:11], v[136:137], -v[10:11]
	scratch_store_b128 off, v[8:11], off offset:320
	s_wait_xcnt 0x0
	v_cmpx_lt_u32_e32 19, v1
	s_cbranch_execz .LBB101_203
; %bb.202:
	scratch_load_b128 v[8:11], off, s35
	v_dual_mov_b32 v3, v2 :: v_dual_mov_b32 v4, v2
	v_mov_b32_e32 v5, v2
	scratch_store_b128 off, v[2:5], off offset:304
	s_wait_loadcnt 0x0
	ds_store_b128 v6, v[8:11]
.LBB101_203:
	s_wait_xcnt 0x0
	s_or_b32 exec_lo, exec_lo, s2
	s_wait_storecnt_dscnt 0x0
	s_barrier_signal -1
	s_barrier_wait -1
	s_clause 0x9
	scratch_load_b128 v[8:11], off, off offset:320
	scratch_load_b128 v[90:93], off, off offset:336
	;; [unrolled: 1-line block ×10, first 2 shown]
	ds_load_b128 v[126:129], v2 offset:928
	ds_load_b128 v[134:137], v2 offset:944
	s_clause 0x1
	scratch_load_b128 v[130:133], off, off offset:480
	scratch_load_b128 v[138:141], off, off offset:304
	s_mov_b32 s2, exec_lo
	s_wait_loadcnt_dscnt 0xb01
	v_mul_f64_e32 v[4:5], v[128:129], v[10:11]
	v_mul_f64_e32 v[150:151], v[126:127], v[10:11]
	scratch_load_b128 v[10:13], off, off offset:496
	s_wait_loadcnt_dscnt 0xb00
	v_mul_f64_e32 v[152:153], v[134:135], v[92:93]
	v_mul_f64_e32 v[92:93], v[136:137], v[92:93]
	v_fma_f64 v[4:5], v[126:127], v[8:9], -v[4:5]
	v_fmac_f64_e32 v[150:151], v[128:129], v[8:9]
	ds_load_b128 v[126:129], v2 offset:960
	ds_load_b128 v[142:145], v2 offset:976
	scratch_load_b128 v[146:149], off, off offset:512
	v_fmac_f64_e32 v[152:153], v[136:137], v[90:91]
	v_fma_f64 v[134:135], v[134:135], v[90:91], -v[92:93]
	scratch_load_b128 v[90:93], off, off offset:528
	s_wait_loadcnt_dscnt 0xc01
	v_mul_f64_e32 v[8:9], v[126:127], v[96:97]
	v_mul_f64_e32 v[96:97], v[128:129], v[96:97]
	v_add_f64_e32 v[4:5], 0, v[4:5]
	v_add_f64_e32 v[136:137], 0, v[150:151]
	s_wait_loadcnt_dscnt 0xb00
	v_mul_f64_e32 v[150:151], v[142:143], v[100:101]
	v_mul_f64_e32 v[100:101], v[144:145], v[100:101]
	v_fmac_f64_e32 v[8:9], v[128:129], v[94:95]
	v_fma_f64 v[154:155], v[126:127], v[94:95], -v[96:97]
	ds_load_b128 v[94:97], v2 offset:992
	ds_load_b128 v[126:129], v2 offset:1008
	v_add_f64_e32 v[4:5], v[4:5], v[134:135]
	v_add_f64_e32 v[152:153], v[136:137], v[152:153]
	scratch_load_b128 v[134:137], off, off offset:544
	v_fmac_f64_e32 v[150:151], v[144:145], v[98:99]
	v_fma_f64 v[142:143], v[142:143], v[98:99], -v[100:101]
	scratch_load_b128 v[98:101], off, off offset:560
	s_wait_loadcnt_dscnt 0xc01
	v_mul_f64_e32 v[156:157], v[94:95], v[104:105]
	v_mul_f64_e32 v[104:105], v[96:97], v[104:105]
	v_add_f64_e32 v[4:5], v[4:5], v[154:155]
	v_add_f64_e32 v[8:9], v[152:153], v[8:9]
	s_wait_loadcnt_dscnt 0xb00
	v_mul_f64_e32 v[152:153], v[126:127], v[108:109]
	v_mul_f64_e32 v[108:109], v[128:129], v[108:109]
	v_fmac_f64_e32 v[156:157], v[96:97], v[102:103]
	v_fma_f64 v[154:155], v[94:95], v[102:103], -v[104:105]
	ds_load_b128 v[94:97], v2 offset:1024
	ds_load_b128 v[102:105], v2 offset:1040
	v_add_f64_e32 v[4:5], v[4:5], v[142:143]
	v_add_f64_e32 v[8:9], v[8:9], v[150:151]
	scratch_load_b128 v[142:145], off, off offset:576
	s_wait_loadcnt_dscnt 0xb01
	v_mul_f64_e32 v[150:151], v[94:95], v[112:113]
	v_mul_f64_e32 v[112:113], v[96:97], v[112:113]
	v_fmac_f64_e32 v[152:153], v[128:129], v[106:107]
	v_fma_f64 v[126:127], v[126:127], v[106:107], -v[108:109]
	scratch_load_b128 v[106:109], off, off offset:592
	s_wait_loadcnt_dscnt 0xb00
	v_mul_f64_e32 v[128:129], v[102:103], v[116:117]
	v_mul_f64_e32 v[116:117], v[104:105], v[116:117]
	v_add_f64_e32 v[4:5], v[4:5], v[154:155]
	v_add_f64_e32 v[8:9], v[8:9], v[156:157]
	v_fmac_f64_e32 v[150:151], v[96:97], v[110:111]
	v_fma_f64 v[154:155], v[94:95], v[110:111], -v[112:113]
	ds_load_b128 v[94:97], v2 offset:1056
	ds_load_b128 v[110:113], v2 offset:1072
	v_fmac_f64_e32 v[128:129], v[104:105], v[114:115]
	v_fma_f64 v[102:103], v[102:103], v[114:115], -v[116:117]
	s_wait_loadcnt_dscnt 0x900
	v_mul_f64_e32 v[114:115], v[110:111], v[124:125]
	v_mul_f64_e32 v[116:117], v[112:113], v[124:125]
	v_add_f64_e32 v[4:5], v[4:5], v[126:127]
	v_add_f64_e32 v[8:9], v[8:9], v[152:153]
	v_mul_f64_e32 v[126:127], v[94:95], v[120:121]
	v_mul_f64_e32 v[120:121], v[96:97], v[120:121]
	v_fmac_f64_e32 v[114:115], v[112:113], v[122:123]
	v_fma_f64 v[110:111], v[110:111], v[122:123], -v[116:117]
	v_add_f64_e32 v[4:5], v[4:5], v[154:155]
	v_add_f64_e32 v[8:9], v[8:9], v[150:151]
	v_fmac_f64_e32 v[126:127], v[96:97], v[118:119]
	v_fma_f64 v[118:119], v[94:95], v[118:119], -v[120:121]
	s_delay_alu instid0(VALU_DEP_4) | instskip(NEXT) | instid1(VALU_DEP_4)
	v_add_f64_e32 v[4:5], v[4:5], v[102:103]
	v_add_f64_e32 v[8:9], v[8:9], v[128:129]
	ds_load_b128 v[94:97], v2 offset:1088
	ds_load_b128 v[102:105], v2 offset:1104
	s_wait_loadcnt_dscnt 0x801
	v_mul_f64_e32 v[120:121], v[94:95], v[132:133]
	v_mul_f64_e32 v[124:125], v[96:97], v[132:133]
	v_add_f64_e32 v[4:5], v[4:5], v[118:119]
	v_add_f64_e32 v[8:9], v[8:9], v[126:127]
	s_wait_loadcnt_dscnt 0x600
	v_mul_f64_e32 v[116:117], v[102:103], v[12:13]
	v_mul_f64_e32 v[12:13], v[104:105], v[12:13]
	v_fmac_f64_e32 v[120:121], v[96:97], v[130:131]
	v_fma_f64 v[118:119], v[94:95], v[130:131], -v[124:125]
	v_add_f64_e32 v[4:5], v[4:5], v[110:111]
	v_add_f64_e32 v[8:9], v[8:9], v[114:115]
	ds_load_b128 v[94:97], v2 offset:1120
	ds_load_b128 v[110:113], v2 offset:1136
	v_fmac_f64_e32 v[116:117], v[104:105], v[10:11]
	v_fma_f64 v[10:11], v[102:103], v[10:11], -v[12:13]
	s_wait_loadcnt_dscnt 0x501
	v_mul_f64_e32 v[114:115], v[94:95], v[148:149]
	v_mul_f64_e32 v[122:123], v[96:97], v[148:149]
	s_wait_loadcnt_dscnt 0x400
	v_mul_f64_e32 v[12:13], v[110:111], v[92:93]
	v_mul_f64_e32 v[102:103], v[112:113], v[92:93]
	v_add_f64_e32 v[4:5], v[4:5], v[118:119]
	v_add_f64_e32 v[8:9], v[8:9], v[120:121]
	v_fmac_f64_e32 v[114:115], v[96:97], v[146:147]
	v_fma_f64 v[96:97], v[94:95], v[146:147], -v[122:123]
	v_fmac_f64_e32 v[12:13], v[112:113], v[90:91]
	v_fma_f64 v[90:91], v[110:111], v[90:91], -v[102:103]
	v_add_f64_e32 v[4:5], v[4:5], v[10:11]
	v_add_f64_e32 v[104:105], v[8:9], v[116:117]
	ds_load_b128 v[8:11], v2 offset:1152
	ds_load_b128 v[92:95], v2 offset:1168
	s_wait_loadcnt_dscnt 0x301
	v_mul_f64_e32 v[116:117], v[8:9], v[136:137]
	v_mul_f64_e32 v[118:119], v[10:11], v[136:137]
	s_wait_loadcnt_dscnt 0x200
	v_mul_f64_e32 v[102:103], v[92:93], v[100:101]
	v_mul_f64_e32 v[100:101], v[94:95], v[100:101]
	v_add_f64_e32 v[4:5], v[4:5], v[96:97]
	v_add_f64_e32 v[96:97], v[104:105], v[114:115]
	v_fmac_f64_e32 v[116:117], v[10:11], v[134:135]
	v_fma_f64 v[104:105], v[8:9], v[134:135], -v[118:119]
	v_fmac_f64_e32 v[102:103], v[94:95], v[98:99]
	v_fma_f64 v[92:93], v[92:93], v[98:99], -v[100:101]
	v_add_f64_e32 v[90:91], v[4:5], v[90:91]
	v_add_f64_e32 v[12:13], v[96:97], v[12:13]
	ds_load_b128 v[8:11], v2 offset:1184
	ds_load_b128 v[2:5], v2 offset:1200
	s_wait_loadcnt_dscnt 0x101
	v_mul_f64_e32 v[96:97], v[8:9], v[144:145]
	v_mul_f64_e32 v[110:111], v[10:11], v[144:145]
	s_wait_loadcnt_dscnt 0x0
	v_mul_f64_e32 v[94:95], v[2:3], v[108:109]
	v_mul_f64_e32 v[98:99], v[4:5], v[108:109]
	v_add_f64_e32 v[90:91], v[90:91], v[104:105]
	v_add_f64_e32 v[12:13], v[12:13], v[116:117]
	v_fmac_f64_e32 v[96:97], v[10:11], v[142:143]
	v_fma_f64 v[8:9], v[8:9], v[142:143], -v[110:111]
	v_fmac_f64_e32 v[94:95], v[4:5], v[106:107]
	v_fma_f64 v[2:3], v[2:3], v[106:107], -v[98:99]
	v_add_f64_e32 v[10:11], v[90:91], v[92:93]
	v_add_f64_e32 v[12:13], v[12:13], v[102:103]
	s_delay_alu instid0(VALU_DEP_2) | instskip(NEXT) | instid1(VALU_DEP_2)
	v_add_f64_e32 v[4:5], v[10:11], v[8:9]
	v_add_f64_e32 v[8:9], v[12:13], v[96:97]
	s_delay_alu instid0(VALU_DEP_2) | instskip(NEXT) | instid1(VALU_DEP_2)
	;; [unrolled: 3-line block ×3, first 2 shown]
	v_add_f64_e64 v[2:3], v[138:139], -v[2:3]
	v_add_f64_e64 v[4:5], v[140:141], -v[4:5]
	scratch_store_b128 off, v[2:5], off offset:304
	s_wait_xcnt 0x0
	v_cmpx_lt_u32_e32 18, v1
	s_cbranch_execz .LBB101_205
; %bb.204:
	scratch_load_b128 v[2:5], off, s36
	v_mov_b32_e32 v8, 0
	s_delay_alu instid0(VALU_DEP_1)
	v_dual_mov_b32 v9, v8 :: v_dual_mov_b32 v10, v8
	v_mov_b32_e32 v11, v8
	scratch_store_b128 off, v[8:11], off offset:288
	s_wait_loadcnt 0x0
	ds_store_b128 v6, v[2:5]
.LBB101_205:
	s_wait_xcnt 0x0
	s_or_b32 exec_lo, exec_lo, s2
	s_wait_storecnt_dscnt 0x0
	s_barrier_signal -1
	s_barrier_wait -1
	s_clause 0x9
	scratch_load_b128 v[8:11], off, off offset:304
	scratch_load_b128 v[90:93], off, off offset:320
	;; [unrolled: 1-line block ×10, first 2 shown]
	v_mov_b32_e32 v2, 0
	s_mov_b32 s2, exec_lo
	ds_load_b128 v[126:129], v2 offset:912
	s_clause 0x2
	scratch_load_b128 v[130:133], off, off offset:464
	scratch_load_b128 v[134:137], off, off offset:288
	;; [unrolled: 1-line block ×3, first 2 shown]
	s_wait_loadcnt_dscnt 0xc00
	v_mul_f64_e32 v[4:5], v[128:129], v[10:11]
	v_mul_f64_e32 v[150:151], v[126:127], v[10:11]
	ds_load_b128 v[138:141], v2 offset:928
	scratch_load_b128 v[10:13], off, off offset:480
	ds_load_b128 v[146:149], v2 offset:960
	v_fma_f64 v[4:5], v[126:127], v[8:9], -v[4:5]
	v_fmac_f64_e32 v[150:151], v[128:129], v[8:9]
	ds_load_b128 v[126:129], v2 offset:944
	s_wait_loadcnt_dscnt 0xc02
	v_mul_f64_e32 v[152:153], v[138:139], v[92:93]
	v_mul_f64_e32 v[92:93], v[140:141], v[92:93]
	s_wait_loadcnt_dscnt 0xb00
	v_mul_f64_e32 v[8:9], v[126:127], v[96:97]
	v_mul_f64_e32 v[96:97], v[128:129], v[96:97]
	v_add_f64_e32 v[4:5], 0, v[4:5]
	v_fmac_f64_e32 v[152:153], v[140:141], v[90:91]
	v_fma_f64 v[138:139], v[138:139], v[90:91], -v[92:93]
	v_add_f64_e32 v[140:141], 0, v[150:151]
	scratch_load_b128 v[90:93], off, off offset:512
	v_fmac_f64_e32 v[8:9], v[128:129], v[94:95]
	v_fma_f64 v[154:155], v[126:127], v[94:95], -v[96:97]
	ds_load_b128 v[94:97], v2 offset:976
	s_wait_loadcnt 0xb
	v_mul_f64_e32 v[150:151], v[146:147], v[100:101]
	v_mul_f64_e32 v[100:101], v[148:149], v[100:101]
	scratch_load_b128 v[126:129], off, off offset:528
	v_add_f64_e32 v[4:5], v[4:5], v[138:139]
	v_add_f64_e32 v[152:153], v[140:141], v[152:153]
	ds_load_b128 v[138:141], v2 offset:992
	s_wait_loadcnt_dscnt 0xb01
	v_mul_f64_e32 v[156:157], v[94:95], v[104:105]
	v_mul_f64_e32 v[104:105], v[96:97], v[104:105]
	v_fmac_f64_e32 v[150:151], v[148:149], v[98:99]
	v_fma_f64 v[146:147], v[146:147], v[98:99], -v[100:101]
	scratch_load_b128 v[98:101], off, off offset:544
	v_add_f64_e32 v[4:5], v[4:5], v[154:155]
	v_add_f64_e32 v[8:9], v[152:153], v[8:9]
	v_fmac_f64_e32 v[156:157], v[96:97], v[102:103]
	v_fma_f64 v[154:155], v[94:95], v[102:103], -v[104:105]
	ds_load_b128 v[94:97], v2 offset:1008
	s_wait_loadcnt_dscnt 0xb01
	v_mul_f64_e32 v[152:153], v[138:139], v[108:109]
	v_mul_f64_e32 v[108:109], v[140:141], v[108:109]
	scratch_load_b128 v[102:105], off, off offset:560
	v_add_f64_e32 v[4:5], v[4:5], v[146:147]
	v_add_f64_e32 v[8:9], v[8:9], v[150:151]
	s_wait_loadcnt_dscnt 0xb00
	v_mul_f64_e32 v[150:151], v[94:95], v[112:113]
	v_mul_f64_e32 v[112:113], v[96:97], v[112:113]
	ds_load_b128 v[146:149], v2 offset:1024
	v_fmac_f64_e32 v[152:153], v[140:141], v[106:107]
	v_fma_f64 v[138:139], v[138:139], v[106:107], -v[108:109]
	scratch_load_b128 v[106:109], off, off offset:576
	v_add_f64_e32 v[4:5], v[4:5], v[154:155]
	v_add_f64_e32 v[8:9], v[8:9], v[156:157]
	v_fmac_f64_e32 v[150:151], v[96:97], v[110:111]
	v_fma_f64 v[156:157], v[94:95], v[110:111], -v[112:113]
	ds_load_b128 v[94:97], v2 offset:1040
	s_wait_loadcnt_dscnt 0xb01
	v_mul_f64_e32 v[154:155], v[146:147], v[116:117]
	v_mul_f64_e32 v[116:117], v[148:149], v[116:117]
	scratch_load_b128 v[110:113], off, off offset:592
	v_add_f64_e32 v[4:5], v[4:5], v[138:139]
	v_add_f64_e32 v[8:9], v[8:9], v[152:153]
	s_wait_loadcnt_dscnt 0xb00
	v_mul_f64_e32 v[152:153], v[94:95], v[120:121]
	v_mul_f64_e32 v[120:121], v[96:97], v[120:121]
	ds_load_b128 v[138:141], v2 offset:1056
	v_fmac_f64_e32 v[154:155], v[148:149], v[114:115]
	v_fma_f64 v[114:115], v[146:147], v[114:115], -v[116:117]
	s_wait_loadcnt_dscnt 0xa00
	v_mul_f64_e32 v[146:147], v[138:139], v[124:125]
	v_mul_f64_e32 v[124:125], v[140:141], v[124:125]
	v_add_f64_e32 v[4:5], v[4:5], v[156:157]
	v_add_f64_e32 v[8:9], v[8:9], v[150:151]
	v_fmac_f64_e32 v[152:153], v[96:97], v[118:119]
	v_fma_f64 v[118:119], v[94:95], v[118:119], -v[120:121]
	v_fmac_f64_e32 v[146:147], v[140:141], v[122:123]
	v_fma_f64 v[122:123], v[138:139], v[122:123], -v[124:125]
	v_add_f64_e32 v[4:5], v[4:5], v[114:115]
	v_add_f64_e32 v[8:9], v[8:9], v[154:155]
	ds_load_b128 v[94:97], v2 offset:1072
	ds_load_b128 v[114:117], v2 offset:1088
	s_wait_loadcnt_dscnt 0x901
	v_mul_f64_e32 v[148:149], v[94:95], v[132:133]
	v_mul_f64_e32 v[120:121], v[96:97], v[132:133]
	s_wait_loadcnt_dscnt 0x600
	v_mul_f64_e32 v[124:125], v[114:115], v[12:13]
	v_add_f64_e32 v[4:5], v[4:5], v[118:119]
	v_add_f64_e32 v[8:9], v[8:9], v[152:153]
	v_mul_f64_e32 v[12:13], v[116:117], v[12:13]
	v_fmac_f64_e32 v[148:149], v[96:97], v[130:131]
	v_fma_f64 v[130:131], v[94:95], v[130:131], -v[120:121]
	ds_load_b128 v[94:97], v2 offset:1104
	ds_load_b128 v[118:121], v2 offset:1120
	v_fmac_f64_e32 v[124:125], v[116:117], v[10:11]
	v_add_f64_e32 v[4:5], v[4:5], v[122:123]
	v_add_f64_e32 v[8:9], v[8:9], v[146:147]
	v_fma_f64 v[10:11], v[114:115], v[10:11], -v[12:13]
	s_wait_dscnt 0x1
	v_mul_f64_e32 v[122:123], v[94:95], v[144:145]
	v_mul_f64_e32 v[132:133], v[96:97], v[144:145]
	v_add_f64_e32 v[4:5], v[4:5], v[130:131]
	v_add_f64_e32 v[8:9], v[8:9], v[148:149]
	s_wait_loadcnt_dscnt 0x500
	v_mul_f64_e32 v[12:13], v[118:119], v[92:93]
	v_mul_f64_e32 v[114:115], v[120:121], v[92:93]
	v_fmac_f64_e32 v[122:123], v[96:97], v[142:143]
	v_fma_f64 v[96:97], v[94:95], v[142:143], -v[132:133]
	v_add_f64_e32 v[4:5], v[4:5], v[10:11]
	v_add_f64_e32 v[116:117], v[8:9], v[124:125]
	ds_load_b128 v[8:11], v2 offset:1136
	ds_load_b128 v[92:95], v2 offset:1152
	v_fmac_f64_e32 v[12:13], v[120:121], v[90:91]
	v_fma_f64 v[90:91], v[118:119], v[90:91], -v[114:115]
	s_wait_loadcnt_dscnt 0x401
	v_mul_f64_e32 v[124:125], v[8:9], v[128:129]
	v_mul_f64_e32 v[128:129], v[10:11], v[128:129]
	s_wait_loadcnt_dscnt 0x300
	v_mul_f64_e32 v[118:119], v[92:93], v[100:101]
	v_mul_f64_e32 v[100:101], v[94:95], v[100:101]
	v_add_f64_e32 v[4:5], v[4:5], v[96:97]
	v_add_f64_e32 v[96:97], v[116:117], v[122:123]
	v_fmac_f64_e32 v[124:125], v[10:11], v[126:127]
	v_fma_f64 v[120:121], v[8:9], v[126:127], -v[128:129]
	ds_load_b128 v[8:11], v2 offset:1168
	ds_load_b128 v[114:117], v2 offset:1184
	v_fmac_f64_e32 v[118:119], v[94:95], v[98:99]
	v_fma_f64 v[92:93], v[92:93], v[98:99], -v[100:101]
	v_add_f64_e32 v[4:5], v[4:5], v[90:91]
	v_add_f64_e32 v[12:13], v[96:97], v[12:13]
	s_wait_loadcnt_dscnt 0x201
	v_mul_f64_e32 v[90:91], v[8:9], v[104:105]
	v_mul_f64_e32 v[96:97], v[10:11], v[104:105]
	s_wait_loadcnt_dscnt 0x100
	v_mul_f64_e32 v[94:95], v[114:115], v[108:109]
	v_mul_f64_e32 v[98:99], v[116:117], v[108:109]
	v_add_f64_e32 v[4:5], v[4:5], v[120:121]
	v_add_f64_e32 v[12:13], v[12:13], v[124:125]
	v_fmac_f64_e32 v[90:91], v[10:11], v[102:103]
	v_fma_f64 v[96:97], v[8:9], v[102:103], -v[96:97]
	ds_load_b128 v[8:11], v2 offset:1200
	v_fmac_f64_e32 v[94:95], v[116:117], v[106:107]
	v_fma_f64 v[98:99], v[114:115], v[106:107], -v[98:99]
	s_wait_loadcnt_dscnt 0x0
	v_mul_f64_e32 v[100:101], v[10:11], v[112:113]
	v_add_f64_e32 v[4:5], v[4:5], v[92:93]
	v_add_f64_e32 v[12:13], v[12:13], v[118:119]
	v_mul_f64_e32 v[92:93], v[8:9], v[112:113]
	s_delay_alu instid0(VALU_DEP_4) | instskip(NEXT) | instid1(VALU_DEP_4)
	v_fma_f64 v[8:9], v[8:9], v[110:111], -v[100:101]
	v_add_f64_e32 v[4:5], v[4:5], v[96:97]
	s_delay_alu instid0(VALU_DEP_4) | instskip(NEXT) | instid1(VALU_DEP_4)
	v_add_f64_e32 v[12:13], v[12:13], v[90:91]
	v_fmac_f64_e32 v[92:93], v[10:11], v[110:111]
	s_delay_alu instid0(VALU_DEP_3) | instskip(NEXT) | instid1(VALU_DEP_3)
	v_add_f64_e32 v[4:5], v[4:5], v[98:99]
	v_add_f64_e32 v[10:11], v[12:13], v[94:95]
	s_delay_alu instid0(VALU_DEP_2) | instskip(NEXT) | instid1(VALU_DEP_2)
	v_add_f64_e32 v[4:5], v[4:5], v[8:9]
	v_add_f64_e32 v[10:11], v[10:11], v[92:93]
	s_delay_alu instid0(VALU_DEP_2) | instskip(NEXT) | instid1(VALU_DEP_2)
	v_add_f64_e64 v[8:9], v[134:135], -v[4:5]
	v_add_f64_e64 v[10:11], v[136:137], -v[10:11]
	scratch_store_b128 off, v[8:11], off offset:288
	s_wait_xcnt 0x0
	v_cmpx_lt_u32_e32 17, v1
	s_cbranch_execz .LBB101_207
; %bb.206:
	scratch_load_b128 v[8:11], off, s37
	v_dual_mov_b32 v3, v2 :: v_dual_mov_b32 v4, v2
	v_mov_b32_e32 v5, v2
	scratch_store_b128 off, v[2:5], off offset:272
	s_wait_loadcnt 0x0
	ds_store_b128 v6, v[8:11]
.LBB101_207:
	s_wait_xcnt 0x0
	s_or_b32 exec_lo, exec_lo, s2
	s_wait_storecnt_dscnt 0x0
	s_barrier_signal -1
	s_barrier_wait -1
	s_clause 0x9
	scratch_load_b128 v[8:11], off, off offset:288
	scratch_load_b128 v[90:93], off, off offset:304
	;; [unrolled: 1-line block ×10, first 2 shown]
	ds_load_b128 v[126:129], v2 offset:896
	ds_load_b128 v[134:137], v2 offset:912
	s_clause 0x1
	scratch_load_b128 v[130:133], off, off offset:448
	scratch_load_b128 v[138:141], off, off offset:272
	s_mov_b32 s2, exec_lo
	s_wait_loadcnt_dscnt 0xb01
	v_mul_f64_e32 v[4:5], v[128:129], v[10:11]
	v_mul_f64_e32 v[150:151], v[126:127], v[10:11]
	scratch_load_b128 v[10:13], off, off offset:464
	s_wait_loadcnt_dscnt 0xb00
	v_mul_f64_e32 v[152:153], v[134:135], v[92:93]
	v_mul_f64_e32 v[92:93], v[136:137], v[92:93]
	v_fma_f64 v[4:5], v[126:127], v[8:9], -v[4:5]
	v_fmac_f64_e32 v[150:151], v[128:129], v[8:9]
	ds_load_b128 v[126:129], v2 offset:928
	ds_load_b128 v[142:145], v2 offset:944
	scratch_load_b128 v[146:149], off, off offset:480
	v_fmac_f64_e32 v[152:153], v[136:137], v[90:91]
	v_fma_f64 v[134:135], v[134:135], v[90:91], -v[92:93]
	scratch_load_b128 v[90:93], off, off offset:496
	s_wait_loadcnt_dscnt 0xc01
	v_mul_f64_e32 v[8:9], v[126:127], v[96:97]
	v_mul_f64_e32 v[96:97], v[128:129], v[96:97]
	v_add_f64_e32 v[4:5], 0, v[4:5]
	v_add_f64_e32 v[136:137], 0, v[150:151]
	s_wait_loadcnt_dscnt 0xb00
	v_mul_f64_e32 v[150:151], v[142:143], v[100:101]
	v_mul_f64_e32 v[100:101], v[144:145], v[100:101]
	v_fmac_f64_e32 v[8:9], v[128:129], v[94:95]
	v_fma_f64 v[154:155], v[126:127], v[94:95], -v[96:97]
	ds_load_b128 v[94:97], v2 offset:960
	ds_load_b128 v[126:129], v2 offset:976
	v_add_f64_e32 v[4:5], v[4:5], v[134:135]
	v_add_f64_e32 v[152:153], v[136:137], v[152:153]
	scratch_load_b128 v[134:137], off, off offset:512
	v_fmac_f64_e32 v[150:151], v[144:145], v[98:99]
	v_fma_f64 v[142:143], v[142:143], v[98:99], -v[100:101]
	scratch_load_b128 v[98:101], off, off offset:528
	s_wait_loadcnt_dscnt 0xc01
	v_mul_f64_e32 v[156:157], v[94:95], v[104:105]
	v_mul_f64_e32 v[104:105], v[96:97], v[104:105]
	v_add_f64_e32 v[4:5], v[4:5], v[154:155]
	v_add_f64_e32 v[8:9], v[152:153], v[8:9]
	s_wait_loadcnt_dscnt 0xb00
	v_mul_f64_e32 v[152:153], v[126:127], v[108:109]
	v_mul_f64_e32 v[108:109], v[128:129], v[108:109]
	v_fmac_f64_e32 v[156:157], v[96:97], v[102:103]
	v_fma_f64 v[154:155], v[94:95], v[102:103], -v[104:105]
	ds_load_b128 v[94:97], v2 offset:992
	ds_load_b128 v[102:105], v2 offset:1008
	v_add_f64_e32 v[4:5], v[4:5], v[142:143]
	v_add_f64_e32 v[8:9], v[8:9], v[150:151]
	scratch_load_b128 v[142:145], off, off offset:544
	s_wait_loadcnt_dscnt 0xb01
	v_mul_f64_e32 v[150:151], v[94:95], v[112:113]
	v_mul_f64_e32 v[112:113], v[96:97], v[112:113]
	v_fmac_f64_e32 v[152:153], v[128:129], v[106:107]
	v_fma_f64 v[126:127], v[126:127], v[106:107], -v[108:109]
	scratch_load_b128 v[106:109], off, off offset:560
	v_add_f64_e32 v[4:5], v[4:5], v[154:155]
	v_add_f64_e32 v[8:9], v[8:9], v[156:157]
	s_wait_loadcnt_dscnt 0xb00
	v_mul_f64_e32 v[154:155], v[102:103], v[116:117]
	v_mul_f64_e32 v[116:117], v[104:105], v[116:117]
	v_fmac_f64_e32 v[150:151], v[96:97], v[110:111]
	v_fma_f64 v[156:157], v[94:95], v[110:111], -v[112:113]
	ds_load_b128 v[94:97], v2 offset:1024
	ds_load_b128 v[110:113], v2 offset:1040
	v_add_f64_e32 v[4:5], v[4:5], v[126:127]
	v_add_f64_e32 v[8:9], v[8:9], v[152:153]
	scratch_load_b128 v[126:129], off, off offset:576
	s_wait_loadcnt_dscnt 0xb01
	v_mul_f64_e32 v[152:153], v[94:95], v[120:121]
	v_mul_f64_e32 v[120:121], v[96:97], v[120:121]
	v_fmac_f64_e32 v[154:155], v[104:105], v[114:115]
	v_fma_f64 v[114:115], v[102:103], v[114:115], -v[116:117]
	scratch_load_b128 v[102:105], off, off offset:592
	v_add_f64_e32 v[4:5], v[4:5], v[156:157]
	v_add_f64_e32 v[8:9], v[8:9], v[150:151]
	s_wait_loadcnt_dscnt 0xb00
	v_mul_f64_e32 v[150:151], v[110:111], v[124:125]
	v_mul_f64_e32 v[124:125], v[112:113], v[124:125]
	v_fmac_f64_e32 v[152:153], v[96:97], v[118:119]
	v_fma_f64 v[118:119], v[94:95], v[118:119], -v[120:121]
	v_add_f64_e32 v[4:5], v[4:5], v[114:115]
	v_add_f64_e32 v[8:9], v[8:9], v[154:155]
	ds_load_b128 v[94:97], v2 offset:1056
	ds_load_b128 v[114:117], v2 offset:1072
	v_fmac_f64_e32 v[150:151], v[112:113], v[122:123]
	v_fma_f64 v[110:111], v[110:111], v[122:123], -v[124:125]
	s_wait_loadcnt_dscnt 0xa01
	v_mul_f64_e32 v[120:121], v[94:95], v[132:133]
	v_mul_f64_e32 v[132:133], v[96:97], v[132:133]
	v_add_f64_e32 v[4:5], v[4:5], v[118:119]
	v_add_f64_e32 v[8:9], v[8:9], v[152:153]
	s_wait_loadcnt_dscnt 0x800
	v_mul_f64_e32 v[118:119], v[114:115], v[12:13]
	v_mul_f64_e32 v[12:13], v[116:117], v[12:13]
	v_fmac_f64_e32 v[120:121], v[96:97], v[130:131]
	v_fma_f64 v[122:123], v[94:95], v[130:131], -v[132:133]
	v_add_f64_e32 v[4:5], v[4:5], v[110:111]
	v_add_f64_e32 v[8:9], v[8:9], v[150:151]
	ds_load_b128 v[94:97], v2 offset:1088
	ds_load_b128 v[110:113], v2 offset:1104
	v_fmac_f64_e32 v[118:119], v[116:117], v[10:11]
	v_fma_f64 v[10:11], v[114:115], v[10:11], -v[12:13]
	s_wait_loadcnt_dscnt 0x701
	v_mul_f64_e32 v[124:125], v[94:95], v[148:149]
	v_mul_f64_e32 v[130:131], v[96:97], v[148:149]
	s_wait_loadcnt_dscnt 0x600
	v_mul_f64_e32 v[12:13], v[110:111], v[92:93]
	v_mul_f64_e32 v[114:115], v[112:113], v[92:93]
	v_add_f64_e32 v[4:5], v[4:5], v[122:123]
	v_add_f64_e32 v[8:9], v[8:9], v[120:121]
	v_fmac_f64_e32 v[124:125], v[96:97], v[146:147]
	v_fma_f64 v[96:97], v[94:95], v[146:147], -v[130:131]
	v_fmac_f64_e32 v[12:13], v[112:113], v[90:91]
	v_fma_f64 v[90:91], v[110:111], v[90:91], -v[114:115]
	v_add_f64_e32 v[4:5], v[4:5], v[10:11]
	v_add_f64_e32 v[116:117], v[8:9], v[118:119]
	ds_load_b128 v[8:11], v2 offset:1120
	ds_load_b128 v[92:95], v2 offset:1136
	s_wait_loadcnt_dscnt 0x501
	v_mul_f64_e32 v[118:119], v[8:9], v[136:137]
	v_mul_f64_e32 v[120:121], v[10:11], v[136:137]
	s_wait_loadcnt_dscnt 0x400
	v_mul_f64_e32 v[114:115], v[92:93], v[100:101]
	v_mul_f64_e32 v[100:101], v[94:95], v[100:101]
	v_add_f64_e32 v[4:5], v[4:5], v[96:97]
	v_add_f64_e32 v[96:97], v[116:117], v[124:125]
	v_fmac_f64_e32 v[118:119], v[10:11], v[134:135]
	v_fma_f64 v[116:117], v[8:9], v[134:135], -v[120:121]
	ds_load_b128 v[8:11], v2 offset:1152
	ds_load_b128 v[110:113], v2 offset:1168
	v_fmac_f64_e32 v[114:115], v[94:95], v[98:99]
	v_fma_f64 v[92:93], v[92:93], v[98:99], -v[100:101]
	v_add_f64_e32 v[4:5], v[4:5], v[90:91]
	v_add_f64_e32 v[12:13], v[96:97], v[12:13]
	s_wait_loadcnt_dscnt 0x301
	v_mul_f64_e32 v[90:91], v[8:9], v[144:145]
	v_mul_f64_e32 v[96:97], v[10:11], v[144:145]
	s_wait_loadcnt_dscnt 0x200
	v_mul_f64_e32 v[94:95], v[110:111], v[108:109]
	v_mul_f64_e32 v[98:99], v[112:113], v[108:109]
	v_add_f64_e32 v[4:5], v[4:5], v[116:117]
	v_add_f64_e32 v[12:13], v[12:13], v[118:119]
	v_fmac_f64_e32 v[90:91], v[10:11], v[142:143]
	v_fma_f64 v[96:97], v[8:9], v[142:143], -v[96:97]
	v_fmac_f64_e32 v[94:95], v[112:113], v[106:107]
	v_fma_f64 v[98:99], v[110:111], v[106:107], -v[98:99]
	v_add_f64_e32 v[92:93], v[4:5], v[92:93]
	v_add_f64_e32 v[12:13], v[12:13], v[114:115]
	ds_load_b128 v[8:11], v2 offset:1184
	ds_load_b128 v[2:5], v2 offset:1200
	s_wait_loadcnt_dscnt 0x101
	v_mul_f64_e32 v[100:101], v[8:9], v[128:129]
	v_mul_f64_e32 v[108:109], v[10:11], v[128:129]
	v_add_f64_e32 v[92:93], v[92:93], v[96:97]
	v_add_f64_e32 v[12:13], v[12:13], v[90:91]
	s_wait_loadcnt_dscnt 0x0
	v_mul_f64_e32 v[90:91], v[2:3], v[104:105]
	v_mul_f64_e32 v[96:97], v[4:5], v[104:105]
	v_fmac_f64_e32 v[100:101], v[10:11], v[126:127]
	v_fma_f64 v[8:9], v[8:9], v[126:127], -v[108:109]
	v_add_f64_e32 v[10:11], v[92:93], v[98:99]
	v_add_f64_e32 v[12:13], v[12:13], v[94:95]
	v_fmac_f64_e32 v[90:91], v[4:5], v[102:103]
	v_fma_f64 v[2:3], v[2:3], v[102:103], -v[96:97]
	s_delay_alu instid0(VALU_DEP_4) | instskip(NEXT) | instid1(VALU_DEP_4)
	v_add_f64_e32 v[4:5], v[10:11], v[8:9]
	v_add_f64_e32 v[8:9], v[12:13], v[100:101]
	s_delay_alu instid0(VALU_DEP_2) | instskip(NEXT) | instid1(VALU_DEP_2)
	v_add_f64_e32 v[2:3], v[4:5], v[2:3]
	v_add_f64_e32 v[4:5], v[8:9], v[90:91]
	s_delay_alu instid0(VALU_DEP_2) | instskip(NEXT) | instid1(VALU_DEP_2)
	v_add_f64_e64 v[2:3], v[138:139], -v[2:3]
	v_add_f64_e64 v[4:5], v[140:141], -v[4:5]
	scratch_store_b128 off, v[2:5], off offset:272
	s_wait_xcnt 0x0
	v_cmpx_lt_u32_e32 16, v1
	s_cbranch_execz .LBB101_209
; %bb.208:
	scratch_load_b128 v[2:5], off, s38
	v_mov_b32_e32 v8, 0
	s_delay_alu instid0(VALU_DEP_1)
	v_dual_mov_b32 v9, v8 :: v_dual_mov_b32 v10, v8
	v_mov_b32_e32 v11, v8
	scratch_store_b128 off, v[8:11], off offset:256
	s_wait_loadcnt 0x0
	ds_store_b128 v6, v[2:5]
.LBB101_209:
	s_wait_xcnt 0x0
	s_or_b32 exec_lo, exec_lo, s2
	s_wait_storecnt_dscnt 0x0
	s_barrier_signal -1
	s_barrier_wait -1
	s_clause 0x9
	scratch_load_b128 v[8:11], off, off offset:272
	scratch_load_b128 v[90:93], off, off offset:288
	scratch_load_b128 v[94:97], off, off offset:304
	scratch_load_b128 v[98:101], off, off offset:320
	scratch_load_b128 v[102:105], off, off offset:336
	scratch_load_b128 v[106:109], off, off offset:352
	scratch_load_b128 v[110:113], off, off offset:368
	scratch_load_b128 v[114:117], off, off offset:384
	scratch_load_b128 v[118:121], off, off offset:400
	scratch_load_b128 v[122:125], off, off offset:416
	v_mov_b32_e32 v2, 0
	s_mov_b32 s2, exec_lo
	ds_load_b128 v[126:129], v2 offset:880
	s_clause 0x2
	scratch_load_b128 v[130:133], off, off offset:432
	scratch_load_b128 v[134:137], off, off offset:256
	;; [unrolled: 1-line block ×3, first 2 shown]
	s_wait_loadcnt_dscnt 0xc00
	v_mul_f64_e32 v[4:5], v[128:129], v[10:11]
	v_mul_f64_e32 v[150:151], v[126:127], v[10:11]
	ds_load_b128 v[138:141], v2 offset:896
	scratch_load_b128 v[10:13], off, off offset:448
	ds_load_b128 v[146:149], v2 offset:928
	v_fma_f64 v[4:5], v[126:127], v[8:9], -v[4:5]
	v_fmac_f64_e32 v[150:151], v[128:129], v[8:9]
	ds_load_b128 v[126:129], v2 offset:912
	s_wait_loadcnt_dscnt 0xc02
	v_mul_f64_e32 v[152:153], v[138:139], v[92:93]
	v_mul_f64_e32 v[92:93], v[140:141], v[92:93]
	s_wait_loadcnt_dscnt 0xb00
	v_mul_f64_e32 v[8:9], v[126:127], v[96:97]
	v_mul_f64_e32 v[96:97], v[128:129], v[96:97]
	v_add_f64_e32 v[4:5], 0, v[4:5]
	v_fmac_f64_e32 v[152:153], v[140:141], v[90:91]
	v_fma_f64 v[138:139], v[138:139], v[90:91], -v[92:93]
	v_add_f64_e32 v[140:141], 0, v[150:151]
	scratch_load_b128 v[90:93], off, off offset:480
	v_fmac_f64_e32 v[8:9], v[128:129], v[94:95]
	v_fma_f64 v[154:155], v[126:127], v[94:95], -v[96:97]
	ds_load_b128 v[94:97], v2 offset:944
	s_wait_loadcnt 0xb
	v_mul_f64_e32 v[150:151], v[146:147], v[100:101]
	v_mul_f64_e32 v[100:101], v[148:149], v[100:101]
	scratch_load_b128 v[126:129], off, off offset:496
	v_add_f64_e32 v[4:5], v[4:5], v[138:139]
	v_add_f64_e32 v[152:153], v[140:141], v[152:153]
	ds_load_b128 v[138:141], v2 offset:960
	s_wait_loadcnt_dscnt 0xb01
	v_mul_f64_e32 v[156:157], v[94:95], v[104:105]
	v_mul_f64_e32 v[104:105], v[96:97], v[104:105]
	v_fmac_f64_e32 v[150:151], v[148:149], v[98:99]
	v_fma_f64 v[146:147], v[146:147], v[98:99], -v[100:101]
	scratch_load_b128 v[98:101], off, off offset:512
	v_add_f64_e32 v[4:5], v[4:5], v[154:155]
	v_add_f64_e32 v[8:9], v[152:153], v[8:9]
	v_fmac_f64_e32 v[156:157], v[96:97], v[102:103]
	v_fma_f64 v[154:155], v[94:95], v[102:103], -v[104:105]
	ds_load_b128 v[94:97], v2 offset:976
	s_wait_loadcnt_dscnt 0xb01
	v_mul_f64_e32 v[152:153], v[138:139], v[108:109]
	v_mul_f64_e32 v[108:109], v[140:141], v[108:109]
	scratch_load_b128 v[102:105], off, off offset:528
	v_add_f64_e32 v[4:5], v[4:5], v[146:147]
	v_add_f64_e32 v[8:9], v[8:9], v[150:151]
	s_wait_loadcnt_dscnt 0xb00
	v_mul_f64_e32 v[150:151], v[94:95], v[112:113]
	v_mul_f64_e32 v[112:113], v[96:97], v[112:113]
	ds_load_b128 v[146:149], v2 offset:992
	v_fmac_f64_e32 v[152:153], v[140:141], v[106:107]
	v_fma_f64 v[138:139], v[138:139], v[106:107], -v[108:109]
	scratch_load_b128 v[106:109], off, off offset:544
	v_add_f64_e32 v[4:5], v[4:5], v[154:155]
	v_add_f64_e32 v[8:9], v[8:9], v[156:157]
	v_fmac_f64_e32 v[150:151], v[96:97], v[110:111]
	v_fma_f64 v[156:157], v[94:95], v[110:111], -v[112:113]
	ds_load_b128 v[94:97], v2 offset:1008
	s_wait_loadcnt_dscnt 0xb01
	v_mul_f64_e32 v[154:155], v[146:147], v[116:117]
	v_mul_f64_e32 v[116:117], v[148:149], v[116:117]
	scratch_load_b128 v[110:113], off, off offset:560
	v_add_f64_e32 v[4:5], v[4:5], v[138:139]
	v_add_f64_e32 v[8:9], v[8:9], v[152:153]
	s_wait_loadcnt_dscnt 0xb00
	v_mul_f64_e32 v[152:153], v[94:95], v[120:121]
	v_mul_f64_e32 v[120:121], v[96:97], v[120:121]
	ds_load_b128 v[138:141], v2 offset:1024
	;; [unrolled: 18-line block ×3, first 2 shown]
	v_fmac_f64_e32 v[150:151], v[140:141], v[122:123]
	v_fma_f64 v[122:123], v[138:139], v[122:123], -v[124:125]
	s_wait_loadcnt_dscnt 0x800
	v_mul_f64_e32 v[138:139], v[146:147], v[12:13]
	v_add_f64_e32 v[4:5], v[4:5], v[156:157]
	v_add_f64_e32 v[8:9], v[8:9], v[152:153]
	v_mul_f64_e32 v[12:13], v[148:149], v[12:13]
	v_fmac_f64_e32 v[154:155], v[96:97], v[130:131]
	v_fma_f64 v[130:131], v[94:95], v[130:131], -v[132:133]
	v_fmac_f64_e32 v[138:139], v[148:149], v[10:11]
	v_add_f64_e32 v[4:5], v[4:5], v[122:123]
	v_add_f64_e32 v[8:9], v[8:9], v[150:151]
	ds_load_b128 v[94:97], v2 offset:1072
	ds_load_b128 v[122:125], v2 offset:1088
	v_fma_f64 v[10:11], v[146:147], v[10:11], -v[12:13]
	s_wait_dscnt 0x1
	v_mul_f64_e32 v[132:133], v[94:95], v[144:145]
	v_mul_f64_e32 v[140:141], v[96:97], v[144:145]
	v_add_f64_e32 v[4:5], v[4:5], v[130:131]
	v_add_f64_e32 v[8:9], v[8:9], v[154:155]
	s_wait_loadcnt_dscnt 0x700
	v_mul_f64_e32 v[12:13], v[122:123], v[92:93]
	v_mul_f64_e32 v[130:131], v[124:125], v[92:93]
	v_fmac_f64_e32 v[132:133], v[96:97], v[142:143]
	v_fma_f64 v[96:97], v[94:95], v[142:143], -v[140:141]
	v_add_f64_e32 v[4:5], v[4:5], v[10:11]
	v_add_f64_e32 v[138:139], v[8:9], v[138:139]
	ds_load_b128 v[8:11], v2 offset:1104
	ds_load_b128 v[92:95], v2 offset:1120
	v_fmac_f64_e32 v[12:13], v[124:125], v[90:91]
	v_fma_f64 v[90:91], v[122:123], v[90:91], -v[130:131]
	s_wait_loadcnt_dscnt 0x601
	v_mul_f64_e32 v[140:141], v[8:9], v[128:129]
	v_mul_f64_e32 v[128:129], v[10:11], v[128:129]
	s_wait_loadcnt_dscnt 0x500
	v_mul_f64_e32 v[130:131], v[92:93], v[100:101]
	v_mul_f64_e32 v[100:101], v[94:95], v[100:101]
	v_add_f64_e32 v[4:5], v[4:5], v[96:97]
	v_add_f64_e32 v[96:97], v[138:139], v[132:133]
	v_fmac_f64_e32 v[140:141], v[10:11], v[126:127]
	v_fma_f64 v[126:127], v[8:9], v[126:127], -v[128:129]
	ds_load_b128 v[8:11], v2 offset:1136
	ds_load_b128 v[122:125], v2 offset:1152
	v_fmac_f64_e32 v[130:131], v[94:95], v[98:99]
	v_fma_f64 v[92:93], v[92:93], v[98:99], -v[100:101]
	v_add_f64_e32 v[4:5], v[4:5], v[90:91]
	v_add_f64_e32 v[12:13], v[96:97], v[12:13]
	s_wait_loadcnt_dscnt 0x401
	v_mul_f64_e32 v[96:97], v[8:9], v[104:105]
	v_mul_f64_e32 v[90:91], v[10:11], v[104:105]
	s_wait_loadcnt_dscnt 0x300
	v_mul_f64_e32 v[94:95], v[122:123], v[108:109]
	v_mul_f64_e32 v[98:99], v[124:125], v[108:109]
	v_add_f64_e32 v[4:5], v[4:5], v[126:127]
	v_add_f64_e32 v[12:13], v[12:13], v[140:141]
	v_fmac_f64_e32 v[96:97], v[10:11], v[102:103]
	v_fma_f64 v[100:101], v[8:9], v[102:103], -v[90:91]
	v_fmac_f64_e32 v[94:95], v[124:125], v[106:107]
	v_fma_f64 v[98:99], v[122:123], v[106:107], -v[98:99]
	v_add_f64_e32 v[4:5], v[4:5], v[92:93]
	v_add_f64_e32 v[12:13], v[12:13], v[130:131]
	ds_load_b128 v[8:11], v2 offset:1168
	ds_load_b128 v[90:93], v2 offset:1184
	s_wait_loadcnt_dscnt 0x201
	v_mul_f64_e32 v[102:103], v[8:9], v[112:113]
	v_mul_f64_e32 v[104:105], v[10:11], v[112:113]
	v_add_f64_e32 v[4:5], v[4:5], v[100:101]
	v_add_f64_e32 v[12:13], v[12:13], v[96:97]
	s_wait_loadcnt_dscnt 0x100
	v_mul_f64_e32 v[96:97], v[90:91], v[116:117]
	v_mul_f64_e32 v[100:101], v[92:93], v[116:117]
	v_fmac_f64_e32 v[102:103], v[10:11], v[110:111]
	v_fma_f64 v[104:105], v[8:9], v[110:111], -v[104:105]
	ds_load_b128 v[8:11], v2 offset:1200
	v_add_f64_e32 v[4:5], v[4:5], v[98:99]
	v_add_f64_e32 v[12:13], v[12:13], v[94:95]
	v_fmac_f64_e32 v[96:97], v[92:93], v[114:115]
	v_fma_f64 v[90:91], v[90:91], v[114:115], -v[100:101]
	s_wait_loadcnt_dscnt 0x0
	v_mul_f64_e32 v[94:95], v[8:9], v[120:121]
	v_mul_f64_e32 v[98:99], v[10:11], v[120:121]
	v_add_f64_e32 v[4:5], v[4:5], v[104:105]
	v_add_f64_e32 v[12:13], v[12:13], v[102:103]
	s_delay_alu instid0(VALU_DEP_4) | instskip(NEXT) | instid1(VALU_DEP_4)
	v_fmac_f64_e32 v[94:95], v[10:11], v[118:119]
	v_fma_f64 v[8:9], v[8:9], v[118:119], -v[98:99]
	s_delay_alu instid0(VALU_DEP_4) | instskip(NEXT) | instid1(VALU_DEP_4)
	v_add_f64_e32 v[4:5], v[4:5], v[90:91]
	v_add_f64_e32 v[10:11], v[12:13], v[96:97]
	s_delay_alu instid0(VALU_DEP_2) | instskip(NEXT) | instid1(VALU_DEP_2)
	v_add_f64_e32 v[4:5], v[4:5], v[8:9]
	v_add_f64_e32 v[10:11], v[10:11], v[94:95]
	s_delay_alu instid0(VALU_DEP_2) | instskip(NEXT) | instid1(VALU_DEP_2)
	v_add_f64_e64 v[8:9], v[134:135], -v[4:5]
	v_add_f64_e64 v[10:11], v[136:137], -v[10:11]
	scratch_store_b128 off, v[8:11], off offset:256
	s_wait_xcnt 0x0
	v_cmpx_lt_u32_e32 15, v1
	s_cbranch_execz .LBB101_211
; %bb.210:
	scratch_load_b128 v[8:11], off, s39
	v_dual_mov_b32 v3, v2 :: v_dual_mov_b32 v4, v2
	v_mov_b32_e32 v5, v2
	scratch_store_b128 off, v[2:5], off offset:240
	s_wait_loadcnt 0x0
	ds_store_b128 v6, v[8:11]
.LBB101_211:
	s_wait_xcnt 0x0
	s_or_b32 exec_lo, exec_lo, s2
	s_wait_storecnt_dscnt 0x0
	s_barrier_signal -1
	s_barrier_wait -1
	s_clause 0x9
	scratch_load_b128 v[8:11], off, off offset:256
	scratch_load_b128 v[90:93], off, off offset:272
	;; [unrolled: 1-line block ×10, first 2 shown]
	ds_load_b128 v[126:129], v2 offset:864
	ds_load_b128 v[134:137], v2 offset:880
	s_clause 0x1
	scratch_load_b128 v[130:133], off, off offset:416
	scratch_load_b128 v[138:141], off, off offset:240
	s_mov_b32 s2, exec_lo
	s_wait_loadcnt_dscnt 0xb01
	v_mul_f64_e32 v[4:5], v[128:129], v[10:11]
	v_mul_f64_e32 v[150:151], v[126:127], v[10:11]
	scratch_load_b128 v[10:13], off, off offset:432
	s_wait_loadcnt_dscnt 0xb00
	v_mul_f64_e32 v[152:153], v[134:135], v[92:93]
	v_mul_f64_e32 v[92:93], v[136:137], v[92:93]
	v_fma_f64 v[4:5], v[126:127], v[8:9], -v[4:5]
	v_fmac_f64_e32 v[150:151], v[128:129], v[8:9]
	ds_load_b128 v[126:129], v2 offset:896
	ds_load_b128 v[142:145], v2 offset:912
	scratch_load_b128 v[146:149], off, off offset:448
	v_fmac_f64_e32 v[152:153], v[136:137], v[90:91]
	v_fma_f64 v[134:135], v[134:135], v[90:91], -v[92:93]
	scratch_load_b128 v[90:93], off, off offset:464
	s_wait_loadcnt_dscnt 0xc01
	v_mul_f64_e32 v[8:9], v[126:127], v[96:97]
	v_mul_f64_e32 v[96:97], v[128:129], v[96:97]
	v_add_f64_e32 v[4:5], 0, v[4:5]
	v_add_f64_e32 v[136:137], 0, v[150:151]
	s_wait_loadcnt_dscnt 0xb00
	v_mul_f64_e32 v[150:151], v[142:143], v[100:101]
	v_mul_f64_e32 v[100:101], v[144:145], v[100:101]
	v_fmac_f64_e32 v[8:9], v[128:129], v[94:95]
	v_fma_f64 v[154:155], v[126:127], v[94:95], -v[96:97]
	ds_load_b128 v[94:97], v2 offset:928
	ds_load_b128 v[126:129], v2 offset:944
	v_add_f64_e32 v[4:5], v[4:5], v[134:135]
	v_add_f64_e32 v[152:153], v[136:137], v[152:153]
	scratch_load_b128 v[134:137], off, off offset:480
	v_fmac_f64_e32 v[150:151], v[144:145], v[98:99]
	v_fma_f64 v[142:143], v[142:143], v[98:99], -v[100:101]
	scratch_load_b128 v[98:101], off, off offset:496
	s_wait_loadcnt_dscnt 0xc01
	v_mul_f64_e32 v[156:157], v[94:95], v[104:105]
	v_mul_f64_e32 v[104:105], v[96:97], v[104:105]
	v_add_f64_e32 v[4:5], v[4:5], v[154:155]
	v_add_f64_e32 v[8:9], v[152:153], v[8:9]
	s_wait_loadcnt_dscnt 0xb00
	v_mul_f64_e32 v[152:153], v[126:127], v[108:109]
	v_mul_f64_e32 v[108:109], v[128:129], v[108:109]
	v_fmac_f64_e32 v[156:157], v[96:97], v[102:103]
	v_fma_f64 v[154:155], v[94:95], v[102:103], -v[104:105]
	ds_load_b128 v[94:97], v2 offset:960
	ds_load_b128 v[102:105], v2 offset:976
	v_add_f64_e32 v[4:5], v[4:5], v[142:143]
	v_add_f64_e32 v[8:9], v[8:9], v[150:151]
	scratch_load_b128 v[142:145], off, off offset:512
	s_wait_loadcnt_dscnt 0xb01
	v_mul_f64_e32 v[150:151], v[94:95], v[112:113]
	v_mul_f64_e32 v[112:113], v[96:97], v[112:113]
	v_fmac_f64_e32 v[152:153], v[128:129], v[106:107]
	v_fma_f64 v[126:127], v[126:127], v[106:107], -v[108:109]
	scratch_load_b128 v[106:109], off, off offset:528
	v_add_f64_e32 v[4:5], v[4:5], v[154:155]
	v_add_f64_e32 v[8:9], v[8:9], v[156:157]
	s_wait_loadcnt_dscnt 0xb00
	v_mul_f64_e32 v[154:155], v[102:103], v[116:117]
	v_mul_f64_e32 v[116:117], v[104:105], v[116:117]
	v_fmac_f64_e32 v[150:151], v[96:97], v[110:111]
	v_fma_f64 v[156:157], v[94:95], v[110:111], -v[112:113]
	ds_load_b128 v[94:97], v2 offset:992
	ds_load_b128 v[110:113], v2 offset:1008
	v_add_f64_e32 v[4:5], v[4:5], v[126:127]
	v_add_f64_e32 v[8:9], v[8:9], v[152:153]
	scratch_load_b128 v[126:129], off, off offset:544
	s_wait_loadcnt_dscnt 0xb01
	v_mul_f64_e32 v[152:153], v[94:95], v[120:121]
	v_mul_f64_e32 v[120:121], v[96:97], v[120:121]
	v_fmac_f64_e32 v[154:155], v[104:105], v[114:115]
	v_fma_f64 v[114:115], v[102:103], v[114:115], -v[116:117]
	scratch_load_b128 v[102:105], off, off offset:560
	v_add_f64_e32 v[4:5], v[4:5], v[156:157]
	v_add_f64_e32 v[8:9], v[8:9], v[150:151]
	s_wait_loadcnt_dscnt 0xb00
	v_mul_f64_e32 v[150:151], v[110:111], v[124:125]
	v_mul_f64_e32 v[124:125], v[112:113], v[124:125]
	v_fmac_f64_e32 v[152:153], v[96:97], v[118:119]
	v_fma_f64 v[156:157], v[94:95], v[118:119], -v[120:121]
	v_add_f64_e32 v[4:5], v[4:5], v[114:115]
	v_add_f64_e32 v[8:9], v[8:9], v[154:155]
	ds_load_b128 v[94:97], v2 offset:1024
	ds_load_b128 v[114:117], v2 offset:1040
	scratch_load_b128 v[118:121], off, off offset:576
	v_fmac_f64_e32 v[150:151], v[112:113], v[122:123]
	v_fma_f64 v[122:123], v[110:111], v[122:123], -v[124:125]
	scratch_load_b128 v[110:113], off, off offset:592
	s_wait_loadcnt_dscnt 0xc01
	v_mul_f64_e32 v[154:155], v[94:95], v[132:133]
	v_mul_f64_e32 v[132:133], v[96:97], v[132:133]
	v_add_f64_e32 v[4:5], v[4:5], v[156:157]
	v_add_f64_e32 v[8:9], v[8:9], v[152:153]
	s_wait_loadcnt_dscnt 0xa00
	v_mul_f64_e32 v[152:153], v[114:115], v[12:13]
	v_mul_f64_e32 v[12:13], v[116:117], v[12:13]
	v_fmac_f64_e32 v[154:155], v[96:97], v[130:131]
	v_fma_f64 v[130:131], v[94:95], v[130:131], -v[132:133]
	v_add_f64_e32 v[4:5], v[4:5], v[122:123]
	v_add_f64_e32 v[8:9], v[8:9], v[150:151]
	ds_load_b128 v[94:97], v2 offset:1056
	ds_load_b128 v[122:125], v2 offset:1072
	v_fmac_f64_e32 v[152:153], v[116:117], v[10:11]
	v_fma_f64 v[10:11], v[114:115], v[10:11], -v[12:13]
	s_wait_loadcnt_dscnt 0x901
	v_mul_f64_e32 v[132:133], v[94:95], v[148:149]
	v_mul_f64_e32 v[148:149], v[96:97], v[148:149]
	s_wait_loadcnt_dscnt 0x800
	v_mul_f64_e32 v[12:13], v[122:123], v[92:93]
	v_mul_f64_e32 v[114:115], v[124:125], v[92:93]
	v_add_f64_e32 v[4:5], v[4:5], v[130:131]
	v_add_f64_e32 v[8:9], v[8:9], v[154:155]
	v_fmac_f64_e32 v[132:133], v[96:97], v[146:147]
	v_fma_f64 v[96:97], v[94:95], v[146:147], -v[148:149]
	v_fmac_f64_e32 v[12:13], v[124:125], v[90:91]
	v_fma_f64 v[90:91], v[122:123], v[90:91], -v[114:115]
	v_add_f64_e32 v[4:5], v[4:5], v[10:11]
	v_add_f64_e32 v[116:117], v[8:9], v[152:153]
	ds_load_b128 v[8:11], v2 offset:1088
	ds_load_b128 v[92:95], v2 offset:1104
	s_wait_loadcnt_dscnt 0x701
	v_mul_f64_e32 v[130:131], v[8:9], v[136:137]
	v_mul_f64_e32 v[136:137], v[10:11], v[136:137]
	s_wait_loadcnt_dscnt 0x600
	v_mul_f64_e32 v[122:123], v[92:93], v[100:101]
	v_mul_f64_e32 v[100:101], v[94:95], v[100:101]
	v_add_f64_e32 v[4:5], v[4:5], v[96:97]
	v_add_f64_e32 v[96:97], v[116:117], v[132:133]
	v_fmac_f64_e32 v[130:131], v[10:11], v[134:135]
	v_fma_f64 v[124:125], v[8:9], v[134:135], -v[136:137]
	ds_load_b128 v[8:11], v2 offset:1120
	ds_load_b128 v[114:117], v2 offset:1136
	v_fmac_f64_e32 v[122:123], v[94:95], v[98:99]
	v_fma_f64 v[92:93], v[92:93], v[98:99], -v[100:101]
	v_add_f64_e32 v[4:5], v[4:5], v[90:91]
	v_add_f64_e32 v[12:13], v[96:97], v[12:13]
	s_wait_loadcnt_dscnt 0x501
	v_mul_f64_e32 v[96:97], v[8:9], v[144:145]
	v_mul_f64_e32 v[90:91], v[10:11], v[144:145]
	s_wait_loadcnt_dscnt 0x400
	v_mul_f64_e32 v[94:95], v[114:115], v[108:109]
	v_mul_f64_e32 v[98:99], v[116:117], v[108:109]
	v_add_f64_e32 v[4:5], v[4:5], v[124:125]
	v_add_f64_e32 v[12:13], v[12:13], v[130:131]
	v_fmac_f64_e32 v[96:97], v[10:11], v[142:143]
	v_fma_f64 v[100:101], v[8:9], v[142:143], -v[90:91]
	v_fmac_f64_e32 v[94:95], v[116:117], v[106:107]
	v_fma_f64 v[98:99], v[114:115], v[106:107], -v[98:99]
	v_add_f64_e32 v[4:5], v[4:5], v[92:93]
	v_add_f64_e32 v[12:13], v[12:13], v[122:123]
	ds_load_b128 v[8:11], v2 offset:1152
	ds_load_b128 v[90:93], v2 offset:1168
	s_wait_loadcnt_dscnt 0x301
	v_mul_f64_e32 v[108:109], v[8:9], v[128:129]
	v_mul_f64_e32 v[122:123], v[10:11], v[128:129]
	v_add_f64_e32 v[4:5], v[4:5], v[100:101]
	v_add_f64_e32 v[12:13], v[12:13], v[96:97]
	s_wait_loadcnt_dscnt 0x200
	v_mul_f64_e32 v[96:97], v[90:91], v[104:105]
	v_mul_f64_e32 v[100:101], v[92:93], v[104:105]
	v_fmac_f64_e32 v[108:109], v[10:11], v[126:127]
	v_fma_f64 v[104:105], v[8:9], v[126:127], -v[122:123]
	v_add_f64_e32 v[98:99], v[4:5], v[98:99]
	v_add_f64_e32 v[12:13], v[12:13], v[94:95]
	ds_load_b128 v[8:11], v2 offset:1184
	ds_load_b128 v[2:5], v2 offset:1200
	v_fmac_f64_e32 v[96:97], v[92:93], v[102:103]
	v_fma_f64 v[90:91], v[90:91], v[102:103], -v[100:101]
	s_wait_loadcnt_dscnt 0x101
	v_mul_f64_e32 v[94:95], v[8:9], v[120:121]
	v_mul_f64_e32 v[106:107], v[10:11], v[120:121]
	s_wait_loadcnt_dscnt 0x0
	v_mul_f64_e32 v[100:101], v[4:5], v[112:113]
	v_add_f64_e32 v[92:93], v[98:99], v[104:105]
	v_add_f64_e32 v[12:13], v[12:13], v[108:109]
	v_mul_f64_e32 v[98:99], v[2:3], v[112:113]
	v_fmac_f64_e32 v[94:95], v[10:11], v[118:119]
	v_fma_f64 v[8:9], v[8:9], v[118:119], -v[106:107]
	v_fma_f64 v[2:3], v[2:3], v[110:111], -v[100:101]
	v_add_f64_e32 v[10:11], v[92:93], v[90:91]
	v_add_f64_e32 v[12:13], v[12:13], v[96:97]
	v_fmac_f64_e32 v[98:99], v[4:5], v[110:111]
	s_delay_alu instid0(VALU_DEP_3) | instskip(NEXT) | instid1(VALU_DEP_3)
	v_add_f64_e32 v[4:5], v[10:11], v[8:9]
	v_add_f64_e32 v[8:9], v[12:13], v[94:95]
	s_delay_alu instid0(VALU_DEP_2) | instskip(NEXT) | instid1(VALU_DEP_2)
	v_add_f64_e32 v[2:3], v[4:5], v[2:3]
	v_add_f64_e32 v[4:5], v[8:9], v[98:99]
	s_delay_alu instid0(VALU_DEP_2) | instskip(NEXT) | instid1(VALU_DEP_2)
	v_add_f64_e64 v[2:3], v[138:139], -v[2:3]
	v_add_f64_e64 v[4:5], v[140:141], -v[4:5]
	scratch_store_b128 off, v[2:5], off offset:240
	s_wait_xcnt 0x0
	v_cmpx_lt_u32_e32 14, v1
	s_cbranch_execz .LBB101_213
; %bb.212:
	scratch_load_b128 v[2:5], off, s40
	v_mov_b32_e32 v8, 0
	s_delay_alu instid0(VALU_DEP_1)
	v_dual_mov_b32 v9, v8 :: v_dual_mov_b32 v10, v8
	v_mov_b32_e32 v11, v8
	scratch_store_b128 off, v[8:11], off offset:224
	s_wait_loadcnt 0x0
	ds_store_b128 v6, v[2:5]
.LBB101_213:
	s_wait_xcnt 0x0
	s_or_b32 exec_lo, exec_lo, s2
	s_wait_storecnt_dscnt 0x0
	s_barrier_signal -1
	s_barrier_wait -1
	s_clause 0x9
	scratch_load_b128 v[8:11], off, off offset:240
	scratch_load_b128 v[90:93], off, off offset:256
	;; [unrolled: 1-line block ×10, first 2 shown]
	v_mov_b32_e32 v2, 0
	s_mov_b32 s2, exec_lo
	ds_load_b128 v[126:129], v2 offset:848
	s_clause 0x2
	scratch_load_b128 v[130:133], off, off offset:400
	scratch_load_b128 v[134:137], off, off offset:224
	;; [unrolled: 1-line block ×3, first 2 shown]
	s_wait_loadcnt_dscnt 0xc00
	v_mul_f64_e32 v[4:5], v[128:129], v[10:11]
	v_mul_f64_e32 v[150:151], v[126:127], v[10:11]
	ds_load_b128 v[138:141], v2 offset:864
	scratch_load_b128 v[10:13], off, off offset:416
	ds_load_b128 v[146:149], v2 offset:896
	v_fma_f64 v[4:5], v[126:127], v[8:9], -v[4:5]
	v_fmac_f64_e32 v[150:151], v[128:129], v[8:9]
	ds_load_b128 v[126:129], v2 offset:880
	s_wait_loadcnt_dscnt 0xc02
	v_mul_f64_e32 v[152:153], v[138:139], v[92:93]
	v_mul_f64_e32 v[92:93], v[140:141], v[92:93]
	s_wait_loadcnt_dscnt 0xb00
	v_mul_f64_e32 v[8:9], v[126:127], v[96:97]
	v_mul_f64_e32 v[96:97], v[128:129], v[96:97]
	v_add_f64_e32 v[4:5], 0, v[4:5]
	v_fmac_f64_e32 v[152:153], v[140:141], v[90:91]
	v_fma_f64 v[138:139], v[138:139], v[90:91], -v[92:93]
	v_add_f64_e32 v[140:141], 0, v[150:151]
	scratch_load_b128 v[90:93], off, off offset:448
	v_fmac_f64_e32 v[8:9], v[128:129], v[94:95]
	v_fma_f64 v[154:155], v[126:127], v[94:95], -v[96:97]
	ds_load_b128 v[94:97], v2 offset:912
	s_wait_loadcnt 0xb
	v_mul_f64_e32 v[150:151], v[146:147], v[100:101]
	v_mul_f64_e32 v[100:101], v[148:149], v[100:101]
	scratch_load_b128 v[126:129], off, off offset:464
	v_add_f64_e32 v[4:5], v[4:5], v[138:139]
	v_add_f64_e32 v[152:153], v[140:141], v[152:153]
	ds_load_b128 v[138:141], v2 offset:928
	s_wait_loadcnt_dscnt 0xb01
	v_mul_f64_e32 v[156:157], v[94:95], v[104:105]
	v_mul_f64_e32 v[104:105], v[96:97], v[104:105]
	v_fmac_f64_e32 v[150:151], v[148:149], v[98:99]
	v_fma_f64 v[146:147], v[146:147], v[98:99], -v[100:101]
	scratch_load_b128 v[98:101], off, off offset:480
	v_add_f64_e32 v[4:5], v[4:5], v[154:155]
	v_add_f64_e32 v[8:9], v[152:153], v[8:9]
	v_fmac_f64_e32 v[156:157], v[96:97], v[102:103]
	v_fma_f64 v[154:155], v[94:95], v[102:103], -v[104:105]
	ds_load_b128 v[94:97], v2 offset:944
	s_wait_loadcnt_dscnt 0xb01
	v_mul_f64_e32 v[152:153], v[138:139], v[108:109]
	v_mul_f64_e32 v[108:109], v[140:141], v[108:109]
	scratch_load_b128 v[102:105], off, off offset:496
	v_add_f64_e32 v[4:5], v[4:5], v[146:147]
	v_add_f64_e32 v[8:9], v[8:9], v[150:151]
	s_wait_loadcnt_dscnt 0xb00
	v_mul_f64_e32 v[150:151], v[94:95], v[112:113]
	v_mul_f64_e32 v[112:113], v[96:97], v[112:113]
	ds_load_b128 v[146:149], v2 offset:960
	v_fmac_f64_e32 v[152:153], v[140:141], v[106:107]
	v_fma_f64 v[138:139], v[138:139], v[106:107], -v[108:109]
	scratch_load_b128 v[106:109], off, off offset:512
	v_add_f64_e32 v[4:5], v[4:5], v[154:155]
	v_add_f64_e32 v[8:9], v[8:9], v[156:157]
	v_fmac_f64_e32 v[150:151], v[96:97], v[110:111]
	v_fma_f64 v[156:157], v[94:95], v[110:111], -v[112:113]
	ds_load_b128 v[94:97], v2 offset:976
	s_wait_loadcnt_dscnt 0xb01
	v_mul_f64_e32 v[154:155], v[146:147], v[116:117]
	v_mul_f64_e32 v[116:117], v[148:149], v[116:117]
	scratch_load_b128 v[110:113], off, off offset:528
	v_add_f64_e32 v[4:5], v[4:5], v[138:139]
	v_add_f64_e32 v[8:9], v[8:9], v[152:153]
	s_wait_loadcnt_dscnt 0xb00
	v_mul_f64_e32 v[152:153], v[94:95], v[120:121]
	v_mul_f64_e32 v[120:121], v[96:97], v[120:121]
	ds_load_b128 v[138:141], v2 offset:992
	;; [unrolled: 18-line block ×3, first 2 shown]
	v_fmac_f64_e32 v[150:151], v[140:141], v[122:123]
	v_fma_f64 v[138:139], v[138:139], v[122:123], -v[124:125]
	scratch_load_b128 v[122:125], off, off offset:576
	v_add_f64_e32 v[4:5], v[4:5], v[156:157]
	v_add_f64_e32 v[8:9], v[8:9], v[152:153]
	v_fmac_f64_e32 v[154:155], v[96:97], v[130:131]
	v_fma_f64 v[156:157], v[94:95], v[130:131], -v[132:133]
	ds_load_b128 v[94:97], v2 offset:1040
	s_wait_loadcnt_dscnt 0x901
	v_mul_f64_e32 v[152:153], v[146:147], v[12:13]
	v_mul_f64_e32 v[12:13], v[148:149], v[12:13]
	scratch_load_b128 v[130:133], off, off offset:592
	v_add_f64_e32 v[4:5], v[4:5], v[138:139]
	v_add_f64_e32 v[8:9], v[8:9], v[150:151]
	s_wait_dscnt 0x0
	v_mul_f64_e32 v[150:151], v[94:95], v[144:145]
	v_mul_f64_e32 v[144:145], v[96:97], v[144:145]
	ds_load_b128 v[138:141], v2 offset:1056
	v_fmac_f64_e32 v[152:153], v[148:149], v[10:11]
	v_fma_f64 v[10:11], v[146:147], v[10:11], -v[12:13]
	v_add_f64_e32 v[4:5], v[4:5], v[156:157]
	v_add_f64_e32 v[8:9], v[8:9], v[154:155]
	s_wait_loadcnt_dscnt 0x900
	v_mul_f64_e32 v[12:13], v[138:139], v[92:93]
	v_mul_f64_e32 v[146:147], v[140:141], v[92:93]
	v_fmac_f64_e32 v[150:151], v[96:97], v[142:143]
	v_fma_f64 v[96:97], v[94:95], v[142:143], -v[144:145]
	v_add_f64_e32 v[4:5], v[4:5], v[10:11]
	v_add_f64_e32 v[142:143], v[8:9], v[152:153]
	ds_load_b128 v[8:11], v2 offset:1072
	ds_load_b128 v[92:95], v2 offset:1088
	v_fmac_f64_e32 v[12:13], v[140:141], v[90:91]
	v_fma_f64 v[90:91], v[138:139], v[90:91], -v[146:147]
	s_wait_loadcnt_dscnt 0x801
	v_mul_f64_e32 v[144:145], v[8:9], v[128:129]
	v_mul_f64_e32 v[128:129], v[10:11], v[128:129]
	s_wait_loadcnt_dscnt 0x700
	v_mul_f64_e32 v[138:139], v[92:93], v[100:101]
	v_mul_f64_e32 v[100:101], v[94:95], v[100:101]
	v_add_f64_e32 v[4:5], v[4:5], v[96:97]
	v_add_f64_e32 v[96:97], v[142:143], v[150:151]
	v_fmac_f64_e32 v[144:145], v[10:11], v[126:127]
	v_fma_f64 v[140:141], v[8:9], v[126:127], -v[128:129]
	ds_load_b128 v[8:11], v2 offset:1104
	ds_load_b128 v[126:129], v2 offset:1120
	v_fmac_f64_e32 v[138:139], v[94:95], v[98:99]
	v_fma_f64 v[92:93], v[92:93], v[98:99], -v[100:101]
	v_add_f64_e32 v[4:5], v[4:5], v[90:91]
	v_add_f64_e32 v[12:13], v[96:97], v[12:13]
	s_wait_loadcnt_dscnt 0x601
	v_mul_f64_e32 v[96:97], v[8:9], v[104:105]
	v_mul_f64_e32 v[90:91], v[10:11], v[104:105]
	s_wait_loadcnt_dscnt 0x500
	v_mul_f64_e32 v[94:95], v[126:127], v[108:109]
	v_mul_f64_e32 v[98:99], v[128:129], v[108:109]
	v_add_f64_e32 v[4:5], v[4:5], v[140:141]
	v_add_f64_e32 v[12:13], v[12:13], v[144:145]
	v_fmac_f64_e32 v[96:97], v[10:11], v[102:103]
	v_fma_f64 v[100:101], v[8:9], v[102:103], -v[90:91]
	v_fmac_f64_e32 v[94:95], v[128:129], v[106:107]
	v_fma_f64 v[98:99], v[126:127], v[106:107], -v[98:99]
	v_add_f64_e32 v[4:5], v[4:5], v[92:93]
	v_add_f64_e32 v[12:13], v[12:13], v[138:139]
	ds_load_b128 v[8:11], v2 offset:1136
	ds_load_b128 v[90:93], v2 offset:1152
	s_wait_loadcnt_dscnt 0x401
	v_mul_f64_e32 v[102:103], v[8:9], v[112:113]
	v_mul_f64_e32 v[104:105], v[10:11], v[112:113]
	s_wait_loadcnt_dscnt 0x300
	v_mul_f64_e32 v[106:107], v[92:93], v[116:117]
	v_add_f64_e32 v[4:5], v[4:5], v[100:101]
	v_add_f64_e32 v[12:13], v[12:13], v[96:97]
	v_mul_f64_e32 v[100:101], v[90:91], v[116:117]
	v_fmac_f64_e32 v[102:103], v[10:11], v[110:111]
	v_fma_f64 v[104:105], v[8:9], v[110:111], -v[104:105]
	v_fma_f64 v[90:91], v[90:91], v[114:115], -v[106:107]
	v_add_f64_e32 v[4:5], v[4:5], v[98:99]
	v_add_f64_e32 v[12:13], v[12:13], v[94:95]
	ds_load_b128 v[8:11], v2 offset:1168
	ds_load_b128 v[94:97], v2 offset:1184
	v_fmac_f64_e32 v[100:101], v[92:93], v[114:115]
	s_wait_loadcnt_dscnt 0x201
	v_mul_f64_e32 v[98:99], v[8:9], v[120:121]
	v_mul_f64_e32 v[108:109], v[10:11], v[120:121]
	s_wait_loadcnt_dscnt 0x100
	v_mul_f64_e32 v[92:93], v[94:95], v[124:125]
	v_add_f64_e32 v[4:5], v[4:5], v[104:105]
	v_add_f64_e32 v[12:13], v[12:13], v[102:103]
	v_mul_f64_e32 v[102:103], v[96:97], v[124:125]
	v_fmac_f64_e32 v[98:99], v[10:11], v[118:119]
	v_fma_f64 v[104:105], v[8:9], v[118:119], -v[108:109]
	ds_load_b128 v[8:11], v2 offset:1200
	v_fmac_f64_e32 v[92:93], v[96:97], v[122:123]
	v_add_f64_e32 v[4:5], v[4:5], v[90:91]
	v_add_f64_e32 v[12:13], v[12:13], v[100:101]
	v_fma_f64 v[94:95], v[94:95], v[122:123], -v[102:103]
	s_wait_loadcnt_dscnt 0x0
	v_mul_f64_e32 v[90:91], v[8:9], v[132:133]
	v_mul_f64_e32 v[100:101], v[10:11], v[132:133]
	v_add_f64_e32 v[4:5], v[4:5], v[104:105]
	v_add_f64_e32 v[12:13], v[12:13], v[98:99]
	s_delay_alu instid0(VALU_DEP_4) | instskip(NEXT) | instid1(VALU_DEP_4)
	v_fmac_f64_e32 v[90:91], v[10:11], v[130:131]
	v_fma_f64 v[8:9], v[8:9], v[130:131], -v[100:101]
	s_delay_alu instid0(VALU_DEP_4) | instskip(NEXT) | instid1(VALU_DEP_4)
	v_add_f64_e32 v[4:5], v[4:5], v[94:95]
	v_add_f64_e32 v[10:11], v[12:13], v[92:93]
	s_delay_alu instid0(VALU_DEP_2) | instskip(NEXT) | instid1(VALU_DEP_2)
	v_add_f64_e32 v[4:5], v[4:5], v[8:9]
	v_add_f64_e32 v[10:11], v[10:11], v[90:91]
	s_delay_alu instid0(VALU_DEP_2) | instskip(NEXT) | instid1(VALU_DEP_2)
	v_add_f64_e64 v[8:9], v[134:135], -v[4:5]
	v_add_f64_e64 v[10:11], v[136:137], -v[10:11]
	scratch_store_b128 off, v[8:11], off offset:224
	s_wait_xcnt 0x0
	v_cmpx_lt_u32_e32 13, v1
	s_cbranch_execz .LBB101_215
; %bb.214:
	scratch_load_b128 v[8:11], off, s41
	v_dual_mov_b32 v3, v2 :: v_dual_mov_b32 v4, v2
	v_mov_b32_e32 v5, v2
	scratch_store_b128 off, v[2:5], off offset:208
	s_wait_loadcnt 0x0
	ds_store_b128 v6, v[8:11]
.LBB101_215:
	s_wait_xcnt 0x0
	s_or_b32 exec_lo, exec_lo, s2
	s_wait_storecnt_dscnt 0x0
	s_barrier_signal -1
	s_barrier_wait -1
	s_clause 0x9
	scratch_load_b128 v[8:11], off, off offset:224
	scratch_load_b128 v[90:93], off, off offset:240
	;; [unrolled: 1-line block ×10, first 2 shown]
	ds_load_b128 v[126:129], v2 offset:832
	ds_load_b128 v[134:137], v2 offset:848
	s_clause 0x1
	scratch_load_b128 v[130:133], off, off offset:384
	scratch_load_b128 v[138:141], off, off offset:208
	s_mov_b32 s2, exec_lo
	s_wait_loadcnt_dscnt 0xb01
	v_mul_f64_e32 v[4:5], v[128:129], v[10:11]
	v_mul_f64_e32 v[150:151], v[126:127], v[10:11]
	scratch_load_b128 v[10:13], off, off offset:400
	s_wait_loadcnt_dscnt 0xb00
	v_mul_f64_e32 v[152:153], v[134:135], v[92:93]
	v_mul_f64_e32 v[92:93], v[136:137], v[92:93]
	v_fma_f64 v[4:5], v[126:127], v[8:9], -v[4:5]
	v_fmac_f64_e32 v[150:151], v[128:129], v[8:9]
	ds_load_b128 v[126:129], v2 offset:864
	ds_load_b128 v[142:145], v2 offset:880
	scratch_load_b128 v[146:149], off, off offset:416
	v_fmac_f64_e32 v[152:153], v[136:137], v[90:91]
	v_fma_f64 v[134:135], v[134:135], v[90:91], -v[92:93]
	scratch_load_b128 v[90:93], off, off offset:432
	s_wait_loadcnt_dscnt 0xc01
	v_mul_f64_e32 v[8:9], v[126:127], v[96:97]
	v_mul_f64_e32 v[96:97], v[128:129], v[96:97]
	v_add_f64_e32 v[4:5], 0, v[4:5]
	v_add_f64_e32 v[136:137], 0, v[150:151]
	s_wait_loadcnt_dscnt 0xb00
	v_mul_f64_e32 v[150:151], v[142:143], v[100:101]
	v_mul_f64_e32 v[100:101], v[144:145], v[100:101]
	v_fmac_f64_e32 v[8:9], v[128:129], v[94:95]
	v_fma_f64 v[154:155], v[126:127], v[94:95], -v[96:97]
	ds_load_b128 v[94:97], v2 offset:896
	ds_load_b128 v[126:129], v2 offset:912
	v_add_f64_e32 v[4:5], v[4:5], v[134:135]
	v_add_f64_e32 v[152:153], v[136:137], v[152:153]
	scratch_load_b128 v[134:137], off, off offset:448
	v_fmac_f64_e32 v[150:151], v[144:145], v[98:99]
	v_fma_f64 v[142:143], v[142:143], v[98:99], -v[100:101]
	scratch_load_b128 v[98:101], off, off offset:464
	s_wait_loadcnt_dscnt 0xc01
	v_mul_f64_e32 v[156:157], v[94:95], v[104:105]
	v_mul_f64_e32 v[104:105], v[96:97], v[104:105]
	v_add_f64_e32 v[4:5], v[4:5], v[154:155]
	v_add_f64_e32 v[8:9], v[152:153], v[8:9]
	s_wait_loadcnt_dscnt 0xb00
	v_mul_f64_e32 v[152:153], v[126:127], v[108:109]
	v_mul_f64_e32 v[108:109], v[128:129], v[108:109]
	v_fmac_f64_e32 v[156:157], v[96:97], v[102:103]
	v_fma_f64 v[154:155], v[94:95], v[102:103], -v[104:105]
	ds_load_b128 v[94:97], v2 offset:928
	ds_load_b128 v[102:105], v2 offset:944
	v_add_f64_e32 v[4:5], v[4:5], v[142:143]
	v_add_f64_e32 v[8:9], v[8:9], v[150:151]
	scratch_load_b128 v[142:145], off, off offset:480
	s_wait_loadcnt_dscnt 0xb01
	v_mul_f64_e32 v[150:151], v[94:95], v[112:113]
	v_mul_f64_e32 v[112:113], v[96:97], v[112:113]
	v_fmac_f64_e32 v[152:153], v[128:129], v[106:107]
	v_fma_f64 v[126:127], v[126:127], v[106:107], -v[108:109]
	scratch_load_b128 v[106:109], off, off offset:496
	v_add_f64_e32 v[4:5], v[4:5], v[154:155]
	v_add_f64_e32 v[8:9], v[8:9], v[156:157]
	s_wait_loadcnt_dscnt 0xb00
	v_mul_f64_e32 v[154:155], v[102:103], v[116:117]
	v_mul_f64_e32 v[116:117], v[104:105], v[116:117]
	v_fmac_f64_e32 v[150:151], v[96:97], v[110:111]
	v_fma_f64 v[156:157], v[94:95], v[110:111], -v[112:113]
	ds_load_b128 v[94:97], v2 offset:960
	ds_load_b128 v[110:113], v2 offset:976
	v_add_f64_e32 v[4:5], v[4:5], v[126:127]
	v_add_f64_e32 v[8:9], v[8:9], v[152:153]
	scratch_load_b128 v[126:129], off, off offset:512
	s_wait_loadcnt_dscnt 0xb01
	v_mul_f64_e32 v[152:153], v[94:95], v[120:121]
	v_mul_f64_e32 v[120:121], v[96:97], v[120:121]
	v_fmac_f64_e32 v[154:155], v[104:105], v[114:115]
	v_fma_f64 v[114:115], v[102:103], v[114:115], -v[116:117]
	scratch_load_b128 v[102:105], off, off offset:528
	v_add_f64_e32 v[4:5], v[4:5], v[156:157]
	v_add_f64_e32 v[8:9], v[8:9], v[150:151]
	s_wait_loadcnt_dscnt 0xb00
	v_mul_f64_e32 v[150:151], v[110:111], v[124:125]
	v_mul_f64_e32 v[124:125], v[112:113], v[124:125]
	v_fmac_f64_e32 v[152:153], v[96:97], v[118:119]
	v_fma_f64 v[156:157], v[94:95], v[118:119], -v[120:121]
	v_add_f64_e32 v[4:5], v[4:5], v[114:115]
	v_add_f64_e32 v[8:9], v[8:9], v[154:155]
	ds_load_b128 v[94:97], v2 offset:992
	ds_load_b128 v[114:117], v2 offset:1008
	scratch_load_b128 v[118:121], off, off offset:544
	v_fmac_f64_e32 v[150:151], v[112:113], v[122:123]
	v_fma_f64 v[122:123], v[110:111], v[122:123], -v[124:125]
	scratch_load_b128 v[110:113], off, off offset:560
	s_wait_loadcnt_dscnt 0xc01
	v_mul_f64_e32 v[154:155], v[94:95], v[132:133]
	v_mul_f64_e32 v[132:133], v[96:97], v[132:133]
	v_add_f64_e32 v[4:5], v[4:5], v[156:157]
	v_add_f64_e32 v[8:9], v[8:9], v[152:153]
	s_wait_loadcnt_dscnt 0xa00
	v_mul_f64_e32 v[152:153], v[114:115], v[12:13]
	v_mul_f64_e32 v[12:13], v[116:117], v[12:13]
	v_fmac_f64_e32 v[154:155], v[96:97], v[130:131]
	v_fma_f64 v[156:157], v[94:95], v[130:131], -v[132:133]
	v_add_f64_e32 v[4:5], v[4:5], v[122:123]
	v_add_f64_e32 v[8:9], v[8:9], v[150:151]
	ds_load_b128 v[94:97], v2 offset:1024
	ds_load_b128 v[122:125], v2 offset:1040
	scratch_load_b128 v[130:133], off, off offset:576
	v_fmac_f64_e32 v[152:153], v[116:117], v[10:11]
	v_fma_f64 v[12:13], v[114:115], v[10:11], -v[12:13]
	s_wait_loadcnt_dscnt 0xa01
	v_mul_f64_e32 v[150:151], v[94:95], v[148:149]
	v_mul_f64_e32 v[148:149], v[96:97], v[148:149]
	v_add_f64_e32 v[4:5], v[4:5], v[156:157]
	v_add_f64_e32 v[114:115], v[8:9], v[154:155]
	scratch_load_b128 v[8:11], off, off offset:592
	s_wait_loadcnt_dscnt 0xa00
	v_mul_f64_e32 v[154:155], v[122:123], v[92:93]
	v_mul_f64_e32 v[156:157], v[124:125], v[92:93]
	v_fmac_f64_e32 v[150:151], v[96:97], v[146:147]
	v_fma_f64 v[96:97], v[94:95], v[146:147], -v[148:149]
	v_add_f64_e32 v[4:5], v[4:5], v[12:13]
	v_add_f64_e32 v[12:13], v[114:115], v[152:153]
	ds_load_b128 v[92:95], v2 offset:1056
	ds_load_b128 v[114:117], v2 offset:1072
	v_fmac_f64_e32 v[154:155], v[124:125], v[90:91]
	v_fma_f64 v[90:91], v[122:123], v[90:91], -v[156:157]
	s_wait_loadcnt_dscnt 0x901
	v_mul_f64_e32 v[146:147], v[92:93], v[136:137]
	v_mul_f64_e32 v[136:137], v[94:95], v[136:137]
	s_wait_loadcnt_dscnt 0x800
	v_mul_f64_e32 v[122:123], v[114:115], v[100:101]
	v_mul_f64_e32 v[100:101], v[116:117], v[100:101]
	v_add_f64_e32 v[4:5], v[4:5], v[96:97]
	v_add_f64_e32 v[12:13], v[12:13], v[150:151]
	v_fmac_f64_e32 v[146:147], v[94:95], v[134:135]
	v_fma_f64 v[124:125], v[92:93], v[134:135], -v[136:137]
	v_fmac_f64_e32 v[122:123], v[116:117], v[98:99]
	v_fma_f64 v[98:99], v[114:115], v[98:99], -v[100:101]
	v_add_f64_e32 v[4:5], v[4:5], v[90:91]
	v_add_f64_e32 v[12:13], v[12:13], v[154:155]
	ds_load_b128 v[90:93], v2 offset:1088
	ds_load_b128 v[94:97], v2 offset:1104
	s_wait_loadcnt_dscnt 0x701
	v_mul_f64_e32 v[134:135], v[90:91], v[144:145]
	v_mul_f64_e32 v[136:137], v[92:93], v[144:145]
	s_wait_loadcnt_dscnt 0x600
	v_mul_f64_e32 v[114:115], v[94:95], v[108:109]
	v_mul_f64_e32 v[108:109], v[96:97], v[108:109]
	v_add_f64_e32 v[4:5], v[4:5], v[124:125]
	v_add_f64_e32 v[12:13], v[12:13], v[146:147]
	v_fmac_f64_e32 v[134:135], v[92:93], v[142:143]
	v_fma_f64 v[116:117], v[90:91], v[142:143], -v[136:137]
	v_fmac_f64_e32 v[114:115], v[96:97], v[106:107]
	v_fma_f64 v[94:95], v[94:95], v[106:107], -v[108:109]
	v_add_f64_e32 v[4:5], v[4:5], v[98:99]
	v_add_f64_e32 v[12:13], v[12:13], v[122:123]
	ds_load_b128 v[90:93], v2 offset:1120
	ds_load_b128 v[98:101], v2 offset:1136
	;; [unrolled: 16-line block ×4, first 2 shown]
	s_wait_loadcnt_dscnt 0x101
	v_mul_f64_e32 v[106:107], v[90:91], v[132:133]
	v_mul_f64_e32 v[108:109], v[92:93], v[132:133]
	v_add_f64_e32 v[96:97], v[98:99], v[104:105]
	v_add_f64_e32 v[12:13], v[12:13], v[114:115]
	s_wait_loadcnt_dscnt 0x0
	v_mul_f64_e32 v[98:99], v[2:3], v[10:11]
	v_mul_f64_e32 v[10:11], v[4:5], v[10:11]
	v_fmac_f64_e32 v[106:107], v[92:93], v[130:131]
	v_fma_f64 v[90:91], v[90:91], v[130:131], -v[108:109]
	v_add_f64_e32 v[92:93], v[96:97], v[94:95]
	v_add_f64_e32 v[12:13], v[12:13], v[100:101]
	v_fmac_f64_e32 v[98:99], v[4:5], v[8:9]
	v_fma_f64 v[2:3], v[2:3], v[8:9], -v[10:11]
	s_delay_alu instid0(VALU_DEP_4) | instskip(NEXT) | instid1(VALU_DEP_4)
	v_add_f64_e32 v[4:5], v[92:93], v[90:91]
	v_add_f64_e32 v[8:9], v[12:13], v[106:107]
	s_delay_alu instid0(VALU_DEP_2) | instskip(NEXT) | instid1(VALU_DEP_2)
	v_add_f64_e32 v[2:3], v[4:5], v[2:3]
	v_add_f64_e32 v[4:5], v[8:9], v[98:99]
	s_delay_alu instid0(VALU_DEP_2) | instskip(NEXT) | instid1(VALU_DEP_2)
	v_add_f64_e64 v[2:3], v[138:139], -v[2:3]
	v_add_f64_e64 v[4:5], v[140:141], -v[4:5]
	scratch_store_b128 off, v[2:5], off offset:208
	s_wait_xcnt 0x0
	v_cmpx_lt_u32_e32 12, v1
	s_cbranch_execz .LBB101_217
; %bb.216:
	scratch_load_b128 v[2:5], off, s42
	v_mov_b32_e32 v8, 0
	s_delay_alu instid0(VALU_DEP_1)
	v_dual_mov_b32 v9, v8 :: v_dual_mov_b32 v10, v8
	v_mov_b32_e32 v11, v8
	scratch_store_b128 off, v[8:11], off offset:192
	s_wait_loadcnt 0x0
	ds_store_b128 v6, v[2:5]
.LBB101_217:
	s_wait_xcnt 0x0
	s_or_b32 exec_lo, exec_lo, s2
	s_wait_storecnt_dscnt 0x0
	s_barrier_signal -1
	s_barrier_wait -1
	s_clause 0x9
	scratch_load_b128 v[8:11], off, off offset:208
	scratch_load_b128 v[90:93], off, off offset:224
	;; [unrolled: 1-line block ×10, first 2 shown]
	v_mov_b32_e32 v2, 0
	s_mov_b32 s2, exec_lo
	ds_load_b128 v[126:129], v2 offset:816
	s_clause 0x2
	scratch_load_b128 v[130:133], off, off offset:368
	scratch_load_b128 v[134:137], off, off offset:192
	;; [unrolled: 1-line block ×3, first 2 shown]
	s_wait_loadcnt_dscnt 0xc00
	v_mul_f64_e32 v[4:5], v[128:129], v[10:11]
	v_mul_f64_e32 v[150:151], v[126:127], v[10:11]
	ds_load_b128 v[138:141], v2 offset:832
	scratch_load_b128 v[10:13], off, off offset:384
	ds_load_b128 v[146:149], v2 offset:864
	v_fma_f64 v[4:5], v[126:127], v[8:9], -v[4:5]
	v_fmac_f64_e32 v[150:151], v[128:129], v[8:9]
	ds_load_b128 v[126:129], v2 offset:848
	s_wait_loadcnt_dscnt 0xc02
	v_mul_f64_e32 v[152:153], v[138:139], v[92:93]
	v_mul_f64_e32 v[92:93], v[140:141], v[92:93]
	s_wait_loadcnt_dscnt 0xb00
	v_mul_f64_e32 v[8:9], v[126:127], v[96:97]
	v_mul_f64_e32 v[96:97], v[128:129], v[96:97]
	v_add_f64_e32 v[4:5], 0, v[4:5]
	v_fmac_f64_e32 v[152:153], v[140:141], v[90:91]
	v_fma_f64 v[138:139], v[138:139], v[90:91], -v[92:93]
	v_add_f64_e32 v[140:141], 0, v[150:151]
	scratch_load_b128 v[90:93], off, off offset:416
	v_fmac_f64_e32 v[8:9], v[128:129], v[94:95]
	v_fma_f64 v[154:155], v[126:127], v[94:95], -v[96:97]
	ds_load_b128 v[94:97], v2 offset:880
	s_wait_loadcnt 0xb
	v_mul_f64_e32 v[150:151], v[146:147], v[100:101]
	v_mul_f64_e32 v[100:101], v[148:149], v[100:101]
	scratch_load_b128 v[126:129], off, off offset:432
	v_add_f64_e32 v[4:5], v[4:5], v[138:139]
	v_add_f64_e32 v[152:153], v[140:141], v[152:153]
	ds_load_b128 v[138:141], v2 offset:896
	s_wait_loadcnt_dscnt 0xb01
	v_mul_f64_e32 v[156:157], v[94:95], v[104:105]
	v_mul_f64_e32 v[104:105], v[96:97], v[104:105]
	v_fmac_f64_e32 v[150:151], v[148:149], v[98:99]
	v_fma_f64 v[146:147], v[146:147], v[98:99], -v[100:101]
	scratch_load_b128 v[98:101], off, off offset:448
	v_add_f64_e32 v[4:5], v[4:5], v[154:155]
	v_add_f64_e32 v[8:9], v[152:153], v[8:9]
	v_fmac_f64_e32 v[156:157], v[96:97], v[102:103]
	v_fma_f64 v[154:155], v[94:95], v[102:103], -v[104:105]
	ds_load_b128 v[94:97], v2 offset:912
	s_wait_loadcnt_dscnt 0xb01
	v_mul_f64_e32 v[152:153], v[138:139], v[108:109]
	v_mul_f64_e32 v[108:109], v[140:141], v[108:109]
	scratch_load_b128 v[102:105], off, off offset:464
	v_add_f64_e32 v[4:5], v[4:5], v[146:147]
	v_add_f64_e32 v[8:9], v[8:9], v[150:151]
	s_wait_loadcnt_dscnt 0xb00
	v_mul_f64_e32 v[150:151], v[94:95], v[112:113]
	v_mul_f64_e32 v[112:113], v[96:97], v[112:113]
	ds_load_b128 v[146:149], v2 offset:928
	v_fmac_f64_e32 v[152:153], v[140:141], v[106:107]
	v_fma_f64 v[138:139], v[138:139], v[106:107], -v[108:109]
	scratch_load_b128 v[106:109], off, off offset:480
	v_add_f64_e32 v[4:5], v[4:5], v[154:155]
	v_add_f64_e32 v[8:9], v[8:9], v[156:157]
	v_fmac_f64_e32 v[150:151], v[96:97], v[110:111]
	v_fma_f64 v[156:157], v[94:95], v[110:111], -v[112:113]
	ds_load_b128 v[94:97], v2 offset:944
	s_wait_loadcnt_dscnt 0xb01
	v_mul_f64_e32 v[154:155], v[146:147], v[116:117]
	v_mul_f64_e32 v[116:117], v[148:149], v[116:117]
	scratch_load_b128 v[110:113], off, off offset:496
	v_add_f64_e32 v[4:5], v[4:5], v[138:139]
	v_add_f64_e32 v[8:9], v[8:9], v[152:153]
	s_wait_loadcnt_dscnt 0xb00
	v_mul_f64_e32 v[152:153], v[94:95], v[120:121]
	v_mul_f64_e32 v[120:121], v[96:97], v[120:121]
	ds_load_b128 v[138:141], v2 offset:960
	;; [unrolled: 18-line block ×3, first 2 shown]
	v_fmac_f64_e32 v[150:151], v[140:141], v[122:123]
	v_fma_f64 v[138:139], v[138:139], v[122:123], -v[124:125]
	scratch_load_b128 v[122:125], off, off offset:544
	v_add_f64_e32 v[4:5], v[4:5], v[156:157]
	v_add_f64_e32 v[8:9], v[8:9], v[152:153]
	v_fmac_f64_e32 v[154:155], v[96:97], v[130:131]
	v_fma_f64 v[156:157], v[94:95], v[130:131], -v[132:133]
	ds_load_b128 v[94:97], v2 offset:1008
	s_wait_loadcnt_dscnt 0x901
	v_mul_f64_e32 v[152:153], v[146:147], v[12:13]
	v_mul_f64_e32 v[12:13], v[148:149], v[12:13]
	scratch_load_b128 v[130:133], off, off offset:560
	v_add_f64_e32 v[4:5], v[4:5], v[138:139]
	v_add_f64_e32 v[8:9], v[8:9], v[150:151]
	s_wait_dscnt 0x0
	v_mul_f64_e32 v[150:151], v[94:95], v[144:145]
	v_mul_f64_e32 v[144:145], v[96:97], v[144:145]
	ds_load_b128 v[138:141], v2 offset:1024
	v_fmac_f64_e32 v[152:153], v[148:149], v[10:11]
	v_fma_f64 v[12:13], v[146:147], v[10:11], -v[12:13]
	v_add_f64_e32 v[4:5], v[4:5], v[156:157]
	v_add_f64_e32 v[146:147], v[8:9], v[154:155]
	scratch_load_b128 v[8:11], off, off offset:576
	v_fmac_f64_e32 v[150:151], v[96:97], v[142:143]
	v_fma_f64 v[96:97], v[94:95], v[142:143], -v[144:145]
	scratch_load_b128 v[142:145], off, off offset:592
	v_add_f64_e32 v[4:5], v[4:5], v[12:13]
	v_add_f64_e32 v[12:13], v[146:147], v[152:153]
	ds_load_b128 v[146:149], v2 offset:1056
	s_wait_loadcnt_dscnt 0xb01
	v_mul_f64_e32 v[154:155], v[138:139], v[92:93]
	v_mul_f64_e32 v[156:157], v[140:141], v[92:93]
	ds_load_b128 v[92:95], v2 offset:1040
	s_wait_loadcnt_dscnt 0xa00
	v_mul_f64_e32 v[152:153], v[92:93], v[128:129]
	v_mul_f64_e32 v[128:129], v[94:95], v[128:129]
	v_add_f64_e32 v[4:5], v[4:5], v[96:97]
	v_add_f64_e32 v[12:13], v[12:13], v[150:151]
	v_fmac_f64_e32 v[154:155], v[140:141], v[90:91]
	v_fma_f64 v[90:91], v[138:139], v[90:91], -v[156:157]
	s_wait_loadcnt 0x9
	v_mul_f64_e32 v[138:139], v[146:147], v[100:101]
	v_mul_f64_e32 v[100:101], v[148:149], v[100:101]
	v_fmac_f64_e32 v[152:153], v[94:95], v[126:127]
	v_fma_f64 v[126:127], v[92:93], v[126:127], -v[128:129]
	v_add_f64_e32 v[12:13], v[12:13], v[154:155]
	v_add_f64_e32 v[4:5], v[4:5], v[90:91]
	ds_load_b128 v[90:93], v2 offset:1072
	ds_load_b128 v[94:97], v2 offset:1088
	v_fmac_f64_e32 v[138:139], v[148:149], v[98:99]
	v_fma_f64 v[98:99], v[146:147], v[98:99], -v[100:101]
	s_wait_loadcnt_dscnt 0x801
	v_mul_f64_e32 v[128:129], v[90:91], v[104:105]
	v_mul_f64_e32 v[104:105], v[92:93], v[104:105]
	v_add_f64_e32 v[12:13], v[12:13], v[152:153]
	v_add_f64_e32 v[4:5], v[4:5], v[126:127]
	s_wait_loadcnt_dscnt 0x700
	v_mul_f64_e32 v[126:127], v[94:95], v[108:109]
	v_mul_f64_e32 v[108:109], v[96:97], v[108:109]
	v_fmac_f64_e32 v[128:129], v[92:93], v[102:103]
	v_fma_f64 v[102:103], v[90:91], v[102:103], -v[104:105]
	v_add_f64_e32 v[12:13], v[12:13], v[138:139]
	v_add_f64_e32 v[4:5], v[4:5], v[98:99]
	ds_load_b128 v[90:93], v2 offset:1104
	ds_load_b128 v[98:101], v2 offset:1120
	v_fmac_f64_e32 v[126:127], v[96:97], v[106:107]
	v_fma_f64 v[94:95], v[94:95], v[106:107], -v[108:109]
	s_wait_loadcnt_dscnt 0x601
	v_mul_f64_e32 v[104:105], v[90:91], v[112:113]
	v_mul_f64_e32 v[112:113], v[92:93], v[112:113]
	s_wait_loadcnt_dscnt 0x500
	v_mul_f64_e32 v[106:107], v[100:101], v[116:117]
	v_add_f64_e32 v[12:13], v[12:13], v[128:129]
	v_add_f64_e32 v[4:5], v[4:5], v[102:103]
	v_mul_f64_e32 v[102:103], v[98:99], v[116:117]
	v_fmac_f64_e32 v[104:105], v[92:93], v[110:111]
	v_fma_f64 v[108:109], v[90:91], v[110:111], -v[112:113]
	v_fma_f64 v[98:99], v[98:99], v[114:115], -v[106:107]
	v_add_f64_e32 v[12:13], v[12:13], v[126:127]
	v_add_f64_e32 v[4:5], v[4:5], v[94:95]
	ds_load_b128 v[90:93], v2 offset:1136
	ds_load_b128 v[94:97], v2 offset:1152
	v_fmac_f64_e32 v[102:103], v[100:101], v[114:115]
	s_wait_loadcnt_dscnt 0x401
	v_mul_f64_e32 v[110:111], v[90:91], v[120:121]
	v_mul_f64_e32 v[112:113], v[92:93], v[120:121]
	s_wait_loadcnt_dscnt 0x300
	v_mul_f64_e32 v[106:107], v[96:97], v[124:125]
	v_add_f64_e32 v[12:13], v[12:13], v[104:105]
	v_add_f64_e32 v[4:5], v[4:5], v[108:109]
	v_mul_f64_e32 v[104:105], v[94:95], v[124:125]
	v_fmac_f64_e32 v[110:111], v[92:93], v[118:119]
	v_fma_f64 v[108:109], v[90:91], v[118:119], -v[112:113]
	v_fma_f64 v[94:95], v[94:95], v[122:123], -v[106:107]
	v_add_f64_e32 v[12:13], v[12:13], v[102:103]
	v_add_f64_e32 v[4:5], v[4:5], v[98:99]
	ds_load_b128 v[90:93], v2 offset:1168
	ds_load_b128 v[98:101], v2 offset:1184
	v_fmac_f64_e32 v[104:105], v[96:97], v[122:123]
	s_wait_loadcnt_dscnt 0x201
	v_mul_f64_e32 v[102:103], v[90:91], v[132:133]
	v_mul_f64_e32 v[112:113], v[92:93], v[132:133]
	s_wait_loadcnt_dscnt 0x100
	v_mul_f64_e32 v[96:97], v[98:99], v[10:11]
	v_add_f64_e32 v[12:13], v[12:13], v[110:111]
	v_add_f64_e32 v[4:5], v[4:5], v[108:109]
	v_mul_f64_e32 v[106:107], v[100:101], v[10:11]
	v_fmac_f64_e32 v[102:103], v[92:93], v[130:131]
	v_fma_f64 v[90:91], v[90:91], v[130:131], -v[112:113]
	v_fmac_f64_e32 v[96:97], v[100:101], v[8:9]
	v_add_f64_e32 v[92:93], v[12:13], v[104:105]
	v_add_f64_e32 v[4:5], v[4:5], v[94:95]
	ds_load_b128 v[10:13], v2 offset:1200
	v_fma_f64 v[8:9], v[98:99], v[8:9], -v[106:107]
	s_wait_loadcnt_dscnt 0x0
	v_mul_f64_e32 v[94:95], v[10:11], v[144:145]
	v_mul_f64_e32 v[104:105], v[12:13], v[144:145]
	v_add_f64_e32 v[4:5], v[4:5], v[90:91]
	v_add_f64_e32 v[90:91], v[92:93], v[102:103]
	s_delay_alu instid0(VALU_DEP_4) | instskip(NEXT) | instid1(VALU_DEP_4)
	v_fmac_f64_e32 v[94:95], v[12:13], v[142:143]
	v_fma_f64 v[10:11], v[10:11], v[142:143], -v[104:105]
	s_delay_alu instid0(VALU_DEP_4) | instskip(NEXT) | instid1(VALU_DEP_4)
	v_add_f64_e32 v[4:5], v[4:5], v[8:9]
	v_add_f64_e32 v[8:9], v[90:91], v[96:97]
	s_delay_alu instid0(VALU_DEP_2) | instskip(NEXT) | instid1(VALU_DEP_2)
	v_add_f64_e32 v[4:5], v[4:5], v[10:11]
	v_add_f64_e32 v[10:11], v[8:9], v[94:95]
	s_delay_alu instid0(VALU_DEP_2) | instskip(NEXT) | instid1(VALU_DEP_2)
	v_add_f64_e64 v[8:9], v[134:135], -v[4:5]
	v_add_f64_e64 v[10:11], v[136:137], -v[10:11]
	scratch_store_b128 off, v[8:11], off offset:192
	s_wait_xcnt 0x0
	v_cmpx_lt_u32_e32 11, v1
	s_cbranch_execz .LBB101_219
; %bb.218:
	scratch_load_b128 v[8:11], off, s43
	v_dual_mov_b32 v3, v2 :: v_dual_mov_b32 v4, v2
	v_mov_b32_e32 v5, v2
	scratch_store_b128 off, v[2:5], off offset:176
	s_wait_loadcnt 0x0
	ds_store_b128 v6, v[8:11]
.LBB101_219:
	s_wait_xcnt 0x0
	s_or_b32 exec_lo, exec_lo, s2
	s_wait_storecnt_dscnt 0x0
	s_barrier_signal -1
	s_barrier_wait -1
	s_clause 0x9
	scratch_load_b128 v[8:11], off, off offset:192
	scratch_load_b128 v[90:93], off, off offset:208
	;; [unrolled: 1-line block ×10, first 2 shown]
	ds_load_b128 v[126:129], v2 offset:800
	ds_load_b128 v[134:137], v2 offset:816
	s_clause 0x1
	scratch_load_b128 v[130:133], off, off offset:352
	scratch_load_b128 v[138:141], off, off offset:176
	s_mov_b32 s2, exec_lo
	s_wait_loadcnt_dscnt 0xb01
	v_mul_f64_e32 v[4:5], v[128:129], v[10:11]
	v_mul_f64_e32 v[150:151], v[126:127], v[10:11]
	scratch_load_b128 v[10:13], off, off offset:368
	s_wait_loadcnt_dscnt 0xb00
	v_mul_f64_e32 v[152:153], v[134:135], v[92:93]
	v_mul_f64_e32 v[92:93], v[136:137], v[92:93]
	v_fma_f64 v[4:5], v[126:127], v[8:9], -v[4:5]
	v_fmac_f64_e32 v[150:151], v[128:129], v[8:9]
	ds_load_b128 v[126:129], v2 offset:832
	ds_load_b128 v[142:145], v2 offset:848
	scratch_load_b128 v[146:149], off, off offset:384
	v_fmac_f64_e32 v[152:153], v[136:137], v[90:91]
	v_fma_f64 v[134:135], v[134:135], v[90:91], -v[92:93]
	scratch_load_b128 v[90:93], off, off offset:400
	s_wait_loadcnt_dscnt 0xc01
	v_mul_f64_e32 v[8:9], v[126:127], v[96:97]
	v_mul_f64_e32 v[96:97], v[128:129], v[96:97]
	v_add_f64_e32 v[4:5], 0, v[4:5]
	v_add_f64_e32 v[136:137], 0, v[150:151]
	s_wait_loadcnt_dscnt 0xb00
	v_mul_f64_e32 v[150:151], v[142:143], v[100:101]
	v_mul_f64_e32 v[100:101], v[144:145], v[100:101]
	v_fmac_f64_e32 v[8:9], v[128:129], v[94:95]
	v_fma_f64 v[154:155], v[126:127], v[94:95], -v[96:97]
	ds_load_b128 v[94:97], v2 offset:864
	ds_load_b128 v[126:129], v2 offset:880
	v_add_f64_e32 v[4:5], v[4:5], v[134:135]
	v_add_f64_e32 v[152:153], v[136:137], v[152:153]
	scratch_load_b128 v[134:137], off, off offset:416
	v_fmac_f64_e32 v[150:151], v[144:145], v[98:99]
	v_fma_f64 v[142:143], v[142:143], v[98:99], -v[100:101]
	scratch_load_b128 v[98:101], off, off offset:432
	s_wait_loadcnt_dscnt 0xc01
	v_mul_f64_e32 v[156:157], v[94:95], v[104:105]
	v_mul_f64_e32 v[104:105], v[96:97], v[104:105]
	v_add_f64_e32 v[4:5], v[4:5], v[154:155]
	v_add_f64_e32 v[8:9], v[152:153], v[8:9]
	s_wait_loadcnt_dscnt 0xb00
	v_mul_f64_e32 v[152:153], v[126:127], v[108:109]
	v_mul_f64_e32 v[108:109], v[128:129], v[108:109]
	v_fmac_f64_e32 v[156:157], v[96:97], v[102:103]
	v_fma_f64 v[154:155], v[94:95], v[102:103], -v[104:105]
	ds_load_b128 v[94:97], v2 offset:896
	ds_load_b128 v[102:105], v2 offset:912
	v_add_f64_e32 v[4:5], v[4:5], v[142:143]
	v_add_f64_e32 v[8:9], v[8:9], v[150:151]
	scratch_load_b128 v[142:145], off, off offset:448
	s_wait_loadcnt_dscnt 0xb01
	v_mul_f64_e32 v[150:151], v[94:95], v[112:113]
	v_mul_f64_e32 v[112:113], v[96:97], v[112:113]
	v_fmac_f64_e32 v[152:153], v[128:129], v[106:107]
	v_fma_f64 v[126:127], v[126:127], v[106:107], -v[108:109]
	scratch_load_b128 v[106:109], off, off offset:464
	v_add_f64_e32 v[4:5], v[4:5], v[154:155]
	v_add_f64_e32 v[8:9], v[8:9], v[156:157]
	s_wait_loadcnt_dscnt 0xb00
	v_mul_f64_e32 v[154:155], v[102:103], v[116:117]
	v_mul_f64_e32 v[116:117], v[104:105], v[116:117]
	v_fmac_f64_e32 v[150:151], v[96:97], v[110:111]
	v_fma_f64 v[156:157], v[94:95], v[110:111], -v[112:113]
	ds_load_b128 v[94:97], v2 offset:928
	ds_load_b128 v[110:113], v2 offset:944
	v_add_f64_e32 v[4:5], v[4:5], v[126:127]
	v_add_f64_e32 v[8:9], v[8:9], v[152:153]
	scratch_load_b128 v[126:129], off, off offset:480
	s_wait_loadcnt_dscnt 0xb01
	v_mul_f64_e32 v[152:153], v[94:95], v[120:121]
	v_mul_f64_e32 v[120:121], v[96:97], v[120:121]
	v_fmac_f64_e32 v[154:155], v[104:105], v[114:115]
	v_fma_f64 v[114:115], v[102:103], v[114:115], -v[116:117]
	scratch_load_b128 v[102:105], off, off offset:496
	v_add_f64_e32 v[4:5], v[4:5], v[156:157]
	v_add_f64_e32 v[8:9], v[8:9], v[150:151]
	s_wait_loadcnt_dscnt 0xb00
	v_mul_f64_e32 v[150:151], v[110:111], v[124:125]
	v_mul_f64_e32 v[124:125], v[112:113], v[124:125]
	v_fmac_f64_e32 v[152:153], v[96:97], v[118:119]
	v_fma_f64 v[156:157], v[94:95], v[118:119], -v[120:121]
	v_add_f64_e32 v[4:5], v[4:5], v[114:115]
	v_add_f64_e32 v[8:9], v[8:9], v[154:155]
	ds_load_b128 v[94:97], v2 offset:960
	ds_load_b128 v[114:117], v2 offset:976
	scratch_load_b128 v[118:121], off, off offset:512
	v_fmac_f64_e32 v[150:151], v[112:113], v[122:123]
	v_fma_f64 v[122:123], v[110:111], v[122:123], -v[124:125]
	scratch_load_b128 v[110:113], off, off offset:528
	s_wait_loadcnt_dscnt 0xc01
	v_mul_f64_e32 v[154:155], v[94:95], v[132:133]
	v_mul_f64_e32 v[132:133], v[96:97], v[132:133]
	v_add_f64_e32 v[4:5], v[4:5], v[156:157]
	v_add_f64_e32 v[8:9], v[8:9], v[152:153]
	s_wait_loadcnt_dscnt 0xa00
	v_mul_f64_e32 v[152:153], v[114:115], v[12:13]
	v_mul_f64_e32 v[12:13], v[116:117], v[12:13]
	v_fmac_f64_e32 v[154:155], v[96:97], v[130:131]
	v_fma_f64 v[156:157], v[94:95], v[130:131], -v[132:133]
	v_add_f64_e32 v[4:5], v[4:5], v[122:123]
	v_add_f64_e32 v[8:9], v[8:9], v[150:151]
	ds_load_b128 v[94:97], v2 offset:992
	ds_load_b128 v[122:125], v2 offset:1008
	scratch_load_b128 v[130:133], off, off offset:544
	v_fmac_f64_e32 v[152:153], v[116:117], v[10:11]
	v_fma_f64 v[12:13], v[114:115], v[10:11], -v[12:13]
	s_wait_loadcnt_dscnt 0xa01
	v_mul_f64_e32 v[150:151], v[94:95], v[148:149]
	v_mul_f64_e32 v[148:149], v[96:97], v[148:149]
	v_add_f64_e32 v[4:5], v[4:5], v[156:157]
	v_add_f64_e32 v[114:115], v[8:9], v[154:155]
	scratch_load_b128 v[8:11], off, off offset:560
	s_wait_loadcnt_dscnt 0xa00
	v_mul_f64_e32 v[154:155], v[122:123], v[92:93]
	v_mul_f64_e32 v[156:157], v[124:125], v[92:93]
	v_fmac_f64_e32 v[150:151], v[96:97], v[146:147]
	v_fma_f64 v[96:97], v[94:95], v[146:147], -v[148:149]
	v_add_f64_e32 v[4:5], v[4:5], v[12:13]
	v_add_f64_e32 v[12:13], v[114:115], v[152:153]
	ds_load_b128 v[92:95], v2 offset:1024
	ds_load_b128 v[114:117], v2 offset:1040
	scratch_load_b128 v[146:149], off, off offset:576
	v_fmac_f64_e32 v[154:155], v[124:125], v[90:91]
	v_fma_f64 v[90:91], v[122:123], v[90:91], -v[156:157]
	scratch_load_b128 v[122:125], off, off offset:592
	s_wait_loadcnt_dscnt 0xb01
	v_mul_f64_e32 v[152:153], v[92:93], v[136:137]
	v_mul_f64_e32 v[136:137], v[94:95], v[136:137]
	v_add_f64_e32 v[4:5], v[4:5], v[96:97]
	v_add_f64_e32 v[12:13], v[12:13], v[150:151]
	s_wait_loadcnt_dscnt 0xa00
	v_mul_f64_e32 v[150:151], v[114:115], v[100:101]
	v_mul_f64_e32 v[100:101], v[116:117], v[100:101]
	v_fmac_f64_e32 v[152:153], v[94:95], v[134:135]
	v_fma_f64 v[134:135], v[92:93], v[134:135], -v[136:137]
	v_add_f64_e32 v[4:5], v[4:5], v[90:91]
	v_add_f64_e32 v[12:13], v[12:13], v[154:155]
	ds_load_b128 v[90:93], v2 offset:1056
	ds_load_b128 v[94:97], v2 offset:1072
	v_fmac_f64_e32 v[150:151], v[116:117], v[98:99]
	v_fma_f64 v[98:99], v[114:115], v[98:99], -v[100:101]
	s_wait_loadcnt_dscnt 0x901
	v_mul_f64_e32 v[136:137], v[90:91], v[144:145]
	v_mul_f64_e32 v[144:145], v[92:93], v[144:145]
	s_wait_loadcnt_dscnt 0x800
	v_mul_f64_e32 v[114:115], v[94:95], v[108:109]
	v_mul_f64_e32 v[108:109], v[96:97], v[108:109]
	v_add_f64_e32 v[4:5], v[4:5], v[134:135]
	v_add_f64_e32 v[12:13], v[12:13], v[152:153]
	v_fmac_f64_e32 v[136:137], v[92:93], v[142:143]
	v_fma_f64 v[116:117], v[90:91], v[142:143], -v[144:145]
	v_fmac_f64_e32 v[114:115], v[96:97], v[106:107]
	v_fma_f64 v[94:95], v[94:95], v[106:107], -v[108:109]
	v_add_f64_e32 v[4:5], v[4:5], v[98:99]
	v_add_f64_e32 v[12:13], v[12:13], v[150:151]
	ds_load_b128 v[90:93], v2 offset:1088
	ds_load_b128 v[98:101], v2 offset:1104
	s_wait_loadcnt_dscnt 0x701
	v_mul_f64_e32 v[134:135], v[90:91], v[128:129]
	v_mul_f64_e32 v[128:129], v[92:93], v[128:129]
	s_wait_loadcnt_dscnt 0x600
	v_mul_f64_e32 v[106:107], v[98:99], v[104:105]
	v_mul_f64_e32 v[104:105], v[100:101], v[104:105]
	v_add_f64_e32 v[4:5], v[4:5], v[116:117]
	v_add_f64_e32 v[12:13], v[12:13], v[136:137]
	v_fmac_f64_e32 v[134:135], v[92:93], v[126:127]
	v_fma_f64 v[108:109], v[90:91], v[126:127], -v[128:129]
	v_fmac_f64_e32 v[106:107], v[100:101], v[102:103]
	v_fma_f64 v[98:99], v[98:99], v[102:103], -v[104:105]
	v_add_f64_e32 v[4:5], v[4:5], v[94:95]
	v_add_f64_e32 v[12:13], v[12:13], v[114:115]
	ds_load_b128 v[90:93], v2 offset:1120
	ds_load_b128 v[94:97], v2 offset:1136
	;; [unrolled: 16-line block ×3, first 2 shown]
	s_wait_loadcnt_dscnt 0x301
	v_mul_f64_e32 v[106:107], v[90:91], v[132:133]
	v_mul_f64_e32 v[112:113], v[92:93], v[132:133]
	v_add_f64_e32 v[4:5], v[4:5], v[108:109]
	v_add_f64_e32 v[12:13], v[12:13], v[114:115]
	s_wait_loadcnt_dscnt 0x200
	v_mul_f64_e32 v[96:97], v[98:99], v[10:11]
	v_mul_f64_e32 v[104:105], v[100:101], v[10:11]
	v_fmac_f64_e32 v[106:107], v[92:93], v[130:131]
	v_fma_f64 v[90:91], v[90:91], v[130:131], -v[112:113]
	v_add_f64_e32 v[92:93], v[4:5], v[94:95]
	v_add_f64_e32 v[94:95], v[12:13], v[102:103]
	ds_load_b128 v[10:13], v2 offset:1184
	ds_load_b128 v[2:5], v2 offset:1200
	v_fmac_f64_e32 v[96:97], v[100:101], v[8:9]
	v_fma_f64 v[8:9], v[98:99], v[8:9], -v[104:105]
	s_wait_loadcnt_dscnt 0x101
	v_mul_f64_e32 v[102:103], v[10:11], v[148:149]
	v_mul_f64_e32 v[108:109], v[12:13], v[148:149]
	s_wait_loadcnt_dscnt 0x0
	v_mul_f64_e32 v[98:99], v[4:5], v[124:125]
	v_add_f64_e32 v[90:91], v[92:93], v[90:91]
	v_add_f64_e32 v[92:93], v[94:95], v[106:107]
	v_mul_f64_e32 v[94:95], v[2:3], v[124:125]
	v_fmac_f64_e32 v[102:103], v[12:13], v[146:147]
	v_fma_f64 v[10:11], v[10:11], v[146:147], -v[108:109]
	v_fma_f64 v[2:3], v[2:3], v[122:123], -v[98:99]
	v_add_f64_e32 v[8:9], v[90:91], v[8:9]
	v_add_f64_e32 v[12:13], v[92:93], v[96:97]
	v_fmac_f64_e32 v[94:95], v[4:5], v[122:123]
	s_delay_alu instid0(VALU_DEP_3) | instskip(NEXT) | instid1(VALU_DEP_3)
	v_add_f64_e32 v[4:5], v[8:9], v[10:11]
	v_add_f64_e32 v[8:9], v[12:13], v[102:103]
	s_delay_alu instid0(VALU_DEP_2) | instskip(NEXT) | instid1(VALU_DEP_2)
	v_add_f64_e32 v[2:3], v[4:5], v[2:3]
	v_add_f64_e32 v[4:5], v[8:9], v[94:95]
	s_delay_alu instid0(VALU_DEP_2) | instskip(NEXT) | instid1(VALU_DEP_2)
	v_add_f64_e64 v[2:3], v[138:139], -v[2:3]
	v_add_f64_e64 v[4:5], v[140:141], -v[4:5]
	scratch_store_b128 off, v[2:5], off offset:176
	s_wait_xcnt 0x0
	v_cmpx_lt_u32_e32 10, v1
	s_cbranch_execz .LBB101_221
; %bb.220:
	scratch_load_b128 v[2:5], off, s44
	v_mov_b32_e32 v8, 0
	s_delay_alu instid0(VALU_DEP_1)
	v_dual_mov_b32 v9, v8 :: v_dual_mov_b32 v10, v8
	v_mov_b32_e32 v11, v8
	scratch_store_b128 off, v[8:11], off offset:160
	s_wait_loadcnt 0x0
	ds_store_b128 v6, v[2:5]
.LBB101_221:
	s_wait_xcnt 0x0
	s_or_b32 exec_lo, exec_lo, s2
	s_wait_storecnt_dscnt 0x0
	s_barrier_signal -1
	s_barrier_wait -1
	s_clause 0x9
	scratch_load_b128 v[8:11], off, off offset:176
	scratch_load_b128 v[90:93], off, off offset:192
	;; [unrolled: 1-line block ×10, first 2 shown]
	v_mov_b32_e32 v2, 0
	s_mov_b32 s2, exec_lo
	ds_load_b128 v[126:129], v2 offset:784
	s_clause 0x2
	scratch_load_b128 v[130:133], off, off offset:336
	scratch_load_b128 v[134:137], off, off offset:160
	scratch_load_b128 v[142:145], off, off offset:368
	s_wait_loadcnt_dscnt 0xc00
	v_mul_f64_e32 v[4:5], v[128:129], v[10:11]
	v_mul_f64_e32 v[150:151], v[126:127], v[10:11]
	ds_load_b128 v[138:141], v2 offset:800
	scratch_load_b128 v[10:13], off, off offset:352
	ds_load_b128 v[146:149], v2 offset:832
	v_fma_f64 v[4:5], v[126:127], v[8:9], -v[4:5]
	v_fmac_f64_e32 v[150:151], v[128:129], v[8:9]
	ds_load_b128 v[126:129], v2 offset:816
	s_wait_loadcnt_dscnt 0xc02
	v_mul_f64_e32 v[152:153], v[138:139], v[92:93]
	v_mul_f64_e32 v[92:93], v[140:141], v[92:93]
	s_wait_loadcnt_dscnt 0xb00
	v_mul_f64_e32 v[8:9], v[126:127], v[96:97]
	v_mul_f64_e32 v[96:97], v[128:129], v[96:97]
	v_add_f64_e32 v[4:5], 0, v[4:5]
	v_fmac_f64_e32 v[152:153], v[140:141], v[90:91]
	v_fma_f64 v[138:139], v[138:139], v[90:91], -v[92:93]
	v_add_f64_e32 v[140:141], 0, v[150:151]
	scratch_load_b128 v[90:93], off, off offset:384
	v_fmac_f64_e32 v[8:9], v[128:129], v[94:95]
	v_fma_f64 v[154:155], v[126:127], v[94:95], -v[96:97]
	ds_load_b128 v[94:97], v2 offset:848
	s_wait_loadcnt 0xb
	v_mul_f64_e32 v[150:151], v[146:147], v[100:101]
	v_mul_f64_e32 v[100:101], v[148:149], v[100:101]
	scratch_load_b128 v[126:129], off, off offset:400
	v_add_f64_e32 v[4:5], v[4:5], v[138:139]
	v_add_f64_e32 v[152:153], v[140:141], v[152:153]
	ds_load_b128 v[138:141], v2 offset:864
	s_wait_loadcnt_dscnt 0xb01
	v_mul_f64_e32 v[156:157], v[94:95], v[104:105]
	v_mul_f64_e32 v[104:105], v[96:97], v[104:105]
	v_fmac_f64_e32 v[150:151], v[148:149], v[98:99]
	v_fma_f64 v[146:147], v[146:147], v[98:99], -v[100:101]
	scratch_load_b128 v[98:101], off, off offset:416
	v_add_f64_e32 v[4:5], v[4:5], v[154:155]
	v_add_f64_e32 v[8:9], v[152:153], v[8:9]
	v_fmac_f64_e32 v[156:157], v[96:97], v[102:103]
	v_fma_f64 v[154:155], v[94:95], v[102:103], -v[104:105]
	ds_load_b128 v[94:97], v2 offset:880
	s_wait_loadcnt_dscnt 0xb01
	v_mul_f64_e32 v[152:153], v[138:139], v[108:109]
	v_mul_f64_e32 v[108:109], v[140:141], v[108:109]
	scratch_load_b128 v[102:105], off, off offset:432
	v_add_f64_e32 v[4:5], v[4:5], v[146:147]
	v_add_f64_e32 v[8:9], v[8:9], v[150:151]
	s_wait_loadcnt_dscnt 0xb00
	v_mul_f64_e32 v[150:151], v[94:95], v[112:113]
	v_mul_f64_e32 v[112:113], v[96:97], v[112:113]
	ds_load_b128 v[146:149], v2 offset:896
	v_fmac_f64_e32 v[152:153], v[140:141], v[106:107]
	v_fma_f64 v[138:139], v[138:139], v[106:107], -v[108:109]
	scratch_load_b128 v[106:109], off, off offset:448
	v_add_f64_e32 v[4:5], v[4:5], v[154:155]
	v_add_f64_e32 v[8:9], v[8:9], v[156:157]
	v_fmac_f64_e32 v[150:151], v[96:97], v[110:111]
	v_fma_f64 v[156:157], v[94:95], v[110:111], -v[112:113]
	ds_load_b128 v[94:97], v2 offset:912
	s_wait_loadcnt_dscnt 0xb01
	v_mul_f64_e32 v[154:155], v[146:147], v[116:117]
	v_mul_f64_e32 v[116:117], v[148:149], v[116:117]
	scratch_load_b128 v[110:113], off, off offset:464
	v_add_f64_e32 v[4:5], v[4:5], v[138:139]
	v_add_f64_e32 v[8:9], v[8:9], v[152:153]
	s_wait_loadcnt_dscnt 0xb00
	v_mul_f64_e32 v[152:153], v[94:95], v[120:121]
	v_mul_f64_e32 v[120:121], v[96:97], v[120:121]
	ds_load_b128 v[138:141], v2 offset:928
	;; [unrolled: 18-line block ×3, first 2 shown]
	v_fmac_f64_e32 v[150:151], v[140:141], v[122:123]
	v_fma_f64 v[138:139], v[138:139], v[122:123], -v[124:125]
	scratch_load_b128 v[122:125], off, off offset:512
	v_add_f64_e32 v[4:5], v[4:5], v[156:157]
	v_add_f64_e32 v[8:9], v[8:9], v[152:153]
	v_fmac_f64_e32 v[154:155], v[96:97], v[130:131]
	v_fma_f64 v[156:157], v[94:95], v[130:131], -v[132:133]
	ds_load_b128 v[94:97], v2 offset:976
	s_wait_loadcnt_dscnt 0x901
	v_mul_f64_e32 v[152:153], v[146:147], v[12:13]
	v_mul_f64_e32 v[12:13], v[148:149], v[12:13]
	scratch_load_b128 v[130:133], off, off offset:528
	v_add_f64_e32 v[4:5], v[4:5], v[138:139]
	v_add_f64_e32 v[8:9], v[8:9], v[150:151]
	s_wait_dscnt 0x0
	v_mul_f64_e32 v[150:151], v[94:95], v[144:145]
	v_mul_f64_e32 v[144:145], v[96:97], v[144:145]
	ds_load_b128 v[138:141], v2 offset:992
	v_fmac_f64_e32 v[152:153], v[148:149], v[10:11]
	v_fma_f64 v[12:13], v[146:147], v[10:11], -v[12:13]
	v_add_f64_e32 v[4:5], v[4:5], v[156:157]
	v_add_f64_e32 v[146:147], v[8:9], v[154:155]
	scratch_load_b128 v[8:11], off, off offset:544
	v_fmac_f64_e32 v[150:151], v[96:97], v[142:143]
	v_fma_f64 v[96:97], v[94:95], v[142:143], -v[144:145]
	scratch_load_b128 v[142:145], off, off offset:560
	v_add_f64_e32 v[4:5], v[4:5], v[12:13]
	v_add_f64_e32 v[12:13], v[146:147], v[152:153]
	ds_load_b128 v[146:149], v2 offset:1024
	s_wait_loadcnt_dscnt 0xb01
	v_mul_f64_e32 v[154:155], v[138:139], v[92:93]
	v_mul_f64_e32 v[156:157], v[140:141], v[92:93]
	ds_load_b128 v[92:95], v2 offset:1008
	s_wait_loadcnt_dscnt 0xa00
	v_mul_f64_e32 v[152:153], v[92:93], v[128:129]
	v_mul_f64_e32 v[128:129], v[94:95], v[128:129]
	v_add_f64_e32 v[4:5], v[4:5], v[96:97]
	v_add_f64_e32 v[12:13], v[12:13], v[150:151]
	s_wait_loadcnt 0x9
	v_mul_f64_e32 v[150:151], v[146:147], v[100:101]
	v_fmac_f64_e32 v[154:155], v[140:141], v[90:91]
	v_fma_f64 v[90:91], v[138:139], v[90:91], -v[156:157]
	scratch_load_b128 v[138:141], off, off offset:576
	v_mul_f64_e32 v[100:101], v[148:149], v[100:101]
	v_fmac_f64_e32 v[152:153], v[94:95], v[126:127]
	v_fma_f64 v[156:157], v[92:93], v[126:127], -v[128:129]
	scratch_load_b128 v[94:97], off, off offset:592
	ds_load_b128 v[126:129], v2 offset:1056
	v_fmac_f64_e32 v[150:151], v[148:149], v[98:99]
	v_add_f64_e32 v[12:13], v[12:13], v[154:155]
	v_add_f64_e32 v[4:5], v[4:5], v[90:91]
	ds_load_b128 v[90:93], v2 offset:1040
	v_fma_f64 v[98:99], v[146:147], v[98:99], -v[100:101]
	s_wait_loadcnt_dscnt 0x901
	v_mul_f64_e32 v[146:147], v[126:127], v[108:109]
	v_mul_f64_e32 v[108:109], v[128:129], v[108:109]
	s_wait_dscnt 0x0
	v_mul_f64_e32 v[154:155], v[90:91], v[104:105]
	v_mul_f64_e32 v[104:105], v[92:93], v[104:105]
	v_add_f64_e32 v[12:13], v[12:13], v[152:153]
	v_add_f64_e32 v[4:5], v[4:5], v[156:157]
	v_fmac_f64_e32 v[146:147], v[128:129], v[106:107]
	v_fma_f64 v[106:107], v[126:127], v[106:107], -v[108:109]
	v_fmac_f64_e32 v[154:155], v[92:93], v[102:103]
	v_fma_f64 v[102:103], v[90:91], v[102:103], -v[104:105]
	v_add_f64_e32 v[12:13], v[12:13], v[150:151]
	v_add_f64_e32 v[4:5], v[4:5], v[98:99]
	ds_load_b128 v[90:93], v2 offset:1072
	ds_load_b128 v[98:101], v2 offset:1088
	s_wait_loadcnt_dscnt 0x801
	v_mul_f64_e32 v[148:149], v[90:91], v[112:113]
	v_mul_f64_e32 v[104:105], v[92:93], v[112:113]
	s_wait_loadcnt_dscnt 0x700
	v_mul_f64_e32 v[108:109], v[98:99], v[116:117]
	v_mul_f64_e32 v[112:113], v[100:101], v[116:117]
	v_add_f64_e32 v[12:13], v[12:13], v[154:155]
	v_add_f64_e32 v[4:5], v[4:5], v[102:103]
	v_fmac_f64_e32 v[148:149], v[92:93], v[110:111]
	v_fma_f64 v[110:111], v[90:91], v[110:111], -v[104:105]
	ds_load_b128 v[90:93], v2 offset:1104
	ds_load_b128 v[102:105], v2 offset:1120
	v_fmac_f64_e32 v[108:109], v[100:101], v[114:115]
	v_fma_f64 v[98:99], v[98:99], v[114:115], -v[112:113]
	v_add_f64_e32 v[12:13], v[12:13], v[146:147]
	v_add_f64_e32 v[4:5], v[4:5], v[106:107]
	s_wait_loadcnt_dscnt 0x601
	v_mul_f64_e32 v[106:107], v[90:91], v[120:121]
	v_mul_f64_e32 v[116:117], v[92:93], v[120:121]
	s_wait_loadcnt_dscnt 0x500
	v_mul_f64_e32 v[112:113], v[104:105], v[124:125]
	v_add_f64_e32 v[12:13], v[12:13], v[148:149]
	v_add_f64_e32 v[4:5], v[4:5], v[110:111]
	v_mul_f64_e32 v[110:111], v[102:103], v[124:125]
	v_fmac_f64_e32 v[106:107], v[92:93], v[118:119]
	v_fma_f64 v[114:115], v[90:91], v[118:119], -v[116:117]
	v_fma_f64 v[102:103], v[102:103], v[122:123], -v[112:113]
	v_add_f64_e32 v[12:13], v[12:13], v[108:109]
	v_add_f64_e32 v[4:5], v[4:5], v[98:99]
	ds_load_b128 v[90:93], v2 offset:1136
	ds_load_b128 v[98:101], v2 offset:1152
	v_fmac_f64_e32 v[110:111], v[104:105], v[122:123]
	s_wait_loadcnt_dscnt 0x401
	v_mul_f64_e32 v[108:109], v[90:91], v[132:133]
	v_mul_f64_e32 v[116:117], v[92:93], v[132:133]
	s_wait_loadcnt_dscnt 0x300
	v_mul_f64_e32 v[104:105], v[98:99], v[10:11]
	v_add_f64_e32 v[12:13], v[12:13], v[106:107]
	v_add_f64_e32 v[4:5], v[4:5], v[114:115]
	v_mul_f64_e32 v[106:107], v[100:101], v[10:11]
	v_fmac_f64_e32 v[108:109], v[92:93], v[130:131]
	v_fma_f64 v[112:113], v[90:91], v[130:131], -v[116:117]
	v_fmac_f64_e32 v[104:105], v[100:101], v[8:9]
	v_add_f64_e32 v[4:5], v[4:5], v[102:103]
	v_add_f64_e32 v[102:103], v[12:13], v[110:111]
	ds_load_b128 v[10:13], v2 offset:1168
	ds_load_b128 v[90:93], v2 offset:1184
	v_fma_f64 v[8:9], v[98:99], v[8:9], -v[106:107]
	s_wait_loadcnt_dscnt 0x201
	v_mul_f64_e32 v[110:111], v[10:11], v[144:145]
	v_mul_f64_e32 v[114:115], v[12:13], v[144:145]
	v_add_f64_e32 v[4:5], v[4:5], v[112:113]
	v_add_f64_e32 v[98:99], v[102:103], v[108:109]
	s_wait_loadcnt_dscnt 0x100
	v_mul_f64_e32 v[100:101], v[90:91], v[140:141]
	v_mul_f64_e32 v[102:103], v[92:93], v[140:141]
	v_fmac_f64_e32 v[110:111], v[12:13], v[142:143]
	v_fma_f64 v[12:13], v[10:11], v[142:143], -v[114:115]
	v_add_f64_e32 v[4:5], v[4:5], v[8:9]
	v_add_f64_e32 v[98:99], v[98:99], v[104:105]
	ds_load_b128 v[8:11], v2 offset:1200
	v_fmac_f64_e32 v[100:101], v[92:93], v[138:139]
	v_fma_f64 v[90:91], v[90:91], v[138:139], -v[102:103]
	s_wait_loadcnt_dscnt 0x0
	v_mul_f64_e32 v[104:105], v[8:9], v[96:97]
	v_mul_f64_e32 v[96:97], v[10:11], v[96:97]
	v_add_f64_e32 v[4:5], v[4:5], v[12:13]
	v_add_f64_e32 v[12:13], v[98:99], v[110:111]
	s_delay_alu instid0(VALU_DEP_4) | instskip(NEXT) | instid1(VALU_DEP_4)
	v_fmac_f64_e32 v[104:105], v[10:11], v[94:95]
	v_fma_f64 v[8:9], v[8:9], v[94:95], -v[96:97]
	s_delay_alu instid0(VALU_DEP_4) | instskip(NEXT) | instid1(VALU_DEP_4)
	v_add_f64_e32 v[4:5], v[4:5], v[90:91]
	v_add_f64_e32 v[10:11], v[12:13], v[100:101]
	s_delay_alu instid0(VALU_DEP_2) | instskip(NEXT) | instid1(VALU_DEP_2)
	v_add_f64_e32 v[4:5], v[4:5], v[8:9]
	v_add_f64_e32 v[10:11], v[10:11], v[104:105]
	s_delay_alu instid0(VALU_DEP_2) | instskip(NEXT) | instid1(VALU_DEP_2)
	v_add_f64_e64 v[8:9], v[134:135], -v[4:5]
	v_add_f64_e64 v[10:11], v[136:137], -v[10:11]
	scratch_store_b128 off, v[8:11], off offset:160
	s_wait_xcnt 0x0
	v_cmpx_lt_u32_e32 9, v1
	s_cbranch_execz .LBB101_223
; %bb.222:
	scratch_load_b128 v[8:11], off, s45
	v_dual_mov_b32 v3, v2 :: v_dual_mov_b32 v4, v2
	v_mov_b32_e32 v5, v2
	scratch_store_b128 off, v[2:5], off offset:144
	s_wait_loadcnt 0x0
	ds_store_b128 v6, v[8:11]
.LBB101_223:
	s_wait_xcnt 0x0
	s_or_b32 exec_lo, exec_lo, s2
	s_wait_storecnt_dscnt 0x0
	s_barrier_signal -1
	s_barrier_wait -1
	s_clause 0x9
	scratch_load_b128 v[8:11], off, off offset:160
	scratch_load_b128 v[90:93], off, off offset:176
	;; [unrolled: 1-line block ×10, first 2 shown]
	ds_load_b128 v[126:129], v2 offset:768
	ds_load_b128 v[134:137], v2 offset:784
	s_clause 0x1
	scratch_load_b128 v[130:133], off, off offset:320
	scratch_load_b128 v[138:141], off, off offset:144
	s_mov_b32 s2, exec_lo
	s_wait_loadcnt_dscnt 0xb01
	v_mul_f64_e32 v[4:5], v[128:129], v[10:11]
	v_mul_f64_e32 v[150:151], v[126:127], v[10:11]
	scratch_load_b128 v[10:13], off, off offset:336
	s_wait_loadcnt_dscnt 0xb00
	v_mul_f64_e32 v[152:153], v[134:135], v[92:93]
	v_mul_f64_e32 v[92:93], v[136:137], v[92:93]
	v_fma_f64 v[4:5], v[126:127], v[8:9], -v[4:5]
	v_fmac_f64_e32 v[150:151], v[128:129], v[8:9]
	ds_load_b128 v[126:129], v2 offset:800
	ds_load_b128 v[142:145], v2 offset:816
	scratch_load_b128 v[146:149], off, off offset:352
	v_fmac_f64_e32 v[152:153], v[136:137], v[90:91]
	v_fma_f64 v[134:135], v[134:135], v[90:91], -v[92:93]
	scratch_load_b128 v[90:93], off, off offset:368
	s_wait_loadcnt_dscnt 0xc01
	v_mul_f64_e32 v[8:9], v[126:127], v[96:97]
	v_mul_f64_e32 v[96:97], v[128:129], v[96:97]
	v_add_f64_e32 v[4:5], 0, v[4:5]
	v_add_f64_e32 v[136:137], 0, v[150:151]
	s_wait_loadcnt_dscnt 0xb00
	v_mul_f64_e32 v[150:151], v[142:143], v[100:101]
	v_mul_f64_e32 v[100:101], v[144:145], v[100:101]
	v_fmac_f64_e32 v[8:9], v[128:129], v[94:95]
	v_fma_f64 v[154:155], v[126:127], v[94:95], -v[96:97]
	ds_load_b128 v[94:97], v2 offset:832
	ds_load_b128 v[126:129], v2 offset:848
	v_add_f64_e32 v[4:5], v[4:5], v[134:135]
	v_add_f64_e32 v[152:153], v[136:137], v[152:153]
	scratch_load_b128 v[134:137], off, off offset:384
	v_fmac_f64_e32 v[150:151], v[144:145], v[98:99]
	v_fma_f64 v[142:143], v[142:143], v[98:99], -v[100:101]
	scratch_load_b128 v[98:101], off, off offset:400
	s_wait_loadcnt_dscnt 0xc01
	v_mul_f64_e32 v[156:157], v[94:95], v[104:105]
	v_mul_f64_e32 v[104:105], v[96:97], v[104:105]
	v_add_f64_e32 v[4:5], v[4:5], v[154:155]
	v_add_f64_e32 v[8:9], v[152:153], v[8:9]
	s_wait_loadcnt_dscnt 0xb00
	v_mul_f64_e32 v[152:153], v[126:127], v[108:109]
	v_mul_f64_e32 v[108:109], v[128:129], v[108:109]
	v_fmac_f64_e32 v[156:157], v[96:97], v[102:103]
	v_fma_f64 v[154:155], v[94:95], v[102:103], -v[104:105]
	ds_load_b128 v[94:97], v2 offset:864
	ds_load_b128 v[102:105], v2 offset:880
	v_add_f64_e32 v[4:5], v[4:5], v[142:143]
	v_add_f64_e32 v[8:9], v[8:9], v[150:151]
	scratch_load_b128 v[142:145], off, off offset:416
	s_wait_loadcnt_dscnt 0xb01
	v_mul_f64_e32 v[150:151], v[94:95], v[112:113]
	v_mul_f64_e32 v[112:113], v[96:97], v[112:113]
	v_fmac_f64_e32 v[152:153], v[128:129], v[106:107]
	v_fma_f64 v[126:127], v[126:127], v[106:107], -v[108:109]
	scratch_load_b128 v[106:109], off, off offset:432
	v_add_f64_e32 v[4:5], v[4:5], v[154:155]
	v_add_f64_e32 v[8:9], v[8:9], v[156:157]
	s_wait_loadcnt_dscnt 0xb00
	v_mul_f64_e32 v[154:155], v[102:103], v[116:117]
	v_mul_f64_e32 v[116:117], v[104:105], v[116:117]
	v_fmac_f64_e32 v[150:151], v[96:97], v[110:111]
	v_fma_f64 v[156:157], v[94:95], v[110:111], -v[112:113]
	ds_load_b128 v[94:97], v2 offset:896
	ds_load_b128 v[110:113], v2 offset:912
	v_add_f64_e32 v[4:5], v[4:5], v[126:127]
	v_add_f64_e32 v[8:9], v[8:9], v[152:153]
	scratch_load_b128 v[126:129], off, off offset:448
	s_wait_loadcnt_dscnt 0xb01
	v_mul_f64_e32 v[152:153], v[94:95], v[120:121]
	v_mul_f64_e32 v[120:121], v[96:97], v[120:121]
	v_fmac_f64_e32 v[154:155], v[104:105], v[114:115]
	v_fma_f64 v[114:115], v[102:103], v[114:115], -v[116:117]
	scratch_load_b128 v[102:105], off, off offset:464
	v_add_f64_e32 v[4:5], v[4:5], v[156:157]
	v_add_f64_e32 v[8:9], v[8:9], v[150:151]
	s_wait_loadcnt_dscnt 0xb00
	v_mul_f64_e32 v[150:151], v[110:111], v[124:125]
	v_mul_f64_e32 v[124:125], v[112:113], v[124:125]
	v_fmac_f64_e32 v[152:153], v[96:97], v[118:119]
	v_fma_f64 v[156:157], v[94:95], v[118:119], -v[120:121]
	v_add_f64_e32 v[4:5], v[4:5], v[114:115]
	v_add_f64_e32 v[8:9], v[8:9], v[154:155]
	ds_load_b128 v[94:97], v2 offset:928
	ds_load_b128 v[114:117], v2 offset:944
	scratch_load_b128 v[118:121], off, off offset:480
	v_fmac_f64_e32 v[150:151], v[112:113], v[122:123]
	v_fma_f64 v[122:123], v[110:111], v[122:123], -v[124:125]
	scratch_load_b128 v[110:113], off, off offset:496
	s_wait_loadcnt_dscnt 0xc01
	v_mul_f64_e32 v[154:155], v[94:95], v[132:133]
	v_mul_f64_e32 v[132:133], v[96:97], v[132:133]
	v_add_f64_e32 v[4:5], v[4:5], v[156:157]
	v_add_f64_e32 v[8:9], v[8:9], v[152:153]
	s_wait_loadcnt_dscnt 0xa00
	v_mul_f64_e32 v[152:153], v[114:115], v[12:13]
	v_mul_f64_e32 v[12:13], v[116:117], v[12:13]
	v_fmac_f64_e32 v[154:155], v[96:97], v[130:131]
	v_fma_f64 v[156:157], v[94:95], v[130:131], -v[132:133]
	v_add_f64_e32 v[4:5], v[4:5], v[122:123]
	v_add_f64_e32 v[8:9], v[8:9], v[150:151]
	ds_load_b128 v[94:97], v2 offset:960
	ds_load_b128 v[122:125], v2 offset:976
	scratch_load_b128 v[130:133], off, off offset:512
	v_fmac_f64_e32 v[152:153], v[116:117], v[10:11]
	v_fma_f64 v[12:13], v[114:115], v[10:11], -v[12:13]
	s_wait_loadcnt_dscnt 0xa01
	v_mul_f64_e32 v[150:151], v[94:95], v[148:149]
	v_mul_f64_e32 v[148:149], v[96:97], v[148:149]
	v_add_f64_e32 v[4:5], v[4:5], v[156:157]
	v_add_f64_e32 v[114:115], v[8:9], v[154:155]
	scratch_load_b128 v[8:11], off, off offset:528
	s_wait_loadcnt_dscnt 0xa00
	v_mul_f64_e32 v[154:155], v[122:123], v[92:93]
	v_mul_f64_e32 v[156:157], v[124:125], v[92:93]
	v_fmac_f64_e32 v[150:151], v[96:97], v[146:147]
	v_fma_f64 v[96:97], v[94:95], v[146:147], -v[148:149]
	v_add_f64_e32 v[4:5], v[4:5], v[12:13]
	v_add_f64_e32 v[12:13], v[114:115], v[152:153]
	ds_load_b128 v[92:95], v2 offset:992
	ds_load_b128 v[114:117], v2 offset:1008
	scratch_load_b128 v[146:149], off, off offset:544
	v_fmac_f64_e32 v[154:155], v[124:125], v[90:91]
	v_fma_f64 v[90:91], v[122:123], v[90:91], -v[156:157]
	scratch_load_b128 v[122:125], off, off offset:560
	s_wait_loadcnt_dscnt 0xb01
	v_mul_f64_e32 v[152:153], v[92:93], v[136:137]
	v_mul_f64_e32 v[136:137], v[94:95], v[136:137]
	v_add_f64_e32 v[4:5], v[4:5], v[96:97]
	v_add_f64_e32 v[12:13], v[12:13], v[150:151]
	s_wait_loadcnt_dscnt 0xa00
	v_mul_f64_e32 v[150:151], v[114:115], v[100:101]
	v_mul_f64_e32 v[100:101], v[116:117], v[100:101]
	v_fmac_f64_e32 v[152:153], v[94:95], v[134:135]
	v_fma_f64 v[156:157], v[92:93], v[134:135], -v[136:137]
	v_add_f64_e32 v[4:5], v[4:5], v[90:91]
	v_add_f64_e32 v[12:13], v[12:13], v[154:155]
	ds_load_b128 v[90:93], v2 offset:1024
	ds_load_b128 v[94:97], v2 offset:1040
	scratch_load_b128 v[134:137], off, off offset:576
	v_fmac_f64_e32 v[150:151], v[116:117], v[98:99]
	v_fma_f64 v[114:115], v[114:115], v[98:99], -v[100:101]
	scratch_load_b128 v[98:101], off, off offset:592
	s_wait_loadcnt_dscnt 0xb01
	v_mul_f64_e32 v[154:155], v[90:91], v[144:145]
	v_mul_f64_e32 v[144:145], v[92:93], v[144:145]
	v_add_f64_e32 v[4:5], v[4:5], v[156:157]
	v_add_f64_e32 v[12:13], v[12:13], v[152:153]
	s_wait_loadcnt_dscnt 0xa00
	v_mul_f64_e32 v[152:153], v[94:95], v[108:109]
	v_mul_f64_e32 v[108:109], v[96:97], v[108:109]
	v_fmac_f64_e32 v[154:155], v[92:93], v[142:143]
	v_fma_f64 v[142:143], v[90:91], v[142:143], -v[144:145]
	v_add_f64_e32 v[4:5], v[4:5], v[114:115]
	v_add_f64_e32 v[12:13], v[12:13], v[150:151]
	ds_load_b128 v[90:93], v2 offset:1056
	ds_load_b128 v[114:117], v2 offset:1072
	v_fmac_f64_e32 v[152:153], v[96:97], v[106:107]
	v_fma_f64 v[94:95], v[94:95], v[106:107], -v[108:109]
	s_wait_loadcnt_dscnt 0x901
	v_mul_f64_e32 v[144:145], v[90:91], v[128:129]
	v_mul_f64_e32 v[128:129], v[92:93], v[128:129]
	s_wait_loadcnt_dscnt 0x800
	v_mul_f64_e32 v[106:107], v[114:115], v[104:105]
	v_mul_f64_e32 v[104:105], v[116:117], v[104:105]
	v_add_f64_e32 v[4:5], v[4:5], v[142:143]
	v_add_f64_e32 v[12:13], v[12:13], v[154:155]
	v_fmac_f64_e32 v[144:145], v[92:93], v[126:127]
	v_fma_f64 v[108:109], v[90:91], v[126:127], -v[128:129]
	v_fmac_f64_e32 v[106:107], v[116:117], v[102:103]
	v_fma_f64 v[102:103], v[114:115], v[102:103], -v[104:105]
	v_add_f64_e32 v[4:5], v[4:5], v[94:95]
	v_add_f64_e32 v[12:13], v[12:13], v[152:153]
	ds_load_b128 v[90:93], v2 offset:1088
	ds_load_b128 v[94:97], v2 offset:1104
	s_wait_loadcnt_dscnt 0x701
	v_mul_f64_e32 v[126:127], v[90:91], v[120:121]
	v_mul_f64_e32 v[120:121], v[92:93], v[120:121]
	v_add_f64_e32 v[4:5], v[4:5], v[108:109]
	v_add_f64_e32 v[12:13], v[12:13], v[144:145]
	s_wait_loadcnt_dscnt 0x600
	v_mul_f64_e32 v[108:109], v[94:95], v[112:113]
	v_mul_f64_e32 v[112:113], v[96:97], v[112:113]
	v_fmac_f64_e32 v[126:127], v[92:93], v[118:119]
	v_fma_f64 v[114:115], v[90:91], v[118:119], -v[120:121]
	v_add_f64_e32 v[4:5], v[4:5], v[102:103]
	v_add_f64_e32 v[12:13], v[12:13], v[106:107]
	ds_load_b128 v[90:93], v2 offset:1120
	ds_load_b128 v[102:105], v2 offset:1136
	v_fmac_f64_e32 v[108:109], v[96:97], v[110:111]
	v_fma_f64 v[94:95], v[94:95], v[110:111], -v[112:113]
	s_wait_loadcnt_dscnt 0x501
	v_mul_f64_e32 v[106:107], v[90:91], v[132:133]
	v_mul_f64_e32 v[116:117], v[92:93], v[132:133]
	v_add_f64_e32 v[4:5], v[4:5], v[114:115]
	v_add_f64_e32 v[12:13], v[12:13], v[126:127]
	s_wait_loadcnt_dscnt 0x400
	v_mul_f64_e32 v[96:97], v[102:103], v[10:11]
	v_mul_f64_e32 v[110:111], v[104:105], v[10:11]
	v_fmac_f64_e32 v[106:107], v[92:93], v[130:131]
	v_fma_f64 v[112:113], v[90:91], v[130:131], -v[116:117]
	v_add_f64_e32 v[4:5], v[4:5], v[94:95]
	v_add_f64_e32 v[94:95], v[12:13], v[108:109]
	ds_load_b128 v[10:13], v2 offset:1152
	ds_load_b128 v[90:93], v2 offset:1168
	v_fmac_f64_e32 v[96:97], v[104:105], v[8:9]
	v_fma_f64 v[8:9], v[102:103], v[8:9], -v[110:111]
	s_wait_loadcnt_dscnt 0x301
	v_mul_f64_e32 v[108:109], v[10:11], v[148:149]
	v_mul_f64_e32 v[114:115], v[12:13], v[148:149]
	s_wait_loadcnt_dscnt 0x200
	v_mul_f64_e32 v[102:103], v[90:91], v[124:125]
	v_mul_f64_e32 v[104:105], v[92:93], v[124:125]
	v_add_f64_e32 v[4:5], v[4:5], v[112:113]
	v_add_f64_e32 v[94:95], v[94:95], v[106:107]
	v_fmac_f64_e32 v[108:109], v[12:13], v[146:147]
	v_fma_f64 v[12:13], v[10:11], v[146:147], -v[114:115]
	v_fmac_f64_e32 v[102:103], v[92:93], v[122:123]
	v_fma_f64 v[90:91], v[90:91], v[122:123], -v[104:105]
	v_add_f64_e32 v[106:107], v[4:5], v[8:9]
	v_add_f64_e32 v[94:95], v[94:95], v[96:97]
	ds_load_b128 v[8:11], v2 offset:1184
	ds_load_b128 v[2:5], v2 offset:1200
	s_wait_loadcnt_dscnt 0x101
	v_mul_f64_e32 v[96:97], v[8:9], v[136:137]
	v_mul_f64_e32 v[110:111], v[10:11], v[136:137]
	v_add_f64_e32 v[12:13], v[106:107], v[12:13]
	v_add_f64_e32 v[92:93], v[94:95], v[108:109]
	s_wait_loadcnt_dscnt 0x0
	v_mul_f64_e32 v[94:95], v[2:3], v[100:101]
	v_mul_f64_e32 v[100:101], v[4:5], v[100:101]
	v_fmac_f64_e32 v[96:97], v[10:11], v[134:135]
	v_fma_f64 v[8:9], v[8:9], v[134:135], -v[110:111]
	v_add_f64_e32 v[10:11], v[12:13], v[90:91]
	v_add_f64_e32 v[12:13], v[92:93], v[102:103]
	v_fmac_f64_e32 v[94:95], v[4:5], v[98:99]
	v_fma_f64 v[2:3], v[2:3], v[98:99], -v[100:101]
	s_delay_alu instid0(VALU_DEP_4) | instskip(NEXT) | instid1(VALU_DEP_4)
	v_add_f64_e32 v[4:5], v[10:11], v[8:9]
	v_add_f64_e32 v[8:9], v[12:13], v[96:97]
	s_delay_alu instid0(VALU_DEP_2) | instskip(NEXT) | instid1(VALU_DEP_2)
	v_add_f64_e32 v[2:3], v[4:5], v[2:3]
	v_add_f64_e32 v[4:5], v[8:9], v[94:95]
	s_delay_alu instid0(VALU_DEP_2) | instskip(NEXT) | instid1(VALU_DEP_2)
	v_add_f64_e64 v[2:3], v[138:139], -v[2:3]
	v_add_f64_e64 v[4:5], v[140:141], -v[4:5]
	scratch_store_b128 off, v[2:5], off offset:144
	s_wait_xcnt 0x0
	v_cmpx_lt_u32_e32 8, v1
	s_cbranch_execz .LBB101_225
; %bb.224:
	scratch_load_b128 v[2:5], off, s46
	v_mov_b32_e32 v8, 0
	s_delay_alu instid0(VALU_DEP_1)
	v_dual_mov_b32 v9, v8 :: v_dual_mov_b32 v10, v8
	v_mov_b32_e32 v11, v8
	scratch_store_b128 off, v[8:11], off offset:128
	s_wait_loadcnt 0x0
	ds_store_b128 v6, v[2:5]
.LBB101_225:
	s_wait_xcnt 0x0
	s_or_b32 exec_lo, exec_lo, s2
	s_wait_storecnt_dscnt 0x0
	s_barrier_signal -1
	s_barrier_wait -1
	s_clause 0x9
	scratch_load_b128 v[8:11], off, off offset:144
	scratch_load_b128 v[90:93], off, off offset:160
	;; [unrolled: 1-line block ×10, first 2 shown]
	v_mov_b32_e32 v2, 0
	s_mov_b32 s2, exec_lo
	ds_load_b128 v[126:129], v2 offset:752
	s_clause 0x2
	scratch_load_b128 v[130:133], off, off offset:304
	scratch_load_b128 v[134:137], off, off offset:128
	;; [unrolled: 1-line block ×3, first 2 shown]
	s_wait_loadcnt_dscnt 0xc00
	v_mul_f64_e32 v[4:5], v[128:129], v[10:11]
	v_mul_f64_e32 v[150:151], v[126:127], v[10:11]
	ds_load_b128 v[138:141], v2 offset:768
	scratch_load_b128 v[10:13], off, off offset:320
	ds_load_b128 v[146:149], v2 offset:800
	v_fma_f64 v[4:5], v[126:127], v[8:9], -v[4:5]
	v_fmac_f64_e32 v[150:151], v[128:129], v[8:9]
	ds_load_b128 v[126:129], v2 offset:784
	s_wait_loadcnt_dscnt 0xc02
	v_mul_f64_e32 v[152:153], v[138:139], v[92:93]
	v_mul_f64_e32 v[92:93], v[140:141], v[92:93]
	s_wait_loadcnt_dscnt 0xb00
	v_mul_f64_e32 v[8:9], v[126:127], v[96:97]
	v_mul_f64_e32 v[96:97], v[128:129], v[96:97]
	v_add_f64_e32 v[4:5], 0, v[4:5]
	v_fmac_f64_e32 v[152:153], v[140:141], v[90:91]
	v_fma_f64 v[138:139], v[138:139], v[90:91], -v[92:93]
	v_add_f64_e32 v[140:141], 0, v[150:151]
	scratch_load_b128 v[90:93], off, off offset:352
	v_fmac_f64_e32 v[8:9], v[128:129], v[94:95]
	v_fma_f64 v[154:155], v[126:127], v[94:95], -v[96:97]
	ds_load_b128 v[94:97], v2 offset:816
	s_wait_loadcnt 0xb
	v_mul_f64_e32 v[150:151], v[146:147], v[100:101]
	v_mul_f64_e32 v[100:101], v[148:149], v[100:101]
	scratch_load_b128 v[126:129], off, off offset:368
	v_add_f64_e32 v[4:5], v[4:5], v[138:139]
	v_add_f64_e32 v[152:153], v[140:141], v[152:153]
	ds_load_b128 v[138:141], v2 offset:832
	s_wait_loadcnt_dscnt 0xb01
	v_mul_f64_e32 v[156:157], v[94:95], v[104:105]
	v_mul_f64_e32 v[104:105], v[96:97], v[104:105]
	v_fmac_f64_e32 v[150:151], v[148:149], v[98:99]
	v_fma_f64 v[146:147], v[146:147], v[98:99], -v[100:101]
	scratch_load_b128 v[98:101], off, off offset:384
	v_add_f64_e32 v[4:5], v[4:5], v[154:155]
	v_add_f64_e32 v[8:9], v[152:153], v[8:9]
	v_fmac_f64_e32 v[156:157], v[96:97], v[102:103]
	v_fma_f64 v[154:155], v[94:95], v[102:103], -v[104:105]
	ds_load_b128 v[94:97], v2 offset:848
	s_wait_loadcnt_dscnt 0xb01
	v_mul_f64_e32 v[152:153], v[138:139], v[108:109]
	v_mul_f64_e32 v[108:109], v[140:141], v[108:109]
	scratch_load_b128 v[102:105], off, off offset:400
	v_add_f64_e32 v[4:5], v[4:5], v[146:147]
	v_add_f64_e32 v[8:9], v[8:9], v[150:151]
	s_wait_loadcnt_dscnt 0xb00
	v_mul_f64_e32 v[150:151], v[94:95], v[112:113]
	v_mul_f64_e32 v[112:113], v[96:97], v[112:113]
	ds_load_b128 v[146:149], v2 offset:864
	v_fmac_f64_e32 v[152:153], v[140:141], v[106:107]
	v_fma_f64 v[138:139], v[138:139], v[106:107], -v[108:109]
	scratch_load_b128 v[106:109], off, off offset:416
	v_add_f64_e32 v[4:5], v[4:5], v[154:155]
	v_add_f64_e32 v[8:9], v[8:9], v[156:157]
	v_fmac_f64_e32 v[150:151], v[96:97], v[110:111]
	v_fma_f64 v[156:157], v[94:95], v[110:111], -v[112:113]
	ds_load_b128 v[94:97], v2 offset:880
	s_wait_loadcnt_dscnt 0xb01
	v_mul_f64_e32 v[154:155], v[146:147], v[116:117]
	v_mul_f64_e32 v[116:117], v[148:149], v[116:117]
	scratch_load_b128 v[110:113], off, off offset:432
	v_add_f64_e32 v[4:5], v[4:5], v[138:139]
	v_add_f64_e32 v[8:9], v[8:9], v[152:153]
	s_wait_loadcnt_dscnt 0xb00
	v_mul_f64_e32 v[152:153], v[94:95], v[120:121]
	v_mul_f64_e32 v[120:121], v[96:97], v[120:121]
	ds_load_b128 v[138:141], v2 offset:896
	;; [unrolled: 18-line block ×3, first 2 shown]
	v_fmac_f64_e32 v[150:151], v[140:141], v[122:123]
	v_fma_f64 v[138:139], v[138:139], v[122:123], -v[124:125]
	scratch_load_b128 v[122:125], off, off offset:480
	v_add_f64_e32 v[4:5], v[4:5], v[156:157]
	v_add_f64_e32 v[8:9], v[8:9], v[152:153]
	v_fmac_f64_e32 v[154:155], v[96:97], v[130:131]
	v_fma_f64 v[156:157], v[94:95], v[130:131], -v[132:133]
	ds_load_b128 v[94:97], v2 offset:944
	s_wait_loadcnt_dscnt 0x901
	v_mul_f64_e32 v[152:153], v[146:147], v[12:13]
	v_mul_f64_e32 v[12:13], v[148:149], v[12:13]
	scratch_load_b128 v[130:133], off, off offset:496
	v_add_f64_e32 v[4:5], v[4:5], v[138:139]
	v_add_f64_e32 v[8:9], v[8:9], v[150:151]
	s_wait_dscnt 0x0
	v_mul_f64_e32 v[150:151], v[94:95], v[144:145]
	v_mul_f64_e32 v[144:145], v[96:97], v[144:145]
	ds_load_b128 v[138:141], v2 offset:960
	v_fmac_f64_e32 v[152:153], v[148:149], v[10:11]
	v_fma_f64 v[12:13], v[146:147], v[10:11], -v[12:13]
	v_add_f64_e32 v[4:5], v[4:5], v[156:157]
	v_add_f64_e32 v[146:147], v[8:9], v[154:155]
	scratch_load_b128 v[8:11], off, off offset:512
	v_fmac_f64_e32 v[150:151], v[96:97], v[142:143]
	v_fma_f64 v[96:97], v[94:95], v[142:143], -v[144:145]
	scratch_load_b128 v[142:145], off, off offset:528
	v_add_f64_e32 v[4:5], v[4:5], v[12:13]
	v_add_f64_e32 v[12:13], v[146:147], v[152:153]
	ds_load_b128 v[146:149], v2 offset:992
	s_wait_loadcnt_dscnt 0xb01
	v_mul_f64_e32 v[154:155], v[138:139], v[92:93]
	v_mul_f64_e32 v[156:157], v[140:141], v[92:93]
	ds_load_b128 v[92:95], v2 offset:976
	s_wait_loadcnt_dscnt 0xa00
	v_mul_f64_e32 v[152:153], v[92:93], v[128:129]
	v_mul_f64_e32 v[128:129], v[94:95], v[128:129]
	v_add_f64_e32 v[4:5], v[4:5], v[96:97]
	v_add_f64_e32 v[12:13], v[12:13], v[150:151]
	s_wait_loadcnt 0x9
	v_mul_f64_e32 v[150:151], v[146:147], v[100:101]
	v_fmac_f64_e32 v[154:155], v[140:141], v[90:91]
	v_fma_f64 v[90:91], v[138:139], v[90:91], -v[156:157]
	scratch_load_b128 v[138:141], off, off offset:544
	v_mul_f64_e32 v[100:101], v[148:149], v[100:101]
	v_fmac_f64_e32 v[152:153], v[94:95], v[126:127]
	v_fma_f64 v[156:157], v[92:93], v[126:127], -v[128:129]
	scratch_load_b128 v[94:97], off, off offset:560
	ds_load_b128 v[126:129], v2 offset:1024
	v_fmac_f64_e32 v[150:151], v[148:149], v[98:99]
	v_add_f64_e32 v[12:13], v[12:13], v[154:155]
	v_add_f64_e32 v[4:5], v[4:5], v[90:91]
	ds_load_b128 v[90:93], v2 offset:1008
	v_fma_f64 v[146:147], v[146:147], v[98:99], -v[100:101]
	scratch_load_b128 v[98:101], off, off offset:576
	s_wait_loadcnt_dscnt 0xb00
	v_mul_f64_e32 v[154:155], v[90:91], v[104:105]
	v_mul_f64_e32 v[104:105], v[92:93], v[104:105]
	v_add_f64_e32 v[12:13], v[12:13], v[152:153]
	v_add_f64_e32 v[4:5], v[4:5], v[156:157]
	s_wait_loadcnt 0xa
	v_mul_f64_e32 v[152:153], v[126:127], v[108:109]
	v_mul_f64_e32 v[108:109], v[128:129], v[108:109]
	v_fmac_f64_e32 v[154:155], v[92:93], v[102:103]
	v_fma_f64 v[156:157], v[90:91], v[102:103], -v[104:105]
	ds_load_b128 v[90:93], v2 offset:1040
	scratch_load_b128 v[102:105], off, off offset:592
	v_add_f64_e32 v[12:13], v[12:13], v[150:151]
	v_add_f64_e32 v[4:5], v[4:5], v[146:147]
	ds_load_b128 v[146:149], v2 offset:1056
	v_fmac_f64_e32 v[152:153], v[128:129], v[106:107]
	v_fma_f64 v[106:107], v[126:127], v[106:107], -v[108:109]
	s_wait_loadcnt_dscnt 0xa01
	v_mul_f64_e32 v[150:151], v[90:91], v[112:113]
	v_mul_f64_e32 v[112:113], v[92:93], v[112:113]
	s_wait_loadcnt_dscnt 0x900
	v_mul_f64_e32 v[126:127], v[146:147], v[116:117]
	v_mul_f64_e32 v[116:117], v[148:149], v[116:117]
	v_add_f64_e32 v[12:13], v[12:13], v[154:155]
	v_add_f64_e32 v[4:5], v[4:5], v[156:157]
	v_fmac_f64_e32 v[150:151], v[92:93], v[110:111]
	v_fma_f64 v[110:111], v[90:91], v[110:111], -v[112:113]
	v_fmac_f64_e32 v[126:127], v[148:149], v[114:115]
	v_fma_f64 v[114:115], v[146:147], v[114:115], -v[116:117]
	v_add_f64_e32 v[12:13], v[12:13], v[152:153]
	v_add_f64_e32 v[4:5], v[4:5], v[106:107]
	ds_load_b128 v[90:93], v2 offset:1072
	ds_load_b128 v[106:109], v2 offset:1088
	s_wait_loadcnt_dscnt 0x801
	v_mul_f64_e32 v[128:129], v[90:91], v[120:121]
	v_mul_f64_e32 v[112:113], v[92:93], v[120:121]
	s_wait_loadcnt_dscnt 0x700
	v_mul_f64_e32 v[116:117], v[106:107], v[124:125]
	v_mul_f64_e32 v[120:121], v[108:109], v[124:125]
	v_add_f64_e32 v[12:13], v[12:13], v[150:151]
	v_add_f64_e32 v[4:5], v[4:5], v[110:111]
	v_fmac_f64_e32 v[128:129], v[92:93], v[118:119]
	v_fma_f64 v[118:119], v[90:91], v[118:119], -v[112:113]
	ds_load_b128 v[90:93], v2 offset:1104
	ds_load_b128 v[110:113], v2 offset:1120
	v_fmac_f64_e32 v[116:117], v[108:109], v[122:123]
	v_fma_f64 v[106:107], v[106:107], v[122:123], -v[120:121]
	v_add_f64_e32 v[12:13], v[12:13], v[126:127]
	v_add_f64_e32 v[4:5], v[4:5], v[114:115]
	s_wait_loadcnt_dscnt 0x601
	v_mul_f64_e32 v[114:115], v[90:91], v[132:133]
	v_mul_f64_e32 v[124:125], v[92:93], v[132:133]
	s_wait_loadcnt_dscnt 0x500
	v_mul_f64_e32 v[108:109], v[110:111], v[10:11]
	v_add_f64_e32 v[12:13], v[12:13], v[128:129]
	v_add_f64_e32 v[4:5], v[4:5], v[118:119]
	v_mul_f64_e32 v[118:119], v[112:113], v[10:11]
	v_fmac_f64_e32 v[114:115], v[92:93], v[130:131]
	v_fma_f64 v[120:121], v[90:91], v[130:131], -v[124:125]
	v_fmac_f64_e32 v[108:109], v[112:113], v[8:9]
	v_add_f64_e32 v[4:5], v[4:5], v[106:107]
	v_add_f64_e32 v[106:107], v[12:13], v[116:117]
	ds_load_b128 v[10:13], v2 offset:1136
	ds_load_b128 v[90:93], v2 offset:1152
	v_fma_f64 v[8:9], v[110:111], v[8:9], -v[118:119]
	s_wait_loadcnt_dscnt 0x401
	v_mul_f64_e32 v[116:117], v[10:11], v[144:145]
	v_mul_f64_e32 v[122:123], v[12:13], v[144:145]
	v_add_f64_e32 v[4:5], v[4:5], v[120:121]
	v_add_f64_e32 v[106:107], v[106:107], v[114:115]
	s_wait_loadcnt_dscnt 0x300
	v_mul_f64_e32 v[110:111], v[90:91], v[140:141]
	v_mul_f64_e32 v[112:113], v[92:93], v[140:141]
	v_fmac_f64_e32 v[116:117], v[12:13], v[142:143]
	v_fma_f64 v[12:13], v[10:11], v[142:143], -v[122:123]
	v_add_f64_e32 v[4:5], v[4:5], v[8:9]
	v_add_f64_e32 v[114:115], v[106:107], v[108:109]
	ds_load_b128 v[8:11], v2 offset:1168
	ds_load_b128 v[106:109], v2 offset:1184
	v_fmac_f64_e32 v[110:111], v[92:93], v[138:139]
	v_fma_f64 v[90:91], v[90:91], v[138:139], -v[112:113]
	s_wait_loadcnt_dscnt 0x201
	v_mul_f64_e32 v[118:119], v[8:9], v[96:97]
	v_mul_f64_e32 v[96:97], v[10:11], v[96:97]
	s_wait_loadcnt_dscnt 0x100
	v_mul_f64_e32 v[92:93], v[106:107], v[100:101]
	v_mul_f64_e32 v[100:101], v[108:109], v[100:101]
	v_add_f64_e32 v[4:5], v[4:5], v[12:13]
	v_add_f64_e32 v[12:13], v[114:115], v[116:117]
	v_fmac_f64_e32 v[118:119], v[10:11], v[94:95]
	v_fma_f64 v[94:95], v[8:9], v[94:95], -v[96:97]
	ds_load_b128 v[8:11], v2 offset:1200
	v_fmac_f64_e32 v[92:93], v[108:109], v[98:99]
	v_fma_f64 v[98:99], v[106:107], v[98:99], -v[100:101]
	v_add_f64_e32 v[4:5], v[4:5], v[90:91]
	v_add_f64_e32 v[12:13], v[12:13], v[110:111]
	s_wait_loadcnt_dscnt 0x0
	v_mul_f64_e32 v[90:91], v[8:9], v[104:105]
	v_mul_f64_e32 v[96:97], v[10:11], v[104:105]
	s_delay_alu instid0(VALU_DEP_4) | instskip(NEXT) | instid1(VALU_DEP_4)
	v_add_f64_e32 v[4:5], v[4:5], v[94:95]
	v_add_f64_e32 v[12:13], v[12:13], v[118:119]
	s_delay_alu instid0(VALU_DEP_4) | instskip(NEXT) | instid1(VALU_DEP_4)
	v_fmac_f64_e32 v[90:91], v[10:11], v[102:103]
	v_fma_f64 v[8:9], v[8:9], v[102:103], -v[96:97]
	s_delay_alu instid0(VALU_DEP_4) | instskip(NEXT) | instid1(VALU_DEP_4)
	v_add_f64_e32 v[4:5], v[4:5], v[98:99]
	v_add_f64_e32 v[10:11], v[12:13], v[92:93]
	s_delay_alu instid0(VALU_DEP_2) | instskip(NEXT) | instid1(VALU_DEP_2)
	v_add_f64_e32 v[4:5], v[4:5], v[8:9]
	v_add_f64_e32 v[10:11], v[10:11], v[90:91]
	s_delay_alu instid0(VALU_DEP_2) | instskip(NEXT) | instid1(VALU_DEP_2)
	v_add_f64_e64 v[8:9], v[134:135], -v[4:5]
	v_add_f64_e64 v[10:11], v[136:137], -v[10:11]
	scratch_store_b128 off, v[8:11], off offset:128
	s_wait_xcnt 0x0
	v_cmpx_lt_u32_e32 7, v1
	s_cbranch_execz .LBB101_227
; %bb.226:
	scratch_load_b128 v[8:11], off, s47
	v_dual_mov_b32 v3, v2 :: v_dual_mov_b32 v4, v2
	v_mov_b32_e32 v5, v2
	scratch_store_b128 off, v[2:5], off offset:112
	s_wait_loadcnt 0x0
	ds_store_b128 v6, v[8:11]
.LBB101_227:
	s_wait_xcnt 0x0
	s_or_b32 exec_lo, exec_lo, s2
	s_wait_storecnt_dscnt 0x0
	s_barrier_signal -1
	s_barrier_wait -1
	s_clause 0x9
	scratch_load_b128 v[8:11], off, off offset:128
	scratch_load_b128 v[90:93], off, off offset:144
	;; [unrolled: 1-line block ×10, first 2 shown]
	ds_load_b128 v[126:129], v2 offset:736
	ds_load_b128 v[134:137], v2 offset:752
	s_clause 0x1
	scratch_load_b128 v[130:133], off, off offset:288
	scratch_load_b128 v[138:141], off, off offset:112
	s_mov_b32 s2, exec_lo
	s_wait_loadcnt_dscnt 0xb01
	v_mul_f64_e32 v[4:5], v[128:129], v[10:11]
	v_mul_f64_e32 v[150:151], v[126:127], v[10:11]
	scratch_load_b128 v[10:13], off, off offset:304
	s_wait_loadcnt_dscnt 0xb00
	v_mul_f64_e32 v[152:153], v[134:135], v[92:93]
	v_mul_f64_e32 v[92:93], v[136:137], v[92:93]
	v_fma_f64 v[4:5], v[126:127], v[8:9], -v[4:5]
	v_fmac_f64_e32 v[150:151], v[128:129], v[8:9]
	ds_load_b128 v[126:129], v2 offset:768
	ds_load_b128 v[142:145], v2 offset:784
	scratch_load_b128 v[146:149], off, off offset:320
	v_fmac_f64_e32 v[152:153], v[136:137], v[90:91]
	v_fma_f64 v[134:135], v[134:135], v[90:91], -v[92:93]
	scratch_load_b128 v[90:93], off, off offset:336
	s_wait_loadcnt_dscnt 0xc01
	v_mul_f64_e32 v[8:9], v[126:127], v[96:97]
	v_mul_f64_e32 v[96:97], v[128:129], v[96:97]
	v_add_f64_e32 v[4:5], 0, v[4:5]
	v_add_f64_e32 v[136:137], 0, v[150:151]
	s_wait_loadcnt_dscnt 0xb00
	v_mul_f64_e32 v[150:151], v[142:143], v[100:101]
	v_mul_f64_e32 v[100:101], v[144:145], v[100:101]
	v_fmac_f64_e32 v[8:9], v[128:129], v[94:95]
	v_fma_f64 v[154:155], v[126:127], v[94:95], -v[96:97]
	ds_load_b128 v[94:97], v2 offset:800
	ds_load_b128 v[126:129], v2 offset:816
	v_add_f64_e32 v[4:5], v[4:5], v[134:135]
	v_add_f64_e32 v[152:153], v[136:137], v[152:153]
	scratch_load_b128 v[134:137], off, off offset:352
	v_fmac_f64_e32 v[150:151], v[144:145], v[98:99]
	v_fma_f64 v[142:143], v[142:143], v[98:99], -v[100:101]
	scratch_load_b128 v[98:101], off, off offset:368
	s_wait_loadcnt_dscnt 0xc01
	v_mul_f64_e32 v[156:157], v[94:95], v[104:105]
	v_mul_f64_e32 v[104:105], v[96:97], v[104:105]
	v_add_f64_e32 v[4:5], v[4:5], v[154:155]
	v_add_f64_e32 v[8:9], v[152:153], v[8:9]
	s_wait_loadcnt_dscnt 0xb00
	v_mul_f64_e32 v[152:153], v[126:127], v[108:109]
	v_mul_f64_e32 v[108:109], v[128:129], v[108:109]
	v_fmac_f64_e32 v[156:157], v[96:97], v[102:103]
	v_fma_f64 v[154:155], v[94:95], v[102:103], -v[104:105]
	ds_load_b128 v[94:97], v2 offset:832
	ds_load_b128 v[102:105], v2 offset:848
	v_add_f64_e32 v[4:5], v[4:5], v[142:143]
	v_add_f64_e32 v[8:9], v[8:9], v[150:151]
	scratch_load_b128 v[142:145], off, off offset:384
	s_wait_loadcnt_dscnt 0xb01
	v_mul_f64_e32 v[150:151], v[94:95], v[112:113]
	v_mul_f64_e32 v[112:113], v[96:97], v[112:113]
	v_fmac_f64_e32 v[152:153], v[128:129], v[106:107]
	v_fma_f64 v[126:127], v[126:127], v[106:107], -v[108:109]
	scratch_load_b128 v[106:109], off, off offset:400
	v_add_f64_e32 v[4:5], v[4:5], v[154:155]
	v_add_f64_e32 v[8:9], v[8:9], v[156:157]
	s_wait_loadcnt_dscnt 0xb00
	v_mul_f64_e32 v[154:155], v[102:103], v[116:117]
	v_mul_f64_e32 v[116:117], v[104:105], v[116:117]
	v_fmac_f64_e32 v[150:151], v[96:97], v[110:111]
	v_fma_f64 v[156:157], v[94:95], v[110:111], -v[112:113]
	ds_load_b128 v[94:97], v2 offset:864
	ds_load_b128 v[110:113], v2 offset:880
	v_add_f64_e32 v[4:5], v[4:5], v[126:127]
	v_add_f64_e32 v[8:9], v[8:9], v[152:153]
	scratch_load_b128 v[126:129], off, off offset:416
	s_wait_loadcnt_dscnt 0xb01
	v_mul_f64_e32 v[152:153], v[94:95], v[120:121]
	v_mul_f64_e32 v[120:121], v[96:97], v[120:121]
	v_fmac_f64_e32 v[154:155], v[104:105], v[114:115]
	v_fma_f64 v[114:115], v[102:103], v[114:115], -v[116:117]
	scratch_load_b128 v[102:105], off, off offset:432
	v_add_f64_e32 v[4:5], v[4:5], v[156:157]
	v_add_f64_e32 v[8:9], v[8:9], v[150:151]
	s_wait_loadcnt_dscnt 0xb00
	v_mul_f64_e32 v[150:151], v[110:111], v[124:125]
	v_mul_f64_e32 v[124:125], v[112:113], v[124:125]
	v_fmac_f64_e32 v[152:153], v[96:97], v[118:119]
	v_fma_f64 v[156:157], v[94:95], v[118:119], -v[120:121]
	v_add_f64_e32 v[4:5], v[4:5], v[114:115]
	v_add_f64_e32 v[8:9], v[8:9], v[154:155]
	ds_load_b128 v[94:97], v2 offset:896
	ds_load_b128 v[114:117], v2 offset:912
	scratch_load_b128 v[118:121], off, off offset:448
	v_fmac_f64_e32 v[150:151], v[112:113], v[122:123]
	v_fma_f64 v[122:123], v[110:111], v[122:123], -v[124:125]
	scratch_load_b128 v[110:113], off, off offset:464
	s_wait_loadcnt_dscnt 0xc01
	v_mul_f64_e32 v[154:155], v[94:95], v[132:133]
	v_mul_f64_e32 v[132:133], v[96:97], v[132:133]
	v_add_f64_e32 v[4:5], v[4:5], v[156:157]
	v_add_f64_e32 v[8:9], v[8:9], v[152:153]
	s_wait_loadcnt_dscnt 0xa00
	v_mul_f64_e32 v[152:153], v[114:115], v[12:13]
	v_mul_f64_e32 v[12:13], v[116:117], v[12:13]
	v_fmac_f64_e32 v[154:155], v[96:97], v[130:131]
	v_fma_f64 v[156:157], v[94:95], v[130:131], -v[132:133]
	v_add_f64_e32 v[4:5], v[4:5], v[122:123]
	v_add_f64_e32 v[8:9], v[8:9], v[150:151]
	ds_load_b128 v[94:97], v2 offset:928
	ds_load_b128 v[122:125], v2 offset:944
	scratch_load_b128 v[130:133], off, off offset:480
	v_fmac_f64_e32 v[152:153], v[116:117], v[10:11]
	v_fma_f64 v[12:13], v[114:115], v[10:11], -v[12:13]
	s_wait_loadcnt_dscnt 0xa01
	v_mul_f64_e32 v[150:151], v[94:95], v[148:149]
	v_mul_f64_e32 v[148:149], v[96:97], v[148:149]
	v_add_f64_e32 v[4:5], v[4:5], v[156:157]
	v_add_f64_e32 v[114:115], v[8:9], v[154:155]
	scratch_load_b128 v[8:11], off, off offset:496
	s_wait_loadcnt_dscnt 0xa00
	v_mul_f64_e32 v[154:155], v[122:123], v[92:93]
	v_mul_f64_e32 v[156:157], v[124:125], v[92:93]
	v_fmac_f64_e32 v[150:151], v[96:97], v[146:147]
	v_fma_f64 v[96:97], v[94:95], v[146:147], -v[148:149]
	v_add_f64_e32 v[4:5], v[4:5], v[12:13]
	v_add_f64_e32 v[12:13], v[114:115], v[152:153]
	ds_load_b128 v[92:95], v2 offset:960
	ds_load_b128 v[114:117], v2 offset:976
	scratch_load_b128 v[146:149], off, off offset:512
	v_fmac_f64_e32 v[154:155], v[124:125], v[90:91]
	v_fma_f64 v[90:91], v[122:123], v[90:91], -v[156:157]
	scratch_load_b128 v[122:125], off, off offset:528
	s_wait_loadcnt_dscnt 0xb01
	v_mul_f64_e32 v[152:153], v[92:93], v[136:137]
	v_mul_f64_e32 v[136:137], v[94:95], v[136:137]
	v_add_f64_e32 v[4:5], v[4:5], v[96:97]
	v_add_f64_e32 v[12:13], v[12:13], v[150:151]
	s_wait_loadcnt_dscnt 0xa00
	v_mul_f64_e32 v[150:151], v[114:115], v[100:101]
	v_mul_f64_e32 v[100:101], v[116:117], v[100:101]
	v_fmac_f64_e32 v[152:153], v[94:95], v[134:135]
	v_fma_f64 v[156:157], v[92:93], v[134:135], -v[136:137]
	v_add_f64_e32 v[4:5], v[4:5], v[90:91]
	v_add_f64_e32 v[12:13], v[12:13], v[154:155]
	ds_load_b128 v[90:93], v2 offset:992
	ds_load_b128 v[94:97], v2 offset:1008
	scratch_load_b128 v[134:137], off, off offset:544
	v_fmac_f64_e32 v[150:151], v[116:117], v[98:99]
	v_fma_f64 v[114:115], v[114:115], v[98:99], -v[100:101]
	scratch_load_b128 v[98:101], off, off offset:560
	s_wait_loadcnt_dscnt 0xb01
	v_mul_f64_e32 v[154:155], v[90:91], v[144:145]
	v_mul_f64_e32 v[144:145], v[92:93], v[144:145]
	v_add_f64_e32 v[4:5], v[4:5], v[156:157]
	v_add_f64_e32 v[12:13], v[12:13], v[152:153]
	s_wait_loadcnt_dscnt 0xa00
	v_mul_f64_e32 v[152:153], v[94:95], v[108:109]
	v_mul_f64_e32 v[108:109], v[96:97], v[108:109]
	v_fmac_f64_e32 v[154:155], v[92:93], v[142:143]
	v_fma_f64 v[156:157], v[90:91], v[142:143], -v[144:145]
	v_add_f64_e32 v[4:5], v[4:5], v[114:115]
	v_add_f64_e32 v[12:13], v[12:13], v[150:151]
	ds_load_b128 v[90:93], v2 offset:1024
	ds_load_b128 v[114:117], v2 offset:1040
	scratch_load_b128 v[142:145], off, off offset:576
	v_fmac_f64_e32 v[152:153], v[96:97], v[106:107]
	v_fma_f64 v[106:107], v[94:95], v[106:107], -v[108:109]
	scratch_load_b128 v[94:97], off, off offset:592
	s_wait_loadcnt_dscnt 0xb01
	v_mul_f64_e32 v[150:151], v[90:91], v[128:129]
	v_mul_f64_e32 v[128:129], v[92:93], v[128:129]
	s_wait_loadcnt_dscnt 0xa00
	v_mul_f64_e32 v[108:109], v[114:115], v[104:105]
	v_add_f64_e32 v[4:5], v[4:5], v[156:157]
	v_add_f64_e32 v[12:13], v[12:13], v[154:155]
	v_mul_f64_e32 v[154:155], v[116:117], v[104:105]
	v_fmac_f64_e32 v[150:151], v[92:93], v[126:127]
	v_fma_f64 v[126:127], v[90:91], v[126:127], -v[128:129]
	v_fmac_f64_e32 v[108:109], v[116:117], v[102:103]
	v_add_f64_e32 v[4:5], v[4:5], v[106:107]
	v_add_f64_e32 v[12:13], v[12:13], v[152:153]
	ds_load_b128 v[90:93], v2 offset:1056
	ds_load_b128 v[104:107], v2 offset:1072
	v_fma_f64 v[102:103], v[114:115], v[102:103], -v[154:155]
	s_wait_loadcnt_dscnt 0x901
	v_mul_f64_e32 v[128:129], v[90:91], v[120:121]
	v_mul_f64_e32 v[120:121], v[92:93], v[120:121]
	s_wait_loadcnt_dscnt 0x800
	v_mul_f64_e32 v[116:117], v[104:105], v[112:113]
	v_add_f64_e32 v[4:5], v[4:5], v[126:127]
	v_add_f64_e32 v[12:13], v[12:13], v[150:151]
	v_mul_f64_e32 v[126:127], v[106:107], v[112:113]
	v_fmac_f64_e32 v[128:129], v[92:93], v[118:119]
	v_fma_f64 v[118:119], v[90:91], v[118:119], -v[120:121]
	ds_load_b128 v[90:93], v2 offset:1088
	ds_load_b128 v[112:115], v2 offset:1104
	v_fmac_f64_e32 v[116:117], v[106:107], v[110:111]
	v_add_f64_e32 v[4:5], v[4:5], v[102:103]
	v_add_f64_e32 v[12:13], v[12:13], v[108:109]
	v_fma_f64 v[104:105], v[104:105], v[110:111], -v[126:127]
	s_wait_loadcnt_dscnt 0x701
	v_mul_f64_e32 v[102:103], v[90:91], v[132:133]
	v_mul_f64_e32 v[108:109], v[92:93], v[132:133]
	v_add_f64_e32 v[4:5], v[4:5], v[118:119]
	v_add_f64_e32 v[12:13], v[12:13], v[128:129]
	s_wait_loadcnt_dscnt 0x600
	v_mul_f64_e32 v[106:107], v[112:113], v[10:11]
	v_mul_f64_e32 v[110:111], v[114:115], v[10:11]
	v_fmac_f64_e32 v[102:103], v[92:93], v[130:131]
	v_fma_f64 v[108:109], v[90:91], v[130:131], -v[108:109]
	v_add_f64_e32 v[4:5], v[4:5], v[104:105]
	v_add_f64_e32 v[104:105], v[12:13], v[116:117]
	ds_load_b128 v[10:13], v2 offset:1120
	ds_load_b128 v[90:93], v2 offset:1136
	v_fmac_f64_e32 v[106:107], v[114:115], v[8:9]
	v_fma_f64 v[8:9], v[112:113], v[8:9], -v[110:111]
	s_wait_loadcnt_dscnt 0x501
	v_mul_f64_e32 v[116:117], v[10:11], v[148:149]
	v_mul_f64_e32 v[118:119], v[12:13], v[148:149]
	s_wait_loadcnt_dscnt 0x400
	v_mul_f64_e32 v[110:111], v[92:93], v[124:125]
	v_add_f64_e32 v[4:5], v[4:5], v[108:109]
	v_add_f64_e32 v[102:103], v[104:105], v[102:103]
	v_mul_f64_e32 v[108:109], v[90:91], v[124:125]
	v_fmac_f64_e32 v[116:117], v[12:13], v[146:147]
	v_fma_f64 v[12:13], v[10:11], v[146:147], -v[118:119]
	v_fma_f64 v[90:91], v[90:91], v[122:123], -v[110:111]
	v_add_f64_e32 v[4:5], v[4:5], v[8:9]
	v_add_f64_e32 v[106:107], v[102:103], v[106:107]
	ds_load_b128 v[8:11], v2 offset:1152
	ds_load_b128 v[102:105], v2 offset:1168
	v_fmac_f64_e32 v[108:109], v[92:93], v[122:123]
	s_wait_loadcnt_dscnt 0x301
	v_mul_f64_e32 v[112:113], v[8:9], v[136:137]
	v_mul_f64_e32 v[114:115], v[10:11], v[136:137]
	s_wait_loadcnt_dscnt 0x200
	v_mul_f64_e32 v[92:93], v[102:103], v[100:101]
	v_mul_f64_e32 v[100:101], v[104:105], v[100:101]
	v_add_f64_e32 v[4:5], v[4:5], v[12:13]
	v_add_f64_e32 v[12:13], v[106:107], v[116:117]
	v_fmac_f64_e32 v[112:113], v[10:11], v[134:135]
	v_fma_f64 v[106:107], v[8:9], v[134:135], -v[114:115]
	v_fmac_f64_e32 v[92:93], v[104:105], v[98:99]
	v_fma_f64 v[98:99], v[102:103], v[98:99], -v[100:101]
	v_add_f64_e32 v[90:91], v[4:5], v[90:91]
	v_add_f64_e32 v[12:13], v[12:13], v[108:109]
	ds_load_b128 v[8:11], v2 offset:1184
	ds_load_b128 v[2:5], v2 offset:1200
	s_wait_loadcnt_dscnt 0x101
	v_mul_f64_e32 v[108:109], v[8:9], v[144:145]
	v_mul_f64_e32 v[110:111], v[10:11], v[144:145]
	s_wait_loadcnt_dscnt 0x0
	v_mul_f64_e32 v[100:101], v[2:3], v[96:97]
	v_mul_f64_e32 v[96:97], v[4:5], v[96:97]
	v_add_f64_e32 v[90:91], v[90:91], v[106:107]
	v_add_f64_e32 v[12:13], v[12:13], v[112:113]
	v_fmac_f64_e32 v[108:109], v[10:11], v[142:143]
	v_fma_f64 v[8:9], v[8:9], v[142:143], -v[110:111]
	v_fmac_f64_e32 v[100:101], v[4:5], v[94:95]
	v_fma_f64 v[2:3], v[2:3], v[94:95], -v[96:97]
	v_add_f64_e32 v[10:11], v[90:91], v[98:99]
	v_add_f64_e32 v[12:13], v[12:13], v[92:93]
	s_delay_alu instid0(VALU_DEP_2) | instskip(NEXT) | instid1(VALU_DEP_2)
	v_add_f64_e32 v[4:5], v[10:11], v[8:9]
	v_add_f64_e32 v[8:9], v[12:13], v[108:109]
	s_delay_alu instid0(VALU_DEP_2) | instskip(NEXT) | instid1(VALU_DEP_2)
	;; [unrolled: 3-line block ×3, first 2 shown]
	v_add_f64_e64 v[2:3], v[138:139], -v[2:3]
	v_add_f64_e64 v[4:5], v[140:141], -v[4:5]
	scratch_store_b128 off, v[2:5], off offset:112
	s_wait_xcnt 0x0
	v_cmpx_lt_u32_e32 6, v1
	s_cbranch_execz .LBB101_229
; %bb.228:
	scratch_load_b128 v[2:5], off, s48
	v_mov_b32_e32 v8, 0
	s_delay_alu instid0(VALU_DEP_1)
	v_dual_mov_b32 v9, v8 :: v_dual_mov_b32 v10, v8
	v_mov_b32_e32 v11, v8
	scratch_store_b128 off, v[8:11], off offset:96
	s_wait_loadcnt 0x0
	ds_store_b128 v6, v[2:5]
.LBB101_229:
	s_wait_xcnt 0x0
	s_or_b32 exec_lo, exec_lo, s2
	s_wait_storecnt_dscnt 0x0
	s_barrier_signal -1
	s_barrier_wait -1
	s_clause 0x9
	scratch_load_b128 v[8:11], off, off offset:112
	scratch_load_b128 v[90:93], off, off offset:128
	;; [unrolled: 1-line block ×10, first 2 shown]
	v_mov_b32_e32 v2, 0
	s_mov_b32 s2, exec_lo
	ds_load_b128 v[126:129], v2 offset:720
	s_clause 0x2
	scratch_load_b128 v[130:133], off, off offset:272
	scratch_load_b128 v[134:137], off, off offset:96
	;; [unrolled: 1-line block ×3, first 2 shown]
	s_wait_loadcnt_dscnt 0xc00
	v_mul_f64_e32 v[4:5], v[128:129], v[10:11]
	v_mul_f64_e32 v[150:151], v[126:127], v[10:11]
	ds_load_b128 v[138:141], v2 offset:736
	scratch_load_b128 v[10:13], off, off offset:288
	ds_load_b128 v[146:149], v2 offset:768
	v_fma_f64 v[4:5], v[126:127], v[8:9], -v[4:5]
	v_fmac_f64_e32 v[150:151], v[128:129], v[8:9]
	ds_load_b128 v[126:129], v2 offset:752
	s_wait_loadcnt_dscnt 0xc02
	v_mul_f64_e32 v[152:153], v[138:139], v[92:93]
	v_mul_f64_e32 v[92:93], v[140:141], v[92:93]
	s_wait_loadcnt_dscnt 0xb00
	v_mul_f64_e32 v[8:9], v[126:127], v[96:97]
	v_mul_f64_e32 v[96:97], v[128:129], v[96:97]
	v_add_f64_e32 v[4:5], 0, v[4:5]
	v_fmac_f64_e32 v[152:153], v[140:141], v[90:91]
	v_fma_f64 v[138:139], v[138:139], v[90:91], -v[92:93]
	v_add_f64_e32 v[140:141], 0, v[150:151]
	scratch_load_b128 v[90:93], off, off offset:320
	v_fmac_f64_e32 v[8:9], v[128:129], v[94:95]
	v_fma_f64 v[154:155], v[126:127], v[94:95], -v[96:97]
	ds_load_b128 v[94:97], v2 offset:784
	s_wait_loadcnt 0xb
	v_mul_f64_e32 v[150:151], v[146:147], v[100:101]
	v_mul_f64_e32 v[100:101], v[148:149], v[100:101]
	scratch_load_b128 v[126:129], off, off offset:336
	v_add_f64_e32 v[4:5], v[4:5], v[138:139]
	v_add_f64_e32 v[152:153], v[140:141], v[152:153]
	ds_load_b128 v[138:141], v2 offset:800
	s_wait_loadcnt_dscnt 0xb01
	v_mul_f64_e32 v[156:157], v[94:95], v[104:105]
	v_mul_f64_e32 v[104:105], v[96:97], v[104:105]
	v_fmac_f64_e32 v[150:151], v[148:149], v[98:99]
	v_fma_f64 v[146:147], v[146:147], v[98:99], -v[100:101]
	scratch_load_b128 v[98:101], off, off offset:352
	v_add_f64_e32 v[4:5], v[4:5], v[154:155]
	v_add_f64_e32 v[8:9], v[152:153], v[8:9]
	v_fmac_f64_e32 v[156:157], v[96:97], v[102:103]
	v_fma_f64 v[154:155], v[94:95], v[102:103], -v[104:105]
	ds_load_b128 v[94:97], v2 offset:816
	s_wait_loadcnt_dscnt 0xb01
	v_mul_f64_e32 v[152:153], v[138:139], v[108:109]
	v_mul_f64_e32 v[108:109], v[140:141], v[108:109]
	scratch_load_b128 v[102:105], off, off offset:368
	v_add_f64_e32 v[4:5], v[4:5], v[146:147]
	v_add_f64_e32 v[8:9], v[8:9], v[150:151]
	s_wait_loadcnt_dscnt 0xb00
	v_mul_f64_e32 v[150:151], v[94:95], v[112:113]
	v_mul_f64_e32 v[112:113], v[96:97], v[112:113]
	ds_load_b128 v[146:149], v2 offset:832
	v_fmac_f64_e32 v[152:153], v[140:141], v[106:107]
	v_fma_f64 v[138:139], v[138:139], v[106:107], -v[108:109]
	scratch_load_b128 v[106:109], off, off offset:384
	v_add_f64_e32 v[4:5], v[4:5], v[154:155]
	v_add_f64_e32 v[8:9], v[8:9], v[156:157]
	v_fmac_f64_e32 v[150:151], v[96:97], v[110:111]
	v_fma_f64 v[156:157], v[94:95], v[110:111], -v[112:113]
	ds_load_b128 v[94:97], v2 offset:848
	s_wait_loadcnt_dscnt 0xb01
	v_mul_f64_e32 v[154:155], v[146:147], v[116:117]
	v_mul_f64_e32 v[116:117], v[148:149], v[116:117]
	scratch_load_b128 v[110:113], off, off offset:400
	v_add_f64_e32 v[4:5], v[4:5], v[138:139]
	v_add_f64_e32 v[8:9], v[8:9], v[152:153]
	s_wait_loadcnt_dscnt 0xb00
	v_mul_f64_e32 v[152:153], v[94:95], v[120:121]
	v_mul_f64_e32 v[120:121], v[96:97], v[120:121]
	ds_load_b128 v[138:141], v2 offset:864
	;; [unrolled: 18-line block ×3, first 2 shown]
	v_fmac_f64_e32 v[150:151], v[140:141], v[122:123]
	v_fma_f64 v[138:139], v[138:139], v[122:123], -v[124:125]
	scratch_load_b128 v[122:125], off, off offset:448
	v_add_f64_e32 v[4:5], v[4:5], v[156:157]
	v_add_f64_e32 v[8:9], v[8:9], v[152:153]
	v_fmac_f64_e32 v[154:155], v[96:97], v[130:131]
	v_fma_f64 v[156:157], v[94:95], v[130:131], -v[132:133]
	ds_load_b128 v[94:97], v2 offset:912
	s_wait_loadcnt_dscnt 0x901
	v_mul_f64_e32 v[152:153], v[146:147], v[12:13]
	v_mul_f64_e32 v[12:13], v[148:149], v[12:13]
	scratch_load_b128 v[130:133], off, off offset:464
	v_add_f64_e32 v[4:5], v[4:5], v[138:139]
	v_add_f64_e32 v[8:9], v[8:9], v[150:151]
	s_wait_dscnt 0x0
	v_mul_f64_e32 v[150:151], v[94:95], v[144:145]
	v_mul_f64_e32 v[144:145], v[96:97], v[144:145]
	ds_load_b128 v[138:141], v2 offset:928
	v_fmac_f64_e32 v[152:153], v[148:149], v[10:11]
	v_fma_f64 v[12:13], v[146:147], v[10:11], -v[12:13]
	v_add_f64_e32 v[4:5], v[4:5], v[156:157]
	v_add_f64_e32 v[146:147], v[8:9], v[154:155]
	scratch_load_b128 v[8:11], off, off offset:480
	v_fmac_f64_e32 v[150:151], v[96:97], v[142:143]
	v_fma_f64 v[96:97], v[94:95], v[142:143], -v[144:145]
	scratch_load_b128 v[142:145], off, off offset:496
	v_add_f64_e32 v[4:5], v[4:5], v[12:13]
	v_add_f64_e32 v[12:13], v[146:147], v[152:153]
	ds_load_b128 v[146:149], v2 offset:960
	s_wait_loadcnt_dscnt 0xb01
	v_mul_f64_e32 v[154:155], v[138:139], v[92:93]
	v_mul_f64_e32 v[156:157], v[140:141], v[92:93]
	ds_load_b128 v[92:95], v2 offset:944
	s_wait_loadcnt_dscnt 0xa00
	v_mul_f64_e32 v[152:153], v[92:93], v[128:129]
	v_mul_f64_e32 v[128:129], v[94:95], v[128:129]
	v_add_f64_e32 v[4:5], v[4:5], v[96:97]
	v_add_f64_e32 v[12:13], v[12:13], v[150:151]
	s_wait_loadcnt 0x9
	v_mul_f64_e32 v[150:151], v[146:147], v[100:101]
	v_fmac_f64_e32 v[154:155], v[140:141], v[90:91]
	v_fma_f64 v[90:91], v[138:139], v[90:91], -v[156:157]
	scratch_load_b128 v[138:141], off, off offset:512
	v_mul_f64_e32 v[100:101], v[148:149], v[100:101]
	v_fmac_f64_e32 v[152:153], v[94:95], v[126:127]
	v_fma_f64 v[156:157], v[92:93], v[126:127], -v[128:129]
	scratch_load_b128 v[94:97], off, off offset:528
	ds_load_b128 v[126:129], v2 offset:992
	v_fmac_f64_e32 v[150:151], v[148:149], v[98:99]
	v_add_f64_e32 v[12:13], v[12:13], v[154:155]
	v_add_f64_e32 v[4:5], v[4:5], v[90:91]
	ds_load_b128 v[90:93], v2 offset:976
	v_fma_f64 v[146:147], v[146:147], v[98:99], -v[100:101]
	scratch_load_b128 v[98:101], off, off offset:544
	s_wait_loadcnt_dscnt 0xb00
	v_mul_f64_e32 v[154:155], v[90:91], v[104:105]
	v_mul_f64_e32 v[104:105], v[92:93], v[104:105]
	v_add_f64_e32 v[12:13], v[12:13], v[152:153]
	v_add_f64_e32 v[4:5], v[4:5], v[156:157]
	s_wait_loadcnt 0xa
	v_mul_f64_e32 v[152:153], v[126:127], v[108:109]
	v_mul_f64_e32 v[108:109], v[128:129], v[108:109]
	v_fmac_f64_e32 v[154:155], v[92:93], v[102:103]
	v_fma_f64 v[156:157], v[90:91], v[102:103], -v[104:105]
	ds_load_b128 v[90:93], v2 offset:1008
	scratch_load_b128 v[102:105], off, off offset:560
	v_add_f64_e32 v[12:13], v[12:13], v[150:151]
	v_add_f64_e32 v[4:5], v[4:5], v[146:147]
	ds_load_b128 v[146:149], v2 offset:1024
	v_fmac_f64_e32 v[152:153], v[128:129], v[106:107]
	v_fma_f64 v[126:127], v[126:127], v[106:107], -v[108:109]
	scratch_load_b128 v[106:109], off, off offset:576
	s_wait_loadcnt_dscnt 0xb01
	v_mul_f64_e32 v[150:151], v[90:91], v[112:113]
	v_mul_f64_e32 v[112:113], v[92:93], v[112:113]
	v_add_f64_e32 v[12:13], v[12:13], v[154:155]
	v_add_f64_e32 v[4:5], v[4:5], v[156:157]
	s_wait_loadcnt_dscnt 0xa00
	v_mul_f64_e32 v[154:155], v[146:147], v[116:117]
	v_mul_f64_e32 v[116:117], v[148:149], v[116:117]
	v_fmac_f64_e32 v[150:151], v[92:93], v[110:111]
	v_fma_f64 v[156:157], v[90:91], v[110:111], -v[112:113]
	ds_load_b128 v[90:93], v2 offset:1040
	scratch_load_b128 v[110:113], off, off offset:592
	v_add_f64_e32 v[12:13], v[12:13], v[152:153]
	v_add_f64_e32 v[4:5], v[4:5], v[126:127]
	ds_load_b128 v[126:129], v2 offset:1056
	s_wait_loadcnt_dscnt 0xa01
	v_mul_f64_e32 v[152:153], v[90:91], v[120:121]
	v_mul_f64_e32 v[120:121], v[92:93], v[120:121]
	v_fmac_f64_e32 v[154:155], v[148:149], v[114:115]
	v_fma_f64 v[114:115], v[146:147], v[114:115], -v[116:117]
	s_wait_loadcnt_dscnt 0x900
	v_mul_f64_e32 v[146:147], v[126:127], v[124:125]
	v_mul_f64_e32 v[124:125], v[128:129], v[124:125]
	v_add_f64_e32 v[12:13], v[12:13], v[150:151]
	v_add_f64_e32 v[4:5], v[4:5], v[156:157]
	v_fmac_f64_e32 v[152:153], v[92:93], v[118:119]
	v_fma_f64 v[118:119], v[90:91], v[118:119], -v[120:121]
	v_fmac_f64_e32 v[146:147], v[128:129], v[122:123]
	v_fma_f64 v[122:123], v[126:127], v[122:123], -v[124:125]
	v_add_f64_e32 v[12:13], v[12:13], v[154:155]
	v_add_f64_e32 v[4:5], v[4:5], v[114:115]
	ds_load_b128 v[90:93], v2 offset:1072
	ds_load_b128 v[114:117], v2 offset:1088
	s_wait_loadcnt_dscnt 0x801
	v_mul_f64_e32 v[120:121], v[90:91], v[132:133]
	v_mul_f64_e32 v[132:133], v[92:93], v[132:133]
	s_wait_loadcnt_dscnt 0x700
	v_mul_f64_e32 v[124:125], v[116:117], v[10:11]
	v_add_f64_e32 v[12:13], v[12:13], v[152:153]
	v_add_f64_e32 v[4:5], v[4:5], v[118:119]
	v_mul_f64_e32 v[118:119], v[114:115], v[10:11]
	v_fmac_f64_e32 v[120:121], v[92:93], v[130:131]
	v_fma_f64 v[126:127], v[90:91], v[130:131], -v[132:133]
	s_delay_alu instid0(VALU_DEP_4)
	v_add_f64_e32 v[4:5], v[4:5], v[122:123]
	v_add_f64_e32 v[122:123], v[12:13], v[146:147]
	ds_load_b128 v[10:13], v2 offset:1104
	ds_load_b128 v[90:93], v2 offset:1120
	v_fmac_f64_e32 v[118:119], v[116:117], v[8:9]
	v_fma_f64 v[8:9], v[114:115], v[8:9], -v[124:125]
	s_wait_loadcnt_dscnt 0x601
	v_mul_f64_e32 v[128:129], v[10:11], v[144:145]
	v_mul_f64_e32 v[130:131], v[12:13], v[144:145]
	v_add_f64_e32 v[4:5], v[4:5], v[126:127]
	v_add_f64_e32 v[114:115], v[122:123], v[120:121]
	s_wait_loadcnt_dscnt 0x500
	v_mul_f64_e32 v[120:121], v[90:91], v[140:141]
	v_mul_f64_e32 v[122:123], v[92:93], v[140:141]
	v_fmac_f64_e32 v[128:129], v[12:13], v[142:143]
	v_fma_f64 v[12:13], v[10:11], v[142:143], -v[130:131]
	v_add_f64_e32 v[4:5], v[4:5], v[8:9]
	v_add_f64_e32 v[118:119], v[114:115], v[118:119]
	ds_load_b128 v[8:11], v2 offset:1136
	ds_load_b128 v[114:117], v2 offset:1152
	v_fmac_f64_e32 v[120:121], v[92:93], v[138:139]
	v_fma_f64 v[90:91], v[90:91], v[138:139], -v[122:123]
	s_wait_loadcnt_dscnt 0x401
	v_mul_f64_e32 v[124:125], v[8:9], v[96:97]
	v_mul_f64_e32 v[96:97], v[10:11], v[96:97]
	v_add_f64_e32 v[4:5], v[4:5], v[12:13]
	v_add_f64_e32 v[12:13], v[118:119], v[128:129]
	s_wait_loadcnt_dscnt 0x300
	v_mul_f64_e32 v[118:119], v[114:115], v[100:101]
	v_mul_f64_e32 v[100:101], v[116:117], v[100:101]
	v_fmac_f64_e32 v[124:125], v[10:11], v[94:95]
	v_fma_f64 v[94:95], v[8:9], v[94:95], -v[96:97]
	v_add_f64_e32 v[4:5], v[4:5], v[90:91]
	v_add_f64_e32 v[12:13], v[12:13], v[120:121]
	ds_load_b128 v[8:11], v2 offset:1168
	ds_load_b128 v[90:93], v2 offset:1184
	v_fmac_f64_e32 v[118:119], v[116:117], v[98:99]
	v_fma_f64 v[98:99], v[114:115], v[98:99], -v[100:101]
	s_wait_loadcnt_dscnt 0x201
	v_mul_f64_e32 v[96:97], v[8:9], v[104:105]
	v_mul_f64_e32 v[104:105], v[10:11], v[104:105]
	s_wait_loadcnt_dscnt 0x100
	v_mul_f64_e32 v[100:101], v[92:93], v[108:109]
	v_add_f64_e32 v[4:5], v[4:5], v[94:95]
	v_add_f64_e32 v[12:13], v[12:13], v[124:125]
	v_mul_f64_e32 v[94:95], v[90:91], v[108:109]
	v_fmac_f64_e32 v[96:97], v[10:11], v[102:103]
	v_fma_f64 v[102:103], v[8:9], v[102:103], -v[104:105]
	ds_load_b128 v[8:11], v2 offset:1200
	v_fma_f64 v[90:91], v[90:91], v[106:107], -v[100:101]
	v_add_f64_e32 v[4:5], v[4:5], v[98:99]
	v_add_f64_e32 v[12:13], v[12:13], v[118:119]
	v_fmac_f64_e32 v[94:95], v[92:93], v[106:107]
	s_wait_loadcnt_dscnt 0x0
	v_mul_f64_e32 v[98:99], v[8:9], v[112:113]
	v_mul_f64_e32 v[104:105], v[10:11], v[112:113]
	v_add_f64_e32 v[4:5], v[4:5], v[102:103]
	v_add_f64_e32 v[12:13], v[12:13], v[96:97]
	s_delay_alu instid0(VALU_DEP_4) | instskip(NEXT) | instid1(VALU_DEP_4)
	v_fmac_f64_e32 v[98:99], v[10:11], v[110:111]
	v_fma_f64 v[8:9], v[8:9], v[110:111], -v[104:105]
	s_delay_alu instid0(VALU_DEP_4) | instskip(NEXT) | instid1(VALU_DEP_4)
	v_add_f64_e32 v[4:5], v[4:5], v[90:91]
	v_add_f64_e32 v[10:11], v[12:13], v[94:95]
	s_delay_alu instid0(VALU_DEP_2) | instskip(NEXT) | instid1(VALU_DEP_2)
	v_add_f64_e32 v[4:5], v[4:5], v[8:9]
	v_add_f64_e32 v[10:11], v[10:11], v[98:99]
	s_delay_alu instid0(VALU_DEP_2) | instskip(NEXT) | instid1(VALU_DEP_2)
	v_add_f64_e64 v[8:9], v[134:135], -v[4:5]
	v_add_f64_e64 v[10:11], v[136:137], -v[10:11]
	scratch_store_b128 off, v[8:11], off offset:96
	s_wait_xcnt 0x0
	v_cmpx_lt_u32_e32 5, v1
	s_cbranch_execz .LBB101_231
; %bb.230:
	scratch_load_b128 v[8:11], off, s49
	v_dual_mov_b32 v3, v2 :: v_dual_mov_b32 v4, v2
	v_mov_b32_e32 v5, v2
	scratch_store_b128 off, v[2:5], off offset:80
	s_wait_loadcnt 0x0
	ds_store_b128 v6, v[8:11]
.LBB101_231:
	s_wait_xcnt 0x0
	s_or_b32 exec_lo, exec_lo, s2
	s_wait_storecnt_dscnt 0x0
	s_barrier_signal -1
	s_barrier_wait -1
	s_clause 0x9
	scratch_load_b128 v[8:11], off, off offset:96
	scratch_load_b128 v[90:93], off, off offset:112
	;; [unrolled: 1-line block ×10, first 2 shown]
	ds_load_b128 v[126:129], v2 offset:704
	ds_load_b128 v[134:137], v2 offset:720
	s_clause 0x1
	scratch_load_b128 v[130:133], off, off offset:256
	scratch_load_b128 v[138:141], off, off offset:80
	s_mov_b32 s2, exec_lo
	s_wait_loadcnt_dscnt 0xb01
	v_mul_f64_e32 v[4:5], v[128:129], v[10:11]
	v_mul_f64_e32 v[150:151], v[126:127], v[10:11]
	scratch_load_b128 v[10:13], off, off offset:272
	s_wait_loadcnt_dscnt 0xb00
	v_mul_f64_e32 v[152:153], v[134:135], v[92:93]
	v_mul_f64_e32 v[92:93], v[136:137], v[92:93]
	v_fma_f64 v[4:5], v[126:127], v[8:9], -v[4:5]
	v_fmac_f64_e32 v[150:151], v[128:129], v[8:9]
	ds_load_b128 v[126:129], v2 offset:736
	ds_load_b128 v[142:145], v2 offset:752
	scratch_load_b128 v[146:149], off, off offset:288
	v_fmac_f64_e32 v[152:153], v[136:137], v[90:91]
	v_fma_f64 v[134:135], v[134:135], v[90:91], -v[92:93]
	scratch_load_b128 v[90:93], off, off offset:304
	s_wait_loadcnt_dscnt 0xc01
	v_mul_f64_e32 v[8:9], v[126:127], v[96:97]
	v_mul_f64_e32 v[96:97], v[128:129], v[96:97]
	v_add_f64_e32 v[4:5], 0, v[4:5]
	v_add_f64_e32 v[136:137], 0, v[150:151]
	s_wait_loadcnt_dscnt 0xb00
	v_mul_f64_e32 v[150:151], v[142:143], v[100:101]
	v_mul_f64_e32 v[100:101], v[144:145], v[100:101]
	v_fmac_f64_e32 v[8:9], v[128:129], v[94:95]
	v_fma_f64 v[154:155], v[126:127], v[94:95], -v[96:97]
	ds_load_b128 v[94:97], v2 offset:768
	ds_load_b128 v[126:129], v2 offset:784
	v_add_f64_e32 v[4:5], v[4:5], v[134:135]
	v_add_f64_e32 v[152:153], v[136:137], v[152:153]
	scratch_load_b128 v[134:137], off, off offset:320
	v_fmac_f64_e32 v[150:151], v[144:145], v[98:99]
	v_fma_f64 v[142:143], v[142:143], v[98:99], -v[100:101]
	scratch_load_b128 v[98:101], off, off offset:336
	s_wait_loadcnt_dscnt 0xc01
	v_mul_f64_e32 v[156:157], v[94:95], v[104:105]
	v_mul_f64_e32 v[104:105], v[96:97], v[104:105]
	v_add_f64_e32 v[4:5], v[4:5], v[154:155]
	v_add_f64_e32 v[8:9], v[152:153], v[8:9]
	s_wait_loadcnt_dscnt 0xb00
	v_mul_f64_e32 v[152:153], v[126:127], v[108:109]
	v_mul_f64_e32 v[108:109], v[128:129], v[108:109]
	v_fmac_f64_e32 v[156:157], v[96:97], v[102:103]
	v_fma_f64 v[154:155], v[94:95], v[102:103], -v[104:105]
	ds_load_b128 v[94:97], v2 offset:800
	ds_load_b128 v[102:105], v2 offset:816
	v_add_f64_e32 v[4:5], v[4:5], v[142:143]
	v_add_f64_e32 v[8:9], v[8:9], v[150:151]
	scratch_load_b128 v[142:145], off, off offset:352
	s_wait_loadcnt_dscnt 0xb01
	v_mul_f64_e32 v[150:151], v[94:95], v[112:113]
	v_mul_f64_e32 v[112:113], v[96:97], v[112:113]
	v_fmac_f64_e32 v[152:153], v[128:129], v[106:107]
	v_fma_f64 v[126:127], v[126:127], v[106:107], -v[108:109]
	scratch_load_b128 v[106:109], off, off offset:368
	v_add_f64_e32 v[4:5], v[4:5], v[154:155]
	v_add_f64_e32 v[8:9], v[8:9], v[156:157]
	s_wait_loadcnt_dscnt 0xb00
	v_mul_f64_e32 v[154:155], v[102:103], v[116:117]
	v_mul_f64_e32 v[116:117], v[104:105], v[116:117]
	v_fmac_f64_e32 v[150:151], v[96:97], v[110:111]
	v_fma_f64 v[156:157], v[94:95], v[110:111], -v[112:113]
	ds_load_b128 v[94:97], v2 offset:832
	ds_load_b128 v[110:113], v2 offset:848
	v_add_f64_e32 v[4:5], v[4:5], v[126:127]
	v_add_f64_e32 v[8:9], v[8:9], v[152:153]
	scratch_load_b128 v[126:129], off, off offset:384
	s_wait_loadcnt_dscnt 0xb01
	v_mul_f64_e32 v[152:153], v[94:95], v[120:121]
	v_mul_f64_e32 v[120:121], v[96:97], v[120:121]
	v_fmac_f64_e32 v[154:155], v[104:105], v[114:115]
	v_fma_f64 v[114:115], v[102:103], v[114:115], -v[116:117]
	scratch_load_b128 v[102:105], off, off offset:400
	v_add_f64_e32 v[4:5], v[4:5], v[156:157]
	v_add_f64_e32 v[8:9], v[8:9], v[150:151]
	s_wait_loadcnt_dscnt 0xb00
	v_mul_f64_e32 v[150:151], v[110:111], v[124:125]
	v_mul_f64_e32 v[124:125], v[112:113], v[124:125]
	v_fmac_f64_e32 v[152:153], v[96:97], v[118:119]
	v_fma_f64 v[156:157], v[94:95], v[118:119], -v[120:121]
	v_add_f64_e32 v[4:5], v[4:5], v[114:115]
	v_add_f64_e32 v[8:9], v[8:9], v[154:155]
	ds_load_b128 v[94:97], v2 offset:864
	ds_load_b128 v[114:117], v2 offset:880
	scratch_load_b128 v[118:121], off, off offset:416
	v_fmac_f64_e32 v[150:151], v[112:113], v[122:123]
	v_fma_f64 v[122:123], v[110:111], v[122:123], -v[124:125]
	scratch_load_b128 v[110:113], off, off offset:432
	s_wait_loadcnt_dscnt 0xc01
	v_mul_f64_e32 v[154:155], v[94:95], v[132:133]
	v_mul_f64_e32 v[132:133], v[96:97], v[132:133]
	v_add_f64_e32 v[4:5], v[4:5], v[156:157]
	v_add_f64_e32 v[8:9], v[8:9], v[152:153]
	s_wait_loadcnt_dscnt 0xa00
	v_mul_f64_e32 v[152:153], v[114:115], v[12:13]
	v_mul_f64_e32 v[12:13], v[116:117], v[12:13]
	v_fmac_f64_e32 v[154:155], v[96:97], v[130:131]
	v_fma_f64 v[156:157], v[94:95], v[130:131], -v[132:133]
	v_add_f64_e32 v[4:5], v[4:5], v[122:123]
	v_add_f64_e32 v[8:9], v[8:9], v[150:151]
	ds_load_b128 v[94:97], v2 offset:896
	ds_load_b128 v[122:125], v2 offset:912
	scratch_load_b128 v[130:133], off, off offset:448
	v_fmac_f64_e32 v[152:153], v[116:117], v[10:11]
	v_fma_f64 v[12:13], v[114:115], v[10:11], -v[12:13]
	s_wait_loadcnt_dscnt 0xa01
	v_mul_f64_e32 v[150:151], v[94:95], v[148:149]
	v_mul_f64_e32 v[148:149], v[96:97], v[148:149]
	v_add_f64_e32 v[4:5], v[4:5], v[156:157]
	v_add_f64_e32 v[114:115], v[8:9], v[154:155]
	scratch_load_b128 v[8:11], off, off offset:464
	s_wait_loadcnt_dscnt 0xa00
	v_mul_f64_e32 v[154:155], v[122:123], v[92:93]
	v_mul_f64_e32 v[156:157], v[124:125], v[92:93]
	v_fmac_f64_e32 v[150:151], v[96:97], v[146:147]
	v_fma_f64 v[96:97], v[94:95], v[146:147], -v[148:149]
	v_add_f64_e32 v[4:5], v[4:5], v[12:13]
	v_add_f64_e32 v[12:13], v[114:115], v[152:153]
	ds_load_b128 v[92:95], v2 offset:928
	ds_load_b128 v[114:117], v2 offset:944
	scratch_load_b128 v[146:149], off, off offset:480
	v_fmac_f64_e32 v[154:155], v[124:125], v[90:91]
	v_fma_f64 v[90:91], v[122:123], v[90:91], -v[156:157]
	scratch_load_b128 v[122:125], off, off offset:496
	s_wait_loadcnt_dscnt 0xb01
	v_mul_f64_e32 v[152:153], v[92:93], v[136:137]
	v_mul_f64_e32 v[136:137], v[94:95], v[136:137]
	v_add_f64_e32 v[4:5], v[4:5], v[96:97]
	v_add_f64_e32 v[12:13], v[12:13], v[150:151]
	s_wait_loadcnt_dscnt 0xa00
	v_mul_f64_e32 v[150:151], v[114:115], v[100:101]
	v_mul_f64_e32 v[100:101], v[116:117], v[100:101]
	v_fmac_f64_e32 v[152:153], v[94:95], v[134:135]
	v_fma_f64 v[156:157], v[92:93], v[134:135], -v[136:137]
	v_add_f64_e32 v[4:5], v[4:5], v[90:91]
	v_add_f64_e32 v[12:13], v[12:13], v[154:155]
	ds_load_b128 v[90:93], v2 offset:960
	ds_load_b128 v[94:97], v2 offset:976
	scratch_load_b128 v[134:137], off, off offset:512
	v_fmac_f64_e32 v[150:151], v[116:117], v[98:99]
	v_fma_f64 v[114:115], v[114:115], v[98:99], -v[100:101]
	scratch_load_b128 v[98:101], off, off offset:528
	s_wait_loadcnt_dscnt 0xb01
	v_mul_f64_e32 v[154:155], v[90:91], v[144:145]
	v_mul_f64_e32 v[144:145], v[92:93], v[144:145]
	v_add_f64_e32 v[4:5], v[4:5], v[156:157]
	v_add_f64_e32 v[12:13], v[12:13], v[152:153]
	s_wait_loadcnt_dscnt 0xa00
	v_mul_f64_e32 v[152:153], v[94:95], v[108:109]
	v_mul_f64_e32 v[108:109], v[96:97], v[108:109]
	v_fmac_f64_e32 v[154:155], v[92:93], v[142:143]
	v_fma_f64 v[156:157], v[90:91], v[142:143], -v[144:145]
	v_add_f64_e32 v[4:5], v[4:5], v[114:115]
	v_add_f64_e32 v[12:13], v[12:13], v[150:151]
	ds_load_b128 v[90:93], v2 offset:992
	ds_load_b128 v[114:117], v2 offset:1008
	scratch_load_b128 v[142:145], off, off offset:544
	v_fmac_f64_e32 v[152:153], v[96:97], v[106:107]
	v_fma_f64 v[106:107], v[94:95], v[106:107], -v[108:109]
	scratch_load_b128 v[94:97], off, off offset:560
	s_wait_loadcnt_dscnt 0xb01
	v_mul_f64_e32 v[150:151], v[90:91], v[128:129]
	v_mul_f64_e32 v[128:129], v[92:93], v[128:129]
	s_wait_loadcnt_dscnt 0xa00
	v_mul_f64_e32 v[108:109], v[114:115], v[104:105]
	v_add_f64_e32 v[4:5], v[4:5], v[156:157]
	v_add_f64_e32 v[12:13], v[12:13], v[154:155]
	v_mul_f64_e32 v[154:155], v[116:117], v[104:105]
	v_fmac_f64_e32 v[150:151], v[92:93], v[126:127]
	v_fma_f64 v[156:157], v[90:91], v[126:127], -v[128:129]
	v_fmac_f64_e32 v[108:109], v[116:117], v[102:103]
	v_add_f64_e32 v[4:5], v[4:5], v[106:107]
	v_add_f64_e32 v[12:13], v[12:13], v[152:153]
	ds_load_b128 v[90:93], v2 offset:1024
	ds_load_b128 v[104:107], v2 offset:1040
	scratch_load_b128 v[126:129], off, off offset:576
	v_fma_f64 v[102:103], v[114:115], v[102:103], -v[154:155]
	scratch_load_b128 v[114:117], off, off offset:592
	s_wait_loadcnt_dscnt 0xb01
	v_mul_f64_e32 v[152:153], v[90:91], v[120:121]
	v_mul_f64_e32 v[120:121], v[92:93], v[120:121]
	v_add_f64_e32 v[4:5], v[4:5], v[156:157]
	v_add_f64_e32 v[12:13], v[12:13], v[150:151]
	s_wait_loadcnt_dscnt 0xa00
	v_mul_f64_e32 v[150:151], v[104:105], v[112:113]
	v_mul_f64_e32 v[112:113], v[106:107], v[112:113]
	v_fmac_f64_e32 v[152:153], v[92:93], v[118:119]
	v_fma_f64 v[154:155], v[90:91], v[118:119], -v[120:121]
	ds_load_b128 v[90:93], v2 offset:1056
	ds_load_b128 v[118:121], v2 offset:1072
	v_add_f64_e32 v[4:5], v[4:5], v[102:103]
	v_add_f64_e32 v[12:13], v[12:13], v[108:109]
	v_fmac_f64_e32 v[150:151], v[106:107], v[110:111]
	v_fma_f64 v[104:105], v[104:105], v[110:111], -v[112:113]
	s_wait_loadcnt_dscnt 0x901
	v_mul_f64_e32 v[102:103], v[90:91], v[132:133]
	v_mul_f64_e32 v[108:109], v[92:93], v[132:133]
	v_add_f64_e32 v[4:5], v[4:5], v[154:155]
	v_add_f64_e32 v[12:13], v[12:13], v[152:153]
	s_wait_loadcnt_dscnt 0x800
	v_mul_f64_e32 v[106:107], v[118:119], v[10:11]
	v_mul_f64_e32 v[110:111], v[120:121], v[10:11]
	v_fmac_f64_e32 v[102:103], v[92:93], v[130:131]
	v_fma_f64 v[108:109], v[90:91], v[130:131], -v[108:109]
	v_add_f64_e32 v[4:5], v[4:5], v[104:105]
	v_add_f64_e32 v[104:105], v[12:13], v[150:151]
	ds_load_b128 v[10:13], v2 offset:1088
	ds_load_b128 v[90:93], v2 offset:1104
	v_fmac_f64_e32 v[106:107], v[120:121], v[8:9]
	v_fma_f64 v[8:9], v[118:119], v[8:9], -v[110:111]
	s_wait_loadcnt_dscnt 0x701
	v_mul_f64_e32 v[112:113], v[10:11], v[148:149]
	v_mul_f64_e32 v[130:131], v[12:13], v[148:149]
	s_wait_loadcnt_dscnt 0x600
	v_mul_f64_e32 v[110:111], v[92:93], v[124:125]
	v_add_f64_e32 v[4:5], v[4:5], v[108:109]
	v_add_f64_e32 v[102:103], v[104:105], v[102:103]
	v_mul_f64_e32 v[108:109], v[90:91], v[124:125]
	v_fmac_f64_e32 v[112:113], v[12:13], v[146:147]
	v_fma_f64 v[12:13], v[10:11], v[146:147], -v[130:131]
	v_fma_f64 v[90:91], v[90:91], v[122:123], -v[110:111]
	v_add_f64_e32 v[4:5], v[4:5], v[8:9]
	v_add_f64_e32 v[106:107], v[102:103], v[106:107]
	ds_load_b128 v[8:11], v2 offset:1120
	ds_load_b128 v[102:105], v2 offset:1136
	v_fmac_f64_e32 v[108:109], v[92:93], v[122:123]
	s_wait_loadcnt_dscnt 0x501
	v_mul_f64_e32 v[118:119], v[8:9], v[136:137]
	v_mul_f64_e32 v[120:121], v[10:11], v[136:137]
	v_add_f64_e32 v[4:5], v[4:5], v[12:13]
	v_add_f64_e32 v[12:13], v[106:107], v[112:113]
	s_wait_loadcnt_dscnt 0x400
	v_mul_f64_e32 v[106:107], v[102:103], v[100:101]
	v_mul_f64_e32 v[100:101], v[104:105], v[100:101]
	v_fmac_f64_e32 v[118:119], v[10:11], v[134:135]
	v_fma_f64 v[110:111], v[8:9], v[134:135], -v[120:121]
	v_add_f64_e32 v[4:5], v[4:5], v[90:91]
	v_add_f64_e32 v[12:13], v[12:13], v[108:109]
	ds_load_b128 v[8:11], v2 offset:1152
	ds_load_b128 v[90:93], v2 offset:1168
	v_fmac_f64_e32 v[106:107], v[104:105], v[98:99]
	v_fma_f64 v[98:99], v[102:103], v[98:99], -v[100:101]
	s_wait_loadcnt_dscnt 0x301
	v_mul_f64_e32 v[108:109], v[8:9], v[144:145]
	v_mul_f64_e32 v[112:113], v[10:11], v[144:145]
	s_wait_loadcnt_dscnt 0x200
	v_mul_f64_e32 v[100:101], v[90:91], v[96:97]
	v_mul_f64_e32 v[96:97], v[92:93], v[96:97]
	v_add_f64_e32 v[4:5], v[4:5], v[110:111]
	v_add_f64_e32 v[12:13], v[12:13], v[118:119]
	v_fmac_f64_e32 v[108:109], v[10:11], v[142:143]
	v_fma_f64 v[102:103], v[8:9], v[142:143], -v[112:113]
	v_fmac_f64_e32 v[100:101], v[92:93], v[94:95]
	v_fma_f64 v[90:91], v[90:91], v[94:95], -v[96:97]
	v_add_f64_e32 v[98:99], v[4:5], v[98:99]
	v_add_f64_e32 v[12:13], v[12:13], v[106:107]
	ds_load_b128 v[8:11], v2 offset:1184
	ds_load_b128 v[2:5], v2 offset:1200
	s_wait_loadcnt_dscnt 0x101
	v_mul_f64_e32 v[104:105], v[8:9], v[128:129]
	v_mul_f64_e32 v[106:107], v[10:11], v[128:129]
	s_wait_loadcnt_dscnt 0x0
	v_mul_f64_e32 v[94:95], v[2:3], v[116:117]
	v_mul_f64_e32 v[96:97], v[4:5], v[116:117]
	v_add_f64_e32 v[92:93], v[98:99], v[102:103]
	v_add_f64_e32 v[12:13], v[12:13], v[108:109]
	v_fmac_f64_e32 v[104:105], v[10:11], v[126:127]
	v_fma_f64 v[8:9], v[8:9], v[126:127], -v[106:107]
	v_fmac_f64_e32 v[94:95], v[4:5], v[114:115]
	v_fma_f64 v[2:3], v[2:3], v[114:115], -v[96:97]
	v_add_f64_e32 v[10:11], v[92:93], v[90:91]
	v_add_f64_e32 v[12:13], v[12:13], v[100:101]
	s_delay_alu instid0(VALU_DEP_2) | instskip(NEXT) | instid1(VALU_DEP_2)
	v_add_f64_e32 v[4:5], v[10:11], v[8:9]
	v_add_f64_e32 v[8:9], v[12:13], v[104:105]
	s_delay_alu instid0(VALU_DEP_2) | instskip(NEXT) | instid1(VALU_DEP_2)
	;; [unrolled: 3-line block ×3, first 2 shown]
	v_add_f64_e64 v[2:3], v[138:139], -v[2:3]
	v_add_f64_e64 v[4:5], v[140:141], -v[4:5]
	scratch_store_b128 off, v[2:5], off offset:80
	s_wait_xcnt 0x0
	v_cmpx_lt_u32_e32 4, v1
	s_cbranch_execz .LBB101_233
; %bb.232:
	scratch_load_b128 v[2:5], off, s12
	v_mov_b32_e32 v8, 0
	s_delay_alu instid0(VALU_DEP_1)
	v_dual_mov_b32 v9, v8 :: v_dual_mov_b32 v10, v8
	v_mov_b32_e32 v11, v8
	scratch_store_b128 off, v[8:11], off offset:64
	s_wait_loadcnt 0x0
	ds_store_b128 v6, v[2:5]
.LBB101_233:
	s_wait_xcnt 0x0
	s_or_b32 exec_lo, exec_lo, s2
	s_wait_storecnt_dscnt 0x0
	s_barrier_signal -1
	s_barrier_wait -1
	s_clause 0x9
	scratch_load_b128 v[8:11], off, off offset:80
	scratch_load_b128 v[90:93], off, off offset:96
	;; [unrolled: 1-line block ×10, first 2 shown]
	v_mov_b32_e32 v2, 0
	s_mov_b32 s2, exec_lo
	ds_load_b128 v[126:129], v2 offset:688
	s_clause 0x2
	scratch_load_b128 v[130:133], off, off offset:240
	scratch_load_b128 v[134:137], off, off offset:64
	;; [unrolled: 1-line block ×3, first 2 shown]
	s_wait_loadcnt_dscnt 0xc00
	v_mul_f64_e32 v[4:5], v[128:129], v[10:11]
	v_mul_f64_e32 v[150:151], v[126:127], v[10:11]
	ds_load_b128 v[138:141], v2 offset:704
	scratch_load_b128 v[10:13], off, off offset:256
	ds_load_b128 v[146:149], v2 offset:736
	v_fma_f64 v[4:5], v[126:127], v[8:9], -v[4:5]
	v_fmac_f64_e32 v[150:151], v[128:129], v[8:9]
	ds_load_b128 v[126:129], v2 offset:720
	s_wait_loadcnt_dscnt 0xc02
	v_mul_f64_e32 v[152:153], v[138:139], v[92:93]
	v_mul_f64_e32 v[92:93], v[140:141], v[92:93]
	s_wait_loadcnt_dscnt 0xb00
	v_mul_f64_e32 v[8:9], v[126:127], v[96:97]
	v_mul_f64_e32 v[96:97], v[128:129], v[96:97]
	v_add_f64_e32 v[4:5], 0, v[4:5]
	v_fmac_f64_e32 v[152:153], v[140:141], v[90:91]
	v_fma_f64 v[138:139], v[138:139], v[90:91], -v[92:93]
	v_add_f64_e32 v[140:141], 0, v[150:151]
	scratch_load_b128 v[90:93], off, off offset:288
	v_fmac_f64_e32 v[8:9], v[128:129], v[94:95]
	v_fma_f64 v[154:155], v[126:127], v[94:95], -v[96:97]
	ds_load_b128 v[94:97], v2 offset:752
	s_wait_loadcnt 0xb
	v_mul_f64_e32 v[150:151], v[146:147], v[100:101]
	v_mul_f64_e32 v[100:101], v[148:149], v[100:101]
	scratch_load_b128 v[126:129], off, off offset:304
	v_add_f64_e32 v[4:5], v[4:5], v[138:139]
	v_add_f64_e32 v[152:153], v[140:141], v[152:153]
	ds_load_b128 v[138:141], v2 offset:768
	s_wait_loadcnt_dscnt 0xb01
	v_mul_f64_e32 v[156:157], v[94:95], v[104:105]
	v_mul_f64_e32 v[104:105], v[96:97], v[104:105]
	v_fmac_f64_e32 v[150:151], v[148:149], v[98:99]
	v_fma_f64 v[146:147], v[146:147], v[98:99], -v[100:101]
	scratch_load_b128 v[98:101], off, off offset:320
	v_add_f64_e32 v[4:5], v[4:5], v[154:155]
	v_add_f64_e32 v[8:9], v[152:153], v[8:9]
	v_fmac_f64_e32 v[156:157], v[96:97], v[102:103]
	v_fma_f64 v[154:155], v[94:95], v[102:103], -v[104:105]
	ds_load_b128 v[94:97], v2 offset:784
	s_wait_loadcnt_dscnt 0xb01
	v_mul_f64_e32 v[152:153], v[138:139], v[108:109]
	v_mul_f64_e32 v[108:109], v[140:141], v[108:109]
	scratch_load_b128 v[102:105], off, off offset:336
	v_add_f64_e32 v[4:5], v[4:5], v[146:147]
	v_add_f64_e32 v[8:9], v[8:9], v[150:151]
	s_wait_loadcnt_dscnt 0xb00
	v_mul_f64_e32 v[150:151], v[94:95], v[112:113]
	v_mul_f64_e32 v[112:113], v[96:97], v[112:113]
	ds_load_b128 v[146:149], v2 offset:800
	v_fmac_f64_e32 v[152:153], v[140:141], v[106:107]
	v_fma_f64 v[138:139], v[138:139], v[106:107], -v[108:109]
	scratch_load_b128 v[106:109], off, off offset:352
	v_add_f64_e32 v[4:5], v[4:5], v[154:155]
	v_add_f64_e32 v[8:9], v[8:9], v[156:157]
	v_fmac_f64_e32 v[150:151], v[96:97], v[110:111]
	v_fma_f64 v[156:157], v[94:95], v[110:111], -v[112:113]
	ds_load_b128 v[94:97], v2 offset:816
	s_wait_loadcnt_dscnt 0xb01
	v_mul_f64_e32 v[154:155], v[146:147], v[116:117]
	v_mul_f64_e32 v[116:117], v[148:149], v[116:117]
	scratch_load_b128 v[110:113], off, off offset:368
	v_add_f64_e32 v[4:5], v[4:5], v[138:139]
	v_add_f64_e32 v[8:9], v[8:9], v[152:153]
	s_wait_loadcnt_dscnt 0xb00
	v_mul_f64_e32 v[152:153], v[94:95], v[120:121]
	v_mul_f64_e32 v[120:121], v[96:97], v[120:121]
	ds_load_b128 v[138:141], v2 offset:832
	;; [unrolled: 18-line block ×3, first 2 shown]
	v_fmac_f64_e32 v[150:151], v[140:141], v[122:123]
	v_fma_f64 v[138:139], v[138:139], v[122:123], -v[124:125]
	scratch_load_b128 v[122:125], off, off offset:416
	v_add_f64_e32 v[4:5], v[4:5], v[156:157]
	v_add_f64_e32 v[8:9], v[8:9], v[152:153]
	v_fmac_f64_e32 v[154:155], v[96:97], v[130:131]
	v_fma_f64 v[156:157], v[94:95], v[130:131], -v[132:133]
	ds_load_b128 v[94:97], v2 offset:880
	s_wait_loadcnt_dscnt 0x901
	v_mul_f64_e32 v[152:153], v[146:147], v[12:13]
	v_mul_f64_e32 v[12:13], v[148:149], v[12:13]
	scratch_load_b128 v[130:133], off, off offset:432
	v_add_f64_e32 v[4:5], v[4:5], v[138:139]
	v_add_f64_e32 v[8:9], v[8:9], v[150:151]
	s_wait_dscnt 0x0
	v_mul_f64_e32 v[150:151], v[94:95], v[144:145]
	v_mul_f64_e32 v[144:145], v[96:97], v[144:145]
	ds_load_b128 v[138:141], v2 offset:896
	v_fmac_f64_e32 v[152:153], v[148:149], v[10:11]
	v_fma_f64 v[12:13], v[146:147], v[10:11], -v[12:13]
	v_add_f64_e32 v[4:5], v[4:5], v[156:157]
	v_add_f64_e32 v[146:147], v[8:9], v[154:155]
	scratch_load_b128 v[8:11], off, off offset:448
	v_fmac_f64_e32 v[150:151], v[96:97], v[142:143]
	v_fma_f64 v[96:97], v[94:95], v[142:143], -v[144:145]
	scratch_load_b128 v[142:145], off, off offset:464
	v_add_f64_e32 v[4:5], v[4:5], v[12:13]
	v_add_f64_e32 v[12:13], v[146:147], v[152:153]
	ds_load_b128 v[146:149], v2 offset:928
	s_wait_loadcnt_dscnt 0xb01
	v_mul_f64_e32 v[154:155], v[138:139], v[92:93]
	v_mul_f64_e32 v[156:157], v[140:141], v[92:93]
	ds_load_b128 v[92:95], v2 offset:912
	s_wait_loadcnt_dscnt 0xa00
	v_mul_f64_e32 v[152:153], v[92:93], v[128:129]
	v_mul_f64_e32 v[128:129], v[94:95], v[128:129]
	v_add_f64_e32 v[4:5], v[4:5], v[96:97]
	v_add_f64_e32 v[12:13], v[12:13], v[150:151]
	s_wait_loadcnt 0x9
	v_mul_f64_e32 v[150:151], v[146:147], v[100:101]
	v_fmac_f64_e32 v[154:155], v[140:141], v[90:91]
	v_fma_f64 v[90:91], v[138:139], v[90:91], -v[156:157]
	scratch_load_b128 v[138:141], off, off offset:480
	v_mul_f64_e32 v[100:101], v[148:149], v[100:101]
	v_fmac_f64_e32 v[152:153], v[94:95], v[126:127]
	v_fma_f64 v[156:157], v[92:93], v[126:127], -v[128:129]
	scratch_load_b128 v[94:97], off, off offset:496
	ds_load_b128 v[126:129], v2 offset:960
	v_fmac_f64_e32 v[150:151], v[148:149], v[98:99]
	v_add_f64_e32 v[12:13], v[12:13], v[154:155]
	v_add_f64_e32 v[4:5], v[4:5], v[90:91]
	ds_load_b128 v[90:93], v2 offset:944
	v_fma_f64 v[146:147], v[146:147], v[98:99], -v[100:101]
	scratch_load_b128 v[98:101], off, off offset:512
	s_wait_loadcnt_dscnt 0xb00
	v_mul_f64_e32 v[154:155], v[90:91], v[104:105]
	v_mul_f64_e32 v[104:105], v[92:93], v[104:105]
	v_add_f64_e32 v[12:13], v[12:13], v[152:153]
	v_add_f64_e32 v[4:5], v[4:5], v[156:157]
	s_wait_loadcnt 0xa
	v_mul_f64_e32 v[152:153], v[126:127], v[108:109]
	v_mul_f64_e32 v[108:109], v[128:129], v[108:109]
	v_fmac_f64_e32 v[154:155], v[92:93], v[102:103]
	v_fma_f64 v[156:157], v[90:91], v[102:103], -v[104:105]
	ds_load_b128 v[90:93], v2 offset:976
	scratch_load_b128 v[102:105], off, off offset:528
	v_add_f64_e32 v[12:13], v[12:13], v[150:151]
	v_add_f64_e32 v[4:5], v[4:5], v[146:147]
	ds_load_b128 v[146:149], v2 offset:992
	v_fmac_f64_e32 v[152:153], v[128:129], v[106:107]
	v_fma_f64 v[126:127], v[126:127], v[106:107], -v[108:109]
	scratch_load_b128 v[106:109], off, off offset:544
	s_wait_loadcnt_dscnt 0xb01
	v_mul_f64_e32 v[150:151], v[90:91], v[112:113]
	v_mul_f64_e32 v[112:113], v[92:93], v[112:113]
	v_add_f64_e32 v[12:13], v[12:13], v[154:155]
	v_add_f64_e32 v[4:5], v[4:5], v[156:157]
	s_wait_loadcnt_dscnt 0xa00
	v_mul_f64_e32 v[154:155], v[146:147], v[116:117]
	v_mul_f64_e32 v[116:117], v[148:149], v[116:117]
	v_fmac_f64_e32 v[150:151], v[92:93], v[110:111]
	v_fma_f64 v[156:157], v[90:91], v[110:111], -v[112:113]
	ds_load_b128 v[90:93], v2 offset:1008
	scratch_load_b128 v[110:113], off, off offset:560
	v_add_f64_e32 v[12:13], v[12:13], v[152:153]
	v_add_f64_e32 v[4:5], v[4:5], v[126:127]
	ds_load_b128 v[126:129], v2 offset:1024
	s_wait_loadcnt_dscnt 0xa01
	v_mul_f64_e32 v[152:153], v[90:91], v[120:121]
	v_mul_f64_e32 v[120:121], v[92:93], v[120:121]
	v_fmac_f64_e32 v[154:155], v[148:149], v[114:115]
	v_fma_f64 v[146:147], v[146:147], v[114:115], -v[116:117]
	scratch_load_b128 v[114:117], off, off offset:576
	v_add_f64_e32 v[12:13], v[12:13], v[150:151]
	v_add_f64_e32 v[4:5], v[4:5], v[156:157]
	s_wait_loadcnt_dscnt 0xa00
	v_mul_f64_e32 v[150:151], v[126:127], v[124:125]
	v_mul_f64_e32 v[124:125], v[128:129], v[124:125]
	v_fmac_f64_e32 v[152:153], v[92:93], v[118:119]
	v_fma_f64 v[156:157], v[90:91], v[118:119], -v[120:121]
	ds_load_b128 v[90:93], v2 offset:1040
	scratch_load_b128 v[118:121], off, off offset:592
	v_add_f64_e32 v[12:13], v[12:13], v[154:155]
	v_add_f64_e32 v[4:5], v[4:5], v[146:147]
	ds_load_b128 v[146:149], v2 offset:1056
	s_wait_loadcnt_dscnt 0xa01
	v_mul_f64_e32 v[154:155], v[90:91], v[132:133]
	v_mul_f64_e32 v[132:133], v[92:93], v[132:133]
	v_fmac_f64_e32 v[150:151], v[128:129], v[122:123]
	v_fma_f64 v[122:123], v[126:127], v[122:123], -v[124:125]
	s_wait_loadcnt_dscnt 0x900
	v_mul_f64_e32 v[124:125], v[146:147], v[10:11]
	v_add_f64_e32 v[12:13], v[12:13], v[152:153]
	v_add_f64_e32 v[4:5], v[4:5], v[156:157]
	v_mul_f64_e32 v[126:127], v[148:149], v[10:11]
	v_fmac_f64_e32 v[154:155], v[92:93], v[130:131]
	v_fma_f64 v[128:129], v[90:91], v[130:131], -v[132:133]
	v_fmac_f64_e32 v[124:125], v[148:149], v[8:9]
	v_add_f64_e32 v[4:5], v[4:5], v[122:123]
	v_add_f64_e32 v[122:123], v[12:13], v[150:151]
	ds_load_b128 v[10:13], v2 offset:1072
	ds_load_b128 v[90:93], v2 offset:1088
	v_fma_f64 v[8:9], v[146:147], v[8:9], -v[126:127]
	s_wait_loadcnt_dscnt 0x801
	v_mul_f64_e32 v[130:131], v[10:11], v[144:145]
	v_mul_f64_e32 v[132:133], v[12:13], v[144:145]
	v_add_f64_e32 v[4:5], v[4:5], v[128:129]
	v_add_f64_e32 v[122:123], v[122:123], v[154:155]
	s_wait_loadcnt_dscnt 0x700
	v_mul_f64_e32 v[126:127], v[90:91], v[140:141]
	v_mul_f64_e32 v[128:129], v[92:93], v[140:141]
	v_fmac_f64_e32 v[130:131], v[12:13], v[142:143]
	v_fma_f64 v[12:13], v[10:11], v[142:143], -v[132:133]
	v_add_f64_e32 v[4:5], v[4:5], v[8:9]
	v_add_f64_e32 v[132:133], v[122:123], v[124:125]
	ds_load_b128 v[8:11], v2 offset:1104
	ds_load_b128 v[122:125], v2 offset:1120
	v_fmac_f64_e32 v[126:127], v[92:93], v[138:139]
	v_fma_f64 v[90:91], v[90:91], v[138:139], -v[128:129]
	s_wait_loadcnt_dscnt 0x601
	v_mul_f64_e32 v[140:141], v[8:9], v[96:97]
	v_mul_f64_e32 v[96:97], v[10:11], v[96:97]
	s_wait_loadcnt_dscnt 0x500
	v_mul_f64_e32 v[128:129], v[122:123], v[100:101]
	v_mul_f64_e32 v[100:101], v[124:125], v[100:101]
	v_add_f64_e32 v[4:5], v[4:5], v[12:13]
	v_add_f64_e32 v[12:13], v[132:133], v[130:131]
	v_fmac_f64_e32 v[140:141], v[10:11], v[94:95]
	v_fma_f64 v[94:95], v[8:9], v[94:95], -v[96:97]
	v_fmac_f64_e32 v[128:129], v[124:125], v[98:99]
	v_fma_f64 v[98:99], v[122:123], v[98:99], -v[100:101]
	v_add_f64_e32 v[4:5], v[4:5], v[90:91]
	v_add_f64_e32 v[12:13], v[12:13], v[126:127]
	ds_load_b128 v[8:11], v2 offset:1136
	ds_load_b128 v[90:93], v2 offset:1152
	s_wait_loadcnt_dscnt 0x401
	v_mul_f64_e32 v[126:127], v[8:9], v[104:105]
	v_mul_f64_e32 v[96:97], v[10:11], v[104:105]
	s_wait_loadcnt_dscnt 0x300
	v_mul_f64_e32 v[100:101], v[90:91], v[108:109]
	v_mul_f64_e32 v[104:105], v[92:93], v[108:109]
	v_add_f64_e32 v[4:5], v[4:5], v[94:95]
	v_add_f64_e32 v[12:13], v[12:13], v[140:141]
	v_fmac_f64_e32 v[126:127], v[10:11], v[102:103]
	v_fma_f64 v[102:103], v[8:9], v[102:103], -v[96:97]
	ds_load_b128 v[8:11], v2 offset:1168
	ds_load_b128 v[94:97], v2 offset:1184
	v_fmac_f64_e32 v[100:101], v[92:93], v[106:107]
	v_fma_f64 v[90:91], v[90:91], v[106:107], -v[104:105]
	v_add_f64_e32 v[4:5], v[4:5], v[98:99]
	v_add_f64_e32 v[12:13], v[12:13], v[128:129]
	s_wait_loadcnt_dscnt 0x201
	v_mul_f64_e32 v[98:99], v[8:9], v[112:113]
	v_mul_f64_e32 v[108:109], v[10:11], v[112:113]
	s_wait_loadcnt_dscnt 0x100
	v_mul_f64_e32 v[92:93], v[94:95], v[116:117]
	v_add_f64_e32 v[4:5], v[4:5], v[102:103]
	v_add_f64_e32 v[12:13], v[12:13], v[126:127]
	v_mul_f64_e32 v[102:103], v[96:97], v[116:117]
	v_fmac_f64_e32 v[98:99], v[10:11], v[110:111]
	v_fma_f64 v[104:105], v[8:9], v[110:111], -v[108:109]
	ds_load_b128 v[8:11], v2 offset:1200
	v_fmac_f64_e32 v[92:93], v[96:97], v[114:115]
	v_add_f64_e32 v[4:5], v[4:5], v[90:91]
	v_add_f64_e32 v[12:13], v[12:13], v[100:101]
	s_wait_loadcnt_dscnt 0x0
	v_mul_f64_e32 v[90:91], v[8:9], v[120:121]
	v_mul_f64_e32 v[100:101], v[10:11], v[120:121]
	v_fma_f64 v[94:95], v[94:95], v[114:115], -v[102:103]
	v_add_f64_e32 v[4:5], v[4:5], v[104:105]
	v_add_f64_e32 v[12:13], v[12:13], v[98:99]
	v_fmac_f64_e32 v[90:91], v[10:11], v[118:119]
	v_fma_f64 v[8:9], v[8:9], v[118:119], -v[100:101]
	s_delay_alu instid0(VALU_DEP_4) | instskip(NEXT) | instid1(VALU_DEP_4)
	v_add_f64_e32 v[4:5], v[4:5], v[94:95]
	v_add_f64_e32 v[10:11], v[12:13], v[92:93]
	s_delay_alu instid0(VALU_DEP_2) | instskip(NEXT) | instid1(VALU_DEP_2)
	v_add_f64_e32 v[4:5], v[4:5], v[8:9]
	v_add_f64_e32 v[10:11], v[10:11], v[90:91]
	s_delay_alu instid0(VALU_DEP_2) | instskip(NEXT) | instid1(VALU_DEP_2)
	v_add_f64_e64 v[8:9], v[134:135], -v[4:5]
	v_add_f64_e64 v[10:11], v[136:137], -v[10:11]
	scratch_store_b128 off, v[8:11], off offset:64
	s_wait_xcnt 0x0
	v_cmpx_lt_u32_e32 3, v1
	s_cbranch_execz .LBB101_235
; %bb.234:
	scratch_load_b128 v[8:11], off, s14
	v_dual_mov_b32 v3, v2 :: v_dual_mov_b32 v4, v2
	v_mov_b32_e32 v5, v2
	scratch_store_b128 off, v[2:5], off offset:48
	s_wait_loadcnt 0x0
	ds_store_b128 v6, v[8:11]
.LBB101_235:
	s_wait_xcnt 0x0
	s_or_b32 exec_lo, exec_lo, s2
	s_wait_storecnt_dscnt 0x0
	s_barrier_signal -1
	s_barrier_wait -1
	s_clause 0x9
	scratch_load_b128 v[8:11], off, off offset:64
	scratch_load_b128 v[90:93], off, off offset:80
	scratch_load_b128 v[94:97], off, off offset:96
	scratch_load_b128 v[98:101], off, off offset:112
	scratch_load_b128 v[102:105], off, off offset:128
	scratch_load_b128 v[106:109], off, off offset:144
	scratch_load_b128 v[110:113], off, off offset:160
	scratch_load_b128 v[114:117], off, off offset:176
	scratch_load_b128 v[118:121], off, off offset:192
	scratch_load_b128 v[122:125], off, off offset:208
	ds_load_b128 v[126:129], v2 offset:672
	ds_load_b128 v[134:137], v2 offset:688
	s_clause 0x1
	scratch_load_b128 v[130:133], off, off offset:224
	scratch_load_b128 v[138:141], off, off offset:48
	s_mov_b32 s2, exec_lo
	s_wait_loadcnt_dscnt 0xb01
	v_mul_f64_e32 v[4:5], v[128:129], v[10:11]
	v_mul_f64_e32 v[150:151], v[126:127], v[10:11]
	scratch_load_b128 v[10:13], off, off offset:240
	s_wait_loadcnt_dscnt 0xb00
	v_mul_f64_e32 v[152:153], v[134:135], v[92:93]
	v_mul_f64_e32 v[92:93], v[136:137], v[92:93]
	v_fma_f64 v[4:5], v[126:127], v[8:9], -v[4:5]
	v_fmac_f64_e32 v[150:151], v[128:129], v[8:9]
	ds_load_b128 v[126:129], v2 offset:704
	ds_load_b128 v[142:145], v2 offset:720
	scratch_load_b128 v[146:149], off, off offset:256
	v_fmac_f64_e32 v[152:153], v[136:137], v[90:91]
	v_fma_f64 v[134:135], v[134:135], v[90:91], -v[92:93]
	scratch_load_b128 v[90:93], off, off offset:272
	s_wait_loadcnt_dscnt 0xc01
	v_mul_f64_e32 v[8:9], v[126:127], v[96:97]
	v_mul_f64_e32 v[96:97], v[128:129], v[96:97]
	v_add_f64_e32 v[4:5], 0, v[4:5]
	v_add_f64_e32 v[136:137], 0, v[150:151]
	s_wait_loadcnt_dscnt 0xb00
	v_mul_f64_e32 v[150:151], v[142:143], v[100:101]
	v_mul_f64_e32 v[100:101], v[144:145], v[100:101]
	v_fmac_f64_e32 v[8:9], v[128:129], v[94:95]
	v_fma_f64 v[154:155], v[126:127], v[94:95], -v[96:97]
	ds_load_b128 v[94:97], v2 offset:736
	ds_load_b128 v[126:129], v2 offset:752
	v_add_f64_e32 v[4:5], v[4:5], v[134:135]
	v_add_f64_e32 v[152:153], v[136:137], v[152:153]
	scratch_load_b128 v[134:137], off, off offset:288
	v_fmac_f64_e32 v[150:151], v[144:145], v[98:99]
	v_fma_f64 v[142:143], v[142:143], v[98:99], -v[100:101]
	scratch_load_b128 v[98:101], off, off offset:304
	s_wait_loadcnt_dscnt 0xc01
	v_mul_f64_e32 v[156:157], v[94:95], v[104:105]
	v_mul_f64_e32 v[104:105], v[96:97], v[104:105]
	v_add_f64_e32 v[4:5], v[4:5], v[154:155]
	v_add_f64_e32 v[8:9], v[152:153], v[8:9]
	s_wait_loadcnt_dscnt 0xb00
	v_mul_f64_e32 v[152:153], v[126:127], v[108:109]
	v_mul_f64_e32 v[108:109], v[128:129], v[108:109]
	v_fmac_f64_e32 v[156:157], v[96:97], v[102:103]
	v_fma_f64 v[154:155], v[94:95], v[102:103], -v[104:105]
	ds_load_b128 v[94:97], v2 offset:768
	ds_load_b128 v[102:105], v2 offset:784
	v_add_f64_e32 v[4:5], v[4:5], v[142:143]
	v_add_f64_e32 v[8:9], v[8:9], v[150:151]
	scratch_load_b128 v[142:145], off, off offset:320
	s_wait_loadcnt_dscnt 0xb01
	v_mul_f64_e32 v[150:151], v[94:95], v[112:113]
	v_mul_f64_e32 v[112:113], v[96:97], v[112:113]
	v_fmac_f64_e32 v[152:153], v[128:129], v[106:107]
	v_fma_f64 v[126:127], v[126:127], v[106:107], -v[108:109]
	scratch_load_b128 v[106:109], off, off offset:336
	v_add_f64_e32 v[4:5], v[4:5], v[154:155]
	v_add_f64_e32 v[8:9], v[8:9], v[156:157]
	s_wait_loadcnt_dscnt 0xb00
	v_mul_f64_e32 v[154:155], v[102:103], v[116:117]
	v_mul_f64_e32 v[116:117], v[104:105], v[116:117]
	v_fmac_f64_e32 v[150:151], v[96:97], v[110:111]
	v_fma_f64 v[156:157], v[94:95], v[110:111], -v[112:113]
	ds_load_b128 v[94:97], v2 offset:800
	ds_load_b128 v[110:113], v2 offset:816
	v_add_f64_e32 v[4:5], v[4:5], v[126:127]
	v_add_f64_e32 v[8:9], v[8:9], v[152:153]
	scratch_load_b128 v[126:129], off, off offset:352
	s_wait_loadcnt_dscnt 0xb01
	v_mul_f64_e32 v[152:153], v[94:95], v[120:121]
	v_mul_f64_e32 v[120:121], v[96:97], v[120:121]
	v_fmac_f64_e32 v[154:155], v[104:105], v[114:115]
	v_fma_f64 v[114:115], v[102:103], v[114:115], -v[116:117]
	scratch_load_b128 v[102:105], off, off offset:368
	v_add_f64_e32 v[4:5], v[4:5], v[156:157]
	v_add_f64_e32 v[8:9], v[8:9], v[150:151]
	s_wait_loadcnt_dscnt 0xb00
	v_mul_f64_e32 v[150:151], v[110:111], v[124:125]
	v_mul_f64_e32 v[124:125], v[112:113], v[124:125]
	v_fmac_f64_e32 v[152:153], v[96:97], v[118:119]
	v_fma_f64 v[156:157], v[94:95], v[118:119], -v[120:121]
	v_add_f64_e32 v[4:5], v[4:5], v[114:115]
	v_add_f64_e32 v[8:9], v[8:9], v[154:155]
	ds_load_b128 v[94:97], v2 offset:832
	ds_load_b128 v[114:117], v2 offset:848
	scratch_load_b128 v[118:121], off, off offset:384
	v_fmac_f64_e32 v[150:151], v[112:113], v[122:123]
	v_fma_f64 v[122:123], v[110:111], v[122:123], -v[124:125]
	scratch_load_b128 v[110:113], off, off offset:400
	s_wait_loadcnt_dscnt 0xc01
	v_mul_f64_e32 v[154:155], v[94:95], v[132:133]
	v_mul_f64_e32 v[132:133], v[96:97], v[132:133]
	v_add_f64_e32 v[4:5], v[4:5], v[156:157]
	v_add_f64_e32 v[8:9], v[8:9], v[152:153]
	s_wait_loadcnt_dscnt 0xa00
	v_mul_f64_e32 v[152:153], v[114:115], v[12:13]
	v_mul_f64_e32 v[12:13], v[116:117], v[12:13]
	v_fmac_f64_e32 v[154:155], v[96:97], v[130:131]
	v_fma_f64 v[156:157], v[94:95], v[130:131], -v[132:133]
	v_add_f64_e32 v[4:5], v[4:5], v[122:123]
	v_add_f64_e32 v[8:9], v[8:9], v[150:151]
	ds_load_b128 v[94:97], v2 offset:864
	ds_load_b128 v[122:125], v2 offset:880
	scratch_load_b128 v[130:133], off, off offset:416
	v_fmac_f64_e32 v[152:153], v[116:117], v[10:11]
	v_fma_f64 v[12:13], v[114:115], v[10:11], -v[12:13]
	s_wait_loadcnt_dscnt 0xa01
	v_mul_f64_e32 v[150:151], v[94:95], v[148:149]
	v_mul_f64_e32 v[148:149], v[96:97], v[148:149]
	v_add_f64_e32 v[4:5], v[4:5], v[156:157]
	v_add_f64_e32 v[114:115], v[8:9], v[154:155]
	scratch_load_b128 v[8:11], off, off offset:432
	s_wait_loadcnt_dscnt 0xa00
	v_mul_f64_e32 v[154:155], v[122:123], v[92:93]
	v_mul_f64_e32 v[156:157], v[124:125], v[92:93]
	v_fmac_f64_e32 v[150:151], v[96:97], v[146:147]
	v_fma_f64 v[96:97], v[94:95], v[146:147], -v[148:149]
	v_add_f64_e32 v[4:5], v[4:5], v[12:13]
	v_add_f64_e32 v[12:13], v[114:115], v[152:153]
	ds_load_b128 v[92:95], v2 offset:896
	ds_load_b128 v[114:117], v2 offset:912
	scratch_load_b128 v[146:149], off, off offset:448
	v_fmac_f64_e32 v[154:155], v[124:125], v[90:91]
	v_fma_f64 v[90:91], v[122:123], v[90:91], -v[156:157]
	scratch_load_b128 v[122:125], off, off offset:464
	s_wait_loadcnt_dscnt 0xb01
	v_mul_f64_e32 v[152:153], v[92:93], v[136:137]
	v_mul_f64_e32 v[136:137], v[94:95], v[136:137]
	v_add_f64_e32 v[4:5], v[4:5], v[96:97]
	v_add_f64_e32 v[12:13], v[12:13], v[150:151]
	s_wait_loadcnt_dscnt 0xa00
	v_mul_f64_e32 v[150:151], v[114:115], v[100:101]
	v_mul_f64_e32 v[100:101], v[116:117], v[100:101]
	v_fmac_f64_e32 v[152:153], v[94:95], v[134:135]
	v_fma_f64 v[156:157], v[92:93], v[134:135], -v[136:137]
	v_add_f64_e32 v[4:5], v[4:5], v[90:91]
	v_add_f64_e32 v[12:13], v[12:13], v[154:155]
	ds_load_b128 v[90:93], v2 offset:928
	ds_load_b128 v[94:97], v2 offset:944
	scratch_load_b128 v[134:137], off, off offset:480
	v_fmac_f64_e32 v[150:151], v[116:117], v[98:99]
	v_fma_f64 v[114:115], v[114:115], v[98:99], -v[100:101]
	scratch_load_b128 v[98:101], off, off offset:496
	s_wait_loadcnt_dscnt 0xb01
	v_mul_f64_e32 v[154:155], v[90:91], v[144:145]
	v_mul_f64_e32 v[144:145], v[92:93], v[144:145]
	v_add_f64_e32 v[4:5], v[4:5], v[156:157]
	v_add_f64_e32 v[12:13], v[12:13], v[152:153]
	s_wait_loadcnt_dscnt 0xa00
	v_mul_f64_e32 v[152:153], v[94:95], v[108:109]
	v_mul_f64_e32 v[108:109], v[96:97], v[108:109]
	v_fmac_f64_e32 v[154:155], v[92:93], v[142:143]
	v_fma_f64 v[156:157], v[90:91], v[142:143], -v[144:145]
	v_add_f64_e32 v[4:5], v[4:5], v[114:115]
	v_add_f64_e32 v[12:13], v[12:13], v[150:151]
	ds_load_b128 v[90:93], v2 offset:960
	ds_load_b128 v[114:117], v2 offset:976
	scratch_load_b128 v[142:145], off, off offset:512
	v_fmac_f64_e32 v[152:153], v[96:97], v[106:107]
	v_fma_f64 v[106:107], v[94:95], v[106:107], -v[108:109]
	scratch_load_b128 v[94:97], off, off offset:528
	s_wait_loadcnt_dscnt 0xb01
	v_mul_f64_e32 v[150:151], v[90:91], v[128:129]
	v_mul_f64_e32 v[128:129], v[92:93], v[128:129]
	s_wait_loadcnt_dscnt 0xa00
	v_mul_f64_e32 v[108:109], v[114:115], v[104:105]
	v_add_f64_e32 v[4:5], v[4:5], v[156:157]
	v_add_f64_e32 v[12:13], v[12:13], v[154:155]
	v_mul_f64_e32 v[154:155], v[116:117], v[104:105]
	v_fmac_f64_e32 v[150:151], v[92:93], v[126:127]
	v_fma_f64 v[156:157], v[90:91], v[126:127], -v[128:129]
	v_fmac_f64_e32 v[108:109], v[116:117], v[102:103]
	v_add_f64_e32 v[4:5], v[4:5], v[106:107]
	v_add_f64_e32 v[12:13], v[12:13], v[152:153]
	ds_load_b128 v[90:93], v2 offset:992
	ds_load_b128 v[104:107], v2 offset:1008
	scratch_load_b128 v[126:129], off, off offset:544
	v_fma_f64 v[102:103], v[114:115], v[102:103], -v[154:155]
	scratch_load_b128 v[114:117], off, off offset:560
	s_wait_loadcnt_dscnt 0xb01
	v_mul_f64_e32 v[158:159], v[90:91], v[120:121]
	v_mul_f64_e32 v[120:121], v[92:93], v[120:121]
	s_wait_loadcnt_dscnt 0xa00
	v_mul_f64_e32 v[154:155], v[104:105], v[112:113]
	v_mul_f64_e32 v[112:113], v[106:107], v[112:113]
	v_add_f64_e32 v[4:5], v[4:5], v[156:157]
	v_add_f64_e32 v[12:13], v[12:13], v[150:151]
	v_fmac_f64_e32 v[158:159], v[92:93], v[118:119]
	v_fma_f64 v[156:157], v[90:91], v[118:119], -v[120:121]
	ds_load_b128 v[90:93], v2 offset:1024
	ds_load_b128 v[118:121], v2 offset:1040
	scratch_load_b128 v[150:153], off, off offset:576
	v_fmac_f64_e32 v[154:155], v[106:107], v[110:111]
	v_fma_f64 v[106:107], v[104:105], v[110:111], -v[112:113]
	v_add_f64_e32 v[4:5], v[4:5], v[102:103]
	v_add_f64_e32 v[12:13], v[12:13], v[108:109]
	scratch_load_b128 v[102:105], off, off offset:592
	s_wait_loadcnt_dscnt 0xb01
	v_mul_f64_e32 v[108:109], v[90:91], v[132:133]
	v_mul_f64_e32 v[132:133], v[92:93], v[132:133]
	v_add_f64_e32 v[4:5], v[4:5], v[156:157]
	v_add_f64_e32 v[12:13], v[12:13], v[158:159]
	s_wait_loadcnt_dscnt 0xa00
	v_mul_f64_e32 v[110:111], v[118:119], v[10:11]
	v_mul_f64_e32 v[112:113], v[120:121], v[10:11]
	v_fmac_f64_e32 v[108:109], v[92:93], v[130:131]
	v_fma_f64 v[130:131], v[90:91], v[130:131], -v[132:133]
	v_add_f64_e32 v[4:5], v[4:5], v[106:107]
	v_add_f64_e32 v[106:107], v[12:13], v[154:155]
	ds_load_b128 v[10:13], v2 offset:1056
	ds_load_b128 v[90:93], v2 offset:1072
	v_fmac_f64_e32 v[110:111], v[120:121], v[8:9]
	v_fma_f64 v[8:9], v[118:119], v[8:9], -v[112:113]
	s_wait_loadcnt_dscnt 0x901
	v_mul_f64_e32 v[132:133], v[10:11], v[148:149]
	v_mul_f64_e32 v[148:149], v[12:13], v[148:149]
	s_wait_loadcnt_dscnt 0x800
	v_mul_f64_e32 v[112:113], v[90:91], v[124:125]
	v_mul_f64_e32 v[118:119], v[92:93], v[124:125]
	v_add_f64_e32 v[4:5], v[4:5], v[130:131]
	v_add_f64_e32 v[106:107], v[106:107], v[108:109]
	v_fmac_f64_e32 v[132:133], v[12:13], v[146:147]
	v_fma_f64 v[12:13], v[10:11], v[146:147], -v[148:149]
	v_fmac_f64_e32 v[112:113], v[92:93], v[122:123]
	v_fma_f64 v[90:91], v[90:91], v[122:123], -v[118:119]
	v_add_f64_e32 v[4:5], v[4:5], v[8:9]
	v_add_f64_e32 v[110:111], v[106:107], v[110:111]
	ds_load_b128 v[8:11], v2 offset:1088
	ds_load_b128 v[106:109], v2 offset:1104
	s_wait_loadcnt_dscnt 0x701
	v_mul_f64_e32 v[120:121], v[8:9], v[136:137]
	v_mul_f64_e32 v[124:125], v[10:11], v[136:137]
	v_add_f64_e32 v[4:5], v[4:5], v[12:13]
	v_add_f64_e32 v[12:13], v[110:111], v[132:133]
	s_wait_loadcnt_dscnt 0x600
	v_mul_f64_e32 v[110:111], v[106:107], v[100:101]
	v_mul_f64_e32 v[100:101], v[108:109], v[100:101]
	v_fmac_f64_e32 v[120:121], v[10:11], v[134:135]
	v_fma_f64 v[118:119], v[8:9], v[134:135], -v[124:125]
	v_add_f64_e32 v[4:5], v[4:5], v[90:91]
	v_add_f64_e32 v[12:13], v[12:13], v[112:113]
	ds_load_b128 v[8:11], v2 offset:1120
	ds_load_b128 v[90:93], v2 offset:1136
	v_fmac_f64_e32 v[110:111], v[108:109], v[98:99]
	v_fma_f64 v[98:99], v[106:107], v[98:99], -v[100:101]
	s_wait_loadcnt_dscnt 0x501
	v_mul_f64_e32 v[112:113], v[8:9], v[144:145]
	v_mul_f64_e32 v[122:123], v[10:11], v[144:145]
	s_wait_loadcnt_dscnt 0x400
	v_mul_f64_e32 v[100:101], v[90:91], v[96:97]
	v_mul_f64_e32 v[106:107], v[92:93], v[96:97]
	v_add_f64_e32 v[4:5], v[4:5], v[118:119]
	v_add_f64_e32 v[12:13], v[12:13], v[120:121]
	v_fmac_f64_e32 v[112:113], v[10:11], v[142:143]
	v_fma_f64 v[108:109], v[8:9], v[142:143], -v[122:123]
	v_fmac_f64_e32 v[100:101], v[92:93], v[94:95]
	v_fma_f64 v[90:91], v[90:91], v[94:95], -v[106:107]
	v_add_f64_e32 v[4:5], v[4:5], v[98:99]
	v_add_f64_e32 v[12:13], v[12:13], v[110:111]
	ds_load_b128 v[8:11], v2 offset:1152
	ds_load_b128 v[96:99], v2 offset:1168
	s_wait_loadcnt_dscnt 0x301
	v_mul_f64_e32 v[110:111], v[8:9], v[128:129]
	v_mul_f64_e32 v[118:119], v[10:11], v[128:129]
	s_wait_loadcnt_dscnt 0x200
	v_mul_f64_e32 v[92:93], v[96:97], v[116:117]
	v_mul_f64_e32 v[94:95], v[98:99], v[116:117]
	v_add_f64_e32 v[4:5], v[4:5], v[108:109]
	v_add_f64_e32 v[12:13], v[12:13], v[112:113]
	v_fmac_f64_e32 v[110:111], v[10:11], v[126:127]
	v_fma_f64 v[106:107], v[8:9], v[126:127], -v[118:119]
	v_fmac_f64_e32 v[92:93], v[98:99], v[114:115]
	v_fma_f64 v[94:95], v[96:97], v[114:115], -v[94:95]
	v_add_f64_e32 v[90:91], v[4:5], v[90:91]
	v_add_f64_e32 v[12:13], v[12:13], v[100:101]
	ds_load_b128 v[8:11], v2 offset:1184
	ds_load_b128 v[2:5], v2 offset:1200
	s_wait_loadcnt_dscnt 0x101
	v_mul_f64_e32 v[100:101], v[8:9], v[152:153]
	v_mul_f64_e32 v[108:109], v[10:11], v[152:153]
	s_wait_loadcnt_dscnt 0x0
	v_mul_f64_e32 v[96:97], v[2:3], v[104:105]
	v_mul_f64_e32 v[98:99], v[4:5], v[104:105]
	v_add_f64_e32 v[90:91], v[90:91], v[106:107]
	v_add_f64_e32 v[12:13], v[12:13], v[110:111]
	v_fmac_f64_e32 v[100:101], v[10:11], v[150:151]
	v_fma_f64 v[8:9], v[8:9], v[150:151], -v[108:109]
	v_fmac_f64_e32 v[96:97], v[4:5], v[102:103]
	v_fma_f64 v[2:3], v[2:3], v[102:103], -v[98:99]
	v_add_f64_e32 v[10:11], v[90:91], v[94:95]
	v_add_f64_e32 v[12:13], v[12:13], v[92:93]
	s_delay_alu instid0(VALU_DEP_2) | instskip(NEXT) | instid1(VALU_DEP_2)
	v_add_f64_e32 v[4:5], v[10:11], v[8:9]
	v_add_f64_e32 v[8:9], v[12:13], v[100:101]
	s_delay_alu instid0(VALU_DEP_2) | instskip(NEXT) | instid1(VALU_DEP_2)
	;; [unrolled: 3-line block ×3, first 2 shown]
	v_add_f64_e64 v[2:3], v[138:139], -v[2:3]
	v_add_f64_e64 v[4:5], v[140:141], -v[4:5]
	scratch_store_b128 off, v[2:5], off offset:48
	s_wait_xcnt 0x0
	v_cmpx_lt_u32_e32 2, v1
	s_cbranch_execz .LBB101_237
; %bb.236:
	scratch_load_b128 v[2:5], off, s16
	v_mov_b32_e32 v8, 0
	s_delay_alu instid0(VALU_DEP_1)
	v_dual_mov_b32 v9, v8 :: v_dual_mov_b32 v10, v8
	v_mov_b32_e32 v11, v8
	scratch_store_b128 off, v[8:11], off offset:32
	s_wait_loadcnt 0x0
	ds_store_b128 v6, v[2:5]
.LBB101_237:
	s_wait_xcnt 0x0
	s_or_b32 exec_lo, exec_lo, s2
	s_wait_storecnt_dscnt 0x0
	s_barrier_signal -1
	s_barrier_wait -1
	s_clause 0x9
	scratch_load_b128 v[8:11], off, off offset:48
	scratch_load_b128 v[90:93], off, off offset:64
	scratch_load_b128 v[94:97], off, off offset:80
	scratch_load_b128 v[98:101], off, off offset:96
	scratch_load_b128 v[102:105], off, off offset:112
	scratch_load_b128 v[106:109], off, off offset:128
	scratch_load_b128 v[110:113], off, off offset:144
	scratch_load_b128 v[114:117], off, off offset:160
	scratch_load_b128 v[118:121], off, off offset:176
	scratch_load_b128 v[122:125], off, off offset:192
	v_mov_b32_e32 v2, 0
	s_mov_b32 s2, exec_lo
	v_dual_ashrrev_i32 v21, 31, v20 :: v_dual_ashrrev_i32 v19, 31, v18
	v_ashrrev_i32_e32 v23, 31, v22
	ds_load_b128 v[126:129], v2 offset:656
	s_clause 0x2
	scratch_load_b128 v[130:133], off, off offset:208
	scratch_load_b128 v[134:137], off, off offset:32
	;; [unrolled: 1-line block ×3, first 2 shown]
	v_ashrrev_i32_e32 v27, 31, v26
	v_ashrrev_i32_e32 v31, 31, v30
	v_dual_ashrrev_i32 v35, 31, v34 :: v_dual_ashrrev_i32 v25, 31, v24
	v_dual_ashrrev_i32 v29, 31, v28 :: v_dual_ashrrev_i32 v39, 31, v38
	;; [unrolled: 1-line block ×4, first 2 shown]
	v_ashrrev_i32_e32 v51, 31, v50
	v_ashrrev_i32_e32 v55, 31, v54
	v_dual_ashrrev_i32 v59, 31, v58 :: v_dual_ashrrev_i32 v41, 31, v40
	v_dual_ashrrev_i32 v45, 31, v44 :: v_dual_ashrrev_i32 v63, 31, v62
	;; [unrolled: 1-line block ×8, first 2 shown]
	v_ashrrev_i32_e32 v73, 31, v72
	v_ashrrev_i32_e32 v77, 31, v76
	;; [unrolled: 1-line block ×4, first 2 shown]
	s_wait_loadcnt_dscnt 0xc00
	v_dual_mul_f64 v[4:5], v[128:129], v[10:11] :: v_dual_ashrrev_i32 v89, 31, v88
	v_mul_f64_e32 v[150:151], v[126:127], v[10:11]
	ds_load_b128 v[138:141], v2 offset:672
	scratch_load_b128 v[10:13], off, off offset:224
	ds_load_b128 v[146:149], v2 offset:704
	v_fma_f64 v[4:5], v[126:127], v[8:9], -v[4:5]
	v_fmac_f64_e32 v[150:151], v[128:129], v[8:9]
	ds_load_b128 v[126:129], v2 offset:688
	s_wait_loadcnt_dscnt 0xc02
	v_mul_f64_e32 v[152:153], v[138:139], v[92:93]
	v_mul_f64_e32 v[92:93], v[140:141], v[92:93]
	s_wait_loadcnt_dscnt 0xb00
	v_mul_f64_e32 v[8:9], v[126:127], v[96:97]
	v_mul_f64_e32 v[96:97], v[128:129], v[96:97]
	v_add_f64_e32 v[4:5], 0, v[4:5]
	v_fmac_f64_e32 v[152:153], v[140:141], v[90:91]
	v_fma_f64 v[138:139], v[138:139], v[90:91], -v[92:93]
	v_add_f64_e32 v[140:141], 0, v[150:151]
	scratch_load_b128 v[90:93], off, off offset:256
	v_fmac_f64_e32 v[8:9], v[128:129], v[94:95]
	v_fma_f64 v[154:155], v[126:127], v[94:95], -v[96:97]
	ds_load_b128 v[94:97], v2 offset:720
	s_wait_loadcnt 0xb
	v_mul_f64_e32 v[150:151], v[146:147], v[100:101]
	v_mul_f64_e32 v[100:101], v[148:149], v[100:101]
	scratch_load_b128 v[126:129], off, off offset:272
	v_add_f64_e32 v[4:5], v[4:5], v[138:139]
	v_add_f64_e32 v[152:153], v[140:141], v[152:153]
	ds_load_b128 v[138:141], v2 offset:736
	s_wait_loadcnt_dscnt 0xb01
	v_mul_f64_e32 v[156:157], v[94:95], v[104:105]
	v_mul_f64_e32 v[104:105], v[96:97], v[104:105]
	v_fmac_f64_e32 v[150:151], v[148:149], v[98:99]
	v_fma_f64 v[146:147], v[146:147], v[98:99], -v[100:101]
	scratch_load_b128 v[98:101], off, off offset:288
	v_add_f64_e32 v[4:5], v[4:5], v[154:155]
	v_add_f64_e32 v[8:9], v[152:153], v[8:9]
	v_fmac_f64_e32 v[156:157], v[96:97], v[102:103]
	v_fma_f64 v[154:155], v[94:95], v[102:103], -v[104:105]
	ds_load_b128 v[94:97], v2 offset:752
	s_wait_loadcnt_dscnt 0xb01
	v_mul_f64_e32 v[152:153], v[138:139], v[108:109]
	v_mul_f64_e32 v[108:109], v[140:141], v[108:109]
	scratch_load_b128 v[102:105], off, off offset:304
	v_add_f64_e32 v[4:5], v[4:5], v[146:147]
	v_add_f64_e32 v[8:9], v[8:9], v[150:151]
	s_wait_loadcnt_dscnt 0xb00
	v_mul_f64_e32 v[150:151], v[94:95], v[112:113]
	v_mul_f64_e32 v[112:113], v[96:97], v[112:113]
	ds_load_b128 v[146:149], v2 offset:768
	v_fmac_f64_e32 v[152:153], v[140:141], v[106:107]
	v_fma_f64 v[138:139], v[138:139], v[106:107], -v[108:109]
	scratch_load_b128 v[106:109], off, off offset:320
	v_add_f64_e32 v[4:5], v[4:5], v[154:155]
	v_add_f64_e32 v[8:9], v[8:9], v[156:157]
	v_fmac_f64_e32 v[150:151], v[96:97], v[110:111]
	v_fma_f64 v[156:157], v[94:95], v[110:111], -v[112:113]
	ds_load_b128 v[94:97], v2 offset:784
	s_wait_loadcnt_dscnt 0xb01
	v_mul_f64_e32 v[154:155], v[146:147], v[116:117]
	v_mul_f64_e32 v[116:117], v[148:149], v[116:117]
	scratch_load_b128 v[110:113], off, off offset:336
	v_add_f64_e32 v[4:5], v[4:5], v[138:139]
	v_add_f64_e32 v[8:9], v[8:9], v[152:153]
	s_wait_loadcnt_dscnt 0xb00
	v_mul_f64_e32 v[152:153], v[94:95], v[120:121]
	v_mul_f64_e32 v[120:121], v[96:97], v[120:121]
	ds_load_b128 v[138:141], v2 offset:800
	;; [unrolled: 18-line block ×3, first 2 shown]
	v_fmac_f64_e32 v[150:151], v[140:141], v[122:123]
	v_fma_f64 v[138:139], v[138:139], v[122:123], -v[124:125]
	scratch_load_b128 v[122:125], off, off offset:384
	v_add_f64_e32 v[4:5], v[4:5], v[156:157]
	v_add_f64_e32 v[8:9], v[8:9], v[152:153]
	v_fmac_f64_e32 v[154:155], v[96:97], v[130:131]
	v_fma_f64 v[156:157], v[94:95], v[130:131], -v[132:133]
	ds_load_b128 v[94:97], v2 offset:848
	s_wait_loadcnt_dscnt 0x901
	v_mul_f64_e32 v[152:153], v[146:147], v[12:13]
	v_mul_f64_e32 v[12:13], v[148:149], v[12:13]
	scratch_load_b128 v[130:133], off, off offset:400
	v_add_f64_e32 v[4:5], v[4:5], v[138:139]
	v_add_f64_e32 v[8:9], v[8:9], v[150:151]
	s_wait_dscnt 0x0
	v_mul_f64_e32 v[150:151], v[94:95], v[144:145]
	v_mul_f64_e32 v[144:145], v[96:97], v[144:145]
	ds_load_b128 v[138:141], v2 offset:864
	v_fmac_f64_e32 v[152:153], v[148:149], v[10:11]
	v_fma_f64 v[12:13], v[146:147], v[10:11], -v[12:13]
	v_add_f64_e32 v[4:5], v[4:5], v[156:157]
	v_add_f64_e32 v[146:147], v[8:9], v[154:155]
	scratch_load_b128 v[8:11], off, off offset:416
	v_fmac_f64_e32 v[150:151], v[96:97], v[142:143]
	v_fma_f64 v[96:97], v[94:95], v[142:143], -v[144:145]
	scratch_load_b128 v[142:145], off, off offset:432
	v_add_f64_e32 v[4:5], v[4:5], v[12:13]
	v_add_f64_e32 v[12:13], v[146:147], v[152:153]
	ds_load_b128 v[146:149], v2 offset:896
	s_wait_loadcnt_dscnt 0xb01
	v_mul_f64_e32 v[154:155], v[138:139], v[92:93]
	v_mul_f64_e32 v[156:157], v[140:141], v[92:93]
	ds_load_b128 v[92:95], v2 offset:880
	s_wait_loadcnt_dscnt 0xa00
	v_mul_f64_e32 v[152:153], v[92:93], v[128:129]
	v_mul_f64_e32 v[128:129], v[94:95], v[128:129]
	v_add_f64_e32 v[4:5], v[4:5], v[96:97]
	v_add_f64_e32 v[12:13], v[12:13], v[150:151]
	s_wait_loadcnt 0x9
	v_mul_f64_e32 v[150:151], v[146:147], v[100:101]
	v_fmac_f64_e32 v[154:155], v[140:141], v[90:91]
	v_fma_f64 v[90:91], v[138:139], v[90:91], -v[156:157]
	scratch_load_b128 v[138:141], off, off offset:448
	v_mul_f64_e32 v[100:101], v[148:149], v[100:101]
	v_fmac_f64_e32 v[152:153], v[94:95], v[126:127]
	v_fma_f64 v[156:157], v[92:93], v[126:127], -v[128:129]
	scratch_load_b128 v[94:97], off, off offset:464
	ds_load_b128 v[126:129], v2 offset:928
	v_fmac_f64_e32 v[150:151], v[148:149], v[98:99]
	v_add_f64_e32 v[12:13], v[12:13], v[154:155]
	v_add_f64_e32 v[4:5], v[4:5], v[90:91]
	ds_load_b128 v[90:93], v2 offset:912
	v_fma_f64 v[146:147], v[146:147], v[98:99], -v[100:101]
	scratch_load_b128 v[98:101], off, off offset:480
	s_wait_loadcnt_dscnt 0xb00
	v_mul_f64_e32 v[154:155], v[90:91], v[104:105]
	v_mul_f64_e32 v[104:105], v[92:93], v[104:105]
	v_add_f64_e32 v[12:13], v[12:13], v[152:153]
	v_add_f64_e32 v[4:5], v[4:5], v[156:157]
	s_wait_loadcnt 0xa
	v_mul_f64_e32 v[152:153], v[126:127], v[108:109]
	v_mul_f64_e32 v[108:109], v[128:129], v[108:109]
	v_fmac_f64_e32 v[154:155], v[92:93], v[102:103]
	v_fma_f64 v[156:157], v[90:91], v[102:103], -v[104:105]
	ds_load_b128 v[90:93], v2 offset:944
	scratch_load_b128 v[102:105], off, off offset:496
	v_add_f64_e32 v[12:13], v[12:13], v[150:151]
	v_add_f64_e32 v[4:5], v[4:5], v[146:147]
	ds_load_b128 v[146:149], v2 offset:960
	v_fmac_f64_e32 v[152:153], v[128:129], v[106:107]
	v_fma_f64 v[126:127], v[126:127], v[106:107], -v[108:109]
	scratch_load_b128 v[106:109], off, off offset:512
	s_wait_loadcnt_dscnt 0xb01
	v_mul_f64_e32 v[150:151], v[90:91], v[112:113]
	v_mul_f64_e32 v[112:113], v[92:93], v[112:113]
	v_add_f64_e32 v[12:13], v[12:13], v[154:155]
	v_add_f64_e32 v[4:5], v[4:5], v[156:157]
	s_wait_loadcnt_dscnt 0xa00
	v_mul_f64_e32 v[154:155], v[146:147], v[116:117]
	v_mul_f64_e32 v[116:117], v[148:149], v[116:117]
	v_fmac_f64_e32 v[150:151], v[92:93], v[110:111]
	v_fma_f64 v[156:157], v[90:91], v[110:111], -v[112:113]
	ds_load_b128 v[90:93], v2 offset:976
	scratch_load_b128 v[110:113], off, off offset:528
	v_add_f64_e32 v[12:13], v[12:13], v[152:153]
	v_add_f64_e32 v[4:5], v[4:5], v[126:127]
	ds_load_b128 v[126:129], v2 offset:992
	s_wait_loadcnt_dscnt 0xa01
	v_mul_f64_e32 v[152:153], v[90:91], v[120:121]
	v_fmac_f64_e32 v[154:155], v[148:149], v[114:115]
	v_fma_f64 v[146:147], v[146:147], v[114:115], -v[116:117]
	v_mul_f64_e32 v[120:121], v[92:93], v[120:121]
	scratch_load_b128 v[114:117], off, off offset:544
	v_add_f64_e32 v[12:13], v[12:13], v[150:151]
	v_add_f64_e32 v[4:5], v[4:5], v[156:157]
	s_wait_loadcnt_dscnt 0xa00
	v_mul_f64_e32 v[150:151], v[126:127], v[124:125]
	v_mul_f64_e32 v[124:125], v[128:129], v[124:125]
	v_fmac_f64_e32 v[152:153], v[92:93], v[118:119]
	v_fma_f64 v[156:157], v[90:91], v[118:119], -v[120:121]
	ds_load_b128 v[90:93], v2 offset:1008
	scratch_load_b128 v[118:121], off, off offset:560
	v_add_f64_e32 v[12:13], v[12:13], v[154:155]
	v_add_f64_e32 v[4:5], v[4:5], v[146:147]
	ds_load_b128 v[146:149], v2 offset:1024
	s_wait_loadcnt_dscnt 0xa01
	v_mul_f64_e32 v[154:155], v[90:91], v[132:133]
	v_fmac_f64_e32 v[150:151], v[128:129], v[122:123]
	v_fma_f64 v[126:127], v[126:127], v[122:123], -v[124:125]
	v_mul_f64_e32 v[128:129], v[92:93], v[132:133]
	scratch_load_b128 v[122:125], off, off offset:576
	s_wait_loadcnt_dscnt 0xa00
	v_mul_f64_e32 v[132:133], v[146:147], v[10:11]
	v_add_f64_e32 v[12:13], v[12:13], v[152:153]
	v_add_f64_e32 v[4:5], v[4:5], v[156:157]
	v_mul_f64_e32 v[152:153], v[148:149], v[10:11]
	v_fmac_f64_e32 v[154:155], v[92:93], v[130:131]
	v_fma_f64 v[130:131], v[90:91], v[130:131], -v[128:129]
	scratch_load_b128 v[90:93], off, off offset:592
	v_fmac_f64_e32 v[132:133], v[148:149], v[8:9]
	v_add_f64_e32 v[150:151], v[12:13], v[150:151]
	v_add_f64_e32 v[4:5], v[4:5], v[126:127]
	ds_load_b128 v[10:13], v2 offset:1040
	ds_load_b128 v[126:129], v2 offset:1056
	v_fma_f64 v[8:9], v[146:147], v[8:9], -v[152:153]
	s_wait_loadcnt_dscnt 0xa01
	v_mul_f64_e32 v[156:157], v[10:11], v[144:145]
	v_mul_f64_e32 v[144:145], v[12:13], v[144:145]
	v_add_f64_e32 v[4:5], v[4:5], v[130:131]
	v_add_f64_e32 v[130:131], v[150:151], v[154:155]
	s_wait_loadcnt_dscnt 0x900
	v_mul_f64_e32 v[146:147], v[126:127], v[140:141]
	v_mul_f64_e32 v[140:141], v[128:129], v[140:141]
	v_fmac_f64_e32 v[156:157], v[12:13], v[142:143]
	v_fma_f64 v[12:13], v[10:11], v[142:143], -v[144:145]
	v_add_f64_e32 v[4:5], v[4:5], v[8:9]
	v_add_f64_e32 v[142:143], v[130:131], v[132:133]
	ds_load_b128 v[8:11], v2 offset:1072
	ds_load_b128 v[130:133], v2 offset:1088
	v_fmac_f64_e32 v[146:147], v[128:129], v[138:139]
	v_fma_f64 v[126:127], v[126:127], v[138:139], -v[140:141]
	s_wait_loadcnt_dscnt 0x801
	v_mul_f64_e32 v[144:145], v[8:9], v[96:97]
	v_mul_f64_e32 v[96:97], v[10:11], v[96:97]
	s_wait_loadcnt_dscnt 0x700
	v_mul_f64_e32 v[128:129], v[130:131], v[100:101]
	v_mul_f64_e32 v[100:101], v[132:133], v[100:101]
	v_add_f64_e32 v[4:5], v[4:5], v[12:13]
	v_add_f64_e32 v[12:13], v[142:143], v[156:157]
	v_fmac_f64_e32 v[144:145], v[10:11], v[94:95]
	v_fma_f64 v[138:139], v[8:9], v[94:95], -v[96:97]
	ds_load_b128 v[8:11], v2 offset:1104
	ds_load_b128 v[94:97], v2 offset:1120
	v_fmac_f64_e32 v[128:129], v[132:133], v[98:99]
	v_fma_f64 v[98:99], v[130:131], v[98:99], -v[100:101]
	v_add_f64_e32 v[4:5], v[4:5], v[126:127]
	v_add_f64_e32 v[12:13], v[12:13], v[146:147]
	s_wait_loadcnt_dscnt 0x601
	v_mul_f64_e32 v[126:127], v[8:9], v[104:105]
	v_mul_f64_e32 v[104:105], v[10:11], v[104:105]
	s_wait_loadcnt_dscnt 0x500
	v_mul_f64_e32 v[130:131], v[94:95], v[108:109]
	v_mul_f64_e32 v[108:109], v[96:97], v[108:109]
	v_add_f64_e32 v[4:5], v[4:5], v[138:139]
	v_add_f64_e32 v[12:13], v[12:13], v[144:145]
	v_fmac_f64_e32 v[126:127], v[10:11], v[102:103]
	v_fma_f64 v[102:103], v[8:9], v[102:103], -v[104:105]
	v_fmac_f64_e32 v[130:131], v[96:97], v[106:107]
	v_fma_f64 v[94:95], v[94:95], v[106:107], -v[108:109]
	v_add_f64_e32 v[4:5], v[4:5], v[98:99]
	v_add_f64_e32 v[12:13], v[12:13], v[128:129]
	ds_load_b128 v[8:11], v2 offset:1136
	ds_load_b128 v[98:101], v2 offset:1152
	s_wait_loadcnt_dscnt 0x401
	v_mul_f64_e32 v[104:105], v[8:9], v[112:113]
	v_mul_f64_e32 v[112:113], v[10:11], v[112:113]
	s_wait_loadcnt_dscnt 0x300
	v_mul_f64_e32 v[106:107], v[100:101], v[116:117]
	v_add_f64_e32 v[4:5], v[4:5], v[102:103]
	v_add_f64_e32 v[12:13], v[12:13], v[126:127]
	v_mul_f64_e32 v[102:103], v[98:99], v[116:117]
	v_fmac_f64_e32 v[104:105], v[10:11], v[110:111]
	v_fma_f64 v[108:109], v[8:9], v[110:111], -v[112:113]
	v_fma_f64 v[98:99], v[98:99], v[114:115], -v[106:107]
	v_add_f64_e32 v[4:5], v[4:5], v[94:95]
	v_add_f64_e32 v[12:13], v[12:13], v[130:131]
	ds_load_b128 v[8:11], v2 offset:1168
	ds_load_b128 v[94:97], v2 offset:1184
	v_fmac_f64_e32 v[102:103], v[100:101], v[114:115]
	s_wait_loadcnt_dscnt 0x201
	v_mul_f64_e32 v[110:111], v[8:9], v[120:121]
	v_mul_f64_e32 v[112:113], v[10:11], v[120:121]
	s_wait_loadcnt_dscnt 0x100
	v_mul_f64_e32 v[100:101], v[94:95], v[124:125]
	v_add_f64_e32 v[4:5], v[4:5], v[108:109]
	v_add_f64_e32 v[12:13], v[12:13], v[104:105]
	v_mul_f64_e32 v[104:105], v[96:97], v[124:125]
	v_fmac_f64_e32 v[110:111], v[10:11], v[118:119]
	v_fma_f64 v[106:107], v[8:9], v[118:119], -v[112:113]
	ds_load_b128 v[8:11], v2 offset:1200
	v_fmac_f64_e32 v[100:101], v[96:97], v[122:123]
	v_add_f64_e32 v[4:5], v[4:5], v[98:99]
	v_add_f64_e32 v[12:13], v[12:13], v[102:103]
	v_fma_f64 v[94:95], v[94:95], v[122:123], -v[104:105]
	s_wait_loadcnt_dscnt 0x0
	v_mul_f64_e32 v[98:99], v[8:9], v[92:93]
	v_mul_f64_e32 v[92:93], v[10:11], v[92:93]
	v_add_f64_e32 v[4:5], v[4:5], v[106:107]
	v_add_f64_e32 v[12:13], v[12:13], v[110:111]
	s_delay_alu instid0(VALU_DEP_4) | instskip(NEXT) | instid1(VALU_DEP_4)
	v_fmac_f64_e32 v[98:99], v[10:11], v[90:91]
	v_fma_f64 v[8:9], v[8:9], v[90:91], -v[92:93]
	s_delay_alu instid0(VALU_DEP_4) | instskip(NEXT) | instid1(VALU_DEP_4)
	v_add_f64_e32 v[4:5], v[4:5], v[94:95]
	v_add_f64_e32 v[10:11], v[12:13], v[100:101]
	s_delay_alu instid0(VALU_DEP_2) | instskip(NEXT) | instid1(VALU_DEP_2)
	v_add_f64_e32 v[4:5], v[4:5], v[8:9]
	v_add_f64_e32 v[10:11], v[10:11], v[98:99]
	s_delay_alu instid0(VALU_DEP_2) | instskip(NEXT) | instid1(VALU_DEP_2)
	v_add_f64_e64 v[8:9], v[134:135], -v[4:5]
	v_add_f64_e64 v[10:11], v[136:137], -v[10:11]
	scratch_store_b128 off, v[8:11], off offset:32
	s_wait_xcnt 0x0
	v_cmpx_lt_u32_e32 1, v1
	s_cbranch_execz .LBB101_239
; %bb.238:
	scratch_load_b128 v[8:11], off, s18
	v_dual_mov_b32 v3, v2 :: v_dual_mov_b32 v4, v2
	v_mov_b32_e32 v5, v2
	scratch_store_b128 off, v[2:5], off offset:16
	s_wait_loadcnt 0x0
	ds_store_b128 v6, v[8:11]
.LBB101_239:
	s_wait_xcnt 0x0
	s_or_b32 exec_lo, exec_lo, s2
	s_wait_storecnt_dscnt 0x0
	s_barrier_signal -1
	s_barrier_wait -1
	s_clause 0x9
	scratch_load_b128 v[8:11], off, off offset:32
	scratch_load_b128 v[90:93], off, off offset:48
	;; [unrolled: 1-line block ×10, first 2 shown]
	ds_load_b128 v[126:129], v2 offset:640
	ds_load_b128 v[134:137], v2 offset:656
	s_clause 0x1
	scratch_load_b128 v[130:133], off, off offset:192
	scratch_load_b128 v[138:141], off, off offset:16
	s_mov_b32 s2, exec_lo
	s_wait_loadcnt_dscnt 0xb01
	v_mul_f64_e32 v[4:5], v[128:129], v[10:11]
	v_mul_f64_e32 v[150:151], v[126:127], v[10:11]
	scratch_load_b128 v[10:13], off, off offset:208
	s_wait_loadcnt_dscnt 0xb00
	v_mul_f64_e32 v[152:153], v[134:135], v[92:93]
	v_mul_f64_e32 v[92:93], v[136:137], v[92:93]
	v_fma_f64 v[4:5], v[126:127], v[8:9], -v[4:5]
	v_fmac_f64_e32 v[150:151], v[128:129], v[8:9]
	ds_load_b128 v[126:129], v2 offset:672
	ds_load_b128 v[142:145], v2 offset:688
	scratch_load_b128 v[146:149], off, off offset:224
	v_fmac_f64_e32 v[152:153], v[136:137], v[90:91]
	v_fma_f64 v[134:135], v[134:135], v[90:91], -v[92:93]
	scratch_load_b128 v[90:93], off, off offset:240
	s_wait_loadcnt_dscnt 0xc01
	v_mul_f64_e32 v[8:9], v[126:127], v[96:97]
	v_mul_f64_e32 v[96:97], v[128:129], v[96:97]
	v_add_f64_e32 v[4:5], 0, v[4:5]
	v_add_f64_e32 v[136:137], 0, v[150:151]
	s_wait_loadcnt_dscnt 0xb00
	v_mul_f64_e32 v[150:151], v[142:143], v[100:101]
	v_mul_f64_e32 v[100:101], v[144:145], v[100:101]
	v_fmac_f64_e32 v[8:9], v[128:129], v[94:95]
	v_fma_f64 v[154:155], v[126:127], v[94:95], -v[96:97]
	ds_load_b128 v[94:97], v2 offset:704
	ds_load_b128 v[126:129], v2 offset:720
	v_add_f64_e32 v[4:5], v[4:5], v[134:135]
	v_add_f64_e32 v[152:153], v[136:137], v[152:153]
	scratch_load_b128 v[134:137], off, off offset:256
	v_fmac_f64_e32 v[150:151], v[144:145], v[98:99]
	v_fma_f64 v[142:143], v[142:143], v[98:99], -v[100:101]
	scratch_load_b128 v[98:101], off, off offset:272
	s_wait_loadcnt_dscnt 0xc01
	v_mul_f64_e32 v[156:157], v[94:95], v[104:105]
	v_mul_f64_e32 v[104:105], v[96:97], v[104:105]
	v_add_f64_e32 v[4:5], v[4:5], v[154:155]
	v_add_f64_e32 v[8:9], v[152:153], v[8:9]
	s_wait_loadcnt_dscnt 0xb00
	v_mul_f64_e32 v[152:153], v[126:127], v[108:109]
	v_mul_f64_e32 v[108:109], v[128:129], v[108:109]
	v_fmac_f64_e32 v[156:157], v[96:97], v[102:103]
	v_fma_f64 v[154:155], v[94:95], v[102:103], -v[104:105]
	ds_load_b128 v[94:97], v2 offset:736
	ds_load_b128 v[102:105], v2 offset:752
	v_add_f64_e32 v[4:5], v[4:5], v[142:143]
	v_add_f64_e32 v[8:9], v[8:9], v[150:151]
	scratch_load_b128 v[142:145], off, off offset:288
	s_wait_loadcnt_dscnt 0xb01
	v_mul_f64_e32 v[150:151], v[94:95], v[112:113]
	v_mul_f64_e32 v[112:113], v[96:97], v[112:113]
	v_fmac_f64_e32 v[152:153], v[128:129], v[106:107]
	v_fma_f64 v[126:127], v[126:127], v[106:107], -v[108:109]
	scratch_load_b128 v[106:109], off, off offset:304
	v_add_f64_e32 v[4:5], v[4:5], v[154:155]
	v_add_f64_e32 v[8:9], v[8:9], v[156:157]
	s_wait_loadcnt_dscnt 0xb00
	v_mul_f64_e32 v[154:155], v[102:103], v[116:117]
	v_mul_f64_e32 v[116:117], v[104:105], v[116:117]
	v_fmac_f64_e32 v[150:151], v[96:97], v[110:111]
	v_fma_f64 v[156:157], v[94:95], v[110:111], -v[112:113]
	ds_load_b128 v[94:97], v2 offset:768
	ds_load_b128 v[110:113], v2 offset:784
	v_add_f64_e32 v[4:5], v[4:5], v[126:127]
	v_add_f64_e32 v[8:9], v[8:9], v[152:153]
	scratch_load_b128 v[126:129], off, off offset:320
	s_wait_loadcnt_dscnt 0xb01
	v_mul_f64_e32 v[152:153], v[94:95], v[120:121]
	v_mul_f64_e32 v[120:121], v[96:97], v[120:121]
	v_fmac_f64_e32 v[154:155], v[104:105], v[114:115]
	v_fma_f64 v[114:115], v[102:103], v[114:115], -v[116:117]
	scratch_load_b128 v[102:105], off, off offset:336
	v_add_f64_e32 v[4:5], v[4:5], v[156:157]
	v_add_f64_e32 v[8:9], v[8:9], v[150:151]
	s_wait_loadcnt_dscnt 0xb00
	v_mul_f64_e32 v[150:151], v[110:111], v[124:125]
	v_mul_f64_e32 v[124:125], v[112:113], v[124:125]
	v_fmac_f64_e32 v[152:153], v[96:97], v[118:119]
	v_fma_f64 v[156:157], v[94:95], v[118:119], -v[120:121]
	v_add_f64_e32 v[4:5], v[4:5], v[114:115]
	v_add_f64_e32 v[8:9], v[8:9], v[154:155]
	ds_load_b128 v[94:97], v2 offset:800
	ds_load_b128 v[114:117], v2 offset:816
	scratch_load_b128 v[118:121], off, off offset:352
	v_fmac_f64_e32 v[150:151], v[112:113], v[122:123]
	v_fma_f64 v[122:123], v[110:111], v[122:123], -v[124:125]
	scratch_load_b128 v[110:113], off, off offset:368
	s_wait_loadcnt_dscnt 0xc01
	v_mul_f64_e32 v[154:155], v[94:95], v[132:133]
	v_mul_f64_e32 v[132:133], v[96:97], v[132:133]
	v_add_f64_e32 v[4:5], v[4:5], v[156:157]
	v_add_f64_e32 v[8:9], v[8:9], v[152:153]
	s_wait_loadcnt_dscnt 0xa00
	v_mul_f64_e32 v[152:153], v[114:115], v[12:13]
	v_mul_f64_e32 v[12:13], v[116:117], v[12:13]
	v_fmac_f64_e32 v[154:155], v[96:97], v[130:131]
	v_fma_f64 v[156:157], v[94:95], v[130:131], -v[132:133]
	v_add_f64_e32 v[4:5], v[4:5], v[122:123]
	v_add_f64_e32 v[8:9], v[8:9], v[150:151]
	ds_load_b128 v[94:97], v2 offset:832
	ds_load_b128 v[122:125], v2 offset:848
	scratch_load_b128 v[130:133], off, off offset:384
	v_fmac_f64_e32 v[152:153], v[116:117], v[10:11]
	v_fma_f64 v[12:13], v[114:115], v[10:11], -v[12:13]
	s_wait_loadcnt_dscnt 0xa01
	v_mul_f64_e32 v[150:151], v[94:95], v[148:149]
	v_mul_f64_e32 v[148:149], v[96:97], v[148:149]
	v_add_f64_e32 v[4:5], v[4:5], v[156:157]
	v_add_f64_e32 v[114:115], v[8:9], v[154:155]
	scratch_load_b128 v[8:11], off, off offset:400
	s_wait_loadcnt_dscnt 0xa00
	v_mul_f64_e32 v[154:155], v[122:123], v[92:93]
	v_mul_f64_e32 v[156:157], v[124:125], v[92:93]
	v_fmac_f64_e32 v[150:151], v[96:97], v[146:147]
	v_fma_f64 v[96:97], v[94:95], v[146:147], -v[148:149]
	v_add_f64_e32 v[4:5], v[4:5], v[12:13]
	v_add_f64_e32 v[12:13], v[114:115], v[152:153]
	ds_load_b128 v[92:95], v2 offset:864
	ds_load_b128 v[114:117], v2 offset:880
	scratch_load_b128 v[146:149], off, off offset:416
	v_fmac_f64_e32 v[154:155], v[124:125], v[90:91]
	v_fma_f64 v[90:91], v[122:123], v[90:91], -v[156:157]
	scratch_load_b128 v[122:125], off, off offset:432
	s_wait_loadcnt_dscnt 0xb01
	v_mul_f64_e32 v[152:153], v[92:93], v[136:137]
	v_mul_f64_e32 v[136:137], v[94:95], v[136:137]
	v_add_f64_e32 v[4:5], v[4:5], v[96:97]
	v_add_f64_e32 v[12:13], v[12:13], v[150:151]
	s_wait_loadcnt_dscnt 0xa00
	v_mul_f64_e32 v[150:151], v[114:115], v[100:101]
	v_mul_f64_e32 v[100:101], v[116:117], v[100:101]
	v_fmac_f64_e32 v[152:153], v[94:95], v[134:135]
	v_fma_f64 v[156:157], v[92:93], v[134:135], -v[136:137]
	v_add_f64_e32 v[4:5], v[4:5], v[90:91]
	v_add_f64_e32 v[12:13], v[12:13], v[154:155]
	ds_load_b128 v[90:93], v2 offset:896
	ds_load_b128 v[94:97], v2 offset:912
	scratch_load_b128 v[134:137], off, off offset:448
	v_fmac_f64_e32 v[150:151], v[116:117], v[98:99]
	v_fma_f64 v[114:115], v[114:115], v[98:99], -v[100:101]
	scratch_load_b128 v[98:101], off, off offset:464
	s_wait_loadcnt_dscnt 0xb01
	v_mul_f64_e32 v[154:155], v[90:91], v[144:145]
	v_mul_f64_e32 v[144:145], v[92:93], v[144:145]
	v_add_f64_e32 v[4:5], v[4:5], v[156:157]
	v_add_f64_e32 v[12:13], v[12:13], v[152:153]
	s_wait_loadcnt_dscnt 0xa00
	v_mul_f64_e32 v[152:153], v[94:95], v[108:109]
	v_mul_f64_e32 v[108:109], v[96:97], v[108:109]
	v_fmac_f64_e32 v[154:155], v[92:93], v[142:143]
	v_fma_f64 v[156:157], v[90:91], v[142:143], -v[144:145]
	v_add_f64_e32 v[4:5], v[4:5], v[114:115]
	v_add_f64_e32 v[12:13], v[12:13], v[150:151]
	ds_load_b128 v[90:93], v2 offset:928
	ds_load_b128 v[114:117], v2 offset:944
	scratch_load_b128 v[142:145], off, off offset:480
	v_fmac_f64_e32 v[152:153], v[96:97], v[106:107]
	v_fma_f64 v[106:107], v[94:95], v[106:107], -v[108:109]
	scratch_load_b128 v[94:97], off, off offset:496
	s_wait_loadcnt_dscnt 0xb01
	v_mul_f64_e32 v[150:151], v[90:91], v[128:129]
	v_mul_f64_e32 v[128:129], v[92:93], v[128:129]
	s_wait_loadcnt_dscnt 0xa00
	v_mul_f64_e32 v[108:109], v[114:115], v[104:105]
	v_add_f64_e32 v[4:5], v[4:5], v[156:157]
	v_add_f64_e32 v[12:13], v[12:13], v[154:155]
	v_mul_f64_e32 v[154:155], v[116:117], v[104:105]
	v_fmac_f64_e32 v[150:151], v[92:93], v[126:127]
	v_fma_f64 v[156:157], v[90:91], v[126:127], -v[128:129]
	v_fmac_f64_e32 v[108:109], v[116:117], v[102:103]
	v_add_f64_e32 v[4:5], v[4:5], v[106:107]
	v_add_f64_e32 v[12:13], v[12:13], v[152:153]
	ds_load_b128 v[90:93], v2 offset:960
	ds_load_b128 v[104:107], v2 offset:976
	scratch_load_b128 v[126:129], off, off offset:512
	v_fma_f64 v[102:103], v[114:115], v[102:103], -v[154:155]
	scratch_load_b128 v[114:117], off, off offset:528
	s_wait_loadcnt_dscnt 0xb01
	v_mul_f64_e32 v[158:159], v[90:91], v[120:121]
	v_mul_f64_e32 v[120:121], v[92:93], v[120:121]
	s_wait_loadcnt_dscnt 0xa00
	v_mul_f64_e32 v[154:155], v[104:105], v[112:113]
	v_mul_f64_e32 v[112:113], v[106:107], v[112:113]
	v_add_f64_e32 v[4:5], v[4:5], v[156:157]
	v_add_f64_e32 v[12:13], v[12:13], v[150:151]
	v_fmac_f64_e32 v[158:159], v[92:93], v[118:119]
	v_fma_f64 v[156:157], v[90:91], v[118:119], -v[120:121]
	ds_load_b128 v[90:93], v2 offset:992
	ds_load_b128 v[118:121], v2 offset:1008
	scratch_load_b128 v[150:153], off, off offset:544
	v_fmac_f64_e32 v[154:155], v[106:107], v[110:111]
	v_fma_f64 v[106:107], v[104:105], v[110:111], -v[112:113]
	v_add_f64_e32 v[4:5], v[4:5], v[102:103]
	v_add_f64_e32 v[12:13], v[12:13], v[108:109]
	scratch_load_b128 v[102:105], off, off offset:560
	s_wait_loadcnt_dscnt 0xb01
	v_mul_f64_e32 v[160:161], v[90:91], v[132:133]
	v_mul_f64_e32 v[108:109], v[92:93], v[132:133]
	v_add_f64_e32 v[4:5], v[4:5], v[156:157]
	v_add_f64_e32 v[12:13], v[12:13], v[158:159]
	s_wait_loadcnt_dscnt 0xa00
	v_mul_f64_e32 v[132:133], v[118:119], v[10:11]
	v_mul_f64_e32 v[110:111], v[120:121], v[10:11]
	v_fmac_f64_e32 v[160:161], v[92:93], v[130:131]
	v_fma_f64 v[112:113], v[90:91], v[130:131], -v[108:109]
	v_add_f64_e32 v[4:5], v[4:5], v[106:107]
	v_add_f64_e32 v[130:131], v[12:13], v[154:155]
	ds_load_b128 v[10:13], v2 offset:1024
	ds_load_b128 v[90:93], v2 offset:1040
	scratch_load_b128 v[106:109], off, off offset:576
	v_fmac_f64_e32 v[132:133], v[120:121], v[8:9]
	v_fma_f64 v[8:9], v[118:119], v[8:9], -v[110:111]
	s_wait_loadcnt_dscnt 0xa01
	v_mul_f64_e32 v[154:155], v[10:11], v[148:149]
	v_mul_f64_e32 v[148:149], v[12:13], v[148:149]
	v_add_f64_e32 v[4:5], v[4:5], v[112:113]
	v_add_f64_e32 v[118:119], v[130:131], v[160:161]
	scratch_load_b128 v[110:113], off, off offset:592
	s_wait_loadcnt_dscnt 0xa00
	v_mul_f64_e32 v[130:131], v[90:91], v[124:125]
	v_mul_f64_e32 v[124:125], v[92:93], v[124:125]
	v_fmac_f64_e32 v[154:155], v[12:13], v[146:147]
	v_fma_f64 v[12:13], v[10:11], v[146:147], -v[148:149]
	v_add_f64_e32 v[4:5], v[4:5], v[8:9]
	v_add_f64_e32 v[132:133], v[118:119], v[132:133]
	ds_load_b128 v[8:11], v2 offset:1056
	ds_load_b128 v[118:121], v2 offset:1072
	v_fmac_f64_e32 v[130:131], v[92:93], v[122:123]
	v_fma_f64 v[90:91], v[90:91], v[122:123], -v[124:125]
	s_wait_loadcnt_dscnt 0x901
	v_mul_f64_e32 v[146:147], v[8:9], v[136:137]
	v_mul_f64_e32 v[136:137], v[10:11], v[136:137]
	s_wait_loadcnt_dscnt 0x800
	v_mul_f64_e32 v[122:123], v[118:119], v[100:101]
	v_mul_f64_e32 v[100:101], v[120:121], v[100:101]
	v_add_f64_e32 v[4:5], v[4:5], v[12:13]
	v_add_f64_e32 v[12:13], v[132:133], v[154:155]
	v_fmac_f64_e32 v[146:147], v[10:11], v[134:135]
	v_fma_f64 v[124:125], v[8:9], v[134:135], -v[136:137]
	v_fmac_f64_e32 v[122:123], v[120:121], v[98:99]
	v_fma_f64 v[98:99], v[118:119], v[98:99], -v[100:101]
	v_add_f64_e32 v[4:5], v[4:5], v[90:91]
	v_add_f64_e32 v[12:13], v[12:13], v[130:131]
	ds_load_b128 v[8:11], v2 offset:1088
	ds_load_b128 v[90:93], v2 offset:1104
	s_wait_loadcnt_dscnt 0x701
	v_mul_f64_e32 v[130:131], v[8:9], v[144:145]
	v_mul_f64_e32 v[132:133], v[10:11], v[144:145]
	s_wait_loadcnt_dscnt 0x600
	v_mul_f64_e32 v[100:101], v[90:91], v[96:97]
	v_mul_f64_e32 v[118:119], v[92:93], v[96:97]
	v_add_f64_e32 v[4:5], v[4:5], v[124:125]
	v_add_f64_e32 v[12:13], v[12:13], v[146:147]
	v_fmac_f64_e32 v[130:131], v[10:11], v[142:143]
	v_fma_f64 v[120:121], v[8:9], v[142:143], -v[132:133]
	v_fmac_f64_e32 v[100:101], v[92:93], v[94:95]
	v_fma_f64 v[90:91], v[90:91], v[94:95], -v[118:119]
	v_add_f64_e32 v[4:5], v[4:5], v[98:99]
	v_add_f64_e32 v[12:13], v[12:13], v[122:123]
	ds_load_b128 v[8:11], v2 offset:1120
	ds_load_b128 v[96:99], v2 offset:1136
	;; [unrolled: 16-line block ×4, first 2 shown]
	s_wait_loadcnt_dscnt 0x101
	v_mul_f64_e32 v[94:95], v[8:9], v[108:109]
	v_mul_f64_e32 v[108:109], v[10:11], v[108:109]
	v_add_f64_e32 v[92:93], v[96:97], v[114:115]
	v_add_f64_e32 v[12:13], v[12:13], v[100:101]
	s_wait_loadcnt_dscnt 0x0
	v_mul_f64_e32 v[96:97], v[2:3], v[112:113]
	v_mul_f64_e32 v[100:101], v[4:5], v[112:113]
	v_fmac_f64_e32 v[94:95], v[10:11], v[106:107]
	v_fma_f64 v[8:9], v[8:9], v[106:107], -v[108:109]
	v_add_f64_e32 v[10:11], v[92:93], v[90:91]
	v_add_f64_e32 v[12:13], v[12:13], v[98:99]
	v_fmac_f64_e32 v[96:97], v[4:5], v[110:111]
	v_fma_f64 v[2:3], v[2:3], v[110:111], -v[100:101]
	s_delay_alu instid0(VALU_DEP_4) | instskip(NEXT) | instid1(VALU_DEP_4)
	v_add_f64_e32 v[4:5], v[10:11], v[8:9]
	v_add_f64_e32 v[8:9], v[12:13], v[94:95]
	s_delay_alu instid0(VALU_DEP_2) | instskip(NEXT) | instid1(VALU_DEP_2)
	v_add_f64_e32 v[2:3], v[4:5], v[2:3]
	v_add_f64_e32 v[4:5], v[8:9], v[96:97]
	s_delay_alu instid0(VALU_DEP_2) | instskip(NEXT) | instid1(VALU_DEP_2)
	v_add_f64_e64 v[2:3], v[138:139], -v[2:3]
	v_add_f64_e64 v[4:5], v[140:141], -v[4:5]
	scratch_store_b128 off, v[2:5], off offset:16
	s_wait_xcnt 0x0
	v_cmpx_ne_u32_e32 0, v1
	s_cbranch_execz .LBB101_241
; %bb.240:
	scratch_load_b128 v[2:5], off, off
	v_mov_b32_e32 v8, 0
	s_delay_alu instid0(VALU_DEP_1)
	v_dual_mov_b32 v9, v8 :: v_dual_mov_b32 v10, v8
	v_mov_b32_e32 v11, v8
	scratch_store_b128 off, v[8:11], off
	s_wait_loadcnt 0x0
	ds_store_b128 v6, v[2:5]
.LBB101_241:
	s_wait_xcnt 0x0
	s_or_b32 exec_lo, exec_lo, s2
	s_wait_storecnt_dscnt 0x0
	s_barrier_signal -1
	s_barrier_wait -1
	s_clause 0x9
	scratch_load_b128 v[2:5], off, off offset:16
	scratch_load_b128 v[6:9], off, off offset:32
	;; [unrolled: 1-line block ×10, first 2 shown]
	v_mov_b32_e32 v120, 0
	s_and_b32 vcc_lo, exec_lo, s50
	ds_load_b128 v[122:125], v120 offset:624
	s_clause 0x2
	scratch_load_b128 v[126:129], off, off offset:176
	scratch_load_b128 v[130:133], off, off
	scratch_load_b128 v[138:141], off, off offset:192
	s_wait_loadcnt_dscnt 0xc00
	v_mul_f64_e32 v[118:119], v[124:125], v[4:5]
	v_mul_f64_e32 v[146:147], v[122:123], v[4:5]
	ds_load_b128 v[134:137], v120 offset:640
	ds_load_b128 v[142:145], v120 offset:672
	v_fma_f64 v[118:119], v[122:123], v[2:3], -v[118:119]
	v_fmac_f64_e32 v[146:147], v[124:125], v[2:3]
	ds_load_b128 v[2:5], v120 offset:656
	s_wait_loadcnt_dscnt 0xb02
	v_mul_f64_e32 v[148:149], v[134:135], v[8:9]
	v_mul_f64_e32 v[8:9], v[136:137], v[8:9]
	scratch_load_b128 v[122:125], off, off offset:208
	s_wait_loadcnt_dscnt 0xb00
	v_mul_f64_e32 v[150:151], v[2:3], v[12:13]
	v_mul_f64_e32 v[12:13], v[4:5], v[12:13]
	v_add_f64_e32 v[118:119], 0, v[118:119]
	v_fmac_f64_e32 v[148:149], v[136:137], v[6:7]
	v_fma_f64 v[134:135], v[134:135], v[6:7], -v[8:9]
	v_add_f64_e32 v[136:137], 0, v[146:147]
	scratch_load_b128 v[6:9], off, off offset:224
	v_fmac_f64_e32 v[150:151], v[4:5], v[10:11]
	v_fma_f64 v[152:153], v[2:3], v[10:11], -v[12:13]
	ds_load_b128 v[2:5], v120 offset:688
	s_wait_loadcnt 0xb
	v_mul_f64_e32 v[146:147], v[142:143], v[92:93]
	v_mul_f64_e32 v[92:93], v[144:145], v[92:93]
	scratch_load_b128 v[10:13], off, off offset:240
	v_add_f64_e32 v[118:119], v[118:119], v[134:135]
	v_add_f64_e32 v[148:149], v[136:137], v[148:149]
	ds_load_b128 v[134:137], v120 offset:704
	s_wait_loadcnt_dscnt 0xb01
	v_mul_f64_e32 v[154:155], v[2:3], v[96:97]
	v_mul_f64_e32 v[96:97], v[4:5], v[96:97]
	v_fmac_f64_e32 v[146:147], v[144:145], v[90:91]
	v_fma_f64 v[142:143], v[142:143], v[90:91], -v[92:93]
	scratch_load_b128 v[90:93], off, off offset:256
	v_add_f64_e32 v[118:119], v[118:119], v[152:153]
	v_add_f64_e32 v[144:145], v[148:149], v[150:151]
	v_fmac_f64_e32 v[154:155], v[4:5], v[94:95]
	v_fma_f64 v[150:151], v[2:3], v[94:95], -v[96:97]
	ds_load_b128 v[2:5], v120 offset:720
	s_wait_loadcnt_dscnt 0xb01
	v_mul_f64_e32 v[148:149], v[134:135], v[100:101]
	v_mul_f64_e32 v[100:101], v[136:137], v[100:101]
	scratch_load_b128 v[94:97], off, off offset:272
	s_wait_loadcnt_dscnt 0xb00
	v_mul_f64_e32 v[152:153], v[2:3], v[104:105]
	v_mul_f64_e32 v[104:105], v[4:5], v[104:105]
	v_add_f64_e32 v[118:119], v[118:119], v[142:143]
	v_add_f64_e32 v[146:147], v[144:145], v[146:147]
	ds_load_b128 v[142:145], v120 offset:736
	v_fmac_f64_e32 v[148:149], v[136:137], v[98:99]
	v_fma_f64 v[134:135], v[134:135], v[98:99], -v[100:101]
	scratch_load_b128 v[98:101], off, off offset:288
	v_fmac_f64_e32 v[152:153], v[4:5], v[102:103]
	v_add_f64_e32 v[118:119], v[118:119], v[150:151]
	v_add_f64_e32 v[136:137], v[146:147], v[154:155]
	v_fma_f64 v[150:151], v[2:3], v[102:103], -v[104:105]
	ds_load_b128 v[2:5], v120 offset:752
	s_wait_loadcnt_dscnt 0xb01
	v_mul_f64_e32 v[146:147], v[142:143], v[108:109]
	v_mul_f64_e32 v[108:109], v[144:145], v[108:109]
	scratch_load_b128 v[102:105], off, off offset:304
	s_wait_loadcnt_dscnt 0xb00
	v_mul_f64_e32 v[154:155], v[2:3], v[112:113]
	v_mul_f64_e32 v[112:113], v[4:5], v[112:113]
	v_add_f64_e32 v[118:119], v[118:119], v[134:135]
	v_add_f64_e32 v[148:149], v[136:137], v[148:149]
	ds_load_b128 v[134:137], v120 offset:768
	v_fmac_f64_e32 v[146:147], v[144:145], v[106:107]
	v_fma_f64 v[142:143], v[142:143], v[106:107], -v[108:109]
	scratch_load_b128 v[106:109], off, off offset:320
	v_fmac_f64_e32 v[154:155], v[4:5], v[110:111]
	v_add_f64_e32 v[118:119], v[118:119], v[150:151]
	v_add_f64_e32 v[144:145], v[148:149], v[152:153]
	v_fma_f64 v[152:153], v[2:3], v[110:111], -v[112:113]
	ds_load_b128 v[2:5], v120 offset:784
	s_wait_loadcnt_dscnt 0xb01
	v_mul_f64_e32 v[148:149], v[134:135], v[116:117]
	v_mul_f64_e32 v[150:151], v[136:137], v[116:117]
	scratch_load_b128 v[110:113], off, off offset:336
	v_add_f64_e32 v[142:143], v[118:119], v[142:143]
	v_add_f64_e32 v[144:145], v[144:145], v[146:147]
	s_wait_loadcnt_dscnt 0xb00
	v_mul_f64_e32 v[146:147], v[2:3], v[128:129]
	v_mul_f64_e32 v[128:129], v[4:5], v[128:129]
	v_fmac_f64_e32 v[148:149], v[136:137], v[114:115]
	v_fma_f64 v[114:115], v[134:135], v[114:115], -v[150:151]
	ds_load_b128 v[116:119], v120 offset:800
	scratch_load_b128 v[134:137], off, off offset:352
	v_add_f64_e32 v[142:143], v[142:143], v[152:153]
	v_add_f64_e32 v[144:145], v[144:145], v[154:155]
	v_fmac_f64_e32 v[146:147], v[4:5], v[126:127]
	v_fma_f64 v[154:155], v[2:3], v[126:127], -v[128:129]
	ds_load_b128 v[2:5], v120 offset:816
	s_wait_loadcnt_dscnt 0xa01
	v_mul_f64_e32 v[150:151], v[116:117], v[140:141]
	v_mul_f64_e32 v[152:153], v[118:119], v[140:141]
	scratch_load_b128 v[126:129], off, off offset:368
	v_add_f64_e32 v[114:115], v[142:143], v[114:115]
	v_add_f64_e32 v[144:145], v[144:145], v[148:149]
	s_wait_loadcnt_dscnt 0xa00
	v_mul_f64_e32 v[148:149], v[2:3], v[124:125]
	v_mul_f64_e32 v[124:125], v[4:5], v[124:125]
	ds_load_b128 v[140:143], v120 offset:832
	v_fmac_f64_e32 v[150:151], v[118:119], v[138:139]
	v_fma_f64 v[118:119], v[116:117], v[138:139], -v[152:153]
	v_add_f64_e32 v[138:139], v[114:115], v[154:155]
	v_add_f64_e32 v[144:145], v[144:145], v[146:147]
	scratch_load_b128 v[114:117], off, off offset:384
	v_fmac_f64_e32 v[148:149], v[4:5], v[122:123]
	v_fma_f64 v[154:155], v[2:3], v[122:123], -v[124:125]
	ds_load_b128 v[2:5], v120 offset:848
	s_wait_loadcnt_dscnt 0xa01
	v_mul_f64_e32 v[152:153], v[140:141], v[8:9]
	v_mul_f64_e32 v[8:9], v[142:143], v[8:9]
	scratch_load_b128 v[122:125], off, off offset:400
	v_add_f64_e32 v[118:119], v[138:139], v[118:119]
	v_add_f64_e32 v[138:139], v[144:145], v[150:151]
	s_wait_loadcnt_dscnt 0xa00
	v_mul_f64_e32 v[150:151], v[2:3], v[12:13]
	v_mul_f64_e32 v[12:13], v[4:5], v[12:13]
	ds_load_b128 v[144:147], v120 offset:864
	v_fmac_f64_e32 v[152:153], v[142:143], v[6:7]
	v_fma_f64 v[140:141], v[140:141], v[6:7], -v[8:9]
	scratch_load_b128 v[6:9], off, off offset:416
	v_add_f64_e32 v[118:119], v[118:119], v[154:155]
	v_add_f64_e32 v[138:139], v[138:139], v[148:149]
	v_fmac_f64_e32 v[150:151], v[4:5], v[10:11]
	v_fma_f64 v[148:149], v[2:3], v[10:11], -v[12:13]
	ds_load_b128 v[2:5], v120 offset:880
	s_wait_loadcnt_dscnt 0xa01
	v_mul_f64_e32 v[142:143], v[144:145], v[92:93]
	v_mul_f64_e32 v[92:93], v[146:147], v[92:93]
	scratch_load_b128 v[10:13], off, off offset:432
	s_wait_loadcnt_dscnt 0xa00
	v_mul_f64_e32 v[154:155], v[2:3], v[96:97]
	v_mul_f64_e32 v[96:97], v[4:5], v[96:97]
	v_add_f64_e32 v[118:119], v[118:119], v[140:141]
	v_add_f64_e32 v[152:153], v[138:139], v[152:153]
	ds_load_b128 v[138:141], v120 offset:896
	v_fmac_f64_e32 v[142:143], v[146:147], v[90:91]
	v_fma_f64 v[144:145], v[144:145], v[90:91], -v[92:93]
	scratch_load_b128 v[90:93], off, off offset:448
	v_fmac_f64_e32 v[154:155], v[4:5], v[94:95]
	v_add_f64_e32 v[118:119], v[118:119], v[148:149]
	v_add_f64_e32 v[146:147], v[152:153], v[150:151]
	v_fma_f64 v[150:151], v[2:3], v[94:95], -v[96:97]
	ds_load_b128 v[2:5], v120 offset:912
	s_wait_loadcnt_dscnt 0xa01
	v_mul_f64_e32 v[148:149], v[138:139], v[100:101]
	v_mul_f64_e32 v[100:101], v[140:141], v[100:101]
	scratch_load_b128 v[94:97], off, off offset:464
	s_wait_loadcnt_dscnt 0xa00
	v_mul_f64_e32 v[152:153], v[2:3], v[104:105]
	v_mul_f64_e32 v[104:105], v[4:5], v[104:105]
	v_add_f64_e32 v[118:119], v[118:119], v[144:145]
	v_add_f64_e32 v[146:147], v[146:147], v[142:143]
	ds_load_b128 v[142:145], v120 offset:928
	v_fmac_f64_e32 v[148:149], v[140:141], v[98:99]
	v_fma_f64 v[138:139], v[138:139], v[98:99], -v[100:101]
	scratch_load_b128 v[98:101], off, off offset:480
	v_fmac_f64_e32 v[152:153], v[4:5], v[102:103]
	v_add_f64_e32 v[118:119], v[118:119], v[150:151]
	v_add_f64_e32 v[140:141], v[146:147], v[154:155]
	;; [unrolled: 18-line block ×4, first 2 shown]
	v_fma_f64 v[154:155], v[2:3], v[126:127], -v[128:129]
	ds_load_b128 v[2:5], v120 offset:1008
	s_wait_loadcnt_dscnt 0xa01
	v_mul_f64_e32 v[146:147], v[142:143], v[116:117]
	v_mul_f64_e32 v[150:151], v[144:145], v[116:117]
	ds_load_b128 v[126:129], v120 offset:1024
	v_add_f64_e32 v[138:139], v[118:119], v[138:139]
	v_add_f64_e32 v[140:141], v[140:141], v[148:149]
	scratch_load_b128 v[116:119], off, off offset:560
	s_wait_loadcnt_dscnt 0xa01
	v_mul_f64_e32 v[148:149], v[2:3], v[124:125]
	v_mul_f64_e32 v[124:125], v[4:5], v[124:125]
	v_fmac_f64_e32 v[146:147], v[144:145], v[114:115]
	v_fma_f64 v[114:115], v[142:143], v[114:115], -v[150:151]
	v_add_f64_e32 v[142:143], v[138:139], v[154:155]
	v_add_f64_e32 v[144:145], v[140:141], v[152:153]
	scratch_load_b128 v[138:141], off, off offset:576
	v_fmac_f64_e32 v[148:149], v[4:5], v[122:123]
	v_fma_f64 v[152:153], v[2:3], v[122:123], -v[124:125]
	ds_load_b128 v[2:5], v120 offset:1040
	s_wait_loadcnt_dscnt 0xa01
	v_mul_f64_e32 v[150:151], v[126:127], v[8:9]
	v_mul_f64_e32 v[8:9], v[128:129], v[8:9]
	scratch_load_b128 v[122:125], off, off offset:592
	s_wait_loadcnt_dscnt 0xa00
	v_mul_f64_e32 v[154:155], v[2:3], v[12:13]
	v_mul_f64_e32 v[12:13], v[4:5], v[12:13]
	v_add_f64_e32 v[114:115], v[142:143], v[114:115]
	v_add_f64_e32 v[146:147], v[144:145], v[146:147]
	ds_load_b128 v[142:145], v120 offset:1056
	v_fmac_f64_e32 v[150:151], v[128:129], v[6:7]
	v_fma_f64 v[6:7], v[126:127], v[6:7], -v[8:9]
	s_wait_loadcnt_dscnt 0x900
	v_mul_f64_e32 v[126:127], v[142:143], v[92:93]
	v_mul_f64_e32 v[92:93], v[144:145], v[92:93]
	v_fmac_f64_e32 v[154:155], v[4:5], v[10:11]
	v_fma_f64 v[10:11], v[2:3], v[10:11], -v[12:13]
	v_add_f64_e32 v[8:9], v[114:115], v[152:153]
	v_add_f64_e32 v[114:115], v[146:147], v[148:149]
	v_fmac_f64_e32 v[126:127], v[144:145], v[90:91]
	v_fma_f64 v[90:91], v[142:143], v[90:91], -v[92:93]
	s_delay_alu instid0(VALU_DEP_4) | instskip(NEXT) | instid1(VALU_DEP_4)
	v_add_f64_e32 v[12:13], v[8:9], v[6:7]
	v_add_f64_e32 v[114:115], v[114:115], v[150:151]
	ds_load_b128 v[2:5], v120 offset:1072
	ds_load_b128 v[6:9], v120 offset:1088
	s_wait_loadcnt_dscnt 0x801
	v_mul_f64_e32 v[128:129], v[2:3], v[96:97]
	v_mul_f64_e32 v[96:97], v[4:5], v[96:97]
	s_wait_loadcnt_dscnt 0x700
	v_mul_f64_e32 v[92:93], v[6:7], v[100:101]
	v_mul_f64_e32 v[100:101], v[8:9], v[100:101]
	v_add_f64_e32 v[10:11], v[12:13], v[10:11]
	v_add_f64_e32 v[12:13], v[114:115], v[154:155]
	v_fmac_f64_e32 v[128:129], v[4:5], v[94:95]
	v_fma_f64 v[94:95], v[2:3], v[94:95], -v[96:97]
	v_fmac_f64_e32 v[92:93], v[8:9], v[98:99]
	v_fma_f64 v[6:7], v[6:7], v[98:99], -v[100:101]
	v_add_f64_e32 v[90:91], v[10:11], v[90:91]
	v_add_f64_e32 v[96:97], v[12:13], v[126:127]
	ds_load_b128 v[2:5], v120 offset:1104
	ds_load_b128 v[10:13], v120 offset:1120
	s_wait_loadcnt_dscnt 0x601
	v_mul_f64_e32 v[114:115], v[2:3], v[104:105]
	v_mul_f64_e32 v[104:105], v[4:5], v[104:105]
	v_add_f64_e32 v[8:9], v[90:91], v[94:95]
	v_add_f64_e32 v[90:91], v[96:97], v[128:129]
	s_wait_loadcnt_dscnt 0x500
	v_mul_f64_e32 v[94:95], v[10:11], v[108:109]
	v_mul_f64_e32 v[96:97], v[12:13], v[108:109]
	v_lshl_add_u64 v[108:109], v[22:23], 4, s[4:5]
	v_lshl_add_u64 v[22:23], v[72:73], 4, s[4:5]
	v_fmac_f64_e32 v[114:115], v[4:5], v[102:103]
	v_fma_f64 v[98:99], v[2:3], v[102:103], -v[104:105]
	v_add_f64_e32 v[100:101], v[8:9], v[6:7]
	v_add_f64_e32 v[90:91], v[90:91], v[92:93]
	ds_load_b128 v[2:5], v120 offset:1136
	ds_load_b128 v[6:9], v120 offset:1152
	v_fmac_f64_e32 v[94:95], v[12:13], v[106:107]
	v_fma_f64 v[10:11], v[10:11], v[106:107], -v[96:97]
	v_lshl_add_u64 v[106:107], v[36:37], 4, s[4:5]
	v_lshl_add_u64 v[36:37], v[58:59], 4, s[4:5]
	s_wait_loadcnt_dscnt 0x401
	v_mul_f64_e32 v[92:93], v[2:3], v[112:113]
	v_mul_f64_e32 v[102:103], v[4:5], v[112:113]
	s_wait_loadcnt_dscnt 0x300
	v_mul_f64_e32 v[96:97], v[6:7], v[136:137]
	v_lshl_add_u64 v[112:113], v[20:21], 4, s[4:5]
	v_lshl_add_u64 v[20:21], v[74:75], 4, s[4:5]
	v_add_f64_e32 v[12:13], v[100:101], v[98:99]
	v_add_f64_e32 v[90:91], v[90:91], v[114:115]
	v_mul_f64_e32 v[98:99], v[8:9], v[136:137]
	v_lshl_add_u64 v[114:115], v[32:33], 4, s[4:5]
	v_lshl_add_u64 v[32:33], v[62:63], 4, s[4:5]
	v_fmac_f64_e32 v[92:93], v[4:5], v[110:111]
	v_fma_f64 v[100:101], v[2:3], v[110:111], -v[102:103]
	v_fmac_f64_e32 v[96:97], v[8:9], v[134:135]
	v_lshl_add_u64 v[110:111], v[34:35], 4, s[4:5]
	v_lshl_add_u64 v[34:35], v[60:61], 4, s[4:5]
	v_add_f64_e32 v[102:103], v[12:13], v[10:11]
	v_add_f64_e32 v[90:91], v[90:91], v[94:95]
	ds_load_b128 v[2:5], v120 offset:1168
	ds_load_b128 v[10:13], v120 offset:1184
	v_fma_f64 v[6:7], v[6:7], v[134:135], -v[98:99]
	s_wait_loadcnt_dscnt 0x201
	v_mul_f64_e32 v[94:95], v[2:3], v[118:119]
	v_mul_f64_e32 v[104:105], v[4:5], v[118:119]
	v_lshl_add_u64 v[118:119], v[28:29], 4, s[4:5]
	v_lshl_add_u64 v[28:29], v[66:67], 4, s[4:5]
	v_add_f64_e32 v[8:9], v[102:103], v[100:101]
	v_add_f64_e32 v[90:91], v[90:91], v[92:93]
	s_wait_loadcnt_dscnt 0x100
	v_mul_f64_e32 v[92:93], v[10:11], v[140:141]
	v_mul_f64_e32 v[98:99], v[12:13], v[140:141]
	v_lshl_add_u64 v[102:103], v[38:39], 4, s[4:5]
	v_lshl_add_u64 v[38:39], v[56:57], 4, s[4:5]
	v_fmac_f64_e32 v[94:95], v[4:5], v[116:117]
	v_fma_f64 v[100:101], v[2:3], v[116:117], -v[104:105]
	ds_load_b128 v[2:5], v120 offset:1200
	v_lshl_add_u64 v[116:117], v[18:19], 4, s[4:5]
	v_lshl_add_u64 v[104:105], v[24:25], 4, s[4:5]
	;; [unrolled: 1-line block ×4, first 2 shown]
	v_add_f64_e32 v[6:7], v[8:9], v[6:7]
	v_add_f64_e32 v[8:9], v[90:91], v[96:97]
	v_fmac_f64_e32 v[92:93], v[12:13], v[138:139]
	v_fma_f64 v[10:11], v[10:11], v[138:139], -v[98:99]
	v_lshl_add_u64 v[98:99], v[40:41], 4, s[4:5]
	v_lshl_add_u64 v[40:41], v[54:55], 4, s[4:5]
	;; [unrolled: 1-line block ×3, first 2 shown]
	s_wait_loadcnt_dscnt 0x0
	v_mul_f64_e32 v[90:91], v[2:3], v[124:125]
	v_mul_f64_e32 v[96:97], v[4:5], v[124:125]
	v_add_f64_e32 v[6:7], v[6:7], v[100:101]
	v_add_f64_e32 v[8:9], v[8:9], v[94:95]
	v_lshl_add_u64 v[100:101], v[26:27], 4, s[4:5]
	v_lshl_add_u64 v[94:95], v[42:43], 4, s[4:5]
	;; [unrolled: 1-line block ×4, first 2 shown]
	v_fmac_f64_e32 v[90:91], v[4:5], v[122:123]
	v_fma_f64 v[2:3], v[2:3], v[122:123], -v[96:97]
	v_lshl_add_u64 v[96:97], v[30:31], 4, s[4:5]
	v_lshl_add_u64 v[30:31], v[64:65], 4, s[4:5]
	v_add_f64_e32 v[4:5], v[6:7], v[10:11]
	v_add_f64_e32 v[6:7], v[8:9], v[92:93]
	v_lshl_add_u64 v[92:93], v[44:45], 4, s[4:5]
	v_lshl_add_u64 v[44:45], v[50:51], 4, s[4:5]
	;; [unrolled: 1-line block ×4, first 2 shown]
	v_add_f64_e32 v[2:3], v[4:5], v[2:3]
	v_add_f64_e32 v[4:5], v[6:7], v[90:91]
	v_lshl_add_u64 v[90:91], v[46:47], 4, s[4:5]
	v_lshl_add_u64 v[46:47], v[48:49], 4, s[4:5]
	;; [unrolled: 1-line block ×3, first 2 shown]
	v_add_f64_e64 v[122:123], v[130:131], -v[2:3]
	v_add_f64_e64 v[124:125], v[132:133], -v[4:5]
	v_lshl_add_u64 v[4:5], v[86:87], 4, s[4:5]
	v_lshl_add_u64 v[2:3], v[88:89], 4, s[4:5]
	scratch_store_b128 off, v[122:125], off
	s_cbranch_vccz .LBB101_316
; %bb.242:
	global_load_b32 v48, v120, s[8:9] offset:144
	s_load_b64 s[2:3], s[0:1], 0x4
	v_bfe_u32 v49, v0, 10, 10
	v_bfe_u32 v0, v0, 20, 10
	s_wait_kmcnt 0x0
	s_lshr_b32 s0, s2, 16
	s_delay_alu instid0(VALU_DEP_2) | instskip(SKIP_1) | instid1(SALU_CYCLE_1)
	v_mul_u32_u24_e32 v49, s3, v49
	s_mul_i32 s0, s0, s3
	v_mul_u32_u24_e32 v1, s0, v1
	s_delay_alu instid0(VALU_DEP_1) | instskip(NEXT) | instid1(VALU_DEP_1)
	v_add3_u32 v0, v1, v49, v0
	v_lshl_add_u32 v0, v0, 4, 0x4c8
	s_wait_loadcnt 0x0
	v_cmp_ne_u32_e32 vcc_lo, 37, v48
	s_cbranch_vccz .LBB101_244
; %bb.243:
	v_lshlrev_b32_e32 v1, 4, v48
	s_clause 0x1
	scratch_load_b128 v[48:51], off, s15
	scratch_load_b128 v[52:55], v1, off offset:-16
	s_wait_loadcnt 0x1
	ds_store_2addr_b64 v0, v[48:49], v[50:51] offset1:1
	s_wait_loadcnt 0x0
	s_clause 0x1
	scratch_store_b128 off, v[52:55], s15
	scratch_store_b128 v1, v[48:51], off offset:-16
.LBB101_244:
	s_wait_xcnt 0x0
	v_mov_b32_e32 v1, 0
	global_load_b32 v48, v1, s[8:9] offset:140
	s_wait_loadcnt 0x0
	v_cmp_eq_u32_e32 vcc_lo, 36, v48
	s_cbranch_vccnz .LBB101_246
; %bb.245:
	v_lshlrev_b32_e32 v48, 4, v48
	s_delay_alu instid0(VALU_DEP_1)
	v_mov_b32_e32 v56, v48
	s_clause 0x1
	scratch_load_b128 v[48:51], off, s17
	scratch_load_b128 v[52:55], v56, off offset:-16
	s_wait_loadcnt 0x1
	ds_store_2addr_b64 v0, v[48:49], v[50:51] offset1:1
	s_wait_loadcnt 0x0
	s_clause 0x1
	scratch_store_b128 off, v[52:55], s17
	scratch_store_b128 v56, v[48:51], off offset:-16
.LBB101_246:
	global_load_b32 v1, v1, s[8:9] offset:136
	s_wait_loadcnt 0x0
	v_cmp_eq_u32_e32 vcc_lo, 35, v1
	s_cbranch_vccnz .LBB101_248
; %bb.247:
	s_wait_xcnt 0x0
	v_lshlrev_b32_e32 v1, 4, v1
	s_clause 0x1
	scratch_load_b128 v[48:51], off, s19
	scratch_load_b128 v[52:55], v1, off offset:-16
	s_wait_loadcnt 0x1
	ds_store_2addr_b64 v0, v[48:49], v[50:51] offset1:1
	s_wait_loadcnt 0x0
	s_clause 0x1
	scratch_store_b128 off, v[52:55], s19
	scratch_store_b128 v1, v[48:51], off offset:-16
.LBB101_248:
	s_wait_xcnt 0x0
	v_mov_b32_e32 v1, 0
	global_load_b32 v48, v1, s[8:9] offset:132
	s_wait_loadcnt 0x0
	v_cmp_eq_u32_e32 vcc_lo, 34, v48
	s_cbranch_vccnz .LBB101_250
; %bb.249:
	v_lshlrev_b32_e32 v48, 4, v48
	s_delay_alu instid0(VALU_DEP_1)
	v_mov_b32_e32 v56, v48
	s_clause 0x1
	scratch_load_b128 v[48:51], off, s20
	scratch_load_b128 v[52:55], v56, off offset:-16
	s_wait_loadcnt 0x1
	ds_store_2addr_b64 v0, v[48:49], v[50:51] offset1:1
	s_wait_loadcnt 0x0
	s_clause 0x1
	scratch_store_b128 off, v[52:55], s20
	scratch_store_b128 v56, v[48:51], off offset:-16
.LBB101_250:
	global_load_b32 v1, v1, s[8:9] offset:128
	s_wait_loadcnt 0x0
	v_cmp_eq_u32_e32 vcc_lo, 33, v1
	s_cbranch_vccnz .LBB101_252
; %bb.251:
	s_wait_xcnt 0x0
	v_lshlrev_b32_e32 v1, 4, v1
	s_clause 0x1
	scratch_load_b128 v[48:51], off, s21
	scratch_load_b128 v[52:55], v1, off offset:-16
	s_wait_loadcnt 0x1
	ds_store_2addr_b64 v0, v[48:49], v[50:51] offset1:1
	s_wait_loadcnt 0x0
	s_clause 0x1
	scratch_store_b128 off, v[52:55], s21
	scratch_store_b128 v1, v[48:51], off offset:-16
.LBB101_252:
	s_wait_xcnt 0x0
	v_mov_b32_e32 v1, 0
	global_load_b32 v48, v1, s[8:9] offset:124
	s_wait_loadcnt 0x0
	v_cmp_eq_u32_e32 vcc_lo, 32, v48
	s_cbranch_vccnz .LBB101_254
; %bb.253:
	v_lshlrev_b32_e32 v48, 4, v48
	s_delay_alu instid0(VALU_DEP_1)
	v_mov_b32_e32 v56, v48
	s_clause 0x1
	scratch_load_b128 v[48:51], off, s22
	scratch_load_b128 v[52:55], v56, off offset:-16
	s_wait_loadcnt 0x1
	ds_store_2addr_b64 v0, v[48:49], v[50:51] offset1:1
	s_wait_loadcnt 0x0
	s_clause 0x1
	scratch_store_b128 off, v[52:55], s22
	scratch_store_b128 v56, v[48:51], off offset:-16
.LBB101_254:
	global_load_b32 v1, v1, s[8:9] offset:120
	s_wait_loadcnt 0x0
	v_cmp_eq_u32_e32 vcc_lo, 31, v1
	s_cbranch_vccnz .LBB101_256
; %bb.255:
	s_wait_xcnt 0x0
	v_lshlrev_b32_e32 v1, 4, v1
	s_clause 0x1
	scratch_load_b128 v[48:51], off, s23
	scratch_load_b128 v[52:55], v1, off offset:-16
	s_wait_loadcnt 0x1
	ds_store_2addr_b64 v0, v[48:49], v[50:51] offset1:1
	s_wait_loadcnt 0x0
	s_clause 0x1
	scratch_store_b128 off, v[52:55], s23
	scratch_store_b128 v1, v[48:51], off offset:-16
.LBB101_256:
	s_wait_xcnt 0x0
	v_mov_b32_e32 v1, 0
	global_load_b32 v48, v1, s[8:9] offset:116
	s_wait_loadcnt 0x0
	v_cmp_eq_u32_e32 vcc_lo, 30, v48
	s_cbranch_vccnz .LBB101_258
; %bb.257:
	v_lshlrev_b32_e32 v48, 4, v48
	s_delay_alu instid0(VALU_DEP_1)
	v_mov_b32_e32 v56, v48
	s_clause 0x1
	scratch_load_b128 v[48:51], off, s24
	scratch_load_b128 v[52:55], v56, off offset:-16
	s_wait_loadcnt 0x1
	ds_store_2addr_b64 v0, v[48:49], v[50:51] offset1:1
	s_wait_loadcnt 0x0
	s_clause 0x1
	scratch_store_b128 off, v[52:55], s24
	scratch_store_b128 v56, v[48:51], off offset:-16
.LBB101_258:
	global_load_b32 v1, v1, s[8:9] offset:112
	s_wait_loadcnt 0x0
	v_cmp_eq_u32_e32 vcc_lo, 29, v1
	s_cbranch_vccnz .LBB101_260
; %bb.259:
	s_wait_xcnt 0x0
	v_lshlrev_b32_e32 v1, 4, v1
	s_clause 0x1
	scratch_load_b128 v[48:51], off, s25
	scratch_load_b128 v[52:55], v1, off offset:-16
	s_wait_loadcnt 0x1
	ds_store_2addr_b64 v0, v[48:49], v[50:51] offset1:1
	s_wait_loadcnt 0x0
	s_clause 0x1
	scratch_store_b128 off, v[52:55], s25
	scratch_store_b128 v1, v[48:51], off offset:-16
.LBB101_260:
	s_wait_xcnt 0x0
	v_mov_b32_e32 v1, 0
	global_load_b32 v48, v1, s[8:9] offset:108
	s_wait_loadcnt 0x0
	v_cmp_eq_u32_e32 vcc_lo, 28, v48
	s_cbranch_vccnz .LBB101_262
; %bb.261:
	v_lshlrev_b32_e32 v48, 4, v48
	s_delay_alu instid0(VALU_DEP_1)
	v_mov_b32_e32 v56, v48
	s_clause 0x1
	scratch_load_b128 v[48:51], off, s26
	scratch_load_b128 v[52:55], v56, off offset:-16
	s_wait_loadcnt 0x1
	ds_store_2addr_b64 v0, v[48:49], v[50:51] offset1:1
	s_wait_loadcnt 0x0
	s_clause 0x1
	scratch_store_b128 off, v[52:55], s26
	scratch_store_b128 v56, v[48:51], off offset:-16
.LBB101_262:
	global_load_b32 v1, v1, s[8:9] offset:104
	s_wait_loadcnt 0x0
	v_cmp_eq_u32_e32 vcc_lo, 27, v1
	s_cbranch_vccnz .LBB101_264
; %bb.263:
	s_wait_xcnt 0x0
	v_lshlrev_b32_e32 v1, 4, v1
	s_clause 0x1
	scratch_load_b128 v[48:51], off, s27
	scratch_load_b128 v[52:55], v1, off offset:-16
	s_wait_loadcnt 0x1
	ds_store_2addr_b64 v0, v[48:49], v[50:51] offset1:1
	s_wait_loadcnt 0x0
	s_clause 0x1
	scratch_store_b128 off, v[52:55], s27
	scratch_store_b128 v1, v[48:51], off offset:-16
.LBB101_264:
	s_wait_xcnt 0x0
	v_mov_b32_e32 v1, 0
	global_load_b32 v48, v1, s[8:9] offset:100
	s_wait_loadcnt 0x0
	v_cmp_eq_u32_e32 vcc_lo, 26, v48
	s_cbranch_vccnz .LBB101_266
; %bb.265:
	v_lshlrev_b32_e32 v48, 4, v48
	s_delay_alu instid0(VALU_DEP_1)
	v_mov_b32_e32 v56, v48
	s_clause 0x1
	scratch_load_b128 v[48:51], off, s28
	scratch_load_b128 v[52:55], v56, off offset:-16
	s_wait_loadcnt 0x1
	ds_store_2addr_b64 v0, v[48:49], v[50:51] offset1:1
	s_wait_loadcnt 0x0
	s_clause 0x1
	scratch_store_b128 off, v[52:55], s28
	scratch_store_b128 v56, v[48:51], off offset:-16
.LBB101_266:
	global_load_b32 v1, v1, s[8:9] offset:96
	s_wait_loadcnt 0x0
	v_cmp_eq_u32_e32 vcc_lo, 25, v1
	s_cbranch_vccnz .LBB101_268
; %bb.267:
	s_wait_xcnt 0x0
	v_lshlrev_b32_e32 v1, 4, v1
	s_clause 0x1
	scratch_load_b128 v[48:51], off, s29
	scratch_load_b128 v[52:55], v1, off offset:-16
	s_wait_loadcnt 0x1
	ds_store_2addr_b64 v0, v[48:49], v[50:51] offset1:1
	s_wait_loadcnt 0x0
	s_clause 0x1
	scratch_store_b128 off, v[52:55], s29
	scratch_store_b128 v1, v[48:51], off offset:-16
.LBB101_268:
	s_wait_xcnt 0x0
	v_mov_b32_e32 v1, 0
	global_load_b32 v48, v1, s[8:9] offset:92
	s_wait_loadcnt 0x0
	v_cmp_eq_u32_e32 vcc_lo, 24, v48
	s_cbranch_vccnz .LBB101_270
; %bb.269:
	v_lshlrev_b32_e32 v48, 4, v48
	s_delay_alu instid0(VALU_DEP_1)
	v_mov_b32_e32 v56, v48
	s_clause 0x1
	scratch_load_b128 v[48:51], off, s30
	scratch_load_b128 v[52:55], v56, off offset:-16
	s_wait_loadcnt 0x1
	ds_store_2addr_b64 v0, v[48:49], v[50:51] offset1:1
	s_wait_loadcnt 0x0
	s_clause 0x1
	scratch_store_b128 off, v[52:55], s30
	scratch_store_b128 v56, v[48:51], off offset:-16
.LBB101_270:
	global_load_b32 v1, v1, s[8:9] offset:88
	s_wait_loadcnt 0x0
	v_cmp_eq_u32_e32 vcc_lo, 23, v1
	s_cbranch_vccnz .LBB101_272
; %bb.271:
	s_wait_xcnt 0x0
	v_lshlrev_b32_e32 v1, 4, v1
	s_clause 0x1
	scratch_load_b128 v[48:51], off, s31
	scratch_load_b128 v[52:55], v1, off offset:-16
	s_wait_loadcnt 0x1
	ds_store_2addr_b64 v0, v[48:49], v[50:51] offset1:1
	s_wait_loadcnt 0x0
	s_clause 0x1
	scratch_store_b128 off, v[52:55], s31
	scratch_store_b128 v1, v[48:51], off offset:-16
.LBB101_272:
	s_wait_xcnt 0x0
	v_mov_b32_e32 v1, 0
	global_load_b32 v48, v1, s[8:9] offset:84
	s_wait_loadcnt 0x0
	v_cmp_eq_u32_e32 vcc_lo, 22, v48
	s_cbranch_vccnz .LBB101_274
; %bb.273:
	v_lshlrev_b32_e32 v48, 4, v48
	s_delay_alu instid0(VALU_DEP_1)
	v_mov_b32_e32 v56, v48
	s_clause 0x1
	scratch_load_b128 v[48:51], off, s33
	scratch_load_b128 v[52:55], v56, off offset:-16
	s_wait_loadcnt 0x1
	ds_store_2addr_b64 v0, v[48:49], v[50:51] offset1:1
	s_wait_loadcnt 0x0
	s_clause 0x1
	scratch_store_b128 off, v[52:55], s33
	scratch_store_b128 v56, v[48:51], off offset:-16
.LBB101_274:
	global_load_b32 v1, v1, s[8:9] offset:80
	s_wait_loadcnt 0x0
	v_cmp_eq_u32_e32 vcc_lo, 21, v1
	s_cbranch_vccnz .LBB101_276
; %bb.275:
	s_wait_xcnt 0x0
	v_lshlrev_b32_e32 v1, 4, v1
	s_clause 0x1
	scratch_load_b128 v[48:51], off, s34
	scratch_load_b128 v[52:55], v1, off offset:-16
	s_wait_loadcnt 0x1
	ds_store_2addr_b64 v0, v[48:49], v[50:51] offset1:1
	s_wait_loadcnt 0x0
	s_clause 0x1
	scratch_store_b128 off, v[52:55], s34
	scratch_store_b128 v1, v[48:51], off offset:-16
.LBB101_276:
	s_wait_xcnt 0x0
	v_mov_b32_e32 v1, 0
	global_load_b32 v48, v1, s[8:9] offset:76
	s_wait_loadcnt 0x0
	v_cmp_eq_u32_e32 vcc_lo, 20, v48
	s_cbranch_vccnz .LBB101_278
; %bb.277:
	v_lshlrev_b32_e32 v48, 4, v48
	s_delay_alu instid0(VALU_DEP_1)
	v_mov_b32_e32 v56, v48
	s_clause 0x1
	scratch_load_b128 v[48:51], off, s35
	scratch_load_b128 v[52:55], v56, off offset:-16
	s_wait_loadcnt 0x1
	ds_store_2addr_b64 v0, v[48:49], v[50:51] offset1:1
	s_wait_loadcnt 0x0
	s_clause 0x1
	scratch_store_b128 off, v[52:55], s35
	scratch_store_b128 v56, v[48:51], off offset:-16
.LBB101_278:
	global_load_b32 v1, v1, s[8:9] offset:72
	s_wait_loadcnt 0x0
	v_cmp_eq_u32_e32 vcc_lo, 19, v1
	s_cbranch_vccnz .LBB101_280
; %bb.279:
	s_wait_xcnt 0x0
	v_lshlrev_b32_e32 v1, 4, v1
	s_clause 0x1
	scratch_load_b128 v[48:51], off, s36
	scratch_load_b128 v[52:55], v1, off offset:-16
	s_wait_loadcnt 0x1
	ds_store_2addr_b64 v0, v[48:49], v[50:51] offset1:1
	s_wait_loadcnt 0x0
	s_clause 0x1
	scratch_store_b128 off, v[52:55], s36
	scratch_store_b128 v1, v[48:51], off offset:-16
.LBB101_280:
	s_wait_xcnt 0x0
	v_mov_b32_e32 v1, 0
	global_load_b32 v48, v1, s[8:9] offset:68
	s_wait_loadcnt 0x0
	v_cmp_eq_u32_e32 vcc_lo, 18, v48
	s_cbranch_vccnz .LBB101_282
; %bb.281:
	v_lshlrev_b32_e32 v48, 4, v48
	s_delay_alu instid0(VALU_DEP_1)
	v_mov_b32_e32 v56, v48
	s_clause 0x1
	scratch_load_b128 v[48:51], off, s37
	scratch_load_b128 v[52:55], v56, off offset:-16
	s_wait_loadcnt 0x1
	ds_store_2addr_b64 v0, v[48:49], v[50:51] offset1:1
	s_wait_loadcnt 0x0
	s_clause 0x1
	scratch_store_b128 off, v[52:55], s37
	scratch_store_b128 v56, v[48:51], off offset:-16
.LBB101_282:
	global_load_b32 v1, v1, s[8:9] offset:64
	s_wait_loadcnt 0x0
	v_cmp_eq_u32_e32 vcc_lo, 17, v1
	s_cbranch_vccnz .LBB101_284
; %bb.283:
	s_wait_xcnt 0x0
	v_lshlrev_b32_e32 v1, 4, v1
	s_clause 0x1
	scratch_load_b128 v[48:51], off, s38
	scratch_load_b128 v[52:55], v1, off offset:-16
	s_wait_loadcnt 0x1
	ds_store_2addr_b64 v0, v[48:49], v[50:51] offset1:1
	s_wait_loadcnt 0x0
	s_clause 0x1
	scratch_store_b128 off, v[52:55], s38
	scratch_store_b128 v1, v[48:51], off offset:-16
.LBB101_284:
	s_wait_xcnt 0x0
	v_mov_b32_e32 v1, 0
	global_load_b32 v48, v1, s[8:9] offset:60
	s_wait_loadcnt 0x0
	v_cmp_eq_u32_e32 vcc_lo, 16, v48
	s_cbranch_vccnz .LBB101_286
; %bb.285:
	v_lshlrev_b32_e32 v48, 4, v48
	s_delay_alu instid0(VALU_DEP_1)
	v_mov_b32_e32 v56, v48
	s_clause 0x1
	scratch_load_b128 v[48:51], off, s39
	scratch_load_b128 v[52:55], v56, off offset:-16
	s_wait_loadcnt 0x1
	ds_store_2addr_b64 v0, v[48:49], v[50:51] offset1:1
	s_wait_loadcnt 0x0
	s_clause 0x1
	scratch_store_b128 off, v[52:55], s39
	scratch_store_b128 v56, v[48:51], off offset:-16
.LBB101_286:
	global_load_b32 v1, v1, s[8:9] offset:56
	s_wait_loadcnt 0x0
	v_cmp_eq_u32_e32 vcc_lo, 15, v1
	s_cbranch_vccnz .LBB101_288
; %bb.287:
	s_wait_xcnt 0x0
	v_lshlrev_b32_e32 v1, 4, v1
	s_clause 0x1
	scratch_load_b128 v[48:51], off, s40
	scratch_load_b128 v[52:55], v1, off offset:-16
	s_wait_loadcnt 0x1
	ds_store_2addr_b64 v0, v[48:49], v[50:51] offset1:1
	s_wait_loadcnt 0x0
	s_clause 0x1
	scratch_store_b128 off, v[52:55], s40
	scratch_store_b128 v1, v[48:51], off offset:-16
.LBB101_288:
	s_wait_xcnt 0x0
	v_mov_b32_e32 v1, 0
	global_load_b32 v48, v1, s[8:9] offset:52
	s_wait_loadcnt 0x0
	v_cmp_eq_u32_e32 vcc_lo, 14, v48
	s_cbranch_vccnz .LBB101_290
; %bb.289:
	v_lshlrev_b32_e32 v48, 4, v48
	s_delay_alu instid0(VALU_DEP_1)
	v_mov_b32_e32 v56, v48
	s_clause 0x1
	scratch_load_b128 v[48:51], off, s41
	scratch_load_b128 v[52:55], v56, off offset:-16
	s_wait_loadcnt 0x1
	ds_store_2addr_b64 v0, v[48:49], v[50:51] offset1:1
	s_wait_loadcnt 0x0
	s_clause 0x1
	scratch_store_b128 off, v[52:55], s41
	scratch_store_b128 v56, v[48:51], off offset:-16
.LBB101_290:
	global_load_b32 v1, v1, s[8:9] offset:48
	s_wait_loadcnt 0x0
	v_cmp_eq_u32_e32 vcc_lo, 13, v1
	s_cbranch_vccnz .LBB101_292
; %bb.291:
	s_wait_xcnt 0x0
	v_lshlrev_b32_e32 v1, 4, v1
	s_clause 0x1
	scratch_load_b128 v[48:51], off, s42
	scratch_load_b128 v[52:55], v1, off offset:-16
	s_wait_loadcnt 0x1
	ds_store_2addr_b64 v0, v[48:49], v[50:51] offset1:1
	s_wait_loadcnt 0x0
	s_clause 0x1
	scratch_store_b128 off, v[52:55], s42
	scratch_store_b128 v1, v[48:51], off offset:-16
.LBB101_292:
	s_wait_xcnt 0x0
	v_mov_b32_e32 v1, 0
	global_load_b32 v48, v1, s[8:9] offset:44
	s_wait_loadcnt 0x0
	v_cmp_eq_u32_e32 vcc_lo, 12, v48
	s_cbranch_vccnz .LBB101_294
; %bb.293:
	v_lshlrev_b32_e32 v48, 4, v48
	s_delay_alu instid0(VALU_DEP_1)
	v_mov_b32_e32 v56, v48
	s_clause 0x1
	scratch_load_b128 v[48:51], off, s43
	scratch_load_b128 v[52:55], v56, off offset:-16
	s_wait_loadcnt 0x1
	ds_store_2addr_b64 v0, v[48:49], v[50:51] offset1:1
	s_wait_loadcnt 0x0
	s_clause 0x1
	scratch_store_b128 off, v[52:55], s43
	scratch_store_b128 v56, v[48:51], off offset:-16
.LBB101_294:
	global_load_b32 v1, v1, s[8:9] offset:40
	s_wait_loadcnt 0x0
	v_cmp_eq_u32_e32 vcc_lo, 11, v1
	s_cbranch_vccnz .LBB101_296
; %bb.295:
	s_wait_xcnt 0x0
	v_lshlrev_b32_e32 v1, 4, v1
	s_clause 0x1
	scratch_load_b128 v[48:51], off, s44
	scratch_load_b128 v[52:55], v1, off offset:-16
	s_wait_loadcnt 0x1
	ds_store_2addr_b64 v0, v[48:49], v[50:51] offset1:1
	s_wait_loadcnt 0x0
	s_clause 0x1
	scratch_store_b128 off, v[52:55], s44
	scratch_store_b128 v1, v[48:51], off offset:-16
.LBB101_296:
	s_wait_xcnt 0x0
	v_mov_b32_e32 v1, 0
	global_load_b32 v48, v1, s[8:9] offset:36
	s_wait_loadcnt 0x0
	v_cmp_eq_u32_e32 vcc_lo, 10, v48
	s_cbranch_vccnz .LBB101_298
; %bb.297:
	v_lshlrev_b32_e32 v48, 4, v48
	s_delay_alu instid0(VALU_DEP_1)
	v_mov_b32_e32 v56, v48
	s_clause 0x1
	scratch_load_b128 v[48:51], off, s45
	scratch_load_b128 v[52:55], v56, off offset:-16
	s_wait_loadcnt 0x1
	ds_store_2addr_b64 v0, v[48:49], v[50:51] offset1:1
	s_wait_loadcnt 0x0
	s_clause 0x1
	scratch_store_b128 off, v[52:55], s45
	scratch_store_b128 v56, v[48:51], off offset:-16
.LBB101_298:
	global_load_b32 v1, v1, s[8:9] offset:32
	s_wait_loadcnt 0x0
	v_cmp_eq_u32_e32 vcc_lo, 9, v1
	s_cbranch_vccnz .LBB101_300
; %bb.299:
	s_wait_xcnt 0x0
	v_lshlrev_b32_e32 v1, 4, v1
	s_clause 0x1
	scratch_load_b128 v[48:51], off, s46
	scratch_load_b128 v[52:55], v1, off offset:-16
	s_wait_loadcnt 0x1
	ds_store_2addr_b64 v0, v[48:49], v[50:51] offset1:1
	s_wait_loadcnt 0x0
	s_clause 0x1
	scratch_store_b128 off, v[52:55], s46
	scratch_store_b128 v1, v[48:51], off offset:-16
.LBB101_300:
	s_wait_xcnt 0x0
	v_mov_b32_e32 v1, 0
	global_load_b32 v48, v1, s[8:9] offset:28
	s_wait_loadcnt 0x0
	v_cmp_eq_u32_e32 vcc_lo, 8, v48
	s_cbranch_vccnz .LBB101_302
; %bb.301:
	v_lshlrev_b32_e32 v48, 4, v48
	s_delay_alu instid0(VALU_DEP_1)
	v_mov_b32_e32 v56, v48
	s_clause 0x1
	scratch_load_b128 v[48:51], off, s47
	scratch_load_b128 v[52:55], v56, off offset:-16
	s_wait_loadcnt 0x1
	ds_store_2addr_b64 v0, v[48:49], v[50:51] offset1:1
	s_wait_loadcnt 0x0
	s_clause 0x1
	scratch_store_b128 off, v[52:55], s47
	scratch_store_b128 v56, v[48:51], off offset:-16
.LBB101_302:
	global_load_b32 v1, v1, s[8:9] offset:24
	s_wait_loadcnt 0x0
	v_cmp_eq_u32_e32 vcc_lo, 7, v1
	s_cbranch_vccnz .LBB101_304
; %bb.303:
	s_wait_xcnt 0x0
	v_lshlrev_b32_e32 v1, 4, v1
	s_clause 0x1
	scratch_load_b128 v[48:51], off, s48
	scratch_load_b128 v[52:55], v1, off offset:-16
	s_wait_loadcnt 0x1
	ds_store_2addr_b64 v0, v[48:49], v[50:51] offset1:1
	s_wait_loadcnt 0x0
	s_clause 0x1
	scratch_store_b128 off, v[52:55], s48
	scratch_store_b128 v1, v[48:51], off offset:-16
.LBB101_304:
	s_wait_xcnt 0x0
	v_mov_b32_e32 v1, 0
	global_load_b32 v48, v1, s[8:9] offset:20
	s_wait_loadcnt 0x0
	v_cmp_eq_u32_e32 vcc_lo, 6, v48
	s_cbranch_vccnz .LBB101_306
; %bb.305:
	v_lshlrev_b32_e32 v48, 4, v48
	s_delay_alu instid0(VALU_DEP_1)
	v_mov_b32_e32 v56, v48
	s_clause 0x1
	scratch_load_b128 v[48:51], off, s49
	scratch_load_b128 v[52:55], v56, off offset:-16
	s_wait_loadcnt 0x1
	ds_store_2addr_b64 v0, v[48:49], v[50:51] offset1:1
	s_wait_loadcnt 0x0
	s_clause 0x1
	scratch_store_b128 off, v[52:55], s49
	scratch_store_b128 v56, v[48:51], off offset:-16
.LBB101_306:
	global_load_b32 v1, v1, s[8:9] offset:16
	s_wait_loadcnt 0x0
	v_cmp_eq_u32_e32 vcc_lo, 5, v1
	s_cbranch_vccnz .LBB101_308
; %bb.307:
	s_wait_xcnt 0x0
	v_lshlrev_b32_e32 v1, 4, v1
	s_clause 0x1
	scratch_load_b128 v[48:51], off, s12
	scratch_load_b128 v[52:55], v1, off offset:-16
	s_wait_loadcnt 0x1
	ds_store_2addr_b64 v0, v[48:49], v[50:51] offset1:1
	s_wait_loadcnt 0x0
	s_clause 0x1
	scratch_store_b128 off, v[52:55], s12
	scratch_store_b128 v1, v[48:51], off offset:-16
.LBB101_308:
	s_wait_xcnt 0x0
	v_mov_b32_e32 v1, 0
	global_load_b32 v48, v1, s[8:9] offset:12
	s_wait_loadcnt 0x0
	v_cmp_eq_u32_e32 vcc_lo, 4, v48
	s_cbranch_vccnz .LBB101_310
; %bb.309:
	v_lshlrev_b32_e32 v48, 4, v48
	s_delay_alu instid0(VALU_DEP_1)
	v_mov_b32_e32 v56, v48
	s_clause 0x1
	scratch_load_b128 v[48:51], off, s14
	scratch_load_b128 v[52:55], v56, off offset:-16
	s_wait_loadcnt 0x1
	ds_store_2addr_b64 v0, v[48:49], v[50:51] offset1:1
	s_wait_loadcnt 0x0
	s_clause 0x1
	scratch_store_b128 off, v[52:55], s14
	scratch_store_b128 v56, v[48:51], off offset:-16
.LBB101_310:
	global_load_b32 v1, v1, s[8:9] offset:8
	s_wait_loadcnt 0x0
	v_cmp_eq_u32_e32 vcc_lo, 3, v1
	s_cbranch_vccnz .LBB101_312
; %bb.311:
	s_wait_xcnt 0x0
	v_lshlrev_b32_e32 v1, 4, v1
	s_clause 0x1
	scratch_load_b128 v[48:51], off, s16
	scratch_load_b128 v[52:55], v1, off offset:-16
	s_wait_loadcnt 0x1
	ds_store_2addr_b64 v0, v[48:49], v[50:51] offset1:1
	s_wait_loadcnt 0x0
	s_clause 0x1
	scratch_store_b128 off, v[52:55], s16
	scratch_store_b128 v1, v[48:51], off offset:-16
.LBB101_312:
	s_wait_xcnt 0x0
	v_mov_b32_e32 v1, 0
	global_load_b32 v48, v1, s[8:9] offset:4
	s_wait_loadcnt 0x0
	v_cmp_eq_u32_e32 vcc_lo, 2, v48
	s_cbranch_vccnz .LBB101_314
; %bb.313:
	v_lshlrev_b32_e32 v48, 4, v48
	s_delay_alu instid0(VALU_DEP_1)
	v_mov_b32_e32 v56, v48
	s_clause 0x1
	scratch_load_b128 v[48:51], off, s18
	scratch_load_b128 v[52:55], v56, off offset:-16
	s_wait_loadcnt 0x1
	ds_store_2addr_b64 v0, v[48:49], v[50:51] offset1:1
	s_wait_loadcnt 0x0
	s_clause 0x1
	scratch_store_b128 off, v[52:55], s18
	scratch_store_b128 v56, v[48:51], off offset:-16
.LBB101_314:
	global_load_b32 v1, v1, s[8:9]
	s_wait_loadcnt 0x0
	v_cmp_eq_u32_e32 vcc_lo, 1, v1
	s_cbranch_vccnz .LBB101_316
; %bb.315:
	s_wait_xcnt 0x0
	v_lshlrev_b32_e32 v1, 4, v1
	scratch_load_b128 v[48:51], off, off
	scratch_load_b128 v[52:55], v1, off offset:-16
	s_wait_loadcnt 0x1
	ds_store_2addr_b64 v0, v[48:49], v[50:51] offset1:1
	s_wait_loadcnt 0x0
	scratch_store_b128 off, v[52:55], off
	scratch_store_b128 v1, v[48:51], off offset:-16
.LBB101_316:
	scratch_load_b128 v[48:51], off, off
	s_wait_loadcnt 0x0
	flat_store_b128 v[14:15], v[48:51]
	scratch_load_b128 v[48:51], off, s18
	s_wait_loadcnt 0x0
	flat_store_b128 v[16:17], v[48:51]
	scratch_load_b128 v[14:17], off, s16
	;; [unrolled: 3-line block ×37, first 2 shown]
	s_wait_loadcnt 0x0
	flat_store_b128 v[2:3], v[4:7]
	s_sendmsg sendmsg(MSG_DEALLOC_VGPRS)
	s_endpgm
	.section	.rodata,"a",@progbits
	.p2align	6, 0x0
	.amdhsa_kernel _ZN9rocsolver6v33100L18getri_kernel_smallILi38E19rocblas_complex_numIdEPKPS3_EEvT1_iilPiilS8_bb
		.amdhsa_group_segment_fixed_size 2248
		.amdhsa_private_segment_fixed_size 624
		.amdhsa_kernarg_size 60
		.amdhsa_user_sgpr_count 4
		.amdhsa_user_sgpr_dispatch_ptr 1
		.amdhsa_user_sgpr_queue_ptr 0
		.amdhsa_user_sgpr_kernarg_segment_ptr 1
		.amdhsa_user_sgpr_dispatch_id 0
		.amdhsa_user_sgpr_kernarg_preload_length 0
		.amdhsa_user_sgpr_kernarg_preload_offset 0
		.amdhsa_user_sgpr_private_segment_size 0
		.amdhsa_wavefront_size32 1
		.amdhsa_uses_dynamic_stack 0
		.amdhsa_enable_private_segment 1
		.amdhsa_system_sgpr_workgroup_id_x 1
		.amdhsa_system_sgpr_workgroup_id_y 0
		.amdhsa_system_sgpr_workgroup_id_z 0
		.amdhsa_system_sgpr_workgroup_info 0
		.amdhsa_system_vgpr_workitem_id 2
		.amdhsa_next_free_vgpr 162
		.amdhsa_next_free_sgpr 67
		.amdhsa_named_barrier_count 0
		.amdhsa_reserve_vcc 1
		.amdhsa_float_round_mode_32 0
		.amdhsa_float_round_mode_16_64 0
		.amdhsa_float_denorm_mode_32 3
		.amdhsa_float_denorm_mode_16_64 3
		.amdhsa_fp16_overflow 0
		.amdhsa_memory_ordered 1
		.amdhsa_forward_progress 1
		.amdhsa_inst_pref_size 255
		.amdhsa_round_robin_scheduling 0
		.amdhsa_exception_fp_ieee_invalid_op 0
		.amdhsa_exception_fp_denorm_src 0
		.amdhsa_exception_fp_ieee_div_zero 0
		.amdhsa_exception_fp_ieee_overflow 0
		.amdhsa_exception_fp_ieee_underflow 0
		.amdhsa_exception_fp_ieee_inexact 0
		.amdhsa_exception_int_div_zero 0
	.end_amdhsa_kernel
	.section	.text._ZN9rocsolver6v33100L18getri_kernel_smallILi38E19rocblas_complex_numIdEPKPS3_EEvT1_iilPiilS8_bb,"axG",@progbits,_ZN9rocsolver6v33100L18getri_kernel_smallILi38E19rocblas_complex_numIdEPKPS3_EEvT1_iilPiilS8_bb,comdat
.Lfunc_end101:
	.size	_ZN9rocsolver6v33100L18getri_kernel_smallILi38E19rocblas_complex_numIdEPKPS3_EEvT1_iilPiilS8_bb, .Lfunc_end101-_ZN9rocsolver6v33100L18getri_kernel_smallILi38E19rocblas_complex_numIdEPKPS3_EEvT1_iilPiilS8_bb
                                        ; -- End function
	.set _ZN9rocsolver6v33100L18getri_kernel_smallILi38E19rocblas_complex_numIdEPKPS3_EEvT1_iilPiilS8_bb.num_vgpr, 162
	.set _ZN9rocsolver6v33100L18getri_kernel_smallILi38E19rocblas_complex_numIdEPKPS3_EEvT1_iilPiilS8_bb.num_agpr, 0
	.set _ZN9rocsolver6v33100L18getri_kernel_smallILi38E19rocblas_complex_numIdEPKPS3_EEvT1_iilPiilS8_bb.numbered_sgpr, 67
	.set _ZN9rocsolver6v33100L18getri_kernel_smallILi38E19rocblas_complex_numIdEPKPS3_EEvT1_iilPiilS8_bb.num_named_barrier, 0
	.set _ZN9rocsolver6v33100L18getri_kernel_smallILi38E19rocblas_complex_numIdEPKPS3_EEvT1_iilPiilS8_bb.private_seg_size, 624
	.set _ZN9rocsolver6v33100L18getri_kernel_smallILi38E19rocblas_complex_numIdEPKPS3_EEvT1_iilPiilS8_bb.uses_vcc, 1
	.set _ZN9rocsolver6v33100L18getri_kernel_smallILi38E19rocblas_complex_numIdEPKPS3_EEvT1_iilPiilS8_bb.uses_flat_scratch, 1
	.set _ZN9rocsolver6v33100L18getri_kernel_smallILi38E19rocblas_complex_numIdEPKPS3_EEvT1_iilPiilS8_bb.has_dyn_sized_stack, 0
	.set _ZN9rocsolver6v33100L18getri_kernel_smallILi38E19rocblas_complex_numIdEPKPS3_EEvT1_iilPiilS8_bb.has_recursion, 0
	.set _ZN9rocsolver6v33100L18getri_kernel_smallILi38E19rocblas_complex_numIdEPKPS3_EEvT1_iilPiilS8_bb.has_indirect_call, 0
	.section	.AMDGPU.csdata,"",@progbits
; Kernel info:
; codeLenInByte = 60260
; TotalNumSgprs: 69
; NumVgprs: 162
; ScratchSize: 624
; MemoryBound: 0
; FloatMode: 240
; IeeeMode: 1
; LDSByteSize: 2248 bytes/workgroup (compile time only)
; SGPRBlocks: 0
; VGPRBlocks: 10
; NumSGPRsForWavesPerEU: 69
; NumVGPRsForWavesPerEU: 162
; NamedBarCnt: 0
; Occupancy: 5
; WaveLimiterHint : 1
; COMPUTE_PGM_RSRC2:SCRATCH_EN: 1
; COMPUTE_PGM_RSRC2:USER_SGPR: 4
; COMPUTE_PGM_RSRC2:TRAP_HANDLER: 0
; COMPUTE_PGM_RSRC2:TGID_X_EN: 1
; COMPUTE_PGM_RSRC2:TGID_Y_EN: 0
; COMPUTE_PGM_RSRC2:TGID_Z_EN: 0
; COMPUTE_PGM_RSRC2:TIDIG_COMP_CNT: 2
	.section	.text._ZN9rocsolver6v33100L18getri_kernel_smallILi39E19rocblas_complex_numIdEPKPS3_EEvT1_iilPiilS8_bb,"axG",@progbits,_ZN9rocsolver6v33100L18getri_kernel_smallILi39E19rocblas_complex_numIdEPKPS3_EEvT1_iilPiilS8_bb,comdat
	.globl	_ZN9rocsolver6v33100L18getri_kernel_smallILi39E19rocblas_complex_numIdEPKPS3_EEvT1_iilPiilS8_bb ; -- Begin function _ZN9rocsolver6v33100L18getri_kernel_smallILi39E19rocblas_complex_numIdEPKPS3_EEvT1_iilPiilS8_bb
	.p2align	8
	.type	_ZN9rocsolver6v33100L18getri_kernel_smallILi39E19rocblas_complex_numIdEPKPS3_EEvT1_iilPiilS8_bb,@function
_ZN9rocsolver6v33100L18getri_kernel_smallILi39E19rocblas_complex_numIdEPKPS3_EEvT1_iilPiilS8_bb: ; @_ZN9rocsolver6v33100L18getri_kernel_smallILi39E19rocblas_complex_numIdEPKPS3_EEvT1_iilPiilS8_bb
; %bb.0:
	v_and_b32_e32 v1, 0x3ff, v0
	s_mov_b32 s4, exec_lo
	s_delay_alu instid0(VALU_DEP_1)
	v_cmpx_gt_u32_e32 39, v1
	s_cbranch_execz .LBB102_170
; %bb.1:
	s_clause 0x1
	s_load_b32 s16, s[2:3], 0x38
	s_load_b64 s[8:9], s[2:3], 0x0
	s_getreg_b32 s6, hwreg(HW_REG_IB_STS2, 6, 4)
	s_wait_kmcnt 0x0
	s_bitcmp1_b32 s16, 8
	s_cselect_b32 s51, -1, 0
	s_bfe_u32 s4, ttmp6, 0x4000c
	s_and_b32 s5, ttmp6, 15
	s_add_co_i32 s4, s4, 1
	s_delay_alu instid0(SALU_CYCLE_1) | instskip(NEXT) | instid1(SALU_CYCLE_1)
	s_mul_i32 s4, ttmp9, s4
	s_add_co_i32 s5, s5, s4
	s_cmp_eq_u32 s6, 0
	s_cselect_b32 s10, ttmp9, s5
	s_load_b128 s[4:7], s[2:3], 0x28
	s_ashr_i32 s11, s10, 31
	s_delay_alu instid0(SALU_CYCLE_1) | instskip(NEXT) | instid1(SALU_CYCLE_1)
	s_lshl_b64 s[12:13], s[10:11], 3
	s_add_nc_u64 s[8:9], s[8:9], s[12:13]
	s_load_b64 s[14:15], s[8:9], 0x0
	s_wait_xcnt 0x0
	s_bfe_u32 s8, s16, 0x10008
	s_delay_alu instid0(SALU_CYCLE_1)
	s_cmp_eq_u32 s8, 0
                                        ; implicit-def: $sgpr8_sgpr9
	s_cbranch_scc1 .LBB102_3
; %bb.2:
	s_load_b96 s[16:18], s[2:3], 0x18
	s_wait_kmcnt 0x0
	s_mul_u64 s[4:5], s[4:5], s[10:11]
	s_delay_alu instid0(SALU_CYCLE_1) | instskip(SKIP_4) | instid1(SALU_CYCLE_1)
	s_lshl_b64 s[4:5], s[4:5], 2
	s_ashr_i32 s9, s18, 31
	s_mov_b32 s8, s18
	s_add_nc_u64 s[4:5], s[16:17], s[4:5]
	s_lshl_b64 s[8:9], s[8:9], 2
	s_add_nc_u64 s[8:9], s[4:5], s[8:9]
.LBB102_3:
	s_clause 0x1
	s_load_b64 s[12:13], s[2:3], 0x8
	s_load_b32 s52, s[2:3], 0x38
	v_dual_mov_b32 v15, 0 :: v_dual_lshlrev_b32 v14, 4, v1
	s_movk_i32 s53, 0x170
	s_movk_i32 s54, 0x180
	;; [unrolled: 1-line block ×16, first 2 shown]
	s_wait_kmcnt 0x0
	s_ashr_i32 s3, s12, 31
	s_mov_b32 s2, s12
	v_add3_u32 v20, s13, s13, v1
	s_lshl_b64 s[2:3], s[2:3], 4
	s_mov_b32 s18, 16
	s_add_nc_u64 s[4:5], s[14:15], s[2:3]
	s_ashr_i32 s3, s13, 31
	flat_load_b128 v[2:5], v1, s[4:5] scale_offset
	v_add_nc_u64_e32 v[16:17], s[4:5], v[14:15]
	s_mov_b32 s2, s13
	v_add_nc_u32_e32 v22, s13, v20
	s_mov_b32 s16, 32
	s_mov_b32 s14, 48
	;; [unrolled: 1-line block ×3, first 2 shown]
	s_movk_i32 s50, 0x50
	v_lshl_add_u64 v[18:19], s[2:3], 4, v[16:17]
	v_add_nc_u32_e32 v24, s13, v22
	s_movk_i32 s49, 0x60
	s_movk_i32 s48, 0x70
	s_movk_i32 s47, 0x80
	s_movk_i32 s46, 0x90
	v_add_nc_u32_e32 v26, s13, v24
	s_movk_i32 s45, 0xa0
	s_movk_i32 s44, 0xb0
	s_movk_i32 s43, 0xc0
	s_movk_i32 s42, 0xd0
	;; [unrolled: 5-line block ×4, first 2 shown]
	v_add_nc_u32_e32 v34, s13, v30
	s_movk_i32 s33, 0x160
	s_mov_b32 s31, s53
	s_mov_b32 s30, s54
	s_mov_b32 s29, s55
	v_add_nc_u32_e32 v32, s13, v34
	s_mov_b32 s28, s56
	s_mov_b32 s27, s57
	s_mov_b32 s26, s58
	s_mov_b32 s25, s59
	v_add_nc_u32_e32 v36, s13, v32
	s_mov_b32 s24, s60
	;; [unrolled: 5-line block ×3, first 2 shown]
	s_mov_b32 s19, s65
	s_mov_b32 s17, s66
	;; [unrolled: 1-line block ×3, first 2 shown]
	v_add_nc_u32_e32 v40, s13, v38
	s_bitcmp0_b32 s52, 0
	s_mov_b32 s3, -1
	s_delay_alu instid0(VALU_DEP_1) | instskip(NEXT) | instid1(VALU_DEP_1)
	v_add_nc_u32_e32 v42, s13, v40
	v_add_nc_u32_e32 v44, s13, v42
	s_delay_alu instid0(VALU_DEP_1) | instskip(NEXT) | instid1(VALU_DEP_1)
	v_add_nc_u32_e32 v46, s13, v44
	v_add_nc_u32_e32 v48, s13, v46
	;; [unrolled: 3-line block ×13, first 2 shown]
	s_mov_b32 s13, s68
	s_wait_loadcnt_dscnt 0x0
	scratch_store_b128 off, v[2:5], off
	flat_load_b128 v[2:5], v[18:19]
	s_wait_loadcnt_dscnt 0x0
	scratch_store_b128 off, v[2:5], off offset:16
	flat_load_b128 v[2:5], v20, s[4:5] scale_offset
	s_wait_loadcnt_dscnt 0x0
	scratch_store_b128 off, v[2:5], off offset:32
	flat_load_b128 v[2:5], v22, s[4:5] scale_offset
	;; [unrolled: 3-line block ×37, first 2 shown]
	s_wait_loadcnt_dscnt 0x0
	scratch_store_b128 off, v[2:5], off offset:608
	s_cbranch_scc1 .LBB102_168
; %bb.4:
	v_cmp_eq_u32_e64 s2, 0, v1
	s_wait_xcnt 0x0
	s_and_saveexec_b32 s3, s2
; %bb.5:
	v_mov_b32_e32 v2, 0
	ds_store_b32 v2, v2 offset:1248
; %bb.6:
	s_or_b32 exec_lo, exec_lo, s3
	s_wait_storecnt_dscnt 0x0
	s_barrier_signal -1
	s_barrier_wait -1
	scratch_load_b128 v[2:5], v1, off scale_offset
	s_wait_loadcnt 0x0
	v_cmp_eq_f64_e32 vcc_lo, 0, v[2:3]
	v_cmp_eq_f64_e64 s3, 0, v[4:5]
	s_and_b32 s3, vcc_lo, s3
	s_delay_alu instid0(SALU_CYCLE_1)
	s_and_saveexec_b32 s52, s3
	s_cbranch_execz .LBB102_10
; %bb.7:
	v_mov_b32_e32 v2, 0
	s_mov_b32 s53, 0
	ds_load_b32 v3, v2 offset:1248
	s_wait_dscnt 0x0
	v_readfirstlane_b32 s3, v3
	v_add_nc_u32_e32 v3, 1, v1
	s_cmp_eq_u32 s3, 0
	s_delay_alu instid0(VALU_DEP_1) | instskip(SKIP_1) | instid1(SALU_CYCLE_1)
	v_cmp_gt_i32_e32 vcc_lo, s3, v3
	s_cselect_b32 s54, -1, 0
	s_or_b32 s54, s54, vcc_lo
	s_delay_alu instid0(SALU_CYCLE_1)
	s_and_b32 exec_lo, exec_lo, s54
	s_cbranch_execz .LBB102_10
; %bb.8:
	v_mov_b32_e32 v4, s3
.LBB102_9:                              ; =>This Inner Loop Header: Depth=1
	ds_cmpstore_rtn_b32 v4, v2, v3, v4 offset:1248
	s_wait_dscnt 0x0
	v_cmp_ne_u32_e32 vcc_lo, 0, v4
	v_cmp_le_i32_e64 s3, v4, v3
	s_and_b32 s3, vcc_lo, s3
	s_delay_alu instid0(SALU_CYCLE_1) | instskip(NEXT) | instid1(SALU_CYCLE_1)
	s_and_b32 s3, exec_lo, s3
	s_or_b32 s53, s3, s53
	s_delay_alu instid0(SALU_CYCLE_1)
	s_and_not1_b32 exec_lo, exec_lo, s53
	s_cbranch_execnz .LBB102_9
.LBB102_10:
	s_or_b32 exec_lo, exec_lo, s52
	v_mov_b32_e32 v2, 0
	s_barrier_signal -1
	s_barrier_wait -1
	ds_load_b32 v3, v2 offset:1248
	s_and_saveexec_b32 s3, s2
	s_cbranch_execz .LBB102_12
; %bb.11:
	s_lshl_b64 s[52:53], s[10:11], 2
	s_delay_alu instid0(SALU_CYCLE_1)
	s_add_nc_u64 s[52:53], s[6:7], s[52:53]
	s_wait_dscnt 0x0
	global_store_b32 v2, v3, s[52:53]
.LBB102_12:
	s_wait_xcnt 0x0
	s_or_b32 exec_lo, exec_lo, s3
	s_wait_dscnt 0x0
	v_cmp_ne_u32_e32 vcc_lo, 0, v3
	s_mov_b32 s3, 0
	s_cbranch_vccnz .LBB102_168
; %bb.13:
	v_lshl_add_u32 v15, v1, 4, 0
                                        ; implicit-def: $vgpr6_vgpr7
                                        ; implicit-def: $vgpr10_vgpr11
	scratch_load_b128 v[2:5], v15, off
	s_wait_loadcnt 0x0
	v_cmp_ngt_f64_e64 s3, |v[2:3]|, |v[4:5]|
	s_wait_xcnt 0x0
	s_and_saveexec_b32 s52, s3
	s_delay_alu instid0(SALU_CYCLE_1)
	s_xor_b32 s3, exec_lo, s52
	s_cbranch_execz .LBB102_15
; %bb.14:
	v_div_scale_f64 v[6:7], null, v[4:5], v[4:5], v[2:3]
	v_div_scale_f64 v[12:13], vcc_lo, v[2:3], v[4:5], v[2:3]
	s_delay_alu instid0(VALU_DEP_2) | instskip(SKIP_1) | instid1(TRANS32_DEP_1)
	v_rcp_f64_e32 v[8:9], v[6:7]
	v_nop
	v_fma_f64 v[10:11], -v[6:7], v[8:9], 1.0
	s_delay_alu instid0(VALU_DEP_1) | instskip(NEXT) | instid1(VALU_DEP_1)
	v_fmac_f64_e32 v[8:9], v[8:9], v[10:11]
	v_fma_f64 v[10:11], -v[6:7], v[8:9], 1.0
	s_delay_alu instid0(VALU_DEP_1) | instskip(NEXT) | instid1(VALU_DEP_1)
	v_fmac_f64_e32 v[8:9], v[8:9], v[10:11]
	v_mul_f64_e32 v[10:11], v[12:13], v[8:9]
	s_delay_alu instid0(VALU_DEP_1) | instskip(NEXT) | instid1(VALU_DEP_1)
	v_fma_f64 v[6:7], -v[6:7], v[10:11], v[12:13]
	v_div_fmas_f64 v[6:7], v[6:7], v[8:9], v[10:11]
	s_delay_alu instid0(VALU_DEP_1) | instskip(NEXT) | instid1(VALU_DEP_1)
	v_div_fixup_f64 v[6:7], v[6:7], v[4:5], v[2:3]
	v_fmac_f64_e32 v[4:5], v[2:3], v[6:7]
	s_delay_alu instid0(VALU_DEP_1) | instskip(SKIP_1) | instid1(VALU_DEP_2)
	v_div_scale_f64 v[2:3], null, v[4:5], v[4:5], 1.0
	v_div_scale_f64 v[12:13], vcc_lo, 1.0, v[4:5], 1.0
	v_rcp_f64_e32 v[8:9], v[2:3]
	v_nop
	s_delay_alu instid0(TRANS32_DEP_1) | instskip(NEXT) | instid1(VALU_DEP_1)
	v_fma_f64 v[10:11], -v[2:3], v[8:9], 1.0
	v_fmac_f64_e32 v[8:9], v[8:9], v[10:11]
	s_delay_alu instid0(VALU_DEP_1) | instskip(NEXT) | instid1(VALU_DEP_1)
	v_fma_f64 v[10:11], -v[2:3], v[8:9], 1.0
	v_fmac_f64_e32 v[8:9], v[8:9], v[10:11]
	s_delay_alu instid0(VALU_DEP_1) | instskip(NEXT) | instid1(VALU_DEP_1)
	v_mul_f64_e32 v[10:11], v[12:13], v[8:9]
	v_fma_f64 v[2:3], -v[2:3], v[10:11], v[12:13]
	s_delay_alu instid0(VALU_DEP_1) | instskip(NEXT) | instid1(VALU_DEP_1)
	v_div_fmas_f64 v[2:3], v[2:3], v[8:9], v[10:11]
	v_div_fixup_f64 v[8:9], v[2:3], v[4:5], 1.0
                                        ; implicit-def: $vgpr2_vgpr3
	s_delay_alu instid0(VALU_DEP_1) | instskip(SKIP_1) | instid1(VALU_DEP_2)
	v_mul_f64_e32 v[6:7], v[6:7], v[8:9]
	v_xor_b32_e32 v9, 0x80000000, v9
	v_xor_b32_e32 v11, 0x80000000, v7
	s_delay_alu instid0(VALU_DEP_3)
	v_mov_b32_e32 v10, v6
.LBB102_15:
	s_and_not1_saveexec_b32 s3, s3
	s_cbranch_execz .LBB102_17
; %bb.16:
	v_div_scale_f64 v[6:7], null, v[2:3], v[2:3], v[4:5]
	v_div_scale_f64 v[12:13], vcc_lo, v[4:5], v[2:3], v[4:5]
	s_delay_alu instid0(VALU_DEP_2) | instskip(SKIP_1) | instid1(TRANS32_DEP_1)
	v_rcp_f64_e32 v[8:9], v[6:7]
	v_nop
	v_fma_f64 v[10:11], -v[6:7], v[8:9], 1.0
	s_delay_alu instid0(VALU_DEP_1) | instskip(NEXT) | instid1(VALU_DEP_1)
	v_fmac_f64_e32 v[8:9], v[8:9], v[10:11]
	v_fma_f64 v[10:11], -v[6:7], v[8:9], 1.0
	s_delay_alu instid0(VALU_DEP_1) | instskip(NEXT) | instid1(VALU_DEP_1)
	v_fmac_f64_e32 v[8:9], v[8:9], v[10:11]
	v_mul_f64_e32 v[10:11], v[12:13], v[8:9]
	s_delay_alu instid0(VALU_DEP_1) | instskip(NEXT) | instid1(VALU_DEP_1)
	v_fma_f64 v[6:7], -v[6:7], v[10:11], v[12:13]
	v_div_fmas_f64 v[6:7], v[6:7], v[8:9], v[10:11]
	s_delay_alu instid0(VALU_DEP_1) | instskip(NEXT) | instid1(VALU_DEP_1)
	v_div_fixup_f64 v[8:9], v[6:7], v[2:3], v[4:5]
	v_fmac_f64_e32 v[2:3], v[4:5], v[8:9]
	s_delay_alu instid0(VALU_DEP_1) | instskip(NEXT) | instid1(VALU_DEP_1)
	v_div_scale_f64 v[4:5], null, v[2:3], v[2:3], 1.0
	v_rcp_f64_e32 v[6:7], v[4:5]
	v_nop
	s_delay_alu instid0(TRANS32_DEP_1) | instskip(NEXT) | instid1(VALU_DEP_1)
	v_fma_f64 v[10:11], -v[4:5], v[6:7], 1.0
	v_fmac_f64_e32 v[6:7], v[6:7], v[10:11]
	s_delay_alu instid0(VALU_DEP_1) | instskip(NEXT) | instid1(VALU_DEP_1)
	v_fma_f64 v[10:11], -v[4:5], v[6:7], 1.0
	v_fmac_f64_e32 v[6:7], v[6:7], v[10:11]
	v_div_scale_f64 v[10:11], vcc_lo, 1.0, v[2:3], 1.0
	s_delay_alu instid0(VALU_DEP_1) | instskip(NEXT) | instid1(VALU_DEP_1)
	v_mul_f64_e32 v[12:13], v[10:11], v[6:7]
	v_fma_f64 v[4:5], -v[4:5], v[12:13], v[10:11]
	s_delay_alu instid0(VALU_DEP_1) | instskip(NEXT) | instid1(VALU_DEP_1)
	v_div_fmas_f64 v[4:5], v[4:5], v[6:7], v[12:13]
	v_div_fixup_f64 v[6:7], v[4:5], v[2:3], 1.0
	s_delay_alu instid0(VALU_DEP_1)
	v_mul_f64_e64 v[8:9], v[8:9], -v[6:7]
	v_xor_b32_e32 v11, 0x80000000, v7
	v_mov_b32_e32 v10, v6
.LBB102_17:
	s_or_b32 exec_lo, exec_lo, s3
	s_clause 0x1
	scratch_store_b128 v15, v[6:9], off
	scratch_load_b128 v[2:5], off, s18
	v_xor_b32_e32 v13, 0x80000000, v9
	v_mov_b32_e32 v12, v8
	s_wait_xcnt 0x1
	v_add_nc_u32_e32 v6, 0x270, v14
	ds_store_b128 v14, v[10:13]
	s_wait_loadcnt 0x0
	ds_store_b128 v14, v[2:5] offset:624
	s_wait_storecnt_dscnt 0x0
	s_barrier_signal -1
	s_barrier_wait -1
	s_wait_xcnt 0x0
	s_and_saveexec_b32 s3, s2
	s_cbranch_execz .LBB102_19
; %bb.18:
	scratch_load_b128 v[2:5], v15, off
	ds_load_b128 v[8:11], v6
	v_mov_b32_e32 v7, 0
	ds_load_b128 v[94:97], v7 offset:16
	s_wait_loadcnt_dscnt 0x1
	v_mul_f64_e32 v[12:13], v[8:9], v[4:5]
	v_mul_f64_e32 v[4:5], v[10:11], v[4:5]
	s_delay_alu instid0(VALU_DEP_2) | instskip(NEXT) | instid1(VALU_DEP_2)
	v_fmac_f64_e32 v[12:13], v[10:11], v[2:3]
	v_fma_f64 v[2:3], v[8:9], v[2:3], -v[4:5]
	s_delay_alu instid0(VALU_DEP_2) | instskip(NEXT) | instid1(VALU_DEP_2)
	v_add_f64_e32 v[8:9], 0, v[12:13]
	v_add_f64_e32 v[2:3], 0, v[2:3]
	s_wait_dscnt 0x0
	s_delay_alu instid0(VALU_DEP_2) | instskip(NEXT) | instid1(VALU_DEP_2)
	v_mul_f64_e32 v[10:11], v[8:9], v[96:97]
	v_mul_f64_e32 v[4:5], v[2:3], v[96:97]
	s_delay_alu instid0(VALU_DEP_2) | instskip(NEXT) | instid1(VALU_DEP_2)
	v_fma_f64 v[2:3], v[2:3], v[94:95], -v[10:11]
	v_fmac_f64_e32 v[4:5], v[8:9], v[94:95]
	scratch_store_b128 off, v[2:5], off offset:16
.LBB102_19:
	s_wait_xcnt 0x0
	s_or_b32 exec_lo, exec_lo, s3
	s_wait_storecnt 0x0
	s_barrier_signal -1
	s_barrier_wait -1
	scratch_load_b128 v[2:5], off, s16
	s_mov_b32 s3, exec_lo
	s_wait_loadcnt 0x0
	ds_store_b128 v6, v[2:5]
	s_wait_dscnt 0x0
	s_barrier_signal -1
	s_barrier_wait -1
	v_cmpx_gt_u32_e32 2, v1
	s_cbranch_execz .LBB102_23
; %bb.20:
	scratch_load_b128 v[2:5], v15, off
	ds_load_b128 v[8:11], v6
	s_wait_loadcnt_dscnt 0x0
	v_mul_f64_e32 v[12:13], v[10:11], v[4:5]
	v_mul_f64_e32 v[94:95], v[8:9], v[4:5]
	s_delay_alu instid0(VALU_DEP_2) | instskip(NEXT) | instid1(VALU_DEP_2)
	v_fma_f64 v[4:5], v[8:9], v[2:3], -v[12:13]
	v_fmac_f64_e32 v[94:95], v[10:11], v[2:3]
	s_delay_alu instid0(VALU_DEP_2) | instskip(NEXT) | instid1(VALU_DEP_2)
	v_add_f64_e32 v[4:5], 0, v[4:5]
	v_add_f64_e32 v[2:3], 0, v[94:95]
	s_and_saveexec_b32 s52, s2
	s_cbranch_execz .LBB102_22
; %bb.21:
	scratch_load_b128 v[8:11], off, off offset:16
	v_mov_b32_e32 v7, 0
	ds_load_b128 v[94:97], v7 offset:640
	s_wait_loadcnt_dscnt 0x0
	v_mul_f64_e32 v[12:13], v[94:95], v[10:11]
	v_mul_f64_e32 v[10:11], v[96:97], v[10:11]
	s_delay_alu instid0(VALU_DEP_2) | instskip(NEXT) | instid1(VALU_DEP_2)
	v_fmac_f64_e32 v[12:13], v[96:97], v[8:9]
	v_fma_f64 v[8:9], v[94:95], v[8:9], -v[10:11]
	s_delay_alu instid0(VALU_DEP_2) | instskip(NEXT) | instid1(VALU_DEP_2)
	v_add_f64_e32 v[2:3], v[2:3], v[12:13]
	v_add_f64_e32 v[4:5], v[4:5], v[8:9]
.LBB102_22:
	s_or_b32 exec_lo, exec_lo, s52
	v_mov_b32_e32 v7, 0
	ds_load_b128 v[8:11], v7 offset:32
	s_wait_dscnt 0x0
	v_mul_f64_e32 v[94:95], v[2:3], v[10:11]
	v_mul_f64_e32 v[12:13], v[4:5], v[10:11]
	s_delay_alu instid0(VALU_DEP_2) | instskip(NEXT) | instid1(VALU_DEP_2)
	v_fma_f64 v[10:11], v[4:5], v[8:9], -v[94:95]
	v_fmac_f64_e32 v[12:13], v[2:3], v[8:9]
	scratch_store_b128 off, v[10:13], off offset:32
.LBB102_23:
	s_wait_xcnt 0x0
	s_or_b32 exec_lo, exec_lo, s3
	s_wait_storecnt 0x0
	s_barrier_signal -1
	s_barrier_wait -1
	scratch_load_b128 v[2:5], off, s14
	v_add_nc_u32_e32 v7, -1, v1
	s_mov_b32 s2, exec_lo
	s_wait_loadcnt 0x0
	ds_store_b128 v6, v[2:5]
	s_wait_dscnt 0x0
	s_barrier_signal -1
	s_barrier_wait -1
	v_cmpx_gt_u32_e32 3, v1
	s_cbranch_execz .LBB102_27
; %bb.24:
	v_dual_mov_b32 v10, v14 :: v_dual_add_nc_u32 v8, -1, v1
	v_mov_b64_e32 v[2:3], 0
	v_mov_b64_e32 v[4:5], 0
	v_add_nc_u32_e32 v9, 0x270, v14
	s_delay_alu instid0(VALU_DEP_4)
	v_or_b32_e32 v10, 8, v10
	s_mov_b32 s3, 0
.LBB102_25:                             ; =>This Inner Loop Header: Depth=1
	scratch_load_b128 v[94:97], v10, off offset:-8
	ds_load_b128 v[98:101], v9
	s_wait_xcnt 0x0
	v_dual_add_nc_u32 v9, 16, v9 :: v_dual_add_nc_u32 v10, 16, v10
	v_add_nc_u32_e32 v8, 1, v8
	s_delay_alu instid0(VALU_DEP_1) | instskip(SKIP_4) | instid1(VALU_DEP_2)
	v_cmp_lt_u32_e32 vcc_lo, 1, v8
	s_or_b32 s3, vcc_lo, s3
	s_wait_loadcnt_dscnt 0x0
	v_mul_f64_e32 v[12:13], v[100:101], v[96:97]
	v_mul_f64_e32 v[96:97], v[98:99], v[96:97]
	v_fma_f64 v[12:13], v[98:99], v[94:95], -v[12:13]
	s_delay_alu instid0(VALU_DEP_2) | instskip(NEXT) | instid1(VALU_DEP_2)
	v_fmac_f64_e32 v[96:97], v[100:101], v[94:95]
	v_add_f64_e32 v[4:5], v[4:5], v[12:13]
	s_delay_alu instid0(VALU_DEP_2)
	v_add_f64_e32 v[2:3], v[2:3], v[96:97]
	s_and_not1_b32 exec_lo, exec_lo, s3
	s_cbranch_execnz .LBB102_25
; %bb.26:
	s_or_b32 exec_lo, exec_lo, s3
	v_mov_b32_e32 v8, 0
	ds_load_b128 v[8:11], v8 offset:48
	s_wait_dscnt 0x0
	v_mul_f64_e32 v[94:95], v[2:3], v[10:11]
	v_mul_f64_e32 v[12:13], v[4:5], v[10:11]
	s_delay_alu instid0(VALU_DEP_2) | instskip(NEXT) | instid1(VALU_DEP_2)
	v_fma_f64 v[10:11], v[4:5], v[8:9], -v[94:95]
	v_fmac_f64_e32 v[12:13], v[2:3], v[8:9]
	scratch_store_b128 off, v[10:13], off offset:48
.LBB102_27:
	s_wait_xcnt 0x0
	s_or_b32 exec_lo, exec_lo, s2
	s_wait_storecnt 0x0
	s_barrier_signal -1
	s_barrier_wait -1
	scratch_load_b128 v[2:5], off, s12
	s_mov_b32 s2, exec_lo
	s_wait_loadcnt 0x0
	ds_store_b128 v6, v[2:5]
	s_wait_dscnt 0x0
	s_barrier_signal -1
	s_barrier_wait -1
	v_cmpx_gt_u32_e32 4, v1
	s_cbranch_execz .LBB102_31
; %bb.28:
	v_dual_mov_b32 v10, v14 :: v_dual_add_nc_u32 v8, -1, v1
	v_mov_b64_e32 v[2:3], 0
	v_mov_b64_e32 v[4:5], 0
	v_add_nc_u32_e32 v9, 0x270, v14
	s_delay_alu instid0(VALU_DEP_4)
	v_or_b32_e32 v10, 8, v10
	s_mov_b32 s3, 0
.LBB102_29:                             ; =>This Inner Loop Header: Depth=1
	scratch_load_b128 v[94:97], v10, off offset:-8
	ds_load_b128 v[98:101], v9
	s_wait_xcnt 0x0
	v_dual_add_nc_u32 v9, 16, v9 :: v_dual_add_nc_u32 v10, 16, v10
	v_add_nc_u32_e32 v8, 1, v8
	s_delay_alu instid0(VALU_DEP_1) | instskip(SKIP_4) | instid1(VALU_DEP_2)
	v_cmp_lt_u32_e32 vcc_lo, 2, v8
	s_or_b32 s3, vcc_lo, s3
	s_wait_loadcnt_dscnt 0x0
	v_mul_f64_e32 v[12:13], v[100:101], v[96:97]
	v_mul_f64_e32 v[96:97], v[98:99], v[96:97]
	v_fma_f64 v[12:13], v[98:99], v[94:95], -v[12:13]
	s_delay_alu instid0(VALU_DEP_2) | instskip(NEXT) | instid1(VALU_DEP_2)
	v_fmac_f64_e32 v[96:97], v[100:101], v[94:95]
	v_add_f64_e32 v[4:5], v[4:5], v[12:13]
	s_delay_alu instid0(VALU_DEP_2)
	v_add_f64_e32 v[2:3], v[2:3], v[96:97]
	s_and_not1_b32 exec_lo, exec_lo, s3
	s_cbranch_execnz .LBB102_29
; %bb.30:
	s_or_b32 exec_lo, exec_lo, s3
	v_mov_b32_e32 v8, 0
	ds_load_b128 v[8:11], v8 offset:64
	s_wait_dscnt 0x0
	v_mul_f64_e32 v[94:95], v[2:3], v[10:11]
	v_mul_f64_e32 v[12:13], v[4:5], v[10:11]
	s_delay_alu instid0(VALU_DEP_2) | instskip(NEXT) | instid1(VALU_DEP_2)
	v_fma_f64 v[10:11], v[4:5], v[8:9], -v[94:95]
	v_fmac_f64_e32 v[12:13], v[2:3], v[8:9]
	scratch_store_b128 off, v[10:13], off offset:64
.LBB102_31:
	s_wait_xcnt 0x0
	s_or_b32 exec_lo, exec_lo, s2
	s_wait_storecnt 0x0
	s_barrier_signal -1
	s_barrier_wait -1
	scratch_load_b128 v[2:5], off, s50
	s_mov_b32 s2, exec_lo
	s_wait_loadcnt 0x0
	ds_store_b128 v6, v[2:5]
	s_wait_dscnt 0x0
	s_barrier_signal -1
	s_barrier_wait -1
	v_cmpx_gt_u32_e32 5, v1
	s_cbranch_execz .LBB102_35
; %bb.32:
	v_dual_mov_b32 v10, v14 :: v_dual_add_nc_u32 v8, -1, v1
	v_mov_b64_e32 v[2:3], 0
	v_mov_b64_e32 v[4:5], 0
	v_add_nc_u32_e32 v9, 0x270, v14
	s_delay_alu instid0(VALU_DEP_4)
	v_or_b32_e32 v10, 8, v10
	s_mov_b32 s3, 0
.LBB102_33:                             ; =>This Inner Loop Header: Depth=1
	scratch_load_b128 v[94:97], v10, off offset:-8
	ds_load_b128 v[98:101], v9
	s_wait_xcnt 0x0
	v_dual_add_nc_u32 v9, 16, v9 :: v_dual_add_nc_u32 v10, 16, v10
	v_add_nc_u32_e32 v8, 1, v8
	s_delay_alu instid0(VALU_DEP_1) | instskip(SKIP_4) | instid1(VALU_DEP_2)
	v_cmp_lt_u32_e32 vcc_lo, 3, v8
	s_or_b32 s3, vcc_lo, s3
	s_wait_loadcnt_dscnt 0x0
	v_mul_f64_e32 v[12:13], v[100:101], v[96:97]
	v_mul_f64_e32 v[96:97], v[98:99], v[96:97]
	v_fma_f64 v[12:13], v[98:99], v[94:95], -v[12:13]
	s_delay_alu instid0(VALU_DEP_2) | instskip(NEXT) | instid1(VALU_DEP_2)
	v_fmac_f64_e32 v[96:97], v[100:101], v[94:95]
	v_add_f64_e32 v[4:5], v[4:5], v[12:13]
	s_delay_alu instid0(VALU_DEP_2)
	v_add_f64_e32 v[2:3], v[2:3], v[96:97]
	s_and_not1_b32 exec_lo, exec_lo, s3
	s_cbranch_execnz .LBB102_33
; %bb.34:
	s_or_b32 exec_lo, exec_lo, s3
	v_mov_b32_e32 v8, 0
	ds_load_b128 v[8:11], v8 offset:80
	s_wait_dscnt 0x0
	v_mul_f64_e32 v[94:95], v[2:3], v[10:11]
	v_mul_f64_e32 v[12:13], v[4:5], v[10:11]
	s_delay_alu instid0(VALU_DEP_2) | instskip(NEXT) | instid1(VALU_DEP_2)
	v_fma_f64 v[10:11], v[4:5], v[8:9], -v[94:95]
	v_fmac_f64_e32 v[12:13], v[2:3], v[8:9]
	scratch_store_b128 off, v[10:13], off offset:80
.LBB102_35:
	s_wait_xcnt 0x0
	s_or_b32 exec_lo, exec_lo, s2
	s_wait_storecnt 0x0
	s_barrier_signal -1
	s_barrier_wait -1
	scratch_load_b128 v[2:5], off, s49
	s_mov_b32 s2, exec_lo
	s_wait_loadcnt 0x0
	ds_store_b128 v6, v[2:5]
	s_wait_dscnt 0x0
	s_barrier_signal -1
	s_barrier_wait -1
	v_cmpx_gt_u32_e32 6, v1
	s_cbranch_execz .LBB102_39
; %bb.36:
	v_dual_mov_b32 v10, v14 :: v_dual_add_nc_u32 v8, -1, v1
	v_mov_b64_e32 v[2:3], 0
	v_mov_b64_e32 v[4:5], 0
	v_add_nc_u32_e32 v9, 0x270, v14
	s_delay_alu instid0(VALU_DEP_4)
	v_or_b32_e32 v10, 8, v10
	s_mov_b32 s3, 0
.LBB102_37:                             ; =>This Inner Loop Header: Depth=1
	scratch_load_b128 v[94:97], v10, off offset:-8
	ds_load_b128 v[98:101], v9
	s_wait_xcnt 0x0
	v_dual_add_nc_u32 v9, 16, v9 :: v_dual_add_nc_u32 v10, 16, v10
	v_add_nc_u32_e32 v8, 1, v8
	s_delay_alu instid0(VALU_DEP_1) | instskip(SKIP_4) | instid1(VALU_DEP_2)
	v_cmp_lt_u32_e32 vcc_lo, 4, v8
	s_or_b32 s3, vcc_lo, s3
	s_wait_loadcnt_dscnt 0x0
	v_mul_f64_e32 v[12:13], v[100:101], v[96:97]
	v_mul_f64_e32 v[96:97], v[98:99], v[96:97]
	v_fma_f64 v[12:13], v[98:99], v[94:95], -v[12:13]
	s_delay_alu instid0(VALU_DEP_2) | instskip(NEXT) | instid1(VALU_DEP_2)
	v_fmac_f64_e32 v[96:97], v[100:101], v[94:95]
	v_add_f64_e32 v[4:5], v[4:5], v[12:13]
	s_delay_alu instid0(VALU_DEP_2)
	v_add_f64_e32 v[2:3], v[2:3], v[96:97]
	s_and_not1_b32 exec_lo, exec_lo, s3
	s_cbranch_execnz .LBB102_37
; %bb.38:
	s_or_b32 exec_lo, exec_lo, s3
	v_mov_b32_e32 v8, 0
	ds_load_b128 v[8:11], v8 offset:96
	s_wait_dscnt 0x0
	v_mul_f64_e32 v[94:95], v[2:3], v[10:11]
	v_mul_f64_e32 v[12:13], v[4:5], v[10:11]
	s_delay_alu instid0(VALU_DEP_2) | instskip(NEXT) | instid1(VALU_DEP_2)
	v_fma_f64 v[10:11], v[4:5], v[8:9], -v[94:95]
	v_fmac_f64_e32 v[12:13], v[2:3], v[8:9]
	scratch_store_b128 off, v[10:13], off offset:96
.LBB102_39:
	s_wait_xcnt 0x0
	s_or_b32 exec_lo, exec_lo, s2
	s_wait_storecnt 0x0
	s_barrier_signal -1
	s_barrier_wait -1
	scratch_load_b128 v[2:5], off, s48
	s_mov_b32 s2, exec_lo
	s_wait_loadcnt 0x0
	ds_store_b128 v6, v[2:5]
	s_wait_dscnt 0x0
	s_barrier_signal -1
	s_barrier_wait -1
	v_cmpx_gt_u32_e32 7, v1
	s_cbranch_execz .LBB102_43
; %bb.40:
	v_dual_mov_b32 v10, v14 :: v_dual_add_nc_u32 v8, -1, v1
	v_mov_b64_e32 v[2:3], 0
	v_mov_b64_e32 v[4:5], 0
	v_add_nc_u32_e32 v9, 0x270, v14
	s_delay_alu instid0(VALU_DEP_4)
	v_or_b32_e32 v10, 8, v10
	s_mov_b32 s3, 0
.LBB102_41:                             ; =>This Inner Loop Header: Depth=1
	scratch_load_b128 v[94:97], v10, off offset:-8
	ds_load_b128 v[98:101], v9
	s_wait_xcnt 0x0
	v_dual_add_nc_u32 v9, 16, v9 :: v_dual_add_nc_u32 v10, 16, v10
	v_add_nc_u32_e32 v8, 1, v8
	s_delay_alu instid0(VALU_DEP_1) | instskip(SKIP_4) | instid1(VALU_DEP_2)
	v_cmp_lt_u32_e32 vcc_lo, 5, v8
	s_or_b32 s3, vcc_lo, s3
	s_wait_loadcnt_dscnt 0x0
	v_mul_f64_e32 v[12:13], v[100:101], v[96:97]
	v_mul_f64_e32 v[96:97], v[98:99], v[96:97]
	v_fma_f64 v[12:13], v[98:99], v[94:95], -v[12:13]
	s_delay_alu instid0(VALU_DEP_2) | instskip(NEXT) | instid1(VALU_DEP_2)
	v_fmac_f64_e32 v[96:97], v[100:101], v[94:95]
	v_add_f64_e32 v[4:5], v[4:5], v[12:13]
	s_delay_alu instid0(VALU_DEP_2)
	v_add_f64_e32 v[2:3], v[2:3], v[96:97]
	s_and_not1_b32 exec_lo, exec_lo, s3
	s_cbranch_execnz .LBB102_41
; %bb.42:
	s_or_b32 exec_lo, exec_lo, s3
	v_mov_b32_e32 v8, 0
	ds_load_b128 v[8:11], v8 offset:112
	s_wait_dscnt 0x0
	v_mul_f64_e32 v[94:95], v[2:3], v[10:11]
	v_mul_f64_e32 v[12:13], v[4:5], v[10:11]
	s_delay_alu instid0(VALU_DEP_2) | instskip(NEXT) | instid1(VALU_DEP_2)
	v_fma_f64 v[10:11], v[4:5], v[8:9], -v[94:95]
	v_fmac_f64_e32 v[12:13], v[2:3], v[8:9]
	scratch_store_b128 off, v[10:13], off offset:112
.LBB102_43:
	s_wait_xcnt 0x0
	s_or_b32 exec_lo, exec_lo, s2
	s_wait_storecnt 0x0
	s_barrier_signal -1
	s_barrier_wait -1
	scratch_load_b128 v[2:5], off, s47
	s_mov_b32 s2, exec_lo
	s_wait_loadcnt 0x0
	ds_store_b128 v6, v[2:5]
	s_wait_dscnt 0x0
	s_barrier_signal -1
	s_barrier_wait -1
	v_cmpx_gt_u32_e32 8, v1
	s_cbranch_execz .LBB102_47
; %bb.44:
	v_dual_mov_b32 v10, v14 :: v_dual_add_nc_u32 v8, -1, v1
	v_mov_b64_e32 v[2:3], 0
	v_mov_b64_e32 v[4:5], 0
	v_add_nc_u32_e32 v9, 0x270, v14
	s_delay_alu instid0(VALU_DEP_4)
	v_or_b32_e32 v10, 8, v10
	s_mov_b32 s3, 0
.LBB102_45:                             ; =>This Inner Loop Header: Depth=1
	scratch_load_b128 v[94:97], v10, off offset:-8
	ds_load_b128 v[98:101], v9
	s_wait_xcnt 0x0
	v_dual_add_nc_u32 v9, 16, v9 :: v_dual_add_nc_u32 v10, 16, v10
	v_add_nc_u32_e32 v8, 1, v8
	s_delay_alu instid0(VALU_DEP_1) | instskip(SKIP_4) | instid1(VALU_DEP_2)
	v_cmp_lt_u32_e32 vcc_lo, 6, v8
	s_or_b32 s3, vcc_lo, s3
	s_wait_loadcnt_dscnt 0x0
	v_mul_f64_e32 v[12:13], v[100:101], v[96:97]
	v_mul_f64_e32 v[96:97], v[98:99], v[96:97]
	v_fma_f64 v[12:13], v[98:99], v[94:95], -v[12:13]
	s_delay_alu instid0(VALU_DEP_2) | instskip(NEXT) | instid1(VALU_DEP_2)
	v_fmac_f64_e32 v[96:97], v[100:101], v[94:95]
	v_add_f64_e32 v[4:5], v[4:5], v[12:13]
	s_delay_alu instid0(VALU_DEP_2)
	v_add_f64_e32 v[2:3], v[2:3], v[96:97]
	s_and_not1_b32 exec_lo, exec_lo, s3
	s_cbranch_execnz .LBB102_45
; %bb.46:
	s_or_b32 exec_lo, exec_lo, s3
	v_mov_b32_e32 v8, 0
	ds_load_b128 v[8:11], v8 offset:128
	s_wait_dscnt 0x0
	v_mul_f64_e32 v[94:95], v[2:3], v[10:11]
	v_mul_f64_e32 v[12:13], v[4:5], v[10:11]
	s_delay_alu instid0(VALU_DEP_2) | instskip(NEXT) | instid1(VALU_DEP_2)
	v_fma_f64 v[10:11], v[4:5], v[8:9], -v[94:95]
	v_fmac_f64_e32 v[12:13], v[2:3], v[8:9]
	scratch_store_b128 off, v[10:13], off offset:128
.LBB102_47:
	s_wait_xcnt 0x0
	s_or_b32 exec_lo, exec_lo, s2
	s_wait_storecnt 0x0
	s_barrier_signal -1
	s_barrier_wait -1
	scratch_load_b128 v[2:5], off, s46
	s_mov_b32 s2, exec_lo
	s_wait_loadcnt 0x0
	ds_store_b128 v6, v[2:5]
	s_wait_dscnt 0x0
	s_barrier_signal -1
	s_barrier_wait -1
	v_cmpx_gt_u32_e32 9, v1
	s_cbranch_execz .LBB102_51
; %bb.48:
	v_dual_mov_b32 v10, v14 :: v_dual_add_nc_u32 v8, -1, v1
	v_mov_b64_e32 v[2:3], 0
	v_mov_b64_e32 v[4:5], 0
	v_add_nc_u32_e32 v9, 0x270, v14
	s_delay_alu instid0(VALU_DEP_4)
	v_or_b32_e32 v10, 8, v10
	s_mov_b32 s3, 0
.LBB102_49:                             ; =>This Inner Loop Header: Depth=1
	scratch_load_b128 v[94:97], v10, off offset:-8
	ds_load_b128 v[98:101], v9
	s_wait_xcnt 0x0
	v_dual_add_nc_u32 v9, 16, v9 :: v_dual_add_nc_u32 v10, 16, v10
	v_add_nc_u32_e32 v8, 1, v8
	s_delay_alu instid0(VALU_DEP_1) | instskip(SKIP_4) | instid1(VALU_DEP_2)
	v_cmp_lt_u32_e32 vcc_lo, 7, v8
	s_or_b32 s3, vcc_lo, s3
	s_wait_loadcnt_dscnt 0x0
	v_mul_f64_e32 v[12:13], v[100:101], v[96:97]
	v_mul_f64_e32 v[96:97], v[98:99], v[96:97]
	v_fma_f64 v[12:13], v[98:99], v[94:95], -v[12:13]
	s_delay_alu instid0(VALU_DEP_2) | instskip(NEXT) | instid1(VALU_DEP_2)
	v_fmac_f64_e32 v[96:97], v[100:101], v[94:95]
	v_add_f64_e32 v[4:5], v[4:5], v[12:13]
	s_delay_alu instid0(VALU_DEP_2)
	v_add_f64_e32 v[2:3], v[2:3], v[96:97]
	s_and_not1_b32 exec_lo, exec_lo, s3
	s_cbranch_execnz .LBB102_49
; %bb.50:
	s_or_b32 exec_lo, exec_lo, s3
	v_mov_b32_e32 v8, 0
	ds_load_b128 v[8:11], v8 offset:144
	s_wait_dscnt 0x0
	v_mul_f64_e32 v[94:95], v[2:3], v[10:11]
	v_mul_f64_e32 v[12:13], v[4:5], v[10:11]
	s_delay_alu instid0(VALU_DEP_2) | instskip(NEXT) | instid1(VALU_DEP_2)
	v_fma_f64 v[10:11], v[4:5], v[8:9], -v[94:95]
	v_fmac_f64_e32 v[12:13], v[2:3], v[8:9]
	scratch_store_b128 off, v[10:13], off offset:144
.LBB102_51:
	s_wait_xcnt 0x0
	s_or_b32 exec_lo, exec_lo, s2
	s_wait_storecnt 0x0
	s_barrier_signal -1
	s_barrier_wait -1
	scratch_load_b128 v[2:5], off, s45
	s_mov_b32 s2, exec_lo
	s_wait_loadcnt 0x0
	ds_store_b128 v6, v[2:5]
	s_wait_dscnt 0x0
	s_barrier_signal -1
	s_barrier_wait -1
	v_cmpx_gt_u32_e32 10, v1
	s_cbranch_execz .LBB102_55
; %bb.52:
	v_dual_mov_b32 v10, v14 :: v_dual_add_nc_u32 v8, -1, v1
	v_mov_b64_e32 v[2:3], 0
	v_mov_b64_e32 v[4:5], 0
	v_add_nc_u32_e32 v9, 0x270, v14
	s_delay_alu instid0(VALU_DEP_4)
	v_or_b32_e32 v10, 8, v10
	s_mov_b32 s3, 0
.LBB102_53:                             ; =>This Inner Loop Header: Depth=1
	scratch_load_b128 v[94:97], v10, off offset:-8
	ds_load_b128 v[98:101], v9
	s_wait_xcnt 0x0
	v_dual_add_nc_u32 v9, 16, v9 :: v_dual_add_nc_u32 v10, 16, v10
	v_add_nc_u32_e32 v8, 1, v8
	s_delay_alu instid0(VALU_DEP_1) | instskip(SKIP_4) | instid1(VALU_DEP_2)
	v_cmp_lt_u32_e32 vcc_lo, 8, v8
	s_or_b32 s3, vcc_lo, s3
	s_wait_loadcnt_dscnt 0x0
	v_mul_f64_e32 v[12:13], v[100:101], v[96:97]
	v_mul_f64_e32 v[96:97], v[98:99], v[96:97]
	v_fma_f64 v[12:13], v[98:99], v[94:95], -v[12:13]
	s_delay_alu instid0(VALU_DEP_2) | instskip(NEXT) | instid1(VALU_DEP_2)
	v_fmac_f64_e32 v[96:97], v[100:101], v[94:95]
	v_add_f64_e32 v[4:5], v[4:5], v[12:13]
	s_delay_alu instid0(VALU_DEP_2)
	v_add_f64_e32 v[2:3], v[2:3], v[96:97]
	s_and_not1_b32 exec_lo, exec_lo, s3
	s_cbranch_execnz .LBB102_53
; %bb.54:
	s_or_b32 exec_lo, exec_lo, s3
	v_mov_b32_e32 v8, 0
	ds_load_b128 v[8:11], v8 offset:160
	s_wait_dscnt 0x0
	v_mul_f64_e32 v[94:95], v[2:3], v[10:11]
	v_mul_f64_e32 v[12:13], v[4:5], v[10:11]
	s_delay_alu instid0(VALU_DEP_2) | instskip(NEXT) | instid1(VALU_DEP_2)
	v_fma_f64 v[10:11], v[4:5], v[8:9], -v[94:95]
	v_fmac_f64_e32 v[12:13], v[2:3], v[8:9]
	scratch_store_b128 off, v[10:13], off offset:160
.LBB102_55:
	s_wait_xcnt 0x0
	s_or_b32 exec_lo, exec_lo, s2
	s_wait_storecnt 0x0
	s_barrier_signal -1
	s_barrier_wait -1
	scratch_load_b128 v[2:5], off, s44
	s_mov_b32 s2, exec_lo
	s_wait_loadcnt 0x0
	ds_store_b128 v6, v[2:5]
	s_wait_dscnt 0x0
	s_barrier_signal -1
	s_barrier_wait -1
	v_cmpx_gt_u32_e32 11, v1
	s_cbranch_execz .LBB102_59
; %bb.56:
	v_dual_mov_b32 v10, v14 :: v_dual_add_nc_u32 v8, -1, v1
	v_mov_b64_e32 v[2:3], 0
	v_mov_b64_e32 v[4:5], 0
	v_add_nc_u32_e32 v9, 0x270, v14
	s_delay_alu instid0(VALU_DEP_4)
	v_or_b32_e32 v10, 8, v10
	s_mov_b32 s3, 0
.LBB102_57:                             ; =>This Inner Loop Header: Depth=1
	scratch_load_b128 v[94:97], v10, off offset:-8
	ds_load_b128 v[98:101], v9
	s_wait_xcnt 0x0
	v_dual_add_nc_u32 v9, 16, v9 :: v_dual_add_nc_u32 v10, 16, v10
	v_add_nc_u32_e32 v8, 1, v8
	s_delay_alu instid0(VALU_DEP_1) | instskip(SKIP_4) | instid1(VALU_DEP_2)
	v_cmp_lt_u32_e32 vcc_lo, 9, v8
	s_or_b32 s3, vcc_lo, s3
	s_wait_loadcnt_dscnt 0x0
	v_mul_f64_e32 v[12:13], v[100:101], v[96:97]
	v_mul_f64_e32 v[96:97], v[98:99], v[96:97]
	v_fma_f64 v[12:13], v[98:99], v[94:95], -v[12:13]
	s_delay_alu instid0(VALU_DEP_2) | instskip(NEXT) | instid1(VALU_DEP_2)
	v_fmac_f64_e32 v[96:97], v[100:101], v[94:95]
	v_add_f64_e32 v[4:5], v[4:5], v[12:13]
	s_delay_alu instid0(VALU_DEP_2)
	v_add_f64_e32 v[2:3], v[2:3], v[96:97]
	s_and_not1_b32 exec_lo, exec_lo, s3
	s_cbranch_execnz .LBB102_57
; %bb.58:
	s_or_b32 exec_lo, exec_lo, s3
	v_mov_b32_e32 v8, 0
	ds_load_b128 v[8:11], v8 offset:176
	s_wait_dscnt 0x0
	v_mul_f64_e32 v[94:95], v[2:3], v[10:11]
	v_mul_f64_e32 v[12:13], v[4:5], v[10:11]
	s_delay_alu instid0(VALU_DEP_2) | instskip(NEXT) | instid1(VALU_DEP_2)
	v_fma_f64 v[10:11], v[4:5], v[8:9], -v[94:95]
	v_fmac_f64_e32 v[12:13], v[2:3], v[8:9]
	scratch_store_b128 off, v[10:13], off offset:176
.LBB102_59:
	s_wait_xcnt 0x0
	s_or_b32 exec_lo, exec_lo, s2
	s_wait_storecnt 0x0
	s_barrier_signal -1
	s_barrier_wait -1
	scratch_load_b128 v[2:5], off, s43
	s_mov_b32 s2, exec_lo
	s_wait_loadcnt 0x0
	ds_store_b128 v6, v[2:5]
	s_wait_dscnt 0x0
	s_barrier_signal -1
	s_barrier_wait -1
	v_cmpx_gt_u32_e32 12, v1
	s_cbranch_execz .LBB102_63
; %bb.60:
	v_dual_mov_b32 v10, v14 :: v_dual_add_nc_u32 v8, -1, v1
	v_mov_b64_e32 v[2:3], 0
	v_mov_b64_e32 v[4:5], 0
	v_add_nc_u32_e32 v9, 0x270, v14
	s_delay_alu instid0(VALU_DEP_4)
	v_or_b32_e32 v10, 8, v10
	s_mov_b32 s3, 0
.LBB102_61:                             ; =>This Inner Loop Header: Depth=1
	scratch_load_b128 v[94:97], v10, off offset:-8
	ds_load_b128 v[98:101], v9
	s_wait_xcnt 0x0
	v_dual_add_nc_u32 v9, 16, v9 :: v_dual_add_nc_u32 v10, 16, v10
	v_add_nc_u32_e32 v8, 1, v8
	s_delay_alu instid0(VALU_DEP_1) | instskip(SKIP_4) | instid1(VALU_DEP_2)
	v_cmp_lt_u32_e32 vcc_lo, 10, v8
	s_or_b32 s3, vcc_lo, s3
	s_wait_loadcnt_dscnt 0x0
	v_mul_f64_e32 v[12:13], v[100:101], v[96:97]
	v_mul_f64_e32 v[96:97], v[98:99], v[96:97]
	v_fma_f64 v[12:13], v[98:99], v[94:95], -v[12:13]
	s_delay_alu instid0(VALU_DEP_2) | instskip(NEXT) | instid1(VALU_DEP_2)
	v_fmac_f64_e32 v[96:97], v[100:101], v[94:95]
	v_add_f64_e32 v[4:5], v[4:5], v[12:13]
	s_delay_alu instid0(VALU_DEP_2)
	v_add_f64_e32 v[2:3], v[2:3], v[96:97]
	s_and_not1_b32 exec_lo, exec_lo, s3
	s_cbranch_execnz .LBB102_61
; %bb.62:
	s_or_b32 exec_lo, exec_lo, s3
	v_mov_b32_e32 v8, 0
	ds_load_b128 v[8:11], v8 offset:192
	s_wait_dscnt 0x0
	v_mul_f64_e32 v[94:95], v[2:3], v[10:11]
	v_mul_f64_e32 v[12:13], v[4:5], v[10:11]
	s_delay_alu instid0(VALU_DEP_2) | instskip(NEXT) | instid1(VALU_DEP_2)
	v_fma_f64 v[10:11], v[4:5], v[8:9], -v[94:95]
	v_fmac_f64_e32 v[12:13], v[2:3], v[8:9]
	scratch_store_b128 off, v[10:13], off offset:192
.LBB102_63:
	s_wait_xcnt 0x0
	s_or_b32 exec_lo, exec_lo, s2
	s_wait_storecnt 0x0
	s_barrier_signal -1
	s_barrier_wait -1
	scratch_load_b128 v[2:5], off, s42
	s_mov_b32 s2, exec_lo
	s_wait_loadcnt 0x0
	ds_store_b128 v6, v[2:5]
	s_wait_dscnt 0x0
	s_barrier_signal -1
	s_barrier_wait -1
	v_cmpx_gt_u32_e32 13, v1
	s_cbranch_execz .LBB102_67
; %bb.64:
	v_dual_mov_b32 v10, v14 :: v_dual_add_nc_u32 v8, -1, v1
	v_mov_b64_e32 v[2:3], 0
	v_mov_b64_e32 v[4:5], 0
	v_add_nc_u32_e32 v9, 0x270, v14
	s_delay_alu instid0(VALU_DEP_4)
	v_or_b32_e32 v10, 8, v10
	s_mov_b32 s3, 0
.LBB102_65:                             ; =>This Inner Loop Header: Depth=1
	scratch_load_b128 v[94:97], v10, off offset:-8
	ds_load_b128 v[98:101], v9
	s_wait_xcnt 0x0
	v_dual_add_nc_u32 v9, 16, v9 :: v_dual_add_nc_u32 v10, 16, v10
	v_add_nc_u32_e32 v8, 1, v8
	s_delay_alu instid0(VALU_DEP_1) | instskip(SKIP_4) | instid1(VALU_DEP_2)
	v_cmp_lt_u32_e32 vcc_lo, 11, v8
	s_or_b32 s3, vcc_lo, s3
	s_wait_loadcnt_dscnt 0x0
	v_mul_f64_e32 v[12:13], v[100:101], v[96:97]
	v_mul_f64_e32 v[96:97], v[98:99], v[96:97]
	v_fma_f64 v[12:13], v[98:99], v[94:95], -v[12:13]
	s_delay_alu instid0(VALU_DEP_2) | instskip(NEXT) | instid1(VALU_DEP_2)
	v_fmac_f64_e32 v[96:97], v[100:101], v[94:95]
	v_add_f64_e32 v[4:5], v[4:5], v[12:13]
	s_delay_alu instid0(VALU_DEP_2)
	v_add_f64_e32 v[2:3], v[2:3], v[96:97]
	s_and_not1_b32 exec_lo, exec_lo, s3
	s_cbranch_execnz .LBB102_65
; %bb.66:
	s_or_b32 exec_lo, exec_lo, s3
	v_mov_b32_e32 v8, 0
	ds_load_b128 v[8:11], v8 offset:208
	s_wait_dscnt 0x0
	v_mul_f64_e32 v[94:95], v[2:3], v[10:11]
	v_mul_f64_e32 v[12:13], v[4:5], v[10:11]
	s_delay_alu instid0(VALU_DEP_2) | instskip(NEXT) | instid1(VALU_DEP_2)
	v_fma_f64 v[10:11], v[4:5], v[8:9], -v[94:95]
	v_fmac_f64_e32 v[12:13], v[2:3], v[8:9]
	scratch_store_b128 off, v[10:13], off offset:208
.LBB102_67:
	s_wait_xcnt 0x0
	s_or_b32 exec_lo, exec_lo, s2
	s_wait_storecnt 0x0
	s_barrier_signal -1
	s_barrier_wait -1
	scratch_load_b128 v[2:5], off, s41
	s_mov_b32 s2, exec_lo
	s_wait_loadcnt 0x0
	ds_store_b128 v6, v[2:5]
	s_wait_dscnt 0x0
	s_barrier_signal -1
	s_barrier_wait -1
	v_cmpx_gt_u32_e32 14, v1
	s_cbranch_execz .LBB102_71
; %bb.68:
	v_dual_mov_b32 v10, v14 :: v_dual_add_nc_u32 v8, -1, v1
	v_mov_b64_e32 v[2:3], 0
	v_mov_b64_e32 v[4:5], 0
	v_add_nc_u32_e32 v9, 0x270, v14
	s_delay_alu instid0(VALU_DEP_4)
	v_or_b32_e32 v10, 8, v10
	s_mov_b32 s3, 0
.LBB102_69:                             ; =>This Inner Loop Header: Depth=1
	scratch_load_b128 v[94:97], v10, off offset:-8
	ds_load_b128 v[98:101], v9
	s_wait_xcnt 0x0
	v_dual_add_nc_u32 v9, 16, v9 :: v_dual_add_nc_u32 v10, 16, v10
	v_add_nc_u32_e32 v8, 1, v8
	s_delay_alu instid0(VALU_DEP_1) | instskip(SKIP_4) | instid1(VALU_DEP_2)
	v_cmp_lt_u32_e32 vcc_lo, 12, v8
	s_or_b32 s3, vcc_lo, s3
	s_wait_loadcnt_dscnt 0x0
	v_mul_f64_e32 v[12:13], v[100:101], v[96:97]
	v_mul_f64_e32 v[96:97], v[98:99], v[96:97]
	v_fma_f64 v[12:13], v[98:99], v[94:95], -v[12:13]
	s_delay_alu instid0(VALU_DEP_2) | instskip(NEXT) | instid1(VALU_DEP_2)
	v_fmac_f64_e32 v[96:97], v[100:101], v[94:95]
	v_add_f64_e32 v[4:5], v[4:5], v[12:13]
	s_delay_alu instid0(VALU_DEP_2)
	v_add_f64_e32 v[2:3], v[2:3], v[96:97]
	s_and_not1_b32 exec_lo, exec_lo, s3
	s_cbranch_execnz .LBB102_69
; %bb.70:
	s_or_b32 exec_lo, exec_lo, s3
	v_mov_b32_e32 v8, 0
	ds_load_b128 v[8:11], v8 offset:224
	s_wait_dscnt 0x0
	v_mul_f64_e32 v[94:95], v[2:3], v[10:11]
	v_mul_f64_e32 v[12:13], v[4:5], v[10:11]
	s_delay_alu instid0(VALU_DEP_2) | instskip(NEXT) | instid1(VALU_DEP_2)
	v_fma_f64 v[10:11], v[4:5], v[8:9], -v[94:95]
	v_fmac_f64_e32 v[12:13], v[2:3], v[8:9]
	scratch_store_b128 off, v[10:13], off offset:224
.LBB102_71:
	s_wait_xcnt 0x0
	s_or_b32 exec_lo, exec_lo, s2
	s_wait_storecnt 0x0
	s_barrier_signal -1
	s_barrier_wait -1
	scratch_load_b128 v[2:5], off, s40
	s_mov_b32 s2, exec_lo
	s_wait_loadcnt 0x0
	ds_store_b128 v6, v[2:5]
	s_wait_dscnt 0x0
	s_barrier_signal -1
	s_barrier_wait -1
	v_cmpx_gt_u32_e32 15, v1
	s_cbranch_execz .LBB102_75
; %bb.72:
	v_dual_mov_b32 v10, v14 :: v_dual_add_nc_u32 v8, -1, v1
	v_mov_b64_e32 v[2:3], 0
	v_mov_b64_e32 v[4:5], 0
	v_add_nc_u32_e32 v9, 0x270, v14
	s_delay_alu instid0(VALU_DEP_4)
	v_or_b32_e32 v10, 8, v10
	s_mov_b32 s3, 0
.LBB102_73:                             ; =>This Inner Loop Header: Depth=1
	scratch_load_b128 v[94:97], v10, off offset:-8
	ds_load_b128 v[98:101], v9
	s_wait_xcnt 0x0
	v_dual_add_nc_u32 v9, 16, v9 :: v_dual_add_nc_u32 v10, 16, v10
	v_add_nc_u32_e32 v8, 1, v8
	s_delay_alu instid0(VALU_DEP_1) | instskip(SKIP_4) | instid1(VALU_DEP_2)
	v_cmp_lt_u32_e32 vcc_lo, 13, v8
	s_or_b32 s3, vcc_lo, s3
	s_wait_loadcnt_dscnt 0x0
	v_mul_f64_e32 v[12:13], v[100:101], v[96:97]
	v_mul_f64_e32 v[96:97], v[98:99], v[96:97]
	v_fma_f64 v[12:13], v[98:99], v[94:95], -v[12:13]
	s_delay_alu instid0(VALU_DEP_2) | instskip(NEXT) | instid1(VALU_DEP_2)
	v_fmac_f64_e32 v[96:97], v[100:101], v[94:95]
	v_add_f64_e32 v[4:5], v[4:5], v[12:13]
	s_delay_alu instid0(VALU_DEP_2)
	v_add_f64_e32 v[2:3], v[2:3], v[96:97]
	s_and_not1_b32 exec_lo, exec_lo, s3
	s_cbranch_execnz .LBB102_73
; %bb.74:
	s_or_b32 exec_lo, exec_lo, s3
	v_mov_b32_e32 v8, 0
	ds_load_b128 v[8:11], v8 offset:240
	s_wait_dscnt 0x0
	v_mul_f64_e32 v[94:95], v[2:3], v[10:11]
	v_mul_f64_e32 v[12:13], v[4:5], v[10:11]
	s_delay_alu instid0(VALU_DEP_2) | instskip(NEXT) | instid1(VALU_DEP_2)
	v_fma_f64 v[10:11], v[4:5], v[8:9], -v[94:95]
	v_fmac_f64_e32 v[12:13], v[2:3], v[8:9]
	scratch_store_b128 off, v[10:13], off offset:240
.LBB102_75:
	s_wait_xcnt 0x0
	s_or_b32 exec_lo, exec_lo, s2
	s_wait_storecnt 0x0
	s_barrier_signal -1
	s_barrier_wait -1
	scratch_load_b128 v[2:5], off, s39
	s_mov_b32 s2, exec_lo
	s_wait_loadcnt 0x0
	ds_store_b128 v6, v[2:5]
	s_wait_dscnt 0x0
	s_barrier_signal -1
	s_barrier_wait -1
	v_cmpx_gt_u32_e32 16, v1
	s_cbranch_execz .LBB102_79
; %bb.76:
	v_dual_mov_b32 v10, v14 :: v_dual_add_nc_u32 v8, -1, v1
	v_mov_b64_e32 v[2:3], 0
	v_mov_b64_e32 v[4:5], 0
	v_add_nc_u32_e32 v9, 0x270, v14
	s_delay_alu instid0(VALU_DEP_4)
	v_or_b32_e32 v10, 8, v10
	s_mov_b32 s3, 0
.LBB102_77:                             ; =>This Inner Loop Header: Depth=1
	scratch_load_b128 v[94:97], v10, off offset:-8
	ds_load_b128 v[98:101], v9
	s_wait_xcnt 0x0
	v_dual_add_nc_u32 v9, 16, v9 :: v_dual_add_nc_u32 v10, 16, v10
	v_add_nc_u32_e32 v8, 1, v8
	s_delay_alu instid0(VALU_DEP_1) | instskip(SKIP_4) | instid1(VALU_DEP_2)
	v_cmp_lt_u32_e32 vcc_lo, 14, v8
	s_or_b32 s3, vcc_lo, s3
	s_wait_loadcnt_dscnt 0x0
	v_mul_f64_e32 v[12:13], v[100:101], v[96:97]
	v_mul_f64_e32 v[96:97], v[98:99], v[96:97]
	v_fma_f64 v[12:13], v[98:99], v[94:95], -v[12:13]
	s_delay_alu instid0(VALU_DEP_2) | instskip(NEXT) | instid1(VALU_DEP_2)
	v_fmac_f64_e32 v[96:97], v[100:101], v[94:95]
	v_add_f64_e32 v[4:5], v[4:5], v[12:13]
	s_delay_alu instid0(VALU_DEP_2)
	v_add_f64_e32 v[2:3], v[2:3], v[96:97]
	s_and_not1_b32 exec_lo, exec_lo, s3
	s_cbranch_execnz .LBB102_77
; %bb.78:
	s_or_b32 exec_lo, exec_lo, s3
	v_mov_b32_e32 v8, 0
	ds_load_b128 v[8:11], v8 offset:256
	s_wait_dscnt 0x0
	v_mul_f64_e32 v[94:95], v[2:3], v[10:11]
	v_mul_f64_e32 v[12:13], v[4:5], v[10:11]
	s_delay_alu instid0(VALU_DEP_2) | instskip(NEXT) | instid1(VALU_DEP_2)
	v_fma_f64 v[10:11], v[4:5], v[8:9], -v[94:95]
	v_fmac_f64_e32 v[12:13], v[2:3], v[8:9]
	scratch_store_b128 off, v[10:13], off offset:256
.LBB102_79:
	s_wait_xcnt 0x0
	s_or_b32 exec_lo, exec_lo, s2
	s_wait_storecnt 0x0
	s_barrier_signal -1
	s_barrier_wait -1
	scratch_load_b128 v[2:5], off, s38
	s_mov_b32 s2, exec_lo
	s_wait_loadcnt 0x0
	ds_store_b128 v6, v[2:5]
	s_wait_dscnt 0x0
	s_barrier_signal -1
	s_barrier_wait -1
	v_cmpx_gt_u32_e32 17, v1
	s_cbranch_execz .LBB102_83
; %bb.80:
	v_dual_mov_b32 v10, v14 :: v_dual_add_nc_u32 v8, -1, v1
	v_mov_b64_e32 v[2:3], 0
	v_mov_b64_e32 v[4:5], 0
	v_add_nc_u32_e32 v9, 0x270, v14
	s_delay_alu instid0(VALU_DEP_4)
	v_or_b32_e32 v10, 8, v10
	s_mov_b32 s3, 0
.LBB102_81:                             ; =>This Inner Loop Header: Depth=1
	scratch_load_b128 v[94:97], v10, off offset:-8
	ds_load_b128 v[98:101], v9
	s_wait_xcnt 0x0
	v_dual_add_nc_u32 v9, 16, v9 :: v_dual_add_nc_u32 v10, 16, v10
	v_add_nc_u32_e32 v8, 1, v8
	s_delay_alu instid0(VALU_DEP_1) | instskip(SKIP_4) | instid1(VALU_DEP_2)
	v_cmp_lt_u32_e32 vcc_lo, 15, v8
	s_or_b32 s3, vcc_lo, s3
	s_wait_loadcnt_dscnt 0x0
	v_mul_f64_e32 v[12:13], v[100:101], v[96:97]
	v_mul_f64_e32 v[96:97], v[98:99], v[96:97]
	v_fma_f64 v[12:13], v[98:99], v[94:95], -v[12:13]
	s_delay_alu instid0(VALU_DEP_2) | instskip(NEXT) | instid1(VALU_DEP_2)
	v_fmac_f64_e32 v[96:97], v[100:101], v[94:95]
	v_add_f64_e32 v[4:5], v[4:5], v[12:13]
	s_delay_alu instid0(VALU_DEP_2)
	v_add_f64_e32 v[2:3], v[2:3], v[96:97]
	s_and_not1_b32 exec_lo, exec_lo, s3
	s_cbranch_execnz .LBB102_81
; %bb.82:
	s_or_b32 exec_lo, exec_lo, s3
	v_mov_b32_e32 v8, 0
	ds_load_b128 v[8:11], v8 offset:272
	s_wait_dscnt 0x0
	v_mul_f64_e32 v[94:95], v[2:3], v[10:11]
	v_mul_f64_e32 v[12:13], v[4:5], v[10:11]
	s_delay_alu instid0(VALU_DEP_2) | instskip(NEXT) | instid1(VALU_DEP_2)
	v_fma_f64 v[10:11], v[4:5], v[8:9], -v[94:95]
	v_fmac_f64_e32 v[12:13], v[2:3], v[8:9]
	scratch_store_b128 off, v[10:13], off offset:272
.LBB102_83:
	s_wait_xcnt 0x0
	s_or_b32 exec_lo, exec_lo, s2
	s_wait_storecnt 0x0
	s_barrier_signal -1
	s_barrier_wait -1
	scratch_load_b128 v[2:5], off, s37
	s_mov_b32 s2, exec_lo
	s_wait_loadcnt 0x0
	ds_store_b128 v6, v[2:5]
	s_wait_dscnt 0x0
	s_barrier_signal -1
	s_barrier_wait -1
	v_cmpx_gt_u32_e32 18, v1
	s_cbranch_execz .LBB102_87
; %bb.84:
	v_dual_mov_b32 v10, v14 :: v_dual_add_nc_u32 v8, -1, v1
	v_mov_b64_e32 v[2:3], 0
	v_mov_b64_e32 v[4:5], 0
	v_add_nc_u32_e32 v9, 0x270, v14
	s_delay_alu instid0(VALU_DEP_4)
	v_or_b32_e32 v10, 8, v10
	s_mov_b32 s3, 0
.LBB102_85:                             ; =>This Inner Loop Header: Depth=1
	scratch_load_b128 v[94:97], v10, off offset:-8
	ds_load_b128 v[98:101], v9
	s_wait_xcnt 0x0
	v_dual_add_nc_u32 v9, 16, v9 :: v_dual_add_nc_u32 v10, 16, v10
	v_add_nc_u32_e32 v8, 1, v8
	s_delay_alu instid0(VALU_DEP_1) | instskip(SKIP_4) | instid1(VALU_DEP_2)
	v_cmp_lt_u32_e32 vcc_lo, 16, v8
	s_or_b32 s3, vcc_lo, s3
	s_wait_loadcnt_dscnt 0x0
	v_mul_f64_e32 v[12:13], v[100:101], v[96:97]
	v_mul_f64_e32 v[96:97], v[98:99], v[96:97]
	v_fma_f64 v[12:13], v[98:99], v[94:95], -v[12:13]
	s_delay_alu instid0(VALU_DEP_2) | instskip(NEXT) | instid1(VALU_DEP_2)
	v_fmac_f64_e32 v[96:97], v[100:101], v[94:95]
	v_add_f64_e32 v[4:5], v[4:5], v[12:13]
	s_delay_alu instid0(VALU_DEP_2)
	v_add_f64_e32 v[2:3], v[2:3], v[96:97]
	s_and_not1_b32 exec_lo, exec_lo, s3
	s_cbranch_execnz .LBB102_85
; %bb.86:
	s_or_b32 exec_lo, exec_lo, s3
	v_mov_b32_e32 v8, 0
	ds_load_b128 v[8:11], v8 offset:288
	s_wait_dscnt 0x0
	v_mul_f64_e32 v[94:95], v[2:3], v[10:11]
	v_mul_f64_e32 v[12:13], v[4:5], v[10:11]
	s_delay_alu instid0(VALU_DEP_2) | instskip(NEXT) | instid1(VALU_DEP_2)
	v_fma_f64 v[10:11], v[4:5], v[8:9], -v[94:95]
	v_fmac_f64_e32 v[12:13], v[2:3], v[8:9]
	scratch_store_b128 off, v[10:13], off offset:288
.LBB102_87:
	s_wait_xcnt 0x0
	s_or_b32 exec_lo, exec_lo, s2
	s_wait_storecnt 0x0
	s_barrier_signal -1
	s_barrier_wait -1
	scratch_load_b128 v[2:5], off, s36
	s_mov_b32 s2, exec_lo
	s_wait_loadcnt 0x0
	ds_store_b128 v6, v[2:5]
	s_wait_dscnt 0x0
	s_barrier_signal -1
	s_barrier_wait -1
	v_cmpx_gt_u32_e32 19, v1
	s_cbranch_execz .LBB102_91
; %bb.88:
	v_dual_mov_b32 v10, v14 :: v_dual_add_nc_u32 v8, -1, v1
	v_mov_b64_e32 v[2:3], 0
	v_mov_b64_e32 v[4:5], 0
	v_add_nc_u32_e32 v9, 0x270, v14
	s_delay_alu instid0(VALU_DEP_4)
	v_or_b32_e32 v10, 8, v10
	s_mov_b32 s3, 0
.LBB102_89:                             ; =>This Inner Loop Header: Depth=1
	scratch_load_b128 v[94:97], v10, off offset:-8
	ds_load_b128 v[98:101], v9
	s_wait_xcnt 0x0
	v_dual_add_nc_u32 v9, 16, v9 :: v_dual_add_nc_u32 v10, 16, v10
	v_add_nc_u32_e32 v8, 1, v8
	s_delay_alu instid0(VALU_DEP_1) | instskip(SKIP_4) | instid1(VALU_DEP_2)
	v_cmp_lt_u32_e32 vcc_lo, 17, v8
	s_or_b32 s3, vcc_lo, s3
	s_wait_loadcnt_dscnt 0x0
	v_mul_f64_e32 v[12:13], v[100:101], v[96:97]
	v_mul_f64_e32 v[96:97], v[98:99], v[96:97]
	v_fma_f64 v[12:13], v[98:99], v[94:95], -v[12:13]
	s_delay_alu instid0(VALU_DEP_2) | instskip(NEXT) | instid1(VALU_DEP_2)
	v_fmac_f64_e32 v[96:97], v[100:101], v[94:95]
	v_add_f64_e32 v[4:5], v[4:5], v[12:13]
	s_delay_alu instid0(VALU_DEP_2)
	v_add_f64_e32 v[2:3], v[2:3], v[96:97]
	s_and_not1_b32 exec_lo, exec_lo, s3
	s_cbranch_execnz .LBB102_89
; %bb.90:
	s_or_b32 exec_lo, exec_lo, s3
	v_mov_b32_e32 v8, 0
	ds_load_b128 v[8:11], v8 offset:304
	s_wait_dscnt 0x0
	v_mul_f64_e32 v[94:95], v[2:3], v[10:11]
	v_mul_f64_e32 v[12:13], v[4:5], v[10:11]
	s_delay_alu instid0(VALU_DEP_2) | instskip(NEXT) | instid1(VALU_DEP_2)
	v_fma_f64 v[10:11], v[4:5], v[8:9], -v[94:95]
	v_fmac_f64_e32 v[12:13], v[2:3], v[8:9]
	scratch_store_b128 off, v[10:13], off offset:304
.LBB102_91:
	s_wait_xcnt 0x0
	s_or_b32 exec_lo, exec_lo, s2
	s_wait_storecnt 0x0
	s_barrier_signal -1
	s_barrier_wait -1
	scratch_load_b128 v[2:5], off, s35
	s_mov_b32 s2, exec_lo
	s_wait_loadcnt 0x0
	ds_store_b128 v6, v[2:5]
	s_wait_dscnt 0x0
	s_barrier_signal -1
	s_barrier_wait -1
	v_cmpx_gt_u32_e32 20, v1
	s_cbranch_execz .LBB102_95
; %bb.92:
	v_dual_mov_b32 v10, v14 :: v_dual_add_nc_u32 v8, -1, v1
	v_mov_b64_e32 v[2:3], 0
	v_mov_b64_e32 v[4:5], 0
	v_add_nc_u32_e32 v9, 0x270, v14
	s_delay_alu instid0(VALU_DEP_4)
	v_or_b32_e32 v10, 8, v10
	s_mov_b32 s3, 0
.LBB102_93:                             ; =>This Inner Loop Header: Depth=1
	scratch_load_b128 v[94:97], v10, off offset:-8
	ds_load_b128 v[98:101], v9
	s_wait_xcnt 0x0
	v_dual_add_nc_u32 v9, 16, v9 :: v_dual_add_nc_u32 v10, 16, v10
	v_add_nc_u32_e32 v8, 1, v8
	s_delay_alu instid0(VALU_DEP_1) | instskip(SKIP_4) | instid1(VALU_DEP_2)
	v_cmp_lt_u32_e32 vcc_lo, 18, v8
	s_or_b32 s3, vcc_lo, s3
	s_wait_loadcnt_dscnt 0x0
	v_mul_f64_e32 v[12:13], v[100:101], v[96:97]
	v_mul_f64_e32 v[96:97], v[98:99], v[96:97]
	v_fma_f64 v[12:13], v[98:99], v[94:95], -v[12:13]
	s_delay_alu instid0(VALU_DEP_2) | instskip(NEXT) | instid1(VALU_DEP_2)
	v_fmac_f64_e32 v[96:97], v[100:101], v[94:95]
	v_add_f64_e32 v[4:5], v[4:5], v[12:13]
	s_delay_alu instid0(VALU_DEP_2)
	v_add_f64_e32 v[2:3], v[2:3], v[96:97]
	s_and_not1_b32 exec_lo, exec_lo, s3
	s_cbranch_execnz .LBB102_93
; %bb.94:
	s_or_b32 exec_lo, exec_lo, s3
	v_mov_b32_e32 v8, 0
	ds_load_b128 v[8:11], v8 offset:320
	s_wait_dscnt 0x0
	v_mul_f64_e32 v[94:95], v[2:3], v[10:11]
	v_mul_f64_e32 v[12:13], v[4:5], v[10:11]
	s_delay_alu instid0(VALU_DEP_2) | instskip(NEXT) | instid1(VALU_DEP_2)
	v_fma_f64 v[10:11], v[4:5], v[8:9], -v[94:95]
	v_fmac_f64_e32 v[12:13], v[2:3], v[8:9]
	scratch_store_b128 off, v[10:13], off offset:320
.LBB102_95:
	s_wait_xcnt 0x0
	s_or_b32 exec_lo, exec_lo, s2
	s_wait_storecnt 0x0
	s_barrier_signal -1
	s_barrier_wait -1
	scratch_load_b128 v[2:5], off, s34
	s_mov_b32 s2, exec_lo
	s_wait_loadcnt 0x0
	ds_store_b128 v6, v[2:5]
	s_wait_dscnt 0x0
	s_barrier_signal -1
	s_barrier_wait -1
	v_cmpx_gt_u32_e32 21, v1
	s_cbranch_execz .LBB102_99
; %bb.96:
	v_dual_mov_b32 v10, v14 :: v_dual_add_nc_u32 v8, -1, v1
	v_mov_b64_e32 v[2:3], 0
	v_mov_b64_e32 v[4:5], 0
	v_add_nc_u32_e32 v9, 0x270, v14
	s_delay_alu instid0(VALU_DEP_4)
	v_or_b32_e32 v10, 8, v10
	s_mov_b32 s3, 0
.LBB102_97:                             ; =>This Inner Loop Header: Depth=1
	scratch_load_b128 v[94:97], v10, off offset:-8
	ds_load_b128 v[98:101], v9
	s_wait_xcnt 0x0
	v_dual_add_nc_u32 v9, 16, v9 :: v_dual_add_nc_u32 v10, 16, v10
	v_add_nc_u32_e32 v8, 1, v8
	s_delay_alu instid0(VALU_DEP_1) | instskip(SKIP_4) | instid1(VALU_DEP_2)
	v_cmp_lt_u32_e32 vcc_lo, 19, v8
	s_or_b32 s3, vcc_lo, s3
	s_wait_loadcnt_dscnt 0x0
	v_mul_f64_e32 v[12:13], v[100:101], v[96:97]
	v_mul_f64_e32 v[96:97], v[98:99], v[96:97]
	v_fma_f64 v[12:13], v[98:99], v[94:95], -v[12:13]
	s_delay_alu instid0(VALU_DEP_2) | instskip(NEXT) | instid1(VALU_DEP_2)
	v_fmac_f64_e32 v[96:97], v[100:101], v[94:95]
	v_add_f64_e32 v[4:5], v[4:5], v[12:13]
	s_delay_alu instid0(VALU_DEP_2)
	v_add_f64_e32 v[2:3], v[2:3], v[96:97]
	s_and_not1_b32 exec_lo, exec_lo, s3
	s_cbranch_execnz .LBB102_97
; %bb.98:
	s_or_b32 exec_lo, exec_lo, s3
	v_mov_b32_e32 v8, 0
	ds_load_b128 v[8:11], v8 offset:336
	s_wait_dscnt 0x0
	v_mul_f64_e32 v[94:95], v[2:3], v[10:11]
	v_mul_f64_e32 v[12:13], v[4:5], v[10:11]
	s_delay_alu instid0(VALU_DEP_2) | instskip(NEXT) | instid1(VALU_DEP_2)
	v_fma_f64 v[10:11], v[4:5], v[8:9], -v[94:95]
	v_fmac_f64_e32 v[12:13], v[2:3], v[8:9]
	scratch_store_b128 off, v[10:13], off offset:336
.LBB102_99:
	s_wait_xcnt 0x0
	s_or_b32 exec_lo, exec_lo, s2
	s_wait_storecnt 0x0
	s_barrier_signal -1
	s_barrier_wait -1
	scratch_load_b128 v[2:5], off, s33
	s_mov_b32 s2, exec_lo
	s_wait_loadcnt 0x0
	ds_store_b128 v6, v[2:5]
	s_wait_dscnt 0x0
	s_barrier_signal -1
	s_barrier_wait -1
	v_cmpx_gt_u32_e32 22, v1
	s_cbranch_execz .LBB102_103
; %bb.100:
	v_dual_mov_b32 v10, v14 :: v_dual_add_nc_u32 v8, -1, v1
	v_mov_b64_e32 v[2:3], 0
	v_mov_b64_e32 v[4:5], 0
	v_add_nc_u32_e32 v9, 0x270, v14
	s_delay_alu instid0(VALU_DEP_4)
	v_or_b32_e32 v10, 8, v10
	s_mov_b32 s3, 0
.LBB102_101:                            ; =>This Inner Loop Header: Depth=1
	scratch_load_b128 v[94:97], v10, off offset:-8
	ds_load_b128 v[98:101], v9
	s_wait_xcnt 0x0
	v_dual_add_nc_u32 v9, 16, v9 :: v_dual_add_nc_u32 v10, 16, v10
	v_add_nc_u32_e32 v8, 1, v8
	s_delay_alu instid0(VALU_DEP_1) | instskip(SKIP_4) | instid1(VALU_DEP_2)
	v_cmp_lt_u32_e32 vcc_lo, 20, v8
	s_or_b32 s3, vcc_lo, s3
	s_wait_loadcnt_dscnt 0x0
	v_mul_f64_e32 v[12:13], v[100:101], v[96:97]
	v_mul_f64_e32 v[96:97], v[98:99], v[96:97]
	v_fma_f64 v[12:13], v[98:99], v[94:95], -v[12:13]
	s_delay_alu instid0(VALU_DEP_2) | instskip(NEXT) | instid1(VALU_DEP_2)
	v_fmac_f64_e32 v[96:97], v[100:101], v[94:95]
	v_add_f64_e32 v[4:5], v[4:5], v[12:13]
	s_delay_alu instid0(VALU_DEP_2)
	v_add_f64_e32 v[2:3], v[2:3], v[96:97]
	s_and_not1_b32 exec_lo, exec_lo, s3
	s_cbranch_execnz .LBB102_101
; %bb.102:
	s_or_b32 exec_lo, exec_lo, s3
	v_mov_b32_e32 v8, 0
	ds_load_b128 v[8:11], v8 offset:352
	s_wait_dscnt 0x0
	v_mul_f64_e32 v[94:95], v[2:3], v[10:11]
	v_mul_f64_e32 v[12:13], v[4:5], v[10:11]
	s_delay_alu instid0(VALU_DEP_2) | instskip(NEXT) | instid1(VALU_DEP_2)
	v_fma_f64 v[10:11], v[4:5], v[8:9], -v[94:95]
	v_fmac_f64_e32 v[12:13], v[2:3], v[8:9]
	scratch_store_b128 off, v[10:13], off offset:352
.LBB102_103:
	s_wait_xcnt 0x0
	s_or_b32 exec_lo, exec_lo, s2
	s_wait_storecnt 0x0
	s_barrier_signal -1
	s_barrier_wait -1
	scratch_load_b128 v[2:5], off, s31
	s_mov_b32 s2, exec_lo
	s_wait_loadcnt 0x0
	ds_store_b128 v6, v[2:5]
	s_wait_dscnt 0x0
	s_barrier_signal -1
	s_barrier_wait -1
	v_cmpx_gt_u32_e32 23, v1
	s_cbranch_execz .LBB102_107
; %bb.104:
	v_dual_mov_b32 v10, v14 :: v_dual_add_nc_u32 v8, -1, v1
	v_mov_b64_e32 v[2:3], 0
	v_mov_b64_e32 v[4:5], 0
	v_add_nc_u32_e32 v9, 0x270, v14
	s_delay_alu instid0(VALU_DEP_4)
	v_or_b32_e32 v10, 8, v10
	s_mov_b32 s3, 0
.LBB102_105:                            ; =>This Inner Loop Header: Depth=1
	scratch_load_b128 v[94:97], v10, off offset:-8
	ds_load_b128 v[98:101], v9
	s_wait_xcnt 0x0
	v_dual_add_nc_u32 v9, 16, v9 :: v_dual_add_nc_u32 v10, 16, v10
	v_add_nc_u32_e32 v8, 1, v8
	s_delay_alu instid0(VALU_DEP_1) | instskip(SKIP_4) | instid1(VALU_DEP_2)
	v_cmp_lt_u32_e32 vcc_lo, 21, v8
	s_or_b32 s3, vcc_lo, s3
	s_wait_loadcnt_dscnt 0x0
	v_mul_f64_e32 v[12:13], v[100:101], v[96:97]
	v_mul_f64_e32 v[96:97], v[98:99], v[96:97]
	v_fma_f64 v[12:13], v[98:99], v[94:95], -v[12:13]
	s_delay_alu instid0(VALU_DEP_2) | instskip(NEXT) | instid1(VALU_DEP_2)
	v_fmac_f64_e32 v[96:97], v[100:101], v[94:95]
	v_add_f64_e32 v[4:5], v[4:5], v[12:13]
	s_delay_alu instid0(VALU_DEP_2)
	v_add_f64_e32 v[2:3], v[2:3], v[96:97]
	s_and_not1_b32 exec_lo, exec_lo, s3
	s_cbranch_execnz .LBB102_105
; %bb.106:
	s_or_b32 exec_lo, exec_lo, s3
	v_mov_b32_e32 v8, 0
	ds_load_b128 v[8:11], v8 offset:368
	s_wait_dscnt 0x0
	v_mul_f64_e32 v[94:95], v[2:3], v[10:11]
	v_mul_f64_e32 v[12:13], v[4:5], v[10:11]
	s_delay_alu instid0(VALU_DEP_2) | instskip(NEXT) | instid1(VALU_DEP_2)
	v_fma_f64 v[10:11], v[4:5], v[8:9], -v[94:95]
	v_fmac_f64_e32 v[12:13], v[2:3], v[8:9]
	scratch_store_b128 off, v[10:13], off offset:368
.LBB102_107:
	s_wait_xcnt 0x0
	s_or_b32 exec_lo, exec_lo, s2
	s_wait_storecnt 0x0
	s_barrier_signal -1
	s_barrier_wait -1
	scratch_load_b128 v[2:5], off, s30
	;; [unrolled: 54-line block ×16, first 2 shown]
	s_mov_b32 s2, exec_lo
	s_wait_loadcnt 0x0
	ds_store_b128 v6, v[2:5]
	s_wait_dscnt 0x0
	s_barrier_signal -1
	s_barrier_wait -1
	v_cmpx_ne_u32_e32 38, v1
	s_cbranch_execz .LBB102_167
; %bb.164:
	v_mov_b32_e32 v8, v14
	v_mov_b64_e32 v[2:3], 0
	v_mov_b64_e32 v[4:5], 0
	s_mov_b32 s3, 0
	s_delay_alu instid0(VALU_DEP_3)
	v_or_b32_e32 v8, 8, v8
.LBB102_165:                            ; =>This Inner Loop Header: Depth=1
	scratch_load_b128 v[10:13], v8, off offset:-8
	ds_load_b128 v[94:97], v6
	v_dual_add_nc_u32 v7, 1, v7 :: v_dual_add_nc_u32 v6, 16, v6
	s_wait_xcnt 0x0
	v_add_nc_u32_e32 v8, 16, v8
	s_delay_alu instid0(VALU_DEP_2) | instskip(SKIP_4) | instid1(VALU_DEP_2)
	v_cmp_lt_u32_e32 vcc_lo, 36, v7
	s_or_b32 s3, vcc_lo, s3
	s_wait_loadcnt_dscnt 0x0
	v_mul_f64_e32 v[14:15], v[96:97], v[12:13]
	v_mul_f64_e32 v[12:13], v[94:95], v[12:13]
	v_fma_f64 v[14:15], v[94:95], v[10:11], -v[14:15]
	s_delay_alu instid0(VALU_DEP_2) | instskip(NEXT) | instid1(VALU_DEP_2)
	v_fmac_f64_e32 v[12:13], v[96:97], v[10:11]
	v_add_f64_e32 v[4:5], v[4:5], v[14:15]
	s_delay_alu instid0(VALU_DEP_2)
	v_add_f64_e32 v[2:3], v[2:3], v[12:13]
	s_and_not1_b32 exec_lo, exec_lo, s3
	s_cbranch_execnz .LBB102_165
; %bb.166:
	s_or_b32 exec_lo, exec_lo, s3
	v_mov_b32_e32 v6, 0
	ds_load_b128 v[6:9], v6 offset:608
	s_wait_dscnt 0x0
	v_mul_f64_e32 v[12:13], v[2:3], v[8:9]
	v_mul_f64_e32 v[10:11], v[4:5], v[8:9]
	s_delay_alu instid0(VALU_DEP_2) | instskip(NEXT) | instid1(VALU_DEP_2)
	v_fma_f64 v[8:9], v[4:5], v[6:7], -v[12:13]
	v_fmac_f64_e32 v[10:11], v[2:3], v[6:7]
	scratch_store_b128 off, v[8:11], off offset:608
.LBB102_167:
	s_wait_xcnt 0x0
	s_or_b32 exec_lo, exec_lo, s2
	s_mov_b32 s3, -1
	s_wait_storecnt 0x0
	s_barrier_signal -1
	s_barrier_wait -1
.LBB102_168:
	s_and_b32 vcc_lo, exec_lo, s3
	s_cbranch_vccz .LBB102_170
; %bb.169:
	s_wait_xcnt 0x0
	v_mov_b32_e32 v2, 0
	s_lshl_b64 s[2:3], s[10:11], 2
	s_delay_alu instid0(SALU_CYCLE_1)
	s_add_nc_u64 s[2:3], s[6:7], s[2:3]
	global_load_b32 v2, v2, s[2:3]
	s_wait_loadcnt 0x0
	v_cmp_ne_u32_e32 vcc_lo, 0, v2
	s_cbranch_vccz .LBB102_171
.LBB102_170:
	s_sendmsg sendmsg(MSG_DEALLOC_VGPRS)
	s_endpgm
.LBB102_171:
	v_lshl_add_u32 v94, v1, 4, 0x270
	s_wait_xcnt 0x0
	s_mov_b32 s2, exec_lo
	v_cmpx_eq_u32_e32 38, v1
	s_cbranch_execz .LBB102_173
; %bb.172:
	scratch_load_b128 v[2:5], off, s15
	v_mov_b32_e32 v6, 0
	s_delay_alu instid0(VALU_DEP_1)
	v_dual_mov_b32 v7, v6 :: v_dual_mov_b32 v8, v6
	v_mov_b32_e32 v9, v6
	scratch_store_b128 off, v[6:9], off offset:592
	s_wait_loadcnt 0x0
	ds_store_b128 v94, v[2:5]
.LBB102_173:
	s_wait_xcnt 0x0
	s_or_b32 exec_lo, exec_lo, s2
	s_wait_storecnt_dscnt 0x0
	s_barrier_signal -1
	s_barrier_wait -1
	s_clause 0x1
	scratch_load_b128 v[4:7], off, off offset:608
	scratch_load_b128 v[8:11], off, off offset:592
	v_mov_b32_e32 v2, 0
	s_mov_b32 s2, exec_lo
	ds_load_b128 v[12:15], v2 offset:1232
	s_wait_loadcnt_dscnt 0x100
	v_mul_f64_e32 v[96:97], v[14:15], v[6:7]
	v_mul_f64_e32 v[6:7], v[12:13], v[6:7]
	s_delay_alu instid0(VALU_DEP_2) | instskip(NEXT) | instid1(VALU_DEP_2)
	v_fma_f64 v[12:13], v[12:13], v[4:5], -v[96:97]
	v_fmac_f64_e32 v[6:7], v[14:15], v[4:5]
	s_delay_alu instid0(VALU_DEP_2) | instskip(NEXT) | instid1(VALU_DEP_2)
	v_add_f64_e32 v[4:5], 0, v[12:13]
	v_add_f64_e32 v[6:7], 0, v[6:7]
	s_wait_loadcnt 0x0
	s_delay_alu instid0(VALU_DEP_2) | instskip(NEXT) | instid1(VALU_DEP_2)
	v_add_f64_e64 v[4:5], v[8:9], -v[4:5]
	v_add_f64_e64 v[6:7], v[10:11], -v[6:7]
	scratch_store_b128 off, v[4:7], off offset:592
	s_wait_xcnt 0x0
	v_cmpx_lt_u32_e32 36, v1
	s_cbranch_execz .LBB102_175
; %bb.174:
	scratch_load_b128 v[6:9], off, s17
	v_dual_mov_b32 v3, v2 :: v_dual_mov_b32 v4, v2
	v_mov_b32_e32 v5, v2
	scratch_store_b128 off, v[2:5], off offset:576
	s_wait_loadcnt 0x0
	ds_store_b128 v94, v[6:9]
.LBB102_175:
	s_wait_xcnt 0x0
	s_or_b32 exec_lo, exec_lo, s2
	s_wait_storecnt_dscnt 0x0
	s_barrier_signal -1
	s_barrier_wait -1
	s_clause 0x2
	scratch_load_b128 v[4:7], off, off offset:592
	scratch_load_b128 v[8:11], off, off offset:608
	;; [unrolled: 1-line block ×3, first 2 shown]
	ds_load_b128 v[96:99], v2 offset:1216
	ds_load_b128 v[100:103], v2 offset:1232
	s_mov_b32 s2, exec_lo
	s_wait_loadcnt_dscnt 0x201
	v_mul_f64_e32 v[2:3], v[98:99], v[6:7]
	v_mul_f64_e32 v[6:7], v[96:97], v[6:7]
	s_wait_loadcnt_dscnt 0x100
	v_mul_f64_e32 v[104:105], v[100:101], v[10:11]
	v_mul_f64_e32 v[10:11], v[102:103], v[10:11]
	s_delay_alu instid0(VALU_DEP_4) | instskip(NEXT) | instid1(VALU_DEP_4)
	v_fma_f64 v[2:3], v[96:97], v[4:5], -v[2:3]
	v_fmac_f64_e32 v[6:7], v[98:99], v[4:5]
	s_delay_alu instid0(VALU_DEP_4) | instskip(NEXT) | instid1(VALU_DEP_4)
	v_fmac_f64_e32 v[104:105], v[102:103], v[8:9]
	v_fma_f64 v[4:5], v[100:101], v[8:9], -v[10:11]
	s_delay_alu instid0(VALU_DEP_4) | instskip(NEXT) | instid1(VALU_DEP_4)
	v_add_f64_e32 v[2:3], 0, v[2:3]
	v_add_f64_e32 v[6:7], 0, v[6:7]
	s_delay_alu instid0(VALU_DEP_2) | instskip(NEXT) | instid1(VALU_DEP_2)
	v_add_f64_e32 v[2:3], v[2:3], v[4:5]
	v_add_f64_e32 v[4:5], v[6:7], v[104:105]
	s_wait_loadcnt 0x0
	s_delay_alu instid0(VALU_DEP_2) | instskip(NEXT) | instid1(VALU_DEP_2)
	v_add_f64_e64 v[2:3], v[12:13], -v[2:3]
	v_add_f64_e64 v[4:5], v[14:15], -v[4:5]
	scratch_store_b128 off, v[2:5], off offset:576
	s_wait_xcnt 0x0
	v_cmpx_lt_u32_e32 35, v1
	s_cbranch_execz .LBB102_177
; %bb.176:
	scratch_load_b128 v[2:5], off, s19
	v_mov_b32_e32 v6, 0
	s_delay_alu instid0(VALU_DEP_1)
	v_dual_mov_b32 v7, v6 :: v_dual_mov_b32 v8, v6
	v_mov_b32_e32 v9, v6
	scratch_store_b128 off, v[6:9], off offset:560
	s_wait_loadcnt 0x0
	ds_store_b128 v94, v[2:5]
.LBB102_177:
	s_wait_xcnt 0x0
	s_or_b32 exec_lo, exec_lo, s2
	s_wait_storecnt_dscnt 0x0
	s_barrier_signal -1
	s_barrier_wait -1
	s_clause 0x3
	scratch_load_b128 v[4:7], off, off offset:576
	scratch_load_b128 v[8:11], off, off offset:592
	;; [unrolled: 1-line block ×4, first 2 shown]
	v_mov_b32_e32 v2, 0
	ds_load_b128 v[100:103], v2 offset:1200
	ds_load_b128 v[104:107], v2 offset:1216
	s_mov_b32 s2, exec_lo
	s_wait_loadcnt_dscnt 0x301
	v_mul_f64_e32 v[108:109], v[102:103], v[6:7]
	v_mul_f64_e32 v[110:111], v[100:101], v[6:7]
	s_wait_loadcnt_dscnt 0x200
	v_mul_f64_e32 v[112:113], v[104:105], v[10:11]
	v_mul_f64_e32 v[10:11], v[106:107], v[10:11]
	s_delay_alu instid0(VALU_DEP_4) | instskip(NEXT) | instid1(VALU_DEP_4)
	v_fma_f64 v[100:101], v[100:101], v[4:5], -v[108:109]
	v_fmac_f64_e32 v[110:111], v[102:103], v[4:5]
	ds_load_b128 v[4:7], v2 offset:1232
	v_fmac_f64_e32 v[112:113], v[106:107], v[8:9]
	v_fma_f64 v[8:9], v[104:105], v[8:9], -v[10:11]
	s_wait_loadcnt_dscnt 0x100
	v_mul_f64_e32 v[102:103], v[4:5], v[14:15]
	v_mul_f64_e32 v[14:15], v[6:7], v[14:15]
	v_add_f64_e32 v[10:11], 0, v[100:101]
	v_add_f64_e32 v[100:101], 0, v[110:111]
	s_delay_alu instid0(VALU_DEP_4) | instskip(NEXT) | instid1(VALU_DEP_4)
	v_fmac_f64_e32 v[102:103], v[6:7], v[12:13]
	v_fma_f64 v[4:5], v[4:5], v[12:13], -v[14:15]
	s_delay_alu instid0(VALU_DEP_4) | instskip(NEXT) | instid1(VALU_DEP_4)
	v_add_f64_e32 v[6:7], v[10:11], v[8:9]
	v_add_f64_e32 v[8:9], v[100:101], v[112:113]
	s_delay_alu instid0(VALU_DEP_2) | instskip(NEXT) | instid1(VALU_DEP_2)
	v_add_f64_e32 v[4:5], v[6:7], v[4:5]
	v_add_f64_e32 v[6:7], v[8:9], v[102:103]
	s_wait_loadcnt 0x0
	s_delay_alu instid0(VALU_DEP_2) | instskip(NEXT) | instid1(VALU_DEP_2)
	v_add_f64_e64 v[4:5], v[96:97], -v[4:5]
	v_add_f64_e64 v[6:7], v[98:99], -v[6:7]
	scratch_store_b128 off, v[4:7], off offset:560
	s_wait_xcnt 0x0
	v_cmpx_lt_u32_e32 34, v1
	s_cbranch_execz .LBB102_179
; %bb.178:
	scratch_load_b128 v[6:9], off, s20
	v_dual_mov_b32 v3, v2 :: v_dual_mov_b32 v4, v2
	v_mov_b32_e32 v5, v2
	scratch_store_b128 off, v[2:5], off offset:544
	s_wait_loadcnt 0x0
	ds_store_b128 v94, v[6:9]
.LBB102_179:
	s_wait_xcnt 0x0
	s_or_b32 exec_lo, exec_lo, s2
	s_wait_storecnt_dscnt 0x0
	s_barrier_signal -1
	s_barrier_wait -1
	s_clause 0x4
	scratch_load_b128 v[4:7], off, off offset:560
	scratch_load_b128 v[8:11], off, off offset:576
	;; [unrolled: 1-line block ×5, first 2 shown]
	ds_load_b128 v[104:107], v2 offset:1184
	ds_load_b128 v[108:111], v2 offset:1200
	s_mov_b32 s2, exec_lo
	s_wait_loadcnt_dscnt 0x401
	v_mul_f64_e32 v[112:113], v[106:107], v[6:7]
	v_mul_f64_e32 v[114:115], v[104:105], v[6:7]
	s_wait_loadcnt_dscnt 0x300
	v_mul_f64_e32 v[116:117], v[108:109], v[10:11]
	v_mul_f64_e32 v[10:11], v[110:111], v[10:11]
	s_delay_alu instid0(VALU_DEP_4) | instskip(NEXT) | instid1(VALU_DEP_4)
	v_fma_f64 v[112:113], v[104:105], v[4:5], -v[112:113]
	v_fmac_f64_e32 v[114:115], v[106:107], v[4:5]
	ds_load_b128 v[4:7], v2 offset:1216
	ds_load_b128 v[104:107], v2 offset:1232
	v_fmac_f64_e32 v[116:117], v[110:111], v[8:9]
	v_fma_f64 v[8:9], v[108:109], v[8:9], -v[10:11]
	s_wait_loadcnt_dscnt 0x201
	v_mul_f64_e32 v[2:3], v[4:5], v[14:15]
	v_mul_f64_e32 v[14:15], v[6:7], v[14:15]
	s_wait_loadcnt_dscnt 0x100
	v_mul_f64_e32 v[110:111], v[104:105], v[98:99]
	v_mul_f64_e32 v[98:99], v[106:107], v[98:99]
	v_add_f64_e32 v[10:11], 0, v[112:113]
	v_add_f64_e32 v[108:109], 0, v[114:115]
	v_fmac_f64_e32 v[2:3], v[6:7], v[12:13]
	v_fma_f64 v[4:5], v[4:5], v[12:13], -v[14:15]
	v_fmac_f64_e32 v[110:111], v[106:107], v[96:97]
	v_add_f64_e32 v[6:7], v[10:11], v[8:9]
	v_add_f64_e32 v[8:9], v[108:109], v[116:117]
	v_fma_f64 v[10:11], v[104:105], v[96:97], -v[98:99]
	s_delay_alu instid0(VALU_DEP_3) | instskip(NEXT) | instid1(VALU_DEP_3)
	v_add_f64_e32 v[4:5], v[6:7], v[4:5]
	v_add_f64_e32 v[2:3], v[8:9], v[2:3]
	s_delay_alu instid0(VALU_DEP_2) | instskip(NEXT) | instid1(VALU_DEP_2)
	v_add_f64_e32 v[4:5], v[4:5], v[10:11]
	v_add_f64_e32 v[6:7], v[2:3], v[110:111]
	s_wait_loadcnt 0x0
	s_delay_alu instid0(VALU_DEP_2) | instskip(NEXT) | instid1(VALU_DEP_2)
	v_add_f64_e64 v[2:3], v[100:101], -v[4:5]
	v_add_f64_e64 v[4:5], v[102:103], -v[6:7]
	scratch_store_b128 off, v[2:5], off offset:544
	s_wait_xcnt 0x0
	v_cmpx_lt_u32_e32 33, v1
	s_cbranch_execz .LBB102_181
; %bb.180:
	scratch_load_b128 v[2:5], off, s21
	v_mov_b32_e32 v6, 0
	s_delay_alu instid0(VALU_DEP_1)
	v_dual_mov_b32 v7, v6 :: v_dual_mov_b32 v8, v6
	v_mov_b32_e32 v9, v6
	scratch_store_b128 off, v[6:9], off offset:528
	s_wait_loadcnt 0x0
	ds_store_b128 v94, v[2:5]
.LBB102_181:
	s_wait_xcnt 0x0
	s_or_b32 exec_lo, exec_lo, s2
	s_wait_storecnt_dscnt 0x0
	s_barrier_signal -1
	s_barrier_wait -1
	s_clause 0x5
	scratch_load_b128 v[4:7], off, off offset:544
	scratch_load_b128 v[8:11], off, off offset:560
	;; [unrolled: 1-line block ×6, first 2 shown]
	v_mov_b32_e32 v2, 0
	ds_load_b128 v[108:111], v2 offset:1168
	ds_load_b128 v[112:115], v2 offset:1184
	s_mov_b32 s2, exec_lo
	s_wait_loadcnt_dscnt 0x501
	v_mul_f64_e32 v[116:117], v[110:111], v[6:7]
	v_mul_f64_e32 v[118:119], v[108:109], v[6:7]
	s_wait_loadcnt_dscnt 0x400
	v_mul_f64_e32 v[120:121], v[112:113], v[10:11]
	v_mul_f64_e32 v[10:11], v[114:115], v[10:11]
	s_delay_alu instid0(VALU_DEP_4) | instskip(NEXT) | instid1(VALU_DEP_4)
	v_fma_f64 v[116:117], v[108:109], v[4:5], -v[116:117]
	v_fmac_f64_e32 v[118:119], v[110:111], v[4:5]
	ds_load_b128 v[4:7], v2 offset:1200
	ds_load_b128 v[108:111], v2 offset:1216
	v_fmac_f64_e32 v[120:121], v[114:115], v[8:9]
	v_fma_f64 v[8:9], v[112:113], v[8:9], -v[10:11]
	s_wait_loadcnt_dscnt 0x301
	v_mul_f64_e32 v[122:123], v[4:5], v[14:15]
	v_mul_f64_e32 v[14:15], v[6:7], v[14:15]
	s_wait_loadcnt_dscnt 0x200
	v_mul_f64_e32 v[114:115], v[108:109], v[98:99]
	v_mul_f64_e32 v[98:99], v[110:111], v[98:99]
	v_add_f64_e32 v[10:11], 0, v[116:117]
	v_add_f64_e32 v[112:113], 0, v[118:119]
	v_fmac_f64_e32 v[122:123], v[6:7], v[12:13]
	v_fma_f64 v[12:13], v[4:5], v[12:13], -v[14:15]
	ds_load_b128 v[4:7], v2 offset:1232
	v_fmac_f64_e32 v[114:115], v[110:111], v[96:97]
	v_fma_f64 v[96:97], v[108:109], v[96:97], -v[98:99]
	v_add_f64_e32 v[8:9], v[10:11], v[8:9]
	v_add_f64_e32 v[10:11], v[112:113], v[120:121]
	s_wait_loadcnt_dscnt 0x100
	v_mul_f64_e32 v[14:15], v[4:5], v[102:103]
	v_mul_f64_e32 v[102:103], v[6:7], v[102:103]
	s_delay_alu instid0(VALU_DEP_4) | instskip(NEXT) | instid1(VALU_DEP_4)
	v_add_f64_e32 v[8:9], v[8:9], v[12:13]
	v_add_f64_e32 v[10:11], v[10:11], v[122:123]
	s_delay_alu instid0(VALU_DEP_4) | instskip(NEXT) | instid1(VALU_DEP_4)
	v_fmac_f64_e32 v[14:15], v[6:7], v[100:101]
	v_fma_f64 v[4:5], v[4:5], v[100:101], -v[102:103]
	s_delay_alu instid0(VALU_DEP_4) | instskip(NEXT) | instid1(VALU_DEP_4)
	v_add_f64_e32 v[6:7], v[8:9], v[96:97]
	v_add_f64_e32 v[8:9], v[10:11], v[114:115]
	s_delay_alu instid0(VALU_DEP_2) | instskip(NEXT) | instid1(VALU_DEP_2)
	v_add_f64_e32 v[4:5], v[6:7], v[4:5]
	v_add_f64_e32 v[6:7], v[8:9], v[14:15]
	s_wait_loadcnt 0x0
	s_delay_alu instid0(VALU_DEP_2) | instskip(NEXT) | instid1(VALU_DEP_2)
	v_add_f64_e64 v[4:5], v[104:105], -v[4:5]
	v_add_f64_e64 v[6:7], v[106:107], -v[6:7]
	scratch_store_b128 off, v[4:7], off offset:528
	s_wait_xcnt 0x0
	v_cmpx_lt_u32_e32 32, v1
	s_cbranch_execz .LBB102_183
; %bb.182:
	scratch_load_b128 v[6:9], off, s22
	v_dual_mov_b32 v3, v2 :: v_dual_mov_b32 v4, v2
	v_mov_b32_e32 v5, v2
	scratch_store_b128 off, v[2:5], off offset:512
	s_wait_loadcnt 0x0
	ds_store_b128 v94, v[6:9]
.LBB102_183:
	s_wait_xcnt 0x0
	s_or_b32 exec_lo, exec_lo, s2
	s_wait_storecnt_dscnt 0x0
	s_barrier_signal -1
	s_barrier_wait -1
	s_clause 0x6
	scratch_load_b128 v[4:7], off, off offset:528
	scratch_load_b128 v[8:11], off, off offset:544
	;; [unrolled: 1-line block ×7, first 2 shown]
	ds_load_b128 v[112:115], v2 offset:1152
	ds_load_b128 v[116:119], v2 offset:1168
	s_mov_b32 s2, exec_lo
	s_wait_loadcnt_dscnt 0x601
	v_mul_f64_e32 v[120:121], v[114:115], v[6:7]
	v_mul_f64_e32 v[122:123], v[112:113], v[6:7]
	s_wait_loadcnt_dscnt 0x500
	v_mul_f64_e32 v[124:125], v[116:117], v[10:11]
	v_mul_f64_e32 v[10:11], v[118:119], v[10:11]
	s_delay_alu instid0(VALU_DEP_4) | instskip(NEXT) | instid1(VALU_DEP_4)
	v_fma_f64 v[120:121], v[112:113], v[4:5], -v[120:121]
	v_fmac_f64_e32 v[122:123], v[114:115], v[4:5]
	ds_load_b128 v[4:7], v2 offset:1184
	ds_load_b128 v[112:115], v2 offset:1200
	v_fmac_f64_e32 v[124:125], v[118:119], v[8:9]
	v_fma_f64 v[8:9], v[116:117], v[8:9], -v[10:11]
	s_wait_loadcnt_dscnt 0x401
	v_mul_f64_e32 v[126:127], v[4:5], v[14:15]
	v_mul_f64_e32 v[14:15], v[6:7], v[14:15]
	s_wait_loadcnt_dscnt 0x300
	v_mul_f64_e32 v[118:119], v[112:113], v[98:99]
	v_mul_f64_e32 v[98:99], v[114:115], v[98:99]
	v_add_f64_e32 v[10:11], 0, v[120:121]
	v_add_f64_e32 v[116:117], 0, v[122:123]
	v_fmac_f64_e32 v[126:127], v[6:7], v[12:13]
	v_fma_f64 v[12:13], v[4:5], v[12:13], -v[14:15]
	v_fmac_f64_e32 v[118:119], v[114:115], v[96:97]
	v_fma_f64 v[96:97], v[112:113], v[96:97], -v[98:99]
	v_add_f64_e32 v[14:15], v[10:11], v[8:9]
	v_add_f64_e32 v[116:117], v[116:117], v[124:125]
	ds_load_b128 v[4:7], v2 offset:1216
	ds_load_b128 v[8:11], v2 offset:1232
	s_wait_loadcnt_dscnt 0x201
	v_mul_f64_e32 v[2:3], v[4:5], v[102:103]
	v_mul_f64_e32 v[102:103], v[6:7], v[102:103]
	s_wait_loadcnt_dscnt 0x100
	v_mul_f64_e32 v[98:99], v[8:9], v[106:107]
	v_mul_f64_e32 v[106:107], v[10:11], v[106:107]
	v_add_f64_e32 v[12:13], v[14:15], v[12:13]
	v_add_f64_e32 v[14:15], v[116:117], v[126:127]
	v_fmac_f64_e32 v[2:3], v[6:7], v[100:101]
	v_fma_f64 v[4:5], v[4:5], v[100:101], -v[102:103]
	v_fmac_f64_e32 v[98:99], v[10:11], v[104:105]
	v_fma_f64 v[8:9], v[8:9], v[104:105], -v[106:107]
	v_add_f64_e32 v[6:7], v[12:13], v[96:97]
	v_add_f64_e32 v[12:13], v[14:15], v[118:119]
	s_delay_alu instid0(VALU_DEP_2) | instskip(NEXT) | instid1(VALU_DEP_2)
	v_add_f64_e32 v[4:5], v[6:7], v[4:5]
	v_add_f64_e32 v[2:3], v[12:13], v[2:3]
	s_delay_alu instid0(VALU_DEP_2) | instskip(NEXT) | instid1(VALU_DEP_2)
	v_add_f64_e32 v[4:5], v[4:5], v[8:9]
	v_add_f64_e32 v[6:7], v[2:3], v[98:99]
	s_wait_loadcnt 0x0
	s_delay_alu instid0(VALU_DEP_2) | instskip(NEXT) | instid1(VALU_DEP_2)
	v_add_f64_e64 v[2:3], v[108:109], -v[4:5]
	v_add_f64_e64 v[4:5], v[110:111], -v[6:7]
	scratch_store_b128 off, v[2:5], off offset:512
	s_wait_xcnt 0x0
	v_cmpx_lt_u32_e32 31, v1
	s_cbranch_execz .LBB102_185
; %bb.184:
	scratch_load_b128 v[2:5], off, s23
	v_mov_b32_e32 v6, 0
	s_delay_alu instid0(VALU_DEP_1)
	v_dual_mov_b32 v7, v6 :: v_dual_mov_b32 v8, v6
	v_mov_b32_e32 v9, v6
	scratch_store_b128 off, v[6:9], off offset:496
	s_wait_loadcnt 0x0
	ds_store_b128 v94, v[2:5]
.LBB102_185:
	s_wait_xcnt 0x0
	s_or_b32 exec_lo, exec_lo, s2
	s_wait_storecnt_dscnt 0x0
	s_barrier_signal -1
	s_barrier_wait -1
	s_clause 0x7
	scratch_load_b128 v[4:7], off, off offset:512
	scratch_load_b128 v[8:11], off, off offset:528
	;; [unrolled: 1-line block ×8, first 2 shown]
	v_mov_b32_e32 v2, 0
	ds_load_b128 v[116:119], v2 offset:1136
	ds_load_b128 v[120:123], v2 offset:1152
	s_mov_b32 s2, exec_lo
	s_wait_loadcnt_dscnt 0x701
	v_mul_f64_e32 v[124:125], v[118:119], v[6:7]
	v_mul_f64_e32 v[126:127], v[116:117], v[6:7]
	s_wait_loadcnt_dscnt 0x600
	v_mul_f64_e32 v[128:129], v[120:121], v[10:11]
	v_mul_f64_e32 v[10:11], v[122:123], v[10:11]
	s_delay_alu instid0(VALU_DEP_4) | instskip(NEXT) | instid1(VALU_DEP_4)
	v_fma_f64 v[124:125], v[116:117], v[4:5], -v[124:125]
	v_fmac_f64_e32 v[126:127], v[118:119], v[4:5]
	ds_load_b128 v[4:7], v2 offset:1168
	ds_load_b128 v[116:119], v2 offset:1184
	v_fmac_f64_e32 v[128:129], v[122:123], v[8:9]
	v_fma_f64 v[8:9], v[120:121], v[8:9], -v[10:11]
	s_wait_loadcnt_dscnt 0x501
	v_mul_f64_e32 v[130:131], v[4:5], v[14:15]
	v_mul_f64_e32 v[14:15], v[6:7], v[14:15]
	s_wait_loadcnt_dscnt 0x400
	v_mul_f64_e32 v[122:123], v[116:117], v[98:99]
	v_mul_f64_e32 v[98:99], v[118:119], v[98:99]
	v_add_f64_e32 v[10:11], 0, v[124:125]
	v_add_f64_e32 v[120:121], 0, v[126:127]
	v_fmac_f64_e32 v[130:131], v[6:7], v[12:13]
	v_fma_f64 v[12:13], v[4:5], v[12:13], -v[14:15]
	v_fmac_f64_e32 v[122:123], v[118:119], v[96:97]
	v_fma_f64 v[96:97], v[116:117], v[96:97], -v[98:99]
	v_add_f64_e32 v[14:15], v[10:11], v[8:9]
	v_add_f64_e32 v[120:121], v[120:121], v[128:129]
	ds_load_b128 v[4:7], v2 offset:1200
	ds_load_b128 v[8:11], v2 offset:1216
	s_wait_loadcnt_dscnt 0x301
	v_mul_f64_e32 v[124:125], v[4:5], v[102:103]
	v_mul_f64_e32 v[102:103], v[6:7], v[102:103]
	s_wait_loadcnt_dscnt 0x200
	v_mul_f64_e32 v[98:99], v[8:9], v[106:107]
	v_mul_f64_e32 v[106:107], v[10:11], v[106:107]
	v_add_f64_e32 v[12:13], v[14:15], v[12:13]
	v_add_f64_e32 v[14:15], v[120:121], v[130:131]
	v_fmac_f64_e32 v[124:125], v[6:7], v[100:101]
	v_fma_f64 v[100:101], v[4:5], v[100:101], -v[102:103]
	ds_load_b128 v[4:7], v2 offset:1232
	v_fmac_f64_e32 v[98:99], v[10:11], v[104:105]
	v_fma_f64 v[8:9], v[8:9], v[104:105], -v[106:107]
	v_add_f64_e32 v[12:13], v[12:13], v[96:97]
	v_add_f64_e32 v[14:15], v[14:15], v[122:123]
	s_wait_loadcnt_dscnt 0x100
	v_mul_f64_e32 v[96:97], v[4:5], v[110:111]
	v_mul_f64_e32 v[102:103], v[6:7], v[110:111]
	s_delay_alu instid0(VALU_DEP_4) | instskip(NEXT) | instid1(VALU_DEP_4)
	v_add_f64_e32 v[10:11], v[12:13], v[100:101]
	v_add_f64_e32 v[12:13], v[14:15], v[124:125]
	s_delay_alu instid0(VALU_DEP_4) | instskip(NEXT) | instid1(VALU_DEP_4)
	v_fmac_f64_e32 v[96:97], v[6:7], v[108:109]
	v_fma_f64 v[4:5], v[4:5], v[108:109], -v[102:103]
	s_delay_alu instid0(VALU_DEP_4) | instskip(NEXT) | instid1(VALU_DEP_4)
	v_add_f64_e32 v[6:7], v[10:11], v[8:9]
	v_add_f64_e32 v[8:9], v[12:13], v[98:99]
	s_delay_alu instid0(VALU_DEP_2) | instskip(NEXT) | instid1(VALU_DEP_2)
	v_add_f64_e32 v[4:5], v[6:7], v[4:5]
	v_add_f64_e32 v[6:7], v[8:9], v[96:97]
	s_wait_loadcnt 0x0
	s_delay_alu instid0(VALU_DEP_2) | instskip(NEXT) | instid1(VALU_DEP_2)
	v_add_f64_e64 v[4:5], v[112:113], -v[4:5]
	v_add_f64_e64 v[6:7], v[114:115], -v[6:7]
	scratch_store_b128 off, v[4:7], off offset:496
	s_wait_xcnt 0x0
	v_cmpx_lt_u32_e32 30, v1
	s_cbranch_execz .LBB102_187
; %bb.186:
	scratch_load_b128 v[6:9], off, s24
	v_dual_mov_b32 v3, v2 :: v_dual_mov_b32 v4, v2
	v_mov_b32_e32 v5, v2
	scratch_store_b128 off, v[2:5], off offset:480
	s_wait_loadcnt 0x0
	ds_store_b128 v94, v[6:9]
.LBB102_187:
	s_wait_xcnt 0x0
	s_or_b32 exec_lo, exec_lo, s2
	s_wait_storecnt_dscnt 0x0
	s_barrier_signal -1
	s_barrier_wait -1
	s_clause 0x7
	scratch_load_b128 v[4:7], off, off offset:496
	scratch_load_b128 v[8:11], off, off offset:512
	;; [unrolled: 1-line block ×8, first 2 shown]
	ds_load_b128 v[116:119], v2 offset:1120
	ds_load_b128 v[120:123], v2 offset:1136
	scratch_load_b128 v[124:127], off, off offset:480
	s_mov_b32 s2, exec_lo
	s_wait_loadcnt_dscnt 0x801
	v_mul_f64_e32 v[128:129], v[118:119], v[6:7]
	v_mul_f64_e32 v[130:131], v[116:117], v[6:7]
	s_wait_loadcnt_dscnt 0x700
	v_mul_f64_e32 v[132:133], v[120:121], v[10:11]
	v_mul_f64_e32 v[10:11], v[122:123], v[10:11]
	s_delay_alu instid0(VALU_DEP_4) | instskip(NEXT) | instid1(VALU_DEP_4)
	v_fma_f64 v[128:129], v[116:117], v[4:5], -v[128:129]
	v_fmac_f64_e32 v[130:131], v[118:119], v[4:5]
	ds_load_b128 v[4:7], v2 offset:1152
	ds_load_b128 v[116:119], v2 offset:1168
	v_fmac_f64_e32 v[132:133], v[122:123], v[8:9]
	v_fma_f64 v[8:9], v[120:121], v[8:9], -v[10:11]
	s_wait_loadcnt_dscnt 0x601
	v_mul_f64_e32 v[134:135], v[4:5], v[14:15]
	v_mul_f64_e32 v[14:15], v[6:7], v[14:15]
	s_wait_loadcnt_dscnt 0x500
	v_mul_f64_e32 v[122:123], v[116:117], v[98:99]
	v_mul_f64_e32 v[98:99], v[118:119], v[98:99]
	v_add_f64_e32 v[10:11], 0, v[128:129]
	v_add_f64_e32 v[120:121], 0, v[130:131]
	v_fmac_f64_e32 v[134:135], v[6:7], v[12:13]
	v_fma_f64 v[12:13], v[4:5], v[12:13], -v[14:15]
	v_fmac_f64_e32 v[122:123], v[118:119], v[96:97]
	v_fma_f64 v[96:97], v[116:117], v[96:97], -v[98:99]
	v_add_f64_e32 v[14:15], v[10:11], v[8:9]
	v_add_f64_e32 v[120:121], v[120:121], v[132:133]
	ds_load_b128 v[4:7], v2 offset:1184
	ds_load_b128 v[8:11], v2 offset:1200
	s_wait_loadcnt_dscnt 0x401
	v_mul_f64_e32 v[128:129], v[4:5], v[102:103]
	v_mul_f64_e32 v[102:103], v[6:7], v[102:103]
	s_wait_loadcnt_dscnt 0x300
	v_mul_f64_e32 v[98:99], v[8:9], v[106:107]
	v_mul_f64_e32 v[106:107], v[10:11], v[106:107]
	v_add_f64_e32 v[12:13], v[14:15], v[12:13]
	v_add_f64_e32 v[14:15], v[120:121], v[134:135]
	v_fmac_f64_e32 v[128:129], v[6:7], v[100:101]
	v_fma_f64 v[100:101], v[4:5], v[100:101], -v[102:103]
	v_fmac_f64_e32 v[98:99], v[10:11], v[104:105]
	v_fma_f64 v[8:9], v[8:9], v[104:105], -v[106:107]
	v_add_f64_e32 v[96:97], v[12:13], v[96:97]
	v_add_f64_e32 v[102:103], v[14:15], v[122:123]
	ds_load_b128 v[4:7], v2 offset:1216
	ds_load_b128 v[12:15], v2 offset:1232
	s_wait_loadcnt_dscnt 0x201
	v_mul_f64_e32 v[2:3], v[4:5], v[110:111]
	v_mul_f64_e32 v[110:111], v[6:7], v[110:111]
	v_add_f64_e32 v[10:11], v[96:97], v[100:101]
	v_add_f64_e32 v[96:97], v[102:103], v[128:129]
	s_wait_loadcnt_dscnt 0x100
	v_mul_f64_e32 v[100:101], v[12:13], v[114:115]
	v_mul_f64_e32 v[102:103], v[14:15], v[114:115]
	v_fmac_f64_e32 v[2:3], v[6:7], v[108:109]
	v_fma_f64 v[4:5], v[4:5], v[108:109], -v[110:111]
	v_add_f64_e32 v[6:7], v[10:11], v[8:9]
	v_add_f64_e32 v[8:9], v[96:97], v[98:99]
	v_fmac_f64_e32 v[100:101], v[14:15], v[112:113]
	v_fma_f64 v[10:11], v[12:13], v[112:113], -v[102:103]
	s_delay_alu instid0(VALU_DEP_4) | instskip(NEXT) | instid1(VALU_DEP_4)
	v_add_f64_e32 v[4:5], v[6:7], v[4:5]
	v_add_f64_e32 v[2:3], v[8:9], v[2:3]
	s_delay_alu instid0(VALU_DEP_2) | instskip(NEXT) | instid1(VALU_DEP_2)
	v_add_f64_e32 v[4:5], v[4:5], v[10:11]
	v_add_f64_e32 v[6:7], v[2:3], v[100:101]
	s_wait_loadcnt 0x0
	s_delay_alu instid0(VALU_DEP_2) | instskip(NEXT) | instid1(VALU_DEP_2)
	v_add_f64_e64 v[2:3], v[124:125], -v[4:5]
	v_add_f64_e64 v[4:5], v[126:127], -v[6:7]
	scratch_store_b128 off, v[2:5], off offset:480
	s_wait_xcnt 0x0
	v_cmpx_lt_u32_e32 29, v1
	s_cbranch_execz .LBB102_189
; %bb.188:
	scratch_load_b128 v[2:5], off, s25
	v_mov_b32_e32 v6, 0
	s_delay_alu instid0(VALU_DEP_1)
	v_dual_mov_b32 v7, v6 :: v_dual_mov_b32 v8, v6
	v_mov_b32_e32 v9, v6
	scratch_store_b128 off, v[6:9], off offset:464
	s_wait_loadcnt 0x0
	ds_store_b128 v94, v[2:5]
.LBB102_189:
	s_wait_xcnt 0x0
	s_or_b32 exec_lo, exec_lo, s2
	s_wait_storecnt_dscnt 0x0
	s_barrier_signal -1
	s_barrier_wait -1
	s_clause 0x8
	scratch_load_b128 v[4:7], off, off offset:480
	scratch_load_b128 v[8:11], off, off offset:496
	;; [unrolled: 1-line block ×9, first 2 shown]
	v_mov_b32_e32 v2, 0
	scratch_load_b128 v[124:127], off, off offset:464
	s_mov_b32 s2, exec_lo
	ds_load_b128 v[120:123], v2 offset:1104
	ds_load_b128 v[128:131], v2 offset:1120
	s_wait_loadcnt_dscnt 0x901
	v_mul_f64_e32 v[132:133], v[122:123], v[6:7]
	v_mul_f64_e32 v[134:135], v[120:121], v[6:7]
	s_wait_loadcnt_dscnt 0x800
	v_mul_f64_e32 v[136:137], v[128:129], v[10:11]
	v_mul_f64_e32 v[10:11], v[130:131], v[10:11]
	s_delay_alu instid0(VALU_DEP_4) | instskip(NEXT) | instid1(VALU_DEP_4)
	v_fma_f64 v[132:133], v[120:121], v[4:5], -v[132:133]
	v_fmac_f64_e32 v[134:135], v[122:123], v[4:5]
	ds_load_b128 v[4:7], v2 offset:1136
	ds_load_b128 v[120:123], v2 offset:1152
	v_fmac_f64_e32 v[136:137], v[130:131], v[8:9]
	v_fma_f64 v[8:9], v[128:129], v[8:9], -v[10:11]
	s_wait_loadcnt_dscnt 0x701
	v_mul_f64_e32 v[138:139], v[4:5], v[14:15]
	v_mul_f64_e32 v[14:15], v[6:7], v[14:15]
	s_wait_loadcnt_dscnt 0x600
	v_mul_f64_e32 v[130:131], v[120:121], v[98:99]
	v_mul_f64_e32 v[98:99], v[122:123], v[98:99]
	v_add_f64_e32 v[10:11], 0, v[132:133]
	v_add_f64_e32 v[128:129], 0, v[134:135]
	v_fmac_f64_e32 v[138:139], v[6:7], v[12:13]
	v_fma_f64 v[12:13], v[4:5], v[12:13], -v[14:15]
	v_fmac_f64_e32 v[130:131], v[122:123], v[96:97]
	v_fma_f64 v[96:97], v[120:121], v[96:97], -v[98:99]
	v_add_f64_e32 v[14:15], v[10:11], v[8:9]
	v_add_f64_e32 v[128:129], v[128:129], v[136:137]
	ds_load_b128 v[4:7], v2 offset:1168
	ds_load_b128 v[8:11], v2 offset:1184
	s_wait_loadcnt_dscnt 0x501
	v_mul_f64_e32 v[132:133], v[4:5], v[102:103]
	v_mul_f64_e32 v[102:103], v[6:7], v[102:103]
	s_wait_loadcnt_dscnt 0x400
	v_mul_f64_e32 v[98:99], v[8:9], v[106:107]
	v_mul_f64_e32 v[106:107], v[10:11], v[106:107]
	v_add_f64_e32 v[12:13], v[14:15], v[12:13]
	v_add_f64_e32 v[14:15], v[128:129], v[138:139]
	v_fmac_f64_e32 v[132:133], v[6:7], v[100:101]
	v_fma_f64 v[100:101], v[4:5], v[100:101], -v[102:103]
	v_fmac_f64_e32 v[98:99], v[10:11], v[104:105]
	v_fma_f64 v[8:9], v[8:9], v[104:105], -v[106:107]
	v_add_f64_e32 v[96:97], v[12:13], v[96:97]
	v_add_f64_e32 v[102:103], v[14:15], v[130:131]
	ds_load_b128 v[4:7], v2 offset:1200
	ds_load_b128 v[12:15], v2 offset:1216
	s_wait_loadcnt_dscnt 0x301
	v_mul_f64_e32 v[120:121], v[4:5], v[110:111]
	v_mul_f64_e32 v[110:111], v[6:7], v[110:111]
	v_add_f64_e32 v[10:11], v[96:97], v[100:101]
	v_add_f64_e32 v[96:97], v[102:103], v[132:133]
	s_wait_loadcnt_dscnt 0x200
	v_mul_f64_e32 v[100:101], v[12:13], v[114:115]
	v_mul_f64_e32 v[102:103], v[14:15], v[114:115]
	v_fmac_f64_e32 v[120:121], v[6:7], v[108:109]
	v_fma_f64 v[104:105], v[4:5], v[108:109], -v[110:111]
	ds_load_b128 v[4:7], v2 offset:1232
	v_add_f64_e32 v[8:9], v[10:11], v[8:9]
	v_add_f64_e32 v[10:11], v[96:97], v[98:99]
	v_fmac_f64_e32 v[100:101], v[14:15], v[112:113]
	v_fma_f64 v[12:13], v[12:13], v[112:113], -v[102:103]
	s_wait_loadcnt_dscnt 0x100
	v_mul_f64_e32 v[96:97], v[4:5], v[118:119]
	v_mul_f64_e32 v[98:99], v[6:7], v[118:119]
	v_add_f64_e32 v[8:9], v[8:9], v[104:105]
	v_add_f64_e32 v[10:11], v[10:11], v[120:121]
	s_delay_alu instid0(VALU_DEP_4) | instskip(NEXT) | instid1(VALU_DEP_4)
	v_fmac_f64_e32 v[96:97], v[6:7], v[116:117]
	v_fma_f64 v[4:5], v[4:5], v[116:117], -v[98:99]
	s_delay_alu instid0(VALU_DEP_4) | instskip(NEXT) | instid1(VALU_DEP_4)
	v_add_f64_e32 v[6:7], v[8:9], v[12:13]
	v_add_f64_e32 v[8:9], v[10:11], v[100:101]
	s_delay_alu instid0(VALU_DEP_2) | instskip(NEXT) | instid1(VALU_DEP_2)
	v_add_f64_e32 v[4:5], v[6:7], v[4:5]
	v_add_f64_e32 v[6:7], v[8:9], v[96:97]
	s_wait_loadcnt 0x0
	s_delay_alu instid0(VALU_DEP_2) | instskip(NEXT) | instid1(VALU_DEP_2)
	v_add_f64_e64 v[4:5], v[124:125], -v[4:5]
	v_add_f64_e64 v[6:7], v[126:127], -v[6:7]
	scratch_store_b128 off, v[4:7], off offset:464
	s_wait_xcnt 0x0
	v_cmpx_lt_u32_e32 28, v1
	s_cbranch_execz .LBB102_191
; %bb.190:
	scratch_load_b128 v[6:9], off, s26
	v_dual_mov_b32 v3, v2 :: v_dual_mov_b32 v4, v2
	v_mov_b32_e32 v5, v2
	scratch_store_b128 off, v[2:5], off offset:448
	s_wait_loadcnt 0x0
	ds_store_b128 v94, v[6:9]
.LBB102_191:
	s_wait_xcnt 0x0
	s_or_b32 exec_lo, exec_lo, s2
	s_wait_storecnt_dscnt 0x0
	s_barrier_signal -1
	s_barrier_wait -1
	s_clause 0x9
	scratch_load_b128 v[4:7], off, off offset:464
	scratch_load_b128 v[8:11], off, off offset:480
	;; [unrolled: 1-line block ×10, first 2 shown]
	ds_load_b128 v[124:127], v2 offset:1088
	ds_load_b128 v[128:131], v2 offset:1104
	scratch_load_b128 v[132:135], off, off offset:448
	s_mov_b32 s2, exec_lo
	s_wait_loadcnt_dscnt 0xa01
	v_mul_f64_e32 v[136:137], v[126:127], v[6:7]
	v_mul_f64_e32 v[138:139], v[124:125], v[6:7]
	s_wait_loadcnt_dscnt 0x900
	v_mul_f64_e32 v[140:141], v[128:129], v[10:11]
	v_mul_f64_e32 v[10:11], v[130:131], v[10:11]
	s_delay_alu instid0(VALU_DEP_4) | instskip(NEXT) | instid1(VALU_DEP_4)
	v_fma_f64 v[136:137], v[124:125], v[4:5], -v[136:137]
	v_fmac_f64_e32 v[138:139], v[126:127], v[4:5]
	ds_load_b128 v[4:7], v2 offset:1120
	ds_load_b128 v[124:127], v2 offset:1136
	v_fmac_f64_e32 v[140:141], v[130:131], v[8:9]
	v_fma_f64 v[8:9], v[128:129], v[8:9], -v[10:11]
	s_wait_loadcnt_dscnt 0x801
	v_mul_f64_e32 v[142:143], v[4:5], v[14:15]
	v_mul_f64_e32 v[14:15], v[6:7], v[14:15]
	s_wait_loadcnt_dscnt 0x700
	v_mul_f64_e32 v[130:131], v[124:125], v[98:99]
	v_mul_f64_e32 v[98:99], v[126:127], v[98:99]
	v_add_f64_e32 v[10:11], 0, v[136:137]
	v_add_f64_e32 v[128:129], 0, v[138:139]
	v_fmac_f64_e32 v[142:143], v[6:7], v[12:13]
	v_fma_f64 v[12:13], v[4:5], v[12:13], -v[14:15]
	v_fmac_f64_e32 v[130:131], v[126:127], v[96:97]
	v_fma_f64 v[96:97], v[124:125], v[96:97], -v[98:99]
	v_add_f64_e32 v[14:15], v[10:11], v[8:9]
	v_add_f64_e32 v[128:129], v[128:129], v[140:141]
	ds_load_b128 v[4:7], v2 offset:1152
	ds_load_b128 v[8:11], v2 offset:1168
	s_wait_loadcnt_dscnt 0x601
	v_mul_f64_e32 v[136:137], v[4:5], v[102:103]
	v_mul_f64_e32 v[102:103], v[6:7], v[102:103]
	s_wait_loadcnt_dscnt 0x500
	v_mul_f64_e32 v[98:99], v[8:9], v[106:107]
	v_mul_f64_e32 v[106:107], v[10:11], v[106:107]
	v_add_f64_e32 v[12:13], v[14:15], v[12:13]
	v_add_f64_e32 v[14:15], v[128:129], v[142:143]
	v_fmac_f64_e32 v[136:137], v[6:7], v[100:101]
	v_fma_f64 v[100:101], v[4:5], v[100:101], -v[102:103]
	v_fmac_f64_e32 v[98:99], v[10:11], v[104:105]
	v_fma_f64 v[8:9], v[8:9], v[104:105], -v[106:107]
	v_add_f64_e32 v[96:97], v[12:13], v[96:97]
	v_add_f64_e32 v[102:103], v[14:15], v[130:131]
	ds_load_b128 v[4:7], v2 offset:1184
	ds_load_b128 v[12:15], v2 offset:1200
	s_wait_loadcnt_dscnt 0x401
	v_mul_f64_e32 v[124:125], v[4:5], v[110:111]
	v_mul_f64_e32 v[110:111], v[6:7], v[110:111]
	v_add_f64_e32 v[10:11], v[96:97], v[100:101]
	v_add_f64_e32 v[96:97], v[102:103], v[136:137]
	s_wait_loadcnt_dscnt 0x300
	v_mul_f64_e32 v[100:101], v[12:13], v[114:115]
	v_mul_f64_e32 v[102:103], v[14:15], v[114:115]
	v_fmac_f64_e32 v[124:125], v[6:7], v[108:109]
	v_fma_f64 v[104:105], v[4:5], v[108:109], -v[110:111]
	v_add_f64_e32 v[106:107], v[10:11], v[8:9]
	v_add_f64_e32 v[96:97], v[96:97], v[98:99]
	ds_load_b128 v[4:7], v2 offset:1216
	ds_load_b128 v[8:11], v2 offset:1232
	v_fmac_f64_e32 v[100:101], v[14:15], v[112:113]
	v_fma_f64 v[12:13], v[12:13], v[112:113], -v[102:103]
	s_wait_loadcnt_dscnt 0x201
	v_mul_f64_e32 v[2:3], v[4:5], v[118:119]
	v_mul_f64_e32 v[98:99], v[6:7], v[118:119]
	s_wait_loadcnt_dscnt 0x100
	v_mul_f64_e32 v[102:103], v[8:9], v[122:123]
	v_add_f64_e32 v[14:15], v[106:107], v[104:105]
	v_add_f64_e32 v[96:97], v[96:97], v[124:125]
	v_mul_f64_e32 v[104:105], v[10:11], v[122:123]
	v_fmac_f64_e32 v[2:3], v[6:7], v[116:117]
	v_fma_f64 v[4:5], v[4:5], v[116:117], -v[98:99]
	v_fmac_f64_e32 v[102:103], v[10:11], v[120:121]
	v_add_f64_e32 v[6:7], v[14:15], v[12:13]
	v_add_f64_e32 v[12:13], v[96:97], v[100:101]
	v_fma_f64 v[8:9], v[8:9], v[120:121], -v[104:105]
	s_delay_alu instid0(VALU_DEP_3) | instskip(NEXT) | instid1(VALU_DEP_3)
	v_add_f64_e32 v[4:5], v[6:7], v[4:5]
	v_add_f64_e32 v[2:3], v[12:13], v[2:3]
	s_delay_alu instid0(VALU_DEP_2) | instskip(NEXT) | instid1(VALU_DEP_2)
	v_add_f64_e32 v[4:5], v[4:5], v[8:9]
	v_add_f64_e32 v[6:7], v[2:3], v[102:103]
	s_wait_loadcnt 0x0
	s_delay_alu instid0(VALU_DEP_2) | instskip(NEXT) | instid1(VALU_DEP_2)
	v_add_f64_e64 v[2:3], v[132:133], -v[4:5]
	v_add_f64_e64 v[4:5], v[134:135], -v[6:7]
	scratch_store_b128 off, v[2:5], off offset:448
	s_wait_xcnt 0x0
	v_cmpx_lt_u32_e32 27, v1
	s_cbranch_execz .LBB102_193
; %bb.192:
	scratch_load_b128 v[2:5], off, s27
	v_mov_b32_e32 v6, 0
	s_delay_alu instid0(VALU_DEP_1)
	v_dual_mov_b32 v7, v6 :: v_dual_mov_b32 v8, v6
	v_mov_b32_e32 v9, v6
	scratch_store_b128 off, v[6:9], off offset:432
	s_wait_loadcnt 0x0
	ds_store_b128 v94, v[2:5]
.LBB102_193:
	s_wait_xcnt 0x0
	s_or_b32 exec_lo, exec_lo, s2
	s_wait_storecnt_dscnt 0x0
	s_barrier_signal -1
	s_barrier_wait -1
	s_clause 0x9
	scratch_load_b128 v[4:7], off, off offset:448
	scratch_load_b128 v[8:11], off, off offset:464
	;; [unrolled: 1-line block ×10, first 2 shown]
	v_mov_b32_e32 v2, 0
	s_mov_b32 s2, exec_lo
	ds_load_b128 v[124:127], v2 offset:1072
	s_clause 0x1
	scratch_load_b128 v[128:131], off, off offset:608
	scratch_load_b128 v[132:135], off, off offset:432
	s_wait_loadcnt_dscnt 0xb00
	v_mul_f64_e32 v[140:141], v[126:127], v[6:7]
	v_mul_f64_e32 v[142:143], v[124:125], v[6:7]
	ds_load_b128 v[136:139], v2 offset:1088
	s_wait_loadcnt_dscnt 0xa00
	v_mul_f64_e32 v[144:145], v[136:137], v[10:11]
	v_mul_f64_e32 v[10:11], v[138:139], v[10:11]
	v_fma_f64 v[140:141], v[124:125], v[4:5], -v[140:141]
	v_fmac_f64_e32 v[142:143], v[126:127], v[4:5]
	ds_load_b128 v[4:7], v2 offset:1104
	ds_load_b128 v[124:127], v2 offset:1120
	s_wait_loadcnt_dscnt 0x901
	v_mul_f64_e32 v[146:147], v[4:5], v[14:15]
	v_mul_f64_e32 v[14:15], v[6:7], v[14:15]
	v_fmac_f64_e32 v[144:145], v[138:139], v[8:9]
	v_fma_f64 v[8:9], v[136:137], v[8:9], -v[10:11]
	s_wait_loadcnt_dscnt 0x800
	v_mul_f64_e32 v[138:139], v[124:125], v[98:99]
	v_mul_f64_e32 v[98:99], v[126:127], v[98:99]
	v_add_f64_e32 v[10:11], 0, v[140:141]
	v_add_f64_e32 v[136:137], 0, v[142:143]
	v_fmac_f64_e32 v[146:147], v[6:7], v[12:13]
	v_fma_f64 v[12:13], v[4:5], v[12:13], -v[14:15]
	v_fmac_f64_e32 v[138:139], v[126:127], v[96:97]
	v_fma_f64 v[96:97], v[124:125], v[96:97], -v[98:99]
	v_add_f64_e32 v[14:15], v[10:11], v[8:9]
	v_add_f64_e32 v[136:137], v[136:137], v[144:145]
	ds_load_b128 v[4:7], v2 offset:1136
	ds_load_b128 v[8:11], v2 offset:1152
	s_wait_loadcnt_dscnt 0x701
	v_mul_f64_e32 v[140:141], v[4:5], v[102:103]
	v_mul_f64_e32 v[102:103], v[6:7], v[102:103]
	s_wait_loadcnt_dscnt 0x600
	v_mul_f64_e32 v[98:99], v[8:9], v[106:107]
	v_mul_f64_e32 v[106:107], v[10:11], v[106:107]
	v_add_f64_e32 v[12:13], v[14:15], v[12:13]
	v_add_f64_e32 v[14:15], v[136:137], v[146:147]
	v_fmac_f64_e32 v[140:141], v[6:7], v[100:101]
	v_fma_f64 v[100:101], v[4:5], v[100:101], -v[102:103]
	v_fmac_f64_e32 v[98:99], v[10:11], v[104:105]
	v_fma_f64 v[8:9], v[8:9], v[104:105], -v[106:107]
	v_add_f64_e32 v[96:97], v[12:13], v[96:97]
	v_add_f64_e32 v[102:103], v[14:15], v[138:139]
	ds_load_b128 v[4:7], v2 offset:1168
	ds_load_b128 v[12:15], v2 offset:1184
	s_wait_loadcnt_dscnt 0x501
	v_mul_f64_e32 v[124:125], v[4:5], v[110:111]
	v_mul_f64_e32 v[110:111], v[6:7], v[110:111]
	v_add_f64_e32 v[10:11], v[96:97], v[100:101]
	v_add_f64_e32 v[96:97], v[102:103], v[140:141]
	s_wait_loadcnt_dscnt 0x400
	v_mul_f64_e32 v[100:101], v[12:13], v[114:115]
	v_mul_f64_e32 v[102:103], v[14:15], v[114:115]
	v_fmac_f64_e32 v[124:125], v[6:7], v[108:109]
	v_fma_f64 v[104:105], v[4:5], v[108:109], -v[110:111]
	v_add_f64_e32 v[106:107], v[10:11], v[8:9]
	v_add_f64_e32 v[96:97], v[96:97], v[98:99]
	ds_load_b128 v[4:7], v2 offset:1200
	ds_load_b128 v[8:11], v2 offset:1216
	v_fmac_f64_e32 v[100:101], v[14:15], v[112:113]
	v_fma_f64 v[12:13], v[12:13], v[112:113], -v[102:103]
	s_wait_loadcnt_dscnt 0x301
	v_mul_f64_e32 v[98:99], v[4:5], v[118:119]
	v_mul_f64_e32 v[108:109], v[6:7], v[118:119]
	s_wait_loadcnt_dscnt 0x200
	v_mul_f64_e32 v[102:103], v[8:9], v[122:123]
	v_add_f64_e32 v[14:15], v[106:107], v[104:105]
	v_add_f64_e32 v[96:97], v[96:97], v[124:125]
	v_mul_f64_e32 v[104:105], v[10:11], v[122:123]
	v_fmac_f64_e32 v[98:99], v[6:7], v[116:117]
	v_fma_f64 v[106:107], v[4:5], v[116:117], -v[108:109]
	ds_load_b128 v[4:7], v2 offset:1232
	v_fmac_f64_e32 v[102:103], v[10:11], v[120:121]
	v_add_f64_e32 v[12:13], v[14:15], v[12:13]
	v_add_f64_e32 v[14:15], v[96:97], v[100:101]
	v_fma_f64 v[8:9], v[8:9], v[120:121], -v[104:105]
	s_wait_loadcnt_dscnt 0x100
	v_mul_f64_e32 v[96:97], v[4:5], v[130:131]
	v_mul_f64_e32 v[100:101], v[6:7], v[130:131]
	v_add_f64_e32 v[10:11], v[12:13], v[106:107]
	v_add_f64_e32 v[12:13], v[14:15], v[98:99]
	s_delay_alu instid0(VALU_DEP_4) | instskip(NEXT) | instid1(VALU_DEP_4)
	v_fmac_f64_e32 v[96:97], v[6:7], v[128:129]
	v_fma_f64 v[4:5], v[4:5], v[128:129], -v[100:101]
	s_delay_alu instid0(VALU_DEP_4) | instskip(NEXT) | instid1(VALU_DEP_4)
	v_add_f64_e32 v[6:7], v[10:11], v[8:9]
	v_add_f64_e32 v[8:9], v[12:13], v[102:103]
	s_delay_alu instid0(VALU_DEP_2) | instskip(NEXT) | instid1(VALU_DEP_2)
	v_add_f64_e32 v[4:5], v[6:7], v[4:5]
	v_add_f64_e32 v[6:7], v[8:9], v[96:97]
	s_wait_loadcnt 0x0
	s_delay_alu instid0(VALU_DEP_2) | instskip(NEXT) | instid1(VALU_DEP_2)
	v_add_f64_e64 v[4:5], v[132:133], -v[4:5]
	v_add_f64_e64 v[6:7], v[134:135], -v[6:7]
	scratch_store_b128 off, v[4:7], off offset:432
	s_wait_xcnt 0x0
	v_cmpx_lt_u32_e32 26, v1
	s_cbranch_execz .LBB102_195
; %bb.194:
	scratch_load_b128 v[6:9], off, s28
	v_dual_mov_b32 v3, v2 :: v_dual_mov_b32 v4, v2
	v_mov_b32_e32 v5, v2
	scratch_store_b128 off, v[2:5], off offset:416
	s_wait_loadcnt 0x0
	ds_store_b128 v94, v[6:9]
.LBB102_195:
	s_wait_xcnt 0x0
	s_or_b32 exec_lo, exec_lo, s2
	s_wait_storecnt_dscnt 0x0
	s_barrier_signal -1
	s_barrier_wait -1
	s_clause 0x9
	scratch_load_b128 v[4:7], off, off offset:432
	scratch_load_b128 v[8:11], off, off offset:448
	;; [unrolled: 1-line block ×10, first 2 shown]
	ds_load_b128 v[124:127], v2 offset:1056
	ds_load_b128 v[132:135], v2 offset:1072
	s_clause 0x2
	scratch_load_b128 v[128:131], off, off offset:592
	scratch_load_b128 v[136:139], off, off offset:416
	;; [unrolled: 1-line block ×3, first 2 shown]
	s_mov_b32 s2, exec_lo
	s_wait_loadcnt_dscnt 0xc01
	v_mul_f64_e32 v[144:145], v[126:127], v[6:7]
	v_mul_f64_e32 v[146:147], v[124:125], v[6:7]
	s_wait_loadcnt_dscnt 0xb00
	v_mul_f64_e32 v[148:149], v[132:133], v[10:11]
	v_mul_f64_e32 v[10:11], v[134:135], v[10:11]
	s_delay_alu instid0(VALU_DEP_4) | instskip(NEXT) | instid1(VALU_DEP_4)
	v_fma_f64 v[144:145], v[124:125], v[4:5], -v[144:145]
	v_fmac_f64_e32 v[146:147], v[126:127], v[4:5]
	ds_load_b128 v[4:7], v2 offset:1088
	ds_load_b128 v[124:127], v2 offset:1104
	v_fmac_f64_e32 v[148:149], v[134:135], v[8:9]
	v_fma_f64 v[8:9], v[132:133], v[8:9], -v[10:11]
	s_wait_loadcnt_dscnt 0xa01
	v_mul_f64_e32 v[150:151], v[4:5], v[14:15]
	v_mul_f64_e32 v[14:15], v[6:7], v[14:15]
	s_wait_loadcnt_dscnt 0x900
	v_mul_f64_e32 v[134:135], v[124:125], v[98:99]
	v_mul_f64_e32 v[98:99], v[126:127], v[98:99]
	v_add_f64_e32 v[10:11], 0, v[144:145]
	v_add_f64_e32 v[132:133], 0, v[146:147]
	v_fmac_f64_e32 v[150:151], v[6:7], v[12:13]
	v_fma_f64 v[12:13], v[4:5], v[12:13], -v[14:15]
	v_fmac_f64_e32 v[134:135], v[126:127], v[96:97]
	v_fma_f64 v[96:97], v[124:125], v[96:97], -v[98:99]
	v_add_f64_e32 v[14:15], v[10:11], v[8:9]
	v_add_f64_e32 v[132:133], v[132:133], v[148:149]
	ds_load_b128 v[4:7], v2 offset:1120
	ds_load_b128 v[8:11], v2 offset:1136
	s_wait_loadcnt_dscnt 0x801
	v_mul_f64_e32 v[144:145], v[4:5], v[102:103]
	v_mul_f64_e32 v[102:103], v[6:7], v[102:103]
	s_wait_loadcnt_dscnt 0x700
	v_mul_f64_e32 v[98:99], v[8:9], v[106:107]
	v_mul_f64_e32 v[106:107], v[10:11], v[106:107]
	v_add_f64_e32 v[12:13], v[14:15], v[12:13]
	v_add_f64_e32 v[14:15], v[132:133], v[150:151]
	v_fmac_f64_e32 v[144:145], v[6:7], v[100:101]
	v_fma_f64 v[100:101], v[4:5], v[100:101], -v[102:103]
	v_fmac_f64_e32 v[98:99], v[10:11], v[104:105]
	v_fma_f64 v[8:9], v[8:9], v[104:105], -v[106:107]
	v_add_f64_e32 v[96:97], v[12:13], v[96:97]
	v_add_f64_e32 v[102:103], v[14:15], v[134:135]
	ds_load_b128 v[4:7], v2 offset:1152
	ds_load_b128 v[12:15], v2 offset:1168
	s_wait_loadcnt_dscnt 0x601
	v_mul_f64_e32 v[124:125], v[4:5], v[110:111]
	v_mul_f64_e32 v[110:111], v[6:7], v[110:111]
	v_add_f64_e32 v[10:11], v[96:97], v[100:101]
	v_add_f64_e32 v[96:97], v[102:103], v[144:145]
	s_wait_loadcnt_dscnt 0x500
	v_mul_f64_e32 v[100:101], v[12:13], v[114:115]
	v_mul_f64_e32 v[102:103], v[14:15], v[114:115]
	v_fmac_f64_e32 v[124:125], v[6:7], v[108:109]
	v_fma_f64 v[104:105], v[4:5], v[108:109], -v[110:111]
	v_add_f64_e32 v[106:107], v[10:11], v[8:9]
	v_add_f64_e32 v[96:97], v[96:97], v[98:99]
	ds_load_b128 v[4:7], v2 offset:1184
	ds_load_b128 v[8:11], v2 offset:1200
	v_fmac_f64_e32 v[100:101], v[14:15], v[112:113]
	v_fma_f64 v[12:13], v[12:13], v[112:113], -v[102:103]
	s_wait_loadcnt_dscnt 0x401
	v_mul_f64_e32 v[98:99], v[4:5], v[118:119]
	v_mul_f64_e32 v[108:109], v[6:7], v[118:119]
	s_wait_loadcnt_dscnt 0x300
	v_mul_f64_e32 v[102:103], v[8:9], v[122:123]
	v_add_f64_e32 v[14:15], v[106:107], v[104:105]
	v_add_f64_e32 v[96:97], v[96:97], v[124:125]
	v_mul_f64_e32 v[104:105], v[10:11], v[122:123]
	v_fmac_f64_e32 v[98:99], v[6:7], v[116:117]
	v_fma_f64 v[106:107], v[4:5], v[116:117], -v[108:109]
	v_fmac_f64_e32 v[102:103], v[10:11], v[120:121]
	v_add_f64_e32 v[108:109], v[14:15], v[12:13]
	v_add_f64_e32 v[96:97], v[96:97], v[100:101]
	ds_load_b128 v[4:7], v2 offset:1216
	ds_load_b128 v[12:15], v2 offset:1232
	v_fma_f64 v[8:9], v[8:9], v[120:121], -v[104:105]
	s_wait_loadcnt_dscnt 0x201
	v_mul_f64_e32 v[2:3], v[4:5], v[130:131]
	v_mul_f64_e32 v[100:101], v[6:7], v[130:131]
	s_wait_loadcnt_dscnt 0x0
	v_mul_f64_e32 v[104:105], v[14:15], v[142:143]
	v_add_f64_e32 v[10:11], v[108:109], v[106:107]
	v_add_f64_e32 v[96:97], v[96:97], v[98:99]
	v_mul_f64_e32 v[98:99], v[12:13], v[142:143]
	v_fmac_f64_e32 v[2:3], v[6:7], v[128:129]
	v_fma_f64 v[4:5], v[4:5], v[128:129], -v[100:101]
	v_add_f64_e32 v[6:7], v[10:11], v[8:9]
	v_add_f64_e32 v[8:9], v[96:97], v[102:103]
	v_fmac_f64_e32 v[98:99], v[14:15], v[140:141]
	v_fma_f64 v[10:11], v[12:13], v[140:141], -v[104:105]
	s_delay_alu instid0(VALU_DEP_4) | instskip(NEXT) | instid1(VALU_DEP_4)
	v_add_f64_e32 v[4:5], v[6:7], v[4:5]
	v_add_f64_e32 v[2:3], v[8:9], v[2:3]
	s_delay_alu instid0(VALU_DEP_2) | instskip(NEXT) | instid1(VALU_DEP_2)
	v_add_f64_e32 v[4:5], v[4:5], v[10:11]
	v_add_f64_e32 v[6:7], v[2:3], v[98:99]
	s_delay_alu instid0(VALU_DEP_2) | instskip(NEXT) | instid1(VALU_DEP_2)
	v_add_f64_e64 v[2:3], v[136:137], -v[4:5]
	v_add_f64_e64 v[4:5], v[138:139], -v[6:7]
	scratch_store_b128 off, v[2:5], off offset:416
	s_wait_xcnt 0x0
	v_cmpx_lt_u32_e32 25, v1
	s_cbranch_execz .LBB102_197
; %bb.196:
	scratch_load_b128 v[2:5], off, s29
	v_mov_b32_e32 v6, 0
	s_delay_alu instid0(VALU_DEP_1)
	v_dual_mov_b32 v7, v6 :: v_dual_mov_b32 v8, v6
	v_mov_b32_e32 v9, v6
	scratch_store_b128 off, v[6:9], off offset:400
	s_wait_loadcnt 0x0
	ds_store_b128 v94, v[2:5]
.LBB102_197:
	s_wait_xcnt 0x0
	s_or_b32 exec_lo, exec_lo, s2
	s_wait_storecnt_dscnt 0x0
	s_barrier_signal -1
	s_barrier_wait -1
	s_clause 0x9
	scratch_load_b128 v[4:7], off, off offset:416
	scratch_load_b128 v[8:11], off, off offset:432
	;; [unrolled: 1-line block ×10, first 2 shown]
	v_mov_b32_e32 v2, 0
	s_mov_b32 s2, exec_lo
	ds_load_b128 v[124:127], v2 offset:1040
	s_clause 0x2
	scratch_load_b128 v[128:131], off, off offset:576
	scratch_load_b128 v[132:135], off, off offset:400
	;; [unrolled: 1-line block ×3, first 2 shown]
	s_wait_loadcnt_dscnt 0xc00
	v_mul_f64_e32 v[144:145], v[126:127], v[6:7]
	v_mul_f64_e32 v[148:149], v[124:125], v[6:7]
	ds_load_b128 v[136:139], v2 offset:1056
	v_fma_f64 v[152:153], v[124:125], v[4:5], -v[144:145]
	v_fmac_f64_e32 v[148:149], v[126:127], v[4:5]
	ds_load_b128 v[4:7], v2 offset:1072
	s_wait_loadcnt_dscnt 0xb01
	v_mul_f64_e32 v[150:151], v[136:137], v[10:11]
	v_mul_f64_e32 v[10:11], v[138:139], v[10:11]
	scratch_load_b128 v[124:127], off, off offset:608
	ds_load_b128 v[144:147], v2 offset:1088
	s_wait_loadcnt_dscnt 0xb01
	v_mul_f64_e32 v[154:155], v[4:5], v[14:15]
	v_mul_f64_e32 v[14:15], v[6:7], v[14:15]
	v_fmac_f64_e32 v[150:151], v[138:139], v[8:9]
	v_fma_f64 v[8:9], v[136:137], v[8:9], -v[10:11]
	v_add_f64_e32 v[10:11], 0, v[152:153]
	v_add_f64_e32 v[136:137], 0, v[148:149]
	s_wait_loadcnt_dscnt 0xa00
	v_mul_f64_e32 v[138:139], v[144:145], v[98:99]
	v_mul_f64_e32 v[98:99], v[146:147], v[98:99]
	v_fmac_f64_e32 v[154:155], v[6:7], v[12:13]
	v_fma_f64 v[12:13], v[4:5], v[12:13], -v[14:15]
	v_add_f64_e32 v[14:15], v[10:11], v[8:9]
	v_add_f64_e32 v[136:137], v[136:137], v[150:151]
	ds_load_b128 v[4:7], v2 offset:1104
	ds_load_b128 v[8:11], v2 offset:1120
	v_fmac_f64_e32 v[138:139], v[146:147], v[96:97]
	v_fma_f64 v[96:97], v[144:145], v[96:97], -v[98:99]
	s_wait_loadcnt_dscnt 0x901
	v_mul_f64_e32 v[148:149], v[4:5], v[102:103]
	v_mul_f64_e32 v[102:103], v[6:7], v[102:103]
	s_wait_loadcnt_dscnt 0x800
	v_mul_f64_e32 v[98:99], v[8:9], v[106:107]
	v_mul_f64_e32 v[106:107], v[10:11], v[106:107]
	v_add_f64_e32 v[12:13], v[14:15], v[12:13]
	v_add_f64_e32 v[14:15], v[136:137], v[154:155]
	v_fmac_f64_e32 v[148:149], v[6:7], v[100:101]
	v_fma_f64 v[100:101], v[4:5], v[100:101], -v[102:103]
	v_fmac_f64_e32 v[98:99], v[10:11], v[104:105]
	v_fma_f64 v[8:9], v[8:9], v[104:105], -v[106:107]
	v_add_f64_e32 v[96:97], v[12:13], v[96:97]
	v_add_f64_e32 v[102:103], v[14:15], v[138:139]
	ds_load_b128 v[4:7], v2 offset:1136
	ds_load_b128 v[12:15], v2 offset:1152
	s_wait_loadcnt_dscnt 0x701
	v_mul_f64_e32 v[136:137], v[4:5], v[110:111]
	v_mul_f64_e32 v[110:111], v[6:7], v[110:111]
	v_add_f64_e32 v[10:11], v[96:97], v[100:101]
	v_add_f64_e32 v[96:97], v[102:103], v[148:149]
	s_wait_loadcnt_dscnt 0x600
	v_mul_f64_e32 v[100:101], v[12:13], v[114:115]
	v_mul_f64_e32 v[102:103], v[14:15], v[114:115]
	v_fmac_f64_e32 v[136:137], v[6:7], v[108:109]
	v_fma_f64 v[104:105], v[4:5], v[108:109], -v[110:111]
	v_add_f64_e32 v[106:107], v[10:11], v[8:9]
	v_add_f64_e32 v[96:97], v[96:97], v[98:99]
	ds_load_b128 v[4:7], v2 offset:1168
	ds_load_b128 v[8:11], v2 offset:1184
	v_fmac_f64_e32 v[100:101], v[14:15], v[112:113]
	v_fma_f64 v[12:13], v[12:13], v[112:113], -v[102:103]
	s_wait_loadcnt_dscnt 0x501
	v_mul_f64_e32 v[98:99], v[4:5], v[118:119]
	v_mul_f64_e32 v[108:109], v[6:7], v[118:119]
	s_wait_loadcnt_dscnt 0x400
	v_mul_f64_e32 v[102:103], v[8:9], v[122:123]
	v_add_f64_e32 v[14:15], v[106:107], v[104:105]
	v_add_f64_e32 v[96:97], v[96:97], v[136:137]
	v_mul_f64_e32 v[104:105], v[10:11], v[122:123]
	v_fmac_f64_e32 v[98:99], v[6:7], v[116:117]
	v_fma_f64 v[106:107], v[4:5], v[116:117], -v[108:109]
	v_fmac_f64_e32 v[102:103], v[10:11], v[120:121]
	v_add_f64_e32 v[108:109], v[14:15], v[12:13]
	v_add_f64_e32 v[96:97], v[96:97], v[100:101]
	ds_load_b128 v[4:7], v2 offset:1200
	ds_load_b128 v[12:15], v2 offset:1216
	v_fma_f64 v[8:9], v[8:9], v[120:121], -v[104:105]
	s_wait_loadcnt_dscnt 0x301
	v_mul_f64_e32 v[100:101], v[4:5], v[130:131]
	v_mul_f64_e32 v[110:111], v[6:7], v[130:131]
	s_wait_loadcnt_dscnt 0x100
	v_mul_f64_e32 v[104:105], v[14:15], v[142:143]
	v_add_f64_e32 v[10:11], v[108:109], v[106:107]
	v_add_f64_e32 v[96:97], v[96:97], v[98:99]
	v_mul_f64_e32 v[98:99], v[12:13], v[142:143]
	v_fmac_f64_e32 v[100:101], v[6:7], v[128:129]
	v_fma_f64 v[106:107], v[4:5], v[128:129], -v[110:111]
	ds_load_b128 v[4:7], v2 offset:1232
	v_fma_f64 v[12:13], v[12:13], v[140:141], -v[104:105]
	v_add_f64_e32 v[8:9], v[10:11], v[8:9]
	v_add_f64_e32 v[10:11], v[96:97], v[102:103]
	v_fmac_f64_e32 v[98:99], v[14:15], v[140:141]
	s_wait_loadcnt_dscnt 0x0
	v_mul_f64_e32 v[96:97], v[4:5], v[126:127]
	v_mul_f64_e32 v[102:103], v[6:7], v[126:127]
	v_add_f64_e32 v[8:9], v[8:9], v[106:107]
	v_add_f64_e32 v[10:11], v[10:11], v[100:101]
	s_delay_alu instid0(VALU_DEP_4) | instskip(NEXT) | instid1(VALU_DEP_4)
	v_fmac_f64_e32 v[96:97], v[6:7], v[124:125]
	v_fma_f64 v[4:5], v[4:5], v[124:125], -v[102:103]
	s_delay_alu instid0(VALU_DEP_4) | instskip(NEXT) | instid1(VALU_DEP_4)
	v_add_f64_e32 v[6:7], v[8:9], v[12:13]
	v_add_f64_e32 v[8:9], v[10:11], v[98:99]
	s_delay_alu instid0(VALU_DEP_2) | instskip(NEXT) | instid1(VALU_DEP_2)
	v_add_f64_e32 v[4:5], v[6:7], v[4:5]
	v_add_f64_e32 v[6:7], v[8:9], v[96:97]
	s_delay_alu instid0(VALU_DEP_2) | instskip(NEXT) | instid1(VALU_DEP_2)
	v_add_f64_e64 v[4:5], v[132:133], -v[4:5]
	v_add_f64_e64 v[6:7], v[134:135], -v[6:7]
	scratch_store_b128 off, v[4:7], off offset:400
	s_wait_xcnt 0x0
	v_cmpx_lt_u32_e32 24, v1
	s_cbranch_execz .LBB102_199
; %bb.198:
	scratch_load_b128 v[6:9], off, s30
	v_dual_mov_b32 v3, v2 :: v_dual_mov_b32 v4, v2
	v_mov_b32_e32 v5, v2
	scratch_store_b128 off, v[2:5], off offset:384
	s_wait_loadcnt 0x0
	ds_store_b128 v94, v[6:9]
.LBB102_199:
	s_wait_xcnt 0x0
	s_or_b32 exec_lo, exec_lo, s2
	s_wait_storecnt_dscnt 0x0
	s_barrier_signal -1
	s_barrier_wait -1
	s_clause 0x9
	scratch_load_b128 v[4:7], off, off offset:400
	scratch_load_b128 v[8:11], off, off offset:416
	;; [unrolled: 1-line block ×10, first 2 shown]
	ds_load_b128 v[124:127], v2 offset:1024
	ds_load_b128 v[132:135], v2 offset:1040
	s_clause 0x2
	scratch_load_b128 v[128:131], off, off offset:560
	scratch_load_b128 v[136:139], off, off offset:384
	;; [unrolled: 1-line block ×3, first 2 shown]
	s_mov_b32 s2, exec_lo
	s_wait_loadcnt_dscnt 0xc01
	v_mul_f64_e32 v[144:145], v[126:127], v[6:7]
	v_mul_f64_e32 v[148:149], v[124:125], v[6:7]
	s_wait_loadcnt_dscnt 0xb00
	v_mul_f64_e32 v[150:151], v[132:133], v[10:11]
	v_mul_f64_e32 v[10:11], v[134:135], v[10:11]
	s_delay_alu instid0(VALU_DEP_4) | instskip(NEXT) | instid1(VALU_DEP_4)
	v_fma_f64 v[152:153], v[124:125], v[4:5], -v[144:145]
	v_fmac_f64_e32 v[148:149], v[126:127], v[4:5]
	ds_load_b128 v[4:7], v2 offset:1056
	ds_load_b128 v[124:127], v2 offset:1072
	scratch_load_b128 v[144:147], off, off offset:592
	v_fmac_f64_e32 v[150:151], v[134:135], v[8:9]
	v_fma_f64 v[132:133], v[132:133], v[8:9], -v[10:11]
	scratch_load_b128 v[8:11], off, off offset:608
	s_wait_loadcnt_dscnt 0xc01
	v_mul_f64_e32 v[154:155], v[4:5], v[14:15]
	v_mul_f64_e32 v[14:15], v[6:7], v[14:15]
	v_add_f64_e32 v[134:135], 0, v[152:153]
	v_add_f64_e32 v[148:149], 0, v[148:149]
	s_wait_loadcnt_dscnt 0xb00
	v_mul_f64_e32 v[152:153], v[124:125], v[98:99]
	v_mul_f64_e32 v[98:99], v[126:127], v[98:99]
	v_fmac_f64_e32 v[154:155], v[6:7], v[12:13]
	v_fma_f64 v[156:157], v[4:5], v[12:13], -v[14:15]
	ds_load_b128 v[4:7], v2 offset:1088
	ds_load_b128 v[12:15], v2 offset:1104
	v_add_f64_e32 v[132:133], v[134:135], v[132:133]
	v_add_f64_e32 v[134:135], v[148:149], v[150:151]
	v_fmac_f64_e32 v[152:153], v[126:127], v[96:97]
	v_fma_f64 v[96:97], v[124:125], v[96:97], -v[98:99]
	s_wait_loadcnt_dscnt 0xa01
	v_mul_f64_e32 v[148:149], v[4:5], v[102:103]
	v_mul_f64_e32 v[102:103], v[6:7], v[102:103]
	s_wait_loadcnt_dscnt 0x900
	v_mul_f64_e32 v[126:127], v[12:13], v[106:107]
	v_mul_f64_e32 v[106:107], v[14:15], v[106:107]
	v_add_f64_e32 v[98:99], v[132:133], v[156:157]
	v_add_f64_e32 v[124:125], v[134:135], v[154:155]
	v_fmac_f64_e32 v[148:149], v[6:7], v[100:101]
	v_fma_f64 v[100:101], v[4:5], v[100:101], -v[102:103]
	v_fmac_f64_e32 v[126:127], v[14:15], v[104:105]
	v_fma_f64 v[12:13], v[12:13], v[104:105], -v[106:107]
	v_add_f64_e32 v[102:103], v[98:99], v[96:97]
	v_add_f64_e32 v[124:125], v[124:125], v[152:153]
	ds_load_b128 v[4:7], v2 offset:1120
	ds_load_b128 v[96:99], v2 offset:1136
	s_wait_loadcnt_dscnt 0x801
	v_mul_f64_e32 v[132:133], v[4:5], v[110:111]
	v_mul_f64_e32 v[110:111], v[6:7], v[110:111]
	s_wait_loadcnt_dscnt 0x700
	v_mul_f64_e32 v[104:105], v[98:99], v[114:115]
	v_add_f64_e32 v[14:15], v[102:103], v[100:101]
	v_add_f64_e32 v[100:101], v[124:125], v[148:149]
	v_mul_f64_e32 v[102:103], v[96:97], v[114:115]
	v_fmac_f64_e32 v[132:133], v[6:7], v[108:109]
	v_fma_f64 v[106:107], v[4:5], v[108:109], -v[110:111]
	v_fma_f64 v[96:97], v[96:97], v[112:113], -v[104:105]
	v_add_f64_e32 v[108:109], v[14:15], v[12:13]
	v_add_f64_e32 v[100:101], v[100:101], v[126:127]
	ds_load_b128 v[4:7], v2 offset:1152
	ds_load_b128 v[12:15], v2 offset:1168
	v_fmac_f64_e32 v[102:103], v[98:99], v[112:113]
	s_wait_loadcnt_dscnt 0x601
	v_mul_f64_e32 v[110:111], v[4:5], v[118:119]
	v_mul_f64_e32 v[114:115], v[6:7], v[118:119]
	s_wait_loadcnt_dscnt 0x500
	v_mul_f64_e32 v[104:105], v[12:13], v[122:123]
	v_add_f64_e32 v[98:99], v[108:109], v[106:107]
	v_add_f64_e32 v[100:101], v[100:101], v[132:133]
	v_mul_f64_e32 v[106:107], v[14:15], v[122:123]
	v_fmac_f64_e32 v[110:111], v[6:7], v[116:117]
	v_fma_f64 v[108:109], v[4:5], v[116:117], -v[114:115]
	v_fmac_f64_e32 v[104:105], v[14:15], v[120:121]
	v_add_f64_e32 v[112:113], v[98:99], v[96:97]
	v_add_f64_e32 v[100:101], v[100:101], v[102:103]
	ds_load_b128 v[4:7], v2 offset:1184
	ds_load_b128 v[96:99], v2 offset:1200
	v_fma_f64 v[12:13], v[12:13], v[120:121], -v[106:107]
	s_wait_loadcnt_dscnt 0x401
	v_mul_f64_e32 v[102:103], v[4:5], v[130:131]
	v_mul_f64_e32 v[114:115], v[6:7], v[130:131]
	s_wait_loadcnt_dscnt 0x200
	v_mul_f64_e32 v[106:107], v[96:97], v[142:143]
	v_add_f64_e32 v[14:15], v[112:113], v[108:109]
	v_add_f64_e32 v[100:101], v[100:101], v[110:111]
	v_mul_f64_e32 v[108:109], v[98:99], v[142:143]
	v_fmac_f64_e32 v[102:103], v[6:7], v[128:129]
	v_fma_f64 v[110:111], v[4:5], v[128:129], -v[114:115]
	v_fmac_f64_e32 v[106:107], v[98:99], v[140:141]
	v_add_f64_e32 v[112:113], v[14:15], v[12:13]
	v_add_f64_e32 v[100:101], v[100:101], v[104:105]
	ds_load_b128 v[4:7], v2 offset:1216
	ds_load_b128 v[12:15], v2 offset:1232
	v_fma_f64 v[96:97], v[96:97], v[140:141], -v[108:109]
	s_wait_loadcnt_dscnt 0x101
	v_mul_f64_e32 v[2:3], v[4:5], v[146:147]
	v_mul_f64_e32 v[104:105], v[6:7], v[146:147]
	v_add_f64_e32 v[98:99], v[112:113], v[110:111]
	v_add_f64_e32 v[100:101], v[100:101], v[102:103]
	s_wait_loadcnt_dscnt 0x0
	v_mul_f64_e32 v[102:103], v[12:13], v[10:11]
	v_mul_f64_e32 v[10:11], v[14:15], v[10:11]
	v_fmac_f64_e32 v[2:3], v[6:7], v[144:145]
	v_fma_f64 v[4:5], v[4:5], v[144:145], -v[104:105]
	v_add_f64_e32 v[6:7], v[98:99], v[96:97]
	v_add_f64_e32 v[96:97], v[100:101], v[106:107]
	v_fmac_f64_e32 v[102:103], v[14:15], v[8:9]
	v_fma_f64 v[8:9], v[12:13], v[8:9], -v[10:11]
	s_delay_alu instid0(VALU_DEP_4) | instskip(NEXT) | instid1(VALU_DEP_4)
	v_add_f64_e32 v[4:5], v[6:7], v[4:5]
	v_add_f64_e32 v[2:3], v[96:97], v[2:3]
	s_delay_alu instid0(VALU_DEP_2) | instskip(NEXT) | instid1(VALU_DEP_2)
	v_add_f64_e32 v[4:5], v[4:5], v[8:9]
	v_add_f64_e32 v[6:7], v[2:3], v[102:103]
	s_delay_alu instid0(VALU_DEP_2) | instskip(NEXT) | instid1(VALU_DEP_2)
	v_add_f64_e64 v[2:3], v[136:137], -v[4:5]
	v_add_f64_e64 v[4:5], v[138:139], -v[6:7]
	scratch_store_b128 off, v[2:5], off offset:384
	s_wait_xcnt 0x0
	v_cmpx_lt_u32_e32 23, v1
	s_cbranch_execz .LBB102_201
; %bb.200:
	scratch_load_b128 v[2:5], off, s31
	v_mov_b32_e32 v6, 0
	s_delay_alu instid0(VALU_DEP_1)
	v_dual_mov_b32 v7, v6 :: v_dual_mov_b32 v8, v6
	v_mov_b32_e32 v9, v6
	scratch_store_b128 off, v[6:9], off offset:368
	s_wait_loadcnt 0x0
	ds_store_b128 v94, v[2:5]
.LBB102_201:
	s_wait_xcnt 0x0
	s_or_b32 exec_lo, exec_lo, s2
	s_wait_storecnt_dscnt 0x0
	s_barrier_signal -1
	s_barrier_wait -1
	s_clause 0x9
	scratch_load_b128 v[4:7], off, off offset:384
	scratch_load_b128 v[8:11], off, off offset:400
	scratch_load_b128 v[12:15], off, off offset:416
	scratch_load_b128 v[96:99], off, off offset:432
	scratch_load_b128 v[100:103], off, off offset:448
	scratch_load_b128 v[104:107], off, off offset:464
	scratch_load_b128 v[108:111], off, off offset:480
	scratch_load_b128 v[112:115], off, off offset:496
	scratch_load_b128 v[116:119], off, off offset:512
	scratch_load_b128 v[120:123], off, off offset:528
	v_mov_b32_e32 v2, 0
	s_mov_b32 s2, exec_lo
	ds_load_b128 v[124:127], v2 offset:1008
	s_clause 0x2
	scratch_load_b128 v[128:131], off, off offset:544
	scratch_load_b128 v[132:135], off, off offset:368
	;; [unrolled: 1-line block ×3, first 2 shown]
	s_wait_loadcnt_dscnt 0xc00
	v_mul_f64_e32 v[144:145], v[126:127], v[6:7]
	v_mul_f64_e32 v[148:149], v[124:125], v[6:7]
	ds_load_b128 v[136:139], v2 offset:1024
	v_fma_f64 v[152:153], v[124:125], v[4:5], -v[144:145]
	v_fmac_f64_e32 v[148:149], v[126:127], v[4:5]
	ds_load_b128 v[4:7], v2 offset:1040
	s_wait_loadcnt_dscnt 0xb01
	v_mul_f64_e32 v[150:151], v[136:137], v[10:11]
	v_mul_f64_e32 v[10:11], v[138:139], v[10:11]
	scratch_load_b128 v[124:127], off, off offset:576
	ds_load_b128 v[144:147], v2 offset:1056
	s_wait_loadcnt_dscnt 0xb01
	v_mul_f64_e32 v[154:155], v[4:5], v[14:15]
	v_mul_f64_e32 v[14:15], v[6:7], v[14:15]
	v_add_f64_e32 v[148:149], 0, v[148:149]
	v_fmac_f64_e32 v[150:151], v[138:139], v[8:9]
	v_fma_f64 v[136:137], v[136:137], v[8:9], -v[10:11]
	v_add_f64_e32 v[138:139], 0, v[152:153]
	scratch_load_b128 v[8:11], off, off offset:592
	v_fmac_f64_e32 v[154:155], v[6:7], v[12:13]
	v_fma_f64 v[156:157], v[4:5], v[12:13], -v[14:15]
	ds_load_b128 v[4:7], v2 offset:1072
	s_wait_loadcnt_dscnt 0xb01
	v_mul_f64_e32 v[152:153], v[144:145], v[98:99]
	v_mul_f64_e32 v[98:99], v[146:147], v[98:99]
	scratch_load_b128 v[12:15], off, off offset:608
	v_add_f64_e32 v[148:149], v[148:149], v[150:151]
	v_add_f64_e32 v[158:159], v[138:139], v[136:137]
	ds_load_b128 v[136:139], v2 offset:1088
	s_wait_loadcnt_dscnt 0xb01
	v_mul_f64_e32 v[150:151], v[4:5], v[102:103]
	v_mul_f64_e32 v[102:103], v[6:7], v[102:103]
	v_fmac_f64_e32 v[152:153], v[146:147], v[96:97]
	v_fma_f64 v[96:97], v[144:145], v[96:97], -v[98:99]
	s_wait_loadcnt_dscnt 0xa00
	v_mul_f64_e32 v[146:147], v[136:137], v[106:107]
	v_mul_f64_e32 v[106:107], v[138:139], v[106:107]
	v_add_f64_e32 v[144:145], v[148:149], v[154:155]
	v_add_f64_e32 v[98:99], v[158:159], v[156:157]
	v_fmac_f64_e32 v[150:151], v[6:7], v[100:101]
	v_fma_f64 v[100:101], v[4:5], v[100:101], -v[102:103]
	v_fmac_f64_e32 v[146:147], v[138:139], v[104:105]
	v_fma_f64 v[104:105], v[136:137], v[104:105], -v[106:107]
	v_add_f64_e32 v[144:145], v[144:145], v[152:153]
	v_add_f64_e32 v[102:103], v[98:99], v[96:97]
	ds_load_b128 v[4:7], v2 offset:1104
	ds_load_b128 v[96:99], v2 offset:1120
	s_wait_loadcnt_dscnt 0x901
	v_mul_f64_e32 v[148:149], v[4:5], v[110:111]
	v_mul_f64_e32 v[110:111], v[6:7], v[110:111]
	s_wait_loadcnt_dscnt 0x800
	v_mul_f64_e32 v[106:107], v[96:97], v[114:115]
	v_mul_f64_e32 v[114:115], v[98:99], v[114:115]
	v_add_f64_e32 v[100:101], v[102:103], v[100:101]
	v_add_f64_e32 v[102:103], v[144:145], v[150:151]
	v_fmac_f64_e32 v[148:149], v[6:7], v[108:109]
	v_fma_f64 v[108:109], v[4:5], v[108:109], -v[110:111]
	v_fmac_f64_e32 v[106:107], v[98:99], v[112:113]
	v_fma_f64 v[96:97], v[96:97], v[112:113], -v[114:115]
	v_add_f64_e32 v[104:105], v[100:101], v[104:105]
	v_add_f64_e32 v[110:111], v[102:103], v[146:147]
	ds_load_b128 v[4:7], v2 offset:1136
	ds_load_b128 v[100:103], v2 offset:1152
	s_wait_loadcnt_dscnt 0x701
	v_mul_f64_e32 v[136:137], v[4:5], v[118:119]
	v_mul_f64_e32 v[118:119], v[6:7], v[118:119]
	v_add_f64_e32 v[98:99], v[104:105], v[108:109]
	v_add_f64_e32 v[104:105], v[110:111], v[148:149]
	s_wait_loadcnt_dscnt 0x600
	v_mul_f64_e32 v[108:109], v[100:101], v[122:123]
	v_mul_f64_e32 v[110:111], v[102:103], v[122:123]
	v_fmac_f64_e32 v[136:137], v[6:7], v[116:117]
	v_fma_f64 v[112:113], v[4:5], v[116:117], -v[118:119]
	v_add_f64_e32 v[114:115], v[98:99], v[96:97]
	v_add_f64_e32 v[104:105], v[104:105], v[106:107]
	ds_load_b128 v[4:7], v2 offset:1168
	ds_load_b128 v[96:99], v2 offset:1184
	v_fmac_f64_e32 v[108:109], v[102:103], v[120:121]
	v_fma_f64 v[100:101], v[100:101], v[120:121], -v[110:111]
	s_wait_loadcnt_dscnt 0x501
	v_mul_f64_e32 v[106:107], v[4:5], v[130:131]
	v_mul_f64_e32 v[116:117], v[6:7], v[130:131]
	s_wait_loadcnt_dscnt 0x300
	v_mul_f64_e32 v[110:111], v[96:97], v[142:143]
	v_add_f64_e32 v[102:103], v[114:115], v[112:113]
	v_add_f64_e32 v[104:105], v[104:105], v[136:137]
	v_mul_f64_e32 v[112:113], v[98:99], v[142:143]
	v_fmac_f64_e32 v[106:107], v[6:7], v[128:129]
	v_fma_f64 v[114:115], v[4:5], v[128:129], -v[116:117]
	v_fmac_f64_e32 v[110:111], v[98:99], v[140:141]
	v_add_f64_e32 v[116:117], v[102:103], v[100:101]
	v_add_f64_e32 v[104:105], v[104:105], v[108:109]
	ds_load_b128 v[4:7], v2 offset:1200
	ds_load_b128 v[100:103], v2 offset:1216
	v_fma_f64 v[96:97], v[96:97], v[140:141], -v[112:113]
	s_wait_loadcnt_dscnt 0x201
	v_mul_f64_e32 v[108:109], v[4:5], v[126:127]
	v_mul_f64_e32 v[118:119], v[6:7], v[126:127]
	v_add_f64_e32 v[98:99], v[116:117], v[114:115]
	v_add_f64_e32 v[104:105], v[104:105], v[106:107]
	s_wait_loadcnt_dscnt 0x100
	v_mul_f64_e32 v[106:107], v[100:101], v[10:11]
	v_mul_f64_e32 v[10:11], v[102:103], v[10:11]
	v_fmac_f64_e32 v[108:109], v[6:7], v[124:125]
	v_fma_f64 v[112:113], v[4:5], v[124:125], -v[118:119]
	ds_load_b128 v[4:7], v2 offset:1232
	v_add_f64_e32 v[96:97], v[98:99], v[96:97]
	v_add_f64_e32 v[98:99], v[104:105], v[110:111]
	v_fmac_f64_e32 v[106:107], v[102:103], v[8:9]
	v_fma_f64 v[8:9], v[100:101], v[8:9], -v[10:11]
	s_wait_loadcnt_dscnt 0x0
	v_mul_f64_e32 v[104:105], v[4:5], v[14:15]
	v_mul_f64_e32 v[14:15], v[6:7], v[14:15]
	v_add_f64_e32 v[10:11], v[96:97], v[112:113]
	v_add_f64_e32 v[96:97], v[98:99], v[108:109]
	s_delay_alu instid0(VALU_DEP_4) | instskip(NEXT) | instid1(VALU_DEP_4)
	v_fmac_f64_e32 v[104:105], v[6:7], v[12:13]
	v_fma_f64 v[4:5], v[4:5], v[12:13], -v[14:15]
	s_delay_alu instid0(VALU_DEP_4) | instskip(NEXT) | instid1(VALU_DEP_4)
	v_add_f64_e32 v[6:7], v[10:11], v[8:9]
	v_add_f64_e32 v[8:9], v[96:97], v[106:107]
	s_delay_alu instid0(VALU_DEP_2) | instskip(NEXT) | instid1(VALU_DEP_2)
	v_add_f64_e32 v[4:5], v[6:7], v[4:5]
	v_add_f64_e32 v[6:7], v[8:9], v[104:105]
	s_delay_alu instid0(VALU_DEP_2) | instskip(NEXT) | instid1(VALU_DEP_2)
	v_add_f64_e64 v[4:5], v[132:133], -v[4:5]
	v_add_f64_e64 v[6:7], v[134:135], -v[6:7]
	scratch_store_b128 off, v[4:7], off offset:368
	s_wait_xcnt 0x0
	v_cmpx_lt_u32_e32 22, v1
	s_cbranch_execz .LBB102_203
; %bb.202:
	scratch_load_b128 v[6:9], off, s33
	v_dual_mov_b32 v3, v2 :: v_dual_mov_b32 v4, v2
	v_mov_b32_e32 v5, v2
	scratch_store_b128 off, v[2:5], off offset:352
	s_wait_loadcnt 0x0
	ds_store_b128 v94, v[6:9]
.LBB102_203:
	s_wait_xcnt 0x0
	s_or_b32 exec_lo, exec_lo, s2
	s_wait_storecnt_dscnt 0x0
	s_barrier_signal -1
	s_barrier_wait -1
	s_clause 0x9
	scratch_load_b128 v[4:7], off, off offset:368
	scratch_load_b128 v[8:11], off, off offset:384
	scratch_load_b128 v[12:15], off, off offset:400
	scratch_load_b128 v[96:99], off, off offset:416
	scratch_load_b128 v[100:103], off, off offset:432
	scratch_load_b128 v[104:107], off, off offset:448
	scratch_load_b128 v[108:111], off, off offset:464
	scratch_load_b128 v[112:115], off, off offset:480
	scratch_load_b128 v[116:119], off, off offset:496
	scratch_load_b128 v[120:123], off, off offset:512
	ds_load_b128 v[124:127], v2 offset:992
	ds_load_b128 v[132:135], v2 offset:1008
	s_clause 0x2
	scratch_load_b128 v[128:131], off, off offset:528
	scratch_load_b128 v[136:139], off, off offset:352
	;; [unrolled: 1-line block ×3, first 2 shown]
	s_mov_b32 s2, exec_lo
	s_wait_loadcnt_dscnt 0xc01
	v_mul_f64_e32 v[144:145], v[126:127], v[6:7]
	v_mul_f64_e32 v[148:149], v[124:125], v[6:7]
	s_wait_loadcnt_dscnt 0xb00
	v_mul_f64_e32 v[150:151], v[132:133], v[10:11]
	v_mul_f64_e32 v[10:11], v[134:135], v[10:11]
	s_delay_alu instid0(VALU_DEP_4) | instskip(NEXT) | instid1(VALU_DEP_4)
	v_fma_f64 v[152:153], v[124:125], v[4:5], -v[144:145]
	v_fmac_f64_e32 v[148:149], v[126:127], v[4:5]
	ds_load_b128 v[4:7], v2 offset:1024
	ds_load_b128 v[124:127], v2 offset:1040
	scratch_load_b128 v[144:147], off, off offset:560
	v_fmac_f64_e32 v[150:151], v[134:135], v[8:9]
	v_fma_f64 v[132:133], v[132:133], v[8:9], -v[10:11]
	scratch_load_b128 v[8:11], off, off offset:576
	s_wait_loadcnt_dscnt 0xc01
	v_mul_f64_e32 v[154:155], v[4:5], v[14:15]
	v_mul_f64_e32 v[14:15], v[6:7], v[14:15]
	v_add_f64_e32 v[134:135], 0, v[152:153]
	v_add_f64_e32 v[148:149], 0, v[148:149]
	s_wait_loadcnt_dscnt 0xb00
	v_mul_f64_e32 v[152:153], v[124:125], v[98:99]
	v_mul_f64_e32 v[98:99], v[126:127], v[98:99]
	v_fmac_f64_e32 v[154:155], v[6:7], v[12:13]
	v_fma_f64 v[156:157], v[4:5], v[12:13], -v[14:15]
	ds_load_b128 v[4:7], v2 offset:1056
	ds_load_b128 v[12:15], v2 offset:1072
	v_add_f64_e32 v[158:159], v[134:135], v[132:133]
	v_add_f64_e32 v[148:149], v[148:149], v[150:151]
	scratch_load_b128 v[132:135], off, off offset:592
	v_fmac_f64_e32 v[152:153], v[126:127], v[96:97]
	v_fma_f64 v[124:125], v[124:125], v[96:97], -v[98:99]
	scratch_load_b128 v[96:99], off, off offset:608
	s_wait_loadcnt_dscnt 0xc01
	v_mul_f64_e32 v[150:151], v[4:5], v[102:103]
	v_mul_f64_e32 v[102:103], v[6:7], v[102:103]
	v_add_f64_e32 v[126:127], v[158:159], v[156:157]
	v_add_f64_e32 v[148:149], v[148:149], v[154:155]
	s_wait_loadcnt_dscnt 0xb00
	v_mul_f64_e32 v[154:155], v[12:13], v[106:107]
	v_mul_f64_e32 v[106:107], v[14:15], v[106:107]
	v_fmac_f64_e32 v[150:151], v[6:7], v[100:101]
	v_fma_f64 v[156:157], v[4:5], v[100:101], -v[102:103]
	ds_load_b128 v[4:7], v2 offset:1088
	ds_load_b128 v[100:103], v2 offset:1104
	v_add_f64_e32 v[124:125], v[126:127], v[124:125]
	v_add_f64_e32 v[126:127], v[148:149], v[152:153]
	s_wait_loadcnt_dscnt 0xa01
	v_mul_f64_e32 v[148:149], v[4:5], v[110:111]
	v_mul_f64_e32 v[110:111], v[6:7], v[110:111]
	v_fmac_f64_e32 v[154:155], v[14:15], v[104:105]
	v_fma_f64 v[12:13], v[12:13], v[104:105], -v[106:107]
	s_wait_loadcnt_dscnt 0x900
	v_mul_f64_e32 v[106:107], v[100:101], v[114:115]
	v_mul_f64_e32 v[114:115], v[102:103], v[114:115]
	v_add_f64_e32 v[14:15], v[124:125], v[156:157]
	v_add_f64_e32 v[104:105], v[126:127], v[150:151]
	v_fmac_f64_e32 v[148:149], v[6:7], v[108:109]
	v_fma_f64 v[108:109], v[4:5], v[108:109], -v[110:111]
	v_fmac_f64_e32 v[106:107], v[102:103], v[112:113]
	v_fma_f64 v[100:101], v[100:101], v[112:113], -v[114:115]
	v_add_f64_e32 v[110:111], v[14:15], v[12:13]
	v_add_f64_e32 v[104:105], v[104:105], v[154:155]
	ds_load_b128 v[4:7], v2 offset:1120
	ds_load_b128 v[12:15], v2 offset:1136
	s_wait_loadcnt_dscnt 0x801
	v_mul_f64_e32 v[124:125], v[4:5], v[118:119]
	v_mul_f64_e32 v[118:119], v[6:7], v[118:119]
	v_add_f64_e32 v[102:103], v[110:111], v[108:109]
	v_add_f64_e32 v[104:105], v[104:105], v[148:149]
	s_wait_loadcnt_dscnt 0x700
	v_mul_f64_e32 v[108:109], v[12:13], v[122:123]
	v_mul_f64_e32 v[110:111], v[14:15], v[122:123]
	v_fmac_f64_e32 v[124:125], v[6:7], v[116:117]
	v_fma_f64 v[112:113], v[4:5], v[116:117], -v[118:119]
	v_add_f64_e32 v[114:115], v[102:103], v[100:101]
	v_add_f64_e32 v[104:105], v[104:105], v[106:107]
	ds_load_b128 v[4:7], v2 offset:1152
	ds_load_b128 v[100:103], v2 offset:1168
	v_fmac_f64_e32 v[108:109], v[14:15], v[120:121]
	v_fma_f64 v[12:13], v[12:13], v[120:121], -v[110:111]
	s_wait_loadcnt_dscnt 0x601
	v_mul_f64_e32 v[106:107], v[4:5], v[130:131]
	v_mul_f64_e32 v[116:117], v[6:7], v[130:131]
	s_wait_loadcnt_dscnt 0x400
	v_mul_f64_e32 v[110:111], v[100:101], v[142:143]
	v_add_f64_e32 v[14:15], v[114:115], v[112:113]
	v_add_f64_e32 v[104:105], v[104:105], v[124:125]
	v_mul_f64_e32 v[112:113], v[102:103], v[142:143]
	v_fmac_f64_e32 v[106:107], v[6:7], v[128:129]
	v_fma_f64 v[114:115], v[4:5], v[128:129], -v[116:117]
	v_fmac_f64_e32 v[110:111], v[102:103], v[140:141]
	v_add_f64_e32 v[116:117], v[14:15], v[12:13]
	v_add_f64_e32 v[104:105], v[104:105], v[108:109]
	ds_load_b128 v[4:7], v2 offset:1184
	ds_load_b128 v[12:15], v2 offset:1200
	v_fma_f64 v[100:101], v[100:101], v[140:141], -v[112:113]
	s_wait_loadcnt_dscnt 0x301
	v_mul_f64_e32 v[108:109], v[4:5], v[146:147]
	v_mul_f64_e32 v[118:119], v[6:7], v[146:147]
	v_add_f64_e32 v[102:103], v[116:117], v[114:115]
	v_add_f64_e32 v[104:105], v[104:105], v[106:107]
	s_wait_loadcnt_dscnt 0x200
	v_mul_f64_e32 v[106:107], v[12:13], v[10:11]
	v_mul_f64_e32 v[10:11], v[14:15], v[10:11]
	v_fmac_f64_e32 v[108:109], v[6:7], v[144:145]
	v_fma_f64 v[112:113], v[4:5], v[144:145], -v[118:119]
	v_add_f64_e32 v[114:115], v[102:103], v[100:101]
	v_add_f64_e32 v[104:105], v[104:105], v[110:111]
	ds_load_b128 v[4:7], v2 offset:1216
	ds_load_b128 v[100:103], v2 offset:1232
	v_fmac_f64_e32 v[106:107], v[14:15], v[8:9]
	v_fma_f64 v[8:9], v[12:13], v[8:9], -v[10:11]
	s_wait_loadcnt_dscnt 0x101
	v_mul_f64_e32 v[2:3], v[4:5], v[134:135]
	v_mul_f64_e32 v[110:111], v[6:7], v[134:135]
	s_wait_loadcnt_dscnt 0x0
	v_mul_f64_e32 v[14:15], v[100:101], v[98:99]
	v_mul_f64_e32 v[98:99], v[102:103], v[98:99]
	v_add_f64_e32 v[10:11], v[114:115], v[112:113]
	v_add_f64_e32 v[12:13], v[104:105], v[108:109]
	v_fmac_f64_e32 v[2:3], v[6:7], v[132:133]
	v_fma_f64 v[4:5], v[4:5], v[132:133], -v[110:111]
	v_fmac_f64_e32 v[14:15], v[102:103], v[96:97]
	v_add_f64_e32 v[6:7], v[10:11], v[8:9]
	v_add_f64_e32 v[8:9], v[12:13], v[106:107]
	v_fma_f64 v[10:11], v[100:101], v[96:97], -v[98:99]
	s_delay_alu instid0(VALU_DEP_3) | instskip(NEXT) | instid1(VALU_DEP_3)
	v_add_f64_e32 v[4:5], v[6:7], v[4:5]
	v_add_f64_e32 v[2:3], v[8:9], v[2:3]
	s_delay_alu instid0(VALU_DEP_2) | instskip(NEXT) | instid1(VALU_DEP_2)
	v_add_f64_e32 v[4:5], v[4:5], v[10:11]
	v_add_f64_e32 v[6:7], v[2:3], v[14:15]
	s_delay_alu instid0(VALU_DEP_2) | instskip(NEXT) | instid1(VALU_DEP_2)
	v_add_f64_e64 v[2:3], v[136:137], -v[4:5]
	v_add_f64_e64 v[4:5], v[138:139], -v[6:7]
	scratch_store_b128 off, v[2:5], off offset:352
	s_wait_xcnt 0x0
	v_cmpx_lt_u32_e32 21, v1
	s_cbranch_execz .LBB102_205
; %bb.204:
	scratch_load_b128 v[2:5], off, s34
	v_mov_b32_e32 v6, 0
	s_delay_alu instid0(VALU_DEP_1)
	v_dual_mov_b32 v7, v6 :: v_dual_mov_b32 v8, v6
	v_mov_b32_e32 v9, v6
	scratch_store_b128 off, v[6:9], off offset:336
	s_wait_loadcnt 0x0
	ds_store_b128 v94, v[2:5]
.LBB102_205:
	s_wait_xcnt 0x0
	s_or_b32 exec_lo, exec_lo, s2
	s_wait_storecnt_dscnt 0x0
	s_barrier_signal -1
	s_barrier_wait -1
	s_clause 0x9
	scratch_load_b128 v[4:7], off, off offset:352
	scratch_load_b128 v[8:11], off, off offset:368
	;; [unrolled: 1-line block ×10, first 2 shown]
	v_mov_b32_e32 v2, 0
	s_mov_b32 s2, exec_lo
	ds_load_b128 v[124:127], v2 offset:976
	s_clause 0x2
	scratch_load_b128 v[128:131], off, off offset:512
	scratch_load_b128 v[132:135], off, off offset:336
	;; [unrolled: 1-line block ×3, first 2 shown]
	s_wait_loadcnt_dscnt 0xc00
	v_mul_f64_e32 v[144:145], v[126:127], v[6:7]
	v_mul_f64_e32 v[148:149], v[124:125], v[6:7]
	ds_load_b128 v[136:139], v2 offset:992
	v_fma_f64 v[152:153], v[124:125], v[4:5], -v[144:145]
	v_fmac_f64_e32 v[148:149], v[126:127], v[4:5]
	ds_load_b128 v[4:7], v2 offset:1008
	s_wait_loadcnt_dscnt 0xb01
	v_mul_f64_e32 v[150:151], v[136:137], v[10:11]
	v_mul_f64_e32 v[10:11], v[138:139], v[10:11]
	scratch_load_b128 v[124:127], off, off offset:544
	ds_load_b128 v[144:147], v2 offset:1024
	s_wait_loadcnt_dscnt 0xb01
	v_mul_f64_e32 v[154:155], v[4:5], v[14:15]
	v_mul_f64_e32 v[14:15], v[6:7], v[14:15]
	v_add_f64_e32 v[148:149], 0, v[148:149]
	v_fmac_f64_e32 v[150:151], v[138:139], v[8:9]
	v_fma_f64 v[136:137], v[136:137], v[8:9], -v[10:11]
	v_add_f64_e32 v[138:139], 0, v[152:153]
	scratch_load_b128 v[8:11], off, off offset:560
	v_fmac_f64_e32 v[154:155], v[6:7], v[12:13]
	v_fma_f64 v[156:157], v[4:5], v[12:13], -v[14:15]
	ds_load_b128 v[4:7], v2 offset:1040
	s_wait_loadcnt_dscnt 0xb01
	v_mul_f64_e32 v[152:153], v[144:145], v[98:99]
	v_mul_f64_e32 v[98:99], v[146:147], v[98:99]
	scratch_load_b128 v[12:15], off, off offset:576
	v_add_f64_e32 v[148:149], v[148:149], v[150:151]
	v_add_f64_e32 v[158:159], v[138:139], v[136:137]
	ds_load_b128 v[136:139], v2 offset:1056
	s_wait_loadcnt_dscnt 0xb01
	v_mul_f64_e32 v[150:151], v[4:5], v[102:103]
	v_mul_f64_e32 v[102:103], v[6:7], v[102:103]
	v_fmac_f64_e32 v[152:153], v[146:147], v[96:97]
	v_fma_f64 v[144:145], v[144:145], v[96:97], -v[98:99]
	scratch_load_b128 v[96:99], off, off offset:592
	v_add_f64_e32 v[148:149], v[148:149], v[154:155]
	v_add_f64_e32 v[146:147], v[158:159], v[156:157]
	v_fmac_f64_e32 v[150:151], v[6:7], v[100:101]
	v_fma_f64 v[156:157], v[4:5], v[100:101], -v[102:103]
	ds_load_b128 v[4:7], v2 offset:1072
	s_wait_loadcnt_dscnt 0xb01
	v_mul_f64_e32 v[154:155], v[136:137], v[106:107]
	v_mul_f64_e32 v[106:107], v[138:139], v[106:107]
	scratch_load_b128 v[100:103], off, off offset:608
	v_add_f64_e32 v[148:149], v[148:149], v[152:153]
	s_wait_loadcnt_dscnt 0xb00
	v_mul_f64_e32 v[152:153], v[4:5], v[110:111]
	v_add_f64_e32 v[158:159], v[146:147], v[144:145]
	v_mul_f64_e32 v[110:111], v[6:7], v[110:111]
	ds_load_b128 v[144:147], v2 offset:1088
	v_fmac_f64_e32 v[154:155], v[138:139], v[104:105]
	v_fma_f64 v[104:105], v[136:137], v[104:105], -v[106:107]
	s_wait_loadcnt_dscnt 0xa00
	v_mul_f64_e32 v[138:139], v[144:145], v[114:115]
	v_mul_f64_e32 v[114:115], v[146:147], v[114:115]
	v_add_f64_e32 v[136:137], v[148:149], v[150:151]
	v_fmac_f64_e32 v[152:153], v[6:7], v[108:109]
	v_add_f64_e32 v[106:107], v[158:159], v[156:157]
	v_fma_f64 v[108:109], v[4:5], v[108:109], -v[110:111]
	v_fmac_f64_e32 v[138:139], v[146:147], v[112:113]
	v_fma_f64 v[112:113], v[144:145], v[112:113], -v[114:115]
	v_add_f64_e32 v[136:137], v[136:137], v[154:155]
	v_add_f64_e32 v[110:111], v[106:107], v[104:105]
	ds_load_b128 v[4:7], v2 offset:1104
	ds_load_b128 v[104:107], v2 offset:1120
	s_wait_loadcnt_dscnt 0x901
	v_mul_f64_e32 v[148:149], v[4:5], v[118:119]
	v_mul_f64_e32 v[118:119], v[6:7], v[118:119]
	s_wait_loadcnt_dscnt 0x800
	v_mul_f64_e32 v[114:115], v[104:105], v[122:123]
	v_mul_f64_e32 v[122:123], v[106:107], v[122:123]
	v_add_f64_e32 v[108:109], v[110:111], v[108:109]
	v_add_f64_e32 v[110:111], v[136:137], v[152:153]
	v_fmac_f64_e32 v[148:149], v[6:7], v[116:117]
	v_fma_f64 v[116:117], v[4:5], v[116:117], -v[118:119]
	v_fmac_f64_e32 v[114:115], v[106:107], v[120:121]
	v_fma_f64 v[104:105], v[104:105], v[120:121], -v[122:123]
	v_add_f64_e32 v[112:113], v[108:109], v[112:113]
	v_add_f64_e32 v[118:119], v[110:111], v[138:139]
	ds_load_b128 v[4:7], v2 offset:1136
	ds_load_b128 v[108:111], v2 offset:1152
	s_wait_loadcnt_dscnt 0x701
	v_mul_f64_e32 v[136:137], v[4:5], v[130:131]
	v_mul_f64_e32 v[130:131], v[6:7], v[130:131]
	v_add_f64_e32 v[106:107], v[112:113], v[116:117]
	v_add_f64_e32 v[112:113], v[118:119], v[148:149]
	s_wait_loadcnt_dscnt 0x500
	v_mul_f64_e32 v[116:117], v[108:109], v[142:143]
	v_mul_f64_e32 v[118:119], v[110:111], v[142:143]
	v_fmac_f64_e32 v[136:137], v[6:7], v[128:129]
	v_fma_f64 v[120:121], v[4:5], v[128:129], -v[130:131]
	v_add_f64_e32 v[122:123], v[106:107], v[104:105]
	v_add_f64_e32 v[112:113], v[112:113], v[114:115]
	ds_load_b128 v[4:7], v2 offset:1168
	ds_load_b128 v[104:107], v2 offset:1184
	v_fmac_f64_e32 v[116:117], v[110:111], v[140:141]
	v_fma_f64 v[108:109], v[108:109], v[140:141], -v[118:119]
	s_wait_loadcnt_dscnt 0x401
	v_mul_f64_e32 v[114:115], v[4:5], v[126:127]
	v_mul_f64_e32 v[126:127], v[6:7], v[126:127]
	v_add_f64_e32 v[110:111], v[122:123], v[120:121]
	v_add_f64_e32 v[112:113], v[112:113], v[136:137]
	s_wait_loadcnt_dscnt 0x300
	v_mul_f64_e32 v[118:119], v[104:105], v[10:11]
	v_mul_f64_e32 v[10:11], v[106:107], v[10:11]
	v_fmac_f64_e32 v[114:115], v[6:7], v[124:125]
	v_fma_f64 v[120:121], v[4:5], v[124:125], -v[126:127]
	v_add_f64_e32 v[122:123], v[110:111], v[108:109]
	v_add_f64_e32 v[112:113], v[112:113], v[116:117]
	ds_load_b128 v[4:7], v2 offset:1200
	ds_load_b128 v[108:111], v2 offset:1216
	v_fmac_f64_e32 v[118:119], v[106:107], v[8:9]
	v_fma_f64 v[8:9], v[104:105], v[8:9], -v[10:11]
	s_wait_loadcnt_dscnt 0x201
	v_mul_f64_e32 v[116:117], v[4:5], v[14:15]
	v_mul_f64_e32 v[14:15], v[6:7], v[14:15]
	s_wait_loadcnt_dscnt 0x100
	v_mul_f64_e32 v[106:107], v[108:109], v[98:99]
	v_mul_f64_e32 v[98:99], v[110:111], v[98:99]
	v_add_f64_e32 v[10:11], v[122:123], v[120:121]
	v_add_f64_e32 v[104:105], v[112:113], v[114:115]
	v_fmac_f64_e32 v[116:117], v[6:7], v[12:13]
	v_fma_f64 v[12:13], v[4:5], v[12:13], -v[14:15]
	ds_load_b128 v[4:7], v2 offset:1232
	v_fmac_f64_e32 v[106:107], v[110:111], v[96:97]
	v_fma_f64 v[96:97], v[108:109], v[96:97], -v[98:99]
	v_add_f64_e32 v[8:9], v[10:11], v[8:9]
	v_add_f64_e32 v[10:11], v[104:105], v[118:119]
	s_wait_loadcnt_dscnt 0x0
	v_mul_f64_e32 v[14:15], v[4:5], v[102:103]
	v_mul_f64_e32 v[102:103], v[6:7], v[102:103]
	s_delay_alu instid0(VALU_DEP_4) | instskip(NEXT) | instid1(VALU_DEP_4)
	v_add_f64_e32 v[8:9], v[8:9], v[12:13]
	v_add_f64_e32 v[10:11], v[10:11], v[116:117]
	s_delay_alu instid0(VALU_DEP_4) | instskip(NEXT) | instid1(VALU_DEP_4)
	v_fmac_f64_e32 v[14:15], v[6:7], v[100:101]
	v_fma_f64 v[4:5], v[4:5], v[100:101], -v[102:103]
	s_delay_alu instid0(VALU_DEP_4) | instskip(NEXT) | instid1(VALU_DEP_4)
	v_add_f64_e32 v[6:7], v[8:9], v[96:97]
	v_add_f64_e32 v[8:9], v[10:11], v[106:107]
	s_delay_alu instid0(VALU_DEP_2) | instskip(NEXT) | instid1(VALU_DEP_2)
	v_add_f64_e32 v[4:5], v[6:7], v[4:5]
	v_add_f64_e32 v[6:7], v[8:9], v[14:15]
	s_delay_alu instid0(VALU_DEP_2) | instskip(NEXT) | instid1(VALU_DEP_2)
	v_add_f64_e64 v[4:5], v[132:133], -v[4:5]
	v_add_f64_e64 v[6:7], v[134:135], -v[6:7]
	scratch_store_b128 off, v[4:7], off offset:336
	s_wait_xcnt 0x0
	v_cmpx_lt_u32_e32 20, v1
	s_cbranch_execz .LBB102_207
; %bb.206:
	scratch_load_b128 v[6:9], off, s35
	v_dual_mov_b32 v3, v2 :: v_dual_mov_b32 v4, v2
	v_mov_b32_e32 v5, v2
	scratch_store_b128 off, v[2:5], off offset:320
	s_wait_loadcnt 0x0
	ds_store_b128 v94, v[6:9]
.LBB102_207:
	s_wait_xcnt 0x0
	s_or_b32 exec_lo, exec_lo, s2
	s_wait_storecnt_dscnt 0x0
	s_barrier_signal -1
	s_barrier_wait -1
	s_clause 0x9
	scratch_load_b128 v[4:7], off, off offset:336
	scratch_load_b128 v[8:11], off, off offset:352
	;; [unrolled: 1-line block ×10, first 2 shown]
	ds_load_b128 v[124:127], v2 offset:960
	ds_load_b128 v[132:135], v2 offset:976
	s_clause 0x2
	scratch_load_b128 v[128:131], off, off offset:496
	scratch_load_b128 v[136:139], off, off offset:320
	scratch_load_b128 v[140:143], off, off offset:512
	s_mov_b32 s2, exec_lo
	s_wait_loadcnt_dscnt 0xc01
	v_mul_f64_e32 v[144:145], v[126:127], v[6:7]
	v_mul_f64_e32 v[148:149], v[124:125], v[6:7]
	s_wait_loadcnt_dscnt 0xb00
	v_mul_f64_e32 v[150:151], v[132:133], v[10:11]
	v_mul_f64_e32 v[10:11], v[134:135], v[10:11]
	s_delay_alu instid0(VALU_DEP_4) | instskip(NEXT) | instid1(VALU_DEP_4)
	v_fma_f64 v[152:153], v[124:125], v[4:5], -v[144:145]
	v_fmac_f64_e32 v[148:149], v[126:127], v[4:5]
	ds_load_b128 v[4:7], v2 offset:992
	ds_load_b128 v[124:127], v2 offset:1008
	scratch_load_b128 v[144:147], off, off offset:528
	v_fmac_f64_e32 v[150:151], v[134:135], v[8:9]
	v_fma_f64 v[132:133], v[132:133], v[8:9], -v[10:11]
	scratch_load_b128 v[8:11], off, off offset:544
	s_wait_loadcnt_dscnt 0xc01
	v_mul_f64_e32 v[154:155], v[4:5], v[14:15]
	v_mul_f64_e32 v[14:15], v[6:7], v[14:15]
	v_add_f64_e32 v[134:135], 0, v[152:153]
	v_add_f64_e32 v[148:149], 0, v[148:149]
	s_wait_loadcnt_dscnt 0xb00
	v_mul_f64_e32 v[152:153], v[124:125], v[98:99]
	v_mul_f64_e32 v[98:99], v[126:127], v[98:99]
	v_fmac_f64_e32 v[154:155], v[6:7], v[12:13]
	v_fma_f64 v[156:157], v[4:5], v[12:13], -v[14:15]
	ds_load_b128 v[4:7], v2 offset:1024
	ds_load_b128 v[12:15], v2 offset:1040
	v_add_f64_e32 v[158:159], v[134:135], v[132:133]
	v_add_f64_e32 v[148:149], v[148:149], v[150:151]
	scratch_load_b128 v[132:135], off, off offset:560
	v_fmac_f64_e32 v[152:153], v[126:127], v[96:97]
	v_fma_f64 v[124:125], v[124:125], v[96:97], -v[98:99]
	scratch_load_b128 v[96:99], off, off offset:576
	s_wait_loadcnt_dscnt 0xc01
	v_mul_f64_e32 v[150:151], v[4:5], v[102:103]
	v_mul_f64_e32 v[102:103], v[6:7], v[102:103]
	v_add_f64_e32 v[126:127], v[158:159], v[156:157]
	v_add_f64_e32 v[148:149], v[148:149], v[154:155]
	s_wait_loadcnt_dscnt 0xb00
	v_mul_f64_e32 v[154:155], v[12:13], v[106:107]
	v_mul_f64_e32 v[106:107], v[14:15], v[106:107]
	v_fmac_f64_e32 v[150:151], v[6:7], v[100:101]
	v_fma_f64 v[156:157], v[4:5], v[100:101], -v[102:103]
	ds_load_b128 v[4:7], v2 offset:1056
	ds_load_b128 v[100:103], v2 offset:1072
	v_add_f64_e32 v[158:159], v[126:127], v[124:125]
	v_add_f64_e32 v[148:149], v[148:149], v[152:153]
	scratch_load_b128 v[124:127], off, off offset:592
	s_wait_loadcnt_dscnt 0xb01
	v_mul_f64_e32 v[152:153], v[4:5], v[110:111]
	v_mul_f64_e32 v[110:111], v[6:7], v[110:111]
	v_fmac_f64_e32 v[154:155], v[14:15], v[104:105]
	v_fma_f64 v[104:105], v[12:13], v[104:105], -v[106:107]
	scratch_load_b128 v[12:15], off, off offset:608
	v_add_f64_e32 v[106:107], v[158:159], v[156:157]
	v_add_f64_e32 v[148:149], v[148:149], v[150:151]
	s_wait_loadcnt_dscnt 0xb00
	v_mul_f64_e32 v[150:151], v[100:101], v[114:115]
	v_mul_f64_e32 v[114:115], v[102:103], v[114:115]
	v_fmac_f64_e32 v[152:153], v[6:7], v[108:109]
	v_fma_f64 v[108:109], v[4:5], v[108:109], -v[110:111]
	v_add_f64_e32 v[110:111], v[106:107], v[104:105]
	v_add_f64_e32 v[148:149], v[148:149], v[154:155]
	ds_load_b128 v[4:7], v2 offset:1088
	ds_load_b128 v[104:107], v2 offset:1104
	v_fmac_f64_e32 v[150:151], v[102:103], v[112:113]
	v_fma_f64 v[100:101], v[100:101], v[112:113], -v[114:115]
	s_wait_loadcnt_dscnt 0xa01
	v_mul_f64_e32 v[154:155], v[4:5], v[118:119]
	v_mul_f64_e32 v[118:119], v[6:7], v[118:119]
	s_wait_loadcnt_dscnt 0x900
	v_mul_f64_e32 v[112:113], v[106:107], v[122:123]
	v_add_f64_e32 v[102:103], v[110:111], v[108:109]
	v_add_f64_e32 v[108:109], v[148:149], v[152:153]
	v_mul_f64_e32 v[110:111], v[104:105], v[122:123]
	v_fmac_f64_e32 v[154:155], v[6:7], v[116:117]
	v_fma_f64 v[114:115], v[4:5], v[116:117], -v[118:119]
	v_fma_f64 v[104:105], v[104:105], v[120:121], -v[112:113]
	v_add_f64_e32 v[116:117], v[102:103], v[100:101]
	v_add_f64_e32 v[108:109], v[108:109], v[150:151]
	ds_load_b128 v[4:7], v2 offset:1120
	ds_load_b128 v[100:103], v2 offset:1136
	v_fmac_f64_e32 v[110:111], v[106:107], v[120:121]
	s_wait_loadcnt_dscnt 0x801
	v_mul_f64_e32 v[118:119], v[4:5], v[130:131]
	v_mul_f64_e32 v[122:123], v[6:7], v[130:131]
	s_wait_loadcnt_dscnt 0x600
	v_mul_f64_e32 v[112:113], v[100:101], v[142:143]
	v_add_f64_e32 v[106:107], v[116:117], v[114:115]
	v_add_f64_e32 v[108:109], v[108:109], v[154:155]
	v_mul_f64_e32 v[114:115], v[102:103], v[142:143]
	v_fmac_f64_e32 v[118:119], v[6:7], v[128:129]
	v_fma_f64 v[116:117], v[4:5], v[128:129], -v[122:123]
	v_fmac_f64_e32 v[112:113], v[102:103], v[140:141]
	v_add_f64_e32 v[120:121], v[106:107], v[104:105]
	v_add_f64_e32 v[108:109], v[108:109], v[110:111]
	ds_load_b128 v[4:7], v2 offset:1152
	ds_load_b128 v[104:107], v2 offset:1168
	v_fma_f64 v[100:101], v[100:101], v[140:141], -v[114:115]
	s_wait_loadcnt_dscnt 0x501
	v_mul_f64_e32 v[110:111], v[4:5], v[146:147]
	v_mul_f64_e32 v[122:123], v[6:7], v[146:147]
	s_wait_loadcnt_dscnt 0x400
	v_mul_f64_e32 v[114:115], v[104:105], v[10:11]
	v_mul_f64_e32 v[10:11], v[106:107], v[10:11]
	v_add_f64_e32 v[102:103], v[120:121], v[116:117]
	v_add_f64_e32 v[108:109], v[108:109], v[118:119]
	v_fmac_f64_e32 v[110:111], v[6:7], v[144:145]
	v_fma_f64 v[116:117], v[4:5], v[144:145], -v[122:123]
	v_fmac_f64_e32 v[114:115], v[106:107], v[8:9]
	v_fma_f64 v[8:9], v[104:105], v[8:9], -v[10:11]
	v_add_f64_e32 v[118:119], v[102:103], v[100:101]
	v_add_f64_e32 v[108:109], v[108:109], v[112:113]
	ds_load_b128 v[4:7], v2 offset:1184
	ds_load_b128 v[100:103], v2 offset:1200
	s_wait_loadcnt_dscnt 0x301
	v_mul_f64_e32 v[112:113], v[4:5], v[134:135]
	v_mul_f64_e32 v[120:121], v[6:7], v[134:135]
	s_wait_loadcnt_dscnt 0x200
	v_mul_f64_e32 v[106:107], v[100:101], v[98:99]
	v_mul_f64_e32 v[98:99], v[102:103], v[98:99]
	v_add_f64_e32 v[10:11], v[118:119], v[116:117]
	v_add_f64_e32 v[104:105], v[108:109], v[110:111]
	v_fmac_f64_e32 v[112:113], v[6:7], v[132:133]
	v_fma_f64 v[108:109], v[4:5], v[132:133], -v[120:121]
	v_fmac_f64_e32 v[106:107], v[102:103], v[96:97]
	v_fma_f64 v[96:97], v[100:101], v[96:97], -v[98:99]
	v_add_f64_e32 v[110:111], v[10:11], v[8:9]
	v_add_f64_e32 v[104:105], v[104:105], v[114:115]
	ds_load_b128 v[4:7], v2 offset:1216
	ds_load_b128 v[8:11], v2 offset:1232
	s_wait_loadcnt_dscnt 0x101
	v_mul_f64_e32 v[2:3], v[4:5], v[126:127]
	v_mul_f64_e32 v[114:115], v[6:7], v[126:127]
	s_wait_loadcnt_dscnt 0x0
	v_mul_f64_e32 v[102:103], v[8:9], v[14:15]
	v_mul_f64_e32 v[14:15], v[10:11], v[14:15]
	v_add_f64_e32 v[98:99], v[110:111], v[108:109]
	v_add_f64_e32 v[100:101], v[104:105], v[112:113]
	v_fmac_f64_e32 v[2:3], v[6:7], v[124:125]
	v_fma_f64 v[4:5], v[4:5], v[124:125], -v[114:115]
	v_fmac_f64_e32 v[102:103], v[10:11], v[12:13]
	v_fma_f64 v[8:9], v[8:9], v[12:13], -v[14:15]
	v_add_f64_e32 v[6:7], v[98:99], v[96:97]
	v_add_f64_e32 v[96:97], v[100:101], v[106:107]
	s_delay_alu instid0(VALU_DEP_2) | instskip(NEXT) | instid1(VALU_DEP_2)
	v_add_f64_e32 v[4:5], v[6:7], v[4:5]
	v_add_f64_e32 v[2:3], v[96:97], v[2:3]
	s_delay_alu instid0(VALU_DEP_2) | instskip(NEXT) | instid1(VALU_DEP_2)
	;; [unrolled: 3-line block ×3, first 2 shown]
	v_add_f64_e64 v[2:3], v[136:137], -v[4:5]
	v_add_f64_e64 v[4:5], v[138:139], -v[6:7]
	scratch_store_b128 off, v[2:5], off offset:320
	s_wait_xcnt 0x0
	v_cmpx_lt_u32_e32 19, v1
	s_cbranch_execz .LBB102_209
; %bb.208:
	scratch_load_b128 v[2:5], off, s36
	v_mov_b32_e32 v6, 0
	s_delay_alu instid0(VALU_DEP_1)
	v_dual_mov_b32 v7, v6 :: v_dual_mov_b32 v8, v6
	v_mov_b32_e32 v9, v6
	scratch_store_b128 off, v[6:9], off offset:304
	s_wait_loadcnt 0x0
	ds_store_b128 v94, v[2:5]
.LBB102_209:
	s_wait_xcnt 0x0
	s_or_b32 exec_lo, exec_lo, s2
	s_wait_storecnt_dscnt 0x0
	s_barrier_signal -1
	s_barrier_wait -1
	s_clause 0x9
	scratch_load_b128 v[4:7], off, off offset:320
	scratch_load_b128 v[8:11], off, off offset:336
	;; [unrolled: 1-line block ×10, first 2 shown]
	v_mov_b32_e32 v2, 0
	s_mov_b32 s2, exec_lo
	ds_load_b128 v[124:127], v2 offset:944
	s_clause 0x2
	scratch_load_b128 v[128:131], off, off offset:480
	scratch_load_b128 v[132:135], off, off offset:304
	;; [unrolled: 1-line block ×3, first 2 shown]
	s_wait_loadcnt_dscnt 0xc00
	v_mul_f64_e32 v[144:145], v[126:127], v[6:7]
	v_mul_f64_e32 v[148:149], v[124:125], v[6:7]
	ds_load_b128 v[136:139], v2 offset:960
	v_fma_f64 v[152:153], v[124:125], v[4:5], -v[144:145]
	v_fmac_f64_e32 v[148:149], v[126:127], v[4:5]
	ds_load_b128 v[4:7], v2 offset:976
	s_wait_loadcnt_dscnt 0xb01
	v_mul_f64_e32 v[150:151], v[136:137], v[10:11]
	v_mul_f64_e32 v[10:11], v[138:139], v[10:11]
	scratch_load_b128 v[124:127], off, off offset:512
	ds_load_b128 v[144:147], v2 offset:992
	s_wait_loadcnt_dscnt 0xb01
	v_mul_f64_e32 v[154:155], v[4:5], v[14:15]
	v_mul_f64_e32 v[14:15], v[6:7], v[14:15]
	v_add_f64_e32 v[148:149], 0, v[148:149]
	v_fmac_f64_e32 v[150:151], v[138:139], v[8:9]
	v_fma_f64 v[136:137], v[136:137], v[8:9], -v[10:11]
	v_add_f64_e32 v[138:139], 0, v[152:153]
	scratch_load_b128 v[8:11], off, off offset:528
	v_fmac_f64_e32 v[154:155], v[6:7], v[12:13]
	v_fma_f64 v[156:157], v[4:5], v[12:13], -v[14:15]
	ds_load_b128 v[4:7], v2 offset:1008
	s_wait_loadcnt_dscnt 0xb01
	v_mul_f64_e32 v[152:153], v[144:145], v[98:99]
	v_mul_f64_e32 v[98:99], v[146:147], v[98:99]
	scratch_load_b128 v[12:15], off, off offset:544
	v_add_f64_e32 v[148:149], v[148:149], v[150:151]
	v_add_f64_e32 v[158:159], v[138:139], v[136:137]
	ds_load_b128 v[136:139], v2 offset:1024
	s_wait_loadcnt_dscnt 0xb01
	v_mul_f64_e32 v[150:151], v[4:5], v[102:103]
	v_mul_f64_e32 v[102:103], v[6:7], v[102:103]
	v_fmac_f64_e32 v[152:153], v[146:147], v[96:97]
	v_fma_f64 v[144:145], v[144:145], v[96:97], -v[98:99]
	scratch_load_b128 v[96:99], off, off offset:560
	v_add_f64_e32 v[148:149], v[148:149], v[154:155]
	v_add_f64_e32 v[146:147], v[158:159], v[156:157]
	v_fmac_f64_e32 v[150:151], v[6:7], v[100:101]
	v_fma_f64 v[156:157], v[4:5], v[100:101], -v[102:103]
	ds_load_b128 v[4:7], v2 offset:1040
	s_wait_loadcnt_dscnt 0xb01
	v_mul_f64_e32 v[154:155], v[136:137], v[106:107]
	v_mul_f64_e32 v[106:107], v[138:139], v[106:107]
	scratch_load_b128 v[100:103], off, off offset:576
	v_add_f64_e32 v[148:149], v[148:149], v[152:153]
	s_wait_loadcnt_dscnt 0xb00
	v_mul_f64_e32 v[152:153], v[4:5], v[110:111]
	v_add_f64_e32 v[158:159], v[146:147], v[144:145]
	v_mul_f64_e32 v[110:111], v[6:7], v[110:111]
	ds_load_b128 v[144:147], v2 offset:1056
	v_fmac_f64_e32 v[154:155], v[138:139], v[104:105]
	v_fma_f64 v[136:137], v[136:137], v[104:105], -v[106:107]
	scratch_load_b128 v[104:107], off, off offset:592
	v_add_f64_e32 v[148:149], v[148:149], v[150:151]
	v_fmac_f64_e32 v[152:153], v[6:7], v[108:109]
	v_add_f64_e32 v[138:139], v[158:159], v[156:157]
	v_fma_f64 v[156:157], v[4:5], v[108:109], -v[110:111]
	ds_load_b128 v[4:7], v2 offset:1072
	s_wait_loadcnt_dscnt 0xb01
	v_mul_f64_e32 v[150:151], v[144:145], v[114:115]
	v_mul_f64_e32 v[114:115], v[146:147], v[114:115]
	scratch_load_b128 v[108:111], off, off offset:608
	v_add_f64_e32 v[148:149], v[148:149], v[154:155]
	s_wait_loadcnt_dscnt 0xb00
	v_mul_f64_e32 v[154:155], v[4:5], v[118:119]
	v_add_f64_e32 v[158:159], v[138:139], v[136:137]
	v_mul_f64_e32 v[118:119], v[6:7], v[118:119]
	ds_load_b128 v[136:139], v2 offset:1088
	v_fmac_f64_e32 v[150:151], v[146:147], v[112:113]
	v_fma_f64 v[112:113], v[144:145], v[112:113], -v[114:115]
	s_wait_loadcnt_dscnt 0xa00
	v_mul_f64_e32 v[146:147], v[136:137], v[122:123]
	v_mul_f64_e32 v[122:123], v[138:139], v[122:123]
	v_add_f64_e32 v[144:145], v[148:149], v[152:153]
	v_fmac_f64_e32 v[154:155], v[6:7], v[116:117]
	v_add_f64_e32 v[114:115], v[158:159], v[156:157]
	v_fma_f64 v[116:117], v[4:5], v[116:117], -v[118:119]
	v_fmac_f64_e32 v[146:147], v[138:139], v[120:121]
	v_fma_f64 v[120:121], v[136:137], v[120:121], -v[122:123]
	v_add_f64_e32 v[144:145], v[144:145], v[150:151]
	v_add_f64_e32 v[118:119], v[114:115], v[112:113]
	ds_load_b128 v[4:7], v2 offset:1104
	ds_load_b128 v[112:115], v2 offset:1120
	s_wait_loadcnt_dscnt 0x901
	v_mul_f64_e32 v[148:149], v[4:5], v[130:131]
	v_mul_f64_e32 v[130:131], v[6:7], v[130:131]
	s_wait_loadcnt_dscnt 0x700
	v_mul_f64_e32 v[122:123], v[112:113], v[142:143]
	v_mul_f64_e32 v[136:137], v[114:115], v[142:143]
	v_add_f64_e32 v[116:117], v[118:119], v[116:117]
	v_add_f64_e32 v[118:119], v[144:145], v[154:155]
	v_fmac_f64_e32 v[148:149], v[6:7], v[128:129]
	v_fma_f64 v[128:129], v[4:5], v[128:129], -v[130:131]
	v_fmac_f64_e32 v[122:123], v[114:115], v[140:141]
	v_fma_f64 v[112:113], v[112:113], v[140:141], -v[136:137]
	v_add_f64_e32 v[120:121], v[116:117], v[120:121]
	v_add_f64_e32 v[130:131], v[118:119], v[146:147]
	ds_load_b128 v[4:7], v2 offset:1136
	ds_load_b128 v[116:119], v2 offset:1152
	s_wait_loadcnt_dscnt 0x601
	v_mul_f64_e32 v[138:139], v[4:5], v[126:127]
	v_mul_f64_e32 v[126:127], v[6:7], v[126:127]
	v_add_f64_e32 v[114:115], v[120:121], v[128:129]
	v_add_f64_e32 v[120:121], v[130:131], v[148:149]
	s_wait_loadcnt_dscnt 0x500
	v_mul_f64_e32 v[128:129], v[116:117], v[10:11]
	v_mul_f64_e32 v[10:11], v[118:119], v[10:11]
	v_fmac_f64_e32 v[138:139], v[6:7], v[124:125]
	v_fma_f64 v[124:125], v[4:5], v[124:125], -v[126:127]
	v_add_f64_e32 v[126:127], v[114:115], v[112:113]
	v_add_f64_e32 v[120:121], v[120:121], v[122:123]
	ds_load_b128 v[4:7], v2 offset:1168
	ds_load_b128 v[112:115], v2 offset:1184
	v_fmac_f64_e32 v[128:129], v[118:119], v[8:9]
	v_fma_f64 v[8:9], v[116:117], v[8:9], -v[10:11]
	s_wait_loadcnt_dscnt 0x401
	v_mul_f64_e32 v[122:123], v[4:5], v[14:15]
	v_mul_f64_e32 v[14:15], v[6:7], v[14:15]
	s_wait_loadcnt_dscnt 0x300
	v_mul_f64_e32 v[118:119], v[112:113], v[98:99]
	v_mul_f64_e32 v[98:99], v[114:115], v[98:99]
	v_add_f64_e32 v[10:11], v[126:127], v[124:125]
	v_add_f64_e32 v[116:117], v[120:121], v[138:139]
	v_fmac_f64_e32 v[122:123], v[6:7], v[12:13]
	v_fma_f64 v[12:13], v[4:5], v[12:13], -v[14:15]
	v_fmac_f64_e32 v[118:119], v[114:115], v[96:97]
	v_fma_f64 v[96:97], v[112:113], v[96:97], -v[98:99]
	v_add_f64_e32 v[14:15], v[10:11], v[8:9]
	v_add_f64_e32 v[116:117], v[116:117], v[128:129]
	ds_load_b128 v[4:7], v2 offset:1200
	ds_load_b128 v[8:11], v2 offset:1216
	s_wait_loadcnt_dscnt 0x201
	v_mul_f64_e32 v[120:121], v[4:5], v[102:103]
	v_mul_f64_e32 v[102:103], v[6:7], v[102:103]
	s_wait_loadcnt_dscnt 0x100
	v_mul_f64_e32 v[98:99], v[8:9], v[106:107]
	v_mul_f64_e32 v[106:107], v[10:11], v[106:107]
	v_add_f64_e32 v[12:13], v[14:15], v[12:13]
	v_add_f64_e32 v[14:15], v[116:117], v[122:123]
	v_fmac_f64_e32 v[120:121], v[6:7], v[100:101]
	v_fma_f64 v[100:101], v[4:5], v[100:101], -v[102:103]
	ds_load_b128 v[4:7], v2 offset:1232
	v_fmac_f64_e32 v[98:99], v[10:11], v[104:105]
	v_fma_f64 v[8:9], v[8:9], v[104:105], -v[106:107]
	v_add_f64_e32 v[12:13], v[12:13], v[96:97]
	v_add_f64_e32 v[14:15], v[14:15], v[118:119]
	s_wait_loadcnt_dscnt 0x0
	v_mul_f64_e32 v[96:97], v[4:5], v[110:111]
	v_mul_f64_e32 v[102:103], v[6:7], v[110:111]
	s_delay_alu instid0(VALU_DEP_4) | instskip(NEXT) | instid1(VALU_DEP_4)
	v_add_f64_e32 v[10:11], v[12:13], v[100:101]
	v_add_f64_e32 v[12:13], v[14:15], v[120:121]
	s_delay_alu instid0(VALU_DEP_4) | instskip(NEXT) | instid1(VALU_DEP_4)
	v_fmac_f64_e32 v[96:97], v[6:7], v[108:109]
	v_fma_f64 v[4:5], v[4:5], v[108:109], -v[102:103]
	s_delay_alu instid0(VALU_DEP_4) | instskip(NEXT) | instid1(VALU_DEP_4)
	v_add_f64_e32 v[6:7], v[10:11], v[8:9]
	v_add_f64_e32 v[8:9], v[12:13], v[98:99]
	s_delay_alu instid0(VALU_DEP_2) | instskip(NEXT) | instid1(VALU_DEP_2)
	v_add_f64_e32 v[4:5], v[6:7], v[4:5]
	v_add_f64_e32 v[6:7], v[8:9], v[96:97]
	s_delay_alu instid0(VALU_DEP_2) | instskip(NEXT) | instid1(VALU_DEP_2)
	v_add_f64_e64 v[4:5], v[132:133], -v[4:5]
	v_add_f64_e64 v[6:7], v[134:135], -v[6:7]
	scratch_store_b128 off, v[4:7], off offset:304
	s_wait_xcnt 0x0
	v_cmpx_lt_u32_e32 18, v1
	s_cbranch_execz .LBB102_211
; %bb.210:
	scratch_load_b128 v[6:9], off, s37
	v_dual_mov_b32 v3, v2 :: v_dual_mov_b32 v4, v2
	v_mov_b32_e32 v5, v2
	scratch_store_b128 off, v[2:5], off offset:288
	s_wait_loadcnt 0x0
	ds_store_b128 v94, v[6:9]
.LBB102_211:
	s_wait_xcnt 0x0
	s_or_b32 exec_lo, exec_lo, s2
	s_wait_storecnt_dscnt 0x0
	s_barrier_signal -1
	s_barrier_wait -1
	s_clause 0x9
	scratch_load_b128 v[4:7], off, off offset:304
	scratch_load_b128 v[8:11], off, off offset:320
	;; [unrolled: 1-line block ×10, first 2 shown]
	ds_load_b128 v[124:127], v2 offset:928
	ds_load_b128 v[132:135], v2 offset:944
	s_clause 0x2
	scratch_load_b128 v[128:131], off, off offset:464
	scratch_load_b128 v[136:139], off, off offset:288
	;; [unrolled: 1-line block ×3, first 2 shown]
	s_mov_b32 s2, exec_lo
	s_wait_loadcnt_dscnt 0xc01
	v_mul_f64_e32 v[144:145], v[126:127], v[6:7]
	v_mul_f64_e32 v[148:149], v[124:125], v[6:7]
	s_wait_loadcnt_dscnt 0xb00
	v_mul_f64_e32 v[150:151], v[132:133], v[10:11]
	v_mul_f64_e32 v[10:11], v[134:135], v[10:11]
	s_delay_alu instid0(VALU_DEP_4) | instskip(NEXT) | instid1(VALU_DEP_4)
	v_fma_f64 v[152:153], v[124:125], v[4:5], -v[144:145]
	v_fmac_f64_e32 v[148:149], v[126:127], v[4:5]
	ds_load_b128 v[4:7], v2 offset:960
	ds_load_b128 v[124:127], v2 offset:976
	scratch_load_b128 v[144:147], off, off offset:496
	v_fmac_f64_e32 v[150:151], v[134:135], v[8:9]
	v_fma_f64 v[132:133], v[132:133], v[8:9], -v[10:11]
	scratch_load_b128 v[8:11], off, off offset:512
	s_wait_loadcnt_dscnt 0xc01
	v_mul_f64_e32 v[154:155], v[4:5], v[14:15]
	v_mul_f64_e32 v[14:15], v[6:7], v[14:15]
	v_add_f64_e32 v[134:135], 0, v[152:153]
	v_add_f64_e32 v[148:149], 0, v[148:149]
	s_wait_loadcnt_dscnt 0xb00
	v_mul_f64_e32 v[152:153], v[124:125], v[98:99]
	v_mul_f64_e32 v[98:99], v[126:127], v[98:99]
	v_fmac_f64_e32 v[154:155], v[6:7], v[12:13]
	v_fma_f64 v[156:157], v[4:5], v[12:13], -v[14:15]
	ds_load_b128 v[4:7], v2 offset:992
	ds_load_b128 v[12:15], v2 offset:1008
	v_add_f64_e32 v[158:159], v[134:135], v[132:133]
	v_add_f64_e32 v[148:149], v[148:149], v[150:151]
	scratch_load_b128 v[132:135], off, off offset:528
	v_fmac_f64_e32 v[152:153], v[126:127], v[96:97]
	v_fma_f64 v[124:125], v[124:125], v[96:97], -v[98:99]
	scratch_load_b128 v[96:99], off, off offset:544
	s_wait_loadcnt_dscnt 0xc01
	v_mul_f64_e32 v[150:151], v[4:5], v[102:103]
	v_mul_f64_e32 v[102:103], v[6:7], v[102:103]
	v_add_f64_e32 v[126:127], v[158:159], v[156:157]
	v_add_f64_e32 v[148:149], v[148:149], v[154:155]
	s_wait_loadcnt_dscnt 0xb00
	v_mul_f64_e32 v[154:155], v[12:13], v[106:107]
	v_mul_f64_e32 v[106:107], v[14:15], v[106:107]
	v_fmac_f64_e32 v[150:151], v[6:7], v[100:101]
	v_fma_f64 v[156:157], v[4:5], v[100:101], -v[102:103]
	ds_load_b128 v[4:7], v2 offset:1024
	ds_load_b128 v[100:103], v2 offset:1040
	v_add_f64_e32 v[158:159], v[126:127], v[124:125]
	v_add_f64_e32 v[148:149], v[148:149], v[152:153]
	scratch_load_b128 v[124:127], off, off offset:560
	s_wait_loadcnt_dscnt 0xb01
	v_mul_f64_e32 v[152:153], v[4:5], v[110:111]
	v_mul_f64_e32 v[110:111], v[6:7], v[110:111]
	v_fmac_f64_e32 v[154:155], v[14:15], v[104:105]
	v_fma_f64 v[104:105], v[12:13], v[104:105], -v[106:107]
	scratch_load_b128 v[12:15], off, off offset:576
	v_add_f64_e32 v[106:107], v[158:159], v[156:157]
	v_add_f64_e32 v[148:149], v[148:149], v[150:151]
	s_wait_loadcnt_dscnt 0xb00
	v_mul_f64_e32 v[150:151], v[100:101], v[114:115]
	v_mul_f64_e32 v[114:115], v[102:103], v[114:115]
	v_fmac_f64_e32 v[152:153], v[6:7], v[108:109]
	v_fma_f64 v[156:157], v[4:5], v[108:109], -v[110:111]
	v_add_f64_e32 v[158:159], v[106:107], v[104:105]
	v_add_f64_e32 v[148:149], v[148:149], v[154:155]
	ds_load_b128 v[4:7], v2 offset:1056
	ds_load_b128 v[104:107], v2 offset:1072
	scratch_load_b128 v[108:111], off, off offset:592
	v_fmac_f64_e32 v[150:151], v[102:103], v[112:113]
	v_fma_f64 v[112:113], v[100:101], v[112:113], -v[114:115]
	scratch_load_b128 v[100:103], off, off offset:608
	s_wait_loadcnt_dscnt 0xc01
	v_mul_f64_e32 v[154:155], v[4:5], v[118:119]
	v_mul_f64_e32 v[118:119], v[6:7], v[118:119]
	v_add_f64_e32 v[114:115], v[158:159], v[156:157]
	v_add_f64_e32 v[148:149], v[148:149], v[152:153]
	s_wait_loadcnt_dscnt 0xb00
	v_mul_f64_e32 v[152:153], v[104:105], v[122:123]
	v_mul_f64_e32 v[122:123], v[106:107], v[122:123]
	v_fmac_f64_e32 v[154:155], v[6:7], v[116:117]
	v_fma_f64 v[116:117], v[4:5], v[116:117], -v[118:119]
	v_add_f64_e32 v[118:119], v[114:115], v[112:113]
	v_add_f64_e32 v[148:149], v[148:149], v[150:151]
	ds_load_b128 v[4:7], v2 offset:1088
	ds_load_b128 v[112:115], v2 offset:1104
	v_fmac_f64_e32 v[152:153], v[106:107], v[120:121]
	v_fma_f64 v[104:105], v[104:105], v[120:121], -v[122:123]
	s_wait_loadcnt_dscnt 0xa01
	v_mul_f64_e32 v[150:151], v[4:5], v[130:131]
	v_mul_f64_e32 v[130:131], v[6:7], v[130:131]
	s_wait_loadcnt_dscnt 0x800
	v_mul_f64_e32 v[120:121], v[114:115], v[142:143]
	v_add_f64_e32 v[106:107], v[118:119], v[116:117]
	v_add_f64_e32 v[116:117], v[148:149], v[154:155]
	v_mul_f64_e32 v[118:119], v[112:113], v[142:143]
	v_fmac_f64_e32 v[150:151], v[6:7], v[128:129]
	v_fma_f64 v[122:123], v[4:5], v[128:129], -v[130:131]
	v_fma_f64 v[112:113], v[112:113], v[140:141], -v[120:121]
	v_add_f64_e32 v[128:129], v[106:107], v[104:105]
	v_add_f64_e32 v[116:117], v[116:117], v[152:153]
	ds_load_b128 v[4:7], v2 offset:1120
	ds_load_b128 v[104:107], v2 offset:1136
	v_fmac_f64_e32 v[118:119], v[114:115], v[140:141]
	s_wait_loadcnt_dscnt 0x701
	v_mul_f64_e32 v[130:131], v[4:5], v[146:147]
	v_mul_f64_e32 v[142:143], v[6:7], v[146:147]
	s_wait_loadcnt_dscnt 0x600
	v_mul_f64_e32 v[120:121], v[104:105], v[10:11]
	v_mul_f64_e32 v[10:11], v[106:107], v[10:11]
	v_add_f64_e32 v[114:115], v[128:129], v[122:123]
	v_add_f64_e32 v[116:117], v[116:117], v[150:151]
	v_fmac_f64_e32 v[130:131], v[6:7], v[144:145]
	v_fma_f64 v[122:123], v[4:5], v[144:145], -v[142:143]
	v_fmac_f64_e32 v[120:121], v[106:107], v[8:9]
	v_fma_f64 v[8:9], v[104:105], v[8:9], -v[10:11]
	v_add_f64_e32 v[128:129], v[114:115], v[112:113]
	v_add_f64_e32 v[116:117], v[116:117], v[118:119]
	ds_load_b128 v[4:7], v2 offset:1152
	ds_load_b128 v[112:115], v2 offset:1168
	s_wait_loadcnt_dscnt 0x501
	v_mul_f64_e32 v[118:119], v[4:5], v[134:135]
	v_mul_f64_e32 v[134:135], v[6:7], v[134:135]
	s_wait_loadcnt_dscnt 0x400
	v_mul_f64_e32 v[106:107], v[112:113], v[98:99]
	v_mul_f64_e32 v[98:99], v[114:115], v[98:99]
	v_add_f64_e32 v[10:11], v[128:129], v[122:123]
	v_add_f64_e32 v[104:105], v[116:117], v[130:131]
	v_fmac_f64_e32 v[118:119], v[6:7], v[132:133]
	v_fma_f64 v[116:117], v[4:5], v[132:133], -v[134:135]
	v_fmac_f64_e32 v[106:107], v[114:115], v[96:97]
	v_fma_f64 v[96:97], v[112:113], v[96:97], -v[98:99]
	v_add_f64_e32 v[122:123], v[10:11], v[8:9]
	v_add_f64_e32 v[104:105], v[104:105], v[120:121]
	ds_load_b128 v[4:7], v2 offset:1184
	ds_load_b128 v[8:11], v2 offset:1200
	;; [unrolled: 16-line block ×3, first 2 shown]
	s_wait_loadcnt_dscnt 0x101
	v_mul_f64_e32 v[2:3], v[4:5], v[110:111]
	v_mul_f64_e32 v[106:107], v[6:7], v[110:111]
	s_wait_loadcnt_dscnt 0x0
	v_mul_f64_e32 v[14:15], v[96:97], v[102:103]
	v_mul_f64_e32 v[102:103], v[98:99], v[102:103]
	v_add_f64_e32 v[10:11], v[116:117], v[114:115]
	v_add_f64_e32 v[12:13], v[104:105], v[120:121]
	v_fmac_f64_e32 v[2:3], v[6:7], v[108:109]
	v_fma_f64 v[4:5], v[4:5], v[108:109], -v[106:107]
	v_fmac_f64_e32 v[14:15], v[98:99], v[100:101]
	v_add_f64_e32 v[6:7], v[10:11], v[8:9]
	v_add_f64_e32 v[8:9], v[12:13], v[112:113]
	v_fma_f64 v[10:11], v[96:97], v[100:101], -v[102:103]
	s_delay_alu instid0(VALU_DEP_3) | instskip(NEXT) | instid1(VALU_DEP_3)
	v_add_f64_e32 v[4:5], v[6:7], v[4:5]
	v_add_f64_e32 v[2:3], v[8:9], v[2:3]
	s_delay_alu instid0(VALU_DEP_2) | instskip(NEXT) | instid1(VALU_DEP_2)
	v_add_f64_e32 v[4:5], v[4:5], v[10:11]
	v_add_f64_e32 v[6:7], v[2:3], v[14:15]
	s_delay_alu instid0(VALU_DEP_2) | instskip(NEXT) | instid1(VALU_DEP_2)
	v_add_f64_e64 v[2:3], v[136:137], -v[4:5]
	v_add_f64_e64 v[4:5], v[138:139], -v[6:7]
	scratch_store_b128 off, v[2:5], off offset:288
	s_wait_xcnt 0x0
	v_cmpx_lt_u32_e32 17, v1
	s_cbranch_execz .LBB102_213
; %bb.212:
	scratch_load_b128 v[2:5], off, s38
	v_mov_b32_e32 v6, 0
	s_delay_alu instid0(VALU_DEP_1)
	v_dual_mov_b32 v7, v6 :: v_dual_mov_b32 v8, v6
	v_mov_b32_e32 v9, v6
	scratch_store_b128 off, v[6:9], off offset:272
	s_wait_loadcnt 0x0
	ds_store_b128 v94, v[2:5]
.LBB102_213:
	s_wait_xcnt 0x0
	s_or_b32 exec_lo, exec_lo, s2
	s_wait_storecnt_dscnt 0x0
	s_barrier_signal -1
	s_barrier_wait -1
	s_clause 0x9
	scratch_load_b128 v[4:7], off, off offset:288
	scratch_load_b128 v[8:11], off, off offset:304
	;; [unrolled: 1-line block ×10, first 2 shown]
	v_mov_b32_e32 v2, 0
	s_mov_b32 s2, exec_lo
	ds_load_b128 v[124:127], v2 offset:912
	s_clause 0x2
	scratch_load_b128 v[128:131], off, off offset:448
	scratch_load_b128 v[132:135], off, off offset:272
	;; [unrolled: 1-line block ×3, first 2 shown]
	s_wait_loadcnt_dscnt 0xc00
	v_mul_f64_e32 v[144:145], v[126:127], v[6:7]
	v_mul_f64_e32 v[148:149], v[124:125], v[6:7]
	ds_load_b128 v[136:139], v2 offset:928
	v_fma_f64 v[152:153], v[124:125], v[4:5], -v[144:145]
	v_fmac_f64_e32 v[148:149], v[126:127], v[4:5]
	ds_load_b128 v[4:7], v2 offset:944
	s_wait_loadcnt_dscnt 0xb01
	v_mul_f64_e32 v[150:151], v[136:137], v[10:11]
	v_mul_f64_e32 v[10:11], v[138:139], v[10:11]
	scratch_load_b128 v[124:127], off, off offset:480
	ds_load_b128 v[144:147], v2 offset:960
	s_wait_loadcnt_dscnt 0xb01
	v_mul_f64_e32 v[154:155], v[4:5], v[14:15]
	v_mul_f64_e32 v[14:15], v[6:7], v[14:15]
	v_add_f64_e32 v[148:149], 0, v[148:149]
	v_fmac_f64_e32 v[150:151], v[138:139], v[8:9]
	v_fma_f64 v[136:137], v[136:137], v[8:9], -v[10:11]
	v_add_f64_e32 v[138:139], 0, v[152:153]
	scratch_load_b128 v[8:11], off, off offset:496
	v_fmac_f64_e32 v[154:155], v[6:7], v[12:13]
	v_fma_f64 v[156:157], v[4:5], v[12:13], -v[14:15]
	ds_load_b128 v[4:7], v2 offset:976
	s_wait_loadcnt_dscnt 0xb01
	v_mul_f64_e32 v[152:153], v[144:145], v[98:99]
	v_mul_f64_e32 v[98:99], v[146:147], v[98:99]
	scratch_load_b128 v[12:15], off, off offset:512
	v_add_f64_e32 v[148:149], v[148:149], v[150:151]
	v_add_f64_e32 v[158:159], v[138:139], v[136:137]
	ds_load_b128 v[136:139], v2 offset:992
	s_wait_loadcnt_dscnt 0xb01
	v_mul_f64_e32 v[150:151], v[4:5], v[102:103]
	v_mul_f64_e32 v[102:103], v[6:7], v[102:103]
	v_fmac_f64_e32 v[152:153], v[146:147], v[96:97]
	v_fma_f64 v[144:145], v[144:145], v[96:97], -v[98:99]
	scratch_load_b128 v[96:99], off, off offset:528
	v_add_f64_e32 v[148:149], v[148:149], v[154:155]
	v_add_f64_e32 v[146:147], v[158:159], v[156:157]
	v_fmac_f64_e32 v[150:151], v[6:7], v[100:101]
	v_fma_f64 v[156:157], v[4:5], v[100:101], -v[102:103]
	ds_load_b128 v[4:7], v2 offset:1008
	s_wait_loadcnt_dscnt 0xb01
	v_mul_f64_e32 v[154:155], v[136:137], v[106:107]
	v_mul_f64_e32 v[106:107], v[138:139], v[106:107]
	scratch_load_b128 v[100:103], off, off offset:544
	v_add_f64_e32 v[148:149], v[148:149], v[152:153]
	s_wait_loadcnt_dscnt 0xb00
	v_mul_f64_e32 v[152:153], v[4:5], v[110:111]
	v_add_f64_e32 v[158:159], v[146:147], v[144:145]
	v_mul_f64_e32 v[110:111], v[6:7], v[110:111]
	ds_load_b128 v[144:147], v2 offset:1024
	v_fmac_f64_e32 v[154:155], v[138:139], v[104:105]
	v_fma_f64 v[136:137], v[136:137], v[104:105], -v[106:107]
	scratch_load_b128 v[104:107], off, off offset:560
	v_add_f64_e32 v[148:149], v[148:149], v[150:151]
	v_fmac_f64_e32 v[152:153], v[6:7], v[108:109]
	v_add_f64_e32 v[138:139], v[158:159], v[156:157]
	v_fma_f64 v[156:157], v[4:5], v[108:109], -v[110:111]
	ds_load_b128 v[4:7], v2 offset:1040
	s_wait_loadcnt_dscnt 0xb01
	v_mul_f64_e32 v[150:151], v[144:145], v[114:115]
	v_mul_f64_e32 v[114:115], v[146:147], v[114:115]
	scratch_load_b128 v[108:111], off, off offset:576
	v_add_f64_e32 v[148:149], v[148:149], v[154:155]
	s_wait_loadcnt_dscnt 0xb00
	v_mul_f64_e32 v[154:155], v[4:5], v[118:119]
	v_add_f64_e32 v[158:159], v[138:139], v[136:137]
	v_mul_f64_e32 v[118:119], v[6:7], v[118:119]
	ds_load_b128 v[136:139], v2 offset:1056
	v_fmac_f64_e32 v[150:151], v[146:147], v[112:113]
	v_fma_f64 v[144:145], v[144:145], v[112:113], -v[114:115]
	scratch_load_b128 v[112:115], off, off offset:592
	v_add_f64_e32 v[148:149], v[148:149], v[152:153]
	v_fmac_f64_e32 v[154:155], v[6:7], v[116:117]
	v_add_f64_e32 v[146:147], v[158:159], v[156:157]
	v_fma_f64 v[156:157], v[4:5], v[116:117], -v[118:119]
	ds_load_b128 v[4:7], v2 offset:1072
	s_wait_loadcnt_dscnt 0xb01
	v_mul_f64_e32 v[152:153], v[136:137], v[122:123]
	v_mul_f64_e32 v[122:123], v[138:139], v[122:123]
	scratch_load_b128 v[116:119], off, off offset:608
	v_add_f64_e32 v[148:149], v[148:149], v[150:151]
	s_wait_loadcnt_dscnt 0xb00
	v_mul_f64_e32 v[150:151], v[4:5], v[130:131]
	v_add_f64_e32 v[158:159], v[146:147], v[144:145]
	v_mul_f64_e32 v[130:131], v[6:7], v[130:131]
	ds_load_b128 v[144:147], v2 offset:1088
	v_fmac_f64_e32 v[152:153], v[138:139], v[120:121]
	v_fma_f64 v[120:121], v[136:137], v[120:121], -v[122:123]
	s_wait_loadcnt_dscnt 0x900
	v_mul_f64_e32 v[138:139], v[144:145], v[142:143]
	v_mul_f64_e32 v[142:143], v[146:147], v[142:143]
	v_add_f64_e32 v[136:137], v[148:149], v[154:155]
	v_fmac_f64_e32 v[150:151], v[6:7], v[128:129]
	v_add_f64_e32 v[122:123], v[158:159], v[156:157]
	v_fma_f64 v[128:129], v[4:5], v[128:129], -v[130:131]
	v_fmac_f64_e32 v[138:139], v[146:147], v[140:141]
	v_fma_f64 v[140:141], v[144:145], v[140:141], -v[142:143]
	v_add_f64_e32 v[136:137], v[136:137], v[152:153]
	v_add_f64_e32 v[130:131], v[122:123], v[120:121]
	ds_load_b128 v[4:7], v2 offset:1104
	ds_load_b128 v[120:123], v2 offset:1120
	s_wait_loadcnt_dscnt 0x801
	v_mul_f64_e32 v[148:149], v[4:5], v[126:127]
	v_mul_f64_e32 v[126:127], v[6:7], v[126:127]
	v_add_f64_e32 v[128:129], v[130:131], v[128:129]
	v_add_f64_e32 v[130:131], v[136:137], v[150:151]
	s_wait_loadcnt_dscnt 0x700
	v_mul_f64_e32 v[136:137], v[120:121], v[10:11]
	v_mul_f64_e32 v[10:11], v[122:123], v[10:11]
	v_fmac_f64_e32 v[148:149], v[6:7], v[124:125]
	v_fma_f64 v[142:143], v[4:5], v[124:125], -v[126:127]
	ds_load_b128 v[4:7], v2 offset:1136
	ds_load_b128 v[124:127], v2 offset:1152
	v_add_f64_e32 v[128:129], v[128:129], v[140:141]
	v_add_f64_e32 v[130:131], v[130:131], v[138:139]
	v_fmac_f64_e32 v[136:137], v[122:123], v[8:9]
	v_fma_f64 v[8:9], v[120:121], v[8:9], -v[10:11]
	s_wait_loadcnt_dscnt 0x601
	v_mul_f64_e32 v[138:139], v[4:5], v[14:15]
	v_mul_f64_e32 v[14:15], v[6:7], v[14:15]
	s_wait_loadcnt_dscnt 0x500
	v_mul_f64_e32 v[122:123], v[124:125], v[98:99]
	v_mul_f64_e32 v[98:99], v[126:127], v[98:99]
	v_add_f64_e32 v[10:11], v[128:129], v[142:143]
	v_add_f64_e32 v[120:121], v[130:131], v[148:149]
	v_fmac_f64_e32 v[138:139], v[6:7], v[12:13]
	v_fma_f64 v[12:13], v[4:5], v[12:13], -v[14:15]
	v_fmac_f64_e32 v[122:123], v[126:127], v[96:97]
	v_fma_f64 v[96:97], v[124:125], v[96:97], -v[98:99]
	v_add_f64_e32 v[14:15], v[10:11], v[8:9]
	v_add_f64_e32 v[120:121], v[120:121], v[136:137]
	ds_load_b128 v[4:7], v2 offset:1168
	ds_load_b128 v[8:11], v2 offset:1184
	s_wait_loadcnt_dscnt 0x401
	v_mul_f64_e32 v[128:129], v[4:5], v[102:103]
	v_mul_f64_e32 v[102:103], v[6:7], v[102:103]
	s_wait_loadcnt_dscnt 0x300
	v_mul_f64_e32 v[98:99], v[8:9], v[106:107]
	v_mul_f64_e32 v[106:107], v[10:11], v[106:107]
	v_add_f64_e32 v[12:13], v[14:15], v[12:13]
	v_add_f64_e32 v[14:15], v[120:121], v[138:139]
	v_fmac_f64_e32 v[128:129], v[6:7], v[100:101]
	v_fma_f64 v[100:101], v[4:5], v[100:101], -v[102:103]
	v_fmac_f64_e32 v[98:99], v[10:11], v[104:105]
	v_fma_f64 v[8:9], v[8:9], v[104:105], -v[106:107]
	v_add_f64_e32 v[96:97], v[12:13], v[96:97]
	v_add_f64_e32 v[102:103], v[14:15], v[122:123]
	ds_load_b128 v[4:7], v2 offset:1200
	ds_load_b128 v[12:15], v2 offset:1216
	s_wait_loadcnt_dscnt 0x201
	v_mul_f64_e32 v[120:121], v[4:5], v[110:111]
	v_mul_f64_e32 v[110:111], v[6:7], v[110:111]
	v_add_f64_e32 v[10:11], v[96:97], v[100:101]
	v_add_f64_e32 v[96:97], v[102:103], v[128:129]
	s_wait_loadcnt_dscnt 0x100
	v_mul_f64_e32 v[100:101], v[12:13], v[114:115]
	v_mul_f64_e32 v[102:103], v[14:15], v[114:115]
	v_fmac_f64_e32 v[120:121], v[6:7], v[108:109]
	v_fma_f64 v[104:105], v[4:5], v[108:109], -v[110:111]
	ds_load_b128 v[4:7], v2 offset:1232
	v_add_f64_e32 v[8:9], v[10:11], v[8:9]
	v_add_f64_e32 v[10:11], v[96:97], v[98:99]
	v_fmac_f64_e32 v[100:101], v[14:15], v[112:113]
	v_fma_f64 v[12:13], v[12:13], v[112:113], -v[102:103]
	s_wait_loadcnt_dscnt 0x0
	v_mul_f64_e32 v[96:97], v[4:5], v[118:119]
	v_mul_f64_e32 v[98:99], v[6:7], v[118:119]
	v_add_f64_e32 v[8:9], v[8:9], v[104:105]
	v_add_f64_e32 v[10:11], v[10:11], v[120:121]
	s_delay_alu instid0(VALU_DEP_4) | instskip(NEXT) | instid1(VALU_DEP_4)
	v_fmac_f64_e32 v[96:97], v[6:7], v[116:117]
	v_fma_f64 v[4:5], v[4:5], v[116:117], -v[98:99]
	s_delay_alu instid0(VALU_DEP_4) | instskip(NEXT) | instid1(VALU_DEP_4)
	v_add_f64_e32 v[6:7], v[8:9], v[12:13]
	v_add_f64_e32 v[8:9], v[10:11], v[100:101]
	s_delay_alu instid0(VALU_DEP_2) | instskip(NEXT) | instid1(VALU_DEP_2)
	v_add_f64_e32 v[4:5], v[6:7], v[4:5]
	v_add_f64_e32 v[6:7], v[8:9], v[96:97]
	s_delay_alu instid0(VALU_DEP_2) | instskip(NEXT) | instid1(VALU_DEP_2)
	v_add_f64_e64 v[4:5], v[132:133], -v[4:5]
	v_add_f64_e64 v[6:7], v[134:135], -v[6:7]
	scratch_store_b128 off, v[4:7], off offset:272
	s_wait_xcnt 0x0
	v_cmpx_lt_u32_e32 16, v1
	s_cbranch_execz .LBB102_215
; %bb.214:
	scratch_load_b128 v[6:9], off, s39
	v_dual_mov_b32 v3, v2 :: v_dual_mov_b32 v4, v2
	v_mov_b32_e32 v5, v2
	scratch_store_b128 off, v[2:5], off offset:256
	s_wait_loadcnt 0x0
	ds_store_b128 v94, v[6:9]
.LBB102_215:
	s_wait_xcnt 0x0
	s_or_b32 exec_lo, exec_lo, s2
	s_wait_storecnt_dscnt 0x0
	s_barrier_signal -1
	s_barrier_wait -1
	s_clause 0x9
	scratch_load_b128 v[4:7], off, off offset:272
	scratch_load_b128 v[8:11], off, off offset:288
	;; [unrolled: 1-line block ×10, first 2 shown]
	ds_load_b128 v[124:127], v2 offset:896
	ds_load_b128 v[132:135], v2 offset:912
	s_clause 0x2
	scratch_load_b128 v[128:131], off, off offset:432
	scratch_load_b128 v[136:139], off, off offset:256
	scratch_load_b128 v[140:143], off, off offset:448
	s_mov_b32 s2, exec_lo
	s_wait_loadcnt_dscnt 0xc01
	v_mul_f64_e32 v[144:145], v[126:127], v[6:7]
	v_mul_f64_e32 v[148:149], v[124:125], v[6:7]
	s_wait_loadcnt_dscnt 0xb00
	v_mul_f64_e32 v[150:151], v[132:133], v[10:11]
	v_mul_f64_e32 v[10:11], v[134:135], v[10:11]
	s_delay_alu instid0(VALU_DEP_4) | instskip(NEXT) | instid1(VALU_DEP_4)
	v_fma_f64 v[152:153], v[124:125], v[4:5], -v[144:145]
	v_fmac_f64_e32 v[148:149], v[126:127], v[4:5]
	ds_load_b128 v[4:7], v2 offset:928
	ds_load_b128 v[124:127], v2 offset:944
	scratch_load_b128 v[144:147], off, off offset:464
	v_fmac_f64_e32 v[150:151], v[134:135], v[8:9]
	v_fma_f64 v[132:133], v[132:133], v[8:9], -v[10:11]
	scratch_load_b128 v[8:11], off, off offset:480
	s_wait_loadcnt_dscnt 0xc01
	v_mul_f64_e32 v[154:155], v[4:5], v[14:15]
	v_mul_f64_e32 v[14:15], v[6:7], v[14:15]
	v_add_f64_e32 v[134:135], 0, v[152:153]
	v_add_f64_e32 v[148:149], 0, v[148:149]
	s_wait_loadcnt_dscnt 0xb00
	v_mul_f64_e32 v[152:153], v[124:125], v[98:99]
	v_mul_f64_e32 v[98:99], v[126:127], v[98:99]
	v_fmac_f64_e32 v[154:155], v[6:7], v[12:13]
	v_fma_f64 v[156:157], v[4:5], v[12:13], -v[14:15]
	ds_load_b128 v[4:7], v2 offset:960
	ds_load_b128 v[12:15], v2 offset:976
	v_add_f64_e32 v[158:159], v[134:135], v[132:133]
	v_add_f64_e32 v[148:149], v[148:149], v[150:151]
	scratch_load_b128 v[132:135], off, off offset:496
	v_fmac_f64_e32 v[152:153], v[126:127], v[96:97]
	v_fma_f64 v[124:125], v[124:125], v[96:97], -v[98:99]
	scratch_load_b128 v[96:99], off, off offset:512
	s_wait_loadcnt_dscnt 0xc01
	v_mul_f64_e32 v[150:151], v[4:5], v[102:103]
	v_mul_f64_e32 v[102:103], v[6:7], v[102:103]
	v_add_f64_e32 v[126:127], v[158:159], v[156:157]
	v_add_f64_e32 v[148:149], v[148:149], v[154:155]
	s_wait_loadcnt_dscnt 0xb00
	v_mul_f64_e32 v[154:155], v[12:13], v[106:107]
	v_mul_f64_e32 v[106:107], v[14:15], v[106:107]
	v_fmac_f64_e32 v[150:151], v[6:7], v[100:101]
	v_fma_f64 v[156:157], v[4:5], v[100:101], -v[102:103]
	ds_load_b128 v[4:7], v2 offset:992
	ds_load_b128 v[100:103], v2 offset:1008
	v_add_f64_e32 v[158:159], v[126:127], v[124:125]
	v_add_f64_e32 v[148:149], v[148:149], v[152:153]
	scratch_load_b128 v[124:127], off, off offset:528
	s_wait_loadcnt_dscnt 0xb01
	v_mul_f64_e32 v[152:153], v[4:5], v[110:111]
	v_mul_f64_e32 v[110:111], v[6:7], v[110:111]
	v_fmac_f64_e32 v[154:155], v[14:15], v[104:105]
	v_fma_f64 v[104:105], v[12:13], v[104:105], -v[106:107]
	scratch_load_b128 v[12:15], off, off offset:544
	v_add_f64_e32 v[106:107], v[158:159], v[156:157]
	v_add_f64_e32 v[148:149], v[148:149], v[150:151]
	s_wait_loadcnt_dscnt 0xb00
	v_mul_f64_e32 v[150:151], v[100:101], v[114:115]
	v_mul_f64_e32 v[114:115], v[102:103], v[114:115]
	v_fmac_f64_e32 v[152:153], v[6:7], v[108:109]
	v_fma_f64 v[156:157], v[4:5], v[108:109], -v[110:111]
	v_add_f64_e32 v[158:159], v[106:107], v[104:105]
	v_add_f64_e32 v[148:149], v[148:149], v[154:155]
	ds_load_b128 v[4:7], v2 offset:1024
	ds_load_b128 v[104:107], v2 offset:1040
	scratch_load_b128 v[108:111], off, off offset:560
	v_fmac_f64_e32 v[150:151], v[102:103], v[112:113]
	v_fma_f64 v[112:113], v[100:101], v[112:113], -v[114:115]
	scratch_load_b128 v[100:103], off, off offset:576
	s_wait_loadcnt_dscnt 0xc01
	v_mul_f64_e32 v[154:155], v[4:5], v[118:119]
	v_mul_f64_e32 v[118:119], v[6:7], v[118:119]
	v_add_f64_e32 v[114:115], v[158:159], v[156:157]
	v_add_f64_e32 v[148:149], v[148:149], v[152:153]
	s_wait_loadcnt_dscnt 0xb00
	v_mul_f64_e32 v[152:153], v[104:105], v[122:123]
	v_mul_f64_e32 v[122:123], v[106:107], v[122:123]
	v_fmac_f64_e32 v[154:155], v[6:7], v[116:117]
	v_fma_f64 v[156:157], v[4:5], v[116:117], -v[118:119]
	v_add_f64_e32 v[158:159], v[114:115], v[112:113]
	v_add_f64_e32 v[148:149], v[148:149], v[150:151]
	ds_load_b128 v[4:7], v2 offset:1056
	ds_load_b128 v[112:115], v2 offset:1072
	scratch_load_b128 v[116:119], off, off offset:592
	v_fmac_f64_e32 v[152:153], v[106:107], v[120:121]
	v_fma_f64 v[120:121], v[104:105], v[120:121], -v[122:123]
	scratch_load_b128 v[104:107], off, off offset:608
	s_wait_loadcnt_dscnt 0xc01
	v_mul_f64_e32 v[150:151], v[4:5], v[130:131]
	v_mul_f64_e32 v[130:131], v[6:7], v[130:131]
	v_add_f64_e32 v[122:123], v[158:159], v[156:157]
	v_add_f64_e32 v[148:149], v[148:149], v[154:155]
	s_wait_loadcnt_dscnt 0xa00
	v_mul_f64_e32 v[154:155], v[112:113], v[142:143]
	v_mul_f64_e32 v[142:143], v[114:115], v[142:143]
	v_fmac_f64_e32 v[150:151], v[6:7], v[128:129]
	v_fma_f64 v[128:129], v[4:5], v[128:129], -v[130:131]
	v_add_f64_e32 v[130:131], v[122:123], v[120:121]
	v_add_f64_e32 v[148:149], v[148:149], v[152:153]
	ds_load_b128 v[4:7], v2 offset:1088
	ds_load_b128 v[120:123], v2 offset:1104
	v_fmac_f64_e32 v[154:155], v[114:115], v[140:141]
	v_fma_f64 v[112:113], v[112:113], v[140:141], -v[142:143]
	s_wait_loadcnt_dscnt 0x901
	v_mul_f64_e32 v[152:153], v[4:5], v[146:147]
	v_mul_f64_e32 v[146:147], v[6:7], v[146:147]
	v_add_f64_e32 v[114:115], v[130:131], v[128:129]
	v_add_f64_e32 v[128:129], v[148:149], v[150:151]
	s_wait_loadcnt_dscnt 0x800
	v_mul_f64_e32 v[130:131], v[120:121], v[10:11]
	v_mul_f64_e32 v[10:11], v[122:123], v[10:11]
	v_fmac_f64_e32 v[152:153], v[6:7], v[144:145]
	v_fma_f64 v[140:141], v[4:5], v[144:145], -v[146:147]
	v_add_f64_e32 v[142:143], v[114:115], v[112:113]
	v_add_f64_e32 v[128:129], v[128:129], v[154:155]
	ds_load_b128 v[4:7], v2 offset:1120
	ds_load_b128 v[112:115], v2 offset:1136
	v_fmac_f64_e32 v[130:131], v[122:123], v[8:9]
	v_fma_f64 v[8:9], v[120:121], v[8:9], -v[10:11]
	s_wait_loadcnt_dscnt 0x701
	v_mul_f64_e32 v[144:145], v[4:5], v[134:135]
	v_mul_f64_e32 v[134:135], v[6:7], v[134:135]
	s_wait_loadcnt_dscnt 0x600
	v_mul_f64_e32 v[122:123], v[112:113], v[98:99]
	v_mul_f64_e32 v[98:99], v[114:115], v[98:99]
	v_add_f64_e32 v[10:11], v[142:143], v[140:141]
	v_add_f64_e32 v[120:121], v[128:129], v[152:153]
	v_fmac_f64_e32 v[144:145], v[6:7], v[132:133]
	v_fma_f64 v[128:129], v[4:5], v[132:133], -v[134:135]
	v_fmac_f64_e32 v[122:123], v[114:115], v[96:97]
	v_fma_f64 v[96:97], v[112:113], v[96:97], -v[98:99]
	v_add_f64_e32 v[132:133], v[10:11], v[8:9]
	v_add_f64_e32 v[120:121], v[120:121], v[130:131]
	ds_load_b128 v[4:7], v2 offset:1152
	ds_load_b128 v[8:11], v2 offset:1168
	s_wait_loadcnt_dscnt 0x501
	v_mul_f64_e32 v[130:131], v[4:5], v[126:127]
	v_mul_f64_e32 v[126:127], v[6:7], v[126:127]
	s_wait_loadcnt_dscnt 0x400
	v_mul_f64_e32 v[114:115], v[8:9], v[14:15]
	v_mul_f64_e32 v[14:15], v[10:11], v[14:15]
	v_add_f64_e32 v[98:99], v[132:133], v[128:129]
	v_add_f64_e32 v[112:113], v[120:121], v[144:145]
	v_fmac_f64_e32 v[130:131], v[6:7], v[124:125]
	v_fma_f64 v[120:121], v[4:5], v[124:125], -v[126:127]
	v_fmac_f64_e32 v[114:115], v[10:11], v[12:13]
	v_fma_f64 v[8:9], v[8:9], v[12:13], -v[14:15]
	v_add_f64_e32 v[124:125], v[98:99], v[96:97]
	v_add_f64_e32 v[112:113], v[112:113], v[122:123]
	ds_load_b128 v[4:7], v2 offset:1184
	ds_load_b128 v[96:99], v2 offset:1200
	;; [unrolled: 16-line block ×3, first 2 shown]
	s_wait_loadcnt_dscnt 0x101
	v_mul_f64_e32 v[2:3], v[4:5], v[118:119]
	v_mul_f64_e32 v[112:113], v[6:7], v[118:119]
	s_wait_loadcnt_dscnt 0x0
	v_mul_f64_e32 v[100:101], v[8:9], v[106:107]
	v_mul_f64_e32 v[102:103], v[10:11], v[106:107]
	v_add_f64_e32 v[98:99], v[110:111], v[108:109]
	v_add_f64_e32 v[12:13], v[12:13], v[122:123]
	v_fmac_f64_e32 v[2:3], v[6:7], v[116:117]
	v_fma_f64 v[4:5], v[4:5], v[116:117], -v[112:113]
	v_fmac_f64_e32 v[100:101], v[10:11], v[104:105]
	v_fma_f64 v[8:9], v[8:9], v[104:105], -v[102:103]
	v_add_f64_e32 v[6:7], v[98:99], v[96:97]
	v_add_f64_e32 v[12:13], v[12:13], v[14:15]
	s_delay_alu instid0(VALU_DEP_2) | instskip(NEXT) | instid1(VALU_DEP_2)
	v_add_f64_e32 v[4:5], v[6:7], v[4:5]
	v_add_f64_e32 v[2:3], v[12:13], v[2:3]
	s_delay_alu instid0(VALU_DEP_2) | instskip(NEXT) | instid1(VALU_DEP_2)
	v_add_f64_e32 v[4:5], v[4:5], v[8:9]
	v_add_f64_e32 v[6:7], v[2:3], v[100:101]
	s_delay_alu instid0(VALU_DEP_2) | instskip(NEXT) | instid1(VALU_DEP_2)
	v_add_f64_e64 v[2:3], v[136:137], -v[4:5]
	v_add_f64_e64 v[4:5], v[138:139], -v[6:7]
	scratch_store_b128 off, v[2:5], off offset:256
	s_wait_xcnt 0x0
	v_cmpx_lt_u32_e32 15, v1
	s_cbranch_execz .LBB102_217
; %bb.216:
	scratch_load_b128 v[2:5], off, s40
	v_mov_b32_e32 v6, 0
	s_delay_alu instid0(VALU_DEP_1)
	v_dual_mov_b32 v7, v6 :: v_dual_mov_b32 v8, v6
	v_mov_b32_e32 v9, v6
	scratch_store_b128 off, v[6:9], off offset:240
	s_wait_loadcnt 0x0
	ds_store_b128 v94, v[2:5]
.LBB102_217:
	s_wait_xcnt 0x0
	s_or_b32 exec_lo, exec_lo, s2
	s_wait_storecnt_dscnt 0x0
	s_barrier_signal -1
	s_barrier_wait -1
	s_clause 0x9
	scratch_load_b128 v[4:7], off, off offset:256
	scratch_load_b128 v[8:11], off, off offset:272
	;; [unrolled: 1-line block ×10, first 2 shown]
	v_mov_b32_e32 v2, 0
	s_mov_b32 s2, exec_lo
	ds_load_b128 v[124:127], v2 offset:880
	s_clause 0x2
	scratch_load_b128 v[128:131], off, off offset:416
	scratch_load_b128 v[132:135], off, off offset:240
	;; [unrolled: 1-line block ×3, first 2 shown]
	s_wait_loadcnt_dscnt 0xc00
	v_mul_f64_e32 v[144:145], v[126:127], v[6:7]
	v_mul_f64_e32 v[148:149], v[124:125], v[6:7]
	ds_load_b128 v[136:139], v2 offset:896
	v_fma_f64 v[152:153], v[124:125], v[4:5], -v[144:145]
	v_fmac_f64_e32 v[148:149], v[126:127], v[4:5]
	ds_load_b128 v[4:7], v2 offset:912
	s_wait_loadcnt_dscnt 0xb01
	v_mul_f64_e32 v[150:151], v[136:137], v[10:11]
	v_mul_f64_e32 v[10:11], v[138:139], v[10:11]
	scratch_load_b128 v[124:127], off, off offset:448
	ds_load_b128 v[144:147], v2 offset:928
	s_wait_loadcnt_dscnt 0xb01
	v_mul_f64_e32 v[154:155], v[4:5], v[14:15]
	v_mul_f64_e32 v[14:15], v[6:7], v[14:15]
	v_add_f64_e32 v[148:149], 0, v[148:149]
	v_fmac_f64_e32 v[150:151], v[138:139], v[8:9]
	v_fma_f64 v[136:137], v[136:137], v[8:9], -v[10:11]
	v_add_f64_e32 v[138:139], 0, v[152:153]
	scratch_load_b128 v[8:11], off, off offset:464
	v_fmac_f64_e32 v[154:155], v[6:7], v[12:13]
	v_fma_f64 v[156:157], v[4:5], v[12:13], -v[14:15]
	ds_load_b128 v[4:7], v2 offset:944
	s_wait_loadcnt_dscnt 0xb01
	v_mul_f64_e32 v[152:153], v[144:145], v[98:99]
	v_mul_f64_e32 v[98:99], v[146:147], v[98:99]
	scratch_load_b128 v[12:15], off, off offset:480
	v_add_f64_e32 v[148:149], v[148:149], v[150:151]
	v_add_f64_e32 v[158:159], v[138:139], v[136:137]
	ds_load_b128 v[136:139], v2 offset:960
	s_wait_loadcnt_dscnt 0xb01
	v_mul_f64_e32 v[150:151], v[4:5], v[102:103]
	v_mul_f64_e32 v[102:103], v[6:7], v[102:103]
	v_fmac_f64_e32 v[152:153], v[146:147], v[96:97]
	v_fma_f64 v[144:145], v[144:145], v[96:97], -v[98:99]
	scratch_load_b128 v[96:99], off, off offset:496
	v_add_f64_e32 v[148:149], v[148:149], v[154:155]
	v_add_f64_e32 v[146:147], v[158:159], v[156:157]
	v_fmac_f64_e32 v[150:151], v[6:7], v[100:101]
	v_fma_f64 v[156:157], v[4:5], v[100:101], -v[102:103]
	ds_load_b128 v[4:7], v2 offset:976
	s_wait_loadcnt_dscnt 0xb01
	v_mul_f64_e32 v[154:155], v[136:137], v[106:107]
	v_mul_f64_e32 v[106:107], v[138:139], v[106:107]
	scratch_load_b128 v[100:103], off, off offset:512
	v_add_f64_e32 v[148:149], v[148:149], v[152:153]
	s_wait_loadcnt_dscnt 0xb00
	v_mul_f64_e32 v[152:153], v[4:5], v[110:111]
	v_add_f64_e32 v[158:159], v[146:147], v[144:145]
	v_mul_f64_e32 v[110:111], v[6:7], v[110:111]
	ds_load_b128 v[144:147], v2 offset:992
	v_fmac_f64_e32 v[154:155], v[138:139], v[104:105]
	v_fma_f64 v[136:137], v[136:137], v[104:105], -v[106:107]
	scratch_load_b128 v[104:107], off, off offset:528
	v_add_f64_e32 v[148:149], v[148:149], v[150:151]
	v_fmac_f64_e32 v[152:153], v[6:7], v[108:109]
	v_add_f64_e32 v[138:139], v[158:159], v[156:157]
	v_fma_f64 v[156:157], v[4:5], v[108:109], -v[110:111]
	ds_load_b128 v[4:7], v2 offset:1008
	s_wait_loadcnt_dscnt 0xb01
	v_mul_f64_e32 v[150:151], v[144:145], v[114:115]
	v_mul_f64_e32 v[114:115], v[146:147], v[114:115]
	scratch_load_b128 v[108:111], off, off offset:544
	v_add_f64_e32 v[148:149], v[148:149], v[154:155]
	s_wait_loadcnt_dscnt 0xb00
	v_mul_f64_e32 v[154:155], v[4:5], v[118:119]
	v_add_f64_e32 v[158:159], v[138:139], v[136:137]
	v_mul_f64_e32 v[118:119], v[6:7], v[118:119]
	ds_load_b128 v[136:139], v2 offset:1024
	v_fmac_f64_e32 v[150:151], v[146:147], v[112:113]
	v_fma_f64 v[144:145], v[144:145], v[112:113], -v[114:115]
	scratch_load_b128 v[112:115], off, off offset:560
	v_add_f64_e32 v[148:149], v[148:149], v[152:153]
	v_fmac_f64_e32 v[154:155], v[6:7], v[116:117]
	v_add_f64_e32 v[146:147], v[158:159], v[156:157]
	;; [unrolled: 18-line block ×3, first 2 shown]
	v_fma_f64 v[156:157], v[4:5], v[128:129], -v[130:131]
	ds_load_b128 v[4:7], v2 offset:1072
	s_wait_loadcnt_dscnt 0xa01
	v_mul_f64_e32 v[154:155], v[144:145], v[142:143]
	v_mul_f64_e32 v[142:143], v[146:147], v[142:143]
	scratch_load_b128 v[128:131], off, off offset:608
	v_add_f64_e32 v[148:149], v[148:149], v[152:153]
	v_add_f64_e32 v[158:159], v[138:139], v[136:137]
	s_wait_loadcnt_dscnt 0xa00
	v_mul_f64_e32 v[152:153], v[4:5], v[126:127]
	v_mul_f64_e32 v[126:127], v[6:7], v[126:127]
	v_fmac_f64_e32 v[154:155], v[146:147], v[140:141]
	v_fma_f64 v[140:141], v[144:145], v[140:141], -v[142:143]
	ds_load_b128 v[136:139], v2 offset:1088
	v_add_f64_e32 v[144:145], v[148:149], v[150:151]
	v_add_f64_e32 v[142:143], v[158:159], v[156:157]
	s_wait_loadcnt_dscnt 0x900
	v_mul_f64_e32 v[146:147], v[136:137], v[10:11]
	v_mul_f64_e32 v[10:11], v[138:139], v[10:11]
	v_fmac_f64_e32 v[152:153], v[6:7], v[124:125]
	v_fma_f64 v[148:149], v[4:5], v[124:125], -v[126:127]
	ds_load_b128 v[4:7], v2 offset:1104
	ds_load_b128 v[124:127], v2 offset:1120
	v_add_f64_e32 v[140:141], v[142:143], v[140:141]
	v_add_f64_e32 v[142:143], v[144:145], v[154:155]
	s_wait_loadcnt_dscnt 0x801
	v_mul_f64_e32 v[144:145], v[4:5], v[14:15]
	v_mul_f64_e32 v[14:15], v[6:7], v[14:15]
	v_fmac_f64_e32 v[146:147], v[138:139], v[8:9]
	v_fma_f64 v[8:9], v[136:137], v[8:9], -v[10:11]
	s_wait_loadcnt_dscnt 0x700
	v_mul_f64_e32 v[138:139], v[124:125], v[98:99]
	v_mul_f64_e32 v[98:99], v[126:127], v[98:99]
	v_add_f64_e32 v[10:11], v[140:141], v[148:149]
	v_add_f64_e32 v[136:137], v[142:143], v[152:153]
	v_fmac_f64_e32 v[144:145], v[6:7], v[12:13]
	v_fma_f64 v[12:13], v[4:5], v[12:13], -v[14:15]
	v_fmac_f64_e32 v[138:139], v[126:127], v[96:97]
	v_fma_f64 v[96:97], v[124:125], v[96:97], -v[98:99]
	v_add_f64_e32 v[14:15], v[10:11], v[8:9]
	v_add_f64_e32 v[136:137], v[136:137], v[146:147]
	ds_load_b128 v[4:7], v2 offset:1136
	ds_load_b128 v[8:11], v2 offset:1152
	s_wait_loadcnt_dscnt 0x601
	v_mul_f64_e32 v[140:141], v[4:5], v[102:103]
	v_mul_f64_e32 v[102:103], v[6:7], v[102:103]
	s_wait_loadcnt_dscnt 0x500
	v_mul_f64_e32 v[98:99], v[8:9], v[106:107]
	v_mul_f64_e32 v[106:107], v[10:11], v[106:107]
	v_add_f64_e32 v[12:13], v[14:15], v[12:13]
	v_add_f64_e32 v[14:15], v[136:137], v[144:145]
	v_fmac_f64_e32 v[140:141], v[6:7], v[100:101]
	v_fma_f64 v[100:101], v[4:5], v[100:101], -v[102:103]
	v_fmac_f64_e32 v[98:99], v[10:11], v[104:105]
	v_fma_f64 v[8:9], v[8:9], v[104:105], -v[106:107]
	v_add_f64_e32 v[96:97], v[12:13], v[96:97]
	v_add_f64_e32 v[102:103], v[14:15], v[138:139]
	ds_load_b128 v[4:7], v2 offset:1168
	ds_load_b128 v[12:15], v2 offset:1184
	s_wait_loadcnt_dscnt 0x401
	v_mul_f64_e32 v[124:125], v[4:5], v[110:111]
	v_mul_f64_e32 v[110:111], v[6:7], v[110:111]
	v_add_f64_e32 v[10:11], v[96:97], v[100:101]
	v_add_f64_e32 v[96:97], v[102:103], v[140:141]
	s_wait_loadcnt_dscnt 0x300
	v_mul_f64_e32 v[100:101], v[12:13], v[114:115]
	v_mul_f64_e32 v[102:103], v[14:15], v[114:115]
	v_fmac_f64_e32 v[124:125], v[6:7], v[108:109]
	v_fma_f64 v[104:105], v[4:5], v[108:109], -v[110:111]
	v_add_f64_e32 v[106:107], v[10:11], v[8:9]
	v_add_f64_e32 v[96:97], v[96:97], v[98:99]
	ds_load_b128 v[4:7], v2 offset:1200
	ds_load_b128 v[8:11], v2 offset:1216
	v_fmac_f64_e32 v[100:101], v[14:15], v[112:113]
	v_fma_f64 v[12:13], v[12:13], v[112:113], -v[102:103]
	s_wait_loadcnt_dscnt 0x201
	v_mul_f64_e32 v[98:99], v[4:5], v[118:119]
	v_mul_f64_e32 v[108:109], v[6:7], v[118:119]
	s_wait_loadcnt_dscnt 0x100
	v_mul_f64_e32 v[102:103], v[8:9], v[122:123]
	v_add_f64_e32 v[14:15], v[106:107], v[104:105]
	v_add_f64_e32 v[96:97], v[96:97], v[124:125]
	v_mul_f64_e32 v[104:105], v[10:11], v[122:123]
	v_fmac_f64_e32 v[98:99], v[6:7], v[116:117]
	v_fma_f64 v[106:107], v[4:5], v[116:117], -v[108:109]
	ds_load_b128 v[4:7], v2 offset:1232
	v_fmac_f64_e32 v[102:103], v[10:11], v[120:121]
	v_add_f64_e32 v[12:13], v[14:15], v[12:13]
	v_add_f64_e32 v[14:15], v[96:97], v[100:101]
	v_fma_f64 v[8:9], v[8:9], v[120:121], -v[104:105]
	s_wait_loadcnt_dscnt 0x0
	v_mul_f64_e32 v[96:97], v[4:5], v[130:131]
	v_mul_f64_e32 v[100:101], v[6:7], v[130:131]
	v_add_f64_e32 v[10:11], v[12:13], v[106:107]
	v_add_f64_e32 v[12:13], v[14:15], v[98:99]
	s_delay_alu instid0(VALU_DEP_4) | instskip(NEXT) | instid1(VALU_DEP_4)
	v_fmac_f64_e32 v[96:97], v[6:7], v[128:129]
	v_fma_f64 v[4:5], v[4:5], v[128:129], -v[100:101]
	s_delay_alu instid0(VALU_DEP_4) | instskip(NEXT) | instid1(VALU_DEP_4)
	v_add_f64_e32 v[6:7], v[10:11], v[8:9]
	v_add_f64_e32 v[8:9], v[12:13], v[102:103]
	s_delay_alu instid0(VALU_DEP_2) | instskip(NEXT) | instid1(VALU_DEP_2)
	v_add_f64_e32 v[4:5], v[6:7], v[4:5]
	v_add_f64_e32 v[6:7], v[8:9], v[96:97]
	s_delay_alu instid0(VALU_DEP_2) | instskip(NEXT) | instid1(VALU_DEP_2)
	v_add_f64_e64 v[4:5], v[132:133], -v[4:5]
	v_add_f64_e64 v[6:7], v[134:135], -v[6:7]
	scratch_store_b128 off, v[4:7], off offset:240
	s_wait_xcnt 0x0
	v_cmpx_lt_u32_e32 14, v1
	s_cbranch_execz .LBB102_219
; %bb.218:
	scratch_load_b128 v[6:9], off, s41
	v_dual_mov_b32 v3, v2 :: v_dual_mov_b32 v4, v2
	v_mov_b32_e32 v5, v2
	scratch_store_b128 off, v[2:5], off offset:224
	s_wait_loadcnt 0x0
	ds_store_b128 v94, v[6:9]
.LBB102_219:
	s_wait_xcnt 0x0
	s_or_b32 exec_lo, exec_lo, s2
	s_wait_storecnt_dscnt 0x0
	s_barrier_signal -1
	s_barrier_wait -1
	s_clause 0x9
	scratch_load_b128 v[4:7], off, off offset:240
	scratch_load_b128 v[8:11], off, off offset:256
	;; [unrolled: 1-line block ×10, first 2 shown]
	ds_load_b128 v[124:127], v2 offset:864
	ds_load_b128 v[132:135], v2 offset:880
	s_clause 0x2
	scratch_load_b128 v[128:131], off, off offset:400
	scratch_load_b128 v[136:139], off, off offset:224
	;; [unrolled: 1-line block ×3, first 2 shown]
	s_mov_b32 s2, exec_lo
	s_wait_loadcnt_dscnt 0xc01
	v_mul_f64_e32 v[144:145], v[126:127], v[6:7]
	v_mul_f64_e32 v[148:149], v[124:125], v[6:7]
	s_wait_loadcnt_dscnt 0xb00
	v_mul_f64_e32 v[150:151], v[132:133], v[10:11]
	v_mul_f64_e32 v[10:11], v[134:135], v[10:11]
	s_delay_alu instid0(VALU_DEP_4) | instskip(NEXT) | instid1(VALU_DEP_4)
	v_fma_f64 v[152:153], v[124:125], v[4:5], -v[144:145]
	v_fmac_f64_e32 v[148:149], v[126:127], v[4:5]
	ds_load_b128 v[4:7], v2 offset:896
	ds_load_b128 v[124:127], v2 offset:912
	scratch_load_b128 v[144:147], off, off offset:432
	v_fmac_f64_e32 v[150:151], v[134:135], v[8:9]
	v_fma_f64 v[132:133], v[132:133], v[8:9], -v[10:11]
	scratch_load_b128 v[8:11], off, off offset:448
	s_wait_loadcnt_dscnt 0xc01
	v_mul_f64_e32 v[154:155], v[4:5], v[14:15]
	v_mul_f64_e32 v[14:15], v[6:7], v[14:15]
	v_add_f64_e32 v[134:135], 0, v[152:153]
	v_add_f64_e32 v[148:149], 0, v[148:149]
	s_wait_loadcnt_dscnt 0xb00
	v_mul_f64_e32 v[152:153], v[124:125], v[98:99]
	v_mul_f64_e32 v[98:99], v[126:127], v[98:99]
	v_fmac_f64_e32 v[154:155], v[6:7], v[12:13]
	v_fma_f64 v[156:157], v[4:5], v[12:13], -v[14:15]
	ds_load_b128 v[4:7], v2 offset:928
	ds_load_b128 v[12:15], v2 offset:944
	v_add_f64_e32 v[158:159], v[134:135], v[132:133]
	v_add_f64_e32 v[148:149], v[148:149], v[150:151]
	scratch_load_b128 v[132:135], off, off offset:464
	v_fmac_f64_e32 v[152:153], v[126:127], v[96:97]
	v_fma_f64 v[124:125], v[124:125], v[96:97], -v[98:99]
	scratch_load_b128 v[96:99], off, off offset:480
	s_wait_loadcnt_dscnt 0xc01
	v_mul_f64_e32 v[150:151], v[4:5], v[102:103]
	v_mul_f64_e32 v[102:103], v[6:7], v[102:103]
	v_add_f64_e32 v[126:127], v[158:159], v[156:157]
	v_add_f64_e32 v[148:149], v[148:149], v[154:155]
	s_wait_loadcnt_dscnt 0xb00
	v_mul_f64_e32 v[154:155], v[12:13], v[106:107]
	v_mul_f64_e32 v[106:107], v[14:15], v[106:107]
	v_fmac_f64_e32 v[150:151], v[6:7], v[100:101]
	v_fma_f64 v[156:157], v[4:5], v[100:101], -v[102:103]
	ds_load_b128 v[4:7], v2 offset:960
	ds_load_b128 v[100:103], v2 offset:976
	v_add_f64_e32 v[158:159], v[126:127], v[124:125]
	v_add_f64_e32 v[148:149], v[148:149], v[152:153]
	scratch_load_b128 v[124:127], off, off offset:496
	s_wait_loadcnt_dscnt 0xb01
	v_mul_f64_e32 v[152:153], v[4:5], v[110:111]
	v_mul_f64_e32 v[110:111], v[6:7], v[110:111]
	v_fmac_f64_e32 v[154:155], v[14:15], v[104:105]
	v_fma_f64 v[104:105], v[12:13], v[104:105], -v[106:107]
	scratch_load_b128 v[12:15], off, off offset:512
	v_add_f64_e32 v[106:107], v[158:159], v[156:157]
	v_add_f64_e32 v[148:149], v[148:149], v[150:151]
	s_wait_loadcnt_dscnt 0xb00
	v_mul_f64_e32 v[150:151], v[100:101], v[114:115]
	v_mul_f64_e32 v[114:115], v[102:103], v[114:115]
	v_fmac_f64_e32 v[152:153], v[6:7], v[108:109]
	v_fma_f64 v[156:157], v[4:5], v[108:109], -v[110:111]
	v_add_f64_e32 v[158:159], v[106:107], v[104:105]
	v_add_f64_e32 v[148:149], v[148:149], v[154:155]
	ds_load_b128 v[4:7], v2 offset:992
	ds_load_b128 v[104:107], v2 offset:1008
	scratch_load_b128 v[108:111], off, off offset:528
	v_fmac_f64_e32 v[150:151], v[102:103], v[112:113]
	v_fma_f64 v[112:113], v[100:101], v[112:113], -v[114:115]
	scratch_load_b128 v[100:103], off, off offset:544
	s_wait_loadcnt_dscnt 0xc01
	v_mul_f64_e32 v[154:155], v[4:5], v[118:119]
	v_mul_f64_e32 v[118:119], v[6:7], v[118:119]
	v_add_f64_e32 v[114:115], v[158:159], v[156:157]
	v_add_f64_e32 v[148:149], v[148:149], v[152:153]
	s_wait_loadcnt_dscnt 0xb00
	v_mul_f64_e32 v[152:153], v[104:105], v[122:123]
	v_mul_f64_e32 v[122:123], v[106:107], v[122:123]
	v_fmac_f64_e32 v[154:155], v[6:7], v[116:117]
	v_fma_f64 v[156:157], v[4:5], v[116:117], -v[118:119]
	v_add_f64_e32 v[158:159], v[114:115], v[112:113]
	v_add_f64_e32 v[148:149], v[148:149], v[150:151]
	ds_load_b128 v[4:7], v2 offset:1024
	ds_load_b128 v[112:115], v2 offset:1040
	scratch_load_b128 v[116:119], off, off offset:560
	v_fmac_f64_e32 v[152:153], v[106:107], v[120:121]
	v_fma_f64 v[120:121], v[104:105], v[120:121], -v[122:123]
	scratch_load_b128 v[104:107], off, off offset:576
	s_wait_loadcnt_dscnt 0xc01
	v_mul_f64_e32 v[150:151], v[4:5], v[130:131]
	v_mul_f64_e32 v[130:131], v[6:7], v[130:131]
	v_add_f64_e32 v[122:123], v[158:159], v[156:157]
	v_add_f64_e32 v[148:149], v[148:149], v[154:155]
	s_wait_loadcnt_dscnt 0xa00
	v_mul_f64_e32 v[154:155], v[112:113], v[142:143]
	v_mul_f64_e32 v[142:143], v[114:115], v[142:143]
	v_fmac_f64_e32 v[150:151], v[6:7], v[128:129]
	v_fma_f64 v[156:157], v[4:5], v[128:129], -v[130:131]
	v_add_f64_e32 v[158:159], v[122:123], v[120:121]
	v_add_f64_e32 v[148:149], v[148:149], v[152:153]
	ds_load_b128 v[4:7], v2 offset:1056
	ds_load_b128 v[120:123], v2 offset:1072
	scratch_load_b128 v[128:131], off, off offset:592
	v_fmac_f64_e32 v[154:155], v[114:115], v[140:141]
	v_fma_f64 v[140:141], v[112:113], v[140:141], -v[142:143]
	scratch_load_b128 v[112:115], off, off offset:608
	s_wait_loadcnt_dscnt 0xb01
	v_mul_f64_e32 v[152:153], v[4:5], v[146:147]
	v_mul_f64_e32 v[146:147], v[6:7], v[146:147]
	v_add_f64_e32 v[142:143], v[158:159], v[156:157]
	v_add_f64_e32 v[148:149], v[148:149], v[150:151]
	s_wait_loadcnt_dscnt 0xa00
	v_mul_f64_e32 v[150:151], v[120:121], v[10:11]
	v_mul_f64_e32 v[10:11], v[122:123], v[10:11]
	v_fmac_f64_e32 v[152:153], v[6:7], v[144:145]
	v_fma_f64 v[144:145], v[4:5], v[144:145], -v[146:147]
	v_add_f64_e32 v[146:147], v[142:143], v[140:141]
	v_add_f64_e32 v[148:149], v[148:149], v[154:155]
	ds_load_b128 v[4:7], v2 offset:1088
	ds_load_b128 v[140:143], v2 offset:1104
	v_fmac_f64_e32 v[150:151], v[122:123], v[8:9]
	v_fma_f64 v[8:9], v[120:121], v[8:9], -v[10:11]
	s_wait_loadcnt_dscnt 0x901
	v_mul_f64_e32 v[154:155], v[4:5], v[134:135]
	v_mul_f64_e32 v[134:135], v[6:7], v[134:135]
	s_wait_loadcnt_dscnt 0x800
	v_mul_f64_e32 v[122:123], v[140:141], v[98:99]
	v_mul_f64_e32 v[98:99], v[142:143], v[98:99]
	v_add_f64_e32 v[10:11], v[146:147], v[144:145]
	v_add_f64_e32 v[120:121], v[148:149], v[152:153]
	v_fmac_f64_e32 v[154:155], v[6:7], v[132:133]
	v_fma_f64 v[132:133], v[4:5], v[132:133], -v[134:135]
	v_fmac_f64_e32 v[122:123], v[142:143], v[96:97]
	v_fma_f64 v[96:97], v[140:141], v[96:97], -v[98:99]
	v_add_f64_e32 v[134:135], v[10:11], v[8:9]
	v_add_f64_e32 v[120:121], v[120:121], v[150:151]
	ds_load_b128 v[4:7], v2 offset:1120
	ds_load_b128 v[8:11], v2 offset:1136
	s_wait_loadcnt_dscnt 0x701
	v_mul_f64_e32 v[144:145], v[4:5], v[126:127]
	v_mul_f64_e32 v[126:127], v[6:7], v[126:127]
	v_add_f64_e32 v[98:99], v[134:135], v[132:133]
	v_add_f64_e32 v[120:121], v[120:121], v[154:155]
	s_wait_loadcnt_dscnt 0x600
	v_mul_f64_e32 v[132:133], v[8:9], v[14:15]
	v_mul_f64_e32 v[14:15], v[10:11], v[14:15]
	v_fmac_f64_e32 v[144:145], v[6:7], v[124:125]
	v_fma_f64 v[124:125], v[4:5], v[124:125], -v[126:127]
	v_add_f64_e32 v[126:127], v[98:99], v[96:97]
	v_add_f64_e32 v[120:121], v[120:121], v[122:123]
	ds_load_b128 v[4:7], v2 offset:1152
	ds_load_b128 v[96:99], v2 offset:1168
	v_fmac_f64_e32 v[132:133], v[10:11], v[12:13]
	v_fma_f64 v[8:9], v[8:9], v[12:13], -v[14:15]
	s_wait_loadcnt_dscnt 0x501
	v_mul_f64_e32 v[122:123], v[4:5], v[110:111]
	v_mul_f64_e32 v[110:111], v[6:7], v[110:111]
	s_wait_loadcnt_dscnt 0x400
	v_mul_f64_e32 v[14:15], v[96:97], v[102:103]
	v_mul_f64_e32 v[102:103], v[98:99], v[102:103]
	v_add_f64_e32 v[10:11], v[126:127], v[124:125]
	v_add_f64_e32 v[12:13], v[120:121], v[144:145]
	v_fmac_f64_e32 v[122:123], v[6:7], v[108:109]
	v_fma_f64 v[108:109], v[4:5], v[108:109], -v[110:111]
	v_fmac_f64_e32 v[14:15], v[98:99], v[100:101]
	v_fma_f64 v[96:97], v[96:97], v[100:101], -v[102:103]
	v_add_f64_e32 v[110:111], v[10:11], v[8:9]
	v_add_f64_e32 v[12:13], v[12:13], v[132:133]
	ds_load_b128 v[4:7], v2 offset:1184
	ds_load_b128 v[8:11], v2 offset:1200
	s_wait_loadcnt_dscnt 0x301
	v_mul_f64_e32 v[120:121], v[4:5], v[118:119]
	v_mul_f64_e32 v[118:119], v[6:7], v[118:119]
	s_wait_loadcnt_dscnt 0x200
	v_mul_f64_e32 v[100:101], v[8:9], v[106:107]
	v_mul_f64_e32 v[102:103], v[10:11], v[106:107]
	v_add_f64_e32 v[98:99], v[110:111], v[108:109]
	v_add_f64_e32 v[12:13], v[12:13], v[122:123]
	v_fmac_f64_e32 v[120:121], v[6:7], v[116:117]
	v_fma_f64 v[106:107], v[4:5], v[116:117], -v[118:119]
	v_fmac_f64_e32 v[100:101], v[10:11], v[104:105]
	v_fma_f64 v[8:9], v[8:9], v[104:105], -v[102:103]
	v_add_f64_e32 v[96:97], v[98:99], v[96:97]
	v_add_f64_e32 v[98:99], v[12:13], v[14:15]
	ds_load_b128 v[4:7], v2 offset:1216
	ds_load_b128 v[12:15], v2 offset:1232
	s_wait_loadcnt_dscnt 0x101
	v_mul_f64_e32 v[2:3], v[4:5], v[130:131]
	v_mul_f64_e32 v[108:109], v[6:7], v[130:131]
	s_wait_loadcnt_dscnt 0x0
	v_mul_f64_e32 v[102:103], v[14:15], v[114:115]
	v_add_f64_e32 v[10:11], v[96:97], v[106:107]
	v_add_f64_e32 v[96:97], v[98:99], v[120:121]
	v_mul_f64_e32 v[98:99], v[12:13], v[114:115]
	v_fmac_f64_e32 v[2:3], v[6:7], v[128:129]
	v_fma_f64 v[4:5], v[4:5], v[128:129], -v[108:109]
	v_add_f64_e32 v[6:7], v[10:11], v[8:9]
	v_add_f64_e32 v[8:9], v[96:97], v[100:101]
	v_fmac_f64_e32 v[98:99], v[14:15], v[112:113]
	v_fma_f64 v[10:11], v[12:13], v[112:113], -v[102:103]
	s_delay_alu instid0(VALU_DEP_4) | instskip(NEXT) | instid1(VALU_DEP_4)
	v_add_f64_e32 v[4:5], v[6:7], v[4:5]
	v_add_f64_e32 v[2:3], v[8:9], v[2:3]
	s_delay_alu instid0(VALU_DEP_2) | instskip(NEXT) | instid1(VALU_DEP_2)
	v_add_f64_e32 v[4:5], v[4:5], v[10:11]
	v_add_f64_e32 v[6:7], v[2:3], v[98:99]
	s_delay_alu instid0(VALU_DEP_2) | instskip(NEXT) | instid1(VALU_DEP_2)
	v_add_f64_e64 v[2:3], v[136:137], -v[4:5]
	v_add_f64_e64 v[4:5], v[138:139], -v[6:7]
	scratch_store_b128 off, v[2:5], off offset:224
	s_wait_xcnt 0x0
	v_cmpx_lt_u32_e32 13, v1
	s_cbranch_execz .LBB102_221
; %bb.220:
	scratch_load_b128 v[2:5], off, s42
	v_mov_b32_e32 v6, 0
	s_delay_alu instid0(VALU_DEP_1)
	v_dual_mov_b32 v7, v6 :: v_dual_mov_b32 v8, v6
	v_mov_b32_e32 v9, v6
	scratch_store_b128 off, v[6:9], off offset:208
	s_wait_loadcnt 0x0
	ds_store_b128 v94, v[2:5]
.LBB102_221:
	s_wait_xcnt 0x0
	s_or_b32 exec_lo, exec_lo, s2
	s_wait_storecnt_dscnt 0x0
	s_barrier_signal -1
	s_barrier_wait -1
	s_clause 0x9
	scratch_load_b128 v[4:7], off, off offset:224
	scratch_load_b128 v[8:11], off, off offset:240
	;; [unrolled: 1-line block ×10, first 2 shown]
	v_mov_b32_e32 v2, 0
	s_mov_b32 s2, exec_lo
	ds_load_b128 v[124:127], v2 offset:848
	s_clause 0x2
	scratch_load_b128 v[128:131], off, off offset:384
	scratch_load_b128 v[132:135], off, off offset:208
	;; [unrolled: 1-line block ×3, first 2 shown]
	s_wait_loadcnt_dscnt 0xc00
	v_mul_f64_e32 v[144:145], v[126:127], v[6:7]
	v_mul_f64_e32 v[148:149], v[124:125], v[6:7]
	ds_load_b128 v[136:139], v2 offset:864
	v_fma_f64 v[152:153], v[124:125], v[4:5], -v[144:145]
	v_fmac_f64_e32 v[148:149], v[126:127], v[4:5]
	ds_load_b128 v[4:7], v2 offset:880
	s_wait_loadcnt_dscnt 0xb01
	v_mul_f64_e32 v[150:151], v[136:137], v[10:11]
	v_mul_f64_e32 v[10:11], v[138:139], v[10:11]
	scratch_load_b128 v[124:127], off, off offset:416
	ds_load_b128 v[144:147], v2 offset:896
	s_wait_loadcnt_dscnt 0xb01
	v_mul_f64_e32 v[154:155], v[4:5], v[14:15]
	v_mul_f64_e32 v[14:15], v[6:7], v[14:15]
	v_add_f64_e32 v[148:149], 0, v[148:149]
	v_fmac_f64_e32 v[150:151], v[138:139], v[8:9]
	v_fma_f64 v[136:137], v[136:137], v[8:9], -v[10:11]
	v_add_f64_e32 v[138:139], 0, v[152:153]
	scratch_load_b128 v[8:11], off, off offset:432
	v_fmac_f64_e32 v[154:155], v[6:7], v[12:13]
	v_fma_f64 v[156:157], v[4:5], v[12:13], -v[14:15]
	ds_load_b128 v[4:7], v2 offset:912
	s_wait_loadcnt_dscnt 0xb01
	v_mul_f64_e32 v[152:153], v[144:145], v[98:99]
	v_mul_f64_e32 v[98:99], v[146:147], v[98:99]
	scratch_load_b128 v[12:15], off, off offset:448
	v_add_f64_e32 v[148:149], v[148:149], v[150:151]
	v_add_f64_e32 v[158:159], v[138:139], v[136:137]
	ds_load_b128 v[136:139], v2 offset:928
	s_wait_loadcnt_dscnt 0xb01
	v_mul_f64_e32 v[150:151], v[4:5], v[102:103]
	v_mul_f64_e32 v[102:103], v[6:7], v[102:103]
	v_fmac_f64_e32 v[152:153], v[146:147], v[96:97]
	v_fma_f64 v[144:145], v[144:145], v[96:97], -v[98:99]
	scratch_load_b128 v[96:99], off, off offset:464
	v_add_f64_e32 v[148:149], v[148:149], v[154:155]
	v_add_f64_e32 v[146:147], v[158:159], v[156:157]
	v_fmac_f64_e32 v[150:151], v[6:7], v[100:101]
	v_fma_f64 v[156:157], v[4:5], v[100:101], -v[102:103]
	ds_load_b128 v[4:7], v2 offset:944
	s_wait_loadcnt_dscnt 0xb01
	v_mul_f64_e32 v[154:155], v[136:137], v[106:107]
	v_mul_f64_e32 v[106:107], v[138:139], v[106:107]
	scratch_load_b128 v[100:103], off, off offset:480
	v_add_f64_e32 v[148:149], v[148:149], v[152:153]
	s_wait_loadcnt_dscnt 0xb00
	v_mul_f64_e32 v[152:153], v[4:5], v[110:111]
	v_add_f64_e32 v[158:159], v[146:147], v[144:145]
	v_mul_f64_e32 v[110:111], v[6:7], v[110:111]
	ds_load_b128 v[144:147], v2 offset:960
	v_fmac_f64_e32 v[154:155], v[138:139], v[104:105]
	v_fma_f64 v[136:137], v[136:137], v[104:105], -v[106:107]
	scratch_load_b128 v[104:107], off, off offset:496
	v_add_f64_e32 v[148:149], v[148:149], v[150:151]
	v_fmac_f64_e32 v[152:153], v[6:7], v[108:109]
	v_add_f64_e32 v[138:139], v[158:159], v[156:157]
	v_fma_f64 v[156:157], v[4:5], v[108:109], -v[110:111]
	ds_load_b128 v[4:7], v2 offset:976
	s_wait_loadcnt_dscnt 0xb01
	v_mul_f64_e32 v[150:151], v[144:145], v[114:115]
	v_mul_f64_e32 v[114:115], v[146:147], v[114:115]
	scratch_load_b128 v[108:111], off, off offset:512
	v_add_f64_e32 v[148:149], v[148:149], v[154:155]
	s_wait_loadcnt_dscnt 0xb00
	v_mul_f64_e32 v[154:155], v[4:5], v[118:119]
	v_add_f64_e32 v[158:159], v[138:139], v[136:137]
	v_mul_f64_e32 v[118:119], v[6:7], v[118:119]
	ds_load_b128 v[136:139], v2 offset:992
	v_fmac_f64_e32 v[150:151], v[146:147], v[112:113]
	v_fma_f64 v[144:145], v[144:145], v[112:113], -v[114:115]
	scratch_load_b128 v[112:115], off, off offset:528
	v_add_f64_e32 v[148:149], v[148:149], v[152:153]
	v_fmac_f64_e32 v[154:155], v[6:7], v[116:117]
	v_add_f64_e32 v[146:147], v[158:159], v[156:157]
	;; [unrolled: 18-line block ×3, first 2 shown]
	v_fma_f64 v[156:157], v[4:5], v[128:129], -v[130:131]
	ds_load_b128 v[4:7], v2 offset:1040
	s_wait_loadcnt_dscnt 0xa01
	v_mul_f64_e32 v[154:155], v[144:145], v[142:143]
	v_mul_f64_e32 v[142:143], v[146:147], v[142:143]
	scratch_load_b128 v[128:131], off, off offset:576
	v_add_f64_e32 v[148:149], v[148:149], v[152:153]
	v_add_f64_e32 v[158:159], v[138:139], v[136:137]
	s_wait_loadcnt_dscnt 0xa00
	v_mul_f64_e32 v[152:153], v[4:5], v[126:127]
	v_mul_f64_e32 v[126:127], v[6:7], v[126:127]
	v_fmac_f64_e32 v[154:155], v[146:147], v[140:141]
	v_fma_f64 v[144:145], v[144:145], v[140:141], -v[142:143]
	ds_load_b128 v[136:139], v2 offset:1056
	scratch_load_b128 v[140:143], off, off offset:592
	v_add_f64_e32 v[148:149], v[148:149], v[150:151]
	v_add_f64_e32 v[146:147], v[158:159], v[156:157]
	v_fmac_f64_e32 v[152:153], v[6:7], v[124:125]
	v_fma_f64 v[156:157], v[4:5], v[124:125], -v[126:127]
	ds_load_b128 v[4:7], v2 offset:1072
	s_wait_loadcnt_dscnt 0xa01
	v_mul_f64_e32 v[150:151], v[136:137], v[10:11]
	v_mul_f64_e32 v[10:11], v[138:139], v[10:11]
	scratch_load_b128 v[124:127], off, off offset:608
	v_add_f64_e32 v[148:149], v[148:149], v[154:155]
	s_wait_loadcnt_dscnt 0xa00
	v_mul_f64_e32 v[154:155], v[4:5], v[14:15]
	v_add_f64_e32 v[158:159], v[146:147], v[144:145]
	v_mul_f64_e32 v[14:15], v[6:7], v[14:15]
	ds_load_b128 v[144:147], v2 offset:1088
	v_fmac_f64_e32 v[150:151], v[138:139], v[8:9]
	v_fma_f64 v[8:9], v[136:137], v[8:9], -v[10:11]
	s_wait_loadcnt_dscnt 0x900
	v_mul_f64_e32 v[138:139], v[144:145], v[98:99]
	v_mul_f64_e32 v[98:99], v[146:147], v[98:99]
	v_add_f64_e32 v[136:137], v[148:149], v[152:153]
	v_fmac_f64_e32 v[154:155], v[6:7], v[12:13]
	v_add_f64_e32 v[10:11], v[158:159], v[156:157]
	v_fma_f64 v[12:13], v[4:5], v[12:13], -v[14:15]
	v_fmac_f64_e32 v[138:139], v[146:147], v[96:97]
	v_fma_f64 v[96:97], v[144:145], v[96:97], -v[98:99]
	v_add_f64_e32 v[136:137], v[136:137], v[150:151]
	v_add_f64_e32 v[14:15], v[10:11], v[8:9]
	ds_load_b128 v[4:7], v2 offset:1104
	ds_load_b128 v[8:11], v2 offset:1120
	s_wait_loadcnt_dscnt 0x801
	v_mul_f64_e32 v[148:149], v[4:5], v[102:103]
	v_mul_f64_e32 v[102:103], v[6:7], v[102:103]
	s_wait_loadcnt_dscnt 0x700
	v_mul_f64_e32 v[98:99], v[8:9], v[106:107]
	v_mul_f64_e32 v[106:107], v[10:11], v[106:107]
	v_add_f64_e32 v[12:13], v[14:15], v[12:13]
	v_add_f64_e32 v[14:15], v[136:137], v[154:155]
	v_fmac_f64_e32 v[148:149], v[6:7], v[100:101]
	v_fma_f64 v[100:101], v[4:5], v[100:101], -v[102:103]
	v_fmac_f64_e32 v[98:99], v[10:11], v[104:105]
	v_fma_f64 v[8:9], v[8:9], v[104:105], -v[106:107]
	v_add_f64_e32 v[96:97], v[12:13], v[96:97]
	v_add_f64_e32 v[102:103], v[14:15], v[138:139]
	ds_load_b128 v[4:7], v2 offset:1136
	ds_load_b128 v[12:15], v2 offset:1152
	s_wait_loadcnt_dscnt 0x601
	v_mul_f64_e32 v[136:137], v[4:5], v[110:111]
	v_mul_f64_e32 v[110:111], v[6:7], v[110:111]
	v_add_f64_e32 v[10:11], v[96:97], v[100:101]
	v_add_f64_e32 v[96:97], v[102:103], v[148:149]
	s_wait_loadcnt_dscnt 0x500
	v_mul_f64_e32 v[100:101], v[12:13], v[114:115]
	v_mul_f64_e32 v[102:103], v[14:15], v[114:115]
	v_fmac_f64_e32 v[136:137], v[6:7], v[108:109]
	v_fma_f64 v[104:105], v[4:5], v[108:109], -v[110:111]
	v_add_f64_e32 v[106:107], v[10:11], v[8:9]
	v_add_f64_e32 v[96:97], v[96:97], v[98:99]
	ds_load_b128 v[4:7], v2 offset:1168
	ds_load_b128 v[8:11], v2 offset:1184
	v_fmac_f64_e32 v[100:101], v[14:15], v[112:113]
	v_fma_f64 v[12:13], v[12:13], v[112:113], -v[102:103]
	s_wait_loadcnt_dscnt 0x401
	v_mul_f64_e32 v[98:99], v[4:5], v[118:119]
	v_mul_f64_e32 v[108:109], v[6:7], v[118:119]
	s_wait_loadcnt_dscnt 0x300
	v_mul_f64_e32 v[102:103], v[8:9], v[122:123]
	v_add_f64_e32 v[14:15], v[106:107], v[104:105]
	v_add_f64_e32 v[96:97], v[96:97], v[136:137]
	v_mul_f64_e32 v[104:105], v[10:11], v[122:123]
	v_fmac_f64_e32 v[98:99], v[6:7], v[116:117]
	v_fma_f64 v[106:107], v[4:5], v[116:117], -v[108:109]
	v_fmac_f64_e32 v[102:103], v[10:11], v[120:121]
	v_add_f64_e32 v[108:109], v[14:15], v[12:13]
	v_add_f64_e32 v[96:97], v[96:97], v[100:101]
	ds_load_b128 v[4:7], v2 offset:1200
	ds_load_b128 v[12:15], v2 offset:1216
	v_fma_f64 v[8:9], v[8:9], v[120:121], -v[104:105]
	s_wait_loadcnt_dscnt 0x201
	v_mul_f64_e32 v[100:101], v[4:5], v[130:131]
	v_mul_f64_e32 v[110:111], v[6:7], v[130:131]
	s_wait_loadcnt_dscnt 0x100
	v_mul_f64_e32 v[104:105], v[14:15], v[142:143]
	v_add_f64_e32 v[10:11], v[108:109], v[106:107]
	v_add_f64_e32 v[96:97], v[96:97], v[98:99]
	v_mul_f64_e32 v[98:99], v[12:13], v[142:143]
	v_fmac_f64_e32 v[100:101], v[6:7], v[128:129]
	v_fma_f64 v[106:107], v[4:5], v[128:129], -v[110:111]
	ds_load_b128 v[4:7], v2 offset:1232
	v_fma_f64 v[12:13], v[12:13], v[140:141], -v[104:105]
	v_add_f64_e32 v[8:9], v[10:11], v[8:9]
	v_add_f64_e32 v[10:11], v[96:97], v[102:103]
	v_fmac_f64_e32 v[98:99], v[14:15], v[140:141]
	s_wait_loadcnt_dscnt 0x0
	v_mul_f64_e32 v[96:97], v[4:5], v[126:127]
	v_mul_f64_e32 v[102:103], v[6:7], v[126:127]
	v_add_f64_e32 v[8:9], v[8:9], v[106:107]
	v_add_f64_e32 v[10:11], v[10:11], v[100:101]
	s_delay_alu instid0(VALU_DEP_4) | instskip(NEXT) | instid1(VALU_DEP_4)
	v_fmac_f64_e32 v[96:97], v[6:7], v[124:125]
	v_fma_f64 v[4:5], v[4:5], v[124:125], -v[102:103]
	s_delay_alu instid0(VALU_DEP_4) | instskip(NEXT) | instid1(VALU_DEP_4)
	v_add_f64_e32 v[6:7], v[8:9], v[12:13]
	v_add_f64_e32 v[8:9], v[10:11], v[98:99]
	s_delay_alu instid0(VALU_DEP_2) | instskip(NEXT) | instid1(VALU_DEP_2)
	v_add_f64_e32 v[4:5], v[6:7], v[4:5]
	v_add_f64_e32 v[6:7], v[8:9], v[96:97]
	s_delay_alu instid0(VALU_DEP_2) | instskip(NEXT) | instid1(VALU_DEP_2)
	v_add_f64_e64 v[4:5], v[132:133], -v[4:5]
	v_add_f64_e64 v[6:7], v[134:135], -v[6:7]
	scratch_store_b128 off, v[4:7], off offset:208
	s_wait_xcnt 0x0
	v_cmpx_lt_u32_e32 12, v1
	s_cbranch_execz .LBB102_223
; %bb.222:
	scratch_load_b128 v[6:9], off, s43
	v_dual_mov_b32 v3, v2 :: v_dual_mov_b32 v4, v2
	v_mov_b32_e32 v5, v2
	scratch_store_b128 off, v[2:5], off offset:192
	s_wait_loadcnt 0x0
	ds_store_b128 v94, v[6:9]
.LBB102_223:
	s_wait_xcnt 0x0
	s_or_b32 exec_lo, exec_lo, s2
	s_wait_storecnt_dscnt 0x0
	s_barrier_signal -1
	s_barrier_wait -1
	s_clause 0x9
	scratch_load_b128 v[4:7], off, off offset:208
	scratch_load_b128 v[8:11], off, off offset:224
	;; [unrolled: 1-line block ×10, first 2 shown]
	ds_load_b128 v[124:127], v2 offset:832
	ds_load_b128 v[132:135], v2 offset:848
	s_clause 0x2
	scratch_load_b128 v[128:131], off, off offset:368
	scratch_load_b128 v[136:139], off, off offset:192
	;; [unrolled: 1-line block ×3, first 2 shown]
	s_mov_b32 s2, exec_lo
	s_wait_loadcnt_dscnt 0xc01
	v_mul_f64_e32 v[144:145], v[126:127], v[6:7]
	v_mul_f64_e32 v[148:149], v[124:125], v[6:7]
	s_wait_loadcnt_dscnt 0xb00
	v_mul_f64_e32 v[150:151], v[132:133], v[10:11]
	v_mul_f64_e32 v[10:11], v[134:135], v[10:11]
	s_delay_alu instid0(VALU_DEP_4) | instskip(NEXT) | instid1(VALU_DEP_4)
	v_fma_f64 v[152:153], v[124:125], v[4:5], -v[144:145]
	v_fmac_f64_e32 v[148:149], v[126:127], v[4:5]
	ds_load_b128 v[4:7], v2 offset:864
	ds_load_b128 v[124:127], v2 offset:880
	scratch_load_b128 v[144:147], off, off offset:400
	v_fmac_f64_e32 v[150:151], v[134:135], v[8:9]
	v_fma_f64 v[132:133], v[132:133], v[8:9], -v[10:11]
	scratch_load_b128 v[8:11], off, off offset:416
	s_wait_loadcnt_dscnt 0xc01
	v_mul_f64_e32 v[154:155], v[4:5], v[14:15]
	v_mul_f64_e32 v[14:15], v[6:7], v[14:15]
	v_add_f64_e32 v[134:135], 0, v[152:153]
	v_add_f64_e32 v[148:149], 0, v[148:149]
	s_wait_loadcnt_dscnt 0xb00
	v_mul_f64_e32 v[152:153], v[124:125], v[98:99]
	v_mul_f64_e32 v[98:99], v[126:127], v[98:99]
	v_fmac_f64_e32 v[154:155], v[6:7], v[12:13]
	v_fma_f64 v[156:157], v[4:5], v[12:13], -v[14:15]
	ds_load_b128 v[4:7], v2 offset:896
	ds_load_b128 v[12:15], v2 offset:912
	v_add_f64_e32 v[158:159], v[134:135], v[132:133]
	v_add_f64_e32 v[148:149], v[148:149], v[150:151]
	scratch_load_b128 v[132:135], off, off offset:432
	v_fmac_f64_e32 v[152:153], v[126:127], v[96:97]
	v_fma_f64 v[124:125], v[124:125], v[96:97], -v[98:99]
	scratch_load_b128 v[96:99], off, off offset:448
	s_wait_loadcnt_dscnt 0xc01
	v_mul_f64_e32 v[150:151], v[4:5], v[102:103]
	v_mul_f64_e32 v[102:103], v[6:7], v[102:103]
	v_add_f64_e32 v[126:127], v[158:159], v[156:157]
	v_add_f64_e32 v[148:149], v[148:149], v[154:155]
	s_wait_loadcnt_dscnt 0xb00
	v_mul_f64_e32 v[154:155], v[12:13], v[106:107]
	v_mul_f64_e32 v[106:107], v[14:15], v[106:107]
	v_fmac_f64_e32 v[150:151], v[6:7], v[100:101]
	v_fma_f64 v[156:157], v[4:5], v[100:101], -v[102:103]
	ds_load_b128 v[4:7], v2 offset:928
	ds_load_b128 v[100:103], v2 offset:944
	v_add_f64_e32 v[158:159], v[126:127], v[124:125]
	v_add_f64_e32 v[148:149], v[148:149], v[152:153]
	scratch_load_b128 v[124:127], off, off offset:464
	s_wait_loadcnt_dscnt 0xb01
	v_mul_f64_e32 v[152:153], v[4:5], v[110:111]
	v_mul_f64_e32 v[110:111], v[6:7], v[110:111]
	v_fmac_f64_e32 v[154:155], v[14:15], v[104:105]
	v_fma_f64 v[104:105], v[12:13], v[104:105], -v[106:107]
	scratch_load_b128 v[12:15], off, off offset:480
	v_add_f64_e32 v[106:107], v[158:159], v[156:157]
	v_add_f64_e32 v[148:149], v[148:149], v[150:151]
	s_wait_loadcnt_dscnt 0xb00
	v_mul_f64_e32 v[150:151], v[100:101], v[114:115]
	v_mul_f64_e32 v[114:115], v[102:103], v[114:115]
	v_fmac_f64_e32 v[152:153], v[6:7], v[108:109]
	v_fma_f64 v[156:157], v[4:5], v[108:109], -v[110:111]
	v_add_f64_e32 v[158:159], v[106:107], v[104:105]
	v_add_f64_e32 v[148:149], v[148:149], v[154:155]
	ds_load_b128 v[4:7], v2 offset:960
	ds_load_b128 v[104:107], v2 offset:976
	scratch_load_b128 v[108:111], off, off offset:496
	v_fmac_f64_e32 v[150:151], v[102:103], v[112:113]
	v_fma_f64 v[112:113], v[100:101], v[112:113], -v[114:115]
	scratch_load_b128 v[100:103], off, off offset:512
	s_wait_loadcnt_dscnt 0xc01
	v_mul_f64_e32 v[154:155], v[4:5], v[118:119]
	v_mul_f64_e32 v[118:119], v[6:7], v[118:119]
	v_add_f64_e32 v[114:115], v[158:159], v[156:157]
	v_add_f64_e32 v[148:149], v[148:149], v[152:153]
	s_wait_loadcnt_dscnt 0xb00
	v_mul_f64_e32 v[152:153], v[104:105], v[122:123]
	v_mul_f64_e32 v[122:123], v[106:107], v[122:123]
	v_fmac_f64_e32 v[154:155], v[6:7], v[116:117]
	v_fma_f64 v[156:157], v[4:5], v[116:117], -v[118:119]
	v_add_f64_e32 v[158:159], v[114:115], v[112:113]
	v_add_f64_e32 v[148:149], v[148:149], v[150:151]
	ds_load_b128 v[4:7], v2 offset:992
	ds_load_b128 v[112:115], v2 offset:1008
	scratch_load_b128 v[116:119], off, off offset:528
	v_fmac_f64_e32 v[152:153], v[106:107], v[120:121]
	v_fma_f64 v[120:121], v[104:105], v[120:121], -v[122:123]
	scratch_load_b128 v[104:107], off, off offset:544
	s_wait_loadcnt_dscnt 0xc01
	v_mul_f64_e32 v[150:151], v[4:5], v[130:131]
	v_mul_f64_e32 v[130:131], v[6:7], v[130:131]
	;; [unrolled: 18-line block ×4, first 2 shown]
	v_add_f64_e32 v[122:123], v[158:159], v[156:157]
	v_add_f64_e32 v[148:149], v[148:149], v[152:153]
	s_wait_loadcnt_dscnt 0xa00
	v_mul_f64_e32 v[152:153], v[140:141], v[98:99]
	v_mul_f64_e32 v[98:99], v[142:143], v[98:99]
	v_fmac_f64_e32 v[154:155], v[6:7], v[132:133]
	v_fma_f64 v[132:133], v[4:5], v[132:133], -v[134:135]
	v_add_f64_e32 v[134:135], v[122:123], v[120:121]
	v_add_f64_e32 v[148:149], v[148:149], v[150:151]
	ds_load_b128 v[4:7], v2 offset:1088
	ds_load_b128 v[120:123], v2 offset:1104
	v_fmac_f64_e32 v[152:153], v[142:143], v[96:97]
	v_fma_f64 v[96:97], v[140:141], v[96:97], -v[98:99]
	s_wait_loadcnt_dscnt 0x901
	v_mul_f64_e32 v[150:151], v[4:5], v[126:127]
	v_mul_f64_e32 v[126:127], v[6:7], v[126:127]
	v_add_f64_e32 v[98:99], v[134:135], v[132:133]
	v_add_f64_e32 v[132:133], v[148:149], v[154:155]
	s_wait_loadcnt_dscnt 0x800
	v_mul_f64_e32 v[134:135], v[120:121], v[14:15]
	v_mul_f64_e32 v[14:15], v[122:123], v[14:15]
	v_fmac_f64_e32 v[150:151], v[6:7], v[124:125]
	v_fma_f64 v[124:125], v[4:5], v[124:125], -v[126:127]
	v_add_f64_e32 v[126:127], v[98:99], v[96:97]
	v_add_f64_e32 v[132:133], v[132:133], v[152:153]
	ds_load_b128 v[4:7], v2 offset:1120
	ds_load_b128 v[96:99], v2 offset:1136
	v_fmac_f64_e32 v[134:135], v[122:123], v[12:13]
	v_fma_f64 v[12:13], v[120:121], v[12:13], -v[14:15]
	s_wait_loadcnt_dscnt 0x701
	v_mul_f64_e32 v[140:141], v[4:5], v[110:111]
	v_mul_f64_e32 v[110:111], v[6:7], v[110:111]
	s_wait_loadcnt_dscnt 0x600
	v_mul_f64_e32 v[122:123], v[96:97], v[102:103]
	v_mul_f64_e32 v[102:103], v[98:99], v[102:103]
	v_add_f64_e32 v[14:15], v[126:127], v[124:125]
	v_add_f64_e32 v[120:121], v[132:133], v[150:151]
	v_fmac_f64_e32 v[140:141], v[6:7], v[108:109]
	v_fma_f64 v[108:109], v[4:5], v[108:109], -v[110:111]
	v_fmac_f64_e32 v[122:123], v[98:99], v[100:101]
	v_fma_f64 v[96:97], v[96:97], v[100:101], -v[102:103]
	v_add_f64_e32 v[110:111], v[14:15], v[12:13]
	v_add_f64_e32 v[120:121], v[120:121], v[134:135]
	ds_load_b128 v[4:7], v2 offset:1152
	ds_load_b128 v[12:15], v2 offset:1168
	s_wait_loadcnt_dscnt 0x501
	v_mul_f64_e32 v[124:125], v[4:5], v[118:119]
	v_mul_f64_e32 v[118:119], v[6:7], v[118:119]
	s_wait_loadcnt_dscnt 0x400
	v_mul_f64_e32 v[102:103], v[12:13], v[106:107]
	v_mul_f64_e32 v[106:107], v[14:15], v[106:107]
	v_add_f64_e32 v[98:99], v[110:111], v[108:109]
	v_add_f64_e32 v[100:101], v[120:121], v[140:141]
	v_fmac_f64_e32 v[124:125], v[6:7], v[116:117]
	v_fma_f64 v[108:109], v[4:5], v[116:117], -v[118:119]
	v_fmac_f64_e32 v[102:103], v[14:15], v[104:105]
	v_fma_f64 v[12:13], v[12:13], v[104:105], -v[106:107]
	v_add_f64_e32 v[110:111], v[98:99], v[96:97]
	v_add_f64_e32 v[100:101], v[100:101], v[122:123]
	ds_load_b128 v[4:7], v2 offset:1184
	ds_load_b128 v[96:99], v2 offset:1200
	s_wait_loadcnt_dscnt 0x301
	v_mul_f64_e32 v[116:117], v[4:5], v[130:131]
	v_mul_f64_e32 v[118:119], v[6:7], v[130:131]
	s_wait_loadcnt_dscnt 0x200
	v_mul_f64_e32 v[104:105], v[96:97], v[114:115]
	v_mul_f64_e32 v[106:107], v[98:99], v[114:115]
	v_add_f64_e32 v[14:15], v[110:111], v[108:109]
	v_add_f64_e32 v[100:101], v[100:101], v[124:125]
	v_fmac_f64_e32 v[116:117], v[6:7], v[128:129]
	v_fma_f64 v[108:109], v[4:5], v[128:129], -v[118:119]
	v_fmac_f64_e32 v[104:105], v[98:99], v[112:113]
	v_fma_f64 v[96:97], v[96:97], v[112:113], -v[106:107]
	v_add_f64_e32 v[110:111], v[14:15], v[12:13]
	v_add_f64_e32 v[100:101], v[100:101], v[102:103]
	ds_load_b128 v[4:7], v2 offset:1216
	ds_load_b128 v[12:15], v2 offset:1232
	s_wait_loadcnt_dscnt 0x101
	v_mul_f64_e32 v[2:3], v[4:5], v[146:147]
	v_mul_f64_e32 v[102:103], v[6:7], v[146:147]
	s_wait_loadcnt_dscnt 0x0
	v_mul_f64_e32 v[106:107], v[12:13], v[10:11]
	v_mul_f64_e32 v[10:11], v[14:15], v[10:11]
	v_add_f64_e32 v[98:99], v[110:111], v[108:109]
	v_add_f64_e32 v[100:101], v[100:101], v[116:117]
	v_fmac_f64_e32 v[2:3], v[6:7], v[144:145]
	v_fma_f64 v[4:5], v[4:5], v[144:145], -v[102:103]
	v_fmac_f64_e32 v[106:107], v[14:15], v[8:9]
	v_fma_f64 v[8:9], v[12:13], v[8:9], -v[10:11]
	v_add_f64_e32 v[6:7], v[98:99], v[96:97]
	v_add_f64_e32 v[96:97], v[100:101], v[104:105]
	s_delay_alu instid0(VALU_DEP_2) | instskip(NEXT) | instid1(VALU_DEP_2)
	v_add_f64_e32 v[4:5], v[6:7], v[4:5]
	v_add_f64_e32 v[2:3], v[96:97], v[2:3]
	s_delay_alu instid0(VALU_DEP_2) | instskip(NEXT) | instid1(VALU_DEP_2)
	;; [unrolled: 3-line block ×3, first 2 shown]
	v_add_f64_e64 v[2:3], v[136:137], -v[4:5]
	v_add_f64_e64 v[4:5], v[138:139], -v[6:7]
	scratch_store_b128 off, v[2:5], off offset:192
	s_wait_xcnt 0x0
	v_cmpx_lt_u32_e32 11, v1
	s_cbranch_execz .LBB102_225
; %bb.224:
	scratch_load_b128 v[2:5], off, s44
	v_mov_b32_e32 v6, 0
	s_delay_alu instid0(VALU_DEP_1)
	v_dual_mov_b32 v7, v6 :: v_dual_mov_b32 v8, v6
	v_mov_b32_e32 v9, v6
	scratch_store_b128 off, v[6:9], off offset:176
	s_wait_loadcnt 0x0
	ds_store_b128 v94, v[2:5]
.LBB102_225:
	s_wait_xcnt 0x0
	s_or_b32 exec_lo, exec_lo, s2
	s_wait_storecnt_dscnt 0x0
	s_barrier_signal -1
	s_barrier_wait -1
	s_clause 0x9
	scratch_load_b128 v[4:7], off, off offset:192
	scratch_load_b128 v[8:11], off, off offset:208
	;; [unrolled: 1-line block ×10, first 2 shown]
	v_mov_b32_e32 v2, 0
	s_mov_b32 s2, exec_lo
	ds_load_b128 v[124:127], v2 offset:816
	s_clause 0x2
	scratch_load_b128 v[128:131], off, off offset:352
	scratch_load_b128 v[132:135], off, off offset:176
	;; [unrolled: 1-line block ×3, first 2 shown]
	s_wait_loadcnt_dscnt 0xc00
	v_mul_f64_e32 v[144:145], v[126:127], v[6:7]
	v_mul_f64_e32 v[148:149], v[124:125], v[6:7]
	ds_load_b128 v[136:139], v2 offset:832
	v_fma_f64 v[152:153], v[124:125], v[4:5], -v[144:145]
	v_fmac_f64_e32 v[148:149], v[126:127], v[4:5]
	ds_load_b128 v[4:7], v2 offset:848
	s_wait_loadcnt_dscnt 0xb01
	v_mul_f64_e32 v[150:151], v[136:137], v[10:11]
	v_mul_f64_e32 v[10:11], v[138:139], v[10:11]
	scratch_load_b128 v[124:127], off, off offset:384
	ds_load_b128 v[144:147], v2 offset:864
	s_wait_loadcnt_dscnt 0xb01
	v_mul_f64_e32 v[154:155], v[4:5], v[14:15]
	v_mul_f64_e32 v[14:15], v[6:7], v[14:15]
	v_add_f64_e32 v[148:149], 0, v[148:149]
	v_fmac_f64_e32 v[150:151], v[138:139], v[8:9]
	v_fma_f64 v[136:137], v[136:137], v[8:9], -v[10:11]
	v_add_f64_e32 v[138:139], 0, v[152:153]
	scratch_load_b128 v[8:11], off, off offset:400
	v_fmac_f64_e32 v[154:155], v[6:7], v[12:13]
	v_fma_f64 v[156:157], v[4:5], v[12:13], -v[14:15]
	ds_load_b128 v[4:7], v2 offset:880
	s_wait_loadcnt_dscnt 0xb01
	v_mul_f64_e32 v[152:153], v[144:145], v[98:99]
	v_mul_f64_e32 v[98:99], v[146:147], v[98:99]
	scratch_load_b128 v[12:15], off, off offset:416
	v_add_f64_e32 v[148:149], v[148:149], v[150:151]
	v_add_f64_e32 v[158:159], v[138:139], v[136:137]
	ds_load_b128 v[136:139], v2 offset:896
	s_wait_loadcnt_dscnt 0xb01
	v_mul_f64_e32 v[150:151], v[4:5], v[102:103]
	v_mul_f64_e32 v[102:103], v[6:7], v[102:103]
	v_fmac_f64_e32 v[152:153], v[146:147], v[96:97]
	v_fma_f64 v[144:145], v[144:145], v[96:97], -v[98:99]
	scratch_load_b128 v[96:99], off, off offset:432
	v_add_f64_e32 v[148:149], v[148:149], v[154:155]
	v_add_f64_e32 v[146:147], v[158:159], v[156:157]
	v_fmac_f64_e32 v[150:151], v[6:7], v[100:101]
	v_fma_f64 v[156:157], v[4:5], v[100:101], -v[102:103]
	ds_load_b128 v[4:7], v2 offset:912
	s_wait_loadcnt_dscnt 0xb01
	v_mul_f64_e32 v[154:155], v[136:137], v[106:107]
	v_mul_f64_e32 v[106:107], v[138:139], v[106:107]
	scratch_load_b128 v[100:103], off, off offset:448
	v_add_f64_e32 v[148:149], v[148:149], v[152:153]
	s_wait_loadcnt_dscnt 0xb00
	v_mul_f64_e32 v[152:153], v[4:5], v[110:111]
	v_add_f64_e32 v[158:159], v[146:147], v[144:145]
	v_mul_f64_e32 v[110:111], v[6:7], v[110:111]
	ds_load_b128 v[144:147], v2 offset:928
	v_fmac_f64_e32 v[154:155], v[138:139], v[104:105]
	v_fma_f64 v[136:137], v[136:137], v[104:105], -v[106:107]
	scratch_load_b128 v[104:107], off, off offset:464
	v_add_f64_e32 v[148:149], v[148:149], v[150:151]
	v_fmac_f64_e32 v[152:153], v[6:7], v[108:109]
	v_add_f64_e32 v[138:139], v[158:159], v[156:157]
	v_fma_f64 v[156:157], v[4:5], v[108:109], -v[110:111]
	ds_load_b128 v[4:7], v2 offset:944
	s_wait_loadcnt_dscnt 0xb01
	v_mul_f64_e32 v[150:151], v[144:145], v[114:115]
	v_mul_f64_e32 v[114:115], v[146:147], v[114:115]
	scratch_load_b128 v[108:111], off, off offset:480
	v_add_f64_e32 v[148:149], v[148:149], v[154:155]
	s_wait_loadcnt_dscnt 0xb00
	v_mul_f64_e32 v[154:155], v[4:5], v[118:119]
	v_add_f64_e32 v[158:159], v[138:139], v[136:137]
	v_mul_f64_e32 v[118:119], v[6:7], v[118:119]
	ds_load_b128 v[136:139], v2 offset:960
	v_fmac_f64_e32 v[150:151], v[146:147], v[112:113]
	v_fma_f64 v[144:145], v[144:145], v[112:113], -v[114:115]
	scratch_load_b128 v[112:115], off, off offset:496
	v_add_f64_e32 v[148:149], v[148:149], v[152:153]
	v_fmac_f64_e32 v[154:155], v[6:7], v[116:117]
	v_add_f64_e32 v[146:147], v[158:159], v[156:157]
	;; [unrolled: 18-line block ×3, first 2 shown]
	v_fma_f64 v[156:157], v[4:5], v[128:129], -v[130:131]
	ds_load_b128 v[4:7], v2 offset:1008
	s_wait_loadcnt_dscnt 0xa01
	v_mul_f64_e32 v[154:155], v[144:145], v[142:143]
	v_mul_f64_e32 v[142:143], v[146:147], v[142:143]
	scratch_load_b128 v[128:131], off, off offset:544
	v_add_f64_e32 v[148:149], v[148:149], v[152:153]
	v_add_f64_e32 v[158:159], v[138:139], v[136:137]
	s_wait_loadcnt_dscnt 0xa00
	v_mul_f64_e32 v[152:153], v[4:5], v[126:127]
	v_mul_f64_e32 v[126:127], v[6:7], v[126:127]
	v_fmac_f64_e32 v[154:155], v[146:147], v[140:141]
	v_fma_f64 v[144:145], v[144:145], v[140:141], -v[142:143]
	ds_load_b128 v[136:139], v2 offset:1024
	scratch_load_b128 v[140:143], off, off offset:560
	v_add_f64_e32 v[148:149], v[148:149], v[150:151]
	v_add_f64_e32 v[146:147], v[158:159], v[156:157]
	v_fmac_f64_e32 v[152:153], v[6:7], v[124:125]
	v_fma_f64 v[156:157], v[4:5], v[124:125], -v[126:127]
	ds_load_b128 v[4:7], v2 offset:1040
	s_wait_loadcnt_dscnt 0xa01
	v_mul_f64_e32 v[150:151], v[136:137], v[10:11]
	v_mul_f64_e32 v[10:11], v[138:139], v[10:11]
	scratch_load_b128 v[124:127], off, off offset:576
	v_add_f64_e32 v[148:149], v[148:149], v[154:155]
	s_wait_loadcnt_dscnt 0xa00
	v_mul_f64_e32 v[154:155], v[4:5], v[14:15]
	v_add_f64_e32 v[158:159], v[146:147], v[144:145]
	v_mul_f64_e32 v[14:15], v[6:7], v[14:15]
	ds_load_b128 v[144:147], v2 offset:1056
	v_fmac_f64_e32 v[150:151], v[138:139], v[8:9]
	v_fma_f64 v[136:137], v[136:137], v[8:9], -v[10:11]
	scratch_load_b128 v[8:11], off, off offset:592
	v_add_f64_e32 v[148:149], v[148:149], v[152:153]
	v_fmac_f64_e32 v[154:155], v[6:7], v[12:13]
	v_add_f64_e32 v[138:139], v[158:159], v[156:157]
	v_fma_f64 v[156:157], v[4:5], v[12:13], -v[14:15]
	ds_load_b128 v[4:7], v2 offset:1072
	s_wait_loadcnt_dscnt 0xa01
	v_mul_f64_e32 v[152:153], v[144:145], v[98:99]
	v_mul_f64_e32 v[98:99], v[146:147], v[98:99]
	scratch_load_b128 v[12:15], off, off offset:608
	v_add_f64_e32 v[148:149], v[148:149], v[150:151]
	s_wait_loadcnt_dscnt 0xa00
	v_mul_f64_e32 v[150:151], v[4:5], v[102:103]
	v_add_f64_e32 v[158:159], v[138:139], v[136:137]
	v_mul_f64_e32 v[102:103], v[6:7], v[102:103]
	ds_load_b128 v[136:139], v2 offset:1088
	v_fmac_f64_e32 v[152:153], v[146:147], v[96:97]
	v_fma_f64 v[96:97], v[144:145], v[96:97], -v[98:99]
	s_wait_loadcnt_dscnt 0x900
	v_mul_f64_e32 v[146:147], v[136:137], v[106:107]
	v_mul_f64_e32 v[106:107], v[138:139], v[106:107]
	v_add_f64_e32 v[144:145], v[148:149], v[154:155]
	v_fmac_f64_e32 v[150:151], v[6:7], v[100:101]
	v_add_f64_e32 v[98:99], v[158:159], v[156:157]
	v_fma_f64 v[100:101], v[4:5], v[100:101], -v[102:103]
	v_fmac_f64_e32 v[146:147], v[138:139], v[104:105]
	v_fma_f64 v[104:105], v[136:137], v[104:105], -v[106:107]
	v_add_f64_e32 v[144:145], v[144:145], v[152:153]
	v_add_f64_e32 v[102:103], v[98:99], v[96:97]
	ds_load_b128 v[4:7], v2 offset:1104
	ds_load_b128 v[96:99], v2 offset:1120
	s_wait_loadcnt_dscnt 0x801
	v_mul_f64_e32 v[148:149], v[4:5], v[110:111]
	v_mul_f64_e32 v[110:111], v[6:7], v[110:111]
	s_wait_loadcnt_dscnt 0x700
	v_mul_f64_e32 v[106:107], v[96:97], v[114:115]
	v_mul_f64_e32 v[114:115], v[98:99], v[114:115]
	v_add_f64_e32 v[100:101], v[102:103], v[100:101]
	v_add_f64_e32 v[102:103], v[144:145], v[150:151]
	v_fmac_f64_e32 v[148:149], v[6:7], v[108:109]
	v_fma_f64 v[108:109], v[4:5], v[108:109], -v[110:111]
	v_fmac_f64_e32 v[106:107], v[98:99], v[112:113]
	v_fma_f64 v[96:97], v[96:97], v[112:113], -v[114:115]
	v_add_f64_e32 v[104:105], v[100:101], v[104:105]
	v_add_f64_e32 v[110:111], v[102:103], v[146:147]
	ds_load_b128 v[4:7], v2 offset:1136
	ds_load_b128 v[100:103], v2 offset:1152
	s_wait_loadcnt_dscnt 0x601
	v_mul_f64_e32 v[136:137], v[4:5], v[118:119]
	v_mul_f64_e32 v[118:119], v[6:7], v[118:119]
	v_add_f64_e32 v[98:99], v[104:105], v[108:109]
	v_add_f64_e32 v[104:105], v[110:111], v[148:149]
	s_wait_loadcnt_dscnt 0x500
	v_mul_f64_e32 v[108:109], v[100:101], v[122:123]
	v_mul_f64_e32 v[110:111], v[102:103], v[122:123]
	v_fmac_f64_e32 v[136:137], v[6:7], v[116:117]
	v_fma_f64 v[112:113], v[4:5], v[116:117], -v[118:119]
	v_add_f64_e32 v[114:115], v[98:99], v[96:97]
	v_add_f64_e32 v[104:105], v[104:105], v[106:107]
	ds_load_b128 v[4:7], v2 offset:1168
	ds_load_b128 v[96:99], v2 offset:1184
	v_fmac_f64_e32 v[108:109], v[102:103], v[120:121]
	v_fma_f64 v[100:101], v[100:101], v[120:121], -v[110:111]
	s_wait_loadcnt_dscnt 0x401
	v_mul_f64_e32 v[106:107], v[4:5], v[130:131]
	v_mul_f64_e32 v[116:117], v[6:7], v[130:131]
	s_wait_loadcnt_dscnt 0x300
	v_mul_f64_e32 v[110:111], v[96:97], v[142:143]
	v_add_f64_e32 v[102:103], v[114:115], v[112:113]
	v_add_f64_e32 v[104:105], v[104:105], v[136:137]
	v_mul_f64_e32 v[112:113], v[98:99], v[142:143]
	v_fmac_f64_e32 v[106:107], v[6:7], v[128:129]
	v_fma_f64 v[114:115], v[4:5], v[128:129], -v[116:117]
	v_fmac_f64_e32 v[110:111], v[98:99], v[140:141]
	v_add_f64_e32 v[116:117], v[102:103], v[100:101]
	v_add_f64_e32 v[104:105], v[104:105], v[108:109]
	ds_load_b128 v[4:7], v2 offset:1200
	ds_load_b128 v[100:103], v2 offset:1216
	v_fma_f64 v[96:97], v[96:97], v[140:141], -v[112:113]
	s_wait_loadcnt_dscnt 0x201
	v_mul_f64_e32 v[108:109], v[4:5], v[126:127]
	v_mul_f64_e32 v[118:119], v[6:7], v[126:127]
	v_add_f64_e32 v[98:99], v[116:117], v[114:115]
	v_add_f64_e32 v[104:105], v[104:105], v[106:107]
	s_wait_loadcnt_dscnt 0x100
	v_mul_f64_e32 v[106:107], v[100:101], v[10:11]
	v_mul_f64_e32 v[10:11], v[102:103], v[10:11]
	v_fmac_f64_e32 v[108:109], v[6:7], v[124:125]
	v_fma_f64 v[112:113], v[4:5], v[124:125], -v[118:119]
	ds_load_b128 v[4:7], v2 offset:1232
	v_add_f64_e32 v[96:97], v[98:99], v[96:97]
	v_add_f64_e32 v[98:99], v[104:105], v[110:111]
	v_fmac_f64_e32 v[106:107], v[102:103], v[8:9]
	v_fma_f64 v[8:9], v[100:101], v[8:9], -v[10:11]
	s_wait_loadcnt_dscnt 0x0
	v_mul_f64_e32 v[104:105], v[4:5], v[14:15]
	v_mul_f64_e32 v[14:15], v[6:7], v[14:15]
	v_add_f64_e32 v[10:11], v[96:97], v[112:113]
	v_add_f64_e32 v[96:97], v[98:99], v[108:109]
	s_delay_alu instid0(VALU_DEP_4) | instskip(NEXT) | instid1(VALU_DEP_4)
	v_fmac_f64_e32 v[104:105], v[6:7], v[12:13]
	v_fma_f64 v[4:5], v[4:5], v[12:13], -v[14:15]
	s_delay_alu instid0(VALU_DEP_4) | instskip(NEXT) | instid1(VALU_DEP_4)
	v_add_f64_e32 v[6:7], v[10:11], v[8:9]
	v_add_f64_e32 v[8:9], v[96:97], v[106:107]
	s_delay_alu instid0(VALU_DEP_2) | instskip(NEXT) | instid1(VALU_DEP_2)
	v_add_f64_e32 v[4:5], v[6:7], v[4:5]
	v_add_f64_e32 v[6:7], v[8:9], v[104:105]
	s_delay_alu instid0(VALU_DEP_2) | instskip(NEXT) | instid1(VALU_DEP_2)
	v_add_f64_e64 v[4:5], v[132:133], -v[4:5]
	v_add_f64_e64 v[6:7], v[134:135], -v[6:7]
	scratch_store_b128 off, v[4:7], off offset:176
	s_wait_xcnt 0x0
	v_cmpx_lt_u32_e32 10, v1
	s_cbranch_execz .LBB102_227
; %bb.226:
	scratch_load_b128 v[6:9], off, s45
	v_dual_mov_b32 v3, v2 :: v_dual_mov_b32 v4, v2
	v_mov_b32_e32 v5, v2
	scratch_store_b128 off, v[2:5], off offset:160
	s_wait_loadcnt 0x0
	ds_store_b128 v94, v[6:9]
.LBB102_227:
	s_wait_xcnt 0x0
	s_or_b32 exec_lo, exec_lo, s2
	s_wait_storecnt_dscnt 0x0
	s_barrier_signal -1
	s_barrier_wait -1
	s_clause 0x9
	scratch_load_b128 v[4:7], off, off offset:176
	scratch_load_b128 v[8:11], off, off offset:192
	;; [unrolled: 1-line block ×10, first 2 shown]
	ds_load_b128 v[124:127], v2 offset:800
	ds_load_b128 v[132:135], v2 offset:816
	s_clause 0x2
	scratch_load_b128 v[128:131], off, off offset:336
	scratch_load_b128 v[136:139], off, off offset:160
	;; [unrolled: 1-line block ×3, first 2 shown]
	s_mov_b32 s2, exec_lo
	s_wait_loadcnt_dscnt 0xc01
	v_mul_f64_e32 v[144:145], v[126:127], v[6:7]
	v_mul_f64_e32 v[148:149], v[124:125], v[6:7]
	s_wait_loadcnt_dscnt 0xb00
	v_mul_f64_e32 v[150:151], v[132:133], v[10:11]
	v_mul_f64_e32 v[10:11], v[134:135], v[10:11]
	s_delay_alu instid0(VALU_DEP_4) | instskip(NEXT) | instid1(VALU_DEP_4)
	v_fma_f64 v[152:153], v[124:125], v[4:5], -v[144:145]
	v_fmac_f64_e32 v[148:149], v[126:127], v[4:5]
	ds_load_b128 v[4:7], v2 offset:832
	ds_load_b128 v[124:127], v2 offset:848
	scratch_load_b128 v[144:147], off, off offset:368
	v_fmac_f64_e32 v[150:151], v[134:135], v[8:9]
	v_fma_f64 v[132:133], v[132:133], v[8:9], -v[10:11]
	scratch_load_b128 v[8:11], off, off offset:384
	s_wait_loadcnt_dscnt 0xc01
	v_mul_f64_e32 v[154:155], v[4:5], v[14:15]
	v_mul_f64_e32 v[14:15], v[6:7], v[14:15]
	v_add_f64_e32 v[134:135], 0, v[152:153]
	v_add_f64_e32 v[148:149], 0, v[148:149]
	s_wait_loadcnt_dscnt 0xb00
	v_mul_f64_e32 v[152:153], v[124:125], v[98:99]
	v_mul_f64_e32 v[98:99], v[126:127], v[98:99]
	v_fmac_f64_e32 v[154:155], v[6:7], v[12:13]
	v_fma_f64 v[156:157], v[4:5], v[12:13], -v[14:15]
	ds_load_b128 v[4:7], v2 offset:864
	ds_load_b128 v[12:15], v2 offset:880
	v_add_f64_e32 v[158:159], v[134:135], v[132:133]
	v_add_f64_e32 v[148:149], v[148:149], v[150:151]
	scratch_load_b128 v[132:135], off, off offset:400
	v_fmac_f64_e32 v[152:153], v[126:127], v[96:97]
	v_fma_f64 v[124:125], v[124:125], v[96:97], -v[98:99]
	scratch_load_b128 v[96:99], off, off offset:416
	s_wait_loadcnt_dscnt 0xc01
	v_mul_f64_e32 v[150:151], v[4:5], v[102:103]
	v_mul_f64_e32 v[102:103], v[6:7], v[102:103]
	v_add_f64_e32 v[126:127], v[158:159], v[156:157]
	v_add_f64_e32 v[148:149], v[148:149], v[154:155]
	s_wait_loadcnt_dscnt 0xb00
	v_mul_f64_e32 v[154:155], v[12:13], v[106:107]
	v_mul_f64_e32 v[106:107], v[14:15], v[106:107]
	v_fmac_f64_e32 v[150:151], v[6:7], v[100:101]
	v_fma_f64 v[156:157], v[4:5], v[100:101], -v[102:103]
	ds_load_b128 v[4:7], v2 offset:896
	ds_load_b128 v[100:103], v2 offset:912
	v_add_f64_e32 v[158:159], v[126:127], v[124:125]
	v_add_f64_e32 v[148:149], v[148:149], v[152:153]
	scratch_load_b128 v[124:127], off, off offset:432
	s_wait_loadcnt_dscnt 0xb01
	v_mul_f64_e32 v[152:153], v[4:5], v[110:111]
	v_mul_f64_e32 v[110:111], v[6:7], v[110:111]
	v_fmac_f64_e32 v[154:155], v[14:15], v[104:105]
	v_fma_f64 v[104:105], v[12:13], v[104:105], -v[106:107]
	scratch_load_b128 v[12:15], off, off offset:448
	v_add_f64_e32 v[106:107], v[158:159], v[156:157]
	v_add_f64_e32 v[148:149], v[148:149], v[150:151]
	s_wait_loadcnt_dscnt 0xb00
	v_mul_f64_e32 v[150:151], v[100:101], v[114:115]
	v_mul_f64_e32 v[114:115], v[102:103], v[114:115]
	v_fmac_f64_e32 v[152:153], v[6:7], v[108:109]
	v_fma_f64 v[156:157], v[4:5], v[108:109], -v[110:111]
	v_add_f64_e32 v[158:159], v[106:107], v[104:105]
	v_add_f64_e32 v[148:149], v[148:149], v[154:155]
	ds_load_b128 v[4:7], v2 offset:928
	ds_load_b128 v[104:107], v2 offset:944
	scratch_load_b128 v[108:111], off, off offset:464
	v_fmac_f64_e32 v[150:151], v[102:103], v[112:113]
	v_fma_f64 v[112:113], v[100:101], v[112:113], -v[114:115]
	scratch_load_b128 v[100:103], off, off offset:480
	s_wait_loadcnt_dscnt 0xc01
	v_mul_f64_e32 v[154:155], v[4:5], v[118:119]
	v_mul_f64_e32 v[118:119], v[6:7], v[118:119]
	v_add_f64_e32 v[114:115], v[158:159], v[156:157]
	v_add_f64_e32 v[148:149], v[148:149], v[152:153]
	s_wait_loadcnt_dscnt 0xb00
	v_mul_f64_e32 v[152:153], v[104:105], v[122:123]
	v_mul_f64_e32 v[122:123], v[106:107], v[122:123]
	v_fmac_f64_e32 v[154:155], v[6:7], v[116:117]
	v_fma_f64 v[156:157], v[4:5], v[116:117], -v[118:119]
	v_add_f64_e32 v[158:159], v[114:115], v[112:113]
	v_add_f64_e32 v[148:149], v[148:149], v[150:151]
	ds_load_b128 v[4:7], v2 offset:960
	ds_load_b128 v[112:115], v2 offset:976
	scratch_load_b128 v[116:119], off, off offset:496
	v_fmac_f64_e32 v[152:153], v[106:107], v[120:121]
	v_fma_f64 v[120:121], v[104:105], v[120:121], -v[122:123]
	scratch_load_b128 v[104:107], off, off offset:512
	s_wait_loadcnt_dscnt 0xc01
	v_mul_f64_e32 v[150:151], v[4:5], v[130:131]
	v_mul_f64_e32 v[130:131], v[6:7], v[130:131]
	;; [unrolled: 18-line block ×5, first 2 shown]
	v_add_f64_e32 v[142:143], v[158:159], v[156:157]
	v_add_f64_e32 v[148:149], v[148:149], v[154:155]
	s_wait_loadcnt_dscnt 0xa00
	v_mul_f64_e32 v[154:155], v[120:121], v[14:15]
	v_mul_f64_e32 v[14:15], v[122:123], v[14:15]
	v_fmac_f64_e32 v[150:151], v[6:7], v[124:125]
	v_fma_f64 v[156:157], v[4:5], v[124:125], -v[126:127]
	ds_load_b128 v[4:7], v2 offset:1088
	ds_load_b128 v[124:127], v2 offset:1104
	v_add_f64_e32 v[140:141], v[142:143], v[140:141]
	v_add_f64_e32 v[142:143], v[148:149], v[152:153]
	v_fmac_f64_e32 v[154:155], v[122:123], v[12:13]
	v_fma_f64 v[12:13], v[120:121], v[12:13], -v[14:15]
	s_wait_loadcnt_dscnt 0x901
	v_mul_f64_e32 v[148:149], v[4:5], v[110:111]
	v_mul_f64_e32 v[110:111], v[6:7], v[110:111]
	s_wait_loadcnt_dscnt 0x800
	v_mul_f64_e32 v[122:123], v[124:125], v[102:103]
	v_mul_f64_e32 v[102:103], v[126:127], v[102:103]
	v_add_f64_e32 v[14:15], v[140:141], v[156:157]
	v_add_f64_e32 v[120:121], v[142:143], v[150:151]
	v_fmac_f64_e32 v[148:149], v[6:7], v[108:109]
	v_fma_f64 v[108:109], v[4:5], v[108:109], -v[110:111]
	v_fmac_f64_e32 v[122:123], v[126:127], v[100:101]
	v_fma_f64 v[100:101], v[124:125], v[100:101], -v[102:103]
	v_add_f64_e32 v[110:111], v[14:15], v[12:13]
	v_add_f64_e32 v[120:121], v[120:121], v[154:155]
	ds_load_b128 v[4:7], v2 offset:1120
	ds_load_b128 v[12:15], v2 offset:1136
	s_wait_loadcnt_dscnt 0x701
	v_mul_f64_e32 v[140:141], v[4:5], v[118:119]
	v_mul_f64_e32 v[118:119], v[6:7], v[118:119]
	v_add_f64_e32 v[102:103], v[110:111], v[108:109]
	v_add_f64_e32 v[108:109], v[120:121], v[148:149]
	s_wait_loadcnt_dscnt 0x600
	v_mul_f64_e32 v[110:111], v[12:13], v[106:107]
	v_mul_f64_e32 v[106:107], v[14:15], v[106:107]
	v_fmac_f64_e32 v[140:141], v[6:7], v[116:117]
	v_fma_f64 v[116:117], v[4:5], v[116:117], -v[118:119]
	v_add_f64_e32 v[118:119], v[102:103], v[100:101]
	v_add_f64_e32 v[108:109], v[108:109], v[122:123]
	ds_load_b128 v[4:7], v2 offset:1152
	ds_load_b128 v[100:103], v2 offset:1168
	v_fmac_f64_e32 v[110:111], v[14:15], v[104:105]
	v_fma_f64 v[12:13], v[12:13], v[104:105], -v[106:107]
	s_wait_loadcnt_dscnt 0x501
	v_mul_f64_e32 v[120:121], v[4:5], v[130:131]
	v_mul_f64_e32 v[122:123], v[6:7], v[130:131]
	s_wait_loadcnt_dscnt 0x400
	v_mul_f64_e32 v[106:107], v[100:101], v[114:115]
	v_add_f64_e32 v[14:15], v[118:119], v[116:117]
	v_add_f64_e32 v[104:105], v[108:109], v[140:141]
	v_mul_f64_e32 v[108:109], v[102:103], v[114:115]
	v_fmac_f64_e32 v[120:121], v[6:7], v[128:129]
	v_fma_f64 v[114:115], v[4:5], v[128:129], -v[122:123]
	v_fmac_f64_e32 v[106:107], v[102:103], v[112:113]
	v_add_f64_e32 v[116:117], v[14:15], v[12:13]
	v_add_f64_e32 v[104:105], v[104:105], v[110:111]
	ds_load_b128 v[4:7], v2 offset:1184
	ds_load_b128 v[12:15], v2 offset:1200
	v_fma_f64 v[100:101], v[100:101], v[112:113], -v[108:109]
	s_wait_loadcnt_dscnt 0x301
	v_mul_f64_e32 v[110:111], v[4:5], v[146:147]
	v_mul_f64_e32 v[118:119], v[6:7], v[146:147]
	s_wait_loadcnt_dscnt 0x200
	v_mul_f64_e32 v[108:109], v[12:13], v[10:11]
	v_mul_f64_e32 v[10:11], v[14:15], v[10:11]
	v_add_f64_e32 v[102:103], v[116:117], v[114:115]
	v_add_f64_e32 v[104:105], v[104:105], v[120:121]
	v_fmac_f64_e32 v[110:111], v[6:7], v[144:145]
	v_fma_f64 v[112:113], v[4:5], v[144:145], -v[118:119]
	v_fmac_f64_e32 v[108:109], v[14:15], v[8:9]
	v_fma_f64 v[8:9], v[12:13], v[8:9], -v[10:11]
	v_add_f64_e32 v[114:115], v[102:103], v[100:101]
	v_add_f64_e32 v[104:105], v[104:105], v[106:107]
	ds_load_b128 v[4:7], v2 offset:1216
	ds_load_b128 v[100:103], v2 offset:1232
	s_wait_loadcnt_dscnt 0x101
	v_mul_f64_e32 v[2:3], v[4:5], v[134:135]
	v_mul_f64_e32 v[106:107], v[6:7], v[134:135]
	s_wait_loadcnt_dscnt 0x0
	v_mul_f64_e32 v[14:15], v[100:101], v[98:99]
	v_mul_f64_e32 v[98:99], v[102:103], v[98:99]
	v_add_f64_e32 v[10:11], v[114:115], v[112:113]
	v_add_f64_e32 v[12:13], v[104:105], v[110:111]
	v_fmac_f64_e32 v[2:3], v[6:7], v[132:133]
	v_fma_f64 v[4:5], v[4:5], v[132:133], -v[106:107]
	v_fmac_f64_e32 v[14:15], v[102:103], v[96:97]
	v_add_f64_e32 v[6:7], v[10:11], v[8:9]
	v_add_f64_e32 v[8:9], v[12:13], v[108:109]
	v_fma_f64 v[10:11], v[100:101], v[96:97], -v[98:99]
	s_delay_alu instid0(VALU_DEP_3) | instskip(NEXT) | instid1(VALU_DEP_3)
	v_add_f64_e32 v[4:5], v[6:7], v[4:5]
	v_add_f64_e32 v[2:3], v[8:9], v[2:3]
	s_delay_alu instid0(VALU_DEP_2) | instskip(NEXT) | instid1(VALU_DEP_2)
	v_add_f64_e32 v[4:5], v[4:5], v[10:11]
	v_add_f64_e32 v[6:7], v[2:3], v[14:15]
	s_delay_alu instid0(VALU_DEP_2) | instskip(NEXT) | instid1(VALU_DEP_2)
	v_add_f64_e64 v[2:3], v[136:137], -v[4:5]
	v_add_f64_e64 v[4:5], v[138:139], -v[6:7]
	scratch_store_b128 off, v[2:5], off offset:160
	s_wait_xcnt 0x0
	v_cmpx_lt_u32_e32 9, v1
	s_cbranch_execz .LBB102_229
; %bb.228:
	scratch_load_b128 v[2:5], off, s46
	v_mov_b32_e32 v6, 0
	s_delay_alu instid0(VALU_DEP_1)
	v_dual_mov_b32 v7, v6 :: v_dual_mov_b32 v8, v6
	v_mov_b32_e32 v9, v6
	scratch_store_b128 off, v[6:9], off offset:144
	s_wait_loadcnt 0x0
	ds_store_b128 v94, v[2:5]
.LBB102_229:
	s_wait_xcnt 0x0
	s_or_b32 exec_lo, exec_lo, s2
	s_wait_storecnt_dscnt 0x0
	s_barrier_signal -1
	s_barrier_wait -1
	s_clause 0x9
	scratch_load_b128 v[4:7], off, off offset:160
	scratch_load_b128 v[8:11], off, off offset:176
	;; [unrolled: 1-line block ×10, first 2 shown]
	v_mov_b32_e32 v2, 0
	s_mov_b32 s2, exec_lo
	ds_load_b128 v[124:127], v2 offset:784
	s_clause 0x2
	scratch_load_b128 v[128:131], off, off offset:320
	scratch_load_b128 v[132:135], off, off offset:144
	;; [unrolled: 1-line block ×3, first 2 shown]
	s_wait_loadcnt_dscnt 0xc00
	v_mul_f64_e32 v[144:145], v[126:127], v[6:7]
	v_mul_f64_e32 v[148:149], v[124:125], v[6:7]
	ds_load_b128 v[136:139], v2 offset:800
	v_fma_f64 v[152:153], v[124:125], v[4:5], -v[144:145]
	v_fmac_f64_e32 v[148:149], v[126:127], v[4:5]
	ds_load_b128 v[4:7], v2 offset:816
	s_wait_loadcnt_dscnt 0xb01
	v_mul_f64_e32 v[150:151], v[136:137], v[10:11]
	v_mul_f64_e32 v[10:11], v[138:139], v[10:11]
	scratch_load_b128 v[124:127], off, off offset:352
	ds_load_b128 v[144:147], v2 offset:832
	s_wait_loadcnt_dscnt 0xb01
	v_mul_f64_e32 v[154:155], v[4:5], v[14:15]
	v_mul_f64_e32 v[14:15], v[6:7], v[14:15]
	v_add_f64_e32 v[148:149], 0, v[148:149]
	v_fmac_f64_e32 v[150:151], v[138:139], v[8:9]
	v_fma_f64 v[136:137], v[136:137], v[8:9], -v[10:11]
	v_add_f64_e32 v[138:139], 0, v[152:153]
	scratch_load_b128 v[8:11], off, off offset:368
	v_fmac_f64_e32 v[154:155], v[6:7], v[12:13]
	v_fma_f64 v[156:157], v[4:5], v[12:13], -v[14:15]
	ds_load_b128 v[4:7], v2 offset:848
	s_wait_loadcnt_dscnt 0xb01
	v_mul_f64_e32 v[152:153], v[144:145], v[98:99]
	v_mul_f64_e32 v[98:99], v[146:147], v[98:99]
	scratch_load_b128 v[12:15], off, off offset:384
	v_add_f64_e32 v[148:149], v[148:149], v[150:151]
	v_add_f64_e32 v[158:159], v[138:139], v[136:137]
	ds_load_b128 v[136:139], v2 offset:864
	s_wait_loadcnt_dscnt 0xb01
	v_mul_f64_e32 v[150:151], v[4:5], v[102:103]
	v_mul_f64_e32 v[102:103], v[6:7], v[102:103]
	v_fmac_f64_e32 v[152:153], v[146:147], v[96:97]
	v_fma_f64 v[144:145], v[144:145], v[96:97], -v[98:99]
	scratch_load_b128 v[96:99], off, off offset:400
	v_add_f64_e32 v[148:149], v[148:149], v[154:155]
	v_add_f64_e32 v[146:147], v[158:159], v[156:157]
	v_fmac_f64_e32 v[150:151], v[6:7], v[100:101]
	v_fma_f64 v[156:157], v[4:5], v[100:101], -v[102:103]
	ds_load_b128 v[4:7], v2 offset:880
	s_wait_loadcnt_dscnt 0xb01
	v_mul_f64_e32 v[154:155], v[136:137], v[106:107]
	v_mul_f64_e32 v[106:107], v[138:139], v[106:107]
	scratch_load_b128 v[100:103], off, off offset:416
	v_add_f64_e32 v[148:149], v[148:149], v[152:153]
	s_wait_loadcnt_dscnt 0xb00
	v_mul_f64_e32 v[152:153], v[4:5], v[110:111]
	v_add_f64_e32 v[158:159], v[146:147], v[144:145]
	v_mul_f64_e32 v[110:111], v[6:7], v[110:111]
	ds_load_b128 v[144:147], v2 offset:896
	v_fmac_f64_e32 v[154:155], v[138:139], v[104:105]
	v_fma_f64 v[136:137], v[136:137], v[104:105], -v[106:107]
	scratch_load_b128 v[104:107], off, off offset:432
	v_add_f64_e32 v[148:149], v[148:149], v[150:151]
	v_fmac_f64_e32 v[152:153], v[6:7], v[108:109]
	v_add_f64_e32 v[138:139], v[158:159], v[156:157]
	v_fma_f64 v[156:157], v[4:5], v[108:109], -v[110:111]
	ds_load_b128 v[4:7], v2 offset:912
	s_wait_loadcnt_dscnt 0xb01
	v_mul_f64_e32 v[150:151], v[144:145], v[114:115]
	v_mul_f64_e32 v[114:115], v[146:147], v[114:115]
	scratch_load_b128 v[108:111], off, off offset:448
	v_add_f64_e32 v[148:149], v[148:149], v[154:155]
	s_wait_loadcnt_dscnt 0xb00
	v_mul_f64_e32 v[154:155], v[4:5], v[118:119]
	v_add_f64_e32 v[158:159], v[138:139], v[136:137]
	v_mul_f64_e32 v[118:119], v[6:7], v[118:119]
	ds_load_b128 v[136:139], v2 offset:928
	v_fmac_f64_e32 v[150:151], v[146:147], v[112:113]
	v_fma_f64 v[144:145], v[144:145], v[112:113], -v[114:115]
	scratch_load_b128 v[112:115], off, off offset:464
	v_add_f64_e32 v[148:149], v[148:149], v[152:153]
	v_fmac_f64_e32 v[154:155], v[6:7], v[116:117]
	v_add_f64_e32 v[146:147], v[158:159], v[156:157]
	;; [unrolled: 18-line block ×3, first 2 shown]
	v_fma_f64 v[156:157], v[4:5], v[128:129], -v[130:131]
	ds_load_b128 v[4:7], v2 offset:976
	s_wait_loadcnt_dscnt 0xa01
	v_mul_f64_e32 v[154:155], v[144:145], v[142:143]
	v_mul_f64_e32 v[142:143], v[146:147], v[142:143]
	scratch_load_b128 v[128:131], off, off offset:512
	v_add_f64_e32 v[148:149], v[148:149], v[152:153]
	v_add_f64_e32 v[158:159], v[138:139], v[136:137]
	s_wait_loadcnt_dscnt 0xa00
	v_mul_f64_e32 v[152:153], v[4:5], v[126:127]
	v_mul_f64_e32 v[126:127], v[6:7], v[126:127]
	v_fmac_f64_e32 v[154:155], v[146:147], v[140:141]
	v_fma_f64 v[144:145], v[144:145], v[140:141], -v[142:143]
	ds_load_b128 v[136:139], v2 offset:992
	scratch_load_b128 v[140:143], off, off offset:528
	v_add_f64_e32 v[148:149], v[148:149], v[150:151]
	v_add_f64_e32 v[146:147], v[158:159], v[156:157]
	v_fmac_f64_e32 v[152:153], v[6:7], v[124:125]
	v_fma_f64 v[156:157], v[4:5], v[124:125], -v[126:127]
	ds_load_b128 v[4:7], v2 offset:1008
	s_wait_loadcnt_dscnt 0xa01
	v_mul_f64_e32 v[150:151], v[136:137], v[10:11]
	v_mul_f64_e32 v[10:11], v[138:139], v[10:11]
	scratch_load_b128 v[124:127], off, off offset:544
	v_add_f64_e32 v[148:149], v[148:149], v[154:155]
	s_wait_loadcnt_dscnt 0xa00
	v_mul_f64_e32 v[154:155], v[4:5], v[14:15]
	v_add_f64_e32 v[158:159], v[146:147], v[144:145]
	v_mul_f64_e32 v[14:15], v[6:7], v[14:15]
	ds_load_b128 v[144:147], v2 offset:1024
	v_fmac_f64_e32 v[150:151], v[138:139], v[8:9]
	v_fma_f64 v[136:137], v[136:137], v[8:9], -v[10:11]
	scratch_load_b128 v[8:11], off, off offset:560
	v_add_f64_e32 v[148:149], v[148:149], v[152:153]
	v_fmac_f64_e32 v[154:155], v[6:7], v[12:13]
	v_add_f64_e32 v[138:139], v[158:159], v[156:157]
	v_fma_f64 v[156:157], v[4:5], v[12:13], -v[14:15]
	ds_load_b128 v[4:7], v2 offset:1040
	s_wait_loadcnt_dscnt 0xa01
	v_mul_f64_e32 v[152:153], v[144:145], v[98:99]
	v_mul_f64_e32 v[98:99], v[146:147], v[98:99]
	scratch_load_b128 v[12:15], off, off offset:576
	v_add_f64_e32 v[148:149], v[148:149], v[150:151]
	s_wait_loadcnt_dscnt 0xa00
	v_mul_f64_e32 v[150:151], v[4:5], v[102:103]
	v_add_f64_e32 v[158:159], v[138:139], v[136:137]
	v_mul_f64_e32 v[102:103], v[6:7], v[102:103]
	ds_load_b128 v[136:139], v2 offset:1056
	v_fmac_f64_e32 v[152:153], v[146:147], v[96:97]
	v_fma_f64 v[144:145], v[144:145], v[96:97], -v[98:99]
	scratch_load_b128 v[96:99], off, off offset:592
	v_add_f64_e32 v[148:149], v[148:149], v[154:155]
	v_fmac_f64_e32 v[150:151], v[6:7], v[100:101]
	v_add_f64_e32 v[146:147], v[158:159], v[156:157]
	v_fma_f64 v[156:157], v[4:5], v[100:101], -v[102:103]
	ds_load_b128 v[4:7], v2 offset:1072
	s_wait_loadcnt_dscnt 0xa01
	v_mul_f64_e32 v[154:155], v[136:137], v[106:107]
	v_mul_f64_e32 v[106:107], v[138:139], v[106:107]
	scratch_load_b128 v[100:103], off, off offset:608
	v_add_f64_e32 v[148:149], v[148:149], v[152:153]
	s_wait_loadcnt_dscnt 0xa00
	v_mul_f64_e32 v[152:153], v[4:5], v[110:111]
	v_add_f64_e32 v[158:159], v[146:147], v[144:145]
	v_mul_f64_e32 v[110:111], v[6:7], v[110:111]
	ds_load_b128 v[144:147], v2 offset:1088
	v_fmac_f64_e32 v[154:155], v[138:139], v[104:105]
	v_fma_f64 v[104:105], v[136:137], v[104:105], -v[106:107]
	s_wait_loadcnt_dscnt 0x900
	v_mul_f64_e32 v[138:139], v[144:145], v[114:115]
	v_mul_f64_e32 v[114:115], v[146:147], v[114:115]
	v_add_f64_e32 v[136:137], v[148:149], v[150:151]
	v_fmac_f64_e32 v[152:153], v[6:7], v[108:109]
	v_add_f64_e32 v[106:107], v[158:159], v[156:157]
	v_fma_f64 v[108:109], v[4:5], v[108:109], -v[110:111]
	v_fmac_f64_e32 v[138:139], v[146:147], v[112:113]
	v_fma_f64 v[112:113], v[144:145], v[112:113], -v[114:115]
	v_add_f64_e32 v[136:137], v[136:137], v[154:155]
	v_add_f64_e32 v[110:111], v[106:107], v[104:105]
	ds_load_b128 v[4:7], v2 offset:1104
	ds_load_b128 v[104:107], v2 offset:1120
	s_wait_loadcnt_dscnt 0x801
	v_mul_f64_e32 v[148:149], v[4:5], v[118:119]
	v_mul_f64_e32 v[118:119], v[6:7], v[118:119]
	s_wait_loadcnt_dscnt 0x700
	v_mul_f64_e32 v[114:115], v[104:105], v[122:123]
	v_mul_f64_e32 v[122:123], v[106:107], v[122:123]
	v_add_f64_e32 v[108:109], v[110:111], v[108:109]
	v_add_f64_e32 v[110:111], v[136:137], v[152:153]
	v_fmac_f64_e32 v[148:149], v[6:7], v[116:117]
	v_fma_f64 v[116:117], v[4:5], v[116:117], -v[118:119]
	v_fmac_f64_e32 v[114:115], v[106:107], v[120:121]
	v_fma_f64 v[104:105], v[104:105], v[120:121], -v[122:123]
	v_add_f64_e32 v[112:113], v[108:109], v[112:113]
	v_add_f64_e32 v[118:119], v[110:111], v[138:139]
	ds_load_b128 v[4:7], v2 offset:1136
	ds_load_b128 v[108:111], v2 offset:1152
	s_wait_loadcnt_dscnt 0x601
	v_mul_f64_e32 v[136:137], v[4:5], v[130:131]
	v_mul_f64_e32 v[130:131], v[6:7], v[130:131]
	v_add_f64_e32 v[106:107], v[112:113], v[116:117]
	v_add_f64_e32 v[112:113], v[118:119], v[148:149]
	s_wait_loadcnt_dscnt 0x500
	v_mul_f64_e32 v[116:117], v[108:109], v[142:143]
	v_mul_f64_e32 v[118:119], v[110:111], v[142:143]
	v_fmac_f64_e32 v[136:137], v[6:7], v[128:129]
	v_fma_f64 v[120:121], v[4:5], v[128:129], -v[130:131]
	v_add_f64_e32 v[122:123], v[106:107], v[104:105]
	v_add_f64_e32 v[112:113], v[112:113], v[114:115]
	ds_load_b128 v[4:7], v2 offset:1168
	ds_load_b128 v[104:107], v2 offset:1184
	v_fmac_f64_e32 v[116:117], v[110:111], v[140:141]
	v_fma_f64 v[108:109], v[108:109], v[140:141], -v[118:119]
	s_wait_loadcnt_dscnt 0x401
	v_mul_f64_e32 v[114:115], v[4:5], v[126:127]
	v_mul_f64_e32 v[126:127], v[6:7], v[126:127]
	s_wait_loadcnt_dscnt 0x300
	v_mul_f64_e32 v[118:119], v[104:105], v[10:11]
	v_mul_f64_e32 v[10:11], v[106:107], v[10:11]
	v_add_f64_e32 v[110:111], v[122:123], v[120:121]
	v_add_f64_e32 v[112:113], v[112:113], v[136:137]
	v_fmac_f64_e32 v[114:115], v[6:7], v[124:125]
	v_fma_f64 v[120:121], v[4:5], v[124:125], -v[126:127]
	v_fmac_f64_e32 v[118:119], v[106:107], v[8:9]
	v_fma_f64 v[8:9], v[104:105], v[8:9], -v[10:11]
	v_add_f64_e32 v[122:123], v[110:111], v[108:109]
	v_add_f64_e32 v[112:113], v[112:113], v[116:117]
	ds_load_b128 v[4:7], v2 offset:1200
	ds_load_b128 v[108:111], v2 offset:1216
	s_wait_loadcnt_dscnt 0x201
	v_mul_f64_e32 v[116:117], v[4:5], v[14:15]
	v_mul_f64_e32 v[14:15], v[6:7], v[14:15]
	s_wait_loadcnt_dscnt 0x100
	v_mul_f64_e32 v[106:107], v[108:109], v[98:99]
	v_mul_f64_e32 v[98:99], v[110:111], v[98:99]
	v_add_f64_e32 v[10:11], v[122:123], v[120:121]
	v_add_f64_e32 v[104:105], v[112:113], v[114:115]
	v_fmac_f64_e32 v[116:117], v[6:7], v[12:13]
	v_fma_f64 v[12:13], v[4:5], v[12:13], -v[14:15]
	ds_load_b128 v[4:7], v2 offset:1232
	v_fmac_f64_e32 v[106:107], v[110:111], v[96:97]
	v_fma_f64 v[96:97], v[108:109], v[96:97], -v[98:99]
	v_add_f64_e32 v[8:9], v[10:11], v[8:9]
	v_add_f64_e32 v[10:11], v[104:105], v[118:119]
	s_wait_loadcnt_dscnt 0x0
	v_mul_f64_e32 v[14:15], v[4:5], v[102:103]
	v_mul_f64_e32 v[102:103], v[6:7], v[102:103]
	s_delay_alu instid0(VALU_DEP_4) | instskip(NEXT) | instid1(VALU_DEP_4)
	v_add_f64_e32 v[8:9], v[8:9], v[12:13]
	v_add_f64_e32 v[10:11], v[10:11], v[116:117]
	s_delay_alu instid0(VALU_DEP_4) | instskip(NEXT) | instid1(VALU_DEP_4)
	v_fmac_f64_e32 v[14:15], v[6:7], v[100:101]
	v_fma_f64 v[4:5], v[4:5], v[100:101], -v[102:103]
	s_delay_alu instid0(VALU_DEP_4) | instskip(NEXT) | instid1(VALU_DEP_4)
	v_add_f64_e32 v[6:7], v[8:9], v[96:97]
	v_add_f64_e32 v[8:9], v[10:11], v[106:107]
	s_delay_alu instid0(VALU_DEP_2) | instskip(NEXT) | instid1(VALU_DEP_2)
	v_add_f64_e32 v[4:5], v[6:7], v[4:5]
	v_add_f64_e32 v[6:7], v[8:9], v[14:15]
	s_delay_alu instid0(VALU_DEP_2) | instskip(NEXT) | instid1(VALU_DEP_2)
	v_add_f64_e64 v[4:5], v[132:133], -v[4:5]
	v_add_f64_e64 v[6:7], v[134:135], -v[6:7]
	scratch_store_b128 off, v[4:7], off offset:144
	s_wait_xcnt 0x0
	v_cmpx_lt_u32_e32 8, v1
	s_cbranch_execz .LBB102_231
; %bb.230:
	scratch_load_b128 v[6:9], off, s47
	v_dual_mov_b32 v3, v2 :: v_dual_mov_b32 v4, v2
	v_mov_b32_e32 v5, v2
	scratch_store_b128 off, v[2:5], off offset:128
	s_wait_loadcnt 0x0
	ds_store_b128 v94, v[6:9]
.LBB102_231:
	s_wait_xcnt 0x0
	s_or_b32 exec_lo, exec_lo, s2
	s_wait_storecnt_dscnt 0x0
	s_barrier_signal -1
	s_barrier_wait -1
	s_clause 0x9
	scratch_load_b128 v[4:7], off, off offset:144
	scratch_load_b128 v[8:11], off, off offset:160
	;; [unrolled: 1-line block ×10, first 2 shown]
	ds_load_b128 v[124:127], v2 offset:768
	ds_load_b128 v[132:135], v2 offset:784
	s_clause 0x2
	scratch_load_b128 v[128:131], off, off offset:304
	scratch_load_b128 v[136:139], off, off offset:128
	;; [unrolled: 1-line block ×3, first 2 shown]
	s_mov_b32 s2, exec_lo
	s_wait_loadcnt_dscnt 0xc01
	v_mul_f64_e32 v[144:145], v[126:127], v[6:7]
	v_mul_f64_e32 v[148:149], v[124:125], v[6:7]
	s_wait_loadcnt_dscnt 0xb00
	v_mul_f64_e32 v[150:151], v[132:133], v[10:11]
	v_mul_f64_e32 v[10:11], v[134:135], v[10:11]
	s_delay_alu instid0(VALU_DEP_4) | instskip(NEXT) | instid1(VALU_DEP_4)
	v_fma_f64 v[152:153], v[124:125], v[4:5], -v[144:145]
	v_fmac_f64_e32 v[148:149], v[126:127], v[4:5]
	ds_load_b128 v[4:7], v2 offset:800
	ds_load_b128 v[124:127], v2 offset:816
	scratch_load_b128 v[144:147], off, off offset:336
	v_fmac_f64_e32 v[150:151], v[134:135], v[8:9]
	v_fma_f64 v[132:133], v[132:133], v[8:9], -v[10:11]
	scratch_load_b128 v[8:11], off, off offset:352
	s_wait_loadcnt_dscnt 0xc01
	v_mul_f64_e32 v[154:155], v[4:5], v[14:15]
	v_mul_f64_e32 v[14:15], v[6:7], v[14:15]
	v_add_f64_e32 v[134:135], 0, v[152:153]
	v_add_f64_e32 v[148:149], 0, v[148:149]
	s_wait_loadcnt_dscnt 0xb00
	v_mul_f64_e32 v[152:153], v[124:125], v[98:99]
	v_mul_f64_e32 v[98:99], v[126:127], v[98:99]
	v_fmac_f64_e32 v[154:155], v[6:7], v[12:13]
	v_fma_f64 v[156:157], v[4:5], v[12:13], -v[14:15]
	ds_load_b128 v[4:7], v2 offset:832
	ds_load_b128 v[12:15], v2 offset:848
	v_add_f64_e32 v[158:159], v[134:135], v[132:133]
	v_add_f64_e32 v[148:149], v[148:149], v[150:151]
	scratch_load_b128 v[132:135], off, off offset:368
	v_fmac_f64_e32 v[152:153], v[126:127], v[96:97]
	v_fma_f64 v[124:125], v[124:125], v[96:97], -v[98:99]
	scratch_load_b128 v[96:99], off, off offset:384
	s_wait_loadcnt_dscnt 0xc01
	v_mul_f64_e32 v[150:151], v[4:5], v[102:103]
	v_mul_f64_e32 v[102:103], v[6:7], v[102:103]
	v_add_f64_e32 v[126:127], v[158:159], v[156:157]
	v_add_f64_e32 v[148:149], v[148:149], v[154:155]
	s_wait_loadcnt_dscnt 0xb00
	v_mul_f64_e32 v[154:155], v[12:13], v[106:107]
	v_mul_f64_e32 v[106:107], v[14:15], v[106:107]
	v_fmac_f64_e32 v[150:151], v[6:7], v[100:101]
	v_fma_f64 v[156:157], v[4:5], v[100:101], -v[102:103]
	ds_load_b128 v[4:7], v2 offset:864
	ds_load_b128 v[100:103], v2 offset:880
	v_add_f64_e32 v[158:159], v[126:127], v[124:125]
	v_add_f64_e32 v[148:149], v[148:149], v[152:153]
	scratch_load_b128 v[124:127], off, off offset:400
	s_wait_loadcnt_dscnt 0xb01
	v_mul_f64_e32 v[152:153], v[4:5], v[110:111]
	v_mul_f64_e32 v[110:111], v[6:7], v[110:111]
	v_fmac_f64_e32 v[154:155], v[14:15], v[104:105]
	v_fma_f64 v[104:105], v[12:13], v[104:105], -v[106:107]
	scratch_load_b128 v[12:15], off, off offset:416
	v_add_f64_e32 v[106:107], v[158:159], v[156:157]
	v_add_f64_e32 v[148:149], v[148:149], v[150:151]
	s_wait_loadcnt_dscnt 0xb00
	v_mul_f64_e32 v[150:151], v[100:101], v[114:115]
	v_mul_f64_e32 v[114:115], v[102:103], v[114:115]
	v_fmac_f64_e32 v[152:153], v[6:7], v[108:109]
	v_fma_f64 v[156:157], v[4:5], v[108:109], -v[110:111]
	v_add_f64_e32 v[158:159], v[106:107], v[104:105]
	v_add_f64_e32 v[148:149], v[148:149], v[154:155]
	ds_load_b128 v[4:7], v2 offset:896
	ds_load_b128 v[104:107], v2 offset:912
	scratch_load_b128 v[108:111], off, off offset:432
	v_fmac_f64_e32 v[150:151], v[102:103], v[112:113]
	v_fma_f64 v[112:113], v[100:101], v[112:113], -v[114:115]
	scratch_load_b128 v[100:103], off, off offset:448
	s_wait_loadcnt_dscnt 0xc01
	v_mul_f64_e32 v[154:155], v[4:5], v[118:119]
	v_mul_f64_e32 v[118:119], v[6:7], v[118:119]
	v_add_f64_e32 v[114:115], v[158:159], v[156:157]
	v_add_f64_e32 v[148:149], v[148:149], v[152:153]
	s_wait_loadcnt_dscnt 0xb00
	v_mul_f64_e32 v[152:153], v[104:105], v[122:123]
	v_mul_f64_e32 v[122:123], v[106:107], v[122:123]
	v_fmac_f64_e32 v[154:155], v[6:7], v[116:117]
	v_fma_f64 v[156:157], v[4:5], v[116:117], -v[118:119]
	v_add_f64_e32 v[158:159], v[114:115], v[112:113]
	v_add_f64_e32 v[148:149], v[148:149], v[150:151]
	ds_load_b128 v[4:7], v2 offset:928
	ds_load_b128 v[112:115], v2 offset:944
	scratch_load_b128 v[116:119], off, off offset:464
	v_fmac_f64_e32 v[152:153], v[106:107], v[120:121]
	v_fma_f64 v[120:121], v[104:105], v[120:121], -v[122:123]
	scratch_load_b128 v[104:107], off, off offset:480
	s_wait_loadcnt_dscnt 0xc01
	v_mul_f64_e32 v[150:151], v[4:5], v[130:131]
	v_mul_f64_e32 v[130:131], v[6:7], v[130:131]
	;; [unrolled: 18-line block ×5, first 2 shown]
	v_add_f64_e32 v[142:143], v[158:159], v[156:157]
	v_add_f64_e32 v[148:149], v[148:149], v[154:155]
	s_wait_loadcnt_dscnt 0xa00
	v_mul_f64_e32 v[154:155], v[120:121], v[14:15]
	v_mul_f64_e32 v[14:15], v[122:123], v[14:15]
	v_fmac_f64_e32 v[150:151], v[6:7], v[124:125]
	v_fma_f64 v[156:157], v[4:5], v[124:125], -v[126:127]
	ds_load_b128 v[4:7], v2 offset:1056
	ds_load_b128 v[124:127], v2 offset:1072
	v_add_f64_e32 v[158:159], v[142:143], v[140:141]
	v_add_f64_e32 v[148:149], v[148:149], v[152:153]
	scratch_load_b128 v[140:143], off, off offset:592
	v_fmac_f64_e32 v[154:155], v[122:123], v[12:13]
	v_fma_f64 v[120:121], v[120:121], v[12:13], -v[14:15]
	scratch_load_b128 v[12:15], off, off offset:608
	s_wait_loadcnt_dscnt 0xb01
	v_mul_f64_e32 v[152:153], v[4:5], v[110:111]
	v_mul_f64_e32 v[110:111], v[6:7], v[110:111]
	v_add_f64_e32 v[122:123], v[158:159], v[156:157]
	v_add_f64_e32 v[148:149], v[148:149], v[150:151]
	s_wait_loadcnt_dscnt 0xa00
	v_mul_f64_e32 v[150:151], v[124:125], v[102:103]
	v_mul_f64_e32 v[102:103], v[126:127], v[102:103]
	v_fmac_f64_e32 v[152:153], v[6:7], v[108:109]
	v_fma_f64 v[156:157], v[4:5], v[108:109], -v[110:111]
	ds_load_b128 v[4:7], v2 offset:1088
	ds_load_b128 v[108:111], v2 offset:1104
	v_add_f64_e32 v[120:121], v[122:123], v[120:121]
	v_add_f64_e32 v[122:123], v[148:149], v[154:155]
	v_fmac_f64_e32 v[150:151], v[126:127], v[100:101]
	s_wait_loadcnt_dscnt 0x901
	v_mul_f64_e32 v[148:149], v[4:5], v[118:119]
	v_mul_f64_e32 v[118:119], v[6:7], v[118:119]
	v_fma_f64 v[100:101], v[124:125], v[100:101], -v[102:103]
	v_add_f64_e32 v[102:103], v[120:121], v[156:157]
	v_add_f64_e32 v[120:121], v[122:123], v[152:153]
	s_wait_loadcnt_dscnt 0x800
	v_mul_f64_e32 v[122:123], v[108:109], v[106:107]
	v_mul_f64_e32 v[106:107], v[110:111], v[106:107]
	v_fmac_f64_e32 v[148:149], v[6:7], v[116:117]
	v_fma_f64 v[116:117], v[4:5], v[116:117], -v[118:119]
	v_add_f64_e32 v[118:119], v[102:103], v[100:101]
	v_add_f64_e32 v[120:121], v[120:121], v[150:151]
	ds_load_b128 v[4:7], v2 offset:1120
	ds_load_b128 v[100:103], v2 offset:1136
	v_fmac_f64_e32 v[122:123], v[110:111], v[104:105]
	v_fma_f64 v[104:105], v[108:109], v[104:105], -v[106:107]
	s_wait_loadcnt_dscnt 0x701
	v_mul_f64_e32 v[124:125], v[4:5], v[130:131]
	v_mul_f64_e32 v[126:127], v[6:7], v[130:131]
	s_wait_loadcnt_dscnt 0x600
	v_mul_f64_e32 v[110:111], v[100:101], v[114:115]
	v_mul_f64_e32 v[114:115], v[102:103], v[114:115]
	v_add_f64_e32 v[106:107], v[118:119], v[116:117]
	v_add_f64_e32 v[108:109], v[120:121], v[148:149]
	v_fmac_f64_e32 v[124:125], v[6:7], v[128:129]
	v_fma_f64 v[116:117], v[4:5], v[128:129], -v[126:127]
	v_fmac_f64_e32 v[110:111], v[102:103], v[112:113]
	v_fma_f64 v[100:101], v[100:101], v[112:113], -v[114:115]
	v_add_f64_e32 v[118:119], v[106:107], v[104:105]
	v_add_f64_e32 v[108:109], v[108:109], v[122:123]
	ds_load_b128 v[4:7], v2 offset:1152
	ds_load_b128 v[104:107], v2 offset:1168
	s_wait_loadcnt_dscnt 0x501
	v_mul_f64_e32 v[120:121], v[4:5], v[146:147]
	v_mul_f64_e32 v[122:123], v[6:7], v[146:147]
	s_wait_loadcnt_dscnt 0x400
	v_mul_f64_e32 v[112:113], v[104:105], v[10:11]
	v_mul_f64_e32 v[10:11], v[106:107], v[10:11]
	v_add_f64_e32 v[102:103], v[118:119], v[116:117]
	v_add_f64_e32 v[108:109], v[108:109], v[124:125]
	v_fmac_f64_e32 v[120:121], v[6:7], v[144:145]
	v_fma_f64 v[114:115], v[4:5], v[144:145], -v[122:123]
	v_fmac_f64_e32 v[112:113], v[106:107], v[8:9]
	v_fma_f64 v[8:9], v[104:105], v[8:9], -v[10:11]
	v_add_f64_e32 v[116:117], v[102:103], v[100:101]
	v_add_f64_e32 v[108:109], v[108:109], v[110:111]
	ds_load_b128 v[4:7], v2 offset:1184
	ds_load_b128 v[100:103], v2 offset:1200
	s_wait_loadcnt_dscnt 0x301
	v_mul_f64_e32 v[110:111], v[4:5], v[134:135]
	v_mul_f64_e32 v[118:119], v[6:7], v[134:135]
	s_wait_loadcnt_dscnt 0x200
	v_mul_f64_e32 v[106:107], v[100:101], v[98:99]
	v_mul_f64_e32 v[98:99], v[102:103], v[98:99]
	v_add_f64_e32 v[10:11], v[116:117], v[114:115]
	v_add_f64_e32 v[104:105], v[108:109], v[120:121]
	v_fmac_f64_e32 v[110:111], v[6:7], v[132:133]
	v_fma_f64 v[108:109], v[4:5], v[132:133], -v[118:119]
	v_fmac_f64_e32 v[106:107], v[102:103], v[96:97]
	v_fma_f64 v[96:97], v[100:101], v[96:97], -v[98:99]
	v_add_f64_e32 v[114:115], v[10:11], v[8:9]
	v_add_f64_e32 v[104:105], v[104:105], v[112:113]
	ds_load_b128 v[4:7], v2 offset:1216
	ds_load_b128 v[8:11], v2 offset:1232
	s_wait_loadcnt_dscnt 0x101
	v_mul_f64_e32 v[2:3], v[4:5], v[142:143]
	v_mul_f64_e32 v[112:113], v[6:7], v[142:143]
	s_wait_loadcnt_dscnt 0x0
	v_mul_f64_e32 v[102:103], v[8:9], v[14:15]
	v_mul_f64_e32 v[14:15], v[10:11], v[14:15]
	v_add_f64_e32 v[98:99], v[114:115], v[108:109]
	v_add_f64_e32 v[100:101], v[104:105], v[110:111]
	v_fmac_f64_e32 v[2:3], v[6:7], v[140:141]
	v_fma_f64 v[4:5], v[4:5], v[140:141], -v[112:113]
	v_fmac_f64_e32 v[102:103], v[10:11], v[12:13]
	v_fma_f64 v[8:9], v[8:9], v[12:13], -v[14:15]
	v_add_f64_e32 v[6:7], v[98:99], v[96:97]
	v_add_f64_e32 v[96:97], v[100:101], v[106:107]
	s_delay_alu instid0(VALU_DEP_2) | instskip(NEXT) | instid1(VALU_DEP_2)
	v_add_f64_e32 v[4:5], v[6:7], v[4:5]
	v_add_f64_e32 v[2:3], v[96:97], v[2:3]
	s_delay_alu instid0(VALU_DEP_2) | instskip(NEXT) | instid1(VALU_DEP_2)
	;; [unrolled: 3-line block ×3, first 2 shown]
	v_add_f64_e64 v[2:3], v[136:137], -v[4:5]
	v_add_f64_e64 v[4:5], v[138:139], -v[6:7]
	scratch_store_b128 off, v[2:5], off offset:128
	s_wait_xcnt 0x0
	v_cmpx_lt_u32_e32 7, v1
	s_cbranch_execz .LBB102_233
; %bb.232:
	scratch_load_b128 v[2:5], off, s48
	v_mov_b32_e32 v6, 0
	s_delay_alu instid0(VALU_DEP_1)
	v_dual_mov_b32 v7, v6 :: v_dual_mov_b32 v8, v6
	v_mov_b32_e32 v9, v6
	scratch_store_b128 off, v[6:9], off offset:112
	s_wait_loadcnt 0x0
	ds_store_b128 v94, v[2:5]
.LBB102_233:
	s_wait_xcnt 0x0
	s_or_b32 exec_lo, exec_lo, s2
	s_wait_storecnt_dscnt 0x0
	s_barrier_signal -1
	s_barrier_wait -1
	s_clause 0x9
	scratch_load_b128 v[4:7], off, off offset:128
	scratch_load_b128 v[8:11], off, off offset:144
	;; [unrolled: 1-line block ×10, first 2 shown]
	v_mov_b32_e32 v2, 0
	s_mov_b32 s2, exec_lo
	ds_load_b128 v[124:127], v2 offset:752
	s_clause 0x2
	scratch_load_b128 v[128:131], off, off offset:288
	scratch_load_b128 v[132:135], off, off offset:112
	;; [unrolled: 1-line block ×3, first 2 shown]
	s_wait_loadcnt_dscnt 0xc00
	v_mul_f64_e32 v[144:145], v[126:127], v[6:7]
	v_mul_f64_e32 v[148:149], v[124:125], v[6:7]
	ds_load_b128 v[136:139], v2 offset:768
	v_fma_f64 v[152:153], v[124:125], v[4:5], -v[144:145]
	v_fmac_f64_e32 v[148:149], v[126:127], v[4:5]
	ds_load_b128 v[4:7], v2 offset:784
	s_wait_loadcnt_dscnt 0xb01
	v_mul_f64_e32 v[150:151], v[136:137], v[10:11]
	v_mul_f64_e32 v[10:11], v[138:139], v[10:11]
	scratch_load_b128 v[124:127], off, off offset:320
	ds_load_b128 v[144:147], v2 offset:800
	s_wait_loadcnt_dscnt 0xb01
	v_mul_f64_e32 v[154:155], v[4:5], v[14:15]
	v_mul_f64_e32 v[14:15], v[6:7], v[14:15]
	v_add_f64_e32 v[148:149], 0, v[148:149]
	v_fmac_f64_e32 v[150:151], v[138:139], v[8:9]
	v_fma_f64 v[136:137], v[136:137], v[8:9], -v[10:11]
	v_add_f64_e32 v[138:139], 0, v[152:153]
	scratch_load_b128 v[8:11], off, off offset:336
	v_fmac_f64_e32 v[154:155], v[6:7], v[12:13]
	v_fma_f64 v[156:157], v[4:5], v[12:13], -v[14:15]
	ds_load_b128 v[4:7], v2 offset:816
	s_wait_loadcnt_dscnt 0xb01
	v_mul_f64_e32 v[152:153], v[144:145], v[98:99]
	v_mul_f64_e32 v[98:99], v[146:147], v[98:99]
	scratch_load_b128 v[12:15], off, off offset:352
	v_add_f64_e32 v[148:149], v[148:149], v[150:151]
	v_add_f64_e32 v[158:159], v[138:139], v[136:137]
	ds_load_b128 v[136:139], v2 offset:832
	s_wait_loadcnt_dscnt 0xb01
	v_mul_f64_e32 v[150:151], v[4:5], v[102:103]
	v_mul_f64_e32 v[102:103], v[6:7], v[102:103]
	v_fmac_f64_e32 v[152:153], v[146:147], v[96:97]
	v_fma_f64 v[144:145], v[144:145], v[96:97], -v[98:99]
	scratch_load_b128 v[96:99], off, off offset:368
	v_add_f64_e32 v[148:149], v[148:149], v[154:155]
	v_add_f64_e32 v[146:147], v[158:159], v[156:157]
	v_fmac_f64_e32 v[150:151], v[6:7], v[100:101]
	v_fma_f64 v[156:157], v[4:5], v[100:101], -v[102:103]
	ds_load_b128 v[4:7], v2 offset:848
	s_wait_loadcnt_dscnt 0xb01
	v_mul_f64_e32 v[154:155], v[136:137], v[106:107]
	v_mul_f64_e32 v[106:107], v[138:139], v[106:107]
	scratch_load_b128 v[100:103], off, off offset:384
	v_add_f64_e32 v[148:149], v[148:149], v[152:153]
	s_wait_loadcnt_dscnt 0xb00
	v_mul_f64_e32 v[152:153], v[4:5], v[110:111]
	v_add_f64_e32 v[158:159], v[146:147], v[144:145]
	v_mul_f64_e32 v[110:111], v[6:7], v[110:111]
	ds_load_b128 v[144:147], v2 offset:864
	v_fmac_f64_e32 v[154:155], v[138:139], v[104:105]
	v_fma_f64 v[136:137], v[136:137], v[104:105], -v[106:107]
	scratch_load_b128 v[104:107], off, off offset:400
	v_add_f64_e32 v[148:149], v[148:149], v[150:151]
	v_fmac_f64_e32 v[152:153], v[6:7], v[108:109]
	v_add_f64_e32 v[138:139], v[158:159], v[156:157]
	v_fma_f64 v[156:157], v[4:5], v[108:109], -v[110:111]
	ds_load_b128 v[4:7], v2 offset:880
	s_wait_loadcnt_dscnt 0xb01
	v_mul_f64_e32 v[150:151], v[144:145], v[114:115]
	v_mul_f64_e32 v[114:115], v[146:147], v[114:115]
	scratch_load_b128 v[108:111], off, off offset:416
	v_add_f64_e32 v[148:149], v[148:149], v[154:155]
	s_wait_loadcnt_dscnt 0xb00
	v_mul_f64_e32 v[154:155], v[4:5], v[118:119]
	v_add_f64_e32 v[158:159], v[138:139], v[136:137]
	v_mul_f64_e32 v[118:119], v[6:7], v[118:119]
	ds_load_b128 v[136:139], v2 offset:896
	v_fmac_f64_e32 v[150:151], v[146:147], v[112:113]
	v_fma_f64 v[144:145], v[144:145], v[112:113], -v[114:115]
	scratch_load_b128 v[112:115], off, off offset:432
	v_add_f64_e32 v[148:149], v[148:149], v[152:153]
	v_fmac_f64_e32 v[154:155], v[6:7], v[116:117]
	v_add_f64_e32 v[146:147], v[158:159], v[156:157]
	;; [unrolled: 18-line block ×3, first 2 shown]
	v_fma_f64 v[156:157], v[4:5], v[128:129], -v[130:131]
	ds_load_b128 v[4:7], v2 offset:944
	s_wait_loadcnt_dscnt 0xa01
	v_mul_f64_e32 v[154:155], v[144:145], v[142:143]
	v_mul_f64_e32 v[142:143], v[146:147], v[142:143]
	scratch_load_b128 v[128:131], off, off offset:480
	v_add_f64_e32 v[148:149], v[148:149], v[152:153]
	v_add_f64_e32 v[158:159], v[138:139], v[136:137]
	s_wait_loadcnt_dscnt 0xa00
	v_mul_f64_e32 v[152:153], v[4:5], v[126:127]
	v_mul_f64_e32 v[126:127], v[6:7], v[126:127]
	v_fmac_f64_e32 v[154:155], v[146:147], v[140:141]
	v_fma_f64 v[144:145], v[144:145], v[140:141], -v[142:143]
	ds_load_b128 v[136:139], v2 offset:960
	scratch_load_b128 v[140:143], off, off offset:496
	v_add_f64_e32 v[148:149], v[148:149], v[150:151]
	v_add_f64_e32 v[146:147], v[158:159], v[156:157]
	v_fmac_f64_e32 v[152:153], v[6:7], v[124:125]
	v_fma_f64 v[156:157], v[4:5], v[124:125], -v[126:127]
	ds_load_b128 v[4:7], v2 offset:976
	s_wait_loadcnt_dscnt 0xa01
	v_mul_f64_e32 v[150:151], v[136:137], v[10:11]
	v_mul_f64_e32 v[10:11], v[138:139], v[10:11]
	scratch_load_b128 v[124:127], off, off offset:512
	v_add_f64_e32 v[148:149], v[148:149], v[154:155]
	s_wait_loadcnt_dscnt 0xa00
	v_mul_f64_e32 v[154:155], v[4:5], v[14:15]
	v_add_f64_e32 v[158:159], v[146:147], v[144:145]
	v_mul_f64_e32 v[14:15], v[6:7], v[14:15]
	ds_load_b128 v[144:147], v2 offset:992
	v_fmac_f64_e32 v[150:151], v[138:139], v[8:9]
	v_fma_f64 v[136:137], v[136:137], v[8:9], -v[10:11]
	scratch_load_b128 v[8:11], off, off offset:528
	v_add_f64_e32 v[148:149], v[148:149], v[152:153]
	v_fmac_f64_e32 v[154:155], v[6:7], v[12:13]
	v_add_f64_e32 v[138:139], v[158:159], v[156:157]
	v_fma_f64 v[156:157], v[4:5], v[12:13], -v[14:15]
	ds_load_b128 v[4:7], v2 offset:1008
	s_wait_loadcnt_dscnt 0xa01
	v_mul_f64_e32 v[152:153], v[144:145], v[98:99]
	v_mul_f64_e32 v[98:99], v[146:147], v[98:99]
	scratch_load_b128 v[12:15], off, off offset:544
	v_add_f64_e32 v[148:149], v[148:149], v[150:151]
	s_wait_loadcnt_dscnt 0xa00
	v_mul_f64_e32 v[150:151], v[4:5], v[102:103]
	v_add_f64_e32 v[158:159], v[138:139], v[136:137]
	v_mul_f64_e32 v[102:103], v[6:7], v[102:103]
	ds_load_b128 v[136:139], v2 offset:1024
	v_fmac_f64_e32 v[152:153], v[146:147], v[96:97]
	v_fma_f64 v[144:145], v[144:145], v[96:97], -v[98:99]
	scratch_load_b128 v[96:99], off, off offset:560
	v_add_f64_e32 v[148:149], v[148:149], v[154:155]
	v_fmac_f64_e32 v[150:151], v[6:7], v[100:101]
	v_add_f64_e32 v[146:147], v[158:159], v[156:157]
	;; [unrolled: 18-line block ×3, first 2 shown]
	v_fma_f64 v[156:157], v[4:5], v[108:109], -v[110:111]
	ds_load_b128 v[4:7], v2 offset:1072
	s_wait_loadcnt_dscnt 0xa01
	v_mul_f64_e32 v[150:151], v[144:145], v[114:115]
	v_mul_f64_e32 v[114:115], v[146:147], v[114:115]
	scratch_load_b128 v[108:111], off, off offset:608
	v_add_f64_e32 v[148:149], v[148:149], v[154:155]
	s_wait_loadcnt_dscnt 0xa00
	v_mul_f64_e32 v[154:155], v[4:5], v[118:119]
	v_add_f64_e32 v[158:159], v[138:139], v[136:137]
	v_mul_f64_e32 v[118:119], v[6:7], v[118:119]
	ds_load_b128 v[136:139], v2 offset:1088
	v_fmac_f64_e32 v[150:151], v[146:147], v[112:113]
	v_fma_f64 v[112:113], v[144:145], v[112:113], -v[114:115]
	s_wait_loadcnt_dscnt 0x900
	v_mul_f64_e32 v[146:147], v[136:137], v[122:123]
	v_mul_f64_e32 v[122:123], v[138:139], v[122:123]
	v_add_f64_e32 v[144:145], v[148:149], v[152:153]
	v_fmac_f64_e32 v[154:155], v[6:7], v[116:117]
	v_add_f64_e32 v[114:115], v[158:159], v[156:157]
	v_fma_f64 v[116:117], v[4:5], v[116:117], -v[118:119]
	v_fmac_f64_e32 v[146:147], v[138:139], v[120:121]
	v_fma_f64 v[120:121], v[136:137], v[120:121], -v[122:123]
	v_add_f64_e32 v[144:145], v[144:145], v[150:151]
	v_add_f64_e32 v[118:119], v[114:115], v[112:113]
	ds_load_b128 v[4:7], v2 offset:1104
	ds_load_b128 v[112:115], v2 offset:1120
	s_wait_loadcnt_dscnt 0x801
	v_mul_f64_e32 v[148:149], v[4:5], v[130:131]
	v_mul_f64_e32 v[130:131], v[6:7], v[130:131]
	s_wait_loadcnt_dscnt 0x700
	v_mul_f64_e32 v[122:123], v[112:113], v[142:143]
	v_mul_f64_e32 v[136:137], v[114:115], v[142:143]
	v_add_f64_e32 v[116:117], v[118:119], v[116:117]
	v_add_f64_e32 v[118:119], v[144:145], v[154:155]
	v_fmac_f64_e32 v[148:149], v[6:7], v[128:129]
	v_fma_f64 v[128:129], v[4:5], v[128:129], -v[130:131]
	v_fmac_f64_e32 v[122:123], v[114:115], v[140:141]
	v_fma_f64 v[112:113], v[112:113], v[140:141], -v[136:137]
	v_add_f64_e32 v[120:121], v[116:117], v[120:121]
	v_add_f64_e32 v[130:131], v[118:119], v[146:147]
	ds_load_b128 v[4:7], v2 offset:1136
	ds_load_b128 v[116:119], v2 offset:1152
	s_wait_loadcnt_dscnt 0x601
	v_mul_f64_e32 v[138:139], v[4:5], v[126:127]
	v_mul_f64_e32 v[126:127], v[6:7], v[126:127]
	v_add_f64_e32 v[114:115], v[120:121], v[128:129]
	v_add_f64_e32 v[120:121], v[130:131], v[148:149]
	s_wait_loadcnt_dscnt 0x500
	v_mul_f64_e32 v[128:129], v[116:117], v[10:11]
	v_mul_f64_e32 v[10:11], v[118:119], v[10:11]
	v_fmac_f64_e32 v[138:139], v[6:7], v[124:125]
	v_fma_f64 v[124:125], v[4:5], v[124:125], -v[126:127]
	v_add_f64_e32 v[126:127], v[114:115], v[112:113]
	v_add_f64_e32 v[120:121], v[120:121], v[122:123]
	ds_load_b128 v[4:7], v2 offset:1168
	ds_load_b128 v[112:115], v2 offset:1184
	v_fmac_f64_e32 v[128:129], v[118:119], v[8:9]
	v_fma_f64 v[8:9], v[116:117], v[8:9], -v[10:11]
	s_wait_loadcnt_dscnt 0x401
	v_mul_f64_e32 v[122:123], v[4:5], v[14:15]
	v_mul_f64_e32 v[14:15], v[6:7], v[14:15]
	s_wait_loadcnt_dscnt 0x300
	v_mul_f64_e32 v[118:119], v[112:113], v[98:99]
	v_mul_f64_e32 v[98:99], v[114:115], v[98:99]
	v_add_f64_e32 v[10:11], v[126:127], v[124:125]
	v_add_f64_e32 v[116:117], v[120:121], v[138:139]
	v_fmac_f64_e32 v[122:123], v[6:7], v[12:13]
	v_fma_f64 v[12:13], v[4:5], v[12:13], -v[14:15]
	v_fmac_f64_e32 v[118:119], v[114:115], v[96:97]
	v_fma_f64 v[96:97], v[112:113], v[96:97], -v[98:99]
	v_add_f64_e32 v[14:15], v[10:11], v[8:9]
	v_add_f64_e32 v[116:117], v[116:117], v[128:129]
	ds_load_b128 v[4:7], v2 offset:1200
	ds_load_b128 v[8:11], v2 offset:1216
	s_wait_loadcnt_dscnt 0x201
	v_mul_f64_e32 v[120:121], v[4:5], v[102:103]
	v_mul_f64_e32 v[102:103], v[6:7], v[102:103]
	s_wait_loadcnt_dscnt 0x100
	v_mul_f64_e32 v[98:99], v[8:9], v[106:107]
	v_mul_f64_e32 v[106:107], v[10:11], v[106:107]
	v_add_f64_e32 v[12:13], v[14:15], v[12:13]
	v_add_f64_e32 v[14:15], v[116:117], v[122:123]
	v_fmac_f64_e32 v[120:121], v[6:7], v[100:101]
	v_fma_f64 v[100:101], v[4:5], v[100:101], -v[102:103]
	ds_load_b128 v[4:7], v2 offset:1232
	v_fmac_f64_e32 v[98:99], v[10:11], v[104:105]
	v_fma_f64 v[8:9], v[8:9], v[104:105], -v[106:107]
	v_add_f64_e32 v[12:13], v[12:13], v[96:97]
	v_add_f64_e32 v[14:15], v[14:15], v[118:119]
	s_wait_loadcnt_dscnt 0x0
	v_mul_f64_e32 v[96:97], v[4:5], v[110:111]
	v_mul_f64_e32 v[102:103], v[6:7], v[110:111]
	s_delay_alu instid0(VALU_DEP_4) | instskip(NEXT) | instid1(VALU_DEP_4)
	v_add_f64_e32 v[10:11], v[12:13], v[100:101]
	v_add_f64_e32 v[12:13], v[14:15], v[120:121]
	s_delay_alu instid0(VALU_DEP_4) | instskip(NEXT) | instid1(VALU_DEP_4)
	v_fmac_f64_e32 v[96:97], v[6:7], v[108:109]
	v_fma_f64 v[4:5], v[4:5], v[108:109], -v[102:103]
	s_delay_alu instid0(VALU_DEP_4) | instskip(NEXT) | instid1(VALU_DEP_4)
	v_add_f64_e32 v[6:7], v[10:11], v[8:9]
	v_add_f64_e32 v[8:9], v[12:13], v[98:99]
	s_delay_alu instid0(VALU_DEP_2) | instskip(NEXT) | instid1(VALU_DEP_2)
	v_add_f64_e32 v[4:5], v[6:7], v[4:5]
	v_add_f64_e32 v[6:7], v[8:9], v[96:97]
	s_delay_alu instid0(VALU_DEP_2) | instskip(NEXT) | instid1(VALU_DEP_2)
	v_add_f64_e64 v[4:5], v[132:133], -v[4:5]
	v_add_f64_e64 v[6:7], v[134:135], -v[6:7]
	scratch_store_b128 off, v[4:7], off offset:112
	s_wait_xcnt 0x0
	v_cmpx_lt_u32_e32 6, v1
	s_cbranch_execz .LBB102_235
; %bb.234:
	scratch_load_b128 v[6:9], off, s49
	v_dual_mov_b32 v3, v2 :: v_dual_mov_b32 v4, v2
	v_mov_b32_e32 v5, v2
	scratch_store_b128 off, v[2:5], off offset:96
	s_wait_loadcnt 0x0
	ds_store_b128 v94, v[6:9]
.LBB102_235:
	s_wait_xcnt 0x0
	s_or_b32 exec_lo, exec_lo, s2
	s_wait_storecnt_dscnt 0x0
	s_barrier_signal -1
	s_barrier_wait -1
	s_clause 0x9
	scratch_load_b128 v[4:7], off, off offset:112
	scratch_load_b128 v[8:11], off, off offset:128
	;; [unrolled: 1-line block ×10, first 2 shown]
	ds_load_b128 v[124:127], v2 offset:736
	ds_load_b128 v[132:135], v2 offset:752
	s_clause 0x2
	scratch_load_b128 v[128:131], off, off offset:272
	scratch_load_b128 v[136:139], off, off offset:96
	;; [unrolled: 1-line block ×3, first 2 shown]
	s_mov_b32 s2, exec_lo
	s_wait_loadcnt_dscnt 0xc01
	v_mul_f64_e32 v[144:145], v[126:127], v[6:7]
	v_mul_f64_e32 v[148:149], v[124:125], v[6:7]
	s_wait_loadcnt_dscnt 0xb00
	v_mul_f64_e32 v[150:151], v[132:133], v[10:11]
	v_mul_f64_e32 v[10:11], v[134:135], v[10:11]
	s_delay_alu instid0(VALU_DEP_4) | instskip(NEXT) | instid1(VALU_DEP_4)
	v_fma_f64 v[152:153], v[124:125], v[4:5], -v[144:145]
	v_fmac_f64_e32 v[148:149], v[126:127], v[4:5]
	ds_load_b128 v[4:7], v2 offset:768
	ds_load_b128 v[124:127], v2 offset:784
	scratch_load_b128 v[144:147], off, off offset:304
	v_fmac_f64_e32 v[150:151], v[134:135], v[8:9]
	v_fma_f64 v[132:133], v[132:133], v[8:9], -v[10:11]
	scratch_load_b128 v[8:11], off, off offset:320
	s_wait_loadcnt_dscnt 0xc01
	v_mul_f64_e32 v[154:155], v[4:5], v[14:15]
	v_mul_f64_e32 v[14:15], v[6:7], v[14:15]
	v_add_f64_e32 v[134:135], 0, v[152:153]
	v_add_f64_e32 v[148:149], 0, v[148:149]
	s_wait_loadcnt_dscnt 0xb00
	v_mul_f64_e32 v[152:153], v[124:125], v[98:99]
	v_mul_f64_e32 v[98:99], v[126:127], v[98:99]
	v_fmac_f64_e32 v[154:155], v[6:7], v[12:13]
	v_fma_f64 v[156:157], v[4:5], v[12:13], -v[14:15]
	ds_load_b128 v[4:7], v2 offset:800
	ds_load_b128 v[12:15], v2 offset:816
	v_add_f64_e32 v[158:159], v[134:135], v[132:133]
	v_add_f64_e32 v[148:149], v[148:149], v[150:151]
	scratch_load_b128 v[132:135], off, off offset:336
	v_fmac_f64_e32 v[152:153], v[126:127], v[96:97]
	v_fma_f64 v[124:125], v[124:125], v[96:97], -v[98:99]
	scratch_load_b128 v[96:99], off, off offset:352
	s_wait_loadcnt_dscnt 0xc01
	v_mul_f64_e32 v[150:151], v[4:5], v[102:103]
	v_mul_f64_e32 v[102:103], v[6:7], v[102:103]
	v_add_f64_e32 v[126:127], v[158:159], v[156:157]
	v_add_f64_e32 v[148:149], v[148:149], v[154:155]
	s_wait_loadcnt_dscnt 0xb00
	v_mul_f64_e32 v[154:155], v[12:13], v[106:107]
	v_mul_f64_e32 v[106:107], v[14:15], v[106:107]
	v_fmac_f64_e32 v[150:151], v[6:7], v[100:101]
	v_fma_f64 v[156:157], v[4:5], v[100:101], -v[102:103]
	ds_load_b128 v[4:7], v2 offset:832
	ds_load_b128 v[100:103], v2 offset:848
	v_add_f64_e32 v[158:159], v[126:127], v[124:125]
	v_add_f64_e32 v[148:149], v[148:149], v[152:153]
	scratch_load_b128 v[124:127], off, off offset:368
	s_wait_loadcnt_dscnt 0xb01
	v_mul_f64_e32 v[152:153], v[4:5], v[110:111]
	v_mul_f64_e32 v[110:111], v[6:7], v[110:111]
	v_fmac_f64_e32 v[154:155], v[14:15], v[104:105]
	v_fma_f64 v[104:105], v[12:13], v[104:105], -v[106:107]
	scratch_load_b128 v[12:15], off, off offset:384
	v_add_f64_e32 v[106:107], v[158:159], v[156:157]
	v_add_f64_e32 v[148:149], v[148:149], v[150:151]
	s_wait_loadcnt_dscnt 0xb00
	v_mul_f64_e32 v[150:151], v[100:101], v[114:115]
	v_mul_f64_e32 v[114:115], v[102:103], v[114:115]
	v_fmac_f64_e32 v[152:153], v[6:7], v[108:109]
	v_fma_f64 v[156:157], v[4:5], v[108:109], -v[110:111]
	v_add_f64_e32 v[158:159], v[106:107], v[104:105]
	v_add_f64_e32 v[148:149], v[148:149], v[154:155]
	ds_load_b128 v[4:7], v2 offset:864
	ds_load_b128 v[104:107], v2 offset:880
	scratch_load_b128 v[108:111], off, off offset:400
	v_fmac_f64_e32 v[150:151], v[102:103], v[112:113]
	v_fma_f64 v[112:113], v[100:101], v[112:113], -v[114:115]
	scratch_load_b128 v[100:103], off, off offset:416
	s_wait_loadcnt_dscnt 0xc01
	v_mul_f64_e32 v[154:155], v[4:5], v[118:119]
	v_mul_f64_e32 v[118:119], v[6:7], v[118:119]
	v_add_f64_e32 v[114:115], v[158:159], v[156:157]
	v_add_f64_e32 v[148:149], v[148:149], v[152:153]
	s_wait_loadcnt_dscnt 0xb00
	v_mul_f64_e32 v[152:153], v[104:105], v[122:123]
	v_mul_f64_e32 v[122:123], v[106:107], v[122:123]
	v_fmac_f64_e32 v[154:155], v[6:7], v[116:117]
	v_fma_f64 v[156:157], v[4:5], v[116:117], -v[118:119]
	v_add_f64_e32 v[158:159], v[114:115], v[112:113]
	v_add_f64_e32 v[148:149], v[148:149], v[150:151]
	ds_load_b128 v[4:7], v2 offset:896
	ds_load_b128 v[112:115], v2 offset:912
	scratch_load_b128 v[116:119], off, off offset:432
	v_fmac_f64_e32 v[152:153], v[106:107], v[120:121]
	v_fma_f64 v[120:121], v[104:105], v[120:121], -v[122:123]
	scratch_load_b128 v[104:107], off, off offset:448
	s_wait_loadcnt_dscnt 0xc01
	v_mul_f64_e32 v[150:151], v[4:5], v[130:131]
	v_mul_f64_e32 v[130:131], v[6:7], v[130:131]
	;; [unrolled: 18-line block ×5, first 2 shown]
	v_add_f64_e32 v[142:143], v[158:159], v[156:157]
	v_add_f64_e32 v[148:149], v[148:149], v[154:155]
	s_wait_loadcnt_dscnt 0xa00
	v_mul_f64_e32 v[154:155], v[120:121], v[14:15]
	v_mul_f64_e32 v[14:15], v[122:123], v[14:15]
	v_fmac_f64_e32 v[150:151], v[6:7], v[124:125]
	v_fma_f64 v[156:157], v[4:5], v[124:125], -v[126:127]
	ds_load_b128 v[4:7], v2 offset:1024
	ds_load_b128 v[124:127], v2 offset:1040
	v_add_f64_e32 v[158:159], v[142:143], v[140:141]
	v_add_f64_e32 v[148:149], v[148:149], v[152:153]
	scratch_load_b128 v[140:143], off, off offset:560
	v_fmac_f64_e32 v[154:155], v[122:123], v[12:13]
	v_fma_f64 v[120:121], v[120:121], v[12:13], -v[14:15]
	scratch_load_b128 v[12:15], off, off offset:576
	s_wait_loadcnt_dscnt 0xb01
	v_mul_f64_e32 v[152:153], v[4:5], v[110:111]
	v_mul_f64_e32 v[110:111], v[6:7], v[110:111]
	v_add_f64_e32 v[122:123], v[158:159], v[156:157]
	v_add_f64_e32 v[148:149], v[148:149], v[150:151]
	s_wait_loadcnt_dscnt 0xa00
	v_mul_f64_e32 v[150:151], v[124:125], v[102:103]
	v_mul_f64_e32 v[102:103], v[126:127], v[102:103]
	v_fmac_f64_e32 v[152:153], v[6:7], v[108:109]
	v_fma_f64 v[156:157], v[4:5], v[108:109], -v[110:111]
	ds_load_b128 v[4:7], v2 offset:1056
	ds_load_b128 v[108:111], v2 offset:1072
	v_add_f64_e32 v[158:159], v[122:123], v[120:121]
	v_add_f64_e32 v[148:149], v[148:149], v[154:155]
	scratch_load_b128 v[120:123], off, off offset:592
	s_wait_loadcnt_dscnt 0xa01
	v_mul_f64_e32 v[154:155], v[4:5], v[118:119]
	v_mul_f64_e32 v[118:119], v[6:7], v[118:119]
	v_fmac_f64_e32 v[150:151], v[126:127], v[100:101]
	v_fma_f64 v[124:125], v[124:125], v[100:101], -v[102:103]
	scratch_load_b128 v[100:103], off, off offset:608
	v_add_f64_e32 v[126:127], v[158:159], v[156:157]
	v_add_f64_e32 v[148:149], v[148:149], v[152:153]
	s_wait_loadcnt_dscnt 0xa00
	v_mul_f64_e32 v[152:153], v[108:109], v[106:107]
	v_mul_f64_e32 v[106:107], v[110:111], v[106:107]
	v_fmac_f64_e32 v[154:155], v[6:7], v[116:117]
	v_fma_f64 v[156:157], v[4:5], v[116:117], -v[118:119]
	ds_load_b128 v[4:7], v2 offset:1088
	ds_load_b128 v[116:119], v2 offset:1104
	v_add_f64_e32 v[124:125], v[126:127], v[124:125]
	v_add_f64_e32 v[126:127], v[148:149], v[150:151]
	v_fmac_f64_e32 v[152:153], v[110:111], v[104:105]
	s_wait_loadcnt_dscnt 0x901
	v_mul_f64_e32 v[148:149], v[4:5], v[130:131]
	v_mul_f64_e32 v[130:131], v[6:7], v[130:131]
	v_fma_f64 v[104:105], v[108:109], v[104:105], -v[106:107]
	s_wait_loadcnt_dscnt 0x800
	v_mul_f64_e32 v[110:111], v[116:117], v[114:115]
	v_mul_f64_e32 v[114:115], v[118:119], v[114:115]
	v_add_f64_e32 v[106:107], v[124:125], v[156:157]
	v_add_f64_e32 v[108:109], v[126:127], v[154:155]
	v_fmac_f64_e32 v[148:149], v[6:7], v[128:129]
	v_fma_f64 v[124:125], v[4:5], v[128:129], -v[130:131]
	v_fmac_f64_e32 v[110:111], v[118:119], v[112:113]
	v_fma_f64 v[112:113], v[116:117], v[112:113], -v[114:115]
	v_add_f64_e32 v[126:127], v[106:107], v[104:105]
	v_add_f64_e32 v[108:109], v[108:109], v[152:153]
	ds_load_b128 v[4:7], v2 offset:1120
	ds_load_b128 v[104:107], v2 offset:1136
	s_wait_loadcnt_dscnt 0x701
	v_mul_f64_e32 v[128:129], v[4:5], v[146:147]
	v_mul_f64_e32 v[130:131], v[6:7], v[146:147]
	s_wait_loadcnt_dscnt 0x600
	v_mul_f64_e32 v[116:117], v[104:105], v[10:11]
	v_mul_f64_e32 v[10:11], v[106:107], v[10:11]
	v_add_f64_e32 v[114:115], v[126:127], v[124:125]
	v_add_f64_e32 v[108:109], v[108:109], v[148:149]
	v_fmac_f64_e32 v[128:129], v[6:7], v[144:145]
	v_fma_f64 v[118:119], v[4:5], v[144:145], -v[130:131]
	v_fmac_f64_e32 v[116:117], v[106:107], v[8:9]
	v_fma_f64 v[8:9], v[104:105], v[8:9], -v[10:11]
	v_add_f64_e32 v[112:113], v[114:115], v[112:113]
	v_add_f64_e32 v[114:115], v[108:109], v[110:111]
	ds_load_b128 v[4:7], v2 offset:1152
	ds_load_b128 v[108:111], v2 offset:1168
	s_wait_loadcnt_dscnt 0x501
	v_mul_f64_e32 v[124:125], v[4:5], v[134:135]
	v_mul_f64_e32 v[126:127], v[6:7], v[134:135]
	;; [unrolled: 16-line block ×4, first 2 shown]
	s_wait_loadcnt_dscnt 0x0
	v_mul_f64_e32 v[14:15], v[96:97], v[102:103]
	v_mul_f64_e32 v[102:103], v[98:99], v[102:103]
	v_add_f64_e32 v[10:11], v[112:113], v[110:111]
	v_add_f64_e32 v[12:13], v[104:105], v[116:117]
	v_fmac_f64_e32 v[2:3], v[6:7], v[120:121]
	v_fma_f64 v[4:5], v[4:5], v[120:121], -v[106:107]
	v_fmac_f64_e32 v[14:15], v[98:99], v[100:101]
	v_add_f64_e32 v[6:7], v[10:11], v[8:9]
	v_add_f64_e32 v[8:9], v[12:13], v[108:109]
	v_fma_f64 v[10:11], v[96:97], v[100:101], -v[102:103]
	s_delay_alu instid0(VALU_DEP_3) | instskip(NEXT) | instid1(VALU_DEP_3)
	v_add_f64_e32 v[4:5], v[6:7], v[4:5]
	v_add_f64_e32 v[2:3], v[8:9], v[2:3]
	s_delay_alu instid0(VALU_DEP_2) | instskip(NEXT) | instid1(VALU_DEP_2)
	v_add_f64_e32 v[4:5], v[4:5], v[10:11]
	v_add_f64_e32 v[6:7], v[2:3], v[14:15]
	s_delay_alu instid0(VALU_DEP_2) | instskip(NEXT) | instid1(VALU_DEP_2)
	v_add_f64_e64 v[2:3], v[136:137], -v[4:5]
	v_add_f64_e64 v[4:5], v[138:139], -v[6:7]
	scratch_store_b128 off, v[2:5], off offset:96
	s_wait_xcnt 0x0
	v_cmpx_lt_u32_e32 5, v1
	s_cbranch_execz .LBB102_237
; %bb.236:
	scratch_load_b128 v[2:5], off, s50
	v_mov_b32_e32 v6, 0
	s_delay_alu instid0(VALU_DEP_1)
	v_dual_mov_b32 v7, v6 :: v_dual_mov_b32 v8, v6
	v_mov_b32_e32 v9, v6
	scratch_store_b128 off, v[6:9], off offset:80
	s_wait_loadcnt 0x0
	ds_store_b128 v94, v[2:5]
.LBB102_237:
	s_wait_xcnt 0x0
	s_or_b32 exec_lo, exec_lo, s2
	s_wait_storecnt_dscnt 0x0
	s_barrier_signal -1
	s_barrier_wait -1
	s_clause 0x9
	scratch_load_b128 v[4:7], off, off offset:96
	scratch_load_b128 v[8:11], off, off offset:112
	;; [unrolled: 1-line block ×10, first 2 shown]
	v_mov_b32_e32 v2, 0
	s_mov_b32 s2, exec_lo
	ds_load_b128 v[124:127], v2 offset:720
	s_clause 0x2
	scratch_load_b128 v[128:131], off, off offset:256
	scratch_load_b128 v[132:135], off, off offset:80
	;; [unrolled: 1-line block ×3, first 2 shown]
	s_wait_loadcnt_dscnt 0xc00
	v_mul_f64_e32 v[144:145], v[126:127], v[6:7]
	v_mul_f64_e32 v[148:149], v[124:125], v[6:7]
	ds_load_b128 v[136:139], v2 offset:736
	v_fma_f64 v[152:153], v[124:125], v[4:5], -v[144:145]
	v_fmac_f64_e32 v[148:149], v[126:127], v[4:5]
	ds_load_b128 v[4:7], v2 offset:752
	s_wait_loadcnt_dscnt 0xb01
	v_mul_f64_e32 v[150:151], v[136:137], v[10:11]
	v_mul_f64_e32 v[10:11], v[138:139], v[10:11]
	scratch_load_b128 v[124:127], off, off offset:288
	ds_load_b128 v[144:147], v2 offset:768
	s_wait_loadcnt_dscnt 0xb01
	v_mul_f64_e32 v[154:155], v[4:5], v[14:15]
	v_mul_f64_e32 v[14:15], v[6:7], v[14:15]
	v_add_f64_e32 v[148:149], 0, v[148:149]
	v_fmac_f64_e32 v[150:151], v[138:139], v[8:9]
	v_fma_f64 v[136:137], v[136:137], v[8:9], -v[10:11]
	v_add_f64_e32 v[138:139], 0, v[152:153]
	scratch_load_b128 v[8:11], off, off offset:304
	v_fmac_f64_e32 v[154:155], v[6:7], v[12:13]
	v_fma_f64 v[156:157], v[4:5], v[12:13], -v[14:15]
	ds_load_b128 v[4:7], v2 offset:784
	s_wait_loadcnt_dscnt 0xb01
	v_mul_f64_e32 v[152:153], v[144:145], v[98:99]
	v_mul_f64_e32 v[98:99], v[146:147], v[98:99]
	scratch_load_b128 v[12:15], off, off offset:320
	v_add_f64_e32 v[148:149], v[148:149], v[150:151]
	v_add_f64_e32 v[158:159], v[138:139], v[136:137]
	ds_load_b128 v[136:139], v2 offset:800
	s_wait_loadcnt_dscnt 0xb01
	v_mul_f64_e32 v[150:151], v[4:5], v[102:103]
	v_mul_f64_e32 v[102:103], v[6:7], v[102:103]
	v_fmac_f64_e32 v[152:153], v[146:147], v[96:97]
	v_fma_f64 v[144:145], v[144:145], v[96:97], -v[98:99]
	scratch_load_b128 v[96:99], off, off offset:336
	v_add_f64_e32 v[148:149], v[148:149], v[154:155]
	v_add_f64_e32 v[146:147], v[158:159], v[156:157]
	v_fmac_f64_e32 v[150:151], v[6:7], v[100:101]
	v_fma_f64 v[156:157], v[4:5], v[100:101], -v[102:103]
	ds_load_b128 v[4:7], v2 offset:816
	s_wait_loadcnt_dscnt 0xb01
	v_mul_f64_e32 v[154:155], v[136:137], v[106:107]
	v_mul_f64_e32 v[106:107], v[138:139], v[106:107]
	scratch_load_b128 v[100:103], off, off offset:352
	v_add_f64_e32 v[148:149], v[148:149], v[152:153]
	s_wait_loadcnt_dscnt 0xb00
	v_mul_f64_e32 v[152:153], v[4:5], v[110:111]
	v_add_f64_e32 v[158:159], v[146:147], v[144:145]
	v_mul_f64_e32 v[110:111], v[6:7], v[110:111]
	ds_load_b128 v[144:147], v2 offset:832
	v_fmac_f64_e32 v[154:155], v[138:139], v[104:105]
	v_fma_f64 v[136:137], v[136:137], v[104:105], -v[106:107]
	scratch_load_b128 v[104:107], off, off offset:368
	v_add_f64_e32 v[148:149], v[148:149], v[150:151]
	v_fmac_f64_e32 v[152:153], v[6:7], v[108:109]
	v_add_f64_e32 v[138:139], v[158:159], v[156:157]
	v_fma_f64 v[156:157], v[4:5], v[108:109], -v[110:111]
	ds_load_b128 v[4:7], v2 offset:848
	s_wait_loadcnt_dscnt 0xb01
	v_mul_f64_e32 v[150:151], v[144:145], v[114:115]
	v_mul_f64_e32 v[114:115], v[146:147], v[114:115]
	scratch_load_b128 v[108:111], off, off offset:384
	v_add_f64_e32 v[148:149], v[148:149], v[154:155]
	s_wait_loadcnt_dscnt 0xb00
	v_mul_f64_e32 v[154:155], v[4:5], v[118:119]
	v_add_f64_e32 v[158:159], v[138:139], v[136:137]
	v_mul_f64_e32 v[118:119], v[6:7], v[118:119]
	ds_load_b128 v[136:139], v2 offset:864
	v_fmac_f64_e32 v[150:151], v[146:147], v[112:113]
	v_fma_f64 v[144:145], v[144:145], v[112:113], -v[114:115]
	scratch_load_b128 v[112:115], off, off offset:400
	v_add_f64_e32 v[148:149], v[148:149], v[152:153]
	v_fmac_f64_e32 v[154:155], v[6:7], v[116:117]
	v_add_f64_e32 v[146:147], v[158:159], v[156:157]
	;; [unrolled: 18-line block ×3, first 2 shown]
	v_fma_f64 v[156:157], v[4:5], v[128:129], -v[130:131]
	ds_load_b128 v[4:7], v2 offset:912
	s_wait_loadcnt_dscnt 0xa01
	v_mul_f64_e32 v[154:155], v[144:145], v[142:143]
	v_mul_f64_e32 v[142:143], v[146:147], v[142:143]
	scratch_load_b128 v[128:131], off, off offset:448
	v_add_f64_e32 v[148:149], v[148:149], v[152:153]
	v_add_f64_e32 v[158:159], v[138:139], v[136:137]
	s_wait_loadcnt_dscnt 0xa00
	v_mul_f64_e32 v[152:153], v[4:5], v[126:127]
	v_mul_f64_e32 v[126:127], v[6:7], v[126:127]
	v_fmac_f64_e32 v[154:155], v[146:147], v[140:141]
	v_fma_f64 v[144:145], v[144:145], v[140:141], -v[142:143]
	ds_load_b128 v[136:139], v2 offset:928
	scratch_load_b128 v[140:143], off, off offset:464
	v_add_f64_e32 v[148:149], v[148:149], v[150:151]
	v_add_f64_e32 v[146:147], v[158:159], v[156:157]
	v_fmac_f64_e32 v[152:153], v[6:7], v[124:125]
	v_fma_f64 v[156:157], v[4:5], v[124:125], -v[126:127]
	ds_load_b128 v[4:7], v2 offset:944
	s_wait_loadcnt_dscnt 0xa01
	v_mul_f64_e32 v[150:151], v[136:137], v[10:11]
	v_mul_f64_e32 v[10:11], v[138:139], v[10:11]
	scratch_load_b128 v[124:127], off, off offset:480
	v_add_f64_e32 v[148:149], v[148:149], v[154:155]
	s_wait_loadcnt_dscnt 0xa00
	v_mul_f64_e32 v[154:155], v[4:5], v[14:15]
	v_add_f64_e32 v[158:159], v[146:147], v[144:145]
	v_mul_f64_e32 v[14:15], v[6:7], v[14:15]
	ds_load_b128 v[144:147], v2 offset:960
	v_fmac_f64_e32 v[150:151], v[138:139], v[8:9]
	v_fma_f64 v[136:137], v[136:137], v[8:9], -v[10:11]
	scratch_load_b128 v[8:11], off, off offset:496
	v_add_f64_e32 v[148:149], v[148:149], v[152:153]
	v_fmac_f64_e32 v[154:155], v[6:7], v[12:13]
	v_add_f64_e32 v[138:139], v[158:159], v[156:157]
	v_fma_f64 v[156:157], v[4:5], v[12:13], -v[14:15]
	ds_load_b128 v[4:7], v2 offset:976
	s_wait_loadcnt_dscnt 0xa01
	v_mul_f64_e32 v[152:153], v[144:145], v[98:99]
	v_mul_f64_e32 v[98:99], v[146:147], v[98:99]
	scratch_load_b128 v[12:15], off, off offset:512
	v_add_f64_e32 v[148:149], v[148:149], v[150:151]
	s_wait_loadcnt_dscnt 0xa00
	v_mul_f64_e32 v[150:151], v[4:5], v[102:103]
	v_add_f64_e32 v[158:159], v[138:139], v[136:137]
	v_mul_f64_e32 v[102:103], v[6:7], v[102:103]
	ds_load_b128 v[136:139], v2 offset:992
	v_fmac_f64_e32 v[152:153], v[146:147], v[96:97]
	v_fma_f64 v[144:145], v[144:145], v[96:97], -v[98:99]
	scratch_load_b128 v[96:99], off, off offset:528
	v_add_f64_e32 v[148:149], v[148:149], v[154:155]
	v_fmac_f64_e32 v[150:151], v[6:7], v[100:101]
	v_add_f64_e32 v[146:147], v[158:159], v[156:157]
	;; [unrolled: 18-line block ×4, first 2 shown]
	v_fma_f64 v[156:157], v[4:5], v[116:117], -v[118:119]
	ds_load_b128 v[4:7], v2 offset:1072
	s_wait_loadcnt_dscnt 0xa01
	v_mul_f64_e32 v[152:153], v[136:137], v[122:123]
	v_mul_f64_e32 v[122:123], v[138:139], v[122:123]
	scratch_load_b128 v[116:119], off, off offset:608
	v_add_f64_e32 v[148:149], v[148:149], v[150:151]
	s_wait_loadcnt_dscnt 0xa00
	v_mul_f64_e32 v[150:151], v[4:5], v[130:131]
	v_add_f64_e32 v[158:159], v[146:147], v[144:145]
	v_mul_f64_e32 v[130:131], v[6:7], v[130:131]
	ds_load_b128 v[144:147], v2 offset:1088
	v_fmac_f64_e32 v[152:153], v[138:139], v[120:121]
	v_fma_f64 v[120:121], v[136:137], v[120:121], -v[122:123]
	s_wait_loadcnt_dscnt 0x900
	v_mul_f64_e32 v[138:139], v[144:145], v[142:143]
	v_mul_f64_e32 v[142:143], v[146:147], v[142:143]
	v_add_f64_e32 v[136:137], v[148:149], v[154:155]
	v_fmac_f64_e32 v[150:151], v[6:7], v[128:129]
	v_add_f64_e32 v[122:123], v[158:159], v[156:157]
	v_fma_f64 v[128:129], v[4:5], v[128:129], -v[130:131]
	v_fmac_f64_e32 v[138:139], v[146:147], v[140:141]
	v_fma_f64 v[140:141], v[144:145], v[140:141], -v[142:143]
	v_add_f64_e32 v[136:137], v[136:137], v[152:153]
	v_add_f64_e32 v[130:131], v[122:123], v[120:121]
	ds_load_b128 v[4:7], v2 offset:1104
	ds_load_b128 v[120:123], v2 offset:1120
	s_wait_loadcnt_dscnt 0x801
	v_mul_f64_e32 v[148:149], v[4:5], v[126:127]
	v_mul_f64_e32 v[126:127], v[6:7], v[126:127]
	v_add_f64_e32 v[128:129], v[130:131], v[128:129]
	v_add_f64_e32 v[130:131], v[136:137], v[150:151]
	s_wait_loadcnt_dscnt 0x700
	v_mul_f64_e32 v[136:137], v[120:121], v[10:11]
	v_mul_f64_e32 v[10:11], v[122:123], v[10:11]
	v_fmac_f64_e32 v[148:149], v[6:7], v[124:125]
	v_fma_f64 v[142:143], v[4:5], v[124:125], -v[126:127]
	ds_load_b128 v[4:7], v2 offset:1136
	ds_load_b128 v[124:127], v2 offset:1152
	v_add_f64_e32 v[128:129], v[128:129], v[140:141]
	v_add_f64_e32 v[130:131], v[130:131], v[138:139]
	v_fmac_f64_e32 v[136:137], v[122:123], v[8:9]
	v_fma_f64 v[8:9], v[120:121], v[8:9], -v[10:11]
	s_wait_loadcnt_dscnt 0x601
	v_mul_f64_e32 v[138:139], v[4:5], v[14:15]
	v_mul_f64_e32 v[14:15], v[6:7], v[14:15]
	s_wait_loadcnt_dscnt 0x500
	v_mul_f64_e32 v[122:123], v[124:125], v[98:99]
	v_mul_f64_e32 v[98:99], v[126:127], v[98:99]
	v_add_f64_e32 v[10:11], v[128:129], v[142:143]
	v_add_f64_e32 v[120:121], v[130:131], v[148:149]
	v_fmac_f64_e32 v[138:139], v[6:7], v[12:13]
	v_fma_f64 v[12:13], v[4:5], v[12:13], -v[14:15]
	v_fmac_f64_e32 v[122:123], v[126:127], v[96:97]
	v_fma_f64 v[96:97], v[124:125], v[96:97], -v[98:99]
	v_add_f64_e32 v[14:15], v[10:11], v[8:9]
	v_add_f64_e32 v[120:121], v[120:121], v[136:137]
	ds_load_b128 v[4:7], v2 offset:1168
	ds_load_b128 v[8:11], v2 offset:1184
	s_wait_loadcnt_dscnt 0x401
	v_mul_f64_e32 v[128:129], v[4:5], v[102:103]
	v_mul_f64_e32 v[102:103], v[6:7], v[102:103]
	s_wait_loadcnt_dscnt 0x300
	v_mul_f64_e32 v[98:99], v[8:9], v[106:107]
	v_mul_f64_e32 v[106:107], v[10:11], v[106:107]
	v_add_f64_e32 v[12:13], v[14:15], v[12:13]
	v_add_f64_e32 v[14:15], v[120:121], v[138:139]
	v_fmac_f64_e32 v[128:129], v[6:7], v[100:101]
	v_fma_f64 v[100:101], v[4:5], v[100:101], -v[102:103]
	v_fmac_f64_e32 v[98:99], v[10:11], v[104:105]
	v_fma_f64 v[8:9], v[8:9], v[104:105], -v[106:107]
	v_add_f64_e32 v[96:97], v[12:13], v[96:97]
	v_add_f64_e32 v[102:103], v[14:15], v[122:123]
	ds_load_b128 v[4:7], v2 offset:1200
	ds_load_b128 v[12:15], v2 offset:1216
	s_wait_loadcnt_dscnt 0x201
	v_mul_f64_e32 v[120:121], v[4:5], v[110:111]
	v_mul_f64_e32 v[110:111], v[6:7], v[110:111]
	v_add_f64_e32 v[10:11], v[96:97], v[100:101]
	v_add_f64_e32 v[96:97], v[102:103], v[128:129]
	s_wait_loadcnt_dscnt 0x100
	v_mul_f64_e32 v[100:101], v[12:13], v[114:115]
	v_mul_f64_e32 v[102:103], v[14:15], v[114:115]
	v_fmac_f64_e32 v[120:121], v[6:7], v[108:109]
	v_fma_f64 v[104:105], v[4:5], v[108:109], -v[110:111]
	ds_load_b128 v[4:7], v2 offset:1232
	v_add_f64_e32 v[8:9], v[10:11], v[8:9]
	v_add_f64_e32 v[10:11], v[96:97], v[98:99]
	v_fmac_f64_e32 v[100:101], v[14:15], v[112:113]
	v_fma_f64 v[12:13], v[12:13], v[112:113], -v[102:103]
	s_wait_loadcnt_dscnt 0x0
	v_mul_f64_e32 v[96:97], v[4:5], v[118:119]
	v_mul_f64_e32 v[98:99], v[6:7], v[118:119]
	v_add_f64_e32 v[8:9], v[8:9], v[104:105]
	v_add_f64_e32 v[10:11], v[10:11], v[120:121]
	s_delay_alu instid0(VALU_DEP_4) | instskip(NEXT) | instid1(VALU_DEP_4)
	v_fmac_f64_e32 v[96:97], v[6:7], v[116:117]
	v_fma_f64 v[4:5], v[4:5], v[116:117], -v[98:99]
	s_delay_alu instid0(VALU_DEP_4) | instskip(NEXT) | instid1(VALU_DEP_4)
	v_add_f64_e32 v[6:7], v[8:9], v[12:13]
	v_add_f64_e32 v[8:9], v[10:11], v[100:101]
	s_delay_alu instid0(VALU_DEP_2) | instskip(NEXT) | instid1(VALU_DEP_2)
	v_add_f64_e32 v[4:5], v[6:7], v[4:5]
	v_add_f64_e32 v[6:7], v[8:9], v[96:97]
	s_delay_alu instid0(VALU_DEP_2) | instskip(NEXT) | instid1(VALU_DEP_2)
	v_add_f64_e64 v[4:5], v[132:133], -v[4:5]
	v_add_f64_e64 v[6:7], v[134:135], -v[6:7]
	scratch_store_b128 off, v[4:7], off offset:80
	s_wait_xcnt 0x0
	v_cmpx_lt_u32_e32 4, v1
	s_cbranch_execz .LBB102_239
; %bb.238:
	scratch_load_b128 v[6:9], off, s12
	v_dual_mov_b32 v3, v2 :: v_dual_mov_b32 v4, v2
	v_mov_b32_e32 v5, v2
	scratch_store_b128 off, v[2:5], off offset:64
	s_wait_loadcnt 0x0
	ds_store_b128 v94, v[6:9]
.LBB102_239:
	s_wait_xcnt 0x0
	s_or_b32 exec_lo, exec_lo, s2
	s_wait_storecnt_dscnt 0x0
	s_barrier_signal -1
	s_barrier_wait -1
	s_clause 0x9
	scratch_load_b128 v[4:7], off, off offset:80
	scratch_load_b128 v[8:11], off, off offset:96
	;; [unrolled: 1-line block ×10, first 2 shown]
	ds_load_b128 v[124:127], v2 offset:704
	ds_load_b128 v[132:135], v2 offset:720
	s_clause 0x2
	scratch_load_b128 v[128:131], off, off offset:240
	scratch_load_b128 v[136:139], off, off offset:64
	;; [unrolled: 1-line block ×3, first 2 shown]
	s_mov_b32 s2, exec_lo
	s_wait_loadcnt_dscnt 0xc01
	v_mul_f64_e32 v[144:145], v[126:127], v[6:7]
	v_mul_f64_e32 v[148:149], v[124:125], v[6:7]
	s_wait_loadcnt_dscnt 0xb00
	v_mul_f64_e32 v[150:151], v[132:133], v[10:11]
	v_mul_f64_e32 v[10:11], v[134:135], v[10:11]
	s_delay_alu instid0(VALU_DEP_4) | instskip(NEXT) | instid1(VALU_DEP_4)
	v_fma_f64 v[152:153], v[124:125], v[4:5], -v[144:145]
	v_fmac_f64_e32 v[148:149], v[126:127], v[4:5]
	ds_load_b128 v[4:7], v2 offset:736
	ds_load_b128 v[124:127], v2 offset:752
	scratch_load_b128 v[144:147], off, off offset:272
	v_fmac_f64_e32 v[150:151], v[134:135], v[8:9]
	v_fma_f64 v[132:133], v[132:133], v[8:9], -v[10:11]
	scratch_load_b128 v[8:11], off, off offset:288
	s_wait_loadcnt_dscnt 0xc01
	v_mul_f64_e32 v[154:155], v[4:5], v[14:15]
	v_mul_f64_e32 v[14:15], v[6:7], v[14:15]
	v_add_f64_e32 v[134:135], 0, v[152:153]
	v_add_f64_e32 v[148:149], 0, v[148:149]
	s_wait_loadcnt_dscnt 0xb00
	v_mul_f64_e32 v[152:153], v[124:125], v[98:99]
	v_mul_f64_e32 v[98:99], v[126:127], v[98:99]
	v_fmac_f64_e32 v[154:155], v[6:7], v[12:13]
	v_fma_f64 v[156:157], v[4:5], v[12:13], -v[14:15]
	ds_load_b128 v[4:7], v2 offset:768
	ds_load_b128 v[12:15], v2 offset:784
	v_add_f64_e32 v[158:159], v[134:135], v[132:133]
	v_add_f64_e32 v[148:149], v[148:149], v[150:151]
	scratch_load_b128 v[132:135], off, off offset:304
	v_fmac_f64_e32 v[152:153], v[126:127], v[96:97]
	v_fma_f64 v[124:125], v[124:125], v[96:97], -v[98:99]
	scratch_load_b128 v[96:99], off, off offset:320
	s_wait_loadcnt_dscnt 0xc01
	v_mul_f64_e32 v[150:151], v[4:5], v[102:103]
	v_mul_f64_e32 v[102:103], v[6:7], v[102:103]
	v_add_f64_e32 v[126:127], v[158:159], v[156:157]
	v_add_f64_e32 v[148:149], v[148:149], v[154:155]
	s_wait_loadcnt_dscnt 0xb00
	v_mul_f64_e32 v[154:155], v[12:13], v[106:107]
	v_mul_f64_e32 v[106:107], v[14:15], v[106:107]
	v_fmac_f64_e32 v[150:151], v[6:7], v[100:101]
	v_fma_f64 v[156:157], v[4:5], v[100:101], -v[102:103]
	ds_load_b128 v[4:7], v2 offset:800
	ds_load_b128 v[100:103], v2 offset:816
	v_add_f64_e32 v[158:159], v[126:127], v[124:125]
	v_add_f64_e32 v[148:149], v[148:149], v[152:153]
	scratch_load_b128 v[124:127], off, off offset:336
	s_wait_loadcnt_dscnt 0xb01
	v_mul_f64_e32 v[152:153], v[4:5], v[110:111]
	v_mul_f64_e32 v[110:111], v[6:7], v[110:111]
	v_fmac_f64_e32 v[154:155], v[14:15], v[104:105]
	v_fma_f64 v[104:105], v[12:13], v[104:105], -v[106:107]
	scratch_load_b128 v[12:15], off, off offset:352
	v_add_f64_e32 v[106:107], v[158:159], v[156:157]
	v_add_f64_e32 v[148:149], v[148:149], v[150:151]
	s_wait_loadcnt_dscnt 0xb00
	v_mul_f64_e32 v[150:151], v[100:101], v[114:115]
	v_mul_f64_e32 v[114:115], v[102:103], v[114:115]
	v_fmac_f64_e32 v[152:153], v[6:7], v[108:109]
	v_fma_f64 v[156:157], v[4:5], v[108:109], -v[110:111]
	v_add_f64_e32 v[158:159], v[106:107], v[104:105]
	v_add_f64_e32 v[148:149], v[148:149], v[154:155]
	ds_load_b128 v[4:7], v2 offset:832
	ds_load_b128 v[104:107], v2 offset:848
	scratch_load_b128 v[108:111], off, off offset:368
	v_fmac_f64_e32 v[150:151], v[102:103], v[112:113]
	v_fma_f64 v[112:113], v[100:101], v[112:113], -v[114:115]
	scratch_load_b128 v[100:103], off, off offset:384
	s_wait_loadcnt_dscnt 0xc01
	v_mul_f64_e32 v[154:155], v[4:5], v[118:119]
	v_mul_f64_e32 v[118:119], v[6:7], v[118:119]
	v_add_f64_e32 v[114:115], v[158:159], v[156:157]
	v_add_f64_e32 v[148:149], v[148:149], v[152:153]
	s_wait_loadcnt_dscnt 0xb00
	v_mul_f64_e32 v[152:153], v[104:105], v[122:123]
	v_mul_f64_e32 v[122:123], v[106:107], v[122:123]
	v_fmac_f64_e32 v[154:155], v[6:7], v[116:117]
	v_fma_f64 v[156:157], v[4:5], v[116:117], -v[118:119]
	v_add_f64_e32 v[158:159], v[114:115], v[112:113]
	v_add_f64_e32 v[148:149], v[148:149], v[150:151]
	ds_load_b128 v[4:7], v2 offset:864
	ds_load_b128 v[112:115], v2 offset:880
	scratch_load_b128 v[116:119], off, off offset:400
	v_fmac_f64_e32 v[152:153], v[106:107], v[120:121]
	v_fma_f64 v[120:121], v[104:105], v[120:121], -v[122:123]
	scratch_load_b128 v[104:107], off, off offset:416
	s_wait_loadcnt_dscnt 0xc01
	v_mul_f64_e32 v[150:151], v[4:5], v[130:131]
	v_mul_f64_e32 v[130:131], v[6:7], v[130:131]
	;; [unrolled: 18-line block ×5, first 2 shown]
	v_add_f64_e32 v[142:143], v[158:159], v[156:157]
	v_add_f64_e32 v[148:149], v[148:149], v[154:155]
	s_wait_loadcnt_dscnt 0xa00
	v_mul_f64_e32 v[154:155], v[120:121], v[14:15]
	v_mul_f64_e32 v[14:15], v[122:123], v[14:15]
	v_fmac_f64_e32 v[150:151], v[6:7], v[124:125]
	v_fma_f64 v[156:157], v[4:5], v[124:125], -v[126:127]
	ds_load_b128 v[4:7], v2 offset:992
	ds_load_b128 v[124:127], v2 offset:1008
	v_add_f64_e32 v[158:159], v[142:143], v[140:141]
	v_add_f64_e32 v[148:149], v[148:149], v[152:153]
	scratch_load_b128 v[140:143], off, off offset:528
	v_fmac_f64_e32 v[154:155], v[122:123], v[12:13]
	v_fma_f64 v[120:121], v[120:121], v[12:13], -v[14:15]
	scratch_load_b128 v[12:15], off, off offset:544
	s_wait_loadcnt_dscnt 0xb01
	v_mul_f64_e32 v[152:153], v[4:5], v[110:111]
	v_mul_f64_e32 v[110:111], v[6:7], v[110:111]
	v_add_f64_e32 v[122:123], v[158:159], v[156:157]
	v_add_f64_e32 v[148:149], v[148:149], v[150:151]
	s_wait_loadcnt_dscnt 0xa00
	v_mul_f64_e32 v[150:151], v[124:125], v[102:103]
	v_mul_f64_e32 v[102:103], v[126:127], v[102:103]
	v_fmac_f64_e32 v[152:153], v[6:7], v[108:109]
	v_fma_f64 v[156:157], v[4:5], v[108:109], -v[110:111]
	ds_load_b128 v[4:7], v2 offset:1024
	ds_load_b128 v[108:111], v2 offset:1040
	v_add_f64_e32 v[158:159], v[122:123], v[120:121]
	v_add_f64_e32 v[148:149], v[148:149], v[154:155]
	scratch_load_b128 v[120:123], off, off offset:560
	s_wait_loadcnt_dscnt 0xa01
	v_mul_f64_e32 v[154:155], v[4:5], v[118:119]
	v_mul_f64_e32 v[118:119], v[6:7], v[118:119]
	v_fmac_f64_e32 v[150:151], v[126:127], v[100:101]
	v_fma_f64 v[124:125], v[124:125], v[100:101], -v[102:103]
	scratch_load_b128 v[100:103], off, off offset:576
	v_add_f64_e32 v[126:127], v[158:159], v[156:157]
	v_add_f64_e32 v[148:149], v[148:149], v[152:153]
	s_wait_loadcnt_dscnt 0xa00
	v_mul_f64_e32 v[152:153], v[108:109], v[106:107]
	v_mul_f64_e32 v[106:107], v[110:111], v[106:107]
	v_fmac_f64_e32 v[154:155], v[6:7], v[116:117]
	v_fma_f64 v[156:157], v[4:5], v[116:117], -v[118:119]
	ds_load_b128 v[4:7], v2 offset:1056
	ds_load_b128 v[116:119], v2 offset:1072
	v_add_f64_e32 v[158:159], v[126:127], v[124:125]
	v_add_f64_e32 v[148:149], v[148:149], v[150:151]
	scratch_load_b128 v[124:127], off, off offset:592
	s_wait_loadcnt_dscnt 0xa01
	v_mul_f64_e32 v[150:151], v[4:5], v[130:131]
	v_mul_f64_e32 v[130:131], v[6:7], v[130:131]
	v_fmac_f64_e32 v[152:153], v[110:111], v[104:105]
	v_fma_f64 v[108:109], v[108:109], v[104:105], -v[106:107]
	scratch_load_b128 v[104:107], off, off offset:608
	v_add_f64_e32 v[110:111], v[158:159], v[156:157]
	v_add_f64_e32 v[148:149], v[148:149], v[154:155]
	s_wait_loadcnt_dscnt 0xa00
	v_mul_f64_e32 v[154:155], v[116:117], v[114:115]
	v_mul_f64_e32 v[114:115], v[118:119], v[114:115]
	v_fmac_f64_e32 v[150:151], v[6:7], v[128:129]
	v_fma_f64 v[128:129], v[4:5], v[128:129], -v[130:131]
	v_add_f64_e32 v[130:131], v[110:111], v[108:109]
	v_add_f64_e32 v[148:149], v[148:149], v[152:153]
	ds_load_b128 v[4:7], v2 offset:1088
	ds_load_b128 v[108:111], v2 offset:1104
	v_fmac_f64_e32 v[154:155], v[118:119], v[112:113]
	v_fma_f64 v[112:113], v[116:117], v[112:113], -v[114:115]
	s_wait_loadcnt_dscnt 0x901
	v_mul_f64_e32 v[152:153], v[4:5], v[146:147]
	v_mul_f64_e32 v[146:147], v[6:7], v[146:147]
	s_wait_loadcnt_dscnt 0x800
	v_mul_f64_e32 v[118:119], v[108:109], v[10:11]
	v_mul_f64_e32 v[10:11], v[110:111], v[10:11]
	v_add_f64_e32 v[114:115], v[130:131], v[128:129]
	v_add_f64_e32 v[116:117], v[148:149], v[150:151]
	v_fmac_f64_e32 v[152:153], v[6:7], v[144:145]
	v_fma_f64 v[128:129], v[4:5], v[144:145], -v[146:147]
	v_fmac_f64_e32 v[118:119], v[110:111], v[8:9]
	v_fma_f64 v[8:9], v[108:109], v[8:9], -v[10:11]
	v_add_f64_e32 v[130:131], v[114:115], v[112:113]
	v_add_f64_e32 v[116:117], v[116:117], v[154:155]
	ds_load_b128 v[4:7], v2 offset:1120
	ds_load_b128 v[112:115], v2 offset:1136
	s_wait_loadcnt_dscnt 0x701
	v_mul_f64_e32 v[144:145], v[4:5], v[134:135]
	v_mul_f64_e32 v[134:135], v[6:7], v[134:135]
	s_wait_loadcnt_dscnt 0x600
	v_mul_f64_e32 v[110:111], v[112:113], v[98:99]
	v_mul_f64_e32 v[98:99], v[114:115], v[98:99]
	v_add_f64_e32 v[10:11], v[130:131], v[128:129]
	v_add_f64_e32 v[108:109], v[116:117], v[152:153]
	v_fmac_f64_e32 v[144:145], v[6:7], v[132:133]
	v_fma_f64 v[116:117], v[4:5], v[132:133], -v[134:135]
	v_fmac_f64_e32 v[110:111], v[114:115], v[96:97]
	v_fma_f64 v[96:97], v[112:113], v[96:97], -v[98:99]
	v_add_f64_e32 v[128:129], v[10:11], v[8:9]
	v_add_f64_e32 v[108:109], v[108:109], v[118:119]
	ds_load_b128 v[4:7], v2 offset:1152
	ds_load_b128 v[8:11], v2 offset:1168
	;; [unrolled: 16-line block ×4, first 2 shown]
	s_wait_loadcnt_dscnt 0x101
	v_mul_f64_e32 v[2:3], v[4:5], v[126:127]
	v_mul_f64_e32 v[112:113], v[6:7], v[126:127]
	s_wait_loadcnt_dscnt 0x0
	v_mul_f64_e32 v[100:101], v[8:9], v[106:107]
	v_mul_f64_e32 v[102:103], v[10:11], v[106:107]
	v_add_f64_e32 v[98:99], v[114:115], v[108:109]
	v_add_f64_e32 v[12:13], v[12:13], v[110:111]
	v_fmac_f64_e32 v[2:3], v[6:7], v[124:125]
	v_fma_f64 v[4:5], v[4:5], v[124:125], -v[112:113]
	v_fmac_f64_e32 v[100:101], v[10:11], v[104:105]
	v_fma_f64 v[8:9], v[8:9], v[104:105], -v[102:103]
	v_add_f64_e32 v[6:7], v[98:99], v[96:97]
	v_add_f64_e32 v[12:13], v[12:13], v[14:15]
	s_delay_alu instid0(VALU_DEP_2) | instskip(NEXT) | instid1(VALU_DEP_2)
	v_add_f64_e32 v[4:5], v[6:7], v[4:5]
	v_add_f64_e32 v[2:3], v[12:13], v[2:3]
	s_delay_alu instid0(VALU_DEP_2) | instskip(NEXT) | instid1(VALU_DEP_2)
	;; [unrolled: 3-line block ×3, first 2 shown]
	v_add_f64_e64 v[2:3], v[136:137], -v[4:5]
	v_add_f64_e64 v[4:5], v[138:139], -v[6:7]
	scratch_store_b128 off, v[2:5], off offset:64
	s_wait_xcnt 0x0
	v_cmpx_lt_u32_e32 3, v1
	s_cbranch_execz .LBB102_241
; %bb.240:
	scratch_load_b128 v[2:5], off, s14
	v_mov_b32_e32 v6, 0
	s_delay_alu instid0(VALU_DEP_1)
	v_dual_mov_b32 v7, v6 :: v_dual_mov_b32 v8, v6
	v_mov_b32_e32 v9, v6
	scratch_store_b128 off, v[6:9], off offset:48
	s_wait_loadcnt 0x0
	ds_store_b128 v94, v[2:5]
.LBB102_241:
	s_wait_xcnt 0x0
	s_or_b32 exec_lo, exec_lo, s2
	s_wait_storecnt_dscnt 0x0
	s_barrier_signal -1
	s_barrier_wait -1
	s_clause 0x9
	scratch_load_b128 v[4:7], off, off offset:64
	scratch_load_b128 v[8:11], off, off offset:80
	;; [unrolled: 1-line block ×10, first 2 shown]
	v_mov_b32_e32 v2, 0
	s_mov_b32 s2, exec_lo
	ds_load_b128 v[124:127], v2 offset:688
	s_clause 0x2
	scratch_load_b128 v[128:131], off, off offset:224
	scratch_load_b128 v[132:135], off, off offset:48
	;; [unrolled: 1-line block ×3, first 2 shown]
	s_wait_loadcnt_dscnt 0xc00
	v_mul_f64_e32 v[144:145], v[126:127], v[6:7]
	v_mul_f64_e32 v[148:149], v[124:125], v[6:7]
	ds_load_b128 v[136:139], v2 offset:704
	v_fma_f64 v[152:153], v[124:125], v[4:5], -v[144:145]
	v_fmac_f64_e32 v[148:149], v[126:127], v[4:5]
	ds_load_b128 v[4:7], v2 offset:720
	s_wait_loadcnt_dscnt 0xb01
	v_mul_f64_e32 v[150:151], v[136:137], v[10:11]
	v_mul_f64_e32 v[10:11], v[138:139], v[10:11]
	scratch_load_b128 v[124:127], off, off offset:256
	ds_load_b128 v[144:147], v2 offset:736
	s_wait_loadcnt_dscnt 0xb01
	v_mul_f64_e32 v[154:155], v[4:5], v[14:15]
	v_mul_f64_e32 v[14:15], v[6:7], v[14:15]
	v_add_f64_e32 v[148:149], 0, v[148:149]
	v_fmac_f64_e32 v[150:151], v[138:139], v[8:9]
	v_fma_f64 v[136:137], v[136:137], v[8:9], -v[10:11]
	v_add_f64_e32 v[138:139], 0, v[152:153]
	scratch_load_b128 v[8:11], off, off offset:272
	v_fmac_f64_e32 v[154:155], v[6:7], v[12:13]
	v_fma_f64 v[156:157], v[4:5], v[12:13], -v[14:15]
	ds_load_b128 v[4:7], v2 offset:752
	s_wait_loadcnt_dscnt 0xb01
	v_mul_f64_e32 v[152:153], v[144:145], v[98:99]
	v_mul_f64_e32 v[98:99], v[146:147], v[98:99]
	scratch_load_b128 v[12:15], off, off offset:288
	v_add_f64_e32 v[148:149], v[148:149], v[150:151]
	v_add_f64_e32 v[158:159], v[138:139], v[136:137]
	ds_load_b128 v[136:139], v2 offset:768
	s_wait_loadcnt_dscnt 0xb01
	v_mul_f64_e32 v[150:151], v[4:5], v[102:103]
	v_mul_f64_e32 v[102:103], v[6:7], v[102:103]
	v_fmac_f64_e32 v[152:153], v[146:147], v[96:97]
	v_fma_f64 v[144:145], v[144:145], v[96:97], -v[98:99]
	scratch_load_b128 v[96:99], off, off offset:304
	v_add_f64_e32 v[148:149], v[148:149], v[154:155]
	v_add_f64_e32 v[146:147], v[158:159], v[156:157]
	v_fmac_f64_e32 v[150:151], v[6:7], v[100:101]
	v_fma_f64 v[156:157], v[4:5], v[100:101], -v[102:103]
	ds_load_b128 v[4:7], v2 offset:784
	s_wait_loadcnt_dscnt 0xb01
	v_mul_f64_e32 v[154:155], v[136:137], v[106:107]
	v_mul_f64_e32 v[106:107], v[138:139], v[106:107]
	scratch_load_b128 v[100:103], off, off offset:320
	v_add_f64_e32 v[148:149], v[148:149], v[152:153]
	s_wait_loadcnt_dscnt 0xb00
	v_mul_f64_e32 v[152:153], v[4:5], v[110:111]
	v_add_f64_e32 v[158:159], v[146:147], v[144:145]
	v_mul_f64_e32 v[110:111], v[6:7], v[110:111]
	ds_load_b128 v[144:147], v2 offset:800
	v_fmac_f64_e32 v[154:155], v[138:139], v[104:105]
	v_fma_f64 v[136:137], v[136:137], v[104:105], -v[106:107]
	scratch_load_b128 v[104:107], off, off offset:336
	v_add_f64_e32 v[148:149], v[148:149], v[150:151]
	v_fmac_f64_e32 v[152:153], v[6:7], v[108:109]
	v_add_f64_e32 v[138:139], v[158:159], v[156:157]
	v_fma_f64 v[156:157], v[4:5], v[108:109], -v[110:111]
	ds_load_b128 v[4:7], v2 offset:816
	s_wait_loadcnt_dscnt 0xb01
	v_mul_f64_e32 v[150:151], v[144:145], v[114:115]
	v_mul_f64_e32 v[114:115], v[146:147], v[114:115]
	scratch_load_b128 v[108:111], off, off offset:352
	v_add_f64_e32 v[148:149], v[148:149], v[154:155]
	s_wait_loadcnt_dscnt 0xb00
	v_mul_f64_e32 v[154:155], v[4:5], v[118:119]
	v_add_f64_e32 v[158:159], v[138:139], v[136:137]
	v_mul_f64_e32 v[118:119], v[6:7], v[118:119]
	ds_load_b128 v[136:139], v2 offset:832
	v_fmac_f64_e32 v[150:151], v[146:147], v[112:113]
	v_fma_f64 v[144:145], v[144:145], v[112:113], -v[114:115]
	scratch_load_b128 v[112:115], off, off offset:368
	v_add_f64_e32 v[148:149], v[148:149], v[152:153]
	v_fmac_f64_e32 v[154:155], v[6:7], v[116:117]
	v_add_f64_e32 v[146:147], v[158:159], v[156:157]
	;; [unrolled: 18-line block ×3, first 2 shown]
	v_fma_f64 v[156:157], v[4:5], v[128:129], -v[130:131]
	ds_load_b128 v[4:7], v2 offset:880
	s_wait_loadcnt_dscnt 0xa01
	v_mul_f64_e32 v[154:155], v[144:145], v[142:143]
	v_mul_f64_e32 v[142:143], v[146:147], v[142:143]
	scratch_load_b128 v[128:131], off, off offset:416
	v_add_f64_e32 v[148:149], v[148:149], v[152:153]
	v_add_f64_e32 v[158:159], v[138:139], v[136:137]
	s_wait_loadcnt_dscnt 0xa00
	v_mul_f64_e32 v[152:153], v[4:5], v[126:127]
	v_mul_f64_e32 v[126:127], v[6:7], v[126:127]
	v_fmac_f64_e32 v[154:155], v[146:147], v[140:141]
	v_fma_f64 v[144:145], v[144:145], v[140:141], -v[142:143]
	ds_load_b128 v[136:139], v2 offset:896
	scratch_load_b128 v[140:143], off, off offset:432
	v_add_f64_e32 v[148:149], v[148:149], v[150:151]
	v_add_f64_e32 v[146:147], v[158:159], v[156:157]
	v_fmac_f64_e32 v[152:153], v[6:7], v[124:125]
	v_fma_f64 v[156:157], v[4:5], v[124:125], -v[126:127]
	ds_load_b128 v[4:7], v2 offset:912
	s_wait_loadcnt_dscnt 0xa01
	v_mul_f64_e32 v[150:151], v[136:137], v[10:11]
	v_mul_f64_e32 v[10:11], v[138:139], v[10:11]
	scratch_load_b128 v[124:127], off, off offset:448
	v_add_f64_e32 v[148:149], v[148:149], v[154:155]
	s_wait_loadcnt_dscnt 0xa00
	v_mul_f64_e32 v[154:155], v[4:5], v[14:15]
	v_add_f64_e32 v[158:159], v[146:147], v[144:145]
	v_mul_f64_e32 v[14:15], v[6:7], v[14:15]
	ds_load_b128 v[144:147], v2 offset:928
	v_fmac_f64_e32 v[150:151], v[138:139], v[8:9]
	v_fma_f64 v[136:137], v[136:137], v[8:9], -v[10:11]
	scratch_load_b128 v[8:11], off, off offset:464
	v_add_f64_e32 v[148:149], v[148:149], v[152:153]
	v_fmac_f64_e32 v[154:155], v[6:7], v[12:13]
	v_add_f64_e32 v[138:139], v[158:159], v[156:157]
	v_fma_f64 v[156:157], v[4:5], v[12:13], -v[14:15]
	ds_load_b128 v[4:7], v2 offset:944
	s_wait_loadcnt_dscnt 0xa01
	v_mul_f64_e32 v[152:153], v[144:145], v[98:99]
	v_mul_f64_e32 v[98:99], v[146:147], v[98:99]
	scratch_load_b128 v[12:15], off, off offset:480
	v_add_f64_e32 v[148:149], v[148:149], v[150:151]
	s_wait_loadcnt_dscnt 0xa00
	v_mul_f64_e32 v[150:151], v[4:5], v[102:103]
	v_add_f64_e32 v[158:159], v[138:139], v[136:137]
	v_mul_f64_e32 v[102:103], v[6:7], v[102:103]
	ds_load_b128 v[136:139], v2 offset:960
	v_fmac_f64_e32 v[152:153], v[146:147], v[96:97]
	v_fma_f64 v[144:145], v[144:145], v[96:97], -v[98:99]
	scratch_load_b128 v[96:99], off, off offset:496
	v_add_f64_e32 v[148:149], v[148:149], v[154:155]
	v_fmac_f64_e32 v[150:151], v[6:7], v[100:101]
	v_add_f64_e32 v[146:147], v[158:159], v[156:157]
	v_fma_f64 v[156:157], v[4:5], v[100:101], -v[102:103]
	ds_load_b128 v[4:7], v2 offset:976
	s_wait_loadcnt_dscnt 0xa01
	v_mul_f64_e32 v[154:155], v[136:137], v[106:107]
	v_mul_f64_e32 v[106:107], v[138:139], v[106:107]
	scratch_load_b128 v[100:103], off, off offset:512
	v_add_f64_e32 v[148:149], v[148:149], v[152:153]
	s_wait_loadcnt_dscnt 0xa00
	v_mul_f64_e32 v[152:153], v[4:5], v[110:111]
	v_add_f64_e32 v[158:159], v[146:147], v[144:145]
	v_mul_f64_e32 v[110:111], v[6:7], v[110:111]
	ds_load_b128 v[144:147], v2 offset:992
	v_fmac_f64_e32 v[154:155], v[138:139], v[104:105]
	v_fma_f64 v[136:137], v[136:137], v[104:105], -v[106:107]
	scratch_load_b128 v[104:107], off, off offset:528
	v_add_f64_e32 v[148:149], v[148:149], v[150:151]
	v_fmac_f64_e32 v[152:153], v[6:7], v[108:109]
	v_add_f64_e32 v[138:139], v[158:159], v[156:157]
	v_fma_f64 v[156:157], v[4:5], v[108:109], -v[110:111]
	ds_load_b128 v[4:7], v2 offset:1008
	s_wait_loadcnt_dscnt 0xa01
	v_mul_f64_e32 v[150:151], v[144:145], v[114:115]
	v_mul_f64_e32 v[114:115], v[146:147], v[114:115]
	scratch_load_b128 v[108:111], off, off offset:544
	v_add_f64_e32 v[148:149], v[148:149], v[154:155]
	s_wait_loadcnt_dscnt 0xa00
	v_mul_f64_e32 v[154:155], v[4:5], v[118:119]
	v_add_f64_e32 v[158:159], v[138:139], v[136:137]
	v_mul_f64_e32 v[118:119], v[6:7], v[118:119]
	ds_load_b128 v[136:139], v2 offset:1024
	v_fmac_f64_e32 v[150:151], v[146:147], v[112:113]
	v_fma_f64 v[144:145], v[144:145], v[112:113], -v[114:115]
	scratch_load_b128 v[112:115], off, off offset:560
	v_add_f64_e32 v[148:149], v[148:149], v[152:153]
	v_fmac_f64_e32 v[154:155], v[6:7], v[116:117]
	v_add_f64_e32 v[146:147], v[158:159], v[156:157]
	v_fma_f64 v[156:157], v[4:5], v[116:117], -v[118:119]
	ds_load_b128 v[4:7], v2 offset:1040
	s_wait_loadcnt_dscnt 0xa01
	v_mul_f64_e32 v[152:153], v[136:137], v[122:123]
	v_mul_f64_e32 v[122:123], v[138:139], v[122:123]
	scratch_load_b128 v[116:119], off, off offset:576
	v_add_f64_e32 v[148:149], v[148:149], v[150:151]
	s_wait_loadcnt_dscnt 0xa00
	v_mul_f64_e32 v[150:151], v[4:5], v[130:131]
	v_add_f64_e32 v[158:159], v[146:147], v[144:145]
	v_mul_f64_e32 v[130:131], v[6:7], v[130:131]
	ds_load_b128 v[144:147], v2 offset:1056
	v_fmac_f64_e32 v[152:153], v[138:139], v[120:121]
	v_fma_f64 v[136:137], v[136:137], v[120:121], -v[122:123]
	scratch_load_b128 v[120:123], off, off offset:592
	v_add_f64_e32 v[148:149], v[148:149], v[154:155]
	v_fmac_f64_e32 v[150:151], v[6:7], v[128:129]
	v_add_f64_e32 v[138:139], v[158:159], v[156:157]
	v_fma_f64 v[156:157], v[4:5], v[128:129], -v[130:131]
	ds_load_b128 v[4:7], v2 offset:1072
	s_wait_loadcnt_dscnt 0xa01
	v_mul_f64_e32 v[154:155], v[144:145], v[142:143]
	v_mul_f64_e32 v[142:143], v[146:147], v[142:143]
	scratch_load_b128 v[128:131], off, off offset:608
	v_add_f64_e32 v[148:149], v[148:149], v[152:153]
	s_wait_loadcnt_dscnt 0xa00
	v_mul_f64_e32 v[152:153], v[4:5], v[126:127]
	v_add_f64_e32 v[158:159], v[138:139], v[136:137]
	v_mul_f64_e32 v[126:127], v[6:7], v[126:127]
	ds_load_b128 v[136:139], v2 offset:1088
	v_fmac_f64_e32 v[154:155], v[146:147], v[140:141]
	v_fma_f64 v[140:141], v[144:145], v[140:141], -v[142:143]
	s_wait_loadcnt_dscnt 0x900
	v_mul_f64_e32 v[146:147], v[136:137], v[10:11]
	v_mul_f64_e32 v[10:11], v[138:139], v[10:11]
	v_add_f64_e32 v[144:145], v[148:149], v[150:151]
	v_fmac_f64_e32 v[152:153], v[6:7], v[124:125]
	v_add_f64_e32 v[142:143], v[158:159], v[156:157]
	v_fma_f64 v[148:149], v[4:5], v[124:125], -v[126:127]
	ds_load_b128 v[4:7], v2 offset:1104
	ds_load_b128 v[124:127], v2 offset:1120
	v_fmac_f64_e32 v[146:147], v[138:139], v[8:9]
	v_fma_f64 v[8:9], v[136:137], v[8:9], -v[10:11]
	v_add_f64_e32 v[140:141], v[142:143], v[140:141]
	v_add_f64_e32 v[142:143], v[144:145], v[154:155]
	s_wait_loadcnt_dscnt 0x801
	v_mul_f64_e32 v[144:145], v[4:5], v[14:15]
	v_mul_f64_e32 v[14:15], v[6:7], v[14:15]
	s_wait_loadcnt_dscnt 0x700
	v_mul_f64_e32 v[138:139], v[124:125], v[98:99]
	v_mul_f64_e32 v[98:99], v[126:127], v[98:99]
	v_add_f64_e32 v[10:11], v[140:141], v[148:149]
	v_add_f64_e32 v[136:137], v[142:143], v[152:153]
	v_fmac_f64_e32 v[144:145], v[6:7], v[12:13]
	v_fma_f64 v[12:13], v[4:5], v[12:13], -v[14:15]
	v_fmac_f64_e32 v[138:139], v[126:127], v[96:97]
	v_fma_f64 v[96:97], v[124:125], v[96:97], -v[98:99]
	v_add_f64_e32 v[14:15], v[10:11], v[8:9]
	v_add_f64_e32 v[136:137], v[136:137], v[146:147]
	ds_load_b128 v[4:7], v2 offset:1136
	ds_load_b128 v[8:11], v2 offset:1152
	s_wait_loadcnt_dscnt 0x601
	v_mul_f64_e32 v[140:141], v[4:5], v[102:103]
	v_mul_f64_e32 v[102:103], v[6:7], v[102:103]
	s_wait_loadcnt_dscnt 0x500
	v_mul_f64_e32 v[98:99], v[8:9], v[106:107]
	v_mul_f64_e32 v[106:107], v[10:11], v[106:107]
	v_add_f64_e32 v[12:13], v[14:15], v[12:13]
	v_add_f64_e32 v[14:15], v[136:137], v[144:145]
	v_fmac_f64_e32 v[140:141], v[6:7], v[100:101]
	v_fma_f64 v[100:101], v[4:5], v[100:101], -v[102:103]
	v_fmac_f64_e32 v[98:99], v[10:11], v[104:105]
	v_fma_f64 v[8:9], v[8:9], v[104:105], -v[106:107]
	v_add_f64_e32 v[96:97], v[12:13], v[96:97]
	v_add_f64_e32 v[102:103], v[14:15], v[138:139]
	ds_load_b128 v[4:7], v2 offset:1168
	ds_load_b128 v[12:15], v2 offset:1184
	s_wait_loadcnt_dscnt 0x401
	v_mul_f64_e32 v[124:125], v[4:5], v[110:111]
	v_mul_f64_e32 v[110:111], v[6:7], v[110:111]
	v_add_f64_e32 v[10:11], v[96:97], v[100:101]
	v_add_f64_e32 v[96:97], v[102:103], v[140:141]
	s_wait_loadcnt_dscnt 0x300
	v_mul_f64_e32 v[100:101], v[12:13], v[114:115]
	v_mul_f64_e32 v[102:103], v[14:15], v[114:115]
	v_fmac_f64_e32 v[124:125], v[6:7], v[108:109]
	v_fma_f64 v[104:105], v[4:5], v[108:109], -v[110:111]
	v_add_f64_e32 v[106:107], v[10:11], v[8:9]
	v_add_f64_e32 v[96:97], v[96:97], v[98:99]
	ds_load_b128 v[4:7], v2 offset:1200
	ds_load_b128 v[8:11], v2 offset:1216
	v_fmac_f64_e32 v[100:101], v[14:15], v[112:113]
	v_fma_f64 v[12:13], v[12:13], v[112:113], -v[102:103]
	s_wait_loadcnt_dscnt 0x201
	v_mul_f64_e32 v[98:99], v[4:5], v[118:119]
	v_mul_f64_e32 v[108:109], v[6:7], v[118:119]
	s_wait_loadcnt_dscnt 0x100
	v_mul_f64_e32 v[102:103], v[8:9], v[122:123]
	v_add_f64_e32 v[14:15], v[106:107], v[104:105]
	v_add_f64_e32 v[96:97], v[96:97], v[124:125]
	v_mul_f64_e32 v[104:105], v[10:11], v[122:123]
	v_fmac_f64_e32 v[98:99], v[6:7], v[116:117]
	v_fma_f64 v[106:107], v[4:5], v[116:117], -v[108:109]
	ds_load_b128 v[4:7], v2 offset:1232
	v_fmac_f64_e32 v[102:103], v[10:11], v[120:121]
	v_add_f64_e32 v[12:13], v[14:15], v[12:13]
	v_add_f64_e32 v[14:15], v[96:97], v[100:101]
	v_fma_f64 v[8:9], v[8:9], v[120:121], -v[104:105]
	s_wait_loadcnt_dscnt 0x0
	v_mul_f64_e32 v[96:97], v[4:5], v[130:131]
	v_mul_f64_e32 v[100:101], v[6:7], v[130:131]
	v_add_f64_e32 v[10:11], v[12:13], v[106:107]
	v_add_f64_e32 v[12:13], v[14:15], v[98:99]
	s_delay_alu instid0(VALU_DEP_4) | instskip(NEXT) | instid1(VALU_DEP_4)
	v_fmac_f64_e32 v[96:97], v[6:7], v[128:129]
	v_fma_f64 v[4:5], v[4:5], v[128:129], -v[100:101]
	s_delay_alu instid0(VALU_DEP_4) | instskip(NEXT) | instid1(VALU_DEP_4)
	v_add_f64_e32 v[6:7], v[10:11], v[8:9]
	v_add_f64_e32 v[8:9], v[12:13], v[102:103]
	s_delay_alu instid0(VALU_DEP_2) | instskip(NEXT) | instid1(VALU_DEP_2)
	v_add_f64_e32 v[4:5], v[6:7], v[4:5]
	v_add_f64_e32 v[6:7], v[8:9], v[96:97]
	s_delay_alu instid0(VALU_DEP_2) | instskip(NEXT) | instid1(VALU_DEP_2)
	v_add_f64_e64 v[4:5], v[132:133], -v[4:5]
	v_add_f64_e64 v[6:7], v[134:135], -v[6:7]
	scratch_store_b128 off, v[4:7], off offset:48
	s_wait_xcnt 0x0
	v_cmpx_lt_u32_e32 2, v1
	s_cbranch_execz .LBB102_243
; %bb.242:
	scratch_load_b128 v[6:9], off, s16
	v_dual_mov_b32 v3, v2 :: v_dual_mov_b32 v4, v2
	v_mov_b32_e32 v5, v2
	scratch_store_b128 off, v[2:5], off offset:32
	s_wait_loadcnt 0x0
	ds_store_b128 v94, v[6:9]
.LBB102_243:
	s_wait_xcnt 0x0
	s_or_b32 exec_lo, exec_lo, s2
	s_wait_storecnt_dscnt 0x0
	s_barrier_signal -1
	s_barrier_wait -1
	s_clause 0x9
	scratch_load_b128 v[4:7], off, off offset:48
	scratch_load_b128 v[8:11], off, off offset:64
	;; [unrolled: 1-line block ×10, first 2 shown]
	ds_load_b128 v[124:127], v2 offset:672
	ds_load_b128 v[132:135], v2 offset:688
	s_clause 0x2
	scratch_load_b128 v[128:131], off, off offset:208
	scratch_load_b128 v[136:139], off, off offset:32
	;; [unrolled: 1-line block ×3, first 2 shown]
	s_mov_b32 s2, exec_lo
	v_ashrrev_i32_e32 v21, 31, v20
	v_ashrrev_i32_e32 v25, 31, v24
	;; [unrolled: 1-line block ×3, first 2 shown]
	v_dual_ashrrev_i32 v33, 31, v32 :: v_dual_ashrrev_i32 v23, 31, v22
	v_dual_ashrrev_i32 v27, 31, v26 :: v_dual_ashrrev_i32 v37, 31, v36
	;; [unrolled: 1-line block ×8, first 2 shown]
	v_ashrrev_i32_e32 v65, 31, v64
	v_ashrrev_i32_e32 v69, 31, v68
	v_dual_ashrrev_i32 v73, 31, v72 :: v_dual_ashrrev_i32 v55, 31, v54
	v_ashrrev_i32_e32 v59, 31, v58
	v_ashrrev_i32_e32 v63, 31, v62
	v_dual_ashrrev_i32 v67, 31, v66 :: v_dual_ashrrev_i32 v77, 31, v76
	v_dual_ashrrev_i32 v81, 31, v80 :: v_dual_ashrrev_i32 v71, 31, v70
	;; [unrolled: 1-line block ×3, first 2 shown]
	v_ashrrev_i32_e32 v89, 31, v88
	v_dual_ashrrev_i32 v93, 31, v92 :: v_dual_ashrrev_i32 v79, 31, v78
	v_ashrrev_i32_e32 v83, 31, v82
	v_ashrrev_i32_e32 v87, 31, v86
	v_ashrrev_i32_e32 v91, 31, v90
	s_wait_loadcnt_dscnt 0xc01
	v_mul_f64_e32 v[144:145], v[126:127], v[6:7]
	v_mul_f64_e32 v[148:149], v[124:125], v[6:7]
	s_wait_loadcnt_dscnt 0xb00
	v_mul_f64_e32 v[150:151], v[132:133], v[10:11]
	v_mul_f64_e32 v[10:11], v[134:135], v[10:11]
	s_delay_alu instid0(VALU_DEP_4) | instskip(NEXT) | instid1(VALU_DEP_4)
	v_fma_f64 v[152:153], v[124:125], v[4:5], -v[144:145]
	v_fmac_f64_e32 v[148:149], v[126:127], v[4:5]
	ds_load_b128 v[4:7], v2 offset:704
	ds_load_b128 v[144:147], v2 offset:720
	scratch_load_b128 v[124:127], off, off offset:240
	v_fmac_f64_e32 v[150:151], v[134:135], v[8:9]
	v_fma_f64 v[132:133], v[132:133], v[8:9], -v[10:11]
	scratch_load_b128 v[8:11], off, off offset:256
	s_wait_loadcnt_dscnt 0xc01
	v_mul_f64_e32 v[154:155], v[4:5], v[14:15]
	v_mul_f64_e32 v[14:15], v[6:7], v[14:15]
	v_add_f64_e32 v[134:135], 0, v[152:153]
	v_add_f64_e32 v[148:149], 0, v[148:149]
	s_wait_loadcnt_dscnt 0xb00
	v_mul_f64_e32 v[152:153], v[144:145], v[98:99]
	v_mul_f64_e32 v[98:99], v[146:147], v[98:99]
	v_fmac_f64_e32 v[154:155], v[6:7], v[12:13]
	v_fma_f64 v[156:157], v[4:5], v[12:13], -v[14:15]
	ds_load_b128 v[4:7], v2 offset:736
	scratch_load_b128 v[12:15], off, off offset:272
	v_add_f64_e32 v[158:159], v[134:135], v[132:133]
	v_add_f64_e32 v[148:149], v[148:149], v[150:151]
	ds_load_b128 v[132:135], v2 offset:752
	v_fmac_f64_e32 v[152:153], v[146:147], v[96:97]
	v_fma_f64 v[144:145], v[144:145], v[96:97], -v[98:99]
	scratch_load_b128 v[96:99], off, off offset:288
	s_wait_loadcnt_dscnt 0xc01
	v_mul_f64_e32 v[150:151], v[4:5], v[102:103]
	v_mul_f64_e32 v[102:103], v[6:7], v[102:103]
	v_add_f64_e32 v[146:147], v[158:159], v[156:157]
	v_add_f64_e32 v[148:149], v[148:149], v[154:155]
	s_wait_loadcnt_dscnt 0xb00
	v_mul_f64_e32 v[154:155], v[132:133], v[106:107]
	v_mul_f64_e32 v[106:107], v[134:135], v[106:107]
	v_fmac_f64_e32 v[150:151], v[6:7], v[100:101]
	v_fma_f64 v[156:157], v[4:5], v[100:101], -v[102:103]
	ds_load_b128 v[4:7], v2 offset:768
	scratch_load_b128 v[100:103], off, off offset:304
	v_add_f64_e32 v[158:159], v[146:147], v[144:145]
	v_add_f64_e32 v[148:149], v[148:149], v[152:153]
	ds_load_b128 v[144:147], v2 offset:784
	v_fmac_f64_e32 v[154:155], v[134:135], v[104:105]
	v_fma_f64 v[132:133], v[132:133], v[104:105], -v[106:107]
	s_wait_loadcnt_dscnt 0xb01
	v_mul_f64_e32 v[152:153], v[4:5], v[110:111]
	v_mul_f64_e32 v[110:111], v[6:7], v[110:111]
	scratch_load_b128 v[104:107], off, off offset:320
	v_add_f64_e32 v[134:135], v[158:159], v[156:157]
	v_add_f64_e32 v[148:149], v[148:149], v[150:151]
	s_wait_loadcnt_dscnt 0xb00
	v_mul_f64_e32 v[150:151], v[144:145], v[114:115]
	v_mul_f64_e32 v[114:115], v[146:147], v[114:115]
	v_fmac_f64_e32 v[152:153], v[6:7], v[108:109]
	v_fma_f64 v[156:157], v[4:5], v[108:109], -v[110:111]
	ds_load_b128 v[4:7], v2 offset:800
	scratch_load_b128 v[108:111], off, off offset:336
	v_add_f64_e32 v[158:159], v[134:135], v[132:133]
	v_add_f64_e32 v[148:149], v[148:149], v[154:155]
	ds_load_b128 v[132:135], v2 offset:816
	v_fmac_f64_e32 v[150:151], v[146:147], v[112:113]
	v_fma_f64 v[144:145], v[144:145], v[112:113], -v[114:115]
	s_wait_loadcnt_dscnt 0xb01
	v_mul_f64_e32 v[154:155], v[4:5], v[118:119]
	v_mul_f64_e32 v[118:119], v[6:7], v[118:119]
	scratch_load_b128 v[112:115], off, off offset:352
	;; [unrolled: 18-line block ×10, first 2 shown]
	v_add_f64_e32 v[152:153], v[158:159], v[156:157]
	v_add_f64_e32 v[148:149], v[148:149], v[150:151]
	s_wait_loadcnt_dscnt 0xa00
	v_mul_f64_e32 v[150:151], v[132:133], v[10:11]
	v_mul_f64_e32 v[10:11], v[134:135], v[10:11]
	v_fmac_f64_e32 v[146:147], v[6:7], v[124:125]
	v_fma_f64 v[156:157], v[4:5], v[124:125], -v[126:127]
	ds_load_b128 v[4:7], v2 offset:1088
	ds_load_b128 v[124:127], v2 offset:1104
	v_add_f64_e32 v[144:145], v[152:153], v[144:145]
	v_add_f64_e32 v[148:149], v[148:149], v[154:155]
	s_wait_loadcnt_dscnt 0x901
	v_mul_f64_e32 v[152:153], v[4:5], v[14:15]
	v_mul_f64_e32 v[14:15], v[6:7], v[14:15]
	v_fmac_f64_e32 v[150:151], v[134:135], v[8:9]
	v_fma_f64 v[8:9], v[132:133], v[8:9], -v[10:11]
	s_wait_loadcnt_dscnt 0x800
	v_mul_f64_e32 v[134:135], v[124:125], v[98:99]
	v_mul_f64_e32 v[98:99], v[126:127], v[98:99]
	v_add_f64_e32 v[10:11], v[144:145], v[156:157]
	v_add_f64_e32 v[132:133], v[148:149], v[146:147]
	v_fmac_f64_e32 v[152:153], v[6:7], v[12:13]
	v_fma_f64 v[12:13], v[4:5], v[12:13], -v[14:15]
	v_fmac_f64_e32 v[134:135], v[126:127], v[96:97]
	v_fma_f64 v[96:97], v[124:125], v[96:97], -v[98:99]
	v_add_f64_e32 v[14:15], v[10:11], v[8:9]
	v_add_f64_e32 v[132:133], v[132:133], v[150:151]
	ds_load_b128 v[4:7], v2 offset:1120
	ds_load_b128 v[8:11], v2 offset:1136
	s_wait_loadcnt_dscnt 0x701
	v_mul_f64_e32 v[144:145], v[4:5], v[102:103]
	v_mul_f64_e32 v[102:103], v[6:7], v[102:103]
	s_wait_loadcnt_dscnt 0x600
	v_mul_f64_e32 v[98:99], v[8:9], v[106:107]
	v_mul_f64_e32 v[106:107], v[10:11], v[106:107]
	v_add_f64_e32 v[12:13], v[14:15], v[12:13]
	v_add_f64_e32 v[14:15], v[132:133], v[152:153]
	v_fmac_f64_e32 v[144:145], v[6:7], v[100:101]
	v_fma_f64 v[100:101], v[4:5], v[100:101], -v[102:103]
	v_fmac_f64_e32 v[98:99], v[10:11], v[104:105]
	v_fma_f64 v[8:9], v[8:9], v[104:105], -v[106:107]
	v_add_f64_e32 v[96:97], v[12:13], v[96:97]
	v_add_f64_e32 v[102:103], v[14:15], v[134:135]
	ds_load_b128 v[4:7], v2 offset:1152
	ds_load_b128 v[12:15], v2 offset:1168
	s_wait_loadcnt_dscnt 0x501
	v_mul_f64_e32 v[124:125], v[4:5], v[110:111]
	v_mul_f64_e32 v[110:111], v[6:7], v[110:111]
	v_add_f64_e32 v[10:11], v[96:97], v[100:101]
	v_add_f64_e32 v[96:97], v[102:103], v[144:145]
	s_wait_loadcnt_dscnt 0x400
	v_mul_f64_e32 v[100:101], v[12:13], v[114:115]
	v_mul_f64_e32 v[102:103], v[14:15], v[114:115]
	v_fmac_f64_e32 v[124:125], v[6:7], v[108:109]
	v_fma_f64 v[104:105], v[4:5], v[108:109], -v[110:111]
	v_add_f64_e32 v[106:107], v[10:11], v[8:9]
	v_add_f64_e32 v[96:97], v[96:97], v[98:99]
	ds_load_b128 v[4:7], v2 offset:1184
	ds_load_b128 v[8:11], v2 offset:1200
	v_fmac_f64_e32 v[100:101], v[14:15], v[112:113]
	v_fma_f64 v[12:13], v[12:13], v[112:113], -v[102:103]
	s_wait_loadcnt_dscnt 0x301
	v_mul_f64_e32 v[98:99], v[4:5], v[118:119]
	v_mul_f64_e32 v[108:109], v[6:7], v[118:119]
	s_wait_loadcnt_dscnt 0x200
	v_mul_f64_e32 v[102:103], v[8:9], v[122:123]
	v_add_f64_e32 v[14:15], v[106:107], v[104:105]
	v_add_f64_e32 v[96:97], v[96:97], v[124:125]
	v_mul_f64_e32 v[104:105], v[10:11], v[122:123]
	v_fmac_f64_e32 v[98:99], v[6:7], v[116:117]
	v_fma_f64 v[106:107], v[4:5], v[116:117], -v[108:109]
	v_fmac_f64_e32 v[102:103], v[10:11], v[120:121]
	v_add_f64_e32 v[108:109], v[14:15], v[12:13]
	v_add_f64_e32 v[96:97], v[96:97], v[100:101]
	ds_load_b128 v[4:7], v2 offset:1216
	ds_load_b128 v[12:15], v2 offset:1232
	v_fma_f64 v[8:9], v[8:9], v[120:121], -v[104:105]
	s_wait_loadcnt_dscnt 0x101
	v_mul_f64_e32 v[2:3], v[4:5], v[130:131]
	v_mul_f64_e32 v[100:101], v[6:7], v[130:131]
	s_wait_loadcnt_dscnt 0x0
	v_mul_f64_e32 v[104:105], v[14:15], v[142:143]
	v_add_f64_e32 v[10:11], v[108:109], v[106:107]
	v_add_f64_e32 v[96:97], v[96:97], v[98:99]
	v_mul_f64_e32 v[98:99], v[12:13], v[142:143]
	v_fmac_f64_e32 v[2:3], v[6:7], v[128:129]
	v_fma_f64 v[4:5], v[4:5], v[128:129], -v[100:101]
	v_add_f64_e32 v[6:7], v[10:11], v[8:9]
	v_add_f64_e32 v[8:9], v[96:97], v[102:103]
	v_fmac_f64_e32 v[98:99], v[14:15], v[140:141]
	v_fma_f64 v[10:11], v[12:13], v[140:141], -v[104:105]
	s_delay_alu instid0(VALU_DEP_4) | instskip(NEXT) | instid1(VALU_DEP_4)
	v_add_f64_e32 v[4:5], v[6:7], v[4:5]
	v_add_f64_e32 v[2:3], v[8:9], v[2:3]
	s_delay_alu instid0(VALU_DEP_2) | instskip(NEXT) | instid1(VALU_DEP_2)
	v_add_f64_e32 v[4:5], v[4:5], v[10:11]
	v_add_f64_e32 v[6:7], v[2:3], v[98:99]
	s_delay_alu instid0(VALU_DEP_2) | instskip(NEXT) | instid1(VALU_DEP_2)
	v_add_f64_e64 v[2:3], v[136:137], -v[4:5]
	v_add_f64_e64 v[4:5], v[138:139], -v[6:7]
	scratch_store_b128 off, v[2:5], off offset:32
	s_wait_xcnt 0x0
	v_cmpx_lt_u32_e32 1, v1
	s_cbranch_execz .LBB102_245
; %bb.244:
	scratch_load_b128 v[2:5], off, s18
	v_mov_b32_e32 v6, 0
	s_delay_alu instid0(VALU_DEP_1)
	v_dual_mov_b32 v7, v6 :: v_dual_mov_b32 v8, v6
	v_mov_b32_e32 v9, v6
	scratch_store_b128 off, v[6:9], off offset:16
	s_wait_loadcnt 0x0
	ds_store_b128 v94, v[2:5]
.LBB102_245:
	s_wait_xcnt 0x0
	s_or_b32 exec_lo, exec_lo, s2
	s_wait_storecnt_dscnt 0x0
	s_barrier_signal -1
	s_barrier_wait -1
	s_clause 0x9
	scratch_load_b128 v[4:7], off, off offset:32
	scratch_load_b128 v[8:11], off, off offset:48
	;; [unrolled: 1-line block ×10, first 2 shown]
	v_mov_b32_e32 v2, 0
	s_mov_b32 s2, exec_lo
	ds_load_b128 v[124:127], v2 offset:656
	s_clause 0x2
	scratch_load_b128 v[128:131], off, off offset:192
	scratch_load_b128 v[132:135], off, off offset:16
	;; [unrolled: 1-line block ×3, first 2 shown]
	s_wait_loadcnt_dscnt 0xc00
	v_mul_f64_e32 v[144:145], v[126:127], v[6:7]
	v_mul_f64_e32 v[148:149], v[124:125], v[6:7]
	ds_load_b128 v[136:139], v2 offset:672
	v_fma_f64 v[152:153], v[124:125], v[4:5], -v[144:145]
	v_fmac_f64_e32 v[148:149], v[126:127], v[4:5]
	ds_load_b128 v[4:7], v2 offset:688
	s_wait_loadcnt_dscnt 0xb01
	v_mul_f64_e32 v[150:151], v[136:137], v[10:11]
	v_mul_f64_e32 v[10:11], v[138:139], v[10:11]
	scratch_load_b128 v[124:127], off, off offset:224
	ds_load_b128 v[144:147], v2 offset:704
	s_wait_loadcnt_dscnt 0xb01
	v_mul_f64_e32 v[154:155], v[4:5], v[14:15]
	v_mul_f64_e32 v[14:15], v[6:7], v[14:15]
	v_add_f64_e32 v[148:149], 0, v[148:149]
	v_fmac_f64_e32 v[150:151], v[138:139], v[8:9]
	v_fma_f64 v[136:137], v[136:137], v[8:9], -v[10:11]
	v_add_f64_e32 v[138:139], 0, v[152:153]
	scratch_load_b128 v[8:11], off, off offset:240
	v_fmac_f64_e32 v[154:155], v[6:7], v[12:13]
	v_fma_f64 v[156:157], v[4:5], v[12:13], -v[14:15]
	ds_load_b128 v[4:7], v2 offset:720
	s_wait_loadcnt_dscnt 0xb01
	v_mul_f64_e32 v[152:153], v[144:145], v[98:99]
	v_mul_f64_e32 v[98:99], v[146:147], v[98:99]
	scratch_load_b128 v[12:15], off, off offset:256
	v_add_f64_e32 v[148:149], v[148:149], v[150:151]
	v_add_f64_e32 v[158:159], v[138:139], v[136:137]
	ds_load_b128 v[136:139], v2 offset:736
	s_wait_loadcnt_dscnt 0xb01
	v_mul_f64_e32 v[150:151], v[4:5], v[102:103]
	v_mul_f64_e32 v[102:103], v[6:7], v[102:103]
	v_fmac_f64_e32 v[152:153], v[146:147], v[96:97]
	v_fma_f64 v[144:145], v[144:145], v[96:97], -v[98:99]
	scratch_load_b128 v[96:99], off, off offset:272
	v_add_f64_e32 v[148:149], v[148:149], v[154:155]
	v_add_f64_e32 v[146:147], v[158:159], v[156:157]
	v_fmac_f64_e32 v[150:151], v[6:7], v[100:101]
	v_fma_f64 v[156:157], v[4:5], v[100:101], -v[102:103]
	ds_load_b128 v[4:7], v2 offset:752
	s_wait_loadcnt_dscnt 0xb01
	v_mul_f64_e32 v[154:155], v[136:137], v[106:107]
	v_mul_f64_e32 v[106:107], v[138:139], v[106:107]
	scratch_load_b128 v[100:103], off, off offset:288
	v_add_f64_e32 v[148:149], v[148:149], v[152:153]
	s_wait_loadcnt_dscnt 0xb00
	v_mul_f64_e32 v[152:153], v[4:5], v[110:111]
	v_add_f64_e32 v[158:159], v[146:147], v[144:145]
	v_mul_f64_e32 v[110:111], v[6:7], v[110:111]
	ds_load_b128 v[144:147], v2 offset:768
	v_fmac_f64_e32 v[154:155], v[138:139], v[104:105]
	v_fma_f64 v[136:137], v[136:137], v[104:105], -v[106:107]
	scratch_load_b128 v[104:107], off, off offset:304
	v_add_f64_e32 v[148:149], v[148:149], v[150:151]
	v_fmac_f64_e32 v[152:153], v[6:7], v[108:109]
	v_add_f64_e32 v[138:139], v[158:159], v[156:157]
	v_fma_f64 v[156:157], v[4:5], v[108:109], -v[110:111]
	ds_load_b128 v[4:7], v2 offset:784
	s_wait_loadcnt_dscnt 0xb01
	v_mul_f64_e32 v[150:151], v[144:145], v[114:115]
	v_mul_f64_e32 v[114:115], v[146:147], v[114:115]
	scratch_load_b128 v[108:111], off, off offset:320
	v_add_f64_e32 v[148:149], v[148:149], v[154:155]
	s_wait_loadcnt_dscnt 0xb00
	v_mul_f64_e32 v[154:155], v[4:5], v[118:119]
	v_add_f64_e32 v[158:159], v[138:139], v[136:137]
	v_mul_f64_e32 v[118:119], v[6:7], v[118:119]
	ds_load_b128 v[136:139], v2 offset:800
	v_fmac_f64_e32 v[150:151], v[146:147], v[112:113]
	v_fma_f64 v[144:145], v[144:145], v[112:113], -v[114:115]
	scratch_load_b128 v[112:115], off, off offset:336
	v_add_f64_e32 v[148:149], v[148:149], v[152:153]
	v_fmac_f64_e32 v[154:155], v[6:7], v[116:117]
	v_add_f64_e32 v[146:147], v[158:159], v[156:157]
	v_fma_f64 v[156:157], v[4:5], v[116:117], -v[118:119]
	ds_load_b128 v[4:7], v2 offset:816
	s_wait_loadcnt_dscnt 0xb01
	v_mul_f64_e32 v[152:153], v[136:137], v[122:123]
	v_mul_f64_e32 v[122:123], v[138:139], v[122:123]
	scratch_load_b128 v[116:119], off, off offset:352
	v_add_f64_e32 v[148:149], v[148:149], v[150:151]
	s_wait_loadcnt_dscnt 0xb00
	v_mul_f64_e32 v[150:151], v[4:5], v[130:131]
	v_add_f64_e32 v[158:159], v[146:147], v[144:145]
	v_mul_f64_e32 v[130:131], v[6:7], v[130:131]
	ds_load_b128 v[144:147], v2 offset:832
	v_fmac_f64_e32 v[152:153], v[138:139], v[120:121]
	v_fma_f64 v[136:137], v[136:137], v[120:121], -v[122:123]
	scratch_load_b128 v[120:123], off, off offset:368
	v_add_f64_e32 v[148:149], v[148:149], v[154:155]
	v_fmac_f64_e32 v[150:151], v[6:7], v[128:129]
	v_add_f64_e32 v[138:139], v[158:159], v[156:157]
	v_fma_f64 v[156:157], v[4:5], v[128:129], -v[130:131]
	ds_load_b128 v[4:7], v2 offset:848
	s_wait_loadcnt_dscnt 0xa01
	v_mul_f64_e32 v[154:155], v[144:145], v[142:143]
	v_mul_f64_e32 v[142:143], v[146:147], v[142:143]
	scratch_load_b128 v[128:131], off, off offset:384
	v_add_f64_e32 v[148:149], v[148:149], v[152:153]
	v_add_f64_e32 v[158:159], v[138:139], v[136:137]
	s_wait_loadcnt_dscnt 0xa00
	v_mul_f64_e32 v[152:153], v[4:5], v[126:127]
	v_mul_f64_e32 v[126:127], v[6:7], v[126:127]
	v_fmac_f64_e32 v[154:155], v[146:147], v[140:141]
	v_fma_f64 v[144:145], v[144:145], v[140:141], -v[142:143]
	ds_load_b128 v[136:139], v2 offset:864
	scratch_load_b128 v[140:143], off, off offset:400
	v_add_f64_e32 v[148:149], v[148:149], v[150:151]
	v_add_f64_e32 v[146:147], v[158:159], v[156:157]
	v_fmac_f64_e32 v[152:153], v[6:7], v[124:125]
	v_fma_f64 v[156:157], v[4:5], v[124:125], -v[126:127]
	ds_load_b128 v[4:7], v2 offset:880
	s_wait_loadcnt_dscnt 0xa01
	v_mul_f64_e32 v[150:151], v[136:137], v[10:11]
	v_mul_f64_e32 v[10:11], v[138:139], v[10:11]
	scratch_load_b128 v[124:127], off, off offset:416
	v_add_f64_e32 v[148:149], v[148:149], v[154:155]
	s_wait_loadcnt_dscnt 0xa00
	v_mul_f64_e32 v[154:155], v[4:5], v[14:15]
	v_add_f64_e32 v[158:159], v[146:147], v[144:145]
	v_mul_f64_e32 v[14:15], v[6:7], v[14:15]
	ds_load_b128 v[144:147], v2 offset:896
	v_fmac_f64_e32 v[150:151], v[138:139], v[8:9]
	v_fma_f64 v[136:137], v[136:137], v[8:9], -v[10:11]
	scratch_load_b128 v[8:11], off, off offset:432
	v_add_f64_e32 v[148:149], v[148:149], v[152:153]
	v_fmac_f64_e32 v[154:155], v[6:7], v[12:13]
	v_add_f64_e32 v[138:139], v[158:159], v[156:157]
	v_fma_f64 v[156:157], v[4:5], v[12:13], -v[14:15]
	ds_load_b128 v[4:7], v2 offset:912
	s_wait_loadcnt_dscnt 0xa01
	v_mul_f64_e32 v[152:153], v[144:145], v[98:99]
	v_mul_f64_e32 v[98:99], v[146:147], v[98:99]
	scratch_load_b128 v[12:15], off, off offset:448
	v_add_f64_e32 v[148:149], v[148:149], v[150:151]
	s_wait_loadcnt_dscnt 0xa00
	v_mul_f64_e32 v[150:151], v[4:5], v[102:103]
	v_add_f64_e32 v[158:159], v[138:139], v[136:137]
	v_mul_f64_e32 v[102:103], v[6:7], v[102:103]
	ds_load_b128 v[136:139], v2 offset:928
	v_fmac_f64_e32 v[152:153], v[146:147], v[96:97]
	v_fma_f64 v[144:145], v[144:145], v[96:97], -v[98:99]
	scratch_load_b128 v[96:99], off, off offset:464
	v_add_f64_e32 v[148:149], v[148:149], v[154:155]
	v_fmac_f64_e32 v[150:151], v[6:7], v[100:101]
	v_add_f64_e32 v[146:147], v[158:159], v[156:157]
	;; [unrolled: 18-line block ×6, first 2 shown]
	v_fma_f64 v[156:157], v[4:5], v[124:125], -v[126:127]
	ds_load_b128 v[4:7], v2 offset:1072
	s_wait_loadcnt_dscnt 0xa01
	v_mul_f64_e32 v[150:151], v[136:137], v[10:11]
	v_mul_f64_e32 v[10:11], v[138:139], v[10:11]
	scratch_load_b128 v[124:127], off, off offset:608
	v_add_f64_e32 v[148:149], v[148:149], v[154:155]
	s_wait_loadcnt_dscnt 0xa00
	v_mul_f64_e32 v[154:155], v[4:5], v[14:15]
	v_add_f64_e32 v[158:159], v[146:147], v[144:145]
	v_mul_f64_e32 v[14:15], v[6:7], v[14:15]
	ds_load_b128 v[144:147], v2 offset:1088
	v_fmac_f64_e32 v[150:151], v[138:139], v[8:9]
	v_fma_f64 v[8:9], v[136:137], v[8:9], -v[10:11]
	s_wait_loadcnt_dscnt 0x900
	v_mul_f64_e32 v[138:139], v[144:145], v[98:99]
	v_mul_f64_e32 v[98:99], v[146:147], v[98:99]
	v_add_f64_e32 v[136:137], v[148:149], v[152:153]
	v_fmac_f64_e32 v[154:155], v[6:7], v[12:13]
	v_add_f64_e32 v[10:11], v[158:159], v[156:157]
	v_fma_f64 v[12:13], v[4:5], v[12:13], -v[14:15]
	v_fmac_f64_e32 v[138:139], v[146:147], v[96:97]
	v_fma_f64 v[96:97], v[144:145], v[96:97], -v[98:99]
	v_add_f64_e32 v[136:137], v[136:137], v[150:151]
	v_add_f64_e32 v[14:15], v[10:11], v[8:9]
	ds_load_b128 v[4:7], v2 offset:1104
	ds_load_b128 v[8:11], v2 offset:1120
	s_wait_loadcnt_dscnt 0x801
	v_mul_f64_e32 v[148:149], v[4:5], v[102:103]
	v_mul_f64_e32 v[102:103], v[6:7], v[102:103]
	s_wait_loadcnt_dscnt 0x700
	v_mul_f64_e32 v[98:99], v[8:9], v[106:107]
	v_mul_f64_e32 v[106:107], v[10:11], v[106:107]
	v_add_f64_e32 v[12:13], v[14:15], v[12:13]
	v_add_f64_e32 v[14:15], v[136:137], v[154:155]
	v_fmac_f64_e32 v[148:149], v[6:7], v[100:101]
	v_fma_f64 v[100:101], v[4:5], v[100:101], -v[102:103]
	v_fmac_f64_e32 v[98:99], v[10:11], v[104:105]
	v_fma_f64 v[8:9], v[8:9], v[104:105], -v[106:107]
	v_add_f64_e32 v[96:97], v[12:13], v[96:97]
	v_add_f64_e32 v[102:103], v[14:15], v[138:139]
	ds_load_b128 v[4:7], v2 offset:1136
	ds_load_b128 v[12:15], v2 offset:1152
	s_wait_loadcnt_dscnt 0x601
	v_mul_f64_e32 v[136:137], v[4:5], v[110:111]
	v_mul_f64_e32 v[110:111], v[6:7], v[110:111]
	v_add_f64_e32 v[10:11], v[96:97], v[100:101]
	v_add_f64_e32 v[96:97], v[102:103], v[148:149]
	s_wait_loadcnt_dscnt 0x500
	v_mul_f64_e32 v[100:101], v[12:13], v[114:115]
	v_mul_f64_e32 v[102:103], v[14:15], v[114:115]
	v_fmac_f64_e32 v[136:137], v[6:7], v[108:109]
	v_fma_f64 v[104:105], v[4:5], v[108:109], -v[110:111]
	v_add_f64_e32 v[106:107], v[10:11], v[8:9]
	v_add_f64_e32 v[96:97], v[96:97], v[98:99]
	ds_load_b128 v[4:7], v2 offset:1168
	ds_load_b128 v[8:11], v2 offset:1184
	v_fmac_f64_e32 v[100:101], v[14:15], v[112:113]
	v_fma_f64 v[12:13], v[12:13], v[112:113], -v[102:103]
	s_wait_loadcnt_dscnt 0x401
	v_mul_f64_e32 v[98:99], v[4:5], v[118:119]
	v_mul_f64_e32 v[108:109], v[6:7], v[118:119]
	s_wait_loadcnt_dscnt 0x300
	v_mul_f64_e32 v[102:103], v[8:9], v[122:123]
	v_add_f64_e32 v[14:15], v[106:107], v[104:105]
	v_add_f64_e32 v[96:97], v[96:97], v[136:137]
	v_mul_f64_e32 v[104:105], v[10:11], v[122:123]
	v_fmac_f64_e32 v[98:99], v[6:7], v[116:117]
	v_fma_f64 v[106:107], v[4:5], v[116:117], -v[108:109]
	v_fmac_f64_e32 v[102:103], v[10:11], v[120:121]
	v_add_f64_e32 v[108:109], v[14:15], v[12:13]
	v_add_f64_e32 v[96:97], v[96:97], v[100:101]
	ds_load_b128 v[4:7], v2 offset:1200
	ds_load_b128 v[12:15], v2 offset:1216
	v_fma_f64 v[8:9], v[8:9], v[120:121], -v[104:105]
	s_wait_loadcnt_dscnt 0x201
	v_mul_f64_e32 v[100:101], v[4:5], v[130:131]
	v_mul_f64_e32 v[110:111], v[6:7], v[130:131]
	s_wait_loadcnt_dscnt 0x100
	v_mul_f64_e32 v[104:105], v[14:15], v[142:143]
	v_add_f64_e32 v[10:11], v[108:109], v[106:107]
	v_add_f64_e32 v[96:97], v[96:97], v[98:99]
	v_mul_f64_e32 v[98:99], v[12:13], v[142:143]
	v_fmac_f64_e32 v[100:101], v[6:7], v[128:129]
	v_fma_f64 v[106:107], v[4:5], v[128:129], -v[110:111]
	ds_load_b128 v[4:7], v2 offset:1232
	v_fma_f64 v[12:13], v[12:13], v[140:141], -v[104:105]
	v_add_f64_e32 v[8:9], v[10:11], v[8:9]
	v_add_f64_e32 v[10:11], v[96:97], v[102:103]
	v_fmac_f64_e32 v[98:99], v[14:15], v[140:141]
	s_wait_loadcnt_dscnt 0x0
	v_mul_f64_e32 v[96:97], v[4:5], v[126:127]
	v_mul_f64_e32 v[102:103], v[6:7], v[126:127]
	v_add_f64_e32 v[8:9], v[8:9], v[106:107]
	v_add_f64_e32 v[10:11], v[10:11], v[100:101]
	s_delay_alu instid0(VALU_DEP_4) | instskip(NEXT) | instid1(VALU_DEP_4)
	v_fmac_f64_e32 v[96:97], v[6:7], v[124:125]
	v_fma_f64 v[4:5], v[4:5], v[124:125], -v[102:103]
	s_delay_alu instid0(VALU_DEP_4) | instskip(NEXT) | instid1(VALU_DEP_4)
	v_add_f64_e32 v[6:7], v[8:9], v[12:13]
	v_add_f64_e32 v[8:9], v[10:11], v[98:99]
	s_delay_alu instid0(VALU_DEP_2) | instskip(NEXT) | instid1(VALU_DEP_2)
	v_add_f64_e32 v[4:5], v[6:7], v[4:5]
	v_add_f64_e32 v[6:7], v[8:9], v[96:97]
	s_delay_alu instid0(VALU_DEP_2) | instskip(NEXT) | instid1(VALU_DEP_2)
	v_add_f64_e64 v[4:5], v[132:133], -v[4:5]
	v_add_f64_e64 v[6:7], v[134:135], -v[6:7]
	scratch_store_b128 off, v[4:7], off offset:16
	s_wait_xcnt 0x0
	v_cmpx_ne_u32_e32 0, v1
	s_cbranch_execz .LBB102_247
; %bb.246:
	scratch_load_b128 v[6:9], off, off
	v_dual_mov_b32 v3, v2 :: v_dual_mov_b32 v4, v2
	v_mov_b32_e32 v5, v2
	scratch_store_b128 off, v[2:5], off
	s_wait_loadcnt 0x0
	ds_store_b128 v94, v[6:9]
.LBB102_247:
	s_wait_xcnt 0x0
	s_or_b32 exec_lo, exec_lo, s2
	s_wait_storecnt_dscnt 0x0
	s_barrier_signal -1
	s_barrier_wait -1
	s_clause 0x9
	scratch_load_b128 v[4:7], off, off offset:16
	scratch_load_b128 v[8:11], off, off offset:32
	scratch_load_b128 v[12:15], off, off offset:48
	scratch_load_b128 v[94:97], off, off offset:64
	scratch_load_b128 v[98:101], off, off offset:80
	scratch_load_b128 v[102:105], off, off offset:96
	scratch_load_b128 v[106:109], off, off offset:112
	scratch_load_b128 v[110:113], off, off offset:128
	scratch_load_b128 v[114:117], off, off offset:144
	scratch_load_b128 v[118:121], off, off offset:160
	ds_load_b128 v[122:125], v2 offset:640
	ds_load_b128 v[130:133], v2 offset:656
	s_clause 0x2
	scratch_load_b128 v[126:129], off, off offset:176
	scratch_load_b128 v[134:137], off, off
	scratch_load_b128 v[138:141], off, off offset:192
	s_and_b32 vcc_lo, exec_lo, s51
	s_wait_loadcnt_dscnt 0xc01
	v_mul_f64_e32 v[142:143], v[124:125], v[6:7]
	v_mul_f64_e32 v[146:147], v[122:123], v[6:7]
	s_wait_loadcnt_dscnt 0xb00
	v_mul_f64_e32 v[148:149], v[130:131], v[10:11]
	v_mul_f64_e32 v[10:11], v[132:133], v[10:11]
	s_delay_alu instid0(VALU_DEP_4) | instskip(NEXT) | instid1(VALU_DEP_4)
	v_fma_f64 v[150:151], v[122:123], v[4:5], -v[142:143]
	v_fmac_f64_e32 v[146:147], v[124:125], v[4:5]
	ds_load_b128 v[4:7], v2 offset:672
	ds_load_b128 v[122:125], v2 offset:688
	scratch_load_b128 v[142:145], off, off offset:208
	v_fmac_f64_e32 v[148:149], v[132:133], v[8:9]
	v_fma_f64 v[130:131], v[130:131], v[8:9], -v[10:11]
	scratch_load_b128 v[8:11], off, off offset:224
	s_wait_loadcnt_dscnt 0xc01
	v_mul_f64_e32 v[152:153], v[4:5], v[14:15]
	v_mul_f64_e32 v[14:15], v[6:7], v[14:15]
	v_add_f64_e32 v[132:133], 0, v[150:151]
	v_add_f64_e32 v[146:147], 0, v[146:147]
	s_wait_loadcnt_dscnt 0xb00
	v_mul_f64_e32 v[150:151], v[122:123], v[96:97]
	v_mul_f64_e32 v[96:97], v[124:125], v[96:97]
	v_fmac_f64_e32 v[152:153], v[6:7], v[12:13]
	v_fma_f64 v[154:155], v[4:5], v[12:13], -v[14:15]
	ds_load_b128 v[4:7], v2 offset:704
	ds_load_b128 v[12:15], v2 offset:720
	v_add_f64_e32 v[156:157], v[132:133], v[130:131]
	v_add_f64_e32 v[146:147], v[146:147], v[148:149]
	scratch_load_b128 v[130:133], off, off offset:240
	v_fmac_f64_e32 v[150:151], v[124:125], v[94:95]
	v_fma_f64 v[122:123], v[122:123], v[94:95], -v[96:97]
	scratch_load_b128 v[94:97], off, off offset:256
	s_wait_loadcnt_dscnt 0xc01
	v_mul_f64_e32 v[148:149], v[4:5], v[100:101]
	v_mul_f64_e32 v[100:101], v[6:7], v[100:101]
	v_add_f64_e32 v[124:125], v[156:157], v[154:155]
	v_add_f64_e32 v[146:147], v[146:147], v[152:153]
	s_wait_loadcnt_dscnt 0xb00
	v_mul_f64_e32 v[152:153], v[12:13], v[104:105]
	v_mul_f64_e32 v[104:105], v[14:15], v[104:105]
	v_fmac_f64_e32 v[148:149], v[6:7], v[98:99]
	v_fma_f64 v[154:155], v[4:5], v[98:99], -v[100:101]
	ds_load_b128 v[4:7], v2 offset:736
	ds_load_b128 v[98:101], v2 offset:752
	v_add_f64_e32 v[156:157], v[124:125], v[122:123]
	v_add_f64_e32 v[146:147], v[146:147], v[150:151]
	scratch_load_b128 v[122:125], off, off offset:272
	s_wait_loadcnt_dscnt 0xb01
	v_mul_f64_e32 v[150:151], v[4:5], v[108:109]
	v_mul_f64_e32 v[108:109], v[6:7], v[108:109]
	v_fmac_f64_e32 v[152:153], v[14:15], v[102:103]
	v_fma_f64 v[102:103], v[12:13], v[102:103], -v[104:105]
	scratch_load_b128 v[12:15], off, off offset:288
	v_add_f64_e32 v[104:105], v[156:157], v[154:155]
	v_add_f64_e32 v[146:147], v[146:147], v[148:149]
	s_wait_loadcnt_dscnt 0xb00
	v_mul_f64_e32 v[148:149], v[98:99], v[112:113]
	v_mul_f64_e32 v[112:113], v[100:101], v[112:113]
	v_fmac_f64_e32 v[150:151], v[6:7], v[106:107]
	v_fma_f64 v[154:155], v[4:5], v[106:107], -v[108:109]
	v_add_f64_e32 v[156:157], v[104:105], v[102:103]
	v_add_f64_e32 v[146:147], v[146:147], v[152:153]
	ds_load_b128 v[4:7], v2 offset:768
	ds_load_b128 v[102:105], v2 offset:784
	scratch_load_b128 v[106:109], off, off offset:304
	v_fmac_f64_e32 v[148:149], v[100:101], v[110:111]
	v_fma_f64 v[110:111], v[98:99], v[110:111], -v[112:113]
	scratch_load_b128 v[98:101], off, off offset:320
	s_wait_loadcnt_dscnt 0xc01
	v_mul_f64_e32 v[152:153], v[4:5], v[116:117]
	v_mul_f64_e32 v[116:117], v[6:7], v[116:117]
	v_add_f64_e32 v[112:113], v[156:157], v[154:155]
	v_add_f64_e32 v[146:147], v[146:147], v[150:151]
	s_wait_loadcnt_dscnt 0xb00
	v_mul_f64_e32 v[150:151], v[102:103], v[120:121]
	v_mul_f64_e32 v[120:121], v[104:105], v[120:121]
	v_fmac_f64_e32 v[152:153], v[6:7], v[114:115]
	v_fma_f64 v[154:155], v[4:5], v[114:115], -v[116:117]
	v_add_f64_e32 v[156:157], v[112:113], v[110:111]
	v_add_f64_e32 v[146:147], v[146:147], v[148:149]
	ds_load_b128 v[4:7], v2 offset:800
	ds_load_b128 v[110:113], v2 offset:816
	scratch_load_b128 v[114:117], off, off offset:336
	v_fmac_f64_e32 v[150:151], v[104:105], v[118:119]
	v_fma_f64 v[118:119], v[102:103], v[118:119], -v[120:121]
	scratch_load_b128 v[102:105], off, off offset:352
	s_wait_loadcnt_dscnt 0xc01
	v_mul_f64_e32 v[148:149], v[4:5], v[128:129]
	v_mul_f64_e32 v[128:129], v[6:7], v[128:129]
	;; [unrolled: 18-line block ×5, first 2 shown]
	v_add_f64_e32 v[140:141], v[156:157], v[154:155]
	v_add_f64_e32 v[146:147], v[146:147], v[152:153]
	s_wait_loadcnt_dscnt 0xa00
	v_mul_f64_e32 v[152:153], v[118:119], v[14:15]
	v_mul_f64_e32 v[14:15], v[120:121], v[14:15]
	v_fmac_f64_e32 v[148:149], v[6:7], v[122:123]
	v_fma_f64 v[154:155], v[4:5], v[122:123], -v[124:125]
	ds_load_b128 v[4:7], v2 offset:928
	ds_load_b128 v[122:125], v2 offset:944
	v_add_f64_e32 v[156:157], v[140:141], v[138:139]
	v_add_f64_e32 v[146:147], v[146:147], v[150:151]
	scratch_load_b128 v[138:141], off, off offset:464
	v_fmac_f64_e32 v[152:153], v[120:121], v[12:13]
	v_fma_f64 v[118:119], v[118:119], v[12:13], -v[14:15]
	scratch_load_b128 v[12:15], off, off offset:480
	s_wait_loadcnt_dscnt 0xb01
	v_mul_f64_e32 v[150:151], v[4:5], v[108:109]
	v_mul_f64_e32 v[108:109], v[6:7], v[108:109]
	v_add_f64_e32 v[120:121], v[156:157], v[154:155]
	v_add_f64_e32 v[146:147], v[146:147], v[148:149]
	s_wait_loadcnt_dscnt 0xa00
	v_mul_f64_e32 v[148:149], v[122:123], v[100:101]
	v_mul_f64_e32 v[100:101], v[124:125], v[100:101]
	v_fmac_f64_e32 v[150:151], v[6:7], v[106:107]
	v_fma_f64 v[154:155], v[4:5], v[106:107], -v[108:109]
	ds_load_b128 v[4:7], v2 offset:960
	ds_load_b128 v[106:109], v2 offset:976
	v_add_f64_e32 v[156:157], v[120:121], v[118:119]
	v_add_f64_e32 v[146:147], v[146:147], v[152:153]
	scratch_load_b128 v[118:121], off, off offset:496
	s_wait_loadcnt_dscnt 0xa01
	v_mul_f64_e32 v[152:153], v[4:5], v[116:117]
	v_mul_f64_e32 v[116:117], v[6:7], v[116:117]
	v_fmac_f64_e32 v[148:149], v[124:125], v[98:99]
	v_fma_f64 v[122:123], v[122:123], v[98:99], -v[100:101]
	scratch_load_b128 v[98:101], off, off offset:512
	v_add_f64_e32 v[124:125], v[156:157], v[154:155]
	v_add_f64_e32 v[146:147], v[146:147], v[150:151]
	s_wait_loadcnt_dscnt 0xa00
	v_mul_f64_e32 v[150:151], v[106:107], v[104:105]
	v_mul_f64_e32 v[104:105], v[108:109], v[104:105]
	v_fmac_f64_e32 v[152:153], v[6:7], v[114:115]
	v_fma_f64 v[154:155], v[4:5], v[114:115], -v[116:117]
	ds_load_b128 v[4:7], v2 offset:992
	ds_load_b128 v[114:117], v2 offset:1008
	v_add_f64_e32 v[156:157], v[124:125], v[122:123]
	v_add_f64_e32 v[146:147], v[146:147], v[148:149]
	scratch_load_b128 v[122:125], off, off offset:528
	s_wait_loadcnt_dscnt 0xa01
	v_mul_f64_e32 v[148:149], v[4:5], v[128:129]
	v_mul_f64_e32 v[128:129], v[6:7], v[128:129]
	v_fmac_f64_e32 v[150:151], v[108:109], v[102:103]
	v_fma_f64 v[106:107], v[106:107], v[102:103], -v[104:105]
	scratch_load_b128 v[102:105], off, off offset:544
	v_add_f64_e32 v[108:109], v[156:157], v[154:155]
	v_add_f64_e32 v[146:147], v[146:147], v[152:153]
	s_wait_loadcnt_dscnt 0xa00
	v_mul_f64_e32 v[152:153], v[114:115], v[112:113]
	v_mul_f64_e32 v[112:113], v[116:117], v[112:113]
	v_fmac_f64_e32 v[148:149], v[6:7], v[126:127]
	v_fma_f64 v[154:155], v[4:5], v[126:127], -v[128:129]
	v_add_f64_e32 v[156:157], v[108:109], v[106:107]
	v_add_f64_e32 v[146:147], v[146:147], v[150:151]
	ds_load_b128 v[4:7], v2 offset:1024
	ds_load_b128 v[106:109], v2 offset:1040
	scratch_load_b128 v[126:129], off, off offset:560
	v_fmac_f64_e32 v[152:153], v[116:117], v[110:111]
	v_fma_f64 v[114:115], v[114:115], v[110:111], -v[112:113]
	scratch_load_b128 v[110:113], off, off offset:576
	s_wait_loadcnt_dscnt 0xb01
	v_mul_f64_e32 v[150:151], v[4:5], v[144:145]
	v_mul_f64_e32 v[144:145], v[6:7], v[144:145]
	v_add_f64_e32 v[116:117], v[156:157], v[154:155]
	v_add_f64_e32 v[146:147], v[146:147], v[148:149]
	s_wait_loadcnt_dscnt 0xa00
	v_mul_f64_e32 v[148:149], v[106:107], v[10:11]
	v_mul_f64_e32 v[10:11], v[108:109], v[10:11]
	v_fmac_f64_e32 v[150:151], v[6:7], v[142:143]
	v_fma_f64 v[154:155], v[4:5], v[142:143], -v[144:145]
	v_add_f64_e32 v[156:157], v[116:117], v[114:115]
	v_add_f64_e32 v[146:147], v[146:147], v[152:153]
	ds_load_b128 v[4:7], v2 offset:1056
	ds_load_b128 v[114:117], v2 offset:1072
	scratch_load_b128 v[142:145], off, off offset:592
	v_fmac_f64_e32 v[148:149], v[108:109], v[8:9]
	v_fma_f64 v[106:107], v[106:107], v[8:9], -v[10:11]
	scratch_load_b128 v[8:11], off, off offset:608
	s_wait_loadcnt_dscnt 0xb01
	v_mul_f64_e32 v[152:153], v[4:5], v[132:133]
	v_mul_f64_e32 v[132:133], v[6:7], v[132:133]
	v_add_f64_e32 v[108:109], v[156:157], v[154:155]
	v_add_f64_e32 v[146:147], v[146:147], v[150:151]
	s_wait_loadcnt_dscnt 0xa00
	v_mul_f64_e32 v[150:151], v[114:115], v[96:97]
	v_mul_f64_e32 v[96:97], v[116:117], v[96:97]
	v_fmac_f64_e32 v[152:153], v[6:7], v[130:131]
	v_fma_f64 v[130:131], v[4:5], v[130:131], -v[132:133]
	v_add_f64_e32 v[132:133], v[108:109], v[106:107]
	v_add_f64_e32 v[146:147], v[146:147], v[148:149]
	ds_load_b128 v[4:7], v2 offset:1088
	ds_load_b128 v[106:109], v2 offset:1104
	v_fmac_f64_e32 v[150:151], v[116:117], v[94:95]
	v_fma_f64 v[94:95], v[114:115], v[94:95], -v[96:97]
	s_wait_loadcnt_dscnt 0x901
	v_mul_f64_e32 v[148:149], v[4:5], v[140:141]
	v_mul_f64_e32 v[140:141], v[6:7], v[140:141]
	s_wait_loadcnt_dscnt 0x800
	v_mul_f64_e32 v[116:117], v[106:107], v[14:15]
	v_mul_f64_e32 v[14:15], v[108:109], v[14:15]
	v_add_f64_e32 v[96:97], v[132:133], v[130:131]
	v_add_f64_e32 v[114:115], v[146:147], v[152:153]
	v_fmac_f64_e32 v[148:149], v[6:7], v[138:139]
	v_fma_f64 v[130:131], v[4:5], v[138:139], -v[140:141]
	v_fmac_f64_e32 v[116:117], v[108:109], v[12:13]
	v_fma_f64 v[12:13], v[106:107], v[12:13], -v[14:15]
	v_add_f64_e32 v[132:133], v[96:97], v[94:95]
	v_add_f64_e32 v[114:115], v[114:115], v[150:151]
	ds_load_b128 v[4:7], v2 offset:1120
	ds_load_b128 v[94:97], v2 offset:1136
	s_wait_loadcnt_dscnt 0x701
	v_mul_f64_e32 v[138:139], v[4:5], v[120:121]
	v_mul_f64_e32 v[120:121], v[6:7], v[120:121]
	s_wait_loadcnt_dscnt 0x600
	v_mul_f64_e32 v[108:109], v[94:95], v[100:101]
	v_mul_f64_e32 v[100:101], v[96:97], v[100:101]
	v_add_f64_e32 v[14:15], v[132:133], v[130:131]
	v_add_f64_e32 v[106:107], v[114:115], v[148:149]
	v_fmac_f64_e32 v[138:139], v[6:7], v[118:119]
	v_fma_f64 v[114:115], v[4:5], v[118:119], -v[120:121]
	v_fmac_f64_e32 v[108:109], v[96:97], v[98:99]
	v_fma_f64 v[94:95], v[94:95], v[98:99], -v[100:101]
	v_add_f64_e32 v[118:119], v[14:15], v[12:13]
	v_add_f64_e32 v[106:107], v[106:107], v[116:117]
	ds_load_b128 v[4:7], v2 offset:1152
	ds_load_b128 v[12:15], v2 offset:1168
	s_wait_loadcnt_dscnt 0x501
	v_mul_f64_e32 v[116:117], v[4:5], v[124:125]
	v_mul_f64_e32 v[120:121], v[6:7], v[124:125]
	s_wait_loadcnt_dscnt 0x400
	v_mul_f64_e32 v[100:101], v[12:13], v[104:105]
	v_mul_f64_e32 v[104:105], v[14:15], v[104:105]
	v_add_f64_e32 v[96:97], v[118:119], v[114:115]
	v_add_f64_e32 v[98:99], v[106:107], v[138:139]
	v_fmac_f64_e32 v[116:117], v[6:7], v[122:123]
	v_fma_f64 v[106:107], v[4:5], v[122:123], -v[120:121]
	v_fmac_f64_e32 v[100:101], v[14:15], v[102:103]
	v_fma_f64 v[12:13], v[12:13], v[102:103], -v[104:105]
	v_lshl_add_u64 v[122:123], v[20:21], 4, s[4:5]
	v_lshl_add_u64 v[120:121], v[32:33], 4, s[4:5]
	v_lshl_add_u64 v[32:33], v[66:67], 4, s[4:5]
	v_lshl_add_u64 v[20:21], v[78:79], 4, s[4:5]
	v_add_f64_e32 v[114:115], v[96:97], v[94:95]
	v_add_f64_e32 v[98:99], v[98:99], v[108:109]
	ds_load_b128 v[4:7], v2 offset:1184
	ds_load_b128 v[94:97], v2 offset:1200
	s_wait_loadcnt_dscnt 0x301
	v_mul_f64_e32 v[108:109], v[4:5], v[128:129]
	v_mul_f64_e32 v[118:119], v[6:7], v[128:129]
	s_wait_loadcnt_dscnt 0x200
	v_mul_f64_e32 v[102:103], v[94:95], v[112:113]
	v_mul_f64_e32 v[104:105], v[96:97], v[112:113]
	v_add_f64_e32 v[14:15], v[114:115], v[106:107]
	v_add_f64_e32 v[98:99], v[98:99], v[116:117]
	v_lshl_add_u64 v[114:115], v[24:25], 4, s[4:5]
	v_lshl_add_u64 v[116:117], v[36:37], 4, s[4:5]
	v_lshl_add_u64 v[36:37], v[62:63], 4, s[4:5]
	v_lshl_add_u64 v[24:25], v[74:75], 4, s[4:5]
	v_fmac_f64_e32 v[108:109], v[6:7], v[126:127]
	v_fma_f64 v[106:107], v[4:5], v[126:127], -v[118:119]
	v_fmac_f64_e32 v[102:103], v[96:97], v[110:111]
	v_fma_f64 v[94:95], v[94:95], v[110:111], -v[104:105]
	v_lshl_add_u64 v[118:119], v[22:23], 4, s[4:5]
	v_lshl_add_u64 v[110:111], v[26:27], 4, s[4:5]
	;; [unrolled: 1-line block ×4, first 2 shown]
	v_add_f64_e32 v[112:113], v[14:15], v[12:13]
	v_add_f64_e32 v[98:99], v[98:99], v[100:101]
	ds_load_b128 v[4:7], v2 offset:1216
	ds_load_b128 v[12:15], v2 offset:1232
	s_wait_loadcnt_dscnt 0x101
	v_mul_f64_e32 v[2:3], v[4:5], v[144:145]
	v_mul_f64_e32 v[100:101], v[6:7], v[144:145]
	s_wait_loadcnt_dscnt 0x0
	v_mul_f64_e32 v[104:105], v[12:13], v[10:11]
	v_mul_f64_e32 v[10:11], v[14:15], v[10:11]
	v_add_f64_e32 v[96:97], v[112:113], v[106:107]
	v_add_f64_e32 v[98:99], v[98:99], v[108:109]
	v_lshl_add_u64 v[106:107], v[28:29], 4, s[4:5]
	v_lshl_add_u64 v[112:113], v[38:39], 4, s[4:5]
	;; [unrolled: 1-line block ×6, first 2 shown]
	v_fmac_f64_e32 v[2:3], v[6:7], v[142:143]
	v_fma_f64 v[4:5], v[4:5], v[142:143], -v[100:101]
	v_fmac_f64_e32 v[104:105], v[14:15], v[8:9]
	v_fma_f64 v[8:9], v[12:13], v[8:9], -v[10:11]
	v_lshl_add_u64 v[100:101], v[44:45], 4, s[4:5]
	v_lshl_add_u64 v[44:45], v[54:55], 4, s[4:5]
	;; [unrolled: 1-line block ×5, first 2 shown]
	v_add_f64_e32 v[6:7], v[96:97], v[94:95]
	v_add_f64_e32 v[94:95], v[98:99], v[102:103]
	v_lshl_add_u64 v[102:103], v[30:31], 4, s[4:5]
	v_lshl_add_u64 v[98:99], v[34:35], 4, s[4:5]
	;; [unrolled: 1-line block ×6, first 2 shown]
	v_add_f64_e32 v[4:5], v[6:7], v[4:5]
	v_add_f64_e32 v[2:3], v[94:95], v[2:3]
	v_lshl_add_u64 v[94:95], v[48:49], 4, s[4:5]
	v_lshl_add_u64 v[48:49], v[50:51], 4, s[4:5]
	;; [unrolled: 1-line block ×3, first 2 shown]
	v_add_f64_e32 v[4:5], v[4:5], v[8:9]
	v_add_f64_e32 v[2:3], v[2:3], v[104:105]
	v_lshl_add_u64 v[104:105], v[42:43], 4, s[4:5]
	v_lshl_add_u64 v[42:43], v[56:57], 4, s[4:5]
	;; [unrolled: 1-line block ×3, first 2 shown]
	v_add_f64_e64 v[124:125], v[134:135], -v[4:5]
	v_add_f64_e64 v[126:127], v[136:137], -v[2:3]
	v_lshl_add_u64 v[4:5], v[90:91], 4, s[4:5]
	v_lshl_add_u64 v[2:3], v[92:93], 4, s[4:5]
	scratch_store_b128 off, v[124:127], off
	s_cbranch_vccz .LBB102_324
; %bb.248:
	v_mov_b32_e32 v50, 0
	s_load_b64 s[2:3], s[0:1], 0x4
	v_bfe_u32 v52, v0, 10, 10
	v_bfe_u32 v0, v0, 20, 10
	global_load_b32 v51, v50, s[8:9] offset:148
	s_wait_kmcnt 0x0
	s_lshr_b32 s0, s2, 16
	v_mul_u32_u24_e32 v52, s3, v52
	s_mul_i32 s0, s0, s3
	s_delay_alu instid0(SALU_CYCLE_1) | instskip(NEXT) | instid1(VALU_DEP_1)
	v_mul_u32_u24_e32 v1, s0, v1
	v_add3_u32 v0, v1, v52, v0
	s_delay_alu instid0(VALU_DEP_1)
	v_lshl_add_u32 v0, v0, 4, 0x4e8
	s_wait_loadcnt 0x0
	v_cmp_ne_u32_e32 vcc_lo, 38, v51
	s_cbranch_vccz .LBB102_250
; %bb.249:
	v_lshlrev_b32_e32 v1, 4, v51
	s_clause 0x1
	scratch_load_b128 v[52:55], off, s15
	scratch_load_b128 v[56:59], v1, off offset:-16
	s_wait_loadcnt 0x1
	ds_store_2addr_b64 v0, v[52:53], v[54:55] offset1:1
	s_wait_loadcnt 0x0
	s_clause 0x1
	scratch_store_b128 off, v[56:59], s15
	scratch_store_b128 v1, v[52:55], off offset:-16
.LBB102_250:
	global_load_b32 v1, v50, s[8:9] offset:144
	s_wait_loadcnt 0x0
	v_cmp_eq_u32_e32 vcc_lo, 37, v1
	s_cbranch_vccnz .LBB102_252
; %bb.251:
	v_lshlrev_b32_e32 v1, 4, v1
	s_clause 0x1
	scratch_load_b128 v[50:53], off, s17
	scratch_load_b128 v[54:57], v1, off offset:-16
	s_wait_loadcnt 0x1
	ds_store_2addr_b64 v0, v[50:51], v[52:53] offset1:1
	s_wait_loadcnt 0x0
	s_clause 0x1
	scratch_store_b128 off, v[54:57], s17
	scratch_store_b128 v1, v[50:53], off offset:-16
.LBB102_252:
	s_wait_xcnt 0x0
	v_mov_b32_e32 v1, 0
	global_load_b32 v50, v1, s[8:9] offset:140
	s_wait_loadcnt 0x0
	v_cmp_eq_u32_e32 vcc_lo, 36, v50
	s_cbranch_vccnz .LBB102_254
; %bb.253:
	v_lshlrev_b32_e32 v50, 4, v50
	s_delay_alu instid0(VALU_DEP_1)
	v_mov_b32_e32 v58, v50
	s_clause 0x1
	scratch_load_b128 v[50:53], off, s19
	scratch_load_b128 v[54:57], v58, off offset:-16
	s_wait_loadcnt 0x1
	ds_store_2addr_b64 v0, v[50:51], v[52:53] offset1:1
	s_wait_loadcnt 0x0
	s_clause 0x1
	scratch_store_b128 off, v[54:57], s19
	scratch_store_b128 v58, v[50:53], off offset:-16
.LBB102_254:
	global_load_b32 v1, v1, s[8:9] offset:136
	s_wait_loadcnt 0x0
	v_cmp_eq_u32_e32 vcc_lo, 35, v1
	s_cbranch_vccnz .LBB102_256
; %bb.255:
	s_wait_xcnt 0x0
	v_lshlrev_b32_e32 v1, 4, v1
	s_clause 0x1
	scratch_load_b128 v[50:53], off, s20
	scratch_load_b128 v[54:57], v1, off offset:-16
	s_wait_loadcnt 0x1
	ds_store_2addr_b64 v0, v[50:51], v[52:53] offset1:1
	s_wait_loadcnt 0x0
	s_clause 0x1
	scratch_store_b128 off, v[54:57], s20
	scratch_store_b128 v1, v[50:53], off offset:-16
.LBB102_256:
	s_wait_xcnt 0x0
	v_mov_b32_e32 v1, 0
	global_load_b32 v50, v1, s[8:9] offset:132
	s_wait_loadcnt 0x0
	v_cmp_eq_u32_e32 vcc_lo, 34, v50
	s_cbranch_vccnz .LBB102_258
; %bb.257:
	v_lshlrev_b32_e32 v50, 4, v50
	s_delay_alu instid0(VALU_DEP_1)
	v_mov_b32_e32 v58, v50
	s_clause 0x1
	scratch_load_b128 v[50:53], off, s21
	scratch_load_b128 v[54:57], v58, off offset:-16
	s_wait_loadcnt 0x1
	ds_store_2addr_b64 v0, v[50:51], v[52:53] offset1:1
	s_wait_loadcnt 0x0
	s_clause 0x1
	scratch_store_b128 off, v[54:57], s21
	scratch_store_b128 v58, v[50:53], off offset:-16
.LBB102_258:
	global_load_b32 v1, v1, s[8:9] offset:128
	s_wait_loadcnt 0x0
	v_cmp_eq_u32_e32 vcc_lo, 33, v1
	s_cbranch_vccnz .LBB102_260
; %bb.259:
	s_wait_xcnt 0x0
	v_lshlrev_b32_e32 v1, 4, v1
	s_clause 0x1
	scratch_load_b128 v[50:53], off, s22
	scratch_load_b128 v[54:57], v1, off offset:-16
	s_wait_loadcnt 0x1
	ds_store_2addr_b64 v0, v[50:51], v[52:53] offset1:1
	s_wait_loadcnt 0x0
	s_clause 0x1
	scratch_store_b128 off, v[54:57], s22
	scratch_store_b128 v1, v[50:53], off offset:-16
.LBB102_260:
	;; [unrolled: 37-line block ×17, first 2 shown]
	s_wait_xcnt 0x0
	v_mov_b32_e32 v1, 0
	global_load_b32 v50, v1, s[8:9] offset:4
	s_wait_loadcnt 0x0
	v_cmp_eq_u32_e32 vcc_lo, 2, v50
	s_cbranch_vccnz .LBB102_322
; %bb.321:
	v_lshlrev_b32_e32 v50, 4, v50
	s_delay_alu instid0(VALU_DEP_1)
	v_mov_b32_e32 v58, v50
	s_clause 0x1
	scratch_load_b128 v[50:53], off, s18
	scratch_load_b128 v[54:57], v58, off offset:-16
	s_wait_loadcnt 0x1
	ds_store_2addr_b64 v0, v[50:51], v[52:53] offset1:1
	s_wait_loadcnt 0x0
	s_clause 0x1
	scratch_store_b128 off, v[54:57], s18
	scratch_store_b128 v58, v[50:53], off offset:-16
.LBB102_322:
	global_load_b32 v1, v1, s[8:9]
	s_wait_loadcnt 0x0
	v_cmp_eq_u32_e32 vcc_lo, 1, v1
	s_cbranch_vccnz .LBB102_324
; %bb.323:
	s_wait_xcnt 0x0
	v_lshlrev_b32_e32 v1, 4, v1
	scratch_load_b128 v[50:53], off, off
	scratch_load_b128 v[54:57], v1, off offset:-16
	s_wait_loadcnt 0x1
	ds_store_2addr_b64 v0, v[50:51], v[52:53] offset1:1
	s_wait_loadcnt 0x0
	scratch_store_b128 off, v[54:57], off
	scratch_store_b128 v1, v[50:53], off offset:-16
.LBB102_324:
	scratch_load_b128 v[50:53], off, off
	s_wait_loadcnt 0x0
	flat_store_b128 v[16:17], v[50:53]
	scratch_load_b128 v[50:53], off, s18
	s_wait_loadcnt 0x0
	flat_store_b128 v[18:19], v[50:53]
	scratch_load_b128 v[16:19], off, s16
	;; [unrolled: 3-line block ×38, first 2 shown]
	s_wait_loadcnt 0x0
	flat_store_b128 v[2:3], v[4:7]
	s_sendmsg sendmsg(MSG_DEALLOC_VGPRS)
	s_endpgm
	.section	.rodata,"a",@progbits
	.p2align	6, 0x0
	.amdhsa_kernel _ZN9rocsolver6v33100L18getri_kernel_smallILi39E19rocblas_complex_numIdEPKPS3_EEvT1_iilPiilS8_bb
		.amdhsa_group_segment_fixed_size 2280
		.amdhsa_private_segment_fixed_size 640
		.amdhsa_kernarg_size 60
		.amdhsa_user_sgpr_count 4
		.amdhsa_user_sgpr_dispatch_ptr 1
		.amdhsa_user_sgpr_queue_ptr 0
		.amdhsa_user_sgpr_kernarg_segment_ptr 1
		.amdhsa_user_sgpr_dispatch_id 0
		.amdhsa_user_sgpr_kernarg_preload_length 0
		.amdhsa_user_sgpr_kernarg_preload_offset 0
		.amdhsa_user_sgpr_private_segment_size 0
		.amdhsa_wavefront_size32 1
		.amdhsa_uses_dynamic_stack 0
		.amdhsa_enable_private_segment 1
		.amdhsa_system_sgpr_workgroup_id_x 1
		.amdhsa_system_sgpr_workgroup_id_y 0
		.amdhsa_system_sgpr_workgroup_id_z 0
		.amdhsa_system_sgpr_workgroup_info 0
		.amdhsa_system_vgpr_workitem_id 2
		.amdhsa_next_free_vgpr 160
		.amdhsa_next_free_sgpr 69
		.amdhsa_named_barrier_count 0
		.amdhsa_reserve_vcc 1
		.amdhsa_float_round_mode_32 0
		.amdhsa_float_round_mode_16_64 0
		.amdhsa_float_denorm_mode_32 3
		.amdhsa_float_denorm_mode_16_64 3
		.amdhsa_fp16_overflow 0
		.amdhsa_memory_ordered 1
		.amdhsa_forward_progress 1
		.amdhsa_inst_pref_size 255
		.amdhsa_round_robin_scheduling 0
		.amdhsa_exception_fp_ieee_invalid_op 0
		.amdhsa_exception_fp_denorm_src 0
		.amdhsa_exception_fp_ieee_div_zero 0
		.amdhsa_exception_fp_ieee_overflow 0
		.amdhsa_exception_fp_ieee_underflow 0
		.amdhsa_exception_fp_ieee_inexact 0
		.amdhsa_exception_int_div_zero 0
	.end_amdhsa_kernel
	.section	.text._ZN9rocsolver6v33100L18getri_kernel_smallILi39E19rocblas_complex_numIdEPKPS3_EEvT1_iilPiilS8_bb,"axG",@progbits,_ZN9rocsolver6v33100L18getri_kernel_smallILi39E19rocblas_complex_numIdEPKPS3_EEvT1_iilPiilS8_bb,comdat
.Lfunc_end102:
	.size	_ZN9rocsolver6v33100L18getri_kernel_smallILi39E19rocblas_complex_numIdEPKPS3_EEvT1_iilPiilS8_bb, .Lfunc_end102-_ZN9rocsolver6v33100L18getri_kernel_smallILi39E19rocblas_complex_numIdEPKPS3_EEvT1_iilPiilS8_bb
                                        ; -- End function
	.set _ZN9rocsolver6v33100L18getri_kernel_smallILi39E19rocblas_complex_numIdEPKPS3_EEvT1_iilPiilS8_bb.num_vgpr, 160
	.set _ZN9rocsolver6v33100L18getri_kernel_smallILi39E19rocblas_complex_numIdEPKPS3_EEvT1_iilPiilS8_bb.num_agpr, 0
	.set _ZN9rocsolver6v33100L18getri_kernel_smallILi39E19rocblas_complex_numIdEPKPS3_EEvT1_iilPiilS8_bb.numbered_sgpr, 69
	.set _ZN9rocsolver6v33100L18getri_kernel_smallILi39E19rocblas_complex_numIdEPKPS3_EEvT1_iilPiilS8_bb.num_named_barrier, 0
	.set _ZN9rocsolver6v33100L18getri_kernel_smallILi39E19rocblas_complex_numIdEPKPS3_EEvT1_iilPiilS8_bb.private_seg_size, 640
	.set _ZN9rocsolver6v33100L18getri_kernel_smallILi39E19rocblas_complex_numIdEPKPS3_EEvT1_iilPiilS8_bb.uses_vcc, 1
	.set _ZN9rocsolver6v33100L18getri_kernel_smallILi39E19rocblas_complex_numIdEPKPS3_EEvT1_iilPiilS8_bb.uses_flat_scratch, 1
	.set _ZN9rocsolver6v33100L18getri_kernel_smallILi39E19rocblas_complex_numIdEPKPS3_EEvT1_iilPiilS8_bb.has_dyn_sized_stack, 0
	.set _ZN9rocsolver6v33100L18getri_kernel_smallILi39E19rocblas_complex_numIdEPKPS3_EEvT1_iilPiilS8_bb.has_recursion, 0
	.set _ZN9rocsolver6v33100L18getri_kernel_smallILi39E19rocblas_complex_numIdEPKPS3_EEvT1_iilPiilS8_bb.has_indirect_call, 0
	.section	.AMDGPU.csdata,"",@progbits
; Kernel info:
; codeLenInByte = 62892
; TotalNumSgprs: 71
; NumVgprs: 160
; ScratchSize: 640
; MemoryBound: 0
; FloatMode: 240
; IeeeMode: 1
; LDSByteSize: 2280 bytes/workgroup (compile time only)
; SGPRBlocks: 0
; VGPRBlocks: 9
; NumSGPRsForWavesPerEU: 71
; NumVGPRsForWavesPerEU: 160
; NamedBarCnt: 0
; Occupancy: 6
; WaveLimiterHint : 1
; COMPUTE_PGM_RSRC2:SCRATCH_EN: 1
; COMPUTE_PGM_RSRC2:USER_SGPR: 4
; COMPUTE_PGM_RSRC2:TRAP_HANDLER: 0
; COMPUTE_PGM_RSRC2:TGID_X_EN: 1
; COMPUTE_PGM_RSRC2:TGID_Y_EN: 0
; COMPUTE_PGM_RSRC2:TGID_Z_EN: 0
; COMPUTE_PGM_RSRC2:TIDIG_COMP_CNT: 2
	.section	.text._ZN9rocsolver6v33100L18getri_kernel_smallILi40E19rocblas_complex_numIdEPKPS3_EEvT1_iilPiilS8_bb,"axG",@progbits,_ZN9rocsolver6v33100L18getri_kernel_smallILi40E19rocblas_complex_numIdEPKPS3_EEvT1_iilPiilS8_bb,comdat
	.globl	_ZN9rocsolver6v33100L18getri_kernel_smallILi40E19rocblas_complex_numIdEPKPS3_EEvT1_iilPiilS8_bb ; -- Begin function _ZN9rocsolver6v33100L18getri_kernel_smallILi40E19rocblas_complex_numIdEPKPS3_EEvT1_iilPiilS8_bb
	.p2align	8
	.type	_ZN9rocsolver6v33100L18getri_kernel_smallILi40E19rocblas_complex_numIdEPKPS3_EEvT1_iilPiilS8_bb,@function
_ZN9rocsolver6v33100L18getri_kernel_smallILi40E19rocblas_complex_numIdEPKPS3_EEvT1_iilPiilS8_bb: ; @_ZN9rocsolver6v33100L18getri_kernel_smallILi40E19rocblas_complex_numIdEPKPS3_EEvT1_iilPiilS8_bb
; %bb.0:
	v_and_b32_e32 v1, 0x3ff, v0
	s_mov_b32 s4, exec_lo
	s_delay_alu instid0(VALU_DEP_1)
	v_cmpx_gt_u32_e32 40, v1
	s_cbranch_execz .LBB103_174
; %bb.1:
	s_clause 0x1
	s_load_b32 s16, s[2:3], 0x38
	s_load_b64 s[8:9], s[2:3], 0x0
	s_getreg_b32 s6, hwreg(HW_REG_IB_STS2, 6, 4)
	s_wait_kmcnt 0x0
	s_bitcmp1_b32 s16, 8
	s_cselect_b32 s52, -1, 0
	s_bfe_u32 s4, ttmp6, 0x4000c
	s_and_b32 s5, ttmp6, 15
	s_add_co_i32 s4, s4, 1
	s_delay_alu instid0(SALU_CYCLE_1) | instskip(NEXT) | instid1(SALU_CYCLE_1)
	s_mul_i32 s4, ttmp9, s4
	s_add_co_i32 s5, s5, s4
	s_cmp_eq_u32 s6, 0
	s_cselect_b32 s10, ttmp9, s5
	s_load_b128 s[4:7], s[2:3], 0x28
	s_ashr_i32 s11, s10, 31
	s_delay_alu instid0(SALU_CYCLE_1) | instskip(NEXT) | instid1(SALU_CYCLE_1)
	s_lshl_b64 s[12:13], s[10:11], 3
	s_add_nc_u64 s[8:9], s[8:9], s[12:13]
	s_load_b64 s[14:15], s[8:9], 0x0
	s_wait_xcnt 0x0
	s_bfe_u32 s8, s16, 0x10008
	s_delay_alu instid0(SALU_CYCLE_1)
	s_cmp_eq_u32 s8, 0
                                        ; implicit-def: $sgpr8_sgpr9
	s_cbranch_scc1 .LBB103_3
; %bb.2:
	s_load_b96 s[16:18], s[2:3], 0x18
	s_wait_kmcnt 0x0
	s_mul_u64 s[4:5], s[4:5], s[10:11]
	s_delay_alu instid0(SALU_CYCLE_1) | instskip(SKIP_4) | instid1(SALU_CYCLE_1)
	s_lshl_b64 s[4:5], s[4:5], 2
	s_ashr_i32 s9, s18, 31
	s_mov_b32 s8, s18
	s_add_nc_u64 s[4:5], s[16:17], s[4:5]
	s_lshl_b64 s[8:9], s[8:9], 2
	s_add_nc_u64 s[8:9], s[4:5], s[8:9]
.LBB103_3:
	s_clause 0x1
	s_load_b64 s[12:13], s[2:3], 0x8
	s_load_b32 s53, s[2:3], 0x38
	v_dual_mov_b32 v15, 0 :: v_dual_lshlrev_b32 v14, 4, v1
	s_movk_i32 s54, 0x180
	s_movk_i32 s55, 0x190
	;; [unrolled: 1-line block ×16, first 2 shown]
	s_wait_kmcnt 0x0
	s_ashr_i32 s3, s12, 31
	s_mov_b32 s2, s12
	v_add3_u32 v28, s13, s13, v1
	s_lshl_b64 s[2:3], s[2:3], 4
	s_mov_b32 s18, 16
	s_add_nc_u64 s[4:5], s[14:15], s[2:3]
	s_ashr_i32 s3, s13, 31
	flat_load_b128 v[2:5], v1, s[4:5] scale_offset
	v_add_nc_u64_e32 v[24:25], s[4:5], v[14:15]
	s_mov_b32 s2, s13
	v_add_nc_u32_e32 v30, s13, v28
	s_mov_b32 s16, 32
	s_mov_b32 s14, 48
	;; [unrolled: 1-line block ×3, first 2 shown]
	s_movk_i32 s51, 0x50
	v_lshl_add_u64 v[26:27], s[2:3], 4, v[24:25]
	v_add_nc_u32_e32 v32, s13, v30
	s_movk_i32 s50, 0x60
	s_movk_i32 s49, 0x70
	s_movk_i32 s48, 0x80
	s_movk_i32 s47, 0x90
	v_add_nc_u32_e32 v34, s13, v32
	s_movk_i32 s46, 0xa0
	s_movk_i32 s45, 0xb0
	s_movk_i32 s44, 0xc0
	s_movk_i32 s43, 0xd0
	;; [unrolled: 5-line block ×4, first 2 shown]
	v_add_nc_u32_e32 v40, s13, v38
	s_movk_i32 s34, 0x160
	s_movk_i32 s33, 0x170
	s_mov_b32 s31, s54
	s_mov_b32 s30, s55
	v_add_nc_u32_e32 v44, s13, v40
	s_mov_b32 s29, s56
	s_mov_b32 s28, s57
	s_mov_b32 s27, s58
	s_mov_b32 s26, s59
	v_add_nc_u32_e32 v42, s13, v44
	s_mov_b32 s25, s60
	s_mov_b32 s24, s61
	s_mov_b32 s23, s62
	s_mov_b32 s22, s63
	v_add_nc_u32_e32 v46, s13, v42
	s_mov_b32 s21, s64
	s_mov_b32 s20, s65
	s_mov_b32 s19, s66
	s_mov_b32 s17, s67
	v_add_nc_u32_e32 v48, s13, v46
	s_mov_b32 s15, s68
	s_bitcmp0_b32 s53, 0
	s_mov_b32 s3, -1
	s_delay_alu instid0(VALU_DEP_1) | instskip(NEXT) | instid1(VALU_DEP_1)
	v_add_nc_u32_e32 v50, s13, v48
	v_add_nc_u32_e32 v52, s13, v50
	s_delay_alu instid0(VALU_DEP_1) | instskip(NEXT) | instid1(VALU_DEP_1)
	v_add_nc_u32_e32 v54, s13, v52
	v_add_nc_u32_e32 v56, s13, v54
	;; [unrolled: 3-line block ×13, first 2 shown]
	s_delay_alu instid0(VALU_DEP_1)
	v_add_nc_u32_e32 v102, s13, v100
	s_mov_b32 s13, s69
	s_wait_loadcnt_dscnt 0x0
	scratch_store_b128 off, v[2:5], off
	flat_load_b128 v[2:5], v[26:27]
	s_wait_loadcnt_dscnt 0x0
	scratch_store_b128 off, v[2:5], off offset:16
	flat_load_b128 v[2:5], v28, s[4:5] scale_offset
	s_wait_loadcnt_dscnt 0x0
	scratch_store_b128 off, v[2:5], off offset:32
	flat_load_b128 v[2:5], v30, s[4:5] scale_offset
	;; [unrolled: 3-line block ×38, first 2 shown]
	s_wait_loadcnt_dscnt 0x0
	scratch_store_b128 off, v[2:5], off offset:624
	s_cbranch_scc1 .LBB103_172
; %bb.4:
	v_cmp_eq_u32_e64 s2, 0, v1
	s_wait_xcnt 0x0
	s_and_saveexec_b32 s3, s2
; %bb.5:
	v_mov_b32_e32 v2, 0
	ds_store_b32 v2, v2 offset:1280
; %bb.6:
	s_or_b32 exec_lo, exec_lo, s3
	s_wait_storecnt_dscnt 0x0
	s_barrier_signal -1
	s_barrier_wait -1
	scratch_load_b128 v[2:5], v1, off scale_offset
	s_wait_loadcnt 0x0
	v_cmp_eq_f64_e32 vcc_lo, 0, v[2:3]
	v_cmp_eq_f64_e64 s3, 0, v[4:5]
	s_and_b32 s3, vcc_lo, s3
	s_delay_alu instid0(SALU_CYCLE_1)
	s_and_saveexec_b32 s53, s3
	s_cbranch_execz .LBB103_10
; %bb.7:
	v_mov_b32_e32 v2, 0
	s_mov_b32 s54, 0
	ds_load_b32 v3, v2 offset:1280
	s_wait_dscnt 0x0
	v_readfirstlane_b32 s3, v3
	v_add_nc_u32_e32 v3, 1, v1
	s_cmp_eq_u32 s3, 0
	s_delay_alu instid0(VALU_DEP_1) | instskip(SKIP_1) | instid1(SALU_CYCLE_1)
	v_cmp_gt_i32_e32 vcc_lo, s3, v3
	s_cselect_b32 s55, -1, 0
	s_or_b32 s55, s55, vcc_lo
	s_delay_alu instid0(SALU_CYCLE_1)
	s_and_b32 exec_lo, exec_lo, s55
	s_cbranch_execz .LBB103_10
; %bb.8:
	v_mov_b32_e32 v4, s3
.LBB103_9:                              ; =>This Inner Loop Header: Depth=1
	ds_cmpstore_rtn_b32 v4, v2, v3, v4 offset:1280
	s_wait_dscnt 0x0
	v_cmp_ne_u32_e32 vcc_lo, 0, v4
	v_cmp_le_i32_e64 s3, v4, v3
	s_and_b32 s3, vcc_lo, s3
	s_delay_alu instid0(SALU_CYCLE_1) | instskip(NEXT) | instid1(SALU_CYCLE_1)
	s_and_b32 s3, exec_lo, s3
	s_or_b32 s54, s3, s54
	s_delay_alu instid0(SALU_CYCLE_1)
	s_and_not1_b32 exec_lo, exec_lo, s54
	s_cbranch_execnz .LBB103_9
.LBB103_10:
	s_or_b32 exec_lo, exec_lo, s53
	v_mov_b32_e32 v2, 0
	s_barrier_signal -1
	s_barrier_wait -1
	ds_load_b32 v3, v2 offset:1280
	s_and_saveexec_b32 s3, s2
	s_cbranch_execz .LBB103_12
; %bb.11:
	s_lshl_b64 s[54:55], s[10:11], 2
	s_delay_alu instid0(SALU_CYCLE_1)
	s_add_nc_u64 s[54:55], s[6:7], s[54:55]
	s_wait_dscnt 0x0
	global_store_b32 v2, v3, s[54:55]
.LBB103_12:
	s_wait_xcnt 0x0
	s_or_b32 exec_lo, exec_lo, s3
	s_wait_dscnt 0x0
	v_cmp_ne_u32_e32 vcc_lo, 0, v3
	s_mov_b32 s3, 0
	s_cbranch_vccnz .LBB103_172
; %bb.13:
	v_lshl_add_u32 v15, v1, 4, 0
                                        ; implicit-def: $vgpr6_vgpr7
                                        ; implicit-def: $vgpr10_vgpr11
	scratch_load_b128 v[2:5], v15, off
	s_wait_loadcnt 0x0
	v_cmp_ngt_f64_e64 s3, |v[2:3]|, |v[4:5]|
	s_wait_xcnt 0x0
	s_and_saveexec_b32 s53, s3
	s_delay_alu instid0(SALU_CYCLE_1)
	s_xor_b32 s3, exec_lo, s53
	s_cbranch_execz .LBB103_15
; %bb.14:
	v_div_scale_f64 v[6:7], null, v[4:5], v[4:5], v[2:3]
	v_div_scale_f64 v[12:13], vcc_lo, v[2:3], v[4:5], v[2:3]
	s_delay_alu instid0(VALU_DEP_2) | instskip(SKIP_1) | instid1(TRANS32_DEP_1)
	v_rcp_f64_e32 v[8:9], v[6:7]
	v_nop
	v_fma_f64 v[10:11], -v[6:7], v[8:9], 1.0
	s_delay_alu instid0(VALU_DEP_1) | instskip(NEXT) | instid1(VALU_DEP_1)
	v_fmac_f64_e32 v[8:9], v[8:9], v[10:11]
	v_fma_f64 v[10:11], -v[6:7], v[8:9], 1.0
	s_delay_alu instid0(VALU_DEP_1) | instskip(NEXT) | instid1(VALU_DEP_1)
	v_fmac_f64_e32 v[8:9], v[8:9], v[10:11]
	v_mul_f64_e32 v[10:11], v[12:13], v[8:9]
	s_delay_alu instid0(VALU_DEP_1) | instskip(NEXT) | instid1(VALU_DEP_1)
	v_fma_f64 v[6:7], -v[6:7], v[10:11], v[12:13]
	v_div_fmas_f64 v[6:7], v[6:7], v[8:9], v[10:11]
	s_delay_alu instid0(VALU_DEP_1) | instskip(NEXT) | instid1(VALU_DEP_1)
	v_div_fixup_f64 v[6:7], v[6:7], v[4:5], v[2:3]
	v_fmac_f64_e32 v[4:5], v[2:3], v[6:7]
	s_delay_alu instid0(VALU_DEP_1) | instskip(SKIP_1) | instid1(VALU_DEP_2)
	v_div_scale_f64 v[2:3], null, v[4:5], v[4:5], 1.0
	v_div_scale_f64 v[12:13], vcc_lo, 1.0, v[4:5], 1.0
	v_rcp_f64_e32 v[8:9], v[2:3]
	v_nop
	s_delay_alu instid0(TRANS32_DEP_1) | instskip(NEXT) | instid1(VALU_DEP_1)
	v_fma_f64 v[10:11], -v[2:3], v[8:9], 1.0
	v_fmac_f64_e32 v[8:9], v[8:9], v[10:11]
	s_delay_alu instid0(VALU_DEP_1) | instskip(NEXT) | instid1(VALU_DEP_1)
	v_fma_f64 v[10:11], -v[2:3], v[8:9], 1.0
	v_fmac_f64_e32 v[8:9], v[8:9], v[10:11]
	s_delay_alu instid0(VALU_DEP_1) | instskip(NEXT) | instid1(VALU_DEP_1)
	v_mul_f64_e32 v[10:11], v[12:13], v[8:9]
	v_fma_f64 v[2:3], -v[2:3], v[10:11], v[12:13]
	s_delay_alu instid0(VALU_DEP_1) | instskip(NEXT) | instid1(VALU_DEP_1)
	v_div_fmas_f64 v[2:3], v[2:3], v[8:9], v[10:11]
	v_div_fixup_f64 v[8:9], v[2:3], v[4:5], 1.0
                                        ; implicit-def: $vgpr2_vgpr3
	s_delay_alu instid0(VALU_DEP_1) | instskip(SKIP_1) | instid1(VALU_DEP_2)
	v_mul_f64_e32 v[6:7], v[6:7], v[8:9]
	v_xor_b32_e32 v9, 0x80000000, v9
	v_xor_b32_e32 v11, 0x80000000, v7
	s_delay_alu instid0(VALU_DEP_3)
	v_mov_b32_e32 v10, v6
.LBB103_15:
	s_and_not1_saveexec_b32 s3, s3
	s_cbranch_execz .LBB103_17
; %bb.16:
	v_div_scale_f64 v[6:7], null, v[2:3], v[2:3], v[4:5]
	v_div_scale_f64 v[12:13], vcc_lo, v[4:5], v[2:3], v[4:5]
	s_delay_alu instid0(VALU_DEP_2) | instskip(SKIP_1) | instid1(TRANS32_DEP_1)
	v_rcp_f64_e32 v[8:9], v[6:7]
	v_nop
	v_fma_f64 v[10:11], -v[6:7], v[8:9], 1.0
	s_delay_alu instid0(VALU_DEP_1) | instskip(NEXT) | instid1(VALU_DEP_1)
	v_fmac_f64_e32 v[8:9], v[8:9], v[10:11]
	v_fma_f64 v[10:11], -v[6:7], v[8:9], 1.0
	s_delay_alu instid0(VALU_DEP_1) | instskip(NEXT) | instid1(VALU_DEP_1)
	v_fmac_f64_e32 v[8:9], v[8:9], v[10:11]
	v_mul_f64_e32 v[10:11], v[12:13], v[8:9]
	s_delay_alu instid0(VALU_DEP_1) | instskip(NEXT) | instid1(VALU_DEP_1)
	v_fma_f64 v[6:7], -v[6:7], v[10:11], v[12:13]
	v_div_fmas_f64 v[6:7], v[6:7], v[8:9], v[10:11]
	s_delay_alu instid0(VALU_DEP_1) | instskip(NEXT) | instid1(VALU_DEP_1)
	v_div_fixup_f64 v[8:9], v[6:7], v[2:3], v[4:5]
	v_fmac_f64_e32 v[2:3], v[4:5], v[8:9]
	s_delay_alu instid0(VALU_DEP_1) | instskip(NEXT) | instid1(VALU_DEP_1)
	v_div_scale_f64 v[4:5], null, v[2:3], v[2:3], 1.0
	v_rcp_f64_e32 v[6:7], v[4:5]
	v_nop
	s_delay_alu instid0(TRANS32_DEP_1) | instskip(NEXT) | instid1(VALU_DEP_1)
	v_fma_f64 v[10:11], -v[4:5], v[6:7], 1.0
	v_fmac_f64_e32 v[6:7], v[6:7], v[10:11]
	s_delay_alu instid0(VALU_DEP_1) | instskip(NEXT) | instid1(VALU_DEP_1)
	v_fma_f64 v[10:11], -v[4:5], v[6:7], 1.0
	v_fmac_f64_e32 v[6:7], v[6:7], v[10:11]
	v_div_scale_f64 v[10:11], vcc_lo, 1.0, v[2:3], 1.0
	s_delay_alu instid0(VALU_DEP_1) | instskip(NEXT) | instid1(VALU_DEP_1)
	v_mul_f64_e32 v[12:13], v[10:11], v[6:7]
	v_fma_f64 v[4:5], -v[4:5], v[12:13], v[10:11]
	s_delay_alu instid0(VALU_DEP_1) | instskip(NEXT) | instid1(VALU_DEP_1)
	v_div_fmas_f64 v[4:5], v[4:5], v[6:7], v[12:13]
	v_div_fixup_f64 v[6:7], v[4:5], v[2:3], 1.0
	s_delay_alu instid0(VALU_DEP_1)
	v_mul_f64_e64 v[8:9], v[8:9], -v[6:7]
	v_xor_b32_e32 v11, 0x80000000, v7
	v_mov_b32_e32 v10, v6
.LBB103_17:
	s_or_b32 exec_lo, exec_lo, s3
	s_clause 0x1
	scratch_store_b128 v15, v[6:9], off
	scratch_load_b128 v[2:5], off, s18
	v_xor_b32_e32 v13, 0x80000000, v9
	v_mov_b32_e32 v12, v8
	s_wait_xcnt 0x1
	v_add_nc_u32_e32 v6, 0x280, v14
	ds_store_b128 v14, v[10:13]
	s_wait_loadcnt 0x0
	ds_store_b128 v14, v[2:5] offset:640
	s_wait_storecnt_dscnt 0x0
	s_barrier_signal -1
	s_barrier_wait -1
	s_wait_xcnt 0x0
	s_and_saveexec_b32 s3, s2
	s_cbranch_execz .LBB103_19
; %bb.18:
	scratch_load_b128 v[2:5], v15, off
	ds_load_b128 v[8:11], v6
	v_mov_b32_e32 v7, 0
	ds_load_b128 v[16:19], v7 offset:16
	s_wait_loadcnt_dscnt 0x1
	v_mul_f64_e32 v[12:13], v[8:9], v[4:5]
	v_mul_f64_e32 v[4:5], v[10:11], v[4:5]
	s_delay_alu instid0(VALU_DEP_2) | instskip(NEXT) | instid1(VALU_DEP_2)
	v_fmac_f64_e32 v[12:13], v[10:11], v[2:3]
	v_fma_f64 v[2:3], v[8:9], v[2:3], -v[4:5]
	s_delay_alu instid0(VALU_DEP_2) | instskip(NEXT) | instid1(VALU_DEP_2)
	v_add_f64_e32 v[8:9], 0, v[12:13]
	v_add_f64_e32 v[2:3], 0, v[2:3]
	s_wait_dscnt 0x0
	s_delay_alu instid0(VALU_DEP_2) | instskip(NEXT) | instid1(VALU_DEP_2)
	v_mul_f64_e32 v[10:11], v[8:9], v[18:19]
	v_mul_f64_e32 v[4:5], v[2:3], v[18:19]
	s_delay_alu instid0(VALU_DEP_2) | instskip(NEXT) | instid1(VALU_DEP_2)
	v_fma_f64 v[2:3], v[2:3], v[16:17], -v[10:11]
	v_fmac_f64_e32 v[4:5], v[8:9], v[16:17]
	scratch_store_b128 off, v[2:5], off offset:16
.LBB103_19:
	s_wait_xcnt 0x0
	s_or_b32 exec_lo, exec_lo, s3
	s_wait_storecnt 0x0
	s_barrier_signal -1
	s_barrier_wait -1
	scratch_load_b128 v[2:5], off, s16
	s_mov_b32 s3, exec_lo
	s_wait_loadcnt 0x0
	ds_store_b128 v6, v[2:5]
	s_wait_dscnt 0x0
	s_barrier_signal -1
	s_barrier_wait -1
	v_cmpx_gt_u32_e32 2, v1
	s_cbranch_execz .LBB103_23
; %bb.20:
	scratch_load_b128 v[2:5], v15, off
	ds_load_b128 v[8:11], v6
	s_wait_loadcnt_dscnt 0x0
	v_mul_f64_e32 v[12:13], v[10:11], v[4:5]
	v_mul_f64_e32 v[16:17], v[8:9], v[4:5]
	s_delay_alu instid0(VALU_DEP_2) | instskip(NEXT) | instid1(VALU_DEP_2)
	v_fma_f64 v[4:5], v[8:9], v[2:3], -v[12:13]
	v_fmac_f64_e32 v[16:17], v[10:11], v[2:3]
	s_delay_alu instid0(VALU_DEP_2) | instskip(NEXT) | instid1(VALU_DEP_2)
	v_add_f64_e32 v[4:5], 0, v[4:5]
	v_add_f64_e32 v[2:3], 0, v[16:17]
	s_and_saveexec_b32 s53, s2
	s_cbranch_execz .LBB103_22
; %bb.21:
	scratch_load_b128 v[8:11], off, off offset:16
	v_mov_b32_e32 v7, 0
	ds_load_b128 v[16:19], v7 offset:656
	s_wait_loadcnt_dscnt 0x0
	v_mul_f64_e32 v[12:13], v[16:17], v[10:11]
	v_mul_f64_e32 v[10:11], v[18:19], v[10:11]
	s_delay_alu instid0(VALU_DEP_2) | instskip(NEXT) | instid1(VALU_DEP_2)
	v_fmac_f64_e32 v[12:13], v[18:19], v[8:9]
	v_fma_f64 v[8:9], v[16:17], v[8:9], -v[10:11]
	s_delay_alu instid0(VALU_DEP_2) | instskip(NEXT) | instid1(VALU_DEP_2)
	v_add_f64_e32 v[2:3], v[2:3], v[12:13]
	v_add_f64_e32 v[4:5], v[4:5], v[8:9]
.LBB103_22:
	s_or_b32 exec_lo, exec_lo, s53
	v_mov_b32_e32 v7, 0
	ds_load_b128 v[8:11], v7 offset:32
	s_wait_dscnt 0x0
	v_mul_f64_e32 v[16:17], v[2:3], v[10:11]
	v_mul_f64_e32 v[12:13], v[4:5], v[10:11]
	s_delay_alu instid0(VALU_DEP_2) | instskip(NEXT) | instid1(VALU_DEP_2)
	v_fma_f64 v[10:11], v[4:5], v[8:9], -v[16:17]
	v_fmac_f64_e32 v[12:13], v[2:3], v[8:9]
	scratch_store_b128 off, v[10:13], off offset:32
.LBB103_23:
	s_wait_xcnt 0x0
	s_or_b32 exec_lo, exec_lo, s3
	s_wait_storecnt 0x0
	s_barrier_signal -1
	s_barrier_wait -1
	scratch_load_b128 v[2:5], off, s14
	v_add_nc_u32_e32 v7, -1, v1
	s_mov_b32 s2, exec_lo
	s_wait_loadcnt 0x0
	ds_store_b128 v6, v[2:5]
	s_wait_dscnt 0x0
	s_barrier_signal -1
	s_barrier_wait -1
	v_cmpx_gt_u32_e32 3, v1
	s_cbranch_execz .LBB103_27
; %bb.24:
	v_dual_mov_b32 v10, v14 :: v_dual_add_nc_u32 v8, -1, v1
	v_mov_b64_e32 v[2:3], 0
	v_mov_b64_e32 v[4:5], 0
	v_add_nc_u32_e32 v9, 0x280, v14
	s_delay_alu instid0(VALU_DEP_4)
	v_or_b32_e32 v10, 8, v10
	s_mov_b32 s3, 0
.LBB103_25:                             ; =>This Inner Loop Header: Depth=1
	scratch_load_b128 v[16:19], v10, off offset:-8
	ds_load_b128 v[20:23], v9
	v_dual_add_nc_u32 v8, 1, v8 :: v_dual_add_nc_u32 v9, 16, v9
	s_wait_xcnt 0x0
	v_add_nc_u32_e32 v10, 16, v10
	s_delay_alu instid0(VALU_DEP_2) | instskip(SKIP_4) | instid1(VALU_DEP_2)
	v_cmp_lt_u32_e32 vcc_lo, 1, v8
	s_or_b32 s3, vcc_lo, s3
	s_wait_loadcnt_dscnt 0x0
	v_mul_f64_e32 v[12:13], v[22:23], v[18:19]
	v_mul_f64_e32 v[18:19], v[20:21], v[18:19]
	v_fma_f64 v[12:13], v[20:21], v[16:17], -v[12:13]
	s_delay_alu instid0(VALU_DEP_2) | instskip(NEXT) | instid1(VALU_DEP_2)
	v_fmac_f64_e32 v[18:19], v[22:23], v[16:17]
	v_add_f64_e32 v[4:5], v[4:5], v[12:13]
	s_delay_alu instid0(VALU_DEP_2)
	v_add_f64_e32 v[2:3], v[2:3], v[18:19]
	s_and_not1_b32 exec_lo, exec_lo, s3
	s_cbranch_execnz .LBB103_25
; %bb.26:
	s_or_b32 exec_lo, exec_lo, s3
	v_mov_b32_e32 v8, 0
	ds_load_b128 v[8:11], v8 offset:48
	s_wait_dscnt 0x0
	v_mul_f64_e32 v[16:17], v[2:3], v[10:11]
	v_mul_f64_e32 v[12:13], v[4:5], v[10:11]
	s_delay_alu instid0(VALU_DEP_2) | instskip(NEXT) | instid1(VALU_DEP_2)
	v_fma_f64 v[10:11], v[4:5], v[8:9], -v[16:17]
	v_fmac_f64_e32 v[12:13], v[2:3], v[8:9]
	scratch_store_b128 off, v[10:13], off offset:48
.LBB103_27:
	s_wait_xcnt 0x0
	s_or_b32 exec_lo, exec_lo, s2
	s_wait_storecnt 0x0
	s_barrier_signal -1
	s_barrier_wait -1
	scratch_load_b128 v[2:5], off, s12
	s_mov_b32 s2, exec_lo
	s_wait_loadcnt 0x0
	ds_store_b128 v6, v[2:5]
	s_wait_dscnt 0x0
	s_barrier_signal -1
	s_barrier_wait -1
	v_cmpx_gt_u32_e32 4, v1
	s_cbranch_execz .LBB103_31
; %bb.28:
	v_dual_mov_b32 v10, v14 :: v_dual_add_nc_u32 v8, -1, v1
	v_mov_b64_e32 v[2:3], 0
	v_mov_b64_e32 v[4:5], 0
	v_add_nc_u32_e32 v9, 0x280, v14
	s_delay_alu instid0(VALU_DEP_4)
	v_or_b32_e32 v10, 8, v10
	s_mov_b32 s3, 0
.LBB103_29:                             ; =>This Inner Loop Header: Depth=1
	scratch_load_b128 v[16:19], v10, off offset:-8
	ds_load_b128 v[20:23], v9
	v_dual_add_nc_u32 v8, 1, v8 :: v_dual_add_nc_u32 v9, 16, v9
	s_wait_xcnt 0x0
	v_add_nc_u32_e32 v10, 16, v10
	s_delay_alu instid0(VALU_DEP_2) | instskip(SKIP_4) | instid1(VALU_DEP_2)
	v_cmp_lt_u32_e32 vcc_lo, 2, v8
	s_or_b32 s3, vcc_lo, s3
	s_wait_loadcnt_dscnt 0x0
	v_mul_f64_e32 v[12:13], v[22:23], v[18:19]
	v_mul_f64_e32 v[18:19], v[20:21], v[18:19]
	v_fma_f64 v[12:13], v[20:21], v[16:17], -v[12:13]
	s_delay_alu instid0(VALU_DEP_2) | instskip(NEXT) | instid1(VALU_DEP_2)
	v_fmac_f64_e32 v[18:19], v[22:23], v[16:17]
	v_add_f64_e32 v[4:5], v[4:5], v[12:13]
	s_delay_alu instid0(VALU_DEP_2)
	v_add_f64_e32 v[2:3], v[2:3], v[18:19]
	s_and_not1_b32 exec_lo, exec_lo, s3
	s_cbranch_execnz .LBB103_29
; %bb.30:
	s_or_b32 exec_lo, exec_lo, s3
	v_mov_b32_e32 v8, 0
	ds_load_b128 v[8:11], v8 offset:64
	s_wait_dscnt 0x0
	v_mul_f64_e32 v[16:17], v[2:3], v[10:11]
	v_mul_f64_e32 v[12:13], v[4:5], v[10:11]
	s_delay_alu instid0(VALU_DEP_2) | instskip(NEXT) | instid1(VALU_DEP_2)
	v_fma_f64 v[10:11], v[4:5], v[8:9], -v[16:17]
	v_fmac_f64_e32 v[12:13], v[2:3], v[8:9]
	scratch_store_b128 off, v[10:13], off offset:64
.LBB103_31:
	s_wait_xcnt 0x0
	s_or_b32 exec_lo, exec_lo, s2
	s_wait_storecnt 0x0
	s_barrier_signal -1
	s_barrier_wait -1
	scratch_load_b128 v[2:5], off, s51
	;; [unrolled: 54-line block ×19, first 2 shown]
	s_mov_b32 s2, exec_lo
	s_wait_loadcnt 0x0
	ds_store_b128 v6, v[2:5]
	s_wait_dscnt 0x0
	s_barrier_signal -1
	s_barrier_wait -1
	v_cmpx_gt_u32_e32 22, v1
	s_cbranch_execz .LBB103_103
; %bb.100:
	v_dual_mov_b32 v10, v14 :: v_dual_add_nc_u32 v8, -1, v1
	v_mov_b64_e32 v[2:3], 0
	v_mov_b64_e32 v[4:5], 0
	v_add_nc_u32_e32 v9, 0x280, v14
	s_delay_alu instid0(VALU_DEP_4)
	v_or_b32_e32 v10, 8, v10
	s_mov_b32 s3, 0
.LBB103_101:                            ; =>This Inner Loop Header: Depth=1
	scratch_load_b128 v[16:19], v10, off offset:-8
	ds_load_b128 v[20:23], v9
	v_dual_add_nc_u32 v8, 1, v8 :: v_dual_add_nc_u32 v9, 16, v9
	s_wait_xcnt 0x0
	v_add_nc_u32_e32 v10, 16, v10
	s_delay_alu instid0(VALU_DEP_2) | instskip(SKIP_4) | instid1(VALU_DEP_2)
	v_cmp_lt_u32_e32 vcc_lo, 20, v8
	s_or_b32 s3, vcc_lo, s3
	s_wait_loadcnt_dscnt 0x0
	v_mul_f64_e32 v[12:13], v[22:23], v[18:19]
	v_mul_f64_e32 v[18:19], v[20:21], v[18:19]
	v_fma_f64 v[12:13], v[20:21], v[16:17], -v[12:13]
	s_delay_alu instid0(VALU_DEP_2) | instskip(NEXT) | instid1(VALU_DEP_2)
	v_fmac_f64_e32 v[18:19], v[22:23], v[16:17]
	v_add_f64_e32 v[4:5], v[4:5], v[12:13]
	s_delay_alu instid0(VALU_DEP_2)
	v_add_f64_e32 v[2:3], v[2:3], v[18:19]
	s_and_not1_b32 exec_lo, exec_lo, s3
	s_cbranch_execnz .LBB103_101
; %bb.102:
	s_or_b32 exec_lo, exec_lo, s3
	v_mov_b32_e32 v8, 0
	ds_load_b128 v[8:11], v8 offset:352
	s_wait_dscnt 0x0
	v_mul_f64_e32 v[16:17], v[2:3], v[10:11]
	v_mul_f64_e32 v[12:13], v[4:5], v[10:11]
	s_delay_alu instid0(VALU_DEP_2) | instskip(NEXT) | instid1(VALU_DEP_2)
	v_fma_f64 v[10:11], v[4:5], v[8:9], -v[16:17]
	v_fmac_f64_e32 v[12:13], v[2:3], v[8:9]
	scratch_store_b128 off, v[10:13], off offset:352
.LBB103_103:
	s_wait_xcnt 0x0
	s_or_b32 exec_lo, exec_lo, s2
	s_wait_storecnt 0x0
	s_barrier_signal -1
	s_barrier_wait -1
	scratch_load_b128 v[2:5], off, s33
	s_mov_b32 s2, exec_lo
	s_wait_loadcnt 0x0
	ds_store_b128 v6, v[2:5]
	s_wait_dscnt 0x0
	s_barrier_signal -1
	s_barrier_wait -1
	v_cmpx_gt_u32_e32 23, v1
	s_cbranch_execz .LBB103_107
; %bb.104:
	v_dual_mov_b32 v10, v14 :: v_dual_add_nc_u32 v8, -1, v1
	v_mov_b64_e32 v[2:3], 0
	v_mov_b64_e32 v[4:5], 0
	v_add_nc_u32_e32 v9, 0x280, v14
	s_delay_alu instid0(VALU_DEP_4)
	v_or_b32_e32 v10, 8, v10
	s_mov_b32 s3, 0
.LBB103_105:                            ; =>This Inner Loop Header: Depth=1
	scratch_load_b128 v[16:19], v10, off offset:-8
	ds_load_b128 v[20:23], v9
	v_dual_add_nc_u32 v8, 1, v8 :: v_dual_add_nc_u32 v9, 16, v9
	s_wait_xcnt 0x0
	v_add_nc_u32_e32 v10, 16, v10
	s_delay_alu instid0(VALU_DEP_2) | instskip(SKIP_4) | instid1(VALU_DEP_2)
	v_cmp_lt_u32_e32 vcc_lo, 21, v8
	s_or_b32 s3, vcc_lo, s3
	s_wait_loadcnt_dscnt 0x0
	v_mul_f64_e32 v[12:13], v[22:23], v[18:19]
	v_mul_f64_e32 v[18:19], v[20:21], v[18:19]
	v_fma_f64 v[12:13], v[20:21], v[16:17], -v[12:13]
	s_delay_alu instid0(VALU_DEP_2) | instskip(NEXT) | instid1(VALU_DEP_2)
	v_fmac_f64_e32 v[18:19], v[22:23], v[16:17]
	v_add_f64_e32 v[4:5], v[4:5], v[12:13]
	s_delay_alu instid0(VALU_DEP_2)
	v_add_f64_e32 v[2:3], v[2:3], v[18:19]
	s_and_not1_b32 exec_lo, exec_lo, s3
	s_cbranch_execnz .LBB103_105
; %bb.106:
	s_or_b32 exec_lo, exec_lo, s3
	v_mov_b32_e32 v8, 0
	ds_load_b128 v[8:11], v8 offset:368
	s_wait_dscnt 0x0
	v_mul_f64_e32 v[16:17], v[2:3], v[10:11]
	v_mul_f64_e32 v[12:13], v[4:5], v[10:11]
	s_delay_alu instid0(VALU_DEP_2) | instskip(NEXT) | instid1(VALU_DEP_2)
	v_fma_f64 v[10:11], v[4:5], v[8:9], -v[16:17]
	v_fmac_f64_e32 v[12:13], v[2:3], v[8:9]
	scratch_store_b128 off, v[10:13], off offset:368
.LBB103_107:
	s_wait_xcnt 0x0
	s_or_b32 exec_lo, exec_lo, s2
	s_wait_storecnt 0x0
	s_barrier_signal -1
	s_barrier_wait -1
	scratch_load_b128 v[2:5], off, s31
	;; [unrolled: 54-line block ×17, first 2 shown]
	s_mov_b32 s2, exec_lo
	s_wait_loadcnt 0x0
	ds_store_b128 v6, v[2:5]
	s_wait_dscnt 0x0
	s_barrier_signal -1
	s_barrier_wait -1
	v_cmpx_ne_u32_e32 39, v1
	s_cbranch_execz .LBB103_171
; %bb.168:
	v_mov_b32_e32 v8, v14
	v_mov_b64_e32 v[2:3], 0
	v_mov_b64_e32 v[4:5], 0
	s_mov_b32 s3, 0
	s_delay_alu instid0(VALU_DEP_3)
	v_or_b32_e32 v8, 8, v8
.LBB103_169:                            ; =>This Inner Loop Header: Depth=1
	scratch_load_b128 v[10:13], v8, off offset:-8
	ds_load_b128 v[14:17], v6
	v_dual_add_nc_u32 v7, 1, v7 :: v_dual_add_nc_u32 v6, 16, v6
	s_wait_xcnt 0x0
	v_add_nc_u32_e32 v8, 16, v8
	s_delay_alu instid0(VALU_DEP_2) | instskip(SKIP_4) | instid1(VALU_DEP_2)
	v_cmp_lt_u32_e32 vcc_lo, 37, v7
	s_or_b32 s3, vcc_lo, s3
	s_wait_loadcnt_dscnt 0x0
	v_mul_f64_e32 v[18:19], v[16:17], v[12:13]
	v_mul_f64_e32 v[12:13], v[14:15], v[12:13]
	v_fma_f64 v[14:15], v[14:15], v[10:11], -v[18:19]
	s_delay_alu instid0(VALU_DEP_2) | instskip(NEXT) | instid1(VALU_DEP_2)
	v_fmac_f64_e32 v[12:13], v[16:17], v[10:11]
	v_add_f64_e32 v[4:5], v[4:5], v[14:15]
	s_delay_alu instid0(VALU_DEP_2)
	v_add_f64_e32 v[2:3], v[2:3], v[12:13]
	s_and_not1_b32 exec_lo, exec_lo, s3
	s_cbranch_execnz .LBB103_169
; %bb.170:
	s_or_b32 exec_lo, exec_lo, s3
	v_mov_b32_e32 v6, 0
	ds_load_b128 v[6:9], v6 offset:624
	s_wait_dscnt 0x0
	v_mul_f64_e32 v[12:13], v[2:3], v[8:9]
	v_mul_f64_e32 v[10:11], v[4:5], v[8:9]
	s_delay_alu instid0(VALU_DEP_2) | instskip(NEXT) | instid1(VALU_DEP_2)
	v_fma_f64 v[8:9], v[4:5], v[6:7], -v[12:13]
	v_fmac_f64_e32 v[10:11], v[2:3], v[6:7]
	scratch_store_b128 off, v[8:11], off offset:624
.LBB103_171:
	s_wait_xcnt 0x0
	s_or_b32 exec_lo, exec_lo, s2
	s_mov_b32 s3, -1
	s_wait_storecnt 0x0
	s_barrier_signal -1
	s_barrier_wait -1
.LBB103_172:
	s_and_b32 vcc_lo, exec_lo, s3
	s_cbranch_vccz .LBB103_174
; %bb.173:
	s_wait_xcnt 0x0
	v_mov_b32_e32 v2, 0
	s_lshl_b64 s[2:3], s[10:11], 2
	s_delay_alu instid0(SALU_CYCLE_1)
	s_add_nc_u64 s[2:3], s[6:7], s[2:3]
	global_load_b32 v2, v2, s[2:3]
	s_wait_loadcnt 0x0
	v_cmp_ne_u32_e32 vcc_lo, 0, v2
	s_cbranch_vccz .LBB103_175
.LBB103_174:
	s_sendmsg sendmsg(MSG_DEALLOC_VGPRS)
	s_endpgm
.LBB103_175:
	v_lshl_add_u32 v104, v1, 4, 0x280
	s_wait_xcnt 0x0
	s_mov_b32 s2, exec_lo
	v_cmpx_eq_u32_e32 39, v1
	s_cbranch_execz .LBB103_177
; %bb.176:
	scratch_load_b128 v[2:5], off, s15
	v_mov_b32_e32 v6, 0
	s_delay_alu instid0(VALU_DEP_1)
	v_dual_mov_b32 v7, v6 :: v_dual_mov_b32 v8, v6
	v_mov_b32_e32 v9, v6
	scratch_store_b128 off, v[6:9], off offset:608
	s_wait_loadcnt 0x0
	ds_store_b128 v104, v[2:5]
.LBB103_177:
	s_wait_xcnt 0x0
	s_or_b32 exec_lo, exec_lo, s2
	s_wait_storecnt_dscnt 0x0
	s_barrier_signal -1
	s_barrier_wait -1
	s_clause 0x1
	scratch_load_b128 v[4:7], off, off offset:624
	scratch_load_b128 v[8:11], off, off offset:608
	v_mov_b32_e32 v2, 0
	s_mov_b32 s2, exec_lo
	ds_load_b128 v[12:15], v2 offset:1264
	s_wait_loadcnt_dscnt 0x100
	v_mul_f64_e32 v[16:17], v[14:15], v[6:7]
	v_mul_f64_e32 v[6:7], v[12:13], v[6:7]
	s_delay_alu instid0(VALU_DEP_2) | instskip(NEXT) | instid1(VALU_DEP_2)
	v_fma_f64 v[12:13], v[12:13], v[4:5], -v[16:17]
	v_fmac_f64_e32 v[6:7], v[14:15], v[4:5]
	s_delay_alu instid0(VALU_DEP_2) | instskip(NEXT) | instid1(VALU_DEP_2)
	v_add_f64_e32 v[4:5], 0, v[12:13]
	v_add_f64_e32 v[6:7], 0, v[6:7]
	s_wait_loadcnt 0x0
	s_delay_alu instid0(VALU_DEP_2) | instskip(NEXT) | instid1(VALU_DEP_2)
	v_add_f64_e64 v[4:5], v[8:9], -v[4:5]
	v_add_f64_e64 v[6:7], v[10:11], -v[6:7]
	scratch_store_b128 off, v[4:7], off offset:608
	s_wait_xcnt 0x0
	v_cmpx_lt_u32_e32 37, v1
	s_cbranch_execz .LBB103_179
; %bb.178:
	scratch_load_b128 v[6:9], off, s17
	v_dual_mov_b32 v3, v2 :: v_dual_mov_b32 v4, v2
	v_mov_b32_e32 v5, v2
	scratch_store_b128 off, v[2:5], off offset:592
	s_wait_loadcnt 0x0
	ds_store_b128 v104, v[6:9]
.LBB103_179:
	s_wait_xcnt 0x0
	s_or_b32 exec_lo, exec_lo, s2
	s_wait_storecnt_dscnt 0x0
	s_barrier_signal -1
	s_barrier_wait -1
	s_clause 0x2
	scratch_load_b128 v[4:7], off, off offset:608
	scratch_load_b128 v[8:11], off, off offset:624
	;; [unrolled: 1-line block ×3, first 2 shown]
	ds_load_b128 v[16:19], v2 offset:1248
	ds_load_b128 v[20:23], v2 offset:1264
	s_mov_b32 s2, exec_lo
	s_wait_loadcnt_dscnt 0x201
	v_mul_f64_e32 v[2:3], v[18:19], v[6:7]
	v_mul_f64_e32 v[6:7], v[16:17], v[6:7]
	s_wait_loadcnt_dscnt 0x100
	v_mul_f64_e32 v[106:107], v[20:21], v[10:11]
	v_mul_f64_e32 v[10:11], v[22:23], v[10:11]
	s_delay_alu instid0(VALU_DEP_4) | instskip(NEXT) | instid1(VALU_DEP_4)
	v_fma_f64 v[2:3], v[16:17], v[4:5], -v[2:3]
	v_fmac_f64_e32 v[6:7], v[18:19], v[4:5]
	s_delay_alu instid0(VALU_DEP_4) | instskip(NEXT) | instid1(VALU_DEP_4)
	v_fmac_f64_e32 v[106:107], v[22:23], v[8:9]
	v_fma_f64 v[4:5], v[20:21], v[8:9], -v[10:11]
	s_delay_alu instid0(VALU_DEP_4) | instskip(NEXT) | instid1(VALU_DEP_4)
	v_add_f64_e32 v[2:3], 0, v[2:3]
	v_add_f64_e32 v[6:7], 0, v[6:7]
	s_delay_alu instid0(VALU_DEP_2) | instskip(NEXT) | instid1(VALU_DEP_2)
	v_add_f64_e32 v[2:3], v[2:3], v[4:5]
	v_add_f64_e32 v[4:5], v[6:7], v[106:107]
	s_wait_loadcnt 0x0
	s_delay_alu instid0(VALU_DEP_2) | instskip(NEXT) | instid1(VALU_DEP_2)
	v_add_f64_e64 v[2:3], v[12:13], -v[2:3]
	v_add_f64_e64 v[4:5], v[14:15], -v[4:5]
	scratch_store_b128 off, v[2:5], off offset:592
	s_wait_xcnt 0x0
	v_cmpx_lt_u32_e32 36, v1
	s_cbranch_execz .LBB103_181
; %bb.180:
	scratch_load_b128 v[2:5], off, s19
	v_mov_b32_e32 v6, 0
	s_delay_alu instid0(VALU_DEP_1)
	v_dual_mov_b32 v7, v6 :: v_dual_mov_b32 v8, v6
	v_mov_b32_e32 v9, v6
	scratch_store_b128 off, v[6:9], off offset:576
	s_wait_loadcnt 0x0
	ds_store_b128 v104, v[2:5]
.LBB103_181:
	s_wait_xcnt 0x0
	s_or_b32 exec_lo, exec_lo, s2
	s_wait_storecnt_dscnt 0x0
	s_barrier_signal -1
	s_barrier_wait -1
	s_clause 0x3
	scratch_load_b128 v[4:7], off, off offset:592
	scratch_load_b128 v[8:11], off, off offset:608
	;; [unrolled: 1-line block ×4, first 2 shown]
	v_mov_b32_e32 v2, 0
	ds_load_b128 v[20:23], v2 offset:1232
	ds_load_b128 v[106:109], v2 offset:1248
	s_mov_b32 s2, exec_lo
	s_wait_loadcnt_dscnt 0x301
	v_mul_f64_e32 v[110:111], v[22:23], v[6:7]
	v_mul_f64_e32 v[112:113], v[20:21], v[6:7]
	s_wait_loadcnt_dscnt 0x200
	v_mul_f64_e32 v[114:115], v[106:107], v[10:11]
	v_mul_f64_e32 v[10:11], v[108:109], v[10:11]
	s_delay_alu instid0(VALU_DEP_4) | instskip(NEXT) | instid1(VALU_DEP_4)
	v_fma_f64 v[20:21], v[20:21], v[4:5], -v[110:111]
	v_fmac_f64_e32 v[112:113], v[22:23], v[4:5]
	ds_load_b128 v[4:7], v2 offset:1264
	v_fmac_f64_e32 v[114:115], v[108:109], v[8:9]
	v_fma_f64 v[8:9], v[106:107], v[8:9], -v[10:11]
	s_wait_loadcnt_dscnt 0x100
	v_mul_f64_e32 v[22:23], v[4:5], v[14:15]
	v_mul_f64_e32 v[14:15], v[6:7], v[14:15]
	v_add_f64_e32 v[10:11], 0, v[20:21]
	v_add_f64_e32 v[20:21], 0, v[112:113]
	s_delay_alu instid0(VALU_DEP_4) | instskip(NEXT) | instid1(VALU_DEP_4)
	v_fmac_f64_e32 v[22:23], v[6:7], v[12:13]
	v_fma_f64 v[4:5], v[4:5], v[12:13], -v[14:15]
	s_delay_alu instid0(VALU_DEP_4) | instskip(NEXT) | instid1(VALU_DEP_4)
	v_add_f64_e32 v[6:7], v[10:11], v[8:9]
	v_add_f64_e32 v[8:9], v[20:21], v[114:115]
	s_delay_alu instid0(VALU_DEP_2) | instskip(NEXT) | instid1(VALU_DEP_2)
	v_add_f64_e32 v[4:5], v[6:7], v[4:5]
	v_add_f64_e32 v[6:7], v[8:9], v[22:23]
	s_wait_loadcnt 0x0
	s_delay_alu instid0(VALU_DEP_2) | instskip(NEXT) | instid1(VALU_DEP_2)
	v_add_f64_e64 v[4:5], v[16:17], -v[4:5]
	v_add_f64_e64 v[6:7], v[18:19], -v[6:7]
	scratch_store_b128 off, v[4:7], off offset:576
	s_wait_xcnt 0x0
	v_cmpx_lt_u32_e32 35, v1
	s_cbranch_execz .LBB103_183
; %bb.182:
	scratch_load_b128 v[6:9], off, s20
	v_dual_mov_b32 v3, v2 :: v_dual_mov_b32 v4, v2
	v_mov_b32_e32 v5, v2
	scratch_store_b128 off, v[2:5], off offset:560
	s_wait_loadcnt 0x0
	ds_store_b128 v104, v[6:9]
.LBB103_183:
	s_wait_xcnt 0x0
	s_or_b32 exec_lo, exec_lo, s2
	s_wait_storecnt_dscnt 0x0
	s_barrier_signal -1
	s_barrier_wait -1
	s_clause 0x4
	scratch_load_b128 v[4:7], off, off offset:576
	scratch_load_b128 v[8:11], off, off offset:592
	;; [unrolled: 1-line block ×5, first 2 shown]
	ds_load_b128 v[106:109], v2 offset:1216
	ds_load_b128 v[110:113], v2 offset:1232
	s_mov_b32 s2, exec_lo
	s_wait_loadcnt_dscnt 0x401
	v_mul_f64_e32 v[114:115], v[108:109], v[6:7]
	v_mul_f64_e32 v[116:117], v[106:107], v[6:7]
	s_wait_loadcnt_dscnt 0x300
	v_mul_f64_e32 v[118:119], v[110:111], v[10:11]
	v_mul_f64_e32 v[10:11], v[112:113], v[10:11]
	s_delay_alu instid0(VALU_DEP_4) | instskip(NEXT) | instid1(VALU_DEP_4)
	v_fma_f64 v[114:115], v[106:107], v[4:5], -v[114:115]
	v_fmac_f64_e32 v[116:117], v[108:109], v[4:5]
	ds_load_b128 v[4:7], v2 offset:1248
	ds_load_b128 v[106:109], v2 offset:1264
	v_fmac_f64_e32 v[118:119], v[112:113], v[8:9]
	v_fma_f64 v[8:9], v[110:111], v[8:9], -v[10:11]
	s_wait_loadcnt_dscnt 0x201
	v_mul_f64_e32 v[2:3], v[4:5], v[14:15]
	v_mul_f64_e32 v[14:15], v[6:7], v[14:15]
	s_wait_loadcnt_dscnt 0x100
	v_mul_f64_e32 v[112:113], v[106:107], v[18:19]
	v_mul_f64_e32 v[18:19], v[108:109], v[18:19]
	v_add_f64_e32 v[10:11], 0, v[114:115]
	v_add_f64_e32 v[110:111], 0, v[116:117]
	v_fmac_f64_e32 v[2:3], v[6:7], v[12:13]
	v_fma_f64 v[4:5], v[4:5], v[12:13], -v[14:15]
	v_fmac_f64_e32 v[112:113], v[108:109], v[16:17]
	v_add_f64_e32 v[6:7], v[10:11], v[8:9]
	v_add_f64_e32 v[8:9], v[110:111], v[118:119]
	v_fma_f64 v[10:11], v[106:107], v[16:17], -v[18:19]
	s_delay_alu instid0(VALU_DEP_3) | instskip(NEXT) | instid1(VALU_DEP_3)
	v_add_f64_e32 v[4:5], v[6:7], v[4:5]
	v_add_f64_e32 v[2:3], v[8:9], v[2:3]
	s_delay_alu instid0(VALU_DEP_2) | instskip(NEXT) | instid1(VALU_DEP_2)
	v_add_f64_e32 v[4:5], v[4:5], v[10:11]
	v_add_f64_e32 v[6:7], v[2:3], v[112:113]
	s_wait_loadcnt 0x0
	s_delay_alu instid0(VALU_DEP_2) | instskip(NEXT) | instid1(VALU_DEP_2)
	v_add_f64_e64 v[2:3], v[20:21], -v[4:5]
	v_add_f64_e64 v[4:5], v[22:23], -v[6:7]
	scratch_store_b128 off, v[2:5], off offset:560
	s_wait_xcnt 0x0
	v_cmpx_lt_u32_e32 34, v1
	s_cbranch_execz .LBB103_185
; %bb.184:
	scratch_load_b128 v[2:5], off, s21
	v_mov_b32_e32 v6, 0
	s_delay_alu instid0(VALU_DEP_1)
	v_dual_mov_b32 v7, v6 :: v_dual_mov_b32 v8, v6
	v_mov_b32_e32 v9, v6
	scratch_store_b128 off, v[6:9], off offset:544
	s_wait_loadcnt 0x0
	ds_store_b128 v104, v[2:5]
.LBB103_185:
	s_wait_xcnt 0x0
	s_or_b32 exec_lo, exec_lo, s2
	s_wait_storecnt_dscnt 0x0
	s_barrier_signal -1
	s_barrier_wait -1
	s_clause 0x5
	scratch_load_b128 v[4:7], off, off offset:560
	scratch_load_b128 v[8:11], off, off offset:576
	;; [unrolled: 1-line block ×6, first 2 shown]
	v_mov_b32_e32 v2, 0
	ds_load_b128 v[110:113], v2 offset:1200
	ds_load_b128 v[114:117], v2 offset:1216
	s_mov_b32 s2, exec_lo
	s_wait_loadcnt_dscnt 0x501
	v_mul_f64_e32 v[118:119], v[112:113], v[6:7]
	v_mul_f64_e32 v[120:121], v[110:111], v[6:7]
	s_wait_loadcnt_dscnt 0x400
	v_mul_f64_e32 v[122:123], v[114:115], v[10:11]
	v_mul_f64_e32 v[10:11], v[116:117], v[10:11]
	s_delay_alu instid0(VALU_DEP_4) | instskip(NEXT) | instid1(VALU_DEP_4)
	v_fma_f64 v[118:119], v[110:111], v[4:5], -v[118:119]
	v_fmac_f64_e32 v[120:121], v[112:113], v[4:5]
	ds_load_b128 v[4:7], v2 offset:1232
	ds_load_b128 v[110:113], v2 offset:1248
	v_fmac_f64_e32 v[122:123], v[116:117], v[8:9]
	v_fma_f64 v[8:9], v[114:115], v[8:9], -v[10:11]
	s_wait_loadcnt_dscnt 0x301
	v_mul_f64_e32 v[124:125], v[4:5], v[14:15]
	v_mul_f64_e32 v[14:15], v[6:7], v[14:15]
	s_wait_loadcnt_dscnt 0x200
	v_mul_f64_e32 v[116:117], v[110:111], v[18:19]
	v_mul_f64_e32 v[18:19], v[112:113], v[18:19]
	v_add_f64_e32 v[10:11], 0, v[118:119]
	v_add_f64_e32 v[114:115], 0, v[120:121]
	v_fmac_f64_e32 v[124:125], v[6:7], v[12:13]
	v_fma_f64 v[12:13], v[4:5], v[12:13], -v[14:15]
	ds_load_b128 v[4:7], v2 offset:1264
	v_fmac_f64_e32 v[116:117], v[112:113], v[16:17]
	v_fma_f64 v[16:17], v[110:111], v[16:17], -v[18:19]
	v_add_f64_e32 v[8:9], v[10:11], v[8:9]
	v_add_f64_e32 v[10:11], v[114:115], v[122:123]
	s_wait_loadcnt_dscnt 0x100
	v_mul_f64_e32 v[14:15], v[4:5], v[22:23]
	v_mul_f64_e32 v[22:23], v[6:7], v[22:23]
	s_delay_alu instid0(VALU_DEP_4) | instskip(NEXT) | instid1(VALU_DEP_4)
	v_add_f64_e32 v[8:9], v[8:9], v[12:13]
	v_add_f64_e32 v[10:11], v[10:11], v[124:125]
	s_delay_alu instid0(VALU_DEP_4) | instskip(NEXT) | instid1(VALU_DEP_4)
	v_fmac_f64_e32 v[14:15], v[6:7], v[20:21]
	v_fma_f64 v[4:5], v[4:5], v[20:21], -v[22:23]
	s_delay_alu instid0(VALU_DEP_4) | instskip(NEXT) | instid1(VALU_DEP_4)
	v_add_f64_e32 v[6:7], v[8:9], v[16:17]
	v_add_f64_e32 v[8:9], v[10:11], v[116:117]
	s_delay_alu instid0(VALU_DEP_2) | instskip(NEXT) | instid1(VALU_DEP_2)
	v_add_f64_e32 v[4:5], v[6:7], v[4:5]
	v_add_f64_e32 v[6:7], v[8:9], v[14:15]
	s_wait_loadcnt 0x0
	s_delay_alu instid0(VALU_DEP_2) | instskip(NEXT) | instid1(VALU_DEP_2)
	v_add_f64_e64 v[4:5], v[106:107], -v[4:5]
	v_add_f64_e64 v[6:7], v[108:109], -v[6:7]
	scratch_store_b128 off, v[4:7], off offset:544
	s_wait_xcnt 0x0
	v_cmpx_lt_u32_e32 33, v1
	s_cbranch_execz .LBB103_187
; %bb.186:
	scratch_load_b128 v[6:9], off, s22
	v_dual_mov_b32 v3, v2 :: v_dual_mov_b32 v4, v2
	v_mov_b32_e32 v5, v2
	scratch_store_b128 off, v[2:5], off offset:528
	s_wait_loadcnt 0x0
	ds_store_b128 v104, v[6:9]
.LBB103_187:
	s_wait_xcnt 0x0
	s_or_b32 exec_lo, exec_lo, s2
	s_wait_storecnt_dscnt 0x0
	s_barrier_signal -1
	s_barrier_wait -1
	s_clause 0x6
	scratch_load_b128 v[4:7], off, off offset:544
	scratch_load_b128 v[8:11], off, off offset:560
	scratch_load_b128 v[12:15], off, off offset:576
	scratch_load_b128 v[16:19], off, off offset:592
	scratch_load_b128 v[20:23], off, off offset:608
	scratch_load_b128 v[106:109], off, off offset:624
	scratch_load_b128 v[110:113], off, off offset:528
	ds_load_b128 v[114:117], v2 offset:1184
	ds_load_b128 v[118:121], v2 offset:1200
	s_mov_b32 s2, exec_lo
	s_wait_loadcnt_dscnt 0x601
	v_mul_f64_e32 v[122:123], v[116:117], v[6:7]
	v_mul_f64_e32 v[124:125], v[114:115], v[6:7]
	s_wait_loadcnt_dscnt 0x500
	v_mul_f64_e32 v[126:127], v[118:119], v[10:11]
	v_mul_f64_e32 v[10:11], v[120:121], v[10:11]
	s_delay_alu instid0(VALU_DEP_4) | instskip(NEXT) | instid1(VALU_DEP_4)
	v_fma_f64 v[122:123], v[114:115], v[4:5], -v[122:123]
	v_fmac_f64_e32 v[124:125], v[116:117], v[4:5]
	ds_load_b128 v[4:7], v2 offset:1216
	ds_load_b128 v[114:117], v2 offset:1232
	v_fmac_f64_e32 v[126:127], v[120:121], v[8:9]
	v_fma_f64 v[8:9], v[118:119], v[8:9], -v[10:11]
	s_wait_loadcnt_dscnt 0x401
	v_mul_f64_e32 v[128:129], v[4:5], v[14:15]
	v_mul_f64_e32 v[14:15], v[6:7], v[14:15]
	s_wait_loadcnt_dscnt 0x300
	v_mul_f64_e32 v[120:121], v[114:115], v[18:19]
	v_mul_f64_e32 v[18:19], v[116:117], v[18:19]
	v_add_f64_e32 v[10:11], 0, v[122:123]
	v_add_f64_e32 v[118:119], 0, v[124:125]
	v_fmac_f64_e32 v[128:129], v[6:7], v[12:13]
	v_fma_f64 v[12:13], v[4:5], v[12:13], -v[14:15]
	v_fmac_f64_e32 v[120:121], v[116:117], v[16:17]
	v_fma_f64 v[16:17], v[114:115], v[16:17], -v[18:19]
	v_add_f64_e32 v[14:15], v[10:11], v[8:9]
	v_add_f64_e32 v[118:119], v[118:119], v[126:127]
	ds_load_b128 v[4:7], v2 offset:1248
	ds_load_b128 v[8:11], v2 offset:1264
	s_wait_loadcnt_dscnt 0x201
	v_mul_f64_e32 v[2:3], v[4:5], v[22:23]
	v_mul_f64_e32 v[22:23], v[6:7], v[22:23]
	s_wait_loadcnt_dscnt 0x100
	v_mul_f64_e32 v[18:19], v[8:9], v[108:109]
	v_mul_f64_e32 v[108:109], v[10:11], v[108:109]
	v_add_f64_e32 v[12:13], v[14:15], v[12:13]
	v_add_f64_e32 v[14:15], v[118:119], v[128:129]
	v_fmac_f64_e32 v[2:3], v[6:7], v[20:21]
	v_fma_f64 v[4:5], v[4:5], v[20:21], -v[22:23]
	v_fmac_f64_e32 v[18:19], v[10:11], v[106:107]
	v_fma_f64 v[8:9], v[8:9], v[106:107], -v[108:109]
	v_add_f64_e32 v[6:7], v[12:13], v[16:17]
	v_add_f64_e32 v[12:13], v[14:15], v[120:121]
	s_delay_alu instid0(VALU_DEP_2) | instskip(NEXT) | instid1(VALU_DEP_2)
	v_add_f64_e32 v[4:5], v[6:7], v[4:5]
	v_add_f64_e32 v[2:3], v[12:13], v[2:3]
	s_delay_alu instid0(VALU_DEP_2) | instskip(NEXT) | instid1(VALU_DEP_2)
	v_add_f64_e32 v[4:5], v[4:5], v[8:9]
	v_add_f64_e32 v[6:7], v[2:3], v[18:19]
	s_wait_loadcnt 0x0
	s_delay_alu instid0(VALU_DEP_2) | instskip(NEXT) | instid1(VALU_DEP_2)
	v_add_f64_e64 v[2:3], v[110:111], -v[4:5]
	v_add_f64_e64 v[4:5], v[112:113], -v[6:7]
	scratch_store_b128 off, v[2:5], off offset:528
	s_wait_xcnt 0x0
	v_cmpx_lt_u32_e32 32, v1
	s_cbranch_execz .LBB103_189
; %bb.188:
	scratch_load_b128 v[2:5], off, s23
	v_mov_b32_e32 v6, 0
	s_delay_alu instid0(VALU_DEP_1)
	v_dual_mov_b32 v7, v6 :: v_dual_mov_b32 v8, v6
	v_mov_b32_e32 v9, v6
	scratch_store_b128 off, v[6:9], off offset:512
	s_wait_loadcnt 0x0
	ds_store_b128 v104, v[2:5]
.LBB103_189:
	s_wait_xcnt 0x0
	s_or_b32 exec_lo, exec_lo, s2
	s_wait_storecnt_dscnt 0x0
	s_barrier_signal -1
	s_barrier_wait -1
	s_clause 0x7
	scratch_load_b128 v[4:7], off, off offset:528
	scratch_load_b128 v[8:11], off, off offset:544
	;; [unrolled: 1-line block ×8, first 2 shown]
	v_mov_b32_e32 v2, 0
	ds_load_b128 v[118:121], v2 offset:1168
	ds_load_b128 v[122:125], v2 offset:1184
	s_mov_b32 s2, exec_lo
	s_wait_loadcnt_dscnt 0x701
	v_mul_f64_e32 v[126:127], v[120:121], v[6:7]
	v_mul_f64_e32 v[128:129], v[118:119], v[6:7]
	s_wait_loadcnt_dscnt 0x600
	v_mul_f64_e32 v[130:131], v[122:123], v[10:11]
	v_mul_f64_e32 v[10:11], v[124:125], v[10:11]
	s_delay_alu instid0(VALU_DEP_4) | instskip(NEXT) | instid1(VALU_DEP_4)
	v_fma_f64 v[126:127], v[118:119], v[4:5], -v[126:127]
	v_fmac_f64_e32 v[128:129], v[120:121], v[4:5]
	ds_load_b128 v[4:7], v2 offset:1200
	ds_load_b128 v[118:121], v2 offset:1216
	v_fmac_f64_e32 v[130:131], v[124:125], v[8:9]
	v_fma_f64 v[8:9], v[122:123], v[8:9], -v[10:11]
	s_wait_loadcnt_dscnt 0x501
	v_mul_f64_e32 v[132:133], v[4:5], v[14:15]
	v_mul_f64_e32 v[14:15], v[6:7], v[14:15]
	s_wait_loadcnt_dscnt 0x400
	v_mul_f64_e32 v[124:125], v[118:119], v[18:19]
	v_mul_f64_e32 v[18:19], v[120:121], v[18:19]
	v_add_f64_e32 v[10:11], 0, v[126:127]
	v_add_f64_e32 v[122:123], 0, v[128:129]
	v_fmac_f64_e32 v[132:133], v[6:7], v[12:13]
	v_fma_f64 v[12:13], v[4:5], v[12:13], -v[14:15]
	v_fmac_f64_e32 v[124:125], v[120:121], v[16:17]
	v_fma_f64 v[16:17], v[118:119], v[16:17], -v[18:19]
	v_add_f64_e32 v[14:15], v[10:11], v[8:9]
	v_add_f64_e32 v[122:123], v[122:123], v[130:131]
	ds_load_b128 v[4:7], v2 offset:1232
	ds_load_b128 v[8:11], v2 offset:1248
	s_wait_loadcnt_dscnt 0x301
	v_mul_f64_e32 v[126:127], v[4:5], v[22:23]
	v_mul_f64_e32 v[22:23], v[6:7], v[22:23]
	s_wait_loadcnt_dscnt 0x200
	v_mul_f64_e32 v[18:19], v[8:9], v[108:109]
	v_mul_f64_e32 v[108:109], v[10:11], v[108:109]
	v_add_f64_e32 v[12:13], v[14:15], v[12:13]
	v_add_f64_e32 v[14:15], v[122:123], v[132:133]
	v_fmac_f64_e32 v[126:127], v[6:7], v[20:21]
	v_fma_f64 v[20:21], v[4:5], v[20:21], -v[22:23]
	ds_load_b128 v[4:7], v2 offset:1264
	v_fmac_f64_e32 v[18:19], v[10:11], v[106:107]
	v_fma_f64 v[8:9], v[8:9], v[106:107], -v[108:109]
	v_add_f64_e32 v[12:13], v[12:13], v[16:17]
	v_add_f64_e32 v[14:15], v[14:15], v[124:125]
	s_wait_loadcnt_dscnt 0x100
	v_mul_f64_e32 v[16:17], v[4:5], v[112:113]
	v_mul_f64_e32 v[22:23], v[6:7], v[112:113]
	s_delay_alu instid0(VALU_DEP_4) | instskip(NEXT) | instid1(VALU_DEP_4)
	v_add_f64_e32 v[10:11], v[12:13], v[20:21]
	v_add_f64_e32 v[12:13], v[14:15], v[126:127]
	s_delay_alu instid0(VALU_DEP_4) | instskip(NEXT) | instid1(VALU_DEP_4)
	v_fmac_f64_e32 v[16:17], v[6:7], v[110:111]
	v_fma_f64 v[4:5], v[4:5], v[110:111], -v[22:23]
	s_delay_alu instid0(VALU_DEP_4) | instskip(NEXT) | instid1(VALU_DEP_4)
	v_add_f64_e32 v[6:7], v[10:11], v[8:9]
	v_add_f64_e32 v[8:9], v[12:13], v[18:19]
	s_delay_alu instid0(VALU_DEP_2) | instskip(NEXT) | instid1(VALU_DEP_2)
	v_add_f64_e32 v[4:5], v[6:7], v[4:5]
	v_add_f64_e32 v[6:7], v[8:9], v[16:17]
	s_wait_loadcnt 0x0
	s_delay_alu instid0(VALU_DEP_2) | instskip(NEXT) | instid1(VALU_DEP_2)
	v_add_f64_e64 v[4:5], v[114:115], -v[4:5]
	v_add_f64_e64 v[6:7], v[116:117], -v[6:7]
	scratch_store_b128 off, v[4:7], off offset:512
	s_wait_xcnt 0x0
	v_cmpx_lt_u32_e32 31, v1
	s_cbranch_execz .LBB103_191
; %bb.190:
	scratch_load_b128 v[6:9], off, s24
	v_dual_mov_b32 v3, v2 :: v_dual_mov_b32 v4, v2
	v_mov_b32_e32 v5, v2
	scratch_store_b128 off, v[2:5], off offset:496
	s_wait_loadcnt 0x0
	ds_store_b128 v104, v[6:9]
.LBB103_191:
	s_wait_xcnt 0x0
	s_or_b32 exec_lo, exec_lo, s2
	s_wait_storecnt_dscnt 0x0
	s_barrier_signal -1
	s_barrier_wait -1
	s_clause 0x7
	scratch_load_b128 v[4:7], off, off offset:512
	scratch_load_b128 v[8:11], off, off offset:528
	;; [unrolled: 1-line block ×8, first 2 shown]
	ds_load_b128 v[118:121], v2 offset:1152
	ds_load_b128 v[122:125], v2 offset:1168
	scratch_load_b128 v[126:129], off, off offset:496
	s_mov_b32 s2, exec_lo
	s_wait_loadcnt_dscnt 0x801
	v_mul_f64_e32 v[130:131], v[120:121], v[6:7]
	v_mul_f64_e32 v[132:133], v[118:119], v[6:7]
	s_wait_loadcnt_dscnt 0x700
	v_mul_f64_e32 v[134:135], v[122:123], v[10:11]
	v_mul_f64_e32 v[10:11], v[124:125], v[10:11]
	s_delay_alu instid0(VALU_DEP_4) | instskip(NEXT) | instid1(VALU_DEP_4)
	v_fma_f64 v[130:131], v[118:119], v[4:5], -v[130:131]
	v_fmac_f64_e32 v[132:133], v[120:121], v[4:5]
	ds_load_b128 v[4:7], v2 offset:1184
	ds_load_b128 v[118:121], v2 offset:1200
	v_fmac_f64_e32 v[134:135], v[124:125], v[8:9]
	v_fma_f64 v[8:9], v[122:123], v[8:9], -v[10:11]
	s_wait_loadcnt_dscnt 0x601
	v_mul_f64_e32 v[136:137], v[4:5], v[14:15]
	v_mul_f64_e32 v[14:15], v[6:7], v[14:15]
	s_wait_loadcnt_dscnt 0x500
	v_mul_f64_e32 v[124:125], v[118:119], v[18:19]
	v_mul_f64_e32 v[18:19], v[120:121], v[18:19]
	v_add_f64_e32 v[10:11], 0, v[130:131]
	v_add_f64_e32 v[122:123], 0, v[132:133]
	v_fmac_f64_e32 v[136:137], v[6:7], v[12:13]
	v_fma_f64 v[12:13], v[4:5], v[12:13], -v[14:15]
	v_fmac_f64_e32 v[124:125], v[120:121], v[16:17]
	v_fma_f64 v[16:17], v[118:119], v[16:17], -v[18:19]
	v_add_f64_e32 v[14:15], v[10:11], v[8:9]
	v_add_f64_e32 v[122:123], v[122:123], v[134:135]
	ds_load_b128 v[4:7], v2 offset:1216
	ds_load_b128 v[8:11], v2 offset:1232
	s_wait_loadcnt_dscnt 0x401
	v_mul_f64_e32 v[130:131], v[4:5], v[22:23]
	v_mul_f64_e32 v[22:23], v[6:7], v[22:23]
	s_wait_loadcnt_dscnt 0x300
	v_mul_f64_e32 v[18:19], v[8:9], v[108:109]
	v_mul_f64_e32 v[108:109], v[10:11], v[108:109]
	v_add_f64_e32 v[12:13], v[14:15], v[12:13]
	v_add_f64_e32 v[14:15], v[122:123], v[136:137]
	v_fmac_f64_e32 v[130:131], v[6:7], v[20:21]
	v_fma_f64 v[20:21], v[4:5], v[20:21], -v[22:23]
	v_fmac_f64_e32 v[18:19], v[10:11], v[106:107]
	v_fma_f64 v[8:9], v[8:9], v[106:107], -v[108:109]
	v_add_f64_e32 v[16:17], v[12:13], v[16:17]
	v_add_f64_e32 v[22:23], v[14:15], v[124:125]
	ds_load_b128 v[4:7], v2 offset:1248
	ds_load_b128 v[12:15], v2 offset:1264
	s_wait_loadcnt_dscnt 0x201
	v_mul_f64_e32 v[2:3], v[4:5], v[112:113]
	v_mul_f64_e32 v[112:113], v[6:7], v[112:113]
	v_add_f64_e32 v[10:11], v[16:17], v[20:21]
	v_add_f64_e32 v[16:17], v[22:23], v[130:131]
	s_wait_loadcnt_dscnt 0x100
	v_mul_f64_e32 v[20:21], v[12:13], v[116:117]
	v_mul_f64_e32 v[22:23], v[14:15], v[116:117]
	v_fmac_f64_e32 v[2:3], v[6:7], v[110:111]
	v_fma_f64 v[4:5], v[4:5], v[110:111], -v[112:113]
	v_add_f64_e32 v[6:7], v[10:11], v[8:9]
	v_add_f64_e32 v[8:9], v[16:17], v[18:19]
	v_fmac_f64_e32 v[20:21], v[14:15], v[114:115]
	v_fma_f64 v[10:11], v[12:13], v[114:115], -v[22:23]
	s_delay_alu instid0(VALU_DEP_4) | instskip(NEXT) | instid1(VALU_DEP_4)
	v_add_f64_e32 v[4:5], v[6:7], v[4:5]
	v_add_f64_e32 v[2:3], v[8:9], v[2:3]
	s_delay_alu instid0(VALU_DEP_2) | instskip(NEXT) | instid1(VALU_DEP_2)
	v_add_f64_e32 v[4:5], v[4:5], v[10:11]
	v_add_f64_e32 v[6:7], v[2:3], v[20:21]
	s_wait_loadcnt 0x0
	s_delay_alu instid0(VALU_DEP_2) | instskip(NEXT) | instid1(VALU_DEP_2)
	v_add_f64_e64 v[2:3], v[126:127], -v[4:5]
	v_add_f64_e64 v[4:5], v[128:129], -v[6:7]
	scratch_store_b128 off, v[2:5], off offset:496
	s_wait_xcnt 0x0
	v_cmpx_lt_u32_e32 30, v1
	s_cbranch_execz .LBB103_193
; %bb.192:
	scratch_load_b128 v[2:5], off, s25
	v_mov_b32_e32 v6, 0
	s_delay_alu instid0(VALU_DEP_1)
	v_dual_mov_b32 v7, v6 :: v_dual_mov_b32 v8, v6
	v_mov_b32_e32 v9, v6
	scratch_store_b128 off, v[6:9], off offset:480
	s_wait_loadcnt 0x0
	ds_store_b128 v104, v[2:5]
.LBB103_193:
	s_wait_xcnt 0x0
	s_or_b32 exec_lo, exec_lo, s2
	s_wait_storecnt_dscnt 0x0
	s_barrier_signal -1
	s_barrier_wait -1
	s_clause 0x8
	scratch_load_b128 v[4:7], off, off offset:496
	scratch_load_b128 v[8:11], off, off offset:512
	;; [unrolled: 1-line block ×9, first 2 shown]
	v_mov_b32_e32 v2, 0
	scratch_load_b128 v[126:129], off, off offset:480
	s_mov_b32 s2, exec_lo
	ds_load_b128 v[122:125], v2 offset:1136
	ds_load_b128 v[130:133], v2 offset:1152
	s_wait_loadcnt_dscnt 0x901
	v_mul_f64_e32 v[134:135], v[124:125], v[6:7]
	v_mul_f64_e32 v[136:137], v[122:123], v[6:7]
	s_wait_loadcnt_dscnt 0x800
	v_mul_f64_e32 v[138:139], v[130:131], v[10:11]
	v_mul_f64_e32 v[10:11], v[132:133], v[10:11]
	s_delay_alu instid0(VALU_DEP_4) | instskip(NEXT) | instid1(VALU_DEP_4)
	v_fma_f64 v[134:135], v[122:123], v[4:5], -v[134:135]
	v_fmac_f64_e32 v[136:137], v[124:125], v[4:5]
	ds_load_b128 v[4:7], v2 offset:1168
	ds_load_b128 v[122:125], v2 offset:1184
	v_fmac_f64_e32 v[138:139], v[132:133], v[8:9]
	v_fma_f64 v[8:9], v[130:131], v[8:9], -v[10:11]
	s_wait_loadcnt_dscnt 0x701
	v_mul_f64_e32 v[140:141], v[4:5], v[14:15]
	v_mul_f64_e32 v[14:15], v[6:7], v[14:15]
	s_wait_loadcnt_dscnt 0x600
	v_mul_f64_e32 v[132:133], v[122:123], v[18:19]
	v_mul_f64_e32 v[18:19], v[124:125], v[18:19]
	v_add_f64_e32 v[10:11], 0, v[134:135]
	v_add_f64_e32 v[130:131], 0, v[136:137]
	v_fmac_f64_e32 v[140:141], v[6:7], v[12:13]
	v_fma_f64 v[12:13], v[4:5], v[12:13], -v[14:15]
	v_fmac_f64_e32 v[132:133], v[124:125], v[16:17]
	v_fma_f64 v[16:17], v[122:123], v[16:17], -v[18:19]
	v_add_f64_e32 v[14:15], v[10:11], v[8:9]
	v_add_f64_e32 v[130:131], v[130:131], v[138:139]
	ds_load_b128 v[4:7], v2 offset:1200
	ds_load_b128 v[8:11], v2 offset:1216
	s_wait_loadcnt_dscnt 0x501
	v_mul_f64_e32 v[134:135], v[4:5], v[22:23]
	v_mul_f64_e32 v[22:23], v[6:7], v[22:23]
	s_wait_loadcnt_dscnt 0x400
	v_mul_f64_e32 v[18:19], v[8:9], v[108:109]
	v_mul_f64_e32 v[108:109], v[10:11], v[108:109]
	v_add_f64_e32 v[12:13], v[14:15], v[12:13]
	v_add_f64_e32 v[14:15], v[130:131], v[140:141]
	v_fmac_f64_e32 v[134:135], v[6:7], v[20:21]
	v_fma_f64 v[20:21], v[4:5], v[20:21], -v[22:23]
	v_fmac_f64_e32 v[18:19], v[10:11], v[106:107]
	v_fma_f64 v[8:9], v[8:9], v[106:107], -v[108:109]
	v_add_f64_e32 v[16:17], v[12:13], v[16:17]
	v_add_f64_e32 v[22:23], v[14:15], v[132:133]
	ds_load_b128 v[4:7], v2 offset:1232
	ds_load_b128 v[12:15], v2 offset:1248
	s_wait_loadcnt_dscnt 0x301
	v_mul_f64_e32 v[122:123], v[4:5], v[112:113]
	v_mul_f64_e32 v[112:113], v[6:7], v[112:113]
	v_add_f64_e32 v[10:11], v[16:17], v[20:21]
	v_add_f64_e32 v[16:17], v[22:23], v[134:135]
	s_wait_loadcnt_dscnt 0x200
	v_mul_f64_e32 v[20:21], v[12:13], v[116:117]
	v_mul_f64_e32 v[22:23], v[14:15], v[116:117]
	v_fmac_f64_e32 v[122:123], v[6:7], v[110:111]
	v_fma_f64 v[106:107], v[4:5], v[110:111], -v[112:113]
	ds_load_b128 v[4:7], v2 offset:1264
	v_add_f64_e32 v[8:9], v[10:11], v[8:9]
	v_add_f64_e32 v[10:11], v[16:17], v[18:19]
	v_fmac_f64_e32 v[20:21], v[14:15], v[114:115]
	v_fma_f64 v[12:13], v[12:13], v[114:115], -v[22:23]
	s_wait_loadcnt_dscnt 0x100
	v_mul_f64_e32 v[16:17], v[4:5], v[120:121]
	v_mul_f64_e32 v[18:19], v[6:7], v[120:121]
	v_add_f64_e32 v[8:9], v[8:9], v[106:107]
	v_add_f64_e32 v[10:11], v[10:11], v[122:123]
	s_delay_alu instid0(VALU_DEP_4) | instskip(NEXT) | instid1(VALU_DEP_4)
	v_fmac_f64_e32 v[16:17], v[6:7], v[118:119]
	v_fma_f64 v[4:5], v[4:5], v[118:119], -v[18:19]
	s_delay_alu instid0(VALU_DEP_4) | instskip(NEXT) | instid1(VALU_DEP_4)
	v_add_f64_e32 v[6:7], v[8:9], v[12:13]
	v_add_f64_e32 v[8:9], v[10:11], v[20:21]
	s_delay_alu instid0(VALU_DEP_2) | instskip(NEXT) | instid1(VALU_DEP_2)
	v_add_f64_e32 v[4:5], v[6:7], v[4:5]
	v_add_f64_e32 v[6:7], v[8:9], v[16:17]
	s_wait_loadcnt 0x0
	s_delay_alu instid0(VALU_DEP_2) | instskip(NEXT) | instid1(VALU_DEP_2)
	v_add_f64_e64 v[4:5], v[126:127], -v[4:5]
	v_add_f64_e64 v[6:7], v[128:129], -v[6:7]
	scratch_store_b128 off, v[4:7], off offset:480
	s_wait_xcnt 0x0
	v_cmpx_lt_u32_e32 29, v1
	s_cbranch_execz .LBB103_195
; %bb.194:
	scratch_load_b128 v[6:9], off, s26
	v_dual_mov_b32 v3, v2 :: v_dual_mov_b32 v4, v2
	v_mov_b32_e32 v5, v2
	scratch_store_b128 off, v[2:5], off offset:464
	s_wait_loadcnt 0x0
	ds_store_b128 v104, v[6:9]
.LBB103_195:
	s_wait_xcnt 0x0
	s_or_b32 exec_lo, exec_lo, s2
	s_wait_storecnt_dscnt 0x0
	s_barrier_signal -1
	s_barrier_wait -1
	s_clause 0x9
	scratch_load_b128 v[4:7], off, off offset:480
	scratch_load_b128 v[8:11], off, off offset:496
	;; [unrolled: 1-line block ×10, first 2 shown]
	ds_load_b128 v[126:129], v2 offset:1120
	ds_load_b128 v[130:133], v2 offset:1136
	scratch_load_b128 v[134:137], off, off offset:464
	s_mov_b32 s2, exec_lo
	s_wait_loadcnt_dscnt 0xa01
	v_mul_f64_e32 v[138:139], v[128:129], v[6:7]
	v_mul_f64_e32 v[140:141], v[126:127], v[6:7]
	s_wait_loadcnt_dscnt 0x900
	v_mul_f64_e32 v[142:143], v[130:131], v[10:11]
	v_mul_f64_e32 v[10:11], v[132:133], v[10:11]
	s_delay_alu instid0(VALU_DEP_4) | instskip(NEXT) | instid1(VALU_DEP_4)
	v_fma_f64 v[138:139], v[126:127], v[4:5], -v[138:139]
	v_fmac_f64_e32 v[140:141], v[128:129], v[4:5]
	ds_load_b128 v[4:7], v2 offset:1152
	ds_load_b128 v[126:129], v2 offset:1168
	v_fmac_f64_e32 v[142:143], v[132:133], v[8:9]
	v_fma_f64 v[8:9], v[130:131], v[8:9], -v[10:11]
	s_wait_loadcnt_dscnt 0x801
	v_mul_f64_e32 v[144:145], v[4:5], v[14:15]
	v_mul_f64_e32 v[14:15], v[6:7], v[14:15]
	s_wait_loadcnt_dscnt 0x700
	v_mul_f64_e32 v[132:133], v[126:127], v[18:19]
	v_mul_f64_e32 v[18:19], v[128:129], v[18:19]
	v_add_f64_e32 v[10:11], 0, v[138:139]
	v_add_f64_e32 v[130:131], 0, v[140:141]
	v_fmac_f64_e32 v[144:145], v[6:7], v[12:13]
	v_fma_f64 v[12:13], v[4:5], v[12:13], -v[14:15]
	v_fmac_f64_e32 v[132:133], v[128:129], v[16:17]
	v_fma_f64 v[16:17], v[126:127], v[16:17], -v[18:19]
	v_add_f64_e32 v[14:15], v[10:11], v[8:9]
	v_add_f64_e32 v[130:131], v[130:131], v[142:143]
	ds_load_b128 v[4:7], v2 offset:1184
	ds_load_b128 v[8:11], v2 offset:1200
	s_wait_loadcnt_dscnt 0x601
	v_mul_f64_e32 v[138:139], v[4:5], v[22:23]
	v_mul_f64_e32 v[22:23], v[6:7], v[22:23]
	s_wait_loadcnt_dscnt 0x500
	v_mul_f64_e32 v[18:19], v[8:9], v[108:109]
	v_mul_f64_e32 v[108:109], v[10:11], v[108:109]
	v_add_f64_e32 v[12:13], v[14:15], v[12:13]
	v_add_f64_e32 v[14:15], v[130:131], v[144:145]
	v_fmac_f64_e32 v[138:139], v[6:7], v[20:21]
	v_fma_f64 v[20:21], v[4:5], v[20:21], -v[22:23]
	v_fmac_f64_e32 v[18:19], v[10:11], v[106:107]
	v_fma_f64 v[8:9], v[8:9], v[106:107], -v[108:109]
	v_add_f64_e32 v[16:17], v[12:13], v[16:17]
	v_add_f64_e32 v[22:23], v[14:15], v[132:133]
	ds_load_b128 v[4:7], v2 offset:1216
	ds_load_b128 v[12:15], v2 offset:1232
	s_wait_loadcnt_dscnt 0x401
	v_mul_f64_e32 v[126:127], v[4:5], v[112:113]
	v_mul_f64_e32 v[112:113], v[6:7], v[112:113]
	v_add_f64_e32 v[10:11], v[16:17], v[20:21]
	v_add_f64_e32 v[16:17], v[22:23], v[138:139]
	s_wait_loadcnt_dscnt 0x300
	v_mul_f64_e32 v[20:21], v[12:13], v[116:117]
	v_mul_f64_e32 v[22:23], v[14:15], v[116:117]
	v_fmac_f64_e32 v[126:127], v[6:7], v[110:111]
	v_fma_f64 v[106:107], v[4:5], v[110:111], -v[112:113]
	v_add_f64_e32 v[108:109], v[10:11], v[8:9]
	v_add_f64_e32 v[16:17], v[16:17], v[18:19]
	ds_load_b128 v[4:7], v2 offset:1248
	ds_load_b128 v[8:11], v2 offset:1264
	v_fmac_f64_e32 v[20:21], v[14:15], v[114:115]
	v_fma_f64 v[12:13], v[12:13], v[114:115], -v[22:23]
	s_wait_loadcnt_dscnt 0x201
	v_mul_f64_e32 v[2:3], v[4:5], v[120:121]
	v_mul_f64_e32 v[18:19], v[6:7], v[120:121]
	s_wait_loadcnt_dscnt 0x100
	v_mul_f64_e32 v[22:23], v[8:9], v[124:125]
	v_add_f64_e32 v[14:15], v[108:109], v[106:107]
	v_add_f64_e32 v[16:17], v[16:17], v[126:127]
	v_mul_f64_e32 v[106:107], v[10:11], v[124:125]
	v_fmac_f64_e32 v[2:3], v[6:7], v[118:119]
	v_fma_f64 v[4:5], v[4:5], v[118:119], -v[18:19]
	v_fmac_f64_e32 v[22:23], v[10:11], v[122:123]
	v_add_f64_e32 v[6:7], v[14:15], v[12:13]
	v_add_f64_e32 v[12:13], v[16:17], v[20:21]
	v_fma_f64 v[8:9], v[8:9], v[122:123], -v[106:107]
	s_delay_alu instid0(VALU_DEP_3) | instskip(NEXT) | instid1(VALU_DEP_3)
	v_add_f64_e32 v[4:5], v[6:7], v[4:5]
	v_add_f64_e32 v[2:3], v[12:13], v[2:3]
	s_delay_alu instid0(VALU_DEP_2) | instskip(NEXT) | instid1(VALU_DEP_2)
	v_add_f64_e32 v[4:5], v[4:5], v[8:9]
	v_add_f64_e32 v[6:7], v[2:3], v[22:23]
	s_wait_loadcnt 0x0
	s_delay_alu instid0(VALU_DEP_2) | instskip(NEXT) | instid1(VALU_DEP_2)
	v_add_f64_e64 v[2:3], v[134:135], -v[4:5]
	v_add_f64_e64 v[4:5], v[136:137], -v[6:7]
	scratch_store_b128 off, v[2:5], off offset:464
	s_wait_xcnt 0x0
	v_cmpx_lt_u32_e32 28, v1
	s_cbranch_execz .LBB103_197
; %bb.196:
	scratch_load_b128 v[2:5], off, s27
	v_mov_b32_e32 v6, 0
	s_delay_alu instid0(VALU_DEP_1)
	v_dual_mov_b32 v7, v6 :: v_dual_mov_b32 v8, v6
	v_mov_b32_e32 v9, v6
	scratch_store_b128 off, v[6:9], off offset:448
	s_wait_loadcnt 0x0
	ds_store_b128 v104, v[2:5]
.LBB103_197:
	s_wait_xcnt 0x0
	s_or_b32 exec_lo, exec_lo, s2
	s_wait_storecnt_dscnt 0x0
	s_barrier_signal -1
	s_barrier_wait -1
	s_clause 0x9
	scratch_load_b128 v[4:7], off, off offset:464
	scratch_load_b128 v[8:11], off, off offset:480
	;; [unrolled: 1-line block ×10, first 2 shown]
	v_mov_b32_e32 v2, 0
	s_mov_b32 s2, exec_lo
	ds_load_b128 v[126:129], v2 offset:1104
	s_clause 0x1
	scratch_load_b128 v[130:133], off, off offset:624
	scratch_load_b128 v[134:137], off, off offset:448
	s_wait_loadcnt_dscnt 0xb00
	v_mul_f64_e32 v[142:143], v[128:129], v[6:7]
	v_mul_f64_e32 v[144:145], v[126:127], v[6:7]
	ds_load_b128 v[138:141], v2 offset:1120
	s_wait_loadcnt_dscnt 0xa00
	v_mul_f64_e32 v[146:147], v[138:139], v[10:11]
	v_mul_f64_e32 v[10:11], v[140:141], v[10:11]
	v_fma_f64 v[142:143], v[126:127], v[4:5], -v[142:143]
	v_fmac_f64_e32 v[144:145], v[128:129], v[4:5]
	ds_load_b128 v[4:7], v2 offset:1136
	ds_load_b128 v[126:129], v2 offset:1152
	s_wait_loadcnt_dscnt 0x901
	v_mul_f64_e32 v[148:149], v[4:5], v[14:15]
	v_mul_f64_e32 v[14:15], v[6:7], v[14:15]
	v_fmac_f64_e32 v[146:147], v[140:141], v[8:9]
	v_fma_f64 v[8:9], v[138:139], v[8:9], -v[10:11]
	s_wait_loadcnt_dscnt 0x800
	v_mul_f64_e32 v[140:141], v[126:127], v[18:19]
	v_mul_f64_e32 v[18:19], v[128:129], v[18:19]
	v_add_f64_e32 v[10:11], 0, v[142:143]
	v_add_f64_e32 v[138:139], 0, v[144:145]
	v_fmac_f64_e32 v[148:149], v[6:7], v[12:13]
	v_fma_f64 v[12:13], v[4:5], v[12:13], -v[14:15]
	v_fmac_f64_e32 v[140:141], v[128:129], v[16:17]
	v_fma_f64 v[16:17], v[126:127], v[16:17], -v[18:19]
	v_add_f64_e32 v[14:15], v[10:11], v[8:9]
	v_add_f64_e32 v[138:139], v[138:139], v[146:147]
	ds_load_b128 v[4:7], v2 offset:1168
	ds_load_b128 v[8:11], v2 offset:1184
	s_wait_loadcnt_dscnt 0x701
	v_mul_f64_e32 v[142:143], v[4:5], v[22:23]
	v_mul_f64_e32 v[22:23], v[6:7], v[22:23]
	s_wait_loadcnt_dscnt 0x600
	v_mul_f64_e32 v[18:19], v[8:9], v[108:109]
	v_mul_f64_e32 v[108:109], v[10:11], v[108:109]
	v_add_f64_e32 v[12:13], v[14:15], v[12:13]
	v_add_f64_e32 v[14:15], v[138:139], v[148:149]
	v_fmac_f64_e32 v[142:143], v[6:7], v[20:21]
	v_fma_f64 v[20:21], v[4:5], v[20:21], -v[22:23]
	v_fmac_f64_e32 v[18:19], v[10:11], v[106:107]
	v_fma_f64 v[8:9], v[8:9], v[106:107], -v[108:109]
	v_add_f64_e32 v[16:17], v[12:13], v[16:17]
	v_add_f64_e32 v[22:23], v[14:15], v[140:141]
	ds_load_b128 v[4:7], v2 offset:1200
	ds_load_b128 v[12:15], v2 offset:1216
	s_wait_loadcnt_dscnt 0x501
	v_mul_f64_e32 v[126:127], v[4:5], v[112:113]
	v_mul_f64_e32 v[112:113], v[6:7], v[112:113]
	v_add_f64_e32 v[10:11], v[16:17], v[20:21]
	v_add_f64_e32 v[16:17], v[22:23], v[142:143]
	s_wait_loadcnt_dscnt 0x400
	v_mul_f64_e32 v[20:21], v[12:13], v[116:117]
	v_mul_f64_e32 v[22:23], v[14:15], v[116:117]
	v_fmac_f64_e32 v[126:127], v[6:7], v[110:111]
	v_fma_f64 v[106:107], v[4:5], v[110:111], -v[112:113]
	v_add_f64_e32 v[108:109], v[10:11], v[8:9]
	v_add_f64_e32 v[16:17], v[16:17], v[18:19]
	ds_load_b128 v[4:7], v2 offset:1232
	ds_load_b128 v[8:11], v2 offset:1248
	v_fmac_f64_e32 v[20:21], v[14:15], v[114:115]
	v_fma_f64 v[12:13], v[12:13], v[114:115], -v[22:23]
	s_wait_loadcnt_dscnt 0x301
	v_mul_f64_e32 v[18:19], v[4:5], v[120:121]
	v_mul_f64_e32 v[110:111], v[6:7], v[120:121]
	s_wait_loadcnt_dscnt 0x200
	v_mul_f64_e32 v[22:23], v[8:9], v[124:125]
	v_add_f64_e32 v[14:15], v[108:109], v[106:107]
	v_add_f64_e32 v[16:17], v[16:17], v[126:127]
	v_mul_f64_e32 v[106:107], v[10:11], v[124:125]
	v_fmac_f64_e32 v[18:19], v[6:7], v[118:119]
	v_fma_f64 v[108:109], v[4:5], v[118:119], -v[110:111]
	ds_load_b128 v[4:7], v2 offset:1264
	v_fmac_f64_e32 v[22:23], v[10:11], v[122:123]
	v_add_f64_e32 v[12:13], v[14:15], v[12:13]
	v_add_f64_e32 v[14:15], v[16:17], v[20:21]
	v_fma_f64 v[8:9], v[8:9], v[122:123], -v[106:107]
	s_wait_loadcnt_dscnt 0x100
	v_mul_f64_e32 v[16:17], v[4:5], v[132:133]
	v_mul_f64_e32 v[20:21], v[6:7], v[132:133]
	v_add_f64_e32 v[10:11], v[12:13], v[108:109]
	v_add_f64_e32 v[12:13], v[14:15], v[18:19]
	s_delay_alu instid0(VALU_DEP_4) | instskip(NEXT) | instid1(VALU_DEP_4)
	v_fmac_f64_e32 v[16:17], v[6:7], v[130:131]
	v_fma_f64 v[4:5], v[4:5], v[130:131], -v[20:21]
	s_delay_alu instid0(VALU_DEP_4) | instskip(NEXT) | instid1(VALU_DEP_4)
	v_add_f64_e32 v[6:7], v[10:11], v[8:9]
	v_add_f64_e32 v[8:9], v[12:13], v[22:23]
	s_delay_alu instid0(VALU_DEP_2) | instskip(NEXT) | instid1(VALU_DEP_2)
	v_add_f64_e32 v[4:5], v[6:7], v[4:5]
	v_add_f64_e32 v[6:7], v[8:9], v[16:17]
	s_wait_loadcnt 0x0
	s_delay_alu instid0(VALU_DEP_2) | instskip(NEXT) | instid1(VALU_DEP_2)
	v_add_f64_e64 v[4:5], v[134:135], -v[4:5]
	v_add_f64_e64 v[6:7], v[136:137], -v[6:7]
	scratch_store_b128 off, v[4:7], off offset:448
	s_wait_xcnt 0x0
	v_cmpx_lt_u32_e32 27, v1
	s_cbranch_execz .LBB103_199
; %bb.198:
	scratch_load_b128 v[6:9], off, s28
	v_dual_mov_b32 v3, v2 :: v_dual_mov_b32 v4, v2
	v_mov_b32_e32 v5, v2
	scratch_store_b128 off, v[2:5], off offset:432
	s_wait_loadcnt 0x0
	ds_store_b128 v104, v[6:9]
.LBB103_199:
	s_wait_xcnt 0x0
	s_or_b32 exec_lo, exec_lo, s2
	s_wait_storecnt_dscnt 0x0
	s_barrier_signal -1
	s_barrier_wait -1
	s_clause 0x9
	scratch_load_b128 v[4:7], off, off offset:448
	scratch_load_b128 v[8:11], off, off offset:464
	;; [unrolled: 1-line block ×10, first 2 shown]
	ds_load_b128 v[126:129], v2 offset:1088
	ds_load_b128 v[134:137], v2 offset:1104
	s_clause 0x2
	scratch_load_b128 v[130:133], off, off offset:608
	scratch_load_b128 v[138:141], off, off offset:432
	;; [unrolled: 1-line block ×3, first 2 shown]
	s_mov_b32 s2, exec_lo
	s_wait_loadcnt_dscnt 0xc01
	v_mul_f64_e32 v[146:147], v[128:129], v[6:7]
	v_mul_f64_e32 v[148:149], v[126:127], v[6:7]
	s_wait_loadcnt_dscnt 0xb00
	v_mul_f64_e32 v[150:151], v[134:135], v[10:11]
	v_mul_f64_e32 v[10:11], v[136:137], v[10:11]
	s_delay_alu instid0(VALU_DEP_4) | instskip(NEXT) | instid1(VALU_DEP_4)
	v_fma_f64 v[146:147], v[126:127], v[4:5], -v[146:147]
	v_fmac_f64_e32 v[148:149], v[128:129], v[4:5]
	ds_load_b128 v[4:7], v2 offset:1120
	ds_load_b128 v[126:129], v2 offset:1136
	v_fmac_f64_e32 v[150:151], v[136:137], v[8:9]
	v_fma_f64 v[8:9], v[134:135], v[8:9], -v[10:11]
	s_wait_loadcnt_dscnt 0xa01
	v_mul_f64_e32 v[152:153], v[4:5], v[14:15]
	v_mul_f64_e32 v[14:15], v[6:7], v[14:15]
	s_wait_loadcnt_dscnt 0x900
	v_mul_f64_e32 v[136:137], v[126:127], v[18:19]
	v_mul_f64_e32 v[18:19], v[128:129], v[18:19]
	v_add_f64_e32 v[10:11], 0, v[146:147]
	v_add_f64_e32 v[134:135], 0, v[148:149]
	v_fmac_f64_e32 v[152:153], v[6:7], v[12:13]
	v_fma_f64 v[12:13], v[4:5], v[12:13], -v[14:15]
	v_fmac_f64_e32 v[136:137], v[128:129], v[16:17]
	v_fma_f64 v[16:17], v[126:127], v[16:17], -v[18:19]
	v_add_f64_e32 v[14:15], v[10:11], v[8:9]
	v_add_f64_e32 v[134:135], v[134:135], v[150:151]
	ds_load_b128 v[4:7], v2 offset:1152
	ds_load_b128 v[8:11], v2 offset:1168
	s_wait_loadcnt_dscnt 0x801
	v_mul_f64_e32 v[146:147], v[4:5], v[22:23]
	v_mul_f64_e32 v[22:23], v[6:7], v[22:23]
	s_wait_loadcnt_dscnt 0x700
	v_mul_f64_e32 v[18:19], v[8:9], v[108:109]
	v_mul_f64_e32 v[108:109], v[10:11], v[108:109]
	v_add_f64_e32 v[12:13], v[14:15], v[12:13]
	v_add_f64_e32 v[14:15], v[134:135], v[152:153]
	v_fmac_f64_e32 v[146:147], v[6:7], v[20:21]
	v_fma_f64 v[20:21], v[4:5], v[20:21], -v[22:23]
	v_fmac_f64_e32 v[18:19], v[10:11], v[106:107]
	v_fma_f64 v[8:9], v[8:9], v[106:107], -v[108:109]
	v_add_f64_e32 v[16:17], v[12:13], v[16:17]
	v_add_f64_e32 v[22:23], v[14:15], v[136:137]
	ds_load_b128 v[4:7], v2 offset:1184
	ds_load_b128 v[12:15], v2 offset:1200
	s_wait_loadcnt_dscnt 0x601
	v_mul_f64_e32 v[126:127], v[4:5], v[112:113]
	v_mul_f64_e32 v[112:113], v[6:7], v[112:113]
	v_add_f64_e32 v[10:11], v[16:17], v[20:21]
	v_add_f64_e32 v[16:17], v[22:23], v[146:147]
	s_wait_loadcnt_dscnt 0x500
	v_mul_f64_e32 v[20:21], v[12:13], v[116:117]
	v_mul_f64_e32 v[22:23], v[14:15], v[116:117]
	v_fmac_f64_e32 v[126:127], v[6:7], v[110:111]
	v_fma_f64 v[106:107], v[4:5], v[110:111], -v[112:113]
	v_add_f64_e32 v[108:109], v[10:11], v[8:9]
	v_add_f64_e32 v[16:17], v[16:17], v[18:19]
	ds_load_b128 v[4:7], v2 offset:1216
	ds_load_b128 v[8:11], v2 offset:1232
	v_fmac_f64_e32 v[20:21], v[14:15], v[114:115]
	v_fma_f64 v[12:13], v[12:13], v[114:115], -v[22:23]
	s_wait_loadcnt_dscnt 0x401
	v_mul_f64_e32 v[18:19], v[4:5], v[120:121]
	v_mul_f64_e32 v[110:111], v[6:7], v[120:121]
	s_wait_loadcnt_dscnt 0x300
	v_mul_f64_e32 v[22:23], v[8:9], v[124:125]
	v_add_f64_e32 v[14:15], v[108:109], v[106:107]
	v_add_f64_e32 v[16:17], v[16:17], v[126:127]
	v_mul_f64_e32 v[106:107], v[10:11], v[124:125]
	v_fmac_f64_e32 v[18:19], v[6:7], v[118:119]
	v_fma_f64 v[108:109], v[4:5], v[118:119], -v[110:111]
	v_fmac_f64_e32 v[22:23], v[10:11], v[122:123]
	v_add_f64_e32 v[110:111], v[14:15], v[12:13]
	v_add_f64_e32 v[16:17], v[16:17], v[20:21]
	ds_load_b128 v[4:7], v2 offset:1248
	ds_load_b128 v[12:15], v2 offset:1264
	v_fma_f64 v[8:9], v[8:9], v[122:123], -v[106:107]
	s_wait_loadcnt_dscnt 0x201
	v_mul_f64_e32 v[2:3], v[4:5], v[132:133]
	v_mul_f64_e32 v[20:21], v[6:7], v[132:133]
	s_wait_loadcnt_dscnt 0x0
	v_mul_f64_e32 v[106:107], v[14:15], v[144:145]
	v_add_f64_e32 v[10:11], v[110:111], v[108:109]
	v_add_f64_e32 v[16:17], v[16:17], v[18:19]
	v_mul_f64_e32 v[18:19], v[12:13], v[144:145]
	v_fmac_f64_e32 v[2:3], v[6:7], v[130:131]
	v_fma_f64 v[4:5], v[4:5], v[130:131], -v[20:21]
	v_add_f64_e32 v[6:7], v[10:11], v[8:9]
	v_add_f64_e32 v[8:9], v[16:17], v[22:23]
	v_fmac_f64_e32 v[18:19], v[14:15], v[142:143]
	v_fma_f64 v[10:11], v[12:13], v[142:143], -v[106:107]
	s_delay_alu instid0(VALU_DEP_4) | instskip(NEXT) | instid1(VALU_DEP_4)
	v_add_f64_e32 v[4:5], v[6:7], v[4:5]
	v_add_f64_e32 v[2:3], v[8:9], v[2:3]
	s_delay_alu instid0(VALU_DEP_2) | instskip(NEXT) | instid1(VALU_DEP_2)
	v_add_f64_e32 v[4:5], v[4:5], v[10:11]
	v_add_f64_e32 v[6:7], v[2:3], v[18:19]
	s_delay_alu instid0(VALU_DEP_2) | instskip(NEXT) | instid1(VALU_DEP_2)
	v_add_f64_e64 v[2:3], v[138:139], -v[4:5]
	v_add_f64_e64 v[4:5], v[140:141], -v[6:7]
	scratch_store_b128 off, v[2:5], off offset:432
	s_wait_xcnt 0x0
	v_cmpx_lt_u32_e32 26, v1
	s_cbranch_execz .LBB103_201
; %bb.200:
	scratch_load_b128 v[2:5], off, s29
	v_mov_b32_e32 v6, 0
	s_delay_alu instid0(VALU_DEP_1)
	v_dual_mov_b32 v7, v6 :: v_dual_mov_b32 v8, v6
	v_mov_b32_e32 v9, v6
	scratch_store_b128 off, v[6:9], off offset:416
	s_wait_loadcnt 0x0
	ds_store_b128 v104, v[2:5]
.LBB103_201:
	s_wait_xcnt 0x0
	s_or_b32 exec_lo, exec_lo, s2
	s_wait_storecnt_dscnt 0x0
	s_barrier_signal -1
	s_barrier_wait -1
	s_clause 0x9
	scratch_load_b128 v[4:7], off, off offset:432
	scratch_load_b128 v[8:11], off, off offset:448
	;; [unrolled: 1-line block ×10, first 2 shown]
	v_mov_b32_e32 v2, 0
	s_mov_b32 s2, exec_lo
	ds_load_b128 v[126:129], v2 offset:1072
	s_clause 0x2
	scratch_load_b128 v[130:133], off, off offset:592
	scratch_load_b128 v[134:137], off, off offset:416
	;; [unrolled: 1-line block ×3, first 2 shown]
	s_wait_loadcnt_dscnt 0xc00
	v_mul_f64_e32 v[146:147], v[128:129], v[6:7]
	v_mul_f64_e32 v[150:151], v[126:127], v[6:7]
	ds_load_b128 v[138:141], v2 offset:1088
	v_fma_f64 v[154:155], v[126:127], v[4:5], -v[146:147]
	v_fmac_f64_e32 v[150:151], v[128:129], v[4:5]
	ds_load_b128 v[4:7], v2 offset:1104
	s_wait_loadcnt_dscnt 0xb01
	v_mul_f64_e32 v[152:153], v[138:139], v[10:11]
	v_mul_f64_e32 v[10:11], v[140:141], v[10:11]
	scratch_load_b128 v[126:129], off, off offset:624
	ds_load_b128 v[146:149], v2 offset:1120
	s_wait_loadcnt_dscnt 0xb01
	v_mul_f64_e32 v[156:157], v[4:5], v[14:15]
	v_mul_f64_e32 v[14:15], v[6:7], v[14:15]
	v_fmac_f64_e32 v[152:153], v[140:141], v[8:9]
	v_fma_f64 v[8:9], v[138:139], v[8:9], -v[10:11]
	v_add_f64_e32 v[10:11], 0, v[154:155]
	v_add_f64_e32 v[138:139], 0, v[150:151]
	s_wait_loadcnt_dscnt 0xa00
	v_mul_f64_e32 v[140:141], v[146:147], v[18:19]
	v_mul_f64_e32 v[18:19], v[148:149], v[18:19]
	v_fmac_f64_e32 v[156:157], v[6:7], v[12:13]
	v_fma_f64 v[12:13], v[4:5], v[12:13], -v[14:15]
	v_add_f64_e32 v[14:15], v[10:11], v[8:9]
	v_add_f64_e32 v[138:139], v[138:139], v[152:153]
	ds_load_b128 v[4:7], v2 offset:1136
	ds_load_b128 v[8:11], v2 offset:1152
	v_fmac_f64_e32 v[140:141], v[148:149], v[16:17]
	v_fma_f64 v[16:17], v[146:147], v[16:17], -v[18:19]
	s_wait_loadcnt_dscnt 0x901
	v_mul_f64_e32 v[150:151], v[4:5], v[22:23]
	v_mul_f64_e32 v[22:23], v[6:7], v[22:23]
	s_wait_loadcnt_dscnt 0x800
	v_mul_f64_e32 v[18:19], v[8:9], v[108:109]
	v_mul_f64_e32 v[108:109], v[10:11], v[108:109]
	v_add_f64_e32 v[12:13], v[14:15], v[12:13]
	v_add_f64_e32 v[14:15], v[138:139], v[156:157]
	v_fmac_f64_e32 v[150:151], v[6:7], v[20:21]
	v_fma_f64 v[20:21], v[4:5], v[20:21], -v[22:23]
	v_fmac_f64_e32 v[18:19], v[10:11], v[106:107]
	v_fma_f64 v[8:9], v[8:9], v[106:107], -v[108:109]
	v_add_f64_e32 v[16:17], v[12:13], v[16:17]
	v_add_f64_e32 v[22:23], v[14:15], v[140:141]
	ds_load_b128 v[4:7], v2 offset:1168
	ds_load_b128 v[12:15], v2 offset:1184
	s_wait_loadcnt_dscnt 0x701
	v_mul_f64_e32 v[138:139], v[4:5], v[112:113]
	v_mul_f64_e32 v[112:113], v[6:7], v[112:113]
	v_add_f64_e32 v[10:11], v[16:17], v[20:21]
	v_add_f64_e32 v[16:17], v[22:23], v[150:151]
	s_wait_loadcnt_dscnt 0x600
	v_mul_f64_e32 v[20:21], v[12:13], v[116:117]
	v_mul_f64_e32 v[22:23], v[14:15], v[116:117]
	v_fmac_f64_e32 v[138:139], v[6:7], v[110:111]
	v_fma_f64 v[106:107], v[4:5], v[110:111], -v[112:113]
	v_add_f64_e32 v[108:109], v[10:11], v[8:9]
	v_add_f64_e32 v[16:17], v[16:17], v[18:19]
	ds_load_b128 v[4:7], v2 offset:1200
	ds_load_b128 v[8:11], v2 offset:1216
	v_fmac_f64_e32 v[20:21], v[14:15], v[114:115]
	v_fma_f64 v[12:13], v[12:13], v[114:115], -v[22:23]
	s_wait_loadcnt_dscnt 0x501
	v_mul_f64_e32 v[18:19], v[4:5], v[120:121]
	v_mul_f64_e32 v[110:111], v[6:7], v[120:121]
	s_wait_loadcnt_dscnt 0x400
	v_mul_f64_e32 v[22:23], v[8:9], v[124:125]
	v_add_f64_e32 v[14:15], v[108:109], v[106:107]
	v_add_f64_e32 v[16:17], v[16:17], v[138:139]
	v_mul_f64_e32 v[106:107], v[10:11], v[124:125]
	v_fmac_f64_e32 v[18:19], v[6:7], v[118:119]
	v_fma_f64 v[108:109], v[4:5], v[118:119], -v[110:111]
	v_fmac_f64_e32 v[22:23], v[10:11], v[122:123]
	v_add_f64_e32 v[110:111], v[14:15], v[12:13]
	v_add_f64_e32 v[16:17], v[16:17], v[20:21]
	ds_load_b128 v[4:7], v2 offset:1232
	ds_load_b128 v[12:15], v2 offset:1248
	v_fma_f64 v[8:9], v[8:9], v[122:123], -v[106:107]
	s_wait_loadcnt_dscnt 0x301
	v_mul_f64_e32 v[20:21], v[4:5], v[132:133]
	v_mul_f64_e32 v[112:113], v[6:7], v[132:133]
	s_wait_loadcnt_dscnt 0x100
	v_mul_f64_e32 v[106:107], v[14:15], v[144:145]
	v_add_f64_e32 v[10:11], v[110:111], v[108:109]
	v_add_f64_e32 v[16:17], v[16:17], v[18:19]
	v_mul_f64_e32 v[18:19], v[12:13], v[144:145]
	v_fmac_f64_e32 v[20:21], v[6:7], v[130:131]
	v_fma_f64 v[108:109], v[4:5], v[130:131], -v[112:113]
	ds_load_b128 v[4:7], v2 offset:1264
	v_fma_f64 v[12:13], v[12:13], v[142:143], -v[106:107]
	v_add_f64_e32 v[8:9], v[10:11], v[8:9]
	v_add_f64_e32 v[10:11], v[16:17], v[22:23]
	v_fmac_f64_e32 v[18:19], v[14:15], v[142:143]
	s_wait_loadcnt_dscnt 0x0
	v_mul_f64_e32 v[16:17], v[4:5], v[128:129]
	v_mul_f64_e32 v[22:23], v[6:7], v[128:129]
	v_add_f64_e32 v[8:9], v[8:9], v[108:109]
	v_add_f64_e32 v[10:11], v[10:11], v[20:21]
	s_delay_alu instid0(VALU_DEP_4) | instskip(NEXT) | instid1(VALU_DEP_4)
	v_fmac_f64_e32 v[16:17], v[6:7], v[126:127]
	v_fma_f64 v[4:5], v[4:5], v[126:127], -v[22:23]
	s_delay_alu instid0(VALU_DEP_4) | instskip(NEXT) | instid1(VALU_DEP_4)
	v_add_f64_e32 v[6:7], v[8:9], v[12:13]
	v_add_f64_e32 v[8:9], v[10:11], v[18:19]
	s_delay_alu instid0(VALU_DEP_2) | instskip(NEXT) | instid1(VALU_DEP_2)
	v_add_f64_e32 v[4:5], v[6:7], v[4:5]
	v_add_f64_e32 v[6:7], v[8:9], v[16:17]
	s_delay_alu instid0(VALU_DEP_2) | instskip(NEXT) | instid1(VALU_DEP_2)
	v_add_f64_e64 v[4:5], v[134:135], -v[4:5]
	v_add_f64_e64 v[6:7], v[136:137], -v[6:7]
	scratch_store_b128 off, v[4:7], off offset:416
	s_wait_xcnt 0x0
	v_cmpx_lt_u32_e32 25, v1
	s_cbranch_execz .LBB103_203
; %bb.202:
	scratch_load_b128 v[6:9], off, s30
	v_dual_mov_b32 v3, v2 :: v_dual_mov_b32 v4, v2
	v_mov_b32_e32 v5, v2
	scratch_store_b128 off, v[2:5], off offset:400
	s_wait_loadcnt 0x0
	ds_store_b128 v104, v[6:9]
.LBB103_203:
	s_wait_xcnt 0x0
	s_or_b32 exec_lo, exec_lo, s2
	s_wait_storecnt_dscnt 0x0
	s_barrier_signal -1
	s_barrier_wait -1
	s_clause 0x9
	scratch_load_b128 v[4:7], off, off offset:416
	scratch_load_b128 v[8:11], off, off offset:432
	;; [unrolled: 1-line block ×10, first 2 shown]
	ds_load_b128 v[126:129], v2 offset:1056
	ds_load_b128 v[134:137], v2 offset:1072
	s_clause 0x2
	scratch_load_b128 v[130:133], off, off offset:576
	scratch_load_b128 v[138:141], off, off offset:400
	;; [unrolled: 1-line block ×3, first 2 shown]
	s_mov_b32 s2, exec_lo
	s_wait_loadcnt_dscnt 0xc01
	v_mul_f64_e32 v[146:147], v[128:129], v[6:7]
	v_mul_f64_e32 v[150:151], v[126:127], v[6:7]
	s_wait_loadcnt_dscnt 0xb00
	v_mul_f64_e32 v[152:153], v[134:135], v[10:11]
	v_mul_f64_e32 v[10:11], v[136:137], v[10:11]
	s_delay_alu instid0(VALU_DEP_4) | instskip(NEXT) | instid1(VALU_DEP_4)
	v_fma_f64 v[154:155], v[126:127], v[4:5], -v[146:147]
	v_fmac_f64_e32 v[150:151], v[128:129], v[4:5]
	ds_load_b128 v[4:7], v2 offset:1088
	ds_load_b128 v[126:129], v2 offset:1104
	scratch_load_b128 v[146:149], off, off offset:608
	v_fmac_f64_e32 v[152:153], v[136:137], v[8:9]
	v_fma_f64 v[134:135], v[134:135], v[8:9], -v[10:11]
	scratch_load_b128 v[8:11], off, off offset:624
	s_wait_loadcnt_dscnt 0xc01
	v_mul_f64_e32 v[156:157], v[4:5], v[14:15]
	v_mul_f64_e32 v[14:15], v[6:7], v[14:15]
	v_add_f64_e32 v[136:137], 0, v[154:155]
	v_add_f64_e32 v[150:151], 0, v[150:151]
	s_wait_loadcnt_dscnt 0xb00
	v_mul_f64_e32 v[154:155], v[126:127], v[18:19]
	v_mul_f64_e32 v[18:19], v[128:129], v[18:19]
	v_fmac_f64_e32 v[156:157], v[6:7], v[12:13]
	v_fma_f64 v[158:159], v[4:5], v[12:13], -v[14:15]
	ds_load_b128 v[4:7], v2 offset:1120
	ds_load_b128 v[12:15], v2 offset:1136
	v_add_f64_e32 v[134:135], v[136:137], v[134:135]
	v_add_f64_e32 v[136:137], v[150:151], v[152:153]
	v_fmac_f64_e32 v[154:155], v[128:129], v[16:17]
	v_fma_f64 v[16:17], v[126:127], v[16:17], -v[18:19]
	s_wait_loadcnt_dscnt 0xa01
	v_mul_f64_e32 v[150:151], v[4:5], v[22:23]
	v_mul_f64_e32 v[22:23], v[6:7], v[22:23]
	s_wait_loadcnt_dscnt 0x900
	v_mul_f64_e32 v[128:129], v[12:13], v[108:109]
	v_mul_f64_e32 v[108:109], v[14:15], v[108:109]
	v_add_f64_e32 v[18:19], v[134:135], v[158:159]
	v_add_f64_e32 v[126:127], v[136:137], v[156:157]
	v_fmac_f64_e32 v[150:151], v[6:7], v[20:21]
	v_fma_f64 v[20:21], v[4:5], v[20:21], -v[22:23]
	v_fmac_f64_e32 v[128:129], v[14:15], v[106:107]
	v_fma_f64 v[12:13], v[12:13], v[106:107], -v[108:109]
	v_add_f64_e32 v[22:23], v[18:19], v[16:17]
	v_add_f64_e32 v[126:127], v[126:127], v[154:155]
	ds_load_b128 v[4:7], v2 offset:1152
	ds_load_b128 v[16:19], v2 offset:1168
	s_wait_loadcnt_dscnt 0x801
	v_mul_f64_e32 v[134:135], v[4:5], v[112:113]
	v_mul_f64_e32 v[112:113], v[6:7], v[112:113]
	s_wait_loadcnt_dscnt 0x700
	v_mul_f64_e32 v[106:107], v[18:19], v[116:117]
	v_add_f64_e32 v[14:15], v[22:23], v[20:21]
	v_add_f64_e32 v[20:21], v[126:127], v[150:151]
	v_mul_f64_e32 v[22:23], v[16:17], v[116:117]
	v_fmac_f64_e32 v[134:135], v[6:7], v[110:111]
	v_fma_f64 v[108:109], v[4:5], v[110:111], -v[112:113]
	v_fma_f64 v[16:17], v[16:17], v[114:115], -v[106:107]
	v_add_f64_e32 v[110:111], v[14:15], v[12:13]
	v_add_f64_e32 v[20:21], v[20:21], v[128:129]
	ds_load_b128 v[4:7], v2 offset:1184
	ds_load_b128 v[12:15], v2 offset:1200
	v_fmac_f64_e32 v[22:23], v[18:19], v[114:115]
	s_wait_loadcnt_dscnt 0x601
	v_mul_f64_e32 v[112:113], v[4:5], v[120:121]
	v_mul_f64_e32 v[116:117], v[6:7], v[120:121]
	s_wait_loadcnt_dscnt 0x500
	v_mul_f64_e32 v[106:107], v[12:13], v[124:125]
	v_add_f64_e32 v[18:19], v[110:111], v[108:109]
	v_add_f64_e32 v[20:21], v[20:21], v[134:135]
	v_mul_f64_e32 v[108:109], v[14:15], v[124:125]
	v_fmac_f64_e32 v[112:113], v[6:7], v[118:119]
	v_fma_f64 v[110:111], v[4:5], v[118:119], -v[116:117]
	v_fmac_f64_e32 v[106:107], v[14:15], v[122:123]
	v_add_f64_e32 v[114:115], v[18:19], v[16:17]
	v_add_f64_e32 v[20:21], v[20:21], v[22:23]
	ds_load_b128 v[4:7], v2 offset:1216
	ds_load_b128 v[16:19], v2 offset:1232
	v_fma_f64 v[12:13], v[12:13], v[122:123], -v[108:109]
	s_wait_loadcnt_dscnt 0x401
	v_mul_f64_e32 v[22:23], v[4:5], v[132:133]
	v_mul_f64_e32 v[116:117], v[6:7], v[132:133]
	s_wait_loadcnt_dscnt 0x200
	v_mul_f64_e32 v[108:109], v[16:17], v[144:145]
	v_add_f64_e32 v[14:15], v[114:115], v[110:111]
	v_add_f64_e32 v[20:21], v[20:21], v[112:113]
	v_mul_f64_e32 v[110:111], v[18:19], v[144:145]
	v_fmac_f64_e32 v[22:23], v[6:7], v[130:131]
	v_fma_f64 v[112:113], v[4:5], v[130:131], -v[116:117]
	v_fmac_f64_e32 v[108:109], v[18:19], v[142:143]
	v_add_f64_e32 v[114:115], v[14:15], v[12:13]
	v_add_f64_e32 v[20:21], v[20:21], v[106:107]
	ds_load_b128 v[4:7], v2 offset:1248
	ds_load_b128 v[12:15], v2 offset:1264
	v_fma_f64 v[16:17], v[16:17], v[142:143], -v[110:111]
	s_wait_loadcnt_dscnt 0x101
	v_mul_f64_e32 v[2:3], v[4:5], v[148:149]
	v_mul_f64_e32 v[106:107], v[6:7], v[148:149]
	v_add_f64_e32 v[18:19], v[114:115], v[112:113]
	v_add_f64_e32 v[20:21], v[20:21], v[22:23]
	s_wait_loadcnt_dscnt 0x0
	v_mul_f64_e32 v[22:23], v[12:13], v[10:11]
	v_mul_f64_e32 v[10:11], v[14:15], v[10:11]
	v_fmac_f64_e32 v[2:3], v[6:7], v[146:147]
	v_fma_f64 v[4:5], v[4:5], v[146:147], -v[106:107]
	v_add_f64_e32 v[6:7], v[18:19], v[16:17]
	v_add_f64_e32 v[16:17], v[20:21], v[108:109]
	v_fmac_f64_e32 v[22:23], v[14:15], v[8:9]
	v_fma_f64 v[8:9], v[12:13], v[8:9], -v[10:11]
	s_delay_alu instid0(VALU_DEP_4) | instskip(NEXT) | instid1(VALU_DEP_4)
	v_add_f64_e32 v[4:5], v[6:7], v[4:5]
	v_add_f64_e32 v[2:3], v[16:17], v[2:3]
	s_delay_alu instid0(VALU_DEP_2) | instskip(NEXT) | instid1(VALU_DEP_2)
	v_add_f64_e32 v[4:5], v[4:5], v[8:9]
	v_add_f64_e32 v[6:7], v[2:3], v[22:23]
	s_delay_alu instid0(VALU_DEP_2) | instskip(NEXT) | instid1(VALU_DEP_2)
	v_add_f64_e64 v[2:3], v[138:139], -v[4:5]
	v_add_f64_e64 v[4:5], v[140:141], -v[6:7]
	scratch_store_b128 off, v[2:5], off offset:400
	s_wait_xcnt 0x0
	v_cmpx_lt_u32_e32 24, v1
	s_cbranch_execz .LBB103_205
; %bb.204:
	scratch_load_b128 v[2:5], off, s31
	v_mov_b32_e32 v6, 0
	s_delay_alu instid0(VALU_DEP_1)
	v_dual_mov_b32 v7, v6 :: v_dual_mov_b32 v8, v6
	v_mov_b32_e32 v9, v6
	scratch_store_b128 off, v[6:9], off offset:384
	s_wait_loadcnt 0x0
	ds_store_b128 v104, v[2:5]
.LBB103_205:
	s_wait_xcnt 0x0
	s_or_b32 exec_lo, exec_lo, s2
	s_wait_storecnt_dscnt 0x0
	s_barrier_signal -1
	s_barrier_wait -1
	s_clause 0x9
	scratch_load_b128 v[4:7], off, off offset:400
	scratch_load_b128 v[8:11], off, off offset:416
	;; [unrolled: 1-line block ×10, first 2 shown]
	v_mov_b32_e32 v2, 0
	s_mov_b32 s2, exec_lo
	ds_load_b128 v[126:129], v2 offset:1040
	s_clause 0x2
	scratch_load_b128 v[130:133], off, off offset:560
	scratch_load_b128 v[134:137], off, off offset:384
	;; [unrolled: 1-line block ×3, first 2 shown]
	s_wait_loadcnt_dscnt 0xc00
	v_mul_f64_e32 v[146:147], v[128:129], v[6:7]
	v_mul_f64_e32 v[150:151], v[126:127], v[6:7]
	ds_load_b128 v[138:141], v2 offset:1056
	v_fma_f64 v[154:155], v[126:127], v[4:5], -v[146:147]
	v_fmac_f64_e32 v[150:151], v[128:129], v[4:5]
	ds_load_b128 v[4:7], v2 offset:1072
	s_wait_loadcnt_dscnt 0xb01
	v_mul_f64_e32 v[152:153], v[138:139], v[10:11]
	v_mul_f64_e32 v[10:11], v[140:141], v[10:11]
	scratch_load_b128 v[126:129], off, off offset:592
	ds_load_b128 v[146:149], v2 offset:1088
	s_wait_loadcnt_dscnt 0xb01
	v_mul_f64_e32 v[156:157], v[4:5], v[14:15]
	v_mul_f64_e32 v[14:15], v[6:7], v[14:15]
	v_add_f64_e32 v[150:151], 0, v[150:151]
	v_fmac_f64_e32 v[152:153], v[140:141], v[8:9]
	v_fma_f64 v[138:139], v[138:139], v[8:9], -v[10:11]
	v_add_f64_e32 v[140:141], 0, v[154:155]
	scratch_load_b128 v[8:11], off, off offset:608
	v_fmac_f64_e32 v[156:157], v[6:7], v[12:13]
	v_fma_f64 v[158:159], v[4:5], v[12:13], -v[14:15]
	ds_load_b128 v[4:7], v2 offset:1104
	s_wait_loadcnt_dscnt 0xb01
	v_mul_f64_e32 v[154:155], v[146:147], v[18:19]
	v_mul_f64_e32 v[18:19], v[148:149], v[18:19]
	scratch_load_b128 v[12:15], off, off offset:624
	v_add_f64_e32 v[150:151], v[150:151], v[152:153]
	v_add_f64_e32 v[160:161], v[140:141], v[138:139]
	ds_load_b128 v[138:141], v2 offset:1120
	s_wait_loadcnt_dscnt 0xb01
	v_mul_f64_e32 v[152:153], v[4:5], v[22:23]
	v_mul_f64_e32 v[22:23], v[6:7], v[22:23]
	v_fmac_f64_e32 v[154:155], v[148:149], v[16:17]
	v_fma_f64 v[16:17], v[146:147], v[16:17], -v[18:19]
	s_wait_loadcnt_dscnt 0xa00
	v_mul_f64_e32 v[148:149], v[138:139], v[108:109]
	v_mul_f64_e32 v[108:109], v[140:141], v[108:109]
	v_add_f64_e32 v[146:147], v[150:151], v[156:157]
	v_add_f64_e32 v[18:19], v[160:161], v[158:159]
	v_fmac_f64_e32 v[152:153], v[6:7], v[20:21]
	v_fma_f64 v[20:21], v[4:5], v[20:21], -v[22:23]
	v_fmac_f64_e32 v[148:149], v[140:141], v[106:107]
	v_fma_f64 v[106:107], v[138:139], v[106:107], -v[108:109]
	v_add_f64_e32 v[146:147], v[146:147], v[154:155]
	v_add_f64_e32 v[22:23], v[18:19], v[16:17]
	ds_load_b128 v[4:7], v2 offset:1136
	ds_load_b128 v[16:19], v2 offset:1152
	s_wait_loadcnt_dscnt 0x901
	v_mul_f64_e32 v[150:151], v[4:5], v[112:113]
	v_mul_f64_e32 v[112:113], v[6:7], v[112:113]
	s_wait_loadcnt_dscnt 0x800
	v_mul_f64_e32 v[108:109], v[16:17], v[116:117]
	v_mul_f64_e32 v[116:117], v[18:19], v[116:117]
	v_add_f64_e32 v[20:21], v[22:23], v[20:21]
	v_add_f64_e32 v[22:23], v[146:147], v[152:153]
	v_fmac_f64_e32 v[150:151], v[6:7], v[110:111]
	v_fma_f64 v[110:111], v[4:5], v[110:111], -v[112:113]
	v_fmac_f64_e32 v[108:109], v[18:19], v[114:115]
	v_fma_f64 v[16:17], v[16:17], v[114:115], -v[116:117]
	v_add_f64_e32 v[106:107], v[20:21], v[106:107]
	v_add_f64_e32 v[112:113], v[22:23], v[148:149]
	ds_load_b128 v[4:7], v2 offset:1168
	ds_load_b128 v[20:23], v2 offset:1184
	s_wait_loadcnt_dscnt 0x701
	v_mul_f64_e32 v[138:139], v[4:5], v[120:121]
	v_mul_f64_e32 v[120:121], v[6:7], v[120:121]
	v_add_f64_e32 v[18:19], v[106:107], v[110:111]
	v_add_f64_e32 v[106:107], v[112:113], v[150:151]
	s_wait_loadcnt_dscnt 0x600
	v_mul_f64_e32 v[110:111], v[20:21], v[124:125]
	v_mul_f64_e32 v[112:113], v[22:23], v[124:125]
	v_fmac_f64_e32 v[138:139], v[6:7], v[118:119]
	v_fma_f64 v[114:115], v[4:5], v[118:119], -v[120:121]
	v_add_f64_e32 v[116:117], v[18:19], v[16:17]
	v_add_f64_e32 v[106:107], v[106:107], v[108:109]
	ds_load_b128 v[4:7], v2 offset:1200
	ds_load_b128 v[16:19], v2 offset:1216
	v_fmac_f64_e32 v[110:111], v[22:23], v[122:123]
	v_fma_f64 v[20:21], v[20:21], v[122:123], -v[112:113]
	s_wait_loadcnt_dscnt 0x501
	v_mul_f64_e32 v[108:109], v[4:5], v[132:133]
	v_mul_f64_e32 v[118:119], v[6:7], v[132:133]
	s_wait_loadcnt_dscnt 0x300
	v_mul_f64_e32 v[112:113], v[16:17], v[144:145]
	v_add_f64_e32 v[22:23], v[116:117], v[114:115]
	v_add_f64_e32 v[106:107], v[106:107], v[138:139]
	v_mul_f64_e32 v[114:115], v[18:19], v[144:145]
	v_fmac_f64_e32 v[108:109], v[6:7], v[130:131]
	v_fma_f64 v[116:117], v[4:5], v[130:131], -v[118:119]
	v_fmac_f64_e32 v[112:113], v[18:19], v[142:143]
	v_add_f64_e32 v[118:119], v[22:23], v[20:21]
	v_add_f64_e32 v[106:107], v[106:107], v[110:111]
	ds_load_b128 v[4:7], v2 offset:1232
	ds_load_b128 v[20:23], v2 offset:1248
	v_fma_f64 v[16:17], v[16:17], v[142:143], -v[114:115]
	s_wait_loadcnt_dscnt 0x201
	v_mul_f64_e32 v[110:111], v[4:5], v[128:129]
	v_mul_f64_e32 v[120:121], v[6:7], v[128:129]
	v_add_f64_e32 v[18:19], v[118:119], v[116:117]
	v_add_f64_e32 v[106:107], v[106:107], v[108:109]
	s_wait_loadcnt_dscnt 0x100
	v_mul_f64_e32 v[108:109], v[20:21], v[10:11]
	v_mul_f64_e32 v[10:11], v[22:23], v[10:11]
	v_fmac_f64_e32 v[110:111], v[6:7], v[126:127]
	v_fma_f64 v[114:115], v[4:5], v[126:127], -v[120:121]
	ds_load_b128 v[4:7], v2 offset:1264
	v_add_f64_e32 v[16:17], v[18:19], v[16:17]
	v_add_f64_e32 v[18:19], v[106:107], v[112:113]
	v_fmac_f64_e32 v[108:109], v[22:23], v[8:9]
	v_fma_f64 v[8:9], v[20:21], v[8:9], -v[10:11]
	s_wait_loadcnt_dscnt 0x0
	v_mul_f64_e32 v[106:107], v[4:5], v[14:15]
	v_mul_f64_e32 v[14:15], v[6:7], v[14:15]
	v_add_f64_e32 v[10:11], v[16:17], v[114:115]
	v_add_f64_e32 v[16:17], v[18:19], v[110:111]
	s_delay_alu instid0(VALU_DEP_4) | instskip(NEXT) | instid1(VALU_DEP_4)
	v_fmac_f64_e32 v[106:107], v[6:7], v[12:13]
	v_fma_f64 v[4:5], v[4:5], v[12:13], -v[14:15]
	s_delay_alu instid0(VALU_DEP_4) | instskip(NEXT) | instid1(VALU_DEP_4)
	v_add_f64_e32 v[6:7], v[10:11], v[8:9]
	v_add_f64_e32 v[8:9], v[16:17], v[108:109]
	s_delay_alu instid0(VALU_DEP_2) | instskip(NEXT) | instid1(VALU_DEP_2)
	v_add_f64_e32 v[4:5], v[6:7], v[4:5]
	v_add_f64_e32 v[6:7], v[8:9], v[106:107]
	s_delay_alu instid0(VALU_DEP_2) | instskip(NEXT) | instid1(VALU_DEP_2)
	v_add_f64_e64 v[4:5], v[134:135], -v[4:5]
	v_add_f64_e64 v[6:7], v[136:137], -v[6:7]
	scratch_store_b128 off, v[4:7], off offset:384
	s_wait_xcnt 0x0
	v_cmpx_lt_u32_e32 23, v1
	s_cbranch_execz .LBB103_207
; %bb.206:
	scratch_load_b128 v[6:9], off, s33
	v_dual_mov_b32 v3, v2 :: v_dual_mov_b32 v4, v2
	v_mov_b32_e32 v5, v2
	scratch_store_b128 off, v[2:5], off offset:368
	s_wait_loadcnt 0x0
	ds_store_b128 v104, v[6:9]
.LBB103_207:
	s_wait_xcnt 0x0
	s_or_b32 exec_lo, exec_lo, s2
	s_wait_storecnt_dscnt 0x0
	s_barrier_signal -1
	s_barrier_wait -1
	s_clause 0x9
	scratch_load_b128 v[4:7], off, off offset:384
	scratch_load_b128 v[8:11], off, off offset:400
	;; [unrolled: 1-line block ×10, first 2 shown]
	ds_load_b128 v[126:129], v2 offset:1024
	ds_load_b128 v[134:137], v2 offset:1040
	s_clause 0x2
	scratch_load_b128 v[130:133], off, off offset:544
	scratch_load_b128 v[138:141], off, off offset:368
	;; [unrolled: 1-line block ×3, first 2 shown]
	s_mov_b32 s2, exec_lo
	s_wait_loadcnt_dscnt 0xc01
	v_mul_f64_e32 v[146:147], v[128:129], v[6:7]
	v_mul_f64_e32 v[150:151], v[126:127], v[6:7]
	s_wait_loadcnt_dscnt 0xb00
	v_mul_f64_e32 v[152:153], v[134:135], v[10:11]
	v_mul_f64_e32 v[10:11], v[136:137], v[10:11]
	s_delay_alu instid0(VALU_DEP_4) | instskip(NEXT) | instid1(VALU_DEP_4)
	v_fma_f64 v[154:155], v[126:127], v[4:5], -v[146:147]
	v_fmac_f64_e32 v[150:151], v[128:129], v[4:5]
	ds_load_b128 v[4:7], v2 offset:1056
	ds_load_b128 v[126:129], v2 offset:1072
	scratch_load_b128 v[146:149], off, off offset:576
	v_fmac_f64_e32 v[152:153], v[136:137], v[8:9]
	v_fma_f64 v[134:135], v[134:135], v[8:9], -v[10:11]
	scratch_load_b128 v[8:11], off, off offset:592
	s_wait_loadcnt_dscnt 0xc01
	v_mul_f64_e32 v[156:157], v[4:5], v[14:15]
	v_mul_f64_e32 v[14:15], v[6:7], v[14:15]
	v_add_f64_e32 v[136:137], 0, v[154:155]
	v_add_f64_e32 v[150:151], 0, v[150:151]
	s_wait_loadcnt_dscnt 0xb00
	v_mul_f64_e32 v[154:155], v[126:127], v[18:19]
	v_mul_f64_e32 v[18:19], v[128:129], v[18:19]
	v_fmac_f64_e32 v[156:157], v[6:7], v[12:13]
	v_fma_f64 v[158:159], v[4:5], v[12:13], -v[14:15]
	ds_load_b128 v[4:7], v2 offset:1088
	ds_load_b128 v[12:15], v2 offset:1104
	v_add_f64_e32 v[160:161], v[136:137], v[134:135]
	v_add_f64_e32 v[150:151], v[150:151], v[152:153]
	scratch_load_b128 v[134:137], off, off offset:608
	v_fmac_f64_e32 v[154:155], v[128:129], v[16:17]
	v_fma_f64 v[126:127], v[126:127], v[16:17], -v[18:19]
	scratch_load_b128 v[16:19], off, off offset:624
	s_wait_loadcnt_dscnt 0xc01
	v_mul_f64_e32 v[152:153], v[4:5], v[22:23]
	v_mul_f64_e32 v[22:23], v[6:7], v[22:23]
	v_add_f64_e32 v[128:129], v[160:161], v[158:159]
	v_add_f64_e32 v[150:151], v[150:151], v[156:157]
	s_wait_loadcnt_dscnt 0xb00
	v_mul_f64_e32 v[156:157], v[12:13], v[108:109]
	v_mul_f64_e32 v[108:109], v[14:15], v[108:109]
	v_fmac_f64_e32 v[152:153], v[6:7], v[20:21]
	v_fma_f64 v[158:159], v[4:5], v[20:21], -v[22:23]
	ds_load_b128 v[4:7], v2 offset:1120
	ds_load_b128 v[20:23], v2 offset:1136
	v_add_f64_e32 v[126:127], v[128:129], v[126:127]
	v_add_f64_e32 v[128:129], v[150:151], v[154:155]
	s_wait_loadcnt_dscnt 0xa01
	v_mul_f64_e32 v[150:151], v[4:5], v[112:113]
	v_mul_f64_e32 v[112:113], v[6:7], v[112:113]
	v_fmac_f64_e32 v[156:157], v[14:15], v[106:107]
	v_fma_f64 v[12:13], v[12:13], v[106:107], -v[108:109]
	s_wait_loadcnt_dscnt 0x900
	v_mul_f64_e32 v[108:109], v[20:21], v[116:117]
	v_mul_f64_e32 v[116:117], v[22:23], v[116:117]
	v_add_f64_e32 v[14:15], v[126:127], v[158:159]
	v_add_f64_e32 v[106:107], v[128:129], v[152:153]
	v_fmac_f64_e32 v[150:151], v[6:7], v[110:111]
	v_fma_f64 v[110:111], v[4:5], v[110:111], -v[112:113]
	v_fmac_f64_e32 v[108:109], v[22:23], v[114:115]
	v_fma_f64 v[20:21], v[20:21], v[114:115], -v[116:117]
	v_add_f64_e32 v[112:113], v[14:15], v[12:13]
	v_add_f64_e32 v[106:107], v[106:107], v[156:157]
	ds_load_b128 v[4:7], v2 offset:1152
	ds_load_b128 v[12:15], v2 offset:1168
	s_wait_loadcnt_dscnt 0x801
	v_mul_f64_e32 v[126:127], v[4:5], v[120:121]
	v_mul_f64_e32 v[120:121], v[6:7], v[120:121]
	v_add_f64_e32 v[22:23], v[112:113], v[110:111]
	v_add_f64_e32 v[106:107], v[106:107], v[150:151]
	s_wait_loadcnt_dscnt 0x700
	v_mul_f64_e32 v[110:111], v[12:13], v[124:125]
	v_mul_f64_e32 v[112:113], v[14:15], v[124:125]
	v_fmac_f64_e32 v[126:127], v[6:7], v[118:119]
	v_fma_f64 v[114:115], v[4:5], v[118:119], -v[120:121]
	v_add_f64_e32 v[116:117], v[22:23], v[20:21]
	v_add_f64_e32 v[106:107], v[106:107], v[108:109]
	ds_load_b128 v[4:7], v2 offset:1184
	ds_load_b128 v[20:23], v2 offset:1200
	v_fmac_f64_e32 v[110:111], v[14:15], v[122:123]
	v_fma_f64 v[12:13], v[12:13], v[122:123], -v[112:113]
	s_wait_loadcnt_dscnt 0x601
	v_mul_f64_e32 v[108:109], v[4:5], v[132:133]
	v_mul_f64_e32 v[118:119], v[6:7], v[132:133]
	s_wait_loadcnt_dscnt 0x400
	v_mul_f64_e32 v[112:113], v[20:21], v[144:145]
	v_add_f64_e32 v[14:15], v[116:117], v[114:115]
	v_add_f64_e32 v[106:107], v[106:107], v[126:127]
	v_mul_f64_e32 v[114:115], v[22:23], v[144:145]
	v_fmac_f64_e32 v[108:109], v[6:7], v[130:131]
	v_fma_f64 v[116:117], v[4:5], v[130:131], -v[118:119]
	v_fmac_f64_e32 v[112:113], v[22:23], v[142:143]
	v_add_f64_e32 v[118:119], v[14:15], v[12:13]
	v_add_f64_e32 v[106:107], v[106:107], v[110:111]
	ds_load_b128 v[4:7], v2 offset:1216
	ds_load_b128 v[12:15], v2 offset:1232
	v_fma_f64 v[20:21], v[20:21], v[142:143], -v[114:115]
	s_wait_loadcnt_dscnt 0x301
	v_mul_f64_e32 v[110:111], v[4:5], v[148:149]
	v_mul_f64_e32 v[120:121], v[6:7], v[148:149]
	v_add_f64_e32 v[22:23], v[118:119], v[116:117]
	v_add_f64_e32 v[106:107], v[106:107], v[108:109]
	s_wait_loadcnt_dscnt 0x200
	v_mul_f64_e32 v[108:109], v[12:13], v[10:11]
	v_mul_f64_e32 v[10:11], v[14:15], v[10:11]
	v_fmac_f64_e32 v[110:111], v[6:7], v[146:147]
	v_fma_f64 v[114:115], v[4:5], v[146:147], -v[120:121]
	v_add_f64_e32 v[116:117], v[22:23], v[20:21]
	v_add_f64_e32 v[106:107], v[106:107], v[112:113]
	ds_load_b128 v[4:7], v2 offset:1248
	ds_load_b128 v[20:23], v2 offset:1264
	v_fmac_f64_e32 v[108:109], v[14:15], v[8:9]
	v_fma_f64 v[8:9], v[12:13], v[8:9], -v[10:11]
	s_wait_loadcnt_dscnt 0x101
	v_mul_f64_e32 v[2:3], v[4:5], v[136:137]
	v_mul_f64_e32 v[112:113], v[6:7], v[136:137]
	s_wait_loadcnt_dscnt 0x0
	v_mul_f64_e32 v[14:15], v[20:21], v[18:19]
	v_mul_f64_e32 v[18:19], v[22:23], v[18:19]
	v_add_f64_e32 v[10:11], v[116:117], v[114:115]
	v_add_f64_e32 v[12:13], v[106:107], v[110:111]
	v_fmac_f64_e32 v[2:3], v[6:7], v[134:135]
	v_fma_f64 v[4:5], v[4:5], v[134:135], -v[112:113]
	v_fmac_f64_e32 v[14:15], v[22:23], v[16:17]
	v_add_f64_e32 v[6:7], v[10:11], v[8:9]
	v_add_f64_e32 v[8:9], v[12:13], v[108:109]
	v_fma_f64 v[10:11], v[20:21], v[16:17], -v[18:19]
	s_delay_alu instid0(VALU_DEP_3) | instskip(NEXT) | instid1(VALU_DEP_3)
	v_add_f64_e32 v[4:5], v[6:7], v[4:5]
	v_add_f64_e32 v[2:3], v[8:9], v[2:3]
	s_delay_alu instid0(VALU_DEP_2) | instskip(NEXT) | instid1(VALU_DEP_2)
	v_add_f64_e32 v[4:5], v[4:5], v[10:11]
	v_add_f64_e32 v[6:7], v[2:3], v[14:15]
	s_delay_alu instid0(VALU_DEP_2) | instskip(NEXT) | instid1(VALU_DEP_2)
	v_add_f64_e64 v[2:3], v[138:139], -v[4:5]
	v_add_f64_e64 v[4:5], v[140:141], -v[6:7]
	scratch_store_b128 off, v[2:5], off offset:368
	s_wait_xcnt 0x0
	v_cmpx_lt_u32_e32 22, v1
	s_cbranch_execz .LBB103_209
; %bb.208:
	scratch_load_b128 v[2:5], off, s34
	v_mov_b32_e32 v6, 0
	s_delay_alu instid0(VALU_DEP_1)
	v_dual_mov_b32 v7, v6 :: v_dual_mov_b32 v8, v6
	v_mov_b32_e32 v9, v6
	scratch_store_b128 off, v[6:9], off offset:352
	s_wait_loadcnt 0x0
	ds_store_b128 v104, v[2:5]
.LBB103_209:
	s_wait_xcnt 0x0
	s_or_b32 exec_lo, exec_lo, s2
	s_wait_storecnt_dscnt 0x0
	s_barrier_signal -1
	s_barrier_wait -1
	s_clause 0x9
	scratch_load_b128 v[4:7], off, off offset:368
	scratch_load_b128 v[8:11], off, off offset:384
	;; [unrolled: 1-line block ×10, first 2 shown]
	v_mov_b32_e32 v2, 0
	s_mov_b32 s2, exec_lo
	ds_load_b128 v[126:129], v2 offset:1008
	s_clause 0x2
	scratch_load_b128 v[130:133], off, off offset:528
	scratch_load_b128 v[134:137], off, off offset:352
	;; [unrolled: 1-line block ×3, first 2 shown]
	s_wait_loadcnt_dscnt 0xc00
	v_mul_f64_e32 v[146:147], v[128:129], v[6:7]
	v_mul_f64_e32 v[150:151], v[126:127], v[6:7]
	ds_load_b128 v[138:141], v2 offset:1024
	v_fma_f64 v[154:155], v[126:127], v[4:5], -v[146:147]
	v_fmac_f64_e32 v[150:151], v[128:129], v[4:5]
	ds_load_b128 v[4:7], v2 offset:1040
	s_wait_loadcnt_dscnt 0xb01
	v_mul_f64_e32 v[152:153], v[138:139], v[10:11]
	v_mul_f64_e32 v[10:11], v[140:141], v[10:11]
	scratch_load_b128 v[126:129], off, off offset:560
	ds_load_b128 v[146:149], v2 offset:1056
	s_wait_loadcnt_dscnt 0xb01
	v_mul_f64_e32 v[156:157], v[4:5], v[14:15]
	v_mul_f64_e32 v[14:15], v[6:7], v[14:15]
	v_add_f64_e32 v[150:151], 0, v[150:151]
	v_fmac_f64_e32 v[152:153], v[140:141], v[8:9]
	v_fma_f64 v[138:139], v[138:139], v[8:9], -v[10:11]
	v_add_f64_e32 v[140:141], 0, v[154:155]
	scratch_load_b128 v[8:11], off, off offset:576
	v_fmac_f64_e32 v[156:157], v[6:7], v[12:13]
	v_fma_f64 v[158:159], v[4:5], v[12:13], -v[14:15]
	ds_load_b128 v[4:7], v2 offset:1072
	s_wait_loadcnt_dscnt 0xb01
	v_mul_f64_e32 v[154:155], v[146:147], v[18:19]
	v_mul_f64_e32 v[18:19], v[148:149], v[18:19]
	scratch_load_b128 v[12:15], off, off offset:592
	v_add_f64_e32 v[150:151], v[150:151], v[152:153]
	v_add_f64_e32 v[160:161], v[140:141], v[138:139]
	ds_load_b128 v[138:141], v2 offset:1088
	s_wait_loadcnt_dscnt 0xb01
	v_mul_f64_e32 v[152:153], v[4:5], v[22:23]
	v_mul_f64_e32 v[22:23], v[6:7], v[22:23]
	v_fmac_f64_e32 v[154:155], v[148:149], v[16:17]
	v_fma_f64 v[146:147], v[146:147], v[16:17], -v[18:19]
	scratch_load_b128 v[16:19], off, off offset:608
	v_add_f64_e32 v[150:151], v[150:151], v[156:157]
	v_add_f64_e32 v[148:149], v[160:161], v[158:159]
	v_fmac_f64_e32 v[152:153], v[6:7], v[20:21]
	v_fma_f64 v[158:159], v[4:5], v[20:21], -v[22:23]
	ds_load_b128 v[4:7], v2 offset:1104
	s_wait_loadcnt_dscnt 0xb01
	v_mul_f64_e32 v[156:157], v[138:139], v[108:109]
	v_mul_f64_e32 v[108:109], v[140:141], v[108:109]
	scratch_load_b128 v[20:23], off, off offset:624
	v_add_f64_e32 v[150:151], v[150:151], v[154:155]
	s_wait_loadcnt_dscnt 0xb00
	v_mul_f64_e32 v[154:155], v[4:5], v[112:113]
	v_add_f64_e32 v[160:161], v[148:149], v[146:147]
	v_mul_f64_e32 v[112:113], v[6:7], v[112:113]
	ds_load_b128 v[146:149], v2 offset:1120
	v_fmac_f64_e32 v[156:157], v[140:141], v[106:107]
	v_fma_f64 v[106:107], v[138:139], v[106:107], -v[108:109]
	s_wait_loadcnt_dscnt 0xa00
	v_mul_f64_e32 v[140:141], v[146:147], v[116:117]
	v_mul_f64_e32 v[116:117], v[148:149], v[116:117]
	v_add_f64_e32 v[138:139], v[150:151], v[152:153]
	v_fmac_f64_e32 v[154:155], v[6:7], v[110:111]
	v_add_f64_e32 v[108:109], v[160:161], v[158:159]
	v_fma_f64 v[110:111], v[4:5], v[110:111], -v[112:113]
	v_fmac_f64_e32 v[140:141], v[148:149], v[114:115]
	v_fma_f64 v[114:115], v[146:147], v[114:115], -v[116:117]
	v_add_f64_e32 v[138:139], v[138:139], v[156:157]
	v_add_f64_e32 v[112:113], v[108:109], v[106:107]
	ds_load_b128 v[4:7], v2 offset:1136
	ds_load_b128 v[106:109], v2 offset:1152
	s_wait_loadcnt_dscnt 0x901
	v_mul_f64_e32 v[150:151], v[4:5], v[120:121]
	v_mul_f64_e32 v[120:121], v[6:7], v[120:121]
	s_wait_loadcnt_dscnt 0x800
	v_mul_f64_e32 v[116:117], v[106:107], v[124:125]
	v_mul_f64_e32 v[124:125], v[108:109], v[124:125]
	v_add_f64_e32 v[110:111], v[112:113], v[110:111]
	v_add_f64_e32 v[112:113], v[138:139], v[154:155]
	v_fmac_f64_e32 v[150:151], v[6:7], v[118:119]
	v_fma_f64 v[118:119], v[4:5], v[118:119], -v[120:121]
	v_fmac_f64_e32 v[116:117], v[108:109], v[122:123]
	v_fma_f64 v[106:107], v[106:107], v[122:123], -v[124:125]
	v_add_f64_e32 v[114:115], v[110:111], v[114:115]
	v_add_f64_e32 v[120:121], v[112:113], v[140:141]
	ds_load_b128 v[4:7], v2 offset:1168
	ds_load_b128 v[110:113], v2 offset:1184
	s_wait_loadcnt_dscnt 0x701
	v_mul_f64_e32 v[138:139], v[4:5], v[132:133]
	v_mul_f64_e32 v[132:133], v[6:7], v[132:133]
	v_add_f64_e32 v[108:109], v[114:115], v[118:119]
	v_add_f64_e32 v[114:115], v[120:121], v[150:151]
	s_wait_loadcnt_dscnt 0x500
	v_mul_f64_e32 v[118:119], v[110:111], v[144:145]
	v_mul_f64_e32 v[120:121], v[112:113], v[144:145]
	v_fmac_f64_e32 v[138:139], v[6:7], v[130:131]
	v_fma_f64 v[122:123], v[4:5], v[130:131], -v[132:133]
	v_add_f64_e32 v[124:125], v[108:109], v[106:107]
	v_add_f64_e32 v[114:115], v[114:115], v[116:117]
	ds_load_b128 v[4:7], v2 offset:1200
	ds_load_b128 v[106:109], v2 offset:1216
	v_fmac_f64_e32 v[118:119], v[112:113], v[142:143]
	v_fma_f64 v[110:111], v[110:111], v[142:143], -v[120:121]
	s_wait_loadcnt_dscnt 0x401
	v_mul_f64_e32 v[116:117], v[4:5], v[128:129]
	v_mul_f64_e32 v[128:129], v[6:7], v[128:129]
	v_add_f64_e32 v[112:113], v[124:125], v[122:123]
	v_add_f64_e32 v[114:115], v[114:115], v[138:139]
	s_wait_loadcnt_dscnt 0x300
	v_mul_f64_e32 v[120:121], v[106:107], v[10:11]
	v_mul_f64_e32 v[10:11], v[108:109], v[10:11]
	v_fmac_f64_e32 v[116:117], v[6:7], v[126:127]
	v_fma_f64 v[122:123], v[4:5], v[126:127], -v[128:129]
	v_add_f64_e32 v[124:125], v[112:113], v[110:111]
	v_add_f64_e32 v[114:115], v[114:115], v[118:119]
	ds_load_b128 v[4:7], v2 offset:1232
	ds_load_b128 v[110:113], v2 offset:1248
	v_fmac_f64_e32 v[120:121], v[108:109], v[8:9]
	v_fma_f64 v[8:9], v[106:107], v[8:9], -v[10:11]
	s_wait_loadcnt_dscnt 0x201
	v_mul_f64_e32 v[118:119], v[4:5], v[14:15]
	v_mul_f64_e32 v[14:15], v[6:7], v[14:15]
	s_wait_loadcnt_dscnt 0x100
	v_mul_f64_e32 v[108:109], v[110:111], v[18:19]
	v_mul_f64_e32 v[18:19], v[112:113], v[18:19]
	v_add_f64_e32 v[10:11], v[124:125], v[122:123]
	v_add_f64_e32 v[106:107], v[114:115], v[116:117]
	v_fmac_f64_e32 v[118:119], v[6:7], v[12:13]
	v_fma_f64 v[12:13], v[4:5], v[12:13], -v[14:15]
	ds_load_b128 v[4:7], v2 offset:1264
	v_fmac_f64_e32 v[108:109], v[112:113], v[16:17]
	v_fma_f64 v[16:17], v[110:111], v[16:17], -v[18:19]
	v_add_f64_e32 v[8:9], v[10:11], v[8:9]
	v_add_f64_e32 v[10:11], v[106:107], v[120:121]
	s_wait_loadcnt_dscnt 0x0
	v_mul_f64_e32 v[14:15], v[4:5], v[22:23]
	v_mul_f64_e32 v[22:23], v[6:7], v[22:23]
	s_delay_alu instid0(VALU_DEP_4) | instskip(NEXT) | instid1(VALU_DEP_4)
	v_add_f64_e32 v[8:9], v[8:9], v[12:13]
	v_add_f64_e32 v[10:11], v[10:11], v[118:119]
	s_delay_alu instid0(VALU_DEP_4) | instskip(NEXT) | instid1(VALU_DEP_4)
	v_fmac_f64_e32 v[14:15], v[6:7], v[20:21]
	v_fma_f64 v[4:5], v[4:5], v[20:21], -v[22:23]
	s_delay_alu instid0(VALU_DEP_4) | instskip(NEXT) | instid1(VALU_DEP_4)
	v_add_f64_e32 v[6:7], v[8:9], v[16:17]
	v_add_f64_e32 v[8:9], v[10:11], v[108:109]
	s_delay_alu instid0(VALU_DEP_2) | instskip(NEXT) | instid1(VALU_DEP_2)
	v_add_f64_e32 v[4:5], v[6:7], v[4:5]
	v_add_f64_e32 v[6:7], v[8:9], v[14:15]
	s_delay_alu instid0(VALU_DEP_2) | instskip(NEXT) | instid1(VALU_DEP_2)
	v_add_f64_e64 v[4:5], v[134:135], -v[4:5]
	v_add_f64_e64 v[6:7], v[136:137], -v[6:7]
	scratch_store_b128 off, v[4:7], off offset:352
	s_wait_xcnt 0x0
	v_cmpx_lt_u32_e32 21, v1
	s_cbranch_execz .LBB103_211
; %bb.210:
	scratch_load_b128 v[6:9], off, s35
	v_dual_mov_b32 v3, v2 :: v_dual_mov_b32 v4, v2
	v_mov_b32_e32 v5, v2
	scratch_store_b128 off, v[2:5], off offset:336
	s_wait_loadcnt 0x0
	ds_store_b128 v104, v[6:9]
.LBB103_211:
	s_wait_xcnt 0x0
	s_or_b32 exec_lo, exec_lo, s2
	s_wait_storecnt_dscnt 0x0
	s_barrier_signal -1
	s_barrier_wait -1
	s_clause 0x9
	scratch_load_b128 v[4:7], off, off offset:352
	scratch_load_b128 v[8:11], off, off offset:368
	;; [unrolled: 1-line block ×10, first 2 shown]
	ds_load_b128 v[126:129], v2 offset:992
	ds_load_b128 v[134:137], v2 offset:1008
	s_clause 0x2
	scratch_load_b128 v[130:133], off, off offset:512
	scratch_load_b128 v[138:141], off, off offset:336
	;; [unrolled: 1-line block ×3, first 2 shown]
	s_mov_b32 s2, exec_lo
	s_wait_loadcnt_dscnt 0xc01
	v_mul_f64_e32 v[146:147], v[128:129], v[6:7]
	v_mul_f64_e32 v[150:151], v[126:127], v[6:7]
	s_wait_loadcnt_dscnt 0xb00
	v_mul_f64_e32 v[152:153], v[134:135], v[10:11]
	v_mul_f64_e32 v[10:11], v[136:137], v[10:11]
	s_delay_alu instid0(VALU_DEP_4) | instskip(NEXT) | instid1(VALU_DEP_4)
	v_fma_f64 v[154:155], v[126:127], v[4:5], -v[146:147]
	v_fmac_f64_e32 v[150:151], v[128:129], v[4:5]
	ds_load_b128 v[4:7], v2 offset:1024
	ds_load_b128 v[126:129], v2 offset:1040
	scratch_load_b128 v[146:149], off, off offset:544
	v_fmac_f64_e32 v[152:153], v[136:137], v[8:9]
	v_fma_f64 v[134:135], v[134:135], v[8:9], -v[10:11]
	scratch_load_b128 v[8:11], off, off offset:560
	s_wait_loadcnt_dscnt 0xc01
	v_mul_f64_e32 v[156:157], v[4:5], v[14:15]
	v_mul_f64_e32 v[14:15], v[6:7], v[14:15]
	v_add_f64_e32 v[136:137], 0, v[154:155]
	v_add_f64_e32 v[150:151], 0, v[150:151]
	s_wait_loadcnt_dscnt 0xb00
	v_mul_f64_e32 v[154:155], v[126:127], v[18:19]
	v_mul_f64_e32 v[18:19], v[128:129], v[18:19]
	v_fmac_f64_e32 v[156:157], v[6:7], v[12:13]
	v_fma_f64 v[158:159], v[4:5], v[12:13], -v[14:15]
	ds_load_b128 v[4:7], v2 offset:1056
	ds_load_b128 v[12:15], v2 offset:1072
	v_add_f64_e32 v[160:161], v[136:137], v[134:135]
	v_add_f64_e32 v[150:151], v[150:151], v[152:153]
	scratch_load_b128 v[134:137], off, off offset:576
	v_fmac_f64_e32 v[154:155], v[128:129], v[16:17]
	v_fma_f64 v[126:127], v[126:127], v[16:17], -v[18:19]
	scratch_load_b128 v[16:19], off, off offset:592
	s_wait_loadcnt_dscnt 0xc01
	v_mul_f64_e32 v[152:153], v[4:5], v[22:23]
	v_mul_f64_e32 v[22:23], v[6:7], v[22:23]
	v_add_f64_e32 v[128:129], v[160:161], v[158:159]
	v_add_f64_e32 v[150:151], v[150:151], v[156:157]
	s_wait_loadcnt_dscnt 0xb00
	v_mul_f64_e32 v[156:157], v[12:13], v[108:109]
	v_mul_f64_e32 v[108:109], v[14:15], v[108:109]
	v_fmac_f64_e32 v[152:153], v[6:7], v[20:21]
	v_fma_f64 v[158:159], v[4:5], v[20:21], -v[22:23]
	ds_load_b128 v[4:7], v2 offset:1088
	ds_load_b128 v[20:23], v2 offset:1104
	v_add_f64_e32 v[160:161], v[128:129], v[126:127]
	v_add_f64_e32 v[150:151], v[150:151], v[154:155]
	scratch_load_b128 v[126:129], off, off offset:608
	s_wait_loadcnt_dscnt 0xb01
	v_mul_f64_e32 v[154:155], v[4:5], v[112:113]
	v_mul_f64_e32 v[112:113], v[6:7], v[112:113]
	v_fmac_f64_e32 v[156:157], v[14:15], v[106:107]
	v_fma_f64 v[106:107], v[12:13], v[106:107], -v[108:109]
	scratch_load_b128 v[12:15], off, off offset:624
	v_add_f64_e32 v[108:109], v[160:161], v[158:159]
	v_add_f64_e32 v[150:151], v[150:151], v[152:153]
	s_wait_loadcnt_dscnt 0xb00
	v_mul_f64_e32 v[152:153], v[20:21], v[116:117]
	v_mul_f64_e32 v[116:117], v[22:23], v[116:117]
	v_fmac_f64_e32 v[154:155], v[6:7], v[110:111]
	v_fma_f64 v[110:111], v[4:5], v[110:111], -v[112:113]
	v_add_f64_e32 v[112:113], v[108:109], v[106:107]
	v_add_f64_e32 v[150:151], v[150:151], v[156:157]
	ds_load_b128 v[4:7], v2 offset:1120
	ds_load_b128 v[106:109], v2 offset:1136
	v_fmac_f64_e32 v[152:153], v[22:23], v[114:115]
	v_fma_f64 v[20:21], v[20:21], v[114:115], -v[116:117]
	s_wait_loadcnt_dscnt 0xa01
	v_mul_f64_e32 v[156:157], v[4:5], v[120:121]
	v_mul_f64_e32 v[120:121], v[6:7], v[120:121]
	s_wait_loadcnt_dscnt 0x900
	v_mul_f64_e32 v[114:115], v[108:109], v[124:125]
	v_add_f64_e32 v[22:23], v[112:113], v[110:111]
	v_add_f64_e32 v[110:111], v[150:151], v[154:155]
	v_mul_f64_e32 v[112:113], v[106:107], v[124:125]
	v_fmac_f64_e32 v[156:157], v[6:7], v[118:119]
	v_fma_f64 v[116:117], v[4:5], v[118:119], -v[120:121]
	v_fma_f64 v[106:107], v[106:107], v[122:123], -v[114:115]
	v_add_f64_e32 v[118:119], v[22:23], v[20:21]
	v_add_f64_e32 v[110:111], v[110:111], v[152:153]
	ds_load_b128 v[4:7], v2 offset:1152
	ds_load_b128 v[20:23], v2 offset:1168
	v_fmac_f64_e32 v[112:113], v[108:109], v[122:123]
	s_wait_loadcnt_dscnt 0x801
	v_mul_f64_e32 v[120:121], v[4:5], v[132:133]
	v_mul_f64_e32 v[124:125], v[6:7], v[132:133]
	s_wait_loadcnt_dscnt 0x600
	v_mul_f64_e32 v[114:115], v[20:21], v[144:145]
	v_add_f64_e32 v[108:109], v[118:119], v[116:117]
	v_add_f64_e32 v[110:111], v[110:111], v[156:157]
	v_mul_f64_e32 v[116:117], v[22:23], v[144:145]
	v_fmac_f64_e32 v[120:121], v[6:7], v[130:131]
	v_fma_f64 v[118:119], v[4:5], v[130:131], -v[124:125]
	v_fmac_f64_e32 v[114:115], v[22:23], v[142:143]
	v_add_f64_e32 v[122:123], v[108:109], v[106:107]
	v_add_f64_e32 v[110:111], v[110:111], v[112:113]
	ds_load_b128 v[4:7], v2 offset:1184
	ds_load_b128 v[106:109], v2 offset:1200
	v_fma_f64 v[20:21], v[20:21], v[142:143], -v[116:117]
	s_wait_loadcnt_dscnt 0x501
	v_mul_f64_e32 v[112:113], v[4:5], v[148:149]
	v_mul_f64_e32 v[124:125], v[6:7], v[148:149]
	s_wait_loadcnt_dscnt 0x400
	v_mul_f64_e32 v[116:117], v[106:107], v[10:11]
	v_mul_f64_e32 v[10:11], v[108:109], v[10:11]
	v_add_f64_e32 v[22:23], v[122:123], v[118:119]
	v_add_f64_e32 v[110:111], v[110:111], v[120:121]
	v_fmac_f64_e32 v[112:113], v[6:7], v[146:147]
	v_fma_f64 v[118:119], v[4:5], v[146:147], -v[124:125]
	v_fmac_f64_e32 v[116:117], v[108:109], v[8:9]
	v_fma_f64 v[8:9], v[106:107], v[8:9], -v[10:11]
	v_add_f64_e32 v[120:121], v[22:23], v[20:21]
	v_add_f64_e32 v[110:111], v[110:111], v[114:115]
	ds_load_b128 v[4:7], v2 offset:1216
	ds_load_b128 v[20:23], v2 offset:1232
	s_wait_loadcnt_dscnt 0x301
	v_mul_f64_e32 v[114:115], v[4:5], v[136:137]
	v_mul_f64_e32 v[122:123], v[6:7], v[136:137]
	s_wait_loadcnt_dscnt 0x200
	v_mul_f64_e32 v[108:109], v[20:21], v[18:19]
	v_mul_f64_e32 v[18:19], v[22:23], v[18:19]
	v_add_f64_e32 v[10:11], v[120:121], v[118:119]
	v_add_f64_e32 v[106:107], v[110:111], v[112:113]
	v_fmac_f64_e32 v[114:115], v[6:7], v[134:135]
	v_fma_f64 v[110:111], v[4:5], v[134:135], -v[122:123]
	v_fmac_f64_e32 v[108:109], v[22:23], v[16:17]
	v_fma_f64 v[16:17], v[20:21], v[16:17], -v[18:19]
	v_add_f64_e32 v[112:113], v[10:11], v[8:9]
	v_add_f64_e32 v[106:107], v[106:107], v[116:117]
	ds_load_b128 v[4:7], v2 offset:1248
	ds_load_b128 v[8:11], v2 offset:1264
	s_wait_loadcnt_dscnt 0x101
	v_mul_f64_e32 v[2:3], v[4:5], v[128:129]
	v_mul_f64_e32 v[116:117], v[6:7], v[128:129]
	s_wait_loadcnt_dscnt 0x0
	v_mul_f64_e32 v[22:23], v[8:9], v[14:15]
	v_mul_f64_e32 v[14:15], v[10:11], v[14:15]
	v_add_f64_e32 v[18:19], v[112:113], v[110:111]
	v_add_f64_e32 v[20:21], v[106:107], v[114:115]
	v_fmac_f64_e32 v[2:3], v[6:7], v[126:127]
	v_fma_f64 v[4:5], v[4:5], v[126:127], -v[116:117]
	v_fmac_f64_e32 v[22:23], v[10:11], v[12:13]
	v_fma_f64 v[8:9], v[8:9], v[12:13], -v[14:15]
	v_add_f64_e32 v[6:7], v[18:19], v[16:17]
	v_add_f64_e32 v[16:17], v[20:21], v[108:109]
	s_delay_alu instid0(VALU_DEP_2) | instskip(NEXT) | instid1(VALU_DEP_2)
	v_add_f64_e32 v[4:5], v[6:7], v[4:5]
	v_add_f64_e32 v[2:3], v[16:17], v[2:3]
	s_delay_alu instid0(VALU_DEP_2) | instskip(NEXT) | instid1(VALU_DEP_2)
	;; [unrolled: 3-line block ×3, first 2 shown]
	v_add_f64_e64 v[2:3], v[138:139], -v[4:5]
	v_add_f64_e64 v[4:5], v[140:141], -v[6:7]
	scratch_store_b128 off, v[2:5], off offset:336
	s_wait_xcnt 0x0
	v_cmpx_lt_u32_e32 20, v1
	s_cbranch_execz .LBB103_213
; %bb.212:
	scratch_load_b128 v[2:5], off, s36
	v_mov_b32_e32 v6, 0
	s_delay_alu instid0(VALU_DEP_1)
	v_dual_mov_b32 v7, v6 :: v_dual_mov_b32 v8, v6
	v_mov_b32_e32 v9, v6
	scratch_store_b128 off, v[6:9], off offset:320
	s_wait_loadcnt 0x0
	ds_store_b128 v104, v[2:5]
.LBB103_213:
	s_wait_xcnt 0x0
	s_or_b32 exec_lo, exec_lo, s2
	s_wait_storecnt_dscnt 0x0
	s_barrier_signal -1
	s_barrier_wait -1
	s_clause 0x9
	scratch_load_b128 v[4:7], off, off offset:336
	scratch_load_b128 v[8:11], off, off offset:352
	;; [unrolled: 1-line block ×10, first 2 shown]
	v_mov_b32_e32 v2, 0
	s_mov_b32 s2, exec_lo
	ds_load_b128 v[126:129], v2 offset:976
	s_clause 0x2
	scratch_load_b128 v[130:133], off, off offset:496
	scratch_load_b128 v[134:137], off, off offset:320
	scratch_load_b128 v[142:145], off, off offset:512
	s_wait_loadcnt_dscnt 0xc00
	v_mul_f64_e32 v[146:147], v[128:129], v[6:7]
	v_mul_f64_e32 v[150:151], v[126:127], v[6:7]
	ds_load_b128 v[138:141], v2 offset:992
	v_fma_f64 v[154:155], v[126:127], v[4:5], -v[146:147]
	v_fmac_f64_e32 v[150:151], v[128:129], v[4:5]
	ds_load_b128 v[4:7], v2 offset:1008
	s_wait_loadcnt_dscnt 0xb01
	v_mul_f64_e32 v[152:153], v[138:139], v[10:11]
	v_mul_f64_e32 v[10:11], v[140:141], v[10:11]
	scratch_load_b128 v[126:129], off, off offset:528
	ds_load_b128 v[146:149], v2 offset:1024
	s_wait_loadcnt_dscnt 0xb01
	v_mul_f64_e32 v[156:157], v[4:5], v[14:15]
	v_mul_f64_e32 v[14:15], v[6:7], v[14:15]
	v_add_f64_e32 v[150:151], 0, v[150:151]
	v_fmac_f64_e32 v[152:153], v[140:141], v[8:9]
	v_fma_f64 v[138:139], v[138:139], v[8:9], -v[10:11]
	v_add_f64_e32 v[140:141], 0, v[154:155]
	scratch_load_b128 v[8:11], off, off offset:544
	v_fmac_f64_e32 v[156:157], v[6:7], v[12:13]
	v_fma_f64 v[158:159], v[4:5], v[12:13], -v[14:15]
	ds_load_b128 v[4:7], v2 offset:1040
	s_wait_loadcnt_dscnt 0xb01
	v_mul_f64_e32 v[154:155], v[146:147], v[18:19]
	v_mul_f64_e32 v[18:19], v[148:149], v[18:19]
	scratch_load_b128 v[12:15], off, off offset:560
	v_add_f64_e32 v[150:151], v[150:151], v[152:153]
	v_add_f64_e32 v[160:161], v[140:141], v[138:139]
	ds_load_b128 v[138:141], v2 offset:1056
	s_wait_loadcnt_dscnt 0xb01
	v_mul_f64_e32 v[152:153], v[4:5], v[22:23]
	v_mul_f64_e32 v[22:23], v[6:7], v[22:23]
	v_fmac_f64_e32 v[154:155], v[148:149], v[16:17]
	v_fma_f64 v[146:147], v[146:147], v[16:17], -v[18:19]
	scratch_load_b128 v[16:19], off, off offset:576
	v_add_f64_e32 v[150:151], v[150:151], v[156:157]
	v_add_f64_e32 v[148:149], v[160:161], v[158:159]
	v_fmac_f64_e32 v[152:153], v[6:7], v[20:21]
	v_fma_f64 v[158:159], v[4:5], v[20:21], -v[22:23]
	ds_load_b128 v[4:7], v2 offset:1072
	s_wait_loadcnt_dscnt 0xb01
	v_mul_f64_e32 v[156:157], v[138:139], v[108:109]
	v_mul_f64_e32 v[108:109], v[140:141], v[108:109]
	scratch_load_b128 v[20:23], off, off offset:592
	v_add_f64_e32 v[150:151], v[150:151], v[154:155]
	s_wait_loadcnt_dscnt 0xb00
	v_mul_f64_e32 v[154:155], v[4:5], v[112:113]
	v_add_f64_e32 v[160:161], v[148:149], v[146:147]
	v_mul_f64_e32 v[112:113], v[6:7], v[112:113]
	ds_load_b128 v[146:149], v2 offset:1088
	v_fmac_f64_e32 v[156:157], v[140:141], v[106:107]
	v_fma_f64 v[138:139], v[138:139], v[106:107], -v[108:109]
	scratch_load_b128 v[106:109], off, off offset:608
	v_add_f64_e32 v[150:151], v[150:151], v[152:153]
	v_fmac_f64_e32 v[154:155], v[6:7], v[110:111]
	v_add_f64_e32 v[140:141], v[160:161], v[158:159]
	v_fma_f64 v[158:159], v[4:5], v[110:111], -v[112:113]
	ds_load_b128 v[4:7], v2 offset:1104
	s_wait_loadcnt_dscnt 0xb01
	v_mul_f64_e32 v[152:153], v[146:147], v[116:117]
	v_mul_f64_e32 v[116:117], v[148:149], v[116:117]
	scratch_load_b128 v[110:113], off, off offset:624
	v_add_f64_e32 v[150:151], v[150:151], v[156:157]
	s_wait_loadcnt_dscnt 0xb00
	v_mul_f64_e32 v[156:157], v[4:5], v[120:121]
	v_add_f64_e32 v[160:161], v[140:141], v[138:139]
	v_mul_f64_e32 v[120:121], v[6:7], v[120:121]
	ds_load_b128 v[138:141], v2 offset:1120
	v_fmac_f64_e32 v[152:153], v[148:149], v[114:115]
	v_fma_f64 v[114:115], v[146:147], v[114:115], -v[116:117]
	s_wait_loadcnt_dscnt 0xa00
	v_mul_f64_e32 v[148:149], v[138:139], v[124:125]
	v_mul_f64_e32 v[124:125], v[140:141], v[124:125]
	v_add_f64_e32 v[146:147], v[150:151], v[154:155]
	v_fmac_f64_e32 v[156:157], v[6:7], v[118:119]
	v_add_f64_e32 v[116:117], v[160:161], v[158:159]
	v_fma_f64 v[118:119], v[4:5], v[118:119], -v[120:121]
	v_fmac_f64_e32 v[148:149], v[140:141], v[122:123]
	v_fma_f64 v[122:123], v[138:139], v[122:123], -v[124:125]
	v_add_f64_e32 v[146:147], v[146:147], v[152:153]
	v_add_f64_e32 v[120:121], v[116:117], v[114:115]
	ds_load_b128 v[4:7], v2 offset:1136
	ds_load_b128 v[114:117], v2 offset:1152
	s_wait_loadcnt_dscnt 0x901
	v_mul_f64_e32 v[150:151], v[4:5], v[132:133]
	v_mul_f64_e32 v[132:133], v[6:7], v[132:133]
	s_wait_loadcnt_dscnt 0x700
	v_mul_f64_e32 v[124:125], v[114:115], v[144:145]
	v_mul_f64_e32 v[138:139], v[116:117], v[144:145]
	v_add_f64_e32 v[118:119], v[120:121], v[118:119]
	v_add_f64_e32 v[120:121], v[146:147], v[156:157]
	v_fmac_f64_e32 v[150:151], v[6:7], v[130:131]
	v_fma_f64 v[130:131], v[4:5], v[130:131], -v[132:133]
	v_fmac_f64_e32 v[124:125], v[116:117], v[142:143]
	v_fma_f64 v[114:115], v[114:115], v[142:143], -v[138:139]
	v_add_f64_e32 v[122:123], v[118:119], v[122:123]
	v_add_f64_e32 v[132:133], v[120:121], v[148:149]
	ds_load_b128 v[4:7], v2 offset:1168
	ds_load_b128 v[118:121], v2 offset:1184
	s_wait_loadcnt_dscnt 0x601
	v_mul_f64_e32 v[140:141], v[4:5], v[128:129]
	v_mul_f64_e32 v[128:129], v[6:7], v[128:129]
	v_add_f64_e32 v[116:117], v[122:123], v[130:131]
	v_add_f64_e32 v[122:123], v[132:133], v[150:151]
	s_wait_loadcnt_dscnt 0x500
	v_mul_f64_e32 v[130:131], v[118:119], v[10:11]
	v_mul_f64_e32 v[10:11], v[120:121], v[10:11]
	v_fmac_f64_e32 v[140:141], v[6:7], v[126:127]
	v_fma_f64 v[126:127], v[4:5], v[126:127], -v[128:129]
	v_add_f64_e32 v[128:129], v[116:117], v[114:115]
	v_add_f64_e32 v[122:123], v[122:123], v[124:125]
	ds_load_b128 v[4:7], v2 offset:1200
	ds_load_b128 v[114:117], v2 offset:1216
	v_fmac_f64_e32 v[130:131], v[120:121], v[8:9]
	v_fma_f64 v[8:9], v[118:119], v[8:9], -v[10:11]
	s_wait_loadcnt_dscnt 0x401
	v_mul_f64_e32 v[124:125], v[4:5], v[14:15]
	v_mul_f64_e32 v[14:15], v[6:7], v[14:15]
	s_wait_loadcnt_dscnt 0x300
	v_mul_f64_e32 v[120:121], v[114:115], v[18:19]
	v_mul_f64_e32 v[18:19], v[116:117], v[18:19]
	v_add_f64_e32 v[10:11], v[128:129], v[126:127]
	v_add_f64_e32 v[118:119], v[122:123], v[140:141]
	v_fmac_f64_e32 v[124:125], v[6:7], v[12:13]
	v_fma_f64 v[12:13], v[4:5], v[12:13], -v[14:15]
	v_fmac_f64_e32 v[120:121], v[116:117], v[16:17]
	v_fma_f64 v[16:17], v[114:115], v[16:17], -v[18:19]
	v_add_f64_e32 v[14:15], v[10:11], v[8:9]
	v_add_f64_e32 v[118:119], v[118:119], v[130:131]
	ds_load_b128 v[4:7], v2 offset:1232
	ds_load_b128 v[8:11], v2 offset:1248
	s_wait_loadcnt_dscnt 0x201
	v_mul_f64_e32 v[122:123], v[4:5], v[22:23]
	v_mul_f64_e32 v[22:23], v[6:7], v[22:23]
	s_wait_loadcnt_dscnt 0x100
	v_mul_f64_e32 v[18:19], v[8:9], v[108:109]
	v_mul_f64_e32 v[108:109], v[10:11], v[108:109]
	v_add_f64_e32 v[12:13], v[14:15], v[12:13]
	v_add_f64_e32 v[14:15], v[118:119], v[124:125]
	v_fmac_f64_e32 v[122:123], v[6:7], v[20:21]
	v_fma_f64 v[20:21], v[4:5], v[20:21], -v[22:23]
	ds_load_b128 v[4:7], v2 offset:1264
	v_fmac_f64_e32 v[18:19], v[10:11], v[106:107]
	v_fma_f64 v[8:9], v[8:9], v[106:107], -v[108:109]
	v_add_f64_e32 v[12:13], v[12:13], v[16:17]
	v_add_f64_e32 v[14:15], v[14:15], v[120:121]
	s_wait_loadcnt_dscnt 0x0
	v_mul_f64_e32 v[16:17], v[4:5], v[112:113]
	v_mul_f64_e32 v[22:23], v[6:7], v[112:113]
	s_delay_alu instid0(VALU_DEP_4) | instskip(NEXT) | instid1(VALU_DEP_4)
	v_add_f64_e32 v[10:11], v[12:13], v[20:21]
	v_add_f64_e32 v[12:13], v[14:15], v[122:123]
	s_delay_alu instid0(VALU_DEP_4) | instskip(NEXT) | instid1(VALU_DEP_4)
	v_fmac_f64_e32 v[16:17], v[6:7], v[110:111]
	v_fma_f64 v[4:5], v[4:5], v[110:111], -v[22:23]
	s_delay_alu instid0(VALU_DEP_4) | instskip(NEXT) | instid1(VALU_DEP_4)
	v_add_f64_e32 v[6:7], v[10:11], v[8:9]
	v_add_f64_e32 v[8:9], v[12:13], v[18:19]
	s_delay_alu instid0(VALU_DEP_2) | instskip(NEXT) | instid1(VALU_DEP_2)
	v_add_f64_e32 v[4:5], v[6:7], v[4:5]
	v_add_f64_e32 v[6:7], v[8:9], v[16:17]
	s_delay_alu instid0(VALU_DEP_2) | instskip(NEXT) | instid1(VALU_DEP_2)
	v_add_f64_e64 v[4:5], v[134:135], -v[4:5]
	v_add_f64_e64 v[6:7], v[136:137], -v[6:7]
	scratch_store_b128 off, v[4:7], off offset:320
	s_wait_xcnt 0x0
	v_cmpx_lt_u32_e32 19, v1
	s_cbranch_execz .LBB103_215
; %bb.214:
	scratch_load_b128 v[6:9], off, s37
	v_dual_mov_b32 v3, v2 :: v_dual_mov_b32 v4, v2
	v_mov_b32_e32 v5, v2
	scratch_store_b128 off, v[2:5], off offset:304
	s_wait_loadcnt 0x0
	ds_store_b128 v104, v[6:9]
.LBB103_215:
	s_wait_xcnt 0x0
	s_or_b32 exec_lo, exec_lo, s2
	s_wait_storecnt_dscnt 0x0
	s_barrier_signal -1
	s_barrier_wait -1
	s_clause 0x9
	scratch_load_b128 v[4:7], off, off offset:320
	scratch_load_b128 v[8:11], off, off offset:336
	;; [unrolled: 1-line block ×10, first 2 shown]
	ds_load_b128 v[126:129], v2 offset:960
	ds_load_b128 v[134:137], v2 offset:976
	s_clause 0x2
	scratch_load_b128 v[130:133], off, off offset:480
	scratch_load_b128 v[138:141], off, off offset:304
	;; [unrolled: 1-line block ×3, first 2 shown]
	s_mov_b32 s2, exec_lo
	s_wait_loadcnt_dscnt 0xc01
	v_mul_f64_e32 v[146:147], v[128:129], v[6:7]
	v_mul_f64_e32 v[150:151], v[126:127], v[6:7]
	s_wait_loadcnt_dscnt 0xb00
	v_mul_f64_e32 v[152:153], v[134:135], v[10:11]
	v_mul_f64_e32 v[10:11], v[136:137], v[10:11]
	s_delay_alu instid0(VALU_DEP_4) | instskip(NEXT) | instid1(VALU_DEP_4)
	v_fma_f64 v[154:155], v[126:127], v[4:5], -v[146:147]
	v_fmac_f64_e32 v[150:151], v[128:129], v[4:5]
	ds_load_b128 v[4:7], v2 offset:992
	ds_load_b128 v[126:129], v2 offset:1008
	scratch_load_b128 v[146:149], off, off offset:512
	v_fmac_f64_e32 v[152:153], v[136:137], v[8:9]
	v_fma_f64 v[134:135], v[134:135], v[8:9], -v[10:11]
	scratch_load_b128 v[8:11], off, off offset:528
	s_wait_loadcnt_dscnt 0xc01
	v_mul_f64_e32 v[156:157], v[4:5], v[14:15]
	v_mul_f64_e32 v[14:15], v[6:7], v[14:15]
	v_add_f64_e32 v[136:137], 0, v[154:155]
	v_add_f64_e32 v[150:151], 0, v[150:151]
	s_wait_loadcnt_dscnt 0xb00
	v_mul_f64_e32 v[154:155], v[126:127], v[18:19]
	v_mul_f64_e32 v[18:19], v[128:129], v[18:19]
	v_fmac_f64_e32 v[156:157], v[6:7], v[12:13]
	v_fma_f64 v[158:159], v[4:5], v[12:13], -v[14:15]
	ds_load_b128 v[4:7], v2 offset:1024
	ds_load_b128 v[12:15], v2 offset:1040
	v_add_f64_e32 v[160:161], v[136:137], v[134:135]
	v_add_f64_e32 v[150:151], v[150:151], v[152:153]
	scratch_load_b128 v[134:137], off, off offset:544
	v_fmac_f64_e32 v[154:155], v[128:129], v[16:17]
	v_fma_f64 v[126:127], v[126:127], v[16:17], -v[18:19]
	scratch_load_b128 v[16:19], off, off offset:560
	s_wait_loadcnt_dscnt 0xc01
	v_mul_f64_e32 v[152:153], v[4:5], v[22:23]
	v_mul_f64_e32 v[22:23], v[6:7], v[22:23]
	v_add_f64_e32 v[128:129], v[160:161], v[158:159]
	v_add_f64_e32 v[150:151], v[150:151], v[156:157]
	s_wait_loadcnt_dscnt 0xb00
	v_mul_f64_e32 v[156:157], v[12:13], v[108:109]
	v_mul_f64_e32 v[108:109], v[14:15], v[108:109]
	v_fmac_f64_e32 v[152:153], v[6:7], v[20:21]
	v_fma_f64 v[158:159], v[4:5], v[20:21], -v[22:23]
	ds_load_b128 v[4:7], v2 offset:1056
	ds_load_b128 v[20:23], v2 offset:1072
	v_add_f64_e32 v[160:161], v[128:129], v[126:127]
	v_add_f64_e32 v[150:151], v[150:151], v[154:155]
	scratch_load_b128 v[126:129], off, off offset:576
	s_wait_loadcnt_dscnt 0xb01
	v_mul_f64_e32 v[154:155], v[4:5], v[112:113]
	v_mul_f64_e32 v[112:113], v[6:7], v[112:113]
	v_fmac_f64_e32 v[156:157], v[14:15], v[106:107]
	v_fma_f64 v[106:107], v[12:13], v[106:107], -v[108:109]
	scratch_load_b128 v[12:15], off, off offset:592
	v_add_f64_e32 v[108:109], v[160:161], v[158:159]
	v_add_f64_e32 v[150:151], v[150:151], v[152:153]
	s_wait_loadcnt_dscnt 0xb00
	v_mul_f64_e32 v[152:153], v[20:21], v[116:117]
	v_mul_f64_e32 v[116:117], v[22:23], v[116:117]
	v_fmac_f64_e32 v[154:155], v[6:7], v[110:111]
	v_fma_f64 v[158:159], v[4:5], v[110:111], -v[112:113]
	v_add_f64_e32 v[160:161], v[108:109], v[106:107]
	v_add_f64_e32 v[150:151], v[150:151], v[156:157]
	ds_load_b128 v[4:7], v2 offset:1088
	ds_load_b128 v[106:109], v2 offset:1104
	scratch_load_b128 v[110:113], off, off offset:608
	v_fmac_f64_e32 v[152:153], v[22:23], v[114:115]
	v_fma_f64 v[114:115], v[20:21], v[114:115], -v[116:117]
	scratch_load_b128 v[20:23], off, off offset:624
	s_wait_loadcnt_dscnt 0xc01
	v_mul_f64_e32 v[156:157], v[4:5], v[120:121]
	v_mul_f64_e32 v[120:121], v[6:7], v[120:121]
	v_add_f64_e32 v[116:117], v[160:161], v[158:159]
	v_add_f64_e32 v[150:151], v[150:151], v[154:155]
	s_wait_loadcnt_dscnt 0xb00
	v_mul_f64_e32 v[154:155], v[106:107], v[124:125]
	v_mul_f64_e32 v[124:125], v[108:109], v[124:125]
	v_fmac_f64_e32 v[156:157], v[6:7], v[118:119]
	v_fma_f64 v[118:119], v[4:5], v[118:119], -v[120:121]
	v_add_f64_e32 v[120:121], v[116:117], v[114:115]
	v_add_f64_e32 v[150:151], v[150:151], v[152:153]
	ds_load_b128 v[4:7], v2 offset:1120
	ds_load_b128 v[114:117], v2 offset:1136
	v_fmac_f64_e32 v[154:155], v[108:109], v[122:123]
	v_fma_f64 v[106:107], v[106:107], v[122:123], -v[124:125]
	s_wait_loadcnt_dscnt 0xa01
	v_mul_f64_e32 v[152:153], v[4:5], v[132:133]
	v_mul_f64_e32 v[132:133], v[6:7], v[132:133]
	s_wait_loadcnt_dscnt 0x800
	v_mul_f64_e32 v[122:123], v[116:117], v[144:145]
	v_add_f64_e32 v[108:109], v[120:121], v[118:119]
	v_add_f64_e32 v[118:119], v[150:151], v[156:157]
	v_mul_f64_e32 v[120:121], v[114:115], v[144:145]
	v_fmac_f64_e32 v[152:153], v[6:7], v[130:131]
	v_fma_f64 v[124:125], v[4:5], v[130:131], -v[132:133]
	v_fma_f64 v[114:115], v[114:115], v[142:143], -v[122:123]
	v_add_f64_e32 v[130:131], v[108:109], v[106:107]
	v_add_f64_e32 v[118:119], v[118:119], v[154:155]
	ds_load_b128 v[4:7], v2 offset:1152
	ds_load_b128 v[106:109], v2 offset:1168
	v_fmac_f64_e32 v[120:121], v[116:117], v[142:143]
	s_wait_loadcnt_dscnt 0x701
	v_mul_f64_e32 v[132:133], v[4:5], v[148:149]
	v_mul_f64_e32 v[144:145], v[6:7], v[148:149]
	s_wait_loadcnt_dscnt 0x600
	v_mul_f64_e32 v[122:123], v[106:107], v[10:11]
	v_mul_f64_e32 v[10:11], v[108:109], v[10:11]
	v_add_f64_e32 v[116:117], v[130:131], v[124:125]
	v_add_f64_e32 v[118:119], v[118:119], v[152:153]
	v_fmac_f64_e32 v[132:133], v[6:7], v[146:147]
	v_fma_f64 v[124:125], v[4:5], v[146:147], -v[144:145]
	v_fmac_f64_e32 v[122:123], v[108:109], v[8:9]
	v_fma_f64 v[8:9], v[106:107], v[8:9], -v[10:11]
	v_add_f64_e32 v[130:131], v[116:117], v[114:115]
	v_add_f64_e32 v[118:119], v[118:119], v[120:121]
	ds_load_b128 v[4:7], v2 offset:1184
	ds_load_b128 v[114:117], v2 offset:1200
	s_wait_loadcnt_dscnt 0x501
	v_mul_f64_e32 v[120:121], v[4:5], v[136:137]
	v_mul_f64_e32 v[136:137], v[6:7], v[136:137]
	s_wait_loadcnt_dscnt 0x400
	v_mul_f64_e32 v[108:109], v[114:115], v[18:19]
	v_mul_f64_e32 v[18:19], v[116:117], v[18:19]
	v_add_f64_e32 v[10:11], v[130:131], v[124:125]
	v_add_f64_e32 v[106:107], v[118:119], v[132:133]
	v_fmac_f64_e32 v[120:121], v[6:7], v[134:135]
	v_fma_f64 v[118:119], v[4:5], v[134:135], -v[136:137]
	v_fmac_f64_e32 v[108:109], v[116:117], v[16:17]
	v_fma_f64 v[16:17], v[114:115], v[16:17], -v[18:19]
	v_add_f64_e32 v[124:125], v[10:11], v[8:9]
	v_add_f64_e32 v[106:107], v[106:107], v[122:123]
	ds_load_b128 v[4:7], v2 offset:1216
	ds_load_b128 v[8:11], v2 offset:1232
	;; [unrolled: 16-line block ×3, first 2 shown]
	s_wait_loadcnt_dscnt 0x101
	v_mul_f64_e32 v[2:3], v[4:5], v[112:113]
	v_mul_f64_e32 v[108:109], v[6:7], v[112:113]
	v_add_f64_e32 v[10:11], v[18:19], v[118:119]
	v_add_f64_e32 v[12:13], v[106:107], v[122:123]
	s_wait_loadcnt_dscnt 0x0
	v_mul_f64_e32 v[18:19], v[14:15], v[22:23]
	v_mul_f64_e32 v[22:23], v[16:17], v[22:23]
	v_fmac_f64_e32 v[2:3], v[6:7], v[110:111]
	v_fma_f64 v[4:5], v[4:5], v[110:111], -v[108:109]
	v_add_f64_e32 v[6:7], v[10:11], v[8:9]
	v_add_f64_e32 v[8:9], v[12:13], v[114:115]
	v_fmac_f64_e32 v[18:19], v[16:17], v[20:21]
	v_fma_f64 v[10:11], v[14:15], v[20:21], -v[22:23]
	s_delay_alu instid0(VALU_DEP_4) | instskip(NEXT) | instid1(VALU_DEP_4)
	v_add_f64_e32 v[4:5], v[6:7], v[4:5]
	v_add_f64_e32 v[2:3], v[8:9], v[2:3]
	s_delay_alu instid0(VALU_DEP_2) | instskip(NEXT) | instid1(VALU_DEP_2)
	v_add_f64_e32 v[4:5], v[4:5], v[10:11]
	v_add_f64_e32 v[6:7], v[2:3], v[18:19]
	s_delay_alu instid0(VALU_DEP_2) | instskip(NEXT) | instid1(VALU_DEP_2)
	v_add_f64_e64 v[2:3], v[138:139], -v[4:5]
	v_add_f64_e64 v[4:5], v[140:141], -v[6:7]
	scratch_store_b128 off, v[2:5], off offset:304
	s_wait_xcnt 0x0
	v_cmpx_lt_u32_e32 18, v1
	s_cbranch_execz .LBB103_217
; %bb.216:
	scratch_load_b128 v[2:5], off, s38
	v_mov_b32_e32 v6, 0
	s_delay_alu instid0(VALU_DEP_1)
	v_dual_mov_b32 v7, v6 :: v_dual_mov_b32 v8, v6
	v_mov_b32_e32 v9, v6
	scratch_store_b128 off, v[6:9], off offset:288
	s_wait_loadcnt 0x0
	ds_store_b128 v104, v[2:5]
.LBB103_217:
	s_wait_xcnt 0x0
	s_or_b32 exec_lo, exec_lo, s2
	s_wait_storecnt_dscnt 0x0
	s_barrier_signal -1
	s_barrier_wait -1
	s_clause 0x9
	scratch_load_b128 v[4:7], off, off offset:304
	scratch_load_b128 v[8:11], off, off offset:320
	;; [unrolled: 1-line block ×10, first 2 shown]
	v_mov_b32_e32 v2, 0
	s_mov_b32 s2, exec_lo
	ds_load_b128 v[126:129], v2 offset:944
	s_clause 0x2
	scratch_load_b128 v[130:133], off, off offset:464
	scratch_load_b128 v[134:137], off, off offset:288
	;; [unrolled: 1-line block ×3, first 2 shown]
	s_wait_loadcnt_dscnt 0xc00
	v_mul_f64_e32 v[146:147], v[128:129], v[6:7]
	v_mul_f64_e32 v[150:151], v[126:127], v[6:7]
	ds_load_b128 v[138:141], v2 offset:960
	v_fma_f64 v[154:155], v[126:127], v[4:5], -v[146:147]
	v_fmac_f64_e32 v[150:151], v[128:129], v[4:5]
	ds_load_b128 v[4:7], v2 offset:976
	s_wait_loadcnt_dscnt 0xb01
	v_mul_f64_e32 v[152:153], v[138:139], v[10:11]
	v_mul_f64_e32 v[10:11], v[140:141], v[10:11]
	scratch_load_b128 v[126:129], off, off offset:496
	ds_load_b128 v[146:149], v2 offset:992
	s_wait_loadcnt_dscnt 0xb01
	v_mul_f64_e32 v[156:157], v[4:5], v[14:15]
	v_mul_f64_e32 v[14:15], v[6:7], v[14:15]
	v_add_f64_e32 v[150:151], 0, v[150:151]
	v_fmac_f64_e32 v[152:153], v[140:141], v[8:9]
	v_fma_f64 v[138:139], v[138:139], v[8:9], -v[10:11]
	v_add_f64_e32 v[140:141], 0, v[154:155]
	scratch_load_b128 v[8:11], off, off offset:512
	v_fmac_f64_e32 v[156:157], v[6:7], v[12:13]
	v_fma_f64 v[158:159], v[4:5], v[12:13], -v[14:15]
	ds_load_b128 v[4:7], v2 offset:1008
	s_wait_loadcnt_dscnt 0xb01
	v_mul_f64_e32 v[154:155], v[146:147], v[18:19]
	v_mul_f64_e32 v[18:19], v[148:149], v[18:19]
	scratch_load_b128 v[12:15], off, off offset:528
	v_add_f64_e32 v[150:151], v[150:151], v[152:153]
	v_add_f64_e32 v[160:161], v[140:141], v[138:139]
	ds_load_b128 v[138:141], v2 offset:1024
	s_wait_loadcnt_dscnt 0xb01
	v_mul_f64_e32 v[152:153], v[4:5], v[22:23]
	v_mul_f64_e32 v[22:23], v[6:7], v[22:23]
	v_fmac_f64_e32 v[154:155], v[148:149], v[16:17]
	v_fma_f64 v[146:147], v[146:147], v[16:17], -v[18:19]
	scratch_load_b128 v[16:19], off, off offset:544
	v_add_f64_e32 v[150:151], v[150:151], v[156:157]
	v_add_f64_e32 v[148:149], v[160:161], v[158:159]
	v_fmac_f64_e32 v[152:153], v[6:7], v[20:21]
	v_fma_f64 v[158:159], v[4:5], v[20:21], -v[22:23]
	ds_load_b128 v[4:7], v2 offset:1040
	s_wait_loadcnt_dscnt 0xb01
	v_mul_f64_e32 v[156:157], v[138:139], v[108:109]
	v_mul_f64_e32 v[108:109], v[140:141], v[108:109]
	scratch_load_b128 v[20:23], off, off offset:560
	v_add_f64_e32 v[150:151], v[150:151], v[154:155]
	s_wait_loadcnt_dscnt 0xb00
	v_mul_f64_e32 v[154:155], v[4:5], v[112:113]
	v_add_f64_e32 v[160:161], v[148:149], v[146:147]
	v_mul_f64_e32 v[112:113], v[6:7], v[112:113]
	ds_load_b128 v[146:149], v2 offset:1056
	v_fmac_f64_e32 v[156:157], v[140:141], v[106:107]
	v_fma_f64 v[138:139], v[138:139], v[106:107], -v[108:109]
	scratch_load_b128 v[106:109], off, off offset:576
	v_add_f64_e32 v[150:151], v[150:151], v[152:153]
	v_fmac_f64_e32 v[154:155], v[6:7], v[110:111]
	v_add_f64_e32 v[140:141], v[160:161], v[158:159]
	v_fma_f64 v[158:159], v[4:5], v[110:111], -v[112:113]
	ds_load_b128 v[4:7], v2 offset:1072
	s_wait_loadcnt_dscnt 0xb01
	v_mul_f64_e32 v[152:153], v[146:147], v[116:117]
	v_mul_f64_e32 v[116:117], v[148:149], v[116:117]
	scratch_load_b128 v[110:113], off, off offset:592
	v_add_f64_e32 v[150:151], v[150:151], v[156:157]
	s_wait_loadcnt_dscnt 0xb00
	v_mul_f64_e32 v[156:157], v[4:5], v[120:121]
	v_add_f64_e32 v[160:161], v[140:141], v[138:139]
	v_mul_f64_e32 v[120:121], v[6:7], v[120:121]
	ds_load_b128 v[138:141], v2 offset:1088
	v_fmac_f64_e32 v[152:153], v[148:149], v[114:115]
	v_fma_f64 v[146:147], v[146:147], v[114:115], -v[116:117]
	scratch_load_b128 v[114:117], off, off offset:608
	v_add_f64_e32 v[150:151], v[150:151], v[154:155]
	v_fmac_f64_e32 v[156:157], v[6:7], v[118:119]
	v_add_f64_e32 v[148:149], v[160:161], v[158:159]
	v_fma_f64 v[158:159], v[4:5], v[118:119], -v[120:121]
	ds_load_b128 v[4:7], v2 offset:1104
	s_wait_loadcnt_dscnt 0xb01
	v_mul_f64_e32 v[154:155], v[138:139], v[124:125]
	v_mul_f64_e32 v[124:125], v[140:141], v[124:125]
	scratch_load_b128 v[118:121], off, off offset:624
	v_add_f64_e32 v[150:151], v[150:151], v[152:153]
	s_wait_loadcnt_dscnt 0xb00
	v_mul_f64_e32 v[152:153], v[4:5], v[132:133]
	v_add_f64_e32 v[160:161], v[148:149], v[146:147]
	v_mul_f64_e32 v[132:133], v[6:7], v[132:133]
	ds_load_b128 v[146:149], v2 offset:1120
	v_fmac_f64_e32 v[154:155], v[140:141], v[122:123]
	v_fma_f64 v[122:123], v[138:139], v[122:123], -v[124:125]
	s_wait_loadcnt_dscnt 0x900
	v_mul_f64_e32 v[140:141], v[146:147], v[144:145]
	v_mul_f64_e32 v[144:145], v[148:149], v[144:145]
	v_add_f64_e32 v[138:139], v[150:151], v[156:157]
	v_fmac_f64_e32 v[152:153], v[6:7], v[130:131]
	v_add_f64_e32 v[124:125], v[160:161], v[158:159]
	v_fma_f64 v[130:131], v[4:5], v[130:131], -v[132:133]
	v_fmac_f64_e32 v[140:141], v[148:149], v[142:143]
	v_fma_f64 v[142:143], v[146:147], v[142:143], -v[144:145]
	v_add_f64_e32 v[138:139], v[138:139], v[154:155]
	v_add_f64_e32 v[132:133], v[124:125], v[122:123]
	ds_load_b128 v[4:7], v2 offset:1136
	ds_load_b128 v[122:125], v2 offset:1152
	s_wait_loadcnt_dscnt 0x801
	v_mul_f64_e32 v[150:151], v[4:5], v[128:129]
	v_mul_f64_e32 v[128:129], v[6:7], v[128:129]
	v_add_f64_e32 v[130:131], v[132:133], v[130:131]
	v_add_f64_e32 v[132:133], v[138:139], v[152:153]
	s_wait_loadcnt_dscnt 0x700
	v_mul_f64_e32 v[138:139], v[122:123], v[10:11]
	v_mul_f64_e32 v[10:11], v[124:125], v[10:11]
	v_fmac_f64_e32 v[150:151], v[6:7], v[126:127]
	v_fma_f64 v[144:145], v[4:5], v[126:127], -v[128:129]
	ds_load_b128 v[4:7], v2 offset:1168
	ds_load_b128 v[126:129], v2 offset:1184
	v_add_f64_e32 v[130:131], v[130:131], v[142:143]
	v_add_f64_e32 v[132:133], v[132:133], v[140:141]
	v_fmac_f64_e32 v[138:139], v[124:125], v[8:9]
	v_fma_f64 v[8:9], v[122:123], v[8:9], -v[10:11]
	s_wait_loadcnt_dscnt 0x601
	v_mul_f64_e32 v[140:141], v[4:5], v[14:15]
	v_mul_f64_e32 v[14:15], v[6:7], v[14:15]
	s_wait_loadcnt_dscnt 0x500
	v_mul_f64_e32 v[124:125], v[126:127], v[18:19]
	v_mul_f64_e32 v[18:19], v[128:129], v[18:19]
	v_add_f64_e32 v[10:11], v[130:131], v[144:145]
	v_add_f64_e32 v[122:123], v[132:133], v[150:151]
	v_fmac_f64_e32 v[140:141], v[6:7], v[12:13]
	v_fma_f64 v[12:13], v[4:5], v[12:13], -v[14:15]
	v_fmac_f64_e32 v[124:125], v[128:129], v[16:17]
	v_fma_f64 v[16:17], v[126:127], v[16:17], -v[18:19]
	v_add_f64_e32 v[14:15], v[10:11], v[8:9]
	v_add_f64_e32 v[122:123], v[122:123], v[138:139]
	ds_load_b128 v[4:7], v2 offset:1200
	ds_load_b128 v[8:11], v2 offset:1216
	s_wait_loadcnt_dscnt 0x401
	v_mul_f64_e32 v[130:131], v[4:5], v[22:23]
	v_mul_f64_e32 v[22:23], v[6:7], v[22:23]
	s_wait_loadcnt_dscnt 0x300
	v_mul_f64_e32 v[18:19], v[8:9], v[108:109]
	v_mul_f64_e32 v[108:109], v[10:11], v[108:109]
	v_add_f64_e32 v[12:13], v[14:15], v[12:13]
	v_add_f64_e32 v[14:15], v[122:123], v[140:141]
	v_fmac_f64_e32 v[130:131], v[6:7], v[20:21]
	v_fma_f64 v[20:21], v[4:5], v[20:21], -v[22:23]
	v_fmac_f64_e32 v[18:19], v[10:11], v[106:107]
	v_fma_f64 v[8:9], v[8:9], v[106:107], -v[108:109]
	v_add_f64_e32 v[16:17], v[12:13], v[16:17]
	v_add_f64_e32 v[22:23], v[14:15], v[124:125]
	ds_load_b128 v[4:7], v2 offset:1232
	ds_load_b128 v[12:15], v2 offset:1248
	s_wait_loadcnt_dscnt 0x201
	v_mul_f64_e32 v[122:123], v[4:5], v[112:113]
	v_mul_f64_e32 v[112:113], v[6:7], v[112:113]
	v_add_f64_e32 v[10:11], v[16:17], v[20:21]
	v_add_f64_e32 v[16:17], v[22:23], v[130:131]
	s_wait_loadcnt_dscnt 0x100
	v_mul_f64_e32 v[20:21], v[12:13], v[116:117]
	v_mul_f64_e32 v[22:23], v[14:15], v[116:117]
	v_fmac_f64_e32 v[122:123], v[6:7], v[110:111]
	v_fma_f64 v[106:107], v[4:5], v[110:111], -v[112:113]
	ds_load_b128 v[4:7], v2 offset:1264
	v_add_f64_e32 v[8:9], v[10:11], v[8:9]
	v_add_f64_e32 v[10:11], v[16:17], v[18:19]
	v_fmac_f64_e32 v[20:21], v[14:15], v[114:115]
	v_fma_f64 v[12:13], v[12:13], v[114:115], -v[22:23]
	s_wait_loadcnt_dscnt 0x0
	v_mul_f64_e32 v[16:17], v[4:5], v[120:121]
	v_mul_f64_e32 v[18:19], v[6:7], v[120:121]
	v_add_f64_e32 v[8:9], v[8:9], v[106:107]
	v_add_f64_e32 v[10:11], v[10:11], v[122:123]
	s_delay_alu instid0(VALU_DEP_4) | instskip(NEXT) | instid1(VALU_DEP_4)
	v_fmac_f64_e32 v[16:17], v[6:7], v[118:119]
	v_fma_f64 v[4:5], v[4:5], v[118:119], -v[18:19]
	s_delay_alu instid0(VALU_DEP_4) | instskip(NEXT) | instid1(VALU_DEP_4)
	v_add_f64_e32 v[6:7], v[8:9], v[12:13]
	v_add_f64_e32 v[8:9], v[10:11], v[20:21]
	s_delay_alu instid0(VALU_DEP_2) | instskip(NEXT) | instid1(VALU_DEP_2)
	v_add_f64_e32 v[4:5], v[6:7], v[4:5]
	v_add_f64_e32 v[6:7], v[8:9], v[16:17]
	s_delay_alu instid0(VALU_DEP_2) | instskip(NEXT) | instid1(VALU_DEP_2)
	v_add_f64_e64 v[4:5], v[134:135], -v[4:5]
	v_add_f64_e64 v[6:7], v[136:137], -v[6:7]
	scratch_store_b128 off, v[4:7], off offset:288
	s_wait_xcnt 0x0
	v_cmpx_lt_u32_e32 17, v1
	s_cbranch_execz .LBB103_219
; %bb.218:
	scratch_load_b128 v[6:9], off, s39
	v_dual_mov_b32 v3, v2 :: v_dual_mov_b32 v4, v2
	v_mov_b32_e32 v5, v2
	scratch_store_b128 off, v[2:5], off offset:272
	s_wait_loadcnt 0x0
	ds_store_b128 v104, v[6:9]
.LBB103_219:
	s_wait_xcnt 0x0
	s_or_b32 exec_lo, exec_lo, s2
	s_wait_storecnt_dscnt 0x0
	s_barrier_signal -1
	s_barrier_wait -1
	s_clause 0x9
	scratch_load_b128 v[4:7], off, off offset:288
	scratch_load_b128 v[8:11], off, off offset:304
	;; [unrolled: 1-line block ×10, first 2 shown]
	ds_load_b128 v[126:129], v2 offset:928
	ds_load_b128 v[134:137], v2 offset:944
	s_clause 0x2
	scratch_load_b128 v[130:133], off, off offset:448
	scratch_load_b128 v[138:141], off, off offset:272
	;; [unrolled: 1-line block ×3, first 2 shown]
	s_mov_b32 s2, exec_lo
	s_wait_loadcnt_dscnt 0xc01
	v_mul_f64_e32 v[146:147], v[128:129], v[6:7]
	v_mul_f64_e32 v[150:151], v[126:127], v[6:7]
	s_wait_loadcnt_dscnt 0xb00
	v_mul_f64_e32 v[152:153], v[134:135], v[10:11]
	v_mul_f64_e32 v[10:11], v[136:137], v[10:11]
	s_delay_alu instid0(VALU_DEP_4) | instskip(NEXT) | instid1(VALU_DEP_4)
	v_fma_f64 v[154:155], v[126:127], v[4:5], -v[146:147]
	v_fmac_f64_e32 v[150:151], v[128:129], v[4:5]
	ds_load_b128 v[4:7], v2 offset:960
	ds_load_b128 v[126:129], v2 offset:976
	scratch_load_b128 v[146:149], off, off offset:480
	v_fmac_f64_e32 v[152:153], v[136:137], v[8:9]
	v_fma_f64 v[134:135], v[134:135], v[8:9], -v[10:11]
	scratch_load_b128 v[8:11], off, off offset:496
	s_wait_loadcnt_dscnt 0xc01
	v_mul_f64_e32 v[156:157], v[4:5], v[14:15]
	v_mul_f64_e32 v[14:15], v[6:7], v[14:15]
	v_add_f64_e32 v[136:137], 0, v[154:155]
	v_add_f64_e32 v[150:151], 0, v[150:151]
	s_wait_loadcnt_dscnt 0xb00
	v_mul_f64_e32 v[154:155], v[126:127], v[18:19]
	v_mul_f64_e32 v[18:19], v[128:129], v[18:19]
	v_fmac_f64_e32 v[156:157], v[6:7], v[12:13]
	v_fma_f64 v[158:159], v[4:5], v[12:13], -v[14:15]
	ds_load_b128 v[4:7], v2 offset:992
	ds_load_b128 v[12:15], v2 offset:1008
	v_add_f64_e32 v[160:161], v[136:137], v[134:135]
	v_add_f64_e32 v[150:151], v[150:151], v[152:153]
	scratch_load_b128 v[134:137], off, off offset:512
	v_fmac_f64_e32 v[154:155], v[128:129], v[16:17]
	v_fma_f64 v[126:127], v[126:127], v[16:17], -v[18:19]
	scratch_load_b128 v[16:19], off, off offset:528
	s_wait_loadcnt_dscnt 0xc01
	v_mul_f64_e32 v[152:153], v[4:5], v[22:23]
	v_mul_f64_e32 v[22:23], v[6:7], v[22:23]
	v_add_f64_e32 v[128:129], v[160:161], v[158:159]
	v_add_f64_e32 v[150:151], v[150:151], v[156:157]
	s_wait_loadcnt_dscnt 0xb00
	v_mul_f64_e32 v[156:157], v[12:13], v[108:109]
	v_mul_f64_e32 v[108:109], v[14:15], v[108:109]
	v_fmac_f64_e32 v[152:153], v[6:7], v[20:21]
	v_fma_f64 v[158:159], v[4:5], v[20:21], -v[22:23]
	ds_load_b128 v[4:7], v2 offset:1024
	ds_load_b128 v[20:23], v2 offset:1040
	v_add_f64_e32 v[160:161], v[128:129], v[126:127]
	v_add_f64_e32 v[150:151], v[150:151], v[154:155]
	scratch_load_b128 v[126:129], off, off offset:544
	s_wait_loadcnt_dscnt 0xb01
	v_mul_f64_e32 v[154:155], v[4:5], v[112:113]
	v_mul_f64_e32 v[112:113], v[6:7], v[112:113]
	v_fmac_f64_e32 v[156:157], v[14:15], v[106:107]
	v_fma_f64 v[106:107], v[12:13], v[106:107], -v[108:109]
	scratch_load_b128 v[12:15], off, off offset:560
	v_add_f64_e32 v[108:109], v[160:161], v[158:159]
	v_add_f64_e32 v[150:151], v[150:151], v[152:153]
	s_wait_loadcnt_dscnt 0xb00
	v_mul_f64_e32 v[152:153], v[20:21], v[116:117]
	v_mul_f64_e32 v[116:117], v[22:23], v[116:117]
	v_fmac_f64_e32 v[154:155], v[6:7], v[110:111]
	v_fma_f64 v[158:159], v[4:5], v[110:111], -v[112:113]
	v_add_f64_e32 v[160:161], v[108:109], v[106:107]
	v_add_f64_e32 v[150:151], v[150:151], v[156:157]
	ds_load_b128 v[4:7], v2 offset:1056
	ds_load_b128 v[106:109], v2 offset:1072
	scratch_load_b128 v[110:113], off, off offset:576
	v_fmac_f64_e32 v[152:153], v[22:23], v[114:115]
	v_fma_f64 v[114:115], v[20:21], v[114:115], -v[116:117]
	scratch_load_b128 v[20:23], off, off offset:592
	s_wait_loadcnt_dscnt 0xc01
	v_mul_f64_e32 v[156:157], v[4:5], v[120:121]
	v_mul_f64_e32 v[120:121], v[6:7], v[120:121]
	v_add_f64_e32 v[116:117], v[160:161], v[158:159]
	v_add_f64_e32 v[150:151], v[150:151], v[154:155]
	s_wait_loadcnt_dscnt 0xb00
	v_mul_f64_e32 v[154:155], v[106:107], v[124:125]
	v_mul_f64_e32 v[124:125], v[108:109], v[124:125]
	v_fmac_f64_e32 v[156:157], v[6:7], v[118:119]
	v_fma_f64 v[158:159], v[4:5], v[118:119], -v[120:121]
	v_add_f64_e32 v[160:161], v[116:117], v[114:115]
	v_add_f64_e32 v[150:151], v[150:151], v[152:153]
	ds_load_b128 v[4:7], v2 offset:1088
	ds_load_b128 v[114:117], v2 offset:1104
	scratch_load_b128 v[118:121], off, off offset:608
	v_fmac_f64_e32 v[154:155], v[108:109], v[122:123]
	v_fma_f64 v[122:123], v[106:107], v[122:123], -v[124:125]
	scratch_load_b128 v[106:109], off, off offset:624
	s_wait_loadcnt_dscnt 0xc01
	v_mul_f64_e32 v[152:153], v[4:5], v[132:133]
	v_mul_f64_e32 v[132:133], v[6:7], v[132:133]
	v_add_f64_e32 v[124:125], v[160:161], v[158:159]
	v_add_f64_e32 v[150:151], v[150:151], v[156:157]
	s_wait_loadcnt_dscnt 0xa00
	v_mul_f64_e32 v[156:157], v[114:115], v[144:145]
	v_mul_f64_e32 v[144:145], v[116:117], v[144:145]
	v_fmac_f64_e32 v[152:153], v[6:7], v[130:131]
	v_fma_f64 v[130:131], v[4:5], v[130:131], -v[132:133]
	v_add_f64_e32 v[132:133], v[124:125], v[122:123]
	v_add_f64_e32 v[150:151], v[150:151], v[154:155]
	ds_load_b128 v[4:7], v2 offset:1120
	ds_load_b128 v[122:125], v2 offset:1136
	v_fmac_f64_e32 v[156:157], v[116:117], v[142:143]
	v_fma_f64 v[114:115], v[114:115], v[142:143], -v[144:145]
	s_wait_loadcnt_dscnt 0x901
	v_mul_f64_e32 v[154:155], v[4:5], v[148:149]
	v_mul_f64_e32 v[148:149], v[6:7], v[148:149]
	v_add_f64_e32 v[116:117], v[132:133], v[130:131]
	v_add_f64_e32 v[130:131], v[150:151], v[152:153]
	s_wait_loadcnt_dscnt 0x800
	v_mul_f64_e32 v[132:133], v[122:123], v[10:11]
	v_mul_f64_e32 v[10:11], v[124:125], v[10:11]
	v_fmac_f64_e32 v[154:155], v[6:7], v[146:147]
	v_fma_f64 v[142:143], v[4:5], v[146:147], -v[148:149]
	v_add_f64_e32 v[144:145], v[116:117], v[114:115]
	v_add_f64_e32 v[130:131], v[130:131], v[156:157]
	ds_load_b128 v[4:7], v2 offset:1152
	ds_load_b128 v[114:117], v2 offset:1168
	v_fmac_f64_e32 v[132:133], v[124:125], v[8:9]
	v_fma_f64 v[8:9], v[122:123], v[8:9], -v[10:11]
	s_wait_loadcnt_dscnt 0x701
	v_mul_f64_e32 v[146:147], v[4:5], v[136:137]
	v_mul_f64_e32 v[136:137], v[6:7], v[136:137]
	s_wait_loadcnt_dscnt 0x600
	v_mul_f64_e32 v[124:125], v[114:115], v[18:19]
	v_mul_f64_e32 v[18:19], v[116:117], v[18:19]
	v_add_f64_e32 v[10:11], v[144:145], v[142:143]
	v_add_f64_e32 v[122:123], v[130:131], v[154:155]
	v_fmac_f64_e32 v[146:147], v[6:7], v[134:135]
	v_fma_f64 v[130:131], v[4:5], v[134:135], -v[136:137]
	v_fmac_f64_e32 v[124:125], v[116:117], v[16:17]
	v_fma_f64 v[16:17], v[114:115], v[16:17], -v[18:19]
	v_add_f64_e32 v[134:135], v[10:11], v[8:9]
	v_add_f64_e32 v[122:123], v[122:123], v[132:133]
	ds_load_b128 v[4:7], v2 offset:1184
	ds_load_b128 v[8:11], v2 offset:1200
	s_wait_loadcnt_dscnt 0x501
	v_mul_f64_e32 v[132:133], v[4:5], v[128:129]
	v_mul_f64_e32 v[128:129], v[6:7], v[128:129]
	s_wait_loadcnt_dscnt 0x400
	v_mul_f64_e32 v[116:117], v[8:9], v[14:15]
	v_add_f64_e32 v[18:19], v[134:135], v[130:131]
	v_add_f64_e32 v[114:115], v[122:123], v[146:147]
	v_mul_f64_e32 v[122:123], v[10:11], v[14:15]
	v_fmac_f64_e32 v[132:133], v[6:7], v[126:127]
	v_fma_f64 v[126:127], v[4:5], v[126:127], -v[128:129]
	v_fmac_f64_e32 v[116:117], v[10:11], v[12:13]
	v_add_f64_e32 v[18:19], v[18:19], v[16:17]
	v_add_f64_e32 v[114:115], v[114:115], v[124:125]
	ds_load_b128 v[4:7], v2 offset:1216
	ds_load_b128 v[14:17], v2 offset:1232
	v_fma_f64 v[8:9], v[8:9], v[12:13], -v[122:123]
	s_wait_loadcnt_dscnt 0x301
	v_mul_f64_e32 v[124:125], v[4:5], v[112:113]
	v_mul_f64_e32 v[112:113], v[6:7], v[112:113]
	v_add_f64_e32 v[10:11], v[18:19], v[126:127]
	v_add_f64_e32 v[12:13], v[114:115], v[132:133]
	s_wait_loadcnt_dscnt 0x200
	v_mul_f64_e32 v[18:19], v[14:15], v[22:23]
	v_mul_f64_e32 v[22:23], v[16:17], v[22:23]
	v_fmac_f64_e32 v[124:125], v[6:7], v[110:111]
	v_fma_f64 v[110:111], v[4:5], v[110:111], -v[112:113]
	v_add_f64_e32 v[112:113], v[10:11], v[8:9]
	v_add_f64_e32 v[12:13], v[12:13], v[116:117]
	ds_load_b128 v[4:7], v2 offset:1248
	ds_load_b128 v[8:11], v2 offset:1264
	v_fmac_f64_e32 v[18:19], v[16:17], v[20:21]
	v_fma_f64 v[14:15], v[14:15], v[20:21], -v[22:23]
	s_wait_loadcnt_dscnt 0x101
	v_mul_f64_e32 v[2:3], v[4:5], v[120:121]
	v_mul_f64_e32 v[114:115], v[6:7], v[120:121]
	s_wait_loadcnt_dscnt 0x0
	v_mul_f64_e32 v[20:21], v[8:9], v[108:109]
	v_mul_f64_e32 v[22:23], v[10:11], v[108:109]
	v_add_f64_e32 v[16:17], v[112:113], v[110:111]
	v_add_f64_e32 v[12:13], v[12:13], v[124:125]
	v_fmac_f64_e32 v[2:3], v[6:7], v[118:119]
	v_fma_f64 v[4:5], v[4:5], v[118:119], -v[114:115]
	v_fmac_f64_e32 v[20:21], v[10:11], v[106:107]
	v_fma_f64 v[8:9], v[8:9], v[106:107], -v[22:23]
	v_add_f64_e32 v[6:7], v[16:17], v[14:15]
	v_add_f64_e32 v[12:13], v[12:13], v[18:19]
	s_delay_alu instid0(VALU_DEP_2) | instskip(NEXT) | instid1(VALU_DEP_2)
	v_add_f64_e32 v[4:5], v[6:7], v[4:5]
	v_add_f64_e32 v[2:3], v[12:13], v[2:3]
	s_delay_alu instid0(VALU_DEP_2) | instskip(NEXT) | instid1(VALU_DEP_2)
	;; [unrolled: 3-line block ×3, first 2 shown]
	v_add_f64_e64 v[2:3], v[138:139], -v[4:5]
	v_add_f64_e64 v[4:5], v[140:141], -v[6:7]
	scratch_store_b128 off, v[2:5], off offset:272
	s_wait_xcnt 0x0
	v_cmpx_lt_u32_e32 16, v1
	s_cbranch_execz .LBB103_221
; %bb.220:
	scratch_load_b128 v[2:5], off, s40
	v_mov_b32_e32 v6, 0
	s_delay_alu instid0(VALU_DEP_1)
	v_dual_mov_b32 v7, v6 :: v_dual_mov_b32 v8, v6
	v_mov_b32_e32 v9, v6
	scratch_store_b128 off, v[6:9], off offset:256
	s_wait_loadcnt 0x0
	ds_store_b128 v104, v[2:5]
.LBB103_221:
	s_wait_xcnt 0x0
	s_or_b32 exec_lo, exec_lo, s2
	s_wait_storecnt_dscnt 0x0
	s_barrier_signal -1
	s_barrier_wait -1
	s_clause 0x9
	scratch_load_b128 v[4:7], off, off offset:272
	scratch_load_b128 v[8:11], off, off offset:288
	;; [unrolled: 1-line block ×10, first 2 shown]
	v_mov_b32_e32 v2, 0
	s_mov_b32 s2, exec_lo
	ds_load_b128 v[126:129], v2 offset:912
	s_clause 0x2
	scratch_load_b128 v[130:133], off, off offset:432
	scratch_load_b128 v[134:137], off, off offset:256
	;; [unrolled: 1-line block ×3, first 2 shown]
	s_wait_loadcnt_dscnt 0xc00
	v_mul_f64_e32 v[146:147], v[128:129], v[6:7]
	v_mul_f64_e32 v[150:151], v[126:127], v[6:7]
	ds_load_b128 v[138:141], v2 offset:928
	v_fma_f64 v[154:155], v[126:127], v[4:5], -v[146:147]
	v_fmac_f64_e32 v[150:151], v[128:129], v[4:5]
	ds_load_b128 v[4:7], v2 offset:944
	s_wait_loadcnt_dscnt 0xb01
	v_mul_f64_e32 v[152:153], v[138:139], v[10:11]
	v_mul_f64_e32 v[10:11], v[140:141], v[10:11]
	scratch_load_b128 v[126:129], off, off offset:464
	ds_load_b128 v[146:149], v2 offset:960
	s_wait_loadcnt_dscnt 0xb01
	v_mul_f64_e32 v[156:157], v[4:5], v[14:15]
	v_mul_f64_e32 v[14:15], v[6:7], v[14:15]
	v_add_f64_e32 v[150:151], 0, v[150:151]
	v_fmac_f64_e32 v[152:153], v[140:141], v[8:9]
	v_fma_f64 v[138:139], v[138:139], v[8:9], -v[10:11]
	v_add_f64_e32 v[140:141], 0, v[154:155]
	scratch_load_b128 v[8:11], off, off offset:480
	v_fmac_f64_e32 v[156:157], v[6:7], v[12:13]
	v_fma_f64 v[158:159], v[4:5], v[12:13], -v[14:15]
	ds_load_b128 v[4:7], v2 offset:976
	s_wait_loadcnt_dscnt 0xb01
	v_mul_f64_e32 v[154:155], v[146:147], v[18:19]
	v_mul_f64_e32 v[18:19], v[148:149], v[18:19]
	scratch_load_b128 v[12:15], off, off offset:496
	v_add_f64_e32 v[150:151], v[150:151], v[152:153]
	v_add_f64_e32 v[160:161], v[140:141], v[138:139]
	ds_load_b128 v[138:141], v2 offset:992
	s_wait_loadcnt_dscnt 0xb01
	v_mul_f64_e32 v[152:153], v[4:5], v[22:23]
	v_mul_f64_e32 v[22:23], v[6:7], v[22:23]
	v_fmac_f64_e32 v[154:155], v[148:149], v[16:17]
	v_fma_f64 v[146:147], v[146:147], v[16:17], -v[18:19]
	scratch_load_b128 v[16:19], off, off offset:512
	v_add_f64_e32 v[150:151], v[150:151], v[156:157]
	v_add_f64_e32 v[148:149], v[160:161], v[158:159]
	v_fmac_f64_e32 v[152:153], v[6:7], v[20:21]
	v_fma_f64 v[158:159], v[4:5], v[20:21], -v[22:23]
	ds_load_b128 v[4:7], v2 offset:1008
	s_wait_loadcnt_dscnt 0xb01
	v_mul_f64_e32 v[156:157], v[138:139], v[108:109]
	v_mul_f64_e32 v[108:109], v[140:141], v[108:109]
	scratch_load_b128 v[20:23], off, off offset:528
	v_add_f64_e32 v[150:151], v[150:151], v[154:155]
	s_wait_loadcnt_dscnt 0xb00
	v_mul_f64_e32 v[154:155], v[4:5], v[112:113]
	v_add_f64_e32 v[160:161], v[148:149], v[146:147]
	v_mul_f64_e32 v[112:113], v[6:7], v[112:113]
	ds_load_b128 v[146:149], v2 offset:1024
	v_fmac_f64_e32 v[156:157], v[140:141], v[106:107]
	v_fma_f64 v[138:139], v[138:139], v[106:107], -v[108:109]
	scratch_load_b128 v[106:109], off, off offset:544
	v_add_f64_e32 v[150:151], v[150:151], v[152:153]
	v_fmac_f64_e32 v[154:155], v[6:7], v[110:111]
	v_add_f64_e32 v[140:141], v[160:161], v[158:159]
	v_fma_f64 v[158:159], v[4:5], v[110:111], -v[112:113]
	ds_load_b128 v[4:7], v2 offset:1040
	s_wait_loadcnt_dscnt 0xb01
	v_mul_f64_e32 v[152:153], v[146:147], v[116:117]
	v_mul_f64_e32 v[116:117], v[148:149], v[116:117]
	scratch_load_b128 v[110:113], off, off offset:560
	v_add_f64_e32 v[150:151], v[150:151], v[156:157]
	s_wait_loadcnt_dscnt 0xb00
	v_mul_f64_e32 v[156:157], v[4:5], v[120:121]
	v_add_f64_e32 v[160:161], v[140:141], v[138:139]
	v_mul_f64_e32 v[120:121], v[6:7], v[120:121]
	ds_load_b128 v[138:141], v2 offset:1056
	v_fmac_f64_e32 v[152:153], v[148:149], v[114:115]
	v_fma_f64 v[146:147], v[146:147], v[114:115], -v[116:117]
	scratch_load_b128 v[114:117], off, off offset:576
	v_add_f64_e32 v[150:151], v[150:151], v[154:155]
	v_fmac_f64_e32 v[156:157], v[6:7], v[118:119]
	v_add_f64_e32 v[148:149], v[160:161], v[158:159]
	;; [unrolled: 18-line block ×3, first 2 shown]
	v_fma_f64 v[158:159], v[4:5], v[130:131], -v[132:133]
	ds_load_b128 v[4:7], v2 offset:1104
	s_wait_loadcnt_dscnt 0xa01
	v_mul_f64_e32 v[156:157], v[146:147], v[144:145]
	v_mul_f64_e32 v[144:145], v[148:149], v[144:145]
	scratch_load_b128 v[130:133], off, off offset:624
	v_add_f64_e32 v[150:151], v[150:151], v[154:155]
	v_add_f64_e32 v[160:161], v[140:141], v[138:139]
	s_wait_loadcnt_dscnt 0xa00
	v_mul_f64_e32 v[154:155], v[4:5], v[128:129]
	v_mul_f64_e32 v[128:129], v[6:7], v[128:129]
	v_fmac_f64_e32 v[156:157], v[148:149], v[142:143]
	v_fma_f64 v[142:143], v[146:147], v[142:143], -v[144:145]
	ds_load_b128 v[138:141], v2 offset:1120
	v_add_f64_e32 v[146:147], v[150:151], v[152:153]
	v_add_f64_e32 v[144:145], v[160:161], v[158:159]
	s_wait_loadcnt_dscnt 0x900
	v_mul_f64_e32 v[148:149], v[138:139], v[10:11]
	v_mul_f64_e32 v[10:11], v[140:141], v[10:11]
	v_fmac_f64_e32 v[154:155], v[6:7], v[126:127]
	v_fma_f64 v[150:151], v[4:5], v[126:127], -v[128:129]
	ds_load_b128 v[4:7], v2 offset:1136
	ds_load_b128 v[126:129], v2 offset:1152
	v_add_f64_e32 v[142:143], v[144:145], v[142:143]
	v_add_f64_e32 v[144:145], v[146:147], v[156:157]
	s_wait_loadcnt_dscnt 0x801
	v_mul_f64_e32 v[146:147], v[4:5], v[14:15]
	v_mul_f64_e32 v[14:15], v[6:7], v[14:15]
	v_fmac_f64_e32 v[148:149], v[140:141], v[8:9]
	v_fma_f64 v[8:9], v[138:139], v[8:9], -v[10:11]
	s_wait_loadcnt_dscnt 0x700
	v_mul_f64_e32 v[140:141], v[126:127], v[18:19]
	v_mul_f64_e32 v[18:19], v[128:129], v[18:19]
	v_add_f64_e32 v[10:11], v[142:143], v[150:151]
	v_add_f64_e32 v[138:139], v[144:145], v[154:155]
	v_fmac_f64_e32 v[146:147], v[6:7], v[12:13]
	v_fma_f64 v[12:13], v[4:5], v[12:13], -v[14:15]
	v_fmac_f64_e32 v[140:141], v[128:129], v[16:17]
	v_fma_f64 v[16:17], v[126:127], v[16:17], -v[18:19]
	v_add_f64_e32 v[14:15], v[10:11], v[8:9]
	v_add_f64_e32 v[138:139], v[138:139], v[148:149]
	ds_load_b128 v[4:7], v2 offset:1168
	ds_load_b128 v[8:11], v2 offset:1184
	s_wait_loadcnt_dscnt 0x601
	v_mul_f64_e32 v[142:143], v[4:5], v[22:23]
	v_mul_f64_e32 v[22:23], v[6:7], v[22:23]
	s_wait_loadcnt_dscnt 0x500
	v_mul_f64_e32 v[18:19], v[8:9], v[108:109]
	v_mul_f64_e32 v[108:109], v[10:11], v[108:109]
	v_add_f64_e32 v[12:13], v[14:15], v[12:13]
	v_add_f64_e32 v[14:15], v[138:139], v[146:147]
	v_fmac_f64_e32 v[142:143], v[6:7], v[20:21]
	v_fma_f64 v[20:21], v[4:5], v[20:21], -v[22:23]
	v_fmac_f64_e32 v[18:19], v[10:11], v[106:107]
	v_fma_f64 v[8:9], v[8:9], v[106:107], -v[108:109]
	v_add_f64_e32 v[16:17], v[12:13], v[16:17]
	v_add_f64_e32 v[22:23], v[14:15], v[140:141]
	ds_load_b128 v[4:7], v2 offset:1200
	ds_load_b128 v[12:15], v2 offset:1216
	s_wait_loadcnt_dscnt 0x401
	v_mul_f64_e32 v[126:127], v[4:5], v[112:113]
	v_mul_f64_e32 v[112:113], v[6:7], v[112:113]
	v_add_f64_e32 v[10:11], v[16:17], v[20:21]
	v_add_f64_e32 v[16:17], v[22:23], v[142:143]
	s_wait_loadcnt_dscnt 0x300
	v_mul_f64_e32 v[20:21], v[12:13], v[116:117]
	v_mul_f64_e32 v[22:23], v[14:15], v[116:117]
	v_fmac_f64_e32 v[126:127], v[6:7], v[110:111]
	v_fma_f64 v[106:107], v[4:5], v[110:111], -v[112:113]
	v_add_f64_e32 v[108:109], v[10:11], v[8:9]
	v_add_f64_e32 v[16:17], v[16:17], v[18:19]
	ds_load_b128 v[4:7], v2 offset:1232
	ds_load_b128 v[8:11], v2 offset:1248
	v_fmac_f64_e32 v[20:21], v[14:15], v[114:115]
	v_fma_f64 v[12:13], v[12:13], v[114:115], -v[22:23]
	s_wait_loadcnt_dscnt 0x201
	v_mul_f64_e32 v[18:19], v[4:5], v[120:121]
	v_mul_f64_e32 v[110:111], v[6:7], v[120:121]
	s_wait_loadcnt_dscnt 0x100
	v_mul_f64_e32 v[22:23], v[8:9], v[124:125]
	v_add_f64_e32 v[14:15], v[108:109], v[106:107]
	v_add_f64_e32 v[16:17], v[16:17], v[126:127]
	v_mul_f64_e32 v[106:107], v[10:11], v[124:125]
	v_fmac_f64_e32 v[18:19], v[6:7], v[118:119]
	v_fma_f64 v[108:109], v[4:5], v[118:119], -v[110:111]
	ds_load_b128 v[4:7], v2 offset:1264
	v_fmac_f64_e32 v[22:23], v[10:11], v[122:123]
	v_add_f64_e32 v[12:13], v[14:15], v[12:13]
	v_add_f64_e32 v[14:15], v[16:17], v[20:21]
	v_fma_f64 v[8:9], v[8:9], v[122:123], -v[106:107]
	s_wait_loadcnt_dscnt 0x0
	v_mul_f64_e32 v[16:17], v[4:5], v[132:133]
	v_mul_f64_e32 v[20:21], v[6:7], v[132:133]
	v_add_f64_e32 v[10:11], v[12:13], v[108:109]
	v_add_f64_e32 v[12:13], v[14:15], v[18:19]
	s_delay_alu instid0(VALU_DEP_4) | instskip(NEXT) | instid1(VALU_DEP_4)
	v_fmac_f64_e32 v[16:17], v[6:7], v[130:131]
	v_fma_f64 v[4:5], v[4:5], v[130:131], -v[20:21]
	s_delay_alu instid0(VALU_DEP_4) | instskip(NEXT) | instid1(VALU_DEP_4)
	v_add_f64_e32 v[6:7], v[10:11], v[8:9]
	v_add_f64_e32 v[8:9], v[12:13], v[22:23]
	s_delay_alu instid0(VALU_DEP_2) | instskip(NEXT) | instid1(VALU_DEP_2)
	v_add_f64_e32 v[4:5], v[6:7], v[4:5]
	v_add_f64_e32 v[6:7], v[8:9], v[16:17]
	s_delay_alu instid0(VALU_DEP_2) | instskip(NEXT) | instid1(VALU_DEP_2)
	v_add_f64_e64 v[4:5], v[134:135], -v[4:5]
	v_add_f64_e64 v[6:7], v[136:137], -v[6:7]
	scratch_store_b128 off, v[4:7], off offset:256
	s_wait_xcnt 0x0
	v_cmpx_lt_u32_e32 15, v1
	s_cbranch_execz .LBB103_223
; %bb.222:
	scratch_load_b128 v[6:9], off, s41
	v_dual_mov_b32 v3, v2 :: v_dual_mov_b32 v4, v2
	v_mov_b32_e32 v5, v2
	scratch_store_b128 off, v[2:5], off offset:240
	s_wait_loadcnt 0x0
	ds_store_b128 v104, v[6:9]
.LBB103_223:
	s_wait_xcnt 0x0
	s_or_b32 exec_lo, exec_lo, s2
	s_wait_storecnt_dscnt 0x0
	s_barrier_signal -1
	s_barrier_wait -1
	s_clause 0x9
	scratch_load_b128 v[4:7], off, off offset:256
	scratch_load_b128 v[8:11], off, off offset:272
	;; [unrolled: 1-line block ×10, first 2 shown]
	ds_load_b128 v[126:129], v2 offset:896
	ds_load_b128 v[134:137], v2 offset:912
	s_clause 0x2
	scratch_load_b128 v[130:133], off, off offset:416
	scratch_load_b128 v[138:141], off, off offset:240
	;; [unrolled: 1-line block ×3, first 2 shown]
	s_mov_b32 s2, exec_lo
	s_wait_loadcnt_dscnt 0xc01
	v_mul_f64_e32 v[146:147], v[128:129], v[6:7]
	v_mul_f64_e32 v[150:151], v[126:127], v[6:7]
	s_wait_loadcnt_dscnt 0xb00
	v_mul_f64_e32 v[152:153], v[134:135], v[10:11]
	v_mul_f64_e32 v[10:11], v[136:137], v[10:11]
	s_delay_alu instid0(VALU_DEP_4) | instskip(NEXT) | instid1(VALU_DEP_4)
	v_fma_f64 v[154:155], v[126:127], v[4:5], -v[146:147]
	v_fmac_f64_e32 v[150:151], v[128:129], v[4:5]
	ds_load_b128 v[4:7], v2 offset:928
	ds_load_b128 v[126:129], v2 offset:944
	scratch_load_b128 v[146:149], off, off offset:448
	v_fmac_f64_e32 v[152:153], v[136:137], v[8:9]
	v_fma_f64 v[134:135], v[134:135], v[8:9], -v[10:11]
	scratch_load_b128 v[8:11], off, off offset:464
	s_wait_loadcnt_dscnt 0xc01
	v_mul_f64_e32 v[156:157], v[4:5], v[14:15]
	v_mul_f64_e32 v[14:15], v[6:7], v[14:15]
	v_add_f64_e32 v[136:137], 0, v[154:155]
	v_add_f64_e32 v[150:151], 0, v[150:151]
	s_wait_loadcnt_dscnt 0xb00
	v_mul_f64_e32 v[154:155], v[126:127], v[18:19]
	v_mul_f64_e32 v[18:19], v[128:129], v[18:19]
	v_fmac_f64_e32 v[156:157], v[6:7], v[12:13]
	v_fma_f64 v[158:159], v[4:5], v[12:13], -v[14:15]
	ds_load_b128 v[4:7], v2 offset:960
	ds_load_b128 v[12:15], v2 offset:976
	v_add_f64_e32 v[160:161], v[136:137], v[134:135]
	v_add_f64_e32 v[150:151], v[150:151], v[152:153]
	scratch_load_b128 v[134:137], off, off offset:480
	v_fmac_f64_e32 v[154:155], v[128:129], v[16:17]
	v_fma_f64 v[126:127], v[126:127], v[16:17], -v[18:19]
	scratch_load_b128 v[16:19], off, off offset:496
	s_wait_loadcnt_dscnt 0xc01
	v_mul_f64_e32 v[152:153], v[4:5], v[22:23]
	v_mul_f64_e32 v[22:23], v[6:7], v[22:23]
	v_add_f64_e32 v[128:129], v[160:161], v[158:159]
	v_add_f64_e32 v[150:151], v[150:151], v[156:157]
	s_wait_loadcnt_dscnt 0xb00
	v_mul_f64_e32 v[156:157], v[12:13], v[108:109]
	v_mul_f64_e32 v[108:109], v[14:15], v[108:109]
	v_fmac_f64_e32 v[152:153], v[6:7], v[20:21]
	v_fma_f64 v[158:159], v[4:5], v[20:21], -v[22:23]
	ds_load_b128 v[4:7], v2 offset:992
	ds_load_b128 v[20:23], v2 offset:1008
	v_add_f64_e32 v[160:161], v[128:129], v[126:127]
	v_add_f64_e32 v[150:151], v[150:151], v[154:155]
	scratch_load_b128 v[126:129], off, off offset:512
	s_wait_loadcnt_dscnt 0xb01
	v_mul_f64_e32 v[154:155], v[4:5], v[112:113]
	v_mul_f64_e32 v[112:113], v[6:7], v[112:113]
	v_fmac_f64_e32 v[156:157], v[14:15], v[106:107]
	v_fma_f64 v[106:107], v[12:13], v[106:107], -v[108:109]
	scratch_load_b128 v[12:15], off, off offset:528
	v_add_f64_e32 v[108:109], v[160:161], v[158:159]
	v_add_f64_e32 v[150:151], v[150:151], v[152:153]
	s_wait_loadcnt_dscnt 0xb00
	v_mul_f64_e32 v[152:153], v[20:21], v[116:117]
	v_mul_f64_e32 v[116:117], v[22:23], v[116:117]
	v_fmac_f64_e32 v[154:155], v[6:7], v[110:111]
	v_fma_f64 v[158:159], v[4:5], v[110:111], -v[112:113]
	v_add_f64_e32 v[160:161], v[108:109], v[106:107]
	v_add_f64_e32 v[150:151], v[150:151], v[156:157]
	ds_load_b128 v[4:7], v2 offset:1024
	ds_load_b128 v[106:109], v2 offset:1040
	scratch_load_b128 v[110:113], off, off offset:544
	v_fmac_f64_e32 v[152:153], v[22:23], v[114:115]
	v_fma_f64 v[114:115], v[20:21], v[114:115], -v[116:117]
	scratch_load_b128 v[20:23], off, off offset:560
	s_wait_loadcnt_dscnt 0xc01
	v_mul_f64_e32 v[156:157], v[4:5], v[120:121]
	v_mul_f64_e32 v[120:121], v[6:7], v[120:121]
	v_add_f64_e32 v[116:117], v[160:161], v[158:159]
	v_add_f64_e32 v[150:151], v[150:151], v[154:155]
	s_wait_loadcnt_dscnt 0xb00
	v_mul_f64_e32 v[154:155], v[106:107], v[124:125]
	v_mul_f64_e32 v[124:125], v[108:109], v[124:125]
	v_fmac_f64_e32 v[156:157], v[6:7], v[118:119]
	v_fma_f64 v[158:159], v[4:5], v[118:119], -v[120:121]
	v_add_f64_e32 v[160:161], v[116:117], v[114:115]
	v_add_f64_e32 v[150:151], v[150:151], v[152:153]
	ds_load_b128 v[4:7], v2 offset:1056
	ds_load_b128 v[114:117], v2 offset:1072
	scratch_load_b128 v[118:121], off, off offset:576
	v_fmac_f64_e32 v[154:155], v[108:109], v[122:123]
	v_fma_f64 v[122:123], v[106:107], v[122:123], -v[124:125]
	scratch_load_b128 v[106:109], off, off offset:592
	s_wait_loadcnt_dscnt 0xc01
	v_mul_f64_e32 v[152:153], v[4:5], v[132:133]
	v_mul_f64_e32 v[132:133], v[6:7], v[132:133]
	;; [unrolled: 18-line block ×3, first 2 shown]
	v_add_f64_e32 v[144:145], v[160:161], v[158:159]
	v_add_f64_e32 v[150:151], v[150:151], v[152:153]
	s_wait_loadcnt_dscnt 0xa00
	v_mul_f64_e32 v[152:153], v[122:123], v[10:11]
	v_mul_f64_e32 v[10:11], v[124:125], v[10:11]
	v_fmac_f64_e32 v[154:155], v[6:7], v[146:147]
	v_fma_f64 v[146:147], v[4:5], v[146:147], -v[148:149]
	v_add_f64_e32 v[148:149], v[144:145], v[142:143]
	v_add_f64_e32 v[150:151], v[150:151], v[156:157]
	ds_load_b128 v[4:7], v2 offset:1120
	ds_load_b128 v[142:145], v2 offset:1136
	v_fmac_f64_e32 v[152:153], v[124:125], v[8:9]
	v_fma_f64 v[8:9], v[122:123], v[8:9], -v[10:11]
	s_wait_loadcnt_dscnt 0x901
	v_mul_f64_e32 v[156:157], v[4:5], v[136:137]
	v_mul_f64_e32 v[136:137], v[6:7], v[136:137]
	s_wait_loadcnt_dscnt 0x800
	v_mul_f64_e32 v[124:125], v[142:143], v[18:19]
	v_mul_f64_e32 v[18:19], v[144:145], v[18:19]
	v_add_f64_e32 v[10:11], v[148:149], v[146:147]
	v_add_f64_e32 v[122:123], v[150:151], v[154:155]
	v_fmac_f64_e32 v[156:157], v[6:7], v[134:135]
	v_fma_f64 v[134:135], v[4:5], v[134:135], -v[136:137]
	v_fmac_f64_e32 v[124:125], v[144:145], v[16:17]
	v_fma_f64 v[16:17], v[142:143], v[16:17], -v[18:19]
	v_add_f64_e32 v[136:137], v[10:11], v[8:9]
	v_add_f64_e32 v[122:123], v[122:123], v[152:153]
	ds_load_b128 v[4:7], v2 offset:1152
	ds_load_b128 v[8:11], v2 offset:1168
	s_wait_loadcnt_dscnt 0x701
	v_mul_f64_e32 v[146:147], v[4:5], v[128:129]
	v_mul_f64_e32 v[128:129], v[6:7], v[128:129]
	v_add_f64_e32 v[18:19], v[136:137], v[134:135]
	v_add_f64_e32 v[122:123], v[122:123], v[156:157]
	s_wait_loadcnt_dscnt 0x600
	v_mul_f64_e32 v[134:135], v[8:9], v[14:15]
	v_mul_f64_e32 v[136:137], v[10:11], v[14:15]
	v_fmac_f64_e32 v[146:147], v[6:7], v[126:127]
	v_fma_f64 v[126:127], v[4:5], v[126:127], -v[128:129]
	v_add_f64_e32 v[18:19], v[18:19], v[16:17]
	v_add_f64_e32 v[122:123], v[122:123], v[124:125]
	ds_load_b128 v[4:7], v2 offset:1184
	ds_load_b128 v[14:17], v2 offset:1200
	v_fmac_f64_e32 v[134:135], v[10:11], v[12:13]
	v_fma_f64 v[8:9], v[8:9], v[12:13], -v[136:137]
	s_wait_loadcnt_dscnt 0x501
	v_mul_f64_e32 v[124:125], v[4:5], v[112:113]
	v_mul_f64_e32 v[112:113], v[6:7], v[112:113]
	v_add_f64_e32 v[10:11], v[18:19], v[126:127]
	v_add_f64_e32 v[12:13], v[122:123], v[146:147]
	s_wait_loadcnt_dscnt 0x400
	v_mul_f64_e32 v[18:19], v[14:15], v[22:23]
	v_mul_f64_e32 v[22:23], v[16:17], v[22:23]
	v_fmac_f64_e32 v[124:125], v[6:7], v[110:111]
	v_fma_f64 v[110:111], v[4:5], v[110:111], -v[112:113]
	v_add_f64_e32 v[112:113], v[10:11], v[8:9]
	v_add_f64_e32 v[12:13], v[12:13], v[134:135]
	ds_load_b128 v[4:7], v2 offset:1216
	ds_load_b128 v[8:11], v2 offset:1232
	v_fmac_f64_e32 v[18:19], v[16:17], v[20:21]
	v_fma_f64 v[14:15], v[14:15], v[20:21], -v[22:23]
	s_wait_loadcnt_dscnt 0x301
	v_mul_f64_e32 v[122:123], v[4:5], v[120:121]
	v_mul_f64_e32 v[120:121], v[6:7], v[120:121]
	s_wait_loadcnt_dscnt 0x200
	v_mul_f64_e32 v[20:21], v[8:9], v[108:109]
	v_mul_f64_e32 v[22:23], v[10:11], v[108:109]
	v_add_f64_e32 v[16:17], v[112:113], v[110:111]
	v_add_f64_e32 v[12:13], v[12:13], v[124:125]
	v_fmac_f64_e32 v[122:123], v[6:7], v[118:119]
	v_fma_f64 v[108:109], v[4:5], v[118:119], -v[120:121]
	v_fmac_f64_e32 v[20:21], v[10:11], v[106:107]
	v_fma_f64 v[8:9], v[8:9], v[106:107], -v[22:23]
	v_add_f64_e32 v[16:17], v[16:17], v[14:15]
	v_add_f64_e32 v[18:19], v[12:13], v[18:19]
	ds_load_b128 v[4:7], v2 offset:1248
	ds_load_b128 v[12:15], v2 offset:1264
	s_wait_loadcnt_dscnt 0x101
	v_mul_f64_e32 v[2:3], v[4:5], v[132:133]
	v_mul_f64_e32 v[110:111], v[6:7], v[132:133]
	s_wait_loadcnt_dscnt 0x0
	v_mul_f64_e32 v[22:23], v[14:15], v[116:117]
	v_add_f64_e32 v[10:11], v[16:17], v[108:109]
	v_add_f64_e32 v[16:17], v[18:19], v[122:123]
	v_mul_f64_e32 v[18:19], v[12:13], v[116:117]
	v_fmac_f64_e32 v[2:3], v[6:7], v[130:131]
	v_fma_f64 v[4:5], v[4:5], v[130:131], -v[110:111]
	v_add_f64_e32 v[6:7], v[10:11], v[8:9]
	v_add_f64_e32 v[8:9], v[16:17], v[20:21]
	v_fmac_f64_e32 v[18:19], v[14:15], v[114:115]
	v_fma_f64 v[10:11], v[12:13], v[114:115], -v[22:23]
	s_delay_alu instid0(VALU_DEP_4) | instskip(NEXT) | instid1(VALU_DEP_4)
	v_add_f64_e32 v[4:5], v[6:7], v[4:5]
	v_add_f64_e32 v[2:3], v[8:9], v[2:3]
	s_delay_alu instid0(VALU_DEP_2) | instskip(NEXT) | instid1(VALU_DEP_2)
	v_add_f64_e32 v[4:5], v[4:5], v[10:11]
	v_add_f64_e32 v[6:7], v[2:3], v[18:19]
	s_delay_alu instid0(VALU_DEP_2) | instskip(NEXT) | instid1(VALU_DEP_2)
	v_add_f64_e64 v[2:3], v[138:139], -v[4:5]
	v_add_f64_e64 v[4:5], v[140:141], -v[6:7]
	scratch_store_b128 off, v[2:5], off offset:240
	s_wait_xcnt 0x0
	v_cmpx_lt_u32_e32 14, v1
	s_cbranch_execz .LBB103_225
; %bb.224:
	scratch_load_b128 v[2:5], off, s42
	v_mov_b32_e32 v6, 0
	s_delay_alu instid0(VALU_DEP_1)
	v_dual_mov_b32 v7, v6 :: v_dual_mov_b32 v8, v6
	v_mov_b32_e32 v9, v6
	scratch_store_b128 off, v[6:9], off offset:224
	s_wait_loadcnt 0x0
	ds_store_b128 v104, v[2:5]
.LBB103_225:
	s_wait_xcnt 0x0
	s_or_b32 exec_lo, exec_lo, s2
	s_wait_storecnt_dscnt 0x0
	s_barrier_signal -1
	s_barrier_wait -1
	s_clause 0x9
	scratch_load_b128 v[4:7], off, off offset:240
	scratch_load_b128 v[8:11], off, off offset:256
	;; [unrolled: 1-line block ×10, first 2 shown]
	v_mov_b32_e32 v2, 0
	s_mov_b32 s2, exec_lo
	ds_load_b128 v[126:129], v2 offset:880
	s_clause 0x2
	scratch_load_b128 v[130:133], off, off offset:400
	scratch_load_b128 v[134:137], off, off offset:224
	scratch_load_b128 v[142:145], off, off offset:416
	s_wait_loadcnt_dscnt 0xc00
	v_mul_f64_e32 v[146:147], v[128:129], v[6:7]
	v_mul_f64_e32 v[150:151], v[126:127], v[6:7]
	ds_load_b128 v[138:141], v2 offset:896
	v_fma_f64 v[154:155], v[126:127], v[4:5], -v[146:147]
	v_fmac_f64_e32 v[150:151], v[128:129], v[4:5]
	ds_load_b128 v[4:7], v2 offset:912
	s_wait_loadcnt_dscnt 0xb01
	v_mul_f64_e32 v[152:153], v[138:139], v[10:11]
	v_mul_f64_e32 v[10:11], v[140:141], v[10:11]
	scratch_load_b128 v[126:129], off, off offset:432
	ds_load_b128 v[146:149], v2 offset:928
	s_wait_loadcnt_dscnt 0xb01
	v_mul_f64_e32 v[156:157], v[4:5], v[14:15]
	v_mul_f64_e32 v[14:15], v[6:7], v[14:15]
	v_add_f64_e32 v[150:151], 0, v[150:151]
	v_fmac_f64_e32 v[152:153], v[140:141], v[8:9]
	v_fma_f64 v[138:139], v[138:139], v[8:9], -v[10:11]
	v_add_f64_e32 v[140:141], 0, v[154:155]
	scratch_load_b128 v[8:11], off, off offset:448
	v_fmac_f64_e32 v[156:157], v[6:7], v[12:13]
	v_fma_f64 v[158:159], v[4:5], v[12:13], -v[14:15]
	ds_load_b128 v[4:7], v2 offset:944
	s_wait_loadcnt_dscnt 0xb01
	v_mul_f64_e32 v[154:155], v[146:147], v[18:19]
	v_mul_f64_e32 v[18:19], v[148:149], v[18:19]
	scratch_load_b128 v[12:15], off, off offset:464
	v_add_f64_e32 v[150:151], v[150:151], v[152:153]
	v_add_f64_e32 v[160:161], v[140:141], v[138:139]
	ds_load_b128 v[138:141], v2 offset:960
	s_wait_loadcnt_dscnt 0xb01
	v_mul_f64_e32 v[152:153], v[4:5], v[22:23]
	v_mul_f64_e32 v[22:23], v[6:7], v[22:23]
	v_fmac_f64_e32 v[154:155], v[148:149], v[16:17]
	v_fma_f64 v[146:147], v[146:147], v[16:17], -v[18:19]
	scratch_load_b128 v[16:19], off, off offset:480
	v_add_f64_e32 v[150:151], v[150:151], v[156:157]
	v_add_f64_e32 v[148:149], v[160:161], v[158:159]
	v_fmac_f64_e32 v[152:153], v[6:7], v[20:21]
	v_fma_f64 v[158:159], v[4:5], v[20:21], -v[22:23]
	ds_load_b128 v[4:7], v2 offset:976
	s_wait_loadcnt_dscnt 0xb01
	v_mul_f64_e32 v[156:157], v[138:139], v[108:109]
	v_mul_f64_e32 v[108:109], v[140:141], v[108:109]
	scratch_load_b128 v[20:23], off, off offset:496
	v_add_f64_e32 v[150:151], v[150:151], v[154:155]
	s_wait_loadcnt_dscnt 0xb00
	v_mul_f64_e32 v[154:155], v[4:5], v[112:113]
	v_add_f64_e32 v[160:161], v[148:149], v[146:147]
	v_mul_f64_e32 v[112:113], v[6:7], v[112:113]
	ds_load_b128 v[146:149], v2 offset:992
	v_fmac_f64_e32 v[156:157], v[140:141], v[106:107]
	v_fma_f64 v[138:139], v[138:139], v[106:107], -v[108:109]
	scratch_load_b128 v[106:109], off, off offset:512
	v_add_f64_e32 v[150:151], v[150:151], v[152:153]
	v_fmac_f64_e32 v[154:155], v[6:7], v[110:111]
	v_add_f64_e32 v[140:141], v[160:161], v[158:159]
	v_fma_f64 v[158:159], v[4:5], v[110:111], -v[112:113]
	ds_load_b128 v[4:7], v2 offset:1008
	s_wait_loadcnt_dscnt 0xb01
	v_mul_f64_e32 v[152:153], v[146:147], v[116:117]
	v_mul_f64_e32 v[116:117], v[148:149], v[116:117]
	scratch_load_b128 v[110:113], off, off offset:528
	v_add_f64_e32 v[150:151], v[150:151], v[156:157]
	s_wait_loadcnt_dscnt 0xb00
	v_mul_f64_e32 v[156:157], v[4:5], v[120:121]
	v_add_f64_e32 v[160:161], v[140:141], v[138:139]
	v_mul_f64_e32 v[120:121], v[6:7], v[120:121]
	ds_load_b128 v[138:141], v2 offset:1024
	v_fmac_f64_e32 v[152:153], v[148:149], v[114:115]
	v_fma_f64 v[146:147], v[146:147], v[114:115], -v[116:117]
	scratch_load_b128 v[114:117], off, off offset:544
	v_add_f64_e32 v[150:151], v[150:151], v[154:155]
	v_fmac_f64_e32 v[156:157], v[6:7], v[118:119]
	v_add_f64_e32 v[148:149], v[160:161], v[158:159]
	;; [unrolled: 18-line block ×3, first 2 shown]
	v_fma_f64 v[158:159], v[4:5], v[130:131], -v[132:133]
	ds_load_b128 v[4:7], v2 offset:1072
	s_wait_loadcnt_dscnt 0xa01
	v_mul_f64_e32 v[156:157], v[146:147], v[144:145]
	v_mul_f64_e32 v[144:145], v[148:149], v[144:145]
	scratch_load_b128 v[130:133], off, off offset:592
	v_add_f64_e32 v[150:151], v[150:151], v[154:155]
	v_add_f64_e32 v[160:161], v[140:141], v[138:139]
	s_wait_loadcnt_dscnt 0xa00
	v_mul_f64_e32 v[154:155], v[4:5], v[128:129]
	v_mul_f64_e32 v[128:129], v[6:7], v[128:129]
	v_fmac_f64_e32 v[156:157], v[148:149], v[142:143]
	v_fma_f64 v[146:147], v[146:147], v[142:143], -v[144:145]
	ds_load_b128 v[138:141], v2 offset:1088
	scratch_load_b128 v[142:145], off, off offset:608
	v_add_f64_e32 v[150:151], v[150:151], v[152:153]
	v_add_f64_e32 v[148:149], v[160:161], v[158:159]
	v_fmac_f64_e32 v[154:155], v[6:7], v[126:127]
	v_fma_f64 v[158:159], v[4:5], v[126:127], -v[128:129]
	ds_load_b128 v[4:7], v2 offset:1104
	s_wait_loadcnt_dscnt 0xa01
	v_mul_f64_e32 v[152:153], v[138:139], v[10:11]
	v_mul_f64_e32 v[10:11], v[140:141], v[10:11]
	scratch_load_b128 v[126:129], off, off offset:624
	v_add_f64_e32 v[150:151], v[150:151], v[156:157]
	s_wait_loadcnt_dscnt 0xa00
	v_mul_f64_e32 v[156:157], v[4:5], v[14:15]
	v_add_f64_e32 v[160:161], v[148:149], v[146:147]
	v_mul_f64_e32 v[14:15], v[6:7], v[14:15]
	ds_load_b128 v[146:149], v2 offset:1120
	v_fmac_f64_e32 v[152:153], v[140:141], v[8:9]
	v_fma_f64 v[8:9], v[138:139], v[8:9], -v[10:11]
	s_wait_loadcnt_dscnt 0x900
	v_mul_f64_e32 v[140:141], v[146:147], v[18:19]
	v_mul_f64_e32 v[18:19], v[148:149], v[18:19]
	v_add_f64_e32 v[138:139], v[150:151], v[154:155]
	v_fmac_f64_e32 v[156:157], v[6:7], v[12:13]
	v_add_f64_e32 v[10:11], v[160:161], v[158:159]
	v_fma_f64 v[12:13], v[4:5], v[12:13], -v[14:15]
	v_fmac_f64_e32 v[140:141], v[148:149], v[16:17]
	v_fma_f64 v[16:17], v[146:147], v[16:17], -v[18:19]
	v_add_f64_e32 v[138:139], v[138:139], v[152:153]
	v_add_f64_e32 v[14:15], v[10:11], v[8:9]
	ds_load_b128 v[4:7], v2 offset:1136
	ds_load_b128 v[8:11], v2 offset:1152
	s_wait_loadcnt_dscnt 0x801
	v_mul_f64_e32 v[150:151], v[4:5], v[22:23]
	v_mul_f64_e32 v[22:23], v[6:7], v[22:23]
	s_wait_loadcnt_dscnt 0x700
	v_mul_f64_e32 v[18:19], v[8:9], v[108:109]
	v_mul_f64_e32 v[108:109], v[10:11], v[108:109]
	v_add_f64_e32 v[12:13], v[14:15], v[12:13]
	v_add_f64_e32 v[14:15], v[138:139], v[156:157]
	v_fmac_f64_e32 v[150:151], v[6:7], v[20:21]
	v_fma_f64 v[20:21], v[4:5], v[20:21], -v[22:23]
	v_fmac_f64_e32 v[18:19], v[10:11], v[106:107]
	v_fma_f64 v[8:9], v[8:9], v[106:107], -v[108:109]
	v_add_f64_e32 v[16:17], v[12:13], v[16:17]
	v_add_f64_e32 v[22:23], v[14:15], v[140:141]
	ds_load_b128 v[4:7], v2 offset:1168
	ds_load_b128 v[12:15], v2 offset:1184
	s_wait_loadcnt_dscnt 0x601
	v_mul_f64_e32 v[138:139], v[4:5], v[112:113]
	v_mul_f64_e32 v[112:113], v[6:7], v[112:113]
	v_add_f64_e32 v[10:11], v[16:17], v[20:21]
	v_add_f64_e32 v[16:17], v[22:23], v[150:151]
	s_wait_loadcnt_dscnt 0x500
	v_mul_f64_e32 v[20:21], v[12:13], v[116:117]
	v_mul_f64_e32 v[22:23], v[14:15], v[116:117]
	v_fmac_f64_e32 v[138:139], v[6:7], v[110:111]
	v_fma_f64 v[106:107], v[4:5], v[110:111], -v[112:113]
	v_add_f64_e32 v[108:109], v[10:11], v[8:9]
	v_add_f64_e32 v[16:17], v[16:17], v[18:19]
	ds_load_b128 v[4:7], v2 offset:1200
	ds_load_b128 v[8:11], v2 offset:1216
	v_fmac_f64_e32 v[20:21], v[14:15], v[114:115]
	v_fma_f64 v[12:13], v[12:13], v[114:115], -v[22:23]
	s_wait_loadcnt_dscnt 0x401
	v_mul_f64_e32 v[18:19], v[4:5], v[120:121]
	v_mul_f64_e32 v[110:111], v[6:7], v[120:121]
	s_wait_loadcnt_dscnt 0x300
	v_mul_f64_e32 v[22:23], v[8:9], v[124:125]
	v_add_f64_e32 v[14:15], v[108:109], v[106:107]
	v_add_f64_e32 v[16:17], v[16:17], v[138:139]
	v_mul_f64_e32 v[106:107], v[10:11], v[124:125]
	v_fmac_f64_e32 v[18:19], v[6:7], v[118:119]
	v_fma_f64 v[108:109], v[4:5], v[118:119], -v[110:111]
	v_fmac_f64_e32 v[22:23], v[10:11], v[122:123]
	v_add_f64_e32 v[110:111], v[14:15], v[12:13]
	v_add_f64_e32 v[16:17], v[16:17], v[20:21]
	ds_load_b128 v[4:7], v2 offset:1232
	ds_load_b128 v[12:15], v2 offset:1248
	v_fma_f64 v[8:9], v[8:9], v[122:123], -v[106:107]
	s_wait_loadcnt_dscnt 0x201
	v_mul_f64_e32 v[20:21], v[4:5], v[132:133]
	v_mul_f64_e32 v[112:113], v[6:7], v[132:133]
	s_wait_loadcnt_dscnt 0x100
	v_mul_f64_e32 v[106:107], v[14:15], v[144:145]
	v_add_f64_e32 v[10:11], v[110:111], v[108:109]
	v_add_f64_e32 v[16:17], v[16:17], v[18:19]
	v_mul_f64_e32 v[18:19], v[12:13], v[144:145]
	v_fmac_f64_e32 v[20:21], v[6:7], v[130:131]
	v_fma_f64 v[108:109], v[4:5], v[130:131], -v[112:113]
	ds_load_b128 v[4:7], v2 offset:1264
	v_fma_f64 v[12:13], v[12:13], v[142:143], -v[106:107]
	v_add_f64_e32 v[8:9], v[10:11], v[8:9]
	v_add_f64_e32 v[10:11], v[16:17], v[22:23]
	v_fmac_f64_e32 v[18:19], v[14:15], v[142:143]
	s_wait_loadcnt_dscnt 0x0
	v_mul_f64_e32 v[16:17], v[4:5], v[128:129]
	v_mul_f64_e32 v[22:23], v[6:7], v[128:129]
	v_add_f64_e32 v[8:9], v[8:9], v[108:109]
	v_add_f64_e32 v[10:11], v[10:11], v[20:21]
	s_delay_alu instid0(VALU_DEP_4) | instskip(NEXT) | instid1(VALU_DEP_4)
	v_fmac_f64_e32 v[16:17], v[6:7], v[126:127]
	v_fma_f64 v[4:5], v[4:5], v[126:127], -v[22:23]
	s_delay_alu instid0(VALU_DEP_4) | instskip(NEXT) | instid1(VALU_DEP_4)
	v_add_f64_e32 v[6:7], v[8:9], v[12:13]
	v_add_f64_e32 v[8:9], v[10:11], v[18:19]
	s_delay_alu instid0(VALU_DEP_2) | instskip(NEXT) | instid1(VALU_DEP_2)
	v_add_f64_e32 v[4:5], v[6:7], v[4:5]
	v_add_f64_e32 v[6:7], v[8:9], v[16:17]
	s_delay_alu instid0(VALU_DEP_2) | instskip(NEXT) | instid1(VALU_DEP_2)
	v_add_f64_e64 v[4:5], v[134:135], -v[4:5]
	v_add_f64_e64 v[6:7], v[136:137], -v[6:7]
	scratch_store_b128 off, v[4:7], off offset:224
	s_wait_xcnt 0x0
	v_cmpx_lt_u32_e32 13, v1
	s_cbranch_execz .LBB103_227
; %bb.226:
	scratch_load_b128 v[6:9], off, s43
	v_dual_mov_b32 v3, v2 :: v_dual_mov_b32 v4, v2
	v_mov_b32_e32 v5, v2
	scratch_store_b128 off, v[2:5], off offset:208
	s_wait_loadcnt 0x0
	ds_store_b128 v104, v[6:9]
.LBB103_227:
	s_wait_xcnt 0x0
	s_or_b32 exec_lo, exec_lo, s2
	s_wait_storecnt_dscnt 0x0
	s_barrier_signal -1
	s_barrier_wait -1
	s_clause 0x9
	scratch_load_b128 v[4:7], off, off offset:224
	scratch_load_b128 v[8:11], off, off offset:240
	;; [unrolled: 1-line block ×10, first 2 shown]
	ds_load_b128 v[126:129], v2 offset:864
	ds_load_b128 v[134:137], v2 offset:880
	s_clause 0x2
	scratch_load_b128 v[130:133], off, off offset:384
	scratch_load_b128 v[138:141], off, off offset:208
	;; [unrolled: 1-line block ×3, first 2 shown]
	s_mov_b32 s2, exec_lo
	s_wait_loadcnt_dscnt 0xc01
	v_mul_f64_e32 v[146:147], v[128:129], v[6:7]
	v_mul_f64_e32 v[150:151], v[126:127], v[6:7]
	s_wait_loadcnt_dscnt 0xb00
	v_mul_f64_e32 v[152:153], v[134:135], v[10:11]
	v_mul_f64_e32 v[10:11], v[136:137], v[10:11]
	s_delay_alu instid0(VALU_DEP_4) | instskip(NEXT) | instid1(VALU_DEP_4)
	v_fma_f64 v[154:155], v[126:127], v[4:5], -v[146:147]
	v_fmac_f64_e32 v[150:151], v[128:129], v[4:5]
	ds_load_b128 v[4:7], v2 offset:896
	ds_load_b128 v[126:129], v2 offset:912
	scratch_load_b128 v[146:149], off, off offset:416
	v_fmac_f64_e32 v[152:153], v[136:137], v[8:9]
	v_fma_f64 v[134:135], v[134:135], v[8:9], -v[10:11]
	scratch_load_b128 v[8:11], off, off offset:432
	s_wait_loadcnt_dscnt 0xc01
	v_mul_f64_e32 v[156:157], v[4:5], v[14:15]
	v_mul_f64_e32 v[14:15], v[6:7], v[14:15]
	v_add_f64_e32 v[136:137], 0, v[154:155]
	v_add_f64_e32 v[150:151], 0, v[150:151]
	s_wait_loadcnt_dscnt 0xb00
	v_mul_f64_e32 v[154:155], v[126:127], v[18:19]
	v_mul_f64_e32 v[18:19], v[128:129], v[18:19]
	v_fmac_f64_e32 v[156:157], v[6:7], v[12:13]
	v_fma_f64 v[158:159], v[4:5], v[12:13], -v[14:15]
	ds_load_b128 v[4:7], v2 offset:928
	ds_load_b128 v[12:15], v2 offset:944
	v_add_f64_e32 v[160:161], v[136:137], v[134:135]
	v_add_f64_e32 v[150:151], v[150:151], v[152:153]
	scratch_load_b128 v[134:137], off, off offset:448
	v_fmac_f64_e32 v[154:155], v[128:129], v[16:17]
	v_fma_f64 v[126:127], v[126:127], v[16:17], -v[18:19]
	scratch_load_b128 v[16:19], off, off offset:464
	s_wait_loadcnt_dscnt 0xc01
	v_mul_f64_e32 v[152:153], v[4:5], v[22:23]
	v_mul_f64_e32 v[22:23], v[6:7], v[22:23]
	v_add_f64_e32 v[128:129], v[160:161], v[158:159]
	v_add_f64_e32 v[150:151], v[150:151], v[156:157]
	s_wait_loadcnt_dscnt 0xb00
	v_mul_f64_e32 v[156:157], v[12:13], v[108:109]
	v_mul_f64_e32 v[108:109], v[14:15], v[108:109]
	v_fmac_f64_e32 v[152:153], v[6:7], v[20:21]
	v_fma_f64 v[158:159], v[4:5], v[20:21], -v[22:23]
	ds_load_b128 v[4:7], v2 offset:960
	ds_load_b128 v[20:23], v2 offset:976
	v_add_f64_e32 v[160:161], v[128:129], v[126:127]
	v_add_f64_e32 v[150:151], v[150:151], v[154:155]
	scratch_load_b128 v[126:129], off, off offset:480
	s_wait_loadcnt_dscnt 0xb01
	v_mul_f64_e32 v[154:155], v[4:5], v[112:113]
	v_mul_f64_e32 v[112:113], v[6:7], v[112:113]
	v_fmac_f64_e32 v[156:157], v[14:15], v[106:107]
	v_fma_f64 v[106:107], v[12:13], v[106:107], -v[108:109]
	scratch_load_b128 v[12:15], off, off offset:496
	v_add_f64_e32 v[108:109], v[160:161], v[158:159]
	v_add_f64_e32 v[150:151], v[150:151], v[152:153]
	s_wait_loadcnt_dscnt 0xb00
	v_mul_f64_e32 v[152:153], v[20:21], v[116:117]
	v_mul_f64_e32 v[116:117], v[22:23], v[116:117]
	v_fmac_f64_e32 v[154:155], v[6:7], v[110:111]
	v_fma_f64 v[158:159], v[4:5], v[110:111], -v[112:113]
	v_add_f64_e32 v[160:161], v[108:109], v[106:107]
	v_add_f64_e32 v[150:151], v[150:151], v[156:157]
	ds_load_b128 v[4:7], v2 offset:992
	ds_load_b128 v[106:109], v2 offset:1008
	scratch_load_b128 v[110:113], off, off offset:512
	v_fmac_f64_e32 v[152:153], v[22:23], v[114:115]
	v_fma_f64 v[114:115], v[20:21], v[114:115], -v[116:117]
	scratch_load_b128 v[20:23], off, off offset:528
	s_wait_loadcnt_dscnt 0xc01
	v_mul_f64_e32 v[156:157], v[4:5], v[120:121]
	v_mul_f64_e32 v[120:121], v[6:7], v[120:121]
	v_add_f64_e32 v[116:117], v[160:161], v[158:159]
	v_add_f64_e32 v[150:151], v[150:151], v[154:155]
	s_wait_loadcnt_dscnt 0xb00
	v_mul_f64_e32 v[154:155], v[106:107], v[124:125]
	v_mul_f64_e32 v[124:125], v[108:109], v[124:125]
	v_fmac_f64_e32 v[156:157], v[6:7], v[118:119]
	v_fma_f64 v[158:159], v[4:5], v[118:119], -v[120:121]
	v_add_f64_e32 v[160:161], v[116:117], v[114:115]
	v_add_f64_e32 v[150:151], v[150:151], v[152:153]
	ds_load_b128 v[4:7], v2 offset:1024
	ds_load_b128 v[114:117], v2 offset:1040
	scratch_load_b128 v[118:121], off, off offset:544
	v_fmac_f64_e32 v[154:155], v[108:109], v[122:123]
	v_fma_f64 v[122:123], v[106:107], v[122:123], -v[124:125]
	scratch_load_b128 v[106:109], off, off offset:560
	s_wait_loadcnt_dscnt 0xc01
	v_mul_f64_e32 v[152:153], v[4:5], v[132:133]
	v_mul_f64_e32 v[132:133], v[6:7], v[132:133]
	;; [unrolled: 18-line block ×4, first 2 shown]
	v_add_f64_e32 v[124:125], v[160:161], v[158:159]
	v_add_f64_e32 v[150:151], v[150:151], v[154:155]
	s_wait_loadcnt_dscnt 0xa00
	v_mul_f64_e32 v[154:155], v[142:143], v[18:19]
	v_mul_f64_e32 v[18:19], v[144:145], v[18:19]
	v_fmac_f64_e32 v[156:157], v[6:7], v[134:135]
	v_fma_f64 v[134:135], v[4:5], v[134:135], -v[136:137]
	v_add_f64_e32 v[136:137], v[124:125], v[122:123]
	v_add_f64_e32 v[150:151], v[150:151], v[152:153]
	ds_load_b128 v[4:7], v2 offset:1120
	ds_load_b128 v[122:125], v2 offset:1136
	v_fmac_f64_e32 v[154:155], v[144:145], v[16:17]
	v_fma_f64 v[16:17], v[142:143], v[16:17], -v[18:19]
	s_wait_loadcnt_dscnt 0x901
	v_mul_f64_e32 v[152:153], v[4:5], v[128:129]
	v_mul_f64_e32 v[128:129], v[6:7], v[128:129]
	s_wait_loadcnt_dscnt 0x800
	v_mul_f64_e32 v[142:143], v[124:125], v[14:15]
	v_add_f64_e32 v[18:19], v[136:137], v[134:135]
	v_add_f64_e32 v[134:135], v[150:151], v[156:157]
	v_mul_f64_e32 v[136:137], v[122:123], v[14:15]
	v_fmac_f64_e32 v[152:153], v[6:7], v[126:127]
	v_fma_f64 v[126:127], v[4:5], v[126:127], -v[128:129]
	v_add_f64_e32 v[18:19], v[18:19], v[16:17]
	v_add_f64_e32 v[128:129], v[134:135], v[154:155]
	ds_load_b128 v[4:7], v2 offset:1152
	ds_load_b128 v[14:17], v2 offset:1168
	v_fmac_f64_e32 v[136:137], v[124:125], v[12:13]
	v_fma_f64 v[12:13], v[122:123], v[12:13], -v[142:143]
	s_wait_loadcnt_dscnt 0x701
	v_mul_f64_e32 v[134:135], v[4:5], v[112:113]
	v_mul_f64_e32 v[112:113], v[6:7], v[112:113]
	s_wait_loadcnt_dscnt 0x600
	v_mul_f64_e32 v[124:125], v[14:15], v[22:23]
	v_mul_f64_e32 v[22:23], v[16:17], v[22:23]
	v_add_f64_e32 v[18:19], v[18:19], v[126:127]
	v_add_f64_e32 v[122:123], v[128:129], v[152:153]
	v_fmac_f64_e32 v[134:135], v[6:7], v[110:111]
	v_fma_f64 v[126:127], v[4:5], v[110:111], -v[112:113]
	ds_load_b128 v[4:7], v2 offset:1184
	ds_load_b128 v[110:113], v2 offset:1200
	v_fmac_f64_e32 v[124:125], v[16:17], v[20:21]
	v_fma_f64 v[14:15], v[14:15], v[20:21], -v[22:23]
	v_add_f64_e32 v[12:13], v[18:19], v[12:13]
	v_add_f64_e32 v[18:19], v[122:123], v[136:137]
	s_wait_loadcnt_dscnt 0x501
	v_mul_f64_e32 v[122:123], v[4:5], v[120:121]
	v_mul_f64_e32 v[120:121], v[6:7], v[120:121]
	s_wait_loadcnt_dscnt 0x400
	v_mul_f64_e32 v[20:21], v[112:113], v[108:109]
	v_add_f64_e32 v[12:13], v[12:13], v[126:127]
	v_add_f64_e32 v[16:17], v[18:19], v[134:135]
	v_mul_f64_e32 v[18:19], v[110:111], v[108:109]
	v_fmac_f64_e32 v[122:123], v[6:7], v[118:119]
	v_fma_f64 v[22:23], v[4:5], v[118:119], -v[120:121]
	v_fma_f64 v[20:21], v[110:111], v[106:107], -v[20:21]
	v_add_f64_e32 v[108:109], v[12:13], v[14:15]
	v_add_f64_e32 v[16:17], v[16:17], v[124:125]
	ds_load_b128 v[4:7], v2 offset:1216
	ds_load_b128 v[12:15], v2 offset:1232
	v_fmac_f64_e32 v[18:19], v[112:113], v[106:107]
	s_wait_loadcnt_dscnt 0x301
	v_mul_f64_e32 v[118:119], v[4:5], v[132:133]
	v_mul_f64_e32 v[120:121], v[6:7], v[132:133]
	s_wait_loadcnt_dscnt 0x200
	v_mul_f64_e32 v[106:107], v[12:13], v[116:117]
	v_add_f64_e32 v[22:23], v[108:109], v[22:23]
	v_add_f64_e32 v[16:17], v[16:17], v[122:123]
	v_mul_f64_e32 v[108:109], v[14:15], v[116:117]
	v_fmac_f64_e32 v[118:119], v[6:7], v[130:131]
	v_fma_f64 v[110:111], v[4:5], v[130:131], -v[120:121]
	v_fmac_f64_e32 v[106:107], v[14:15], v[114:115]
	v_add_f64_e32 v[20:21], v[22:23], v[20:21]
	v_add_f64_e32 v[22:23], v[16:17], v[18:19]
	ds_load_b128 v[4:7], v2 offset:1248
	ds_load_b128 v[16:19], v2 offset:1264
	v_fma_f64 v[12:13], v[12:13], v[114:115], -v[108:109]
	s_wait_loadcnt_dscnt 0x101
	v_mul_f64_e32 v[2:3], v[4:5], v[148:149]
	v_mul_f64_e32 v[112:113], v[6:7], v[148:149]
	v_add_f64_e32 v[14:15], v[20:21], v[110:111]
	v_add_f64_e32 v[20:21], v[22:23], v[118:119]
	s_wait_loadcnt_dscnt 0x0
	v_mul_f64_e32 v[22:23], v[16:17], v[10:11]
	v_mul_f64_e32 v[10:11], v[18:19], v[10:11]
	v_fmac_f64_e32 v[2:3], v[6:7], v[146:147]
	v_fma_f64 v[4:5], v[4:5], v[146:147], -v[112:113]
	v_add_f64_e32 v[6:7], v[14:15], v[12:13]
	v_add_f64_e32 v[12:13], v[20:21], v[106:107]
	v_fmac_f64_e32 v[22:23], v[18:19], v[8:9]
	v_fma_f64 v[8:9], v[16:17], v[8:9], -v[10:11]
	s_delay_alu instid0(VALU_DEP_4) | instskip(NEXT) | instid1(VALU_DEP_4)
	v_add_f64_e32 v[4:5], v[6:7], v[4:5]
	v_add_f64_e32 v[2:3], v[12:13], v[2:3]
	s_delay_alu instid0(VALU_DEP_2) | instskip(NEXT) | instid1(VALU_DEP_2)
	v_add_f64_e32 v[4:5], v[4:5], v[8:9]
	v_add_f64_e32 v[6:7], v[2:3], v[22:23]
	s_delay_alu instid0(VALU_DEP_2) | instskip(NEXT) | instid1(VALU_DEP_2)
	v_add_f64_e64 v[2:3], v[138:139], -v[4:5]
	v_add_f64_e64 v[4:5], v[140:141], -v[6:7]
	scratch_store_b128 off, v[2:5], off offset:208
	s_wait_xcnt 0x0
	v_cmpx_lt_u32_e32 12, v1
	s_cbranch_execz .LBB103_229
; %bb.228:
	scratch_load_b128 v[2:5], off, s44
	v_mov_b32_e32 v6, 0
	s_delay_alu instid0(VALU_DEP_1)
	v_dual_mov_b32 v7, v6 :: v_dual_mov_b32 v8, v6
	v_mov_b32_e32 v9, v6
	scratch_store_b128 off, v[6:9], off offset:192
	s_wait_loadcnt 0x0
	ds_store_b128 v104, v[2:5]
.LBB103_229:
	s_wait_xcnt 0x0
	s_or_b32 exec_lo, exec_lo, s2
	s_wait_storecnt_dscnt 0x0
	s_barrier_signal -1
	s_barrier_wait -1
	s_clause 0x9
	scratch_load_b128 v[4:7], off, off offset:208
	scratch_load_b128 v[8:11], off, off offset:224
	;; [unrolled: 1-line block ×10, first 2 shown]
	v_mov_b32_e32 v2, 0
	s_mov_b32 s2, exec_lo
	ds_load_b128 v[126:129], v2 offset:848
	s_clause 0x2
	scratch_load_b128 v[130:133], off, off offset:368
	scratch_load_b128 v[134:137], off, off offset:192
	;; [unrolled: 1-line block ×3, first 2 shown]
	s_wait_loadcnt_dscnt 0xc00
	v_mul_f64_e32 v[146:147], v[128:129], v[6:7]
	v_mul_f64_e32 v[150:151], v[126:127], v[6:7]
	ds_load_b128 v[138:141], v2 offset:864
	v_fma_f64 v[154:155], v[126:127], v[4:5], -v[146:147]
	v_fmac_f64_e32 v[150:151], v[128:129], v[4:5]
	ds_load_b128 v[4:7], v2 offset:880
	s_wait_loadcnt_dscnt 0xb01
	v_mul_f64_e32 v[152:153], v[138:139], v[10:11]
	v_mul_f64_e32 v[10:11], v[140:141], v[10:11]
	scratch_load_b128 v[126:129], off, off offset:400
	ds_load_b128 v[146:149], v2 offset:896
	s_wait_loadcnt_dscnt 0xb01
	v_mul_f64_e32 v[156:157], v[4:5], v[14:15]
	v_mul_f64_e32 v[14:15], v[6:7], v[14:15]
	v_add_f64_e32 v[150:151], 0, v[150:151]
	v_fmac_f64_e32 v[152:153], v[140:141], v[8:9]
	v_fma_f64 v[138:139], v[138:139], v[8:9], -v[10:11]
	v_add_f64_e32 v[140:141], 0, v[154:155]
	scratch_load_b128 v[8:11], off, off offset:416
	v_fmac_f64_e32 v[156:157], v[6:7], v[12:13]
	v_fma_f64 v[158:159], v[4:5], v[12:13], -v[14:15]
	ds_load_b128 v[4:7], v2 offset:912
	s_wait_loadcnt_dscnt 0xb01
	v_mul_f64_e32 v[154:155], v[146:147], v[18:19]
	v_mul_f64_e32 v[18:19], v[148:149], v[18:19]
	scratch_load_b128 v[12:15], off, off offset:432
	v_add_f64_e32 v[150:151], v[150:151], v[152:153]
	v_add_f64_e32 v[160:161], v[140:141], v[138:139]
	ds_load_b128 v[138:141], v2 offset:928
	s_wait_loadcnt_dscnt 0xb01
	v_mul_f64_e32 v[152:153], v[4:5], v[22:23]
	v_mul_f64_e32 v[22:23], v[6:7], v[22:23]
	v_fmac_f64_e32 v[154:155], v[148:149], v[16:17]
	v_fma_f64 v[146:147], v[146:147], v[16:17], -v[18:19]
	scratch_load_b128 v[16:19], off, off offset:448
	v_add_f64_e32 v[150:151], v[150:151], v[156:157]
	v_add_f64_e32 v[148:149], v[160:161], v[158:159]
	v_fmac_f64_e32 v[152:153], v[6:7], v[20:21]
	v_fma_f64 v[158:159], v[4:5], v[20:21], -v[22:23]
	ds_load_b128 v[4:7], v2 offset:944
	s_wait_loadcnt_dscnt 0xb01
	v_mul_f64_e32 v[156:157], v[138:139], v[108:109]
	v_mul_f64_e32 v[108:109], v[140:141], v[108:109]
	scratch_load_b128 v[20:23], off, off offset:464
	v_add_f64_e32 v[150:151], v[150:151], v[154:155]
	s_wait_loadcnt_dscnt 0xb00
	v_mul_f64_e32 v[154:155], v[4:5], v[112:113]
	v_add_f64_e32 v[160:161], v[148:149], v[146:147]
	v_mul_f64_e32 v[112:113], v[6:7], v[112:113]
	ds_load_b128 v[146:149], v2 offset:960
	v_fmac_f64_e32 v[156:157], v[140:141], v[106:107]
	v_fma_f64 v[138:139], v[138:139], v[106:107], -v[108:109]
	scratch_load_b128 v[106:109], off, off offset:480
	v_add_f64_e32 v[150:151], v[150:151], v[152:153]
	v_fmac_f64_e32 v[154:155], v[6:7], v[110:111]
	v_add_f64_e32 v[140:141], v[160:161], v[158:159]
	v_fma_f64 v[158:159], v[4:5], v[110:111], -v[112:113]
	ds_load_b128 v[4:7], v2 offset:976
	s_wait_loadcnt_dscnt 0xb01
	v_mul_f64_e32 v[152:153], v[146:147], v[116:117]
	v_mul_f64_e32 v[116:117], v[148:149], v[116:117]
	scratch_load_b128 v[110:113], off, off offset:496
	v_add_f64_e32 v[150:151], v[150:151], v[156:157]
	s_wait_loadcnt_dscnt 0xb00
	v_mul_f64_e32 v[156:157], v[4:5], v[120:121]
	v_add_f64_e32 v[160:161], v[140:141], v[138:139]
	v_mul_f64_e32 v[120:121], v[6:7], v[120:121]
	ds_load_b128 v[138:141], v2 offset:992
	v_fmac_f64_e32 v[152:153], v[148:149], v[114:115]
	v_fma_f64 v[146:147], v[146:147], v[114:115], -v[116:117]
	scratch_load_b128 v[114:117], off, off offset:512
	v_add_f64_e32 v[150:151], v[150:151], v[154:155]
	v_fmac_f64_e32 v[156:157], v[6:7], v[118:119]
	v_add_f64_e32 v[148:149], v[160:161], v[158:159]
	;; [unrolled: 18-line block ×3, first 2 shown]
	v_fma_f64 v[158:159], v[4:5], v[130:131], -v[132:133]
	ds_load_b128 v[4:7], v2 offset:1040
	s_wait_loadcnt_dscnt 0xa01
	v_mul_f64_e32 v[156:157], v[146:147], v[144:145]
	v_mul_f64_e32 v[144:145], v[148:149], v[144:145]
	scratch_load_b128 v[130:133], off, off offset:560
	v_add_f64_e32 v[150:151], v[150:151], v[154:155]
	v_add_f64_e32 v[160:161], v[140:141], v[138:139]
	s_wait_loadcnt_dscnt 0xa00
	v_mul_f64_e32 v[154:155], v[4:5], v[128:129]
	v_mul_f64_e32 v[128:129], v[6:7], v[128:129]
	v_fmac_f64_e32 v[156:157], v[148:149], v[142:143]
	v_fma_f64 v[146:147], v[146:147], v[142:143], -v[144:145]
	ds_load_b128 v[138:141], v2 offset:1056
	scratch_load_b128 v[142:145], off, off offset:576
	v_add_f64_e32 v[150:151], v[150:151], v[152:153]
	v_add_f64_e32 v[148:149], v[160:161], v[158:159]
	v_fmac_f64_e32 v[154:155], v[6:7], v[126:127]
	v_fma_f64 v[158:159], v[4:5], v[126:127], -v[128:129]
	ds_load_b128 v[4:7], v2 offset:1072
	s_wait_loadcnt_dscnt 0xa01
	v_mul_f64_e32 v[152:153], v[138:139], v[10:11]
	v_mul_f64_e32 v[10:11], v[140:141], v[10:11]
	scratch_load_b128 v[126:129], off, off offset:592
	v_add_f64_e32 v[150:151], v[150:151], v[156:157]
	s_wait_loadcnt_dscnt 0xa00
	v_mul_f64_e32 v[156:157], v[4:5], v[14:15]
	v_add_f64_e32 v[160:161], v[148:149], v[146:147]
	v_mul_f64_e32 v[14:15], v[6:7], v[14:15]
	ds_load_b128 v[146:149], v2 offset:1088
	v_fmac_f64_e32 v[152:153], v[140:141], v[8:9]
	v_fma_f64 v[138:139], v[138:139], v[8:9], -v[10:11]
	scratch_load_b128 v[8:11], off, off offset:608
	v_add_f64_e32 v[150:151], v[150:151], v[154:155]
	v_fmac_f64_e32 v[156:157], v[6:7], v[12:13]
	v_add_f64_e32 v[140:141], v[160:161], v[158:159]
	v_fma_f64 v[158:159], v[4:5], v[12:13], -v[14:15]
	ds_load_b128 v[4:7], v2 offset:1104
	s_wait_loadcnt_dscnt 0xa01
	v_mul_f64_e32 v[154:155], v[146:147], v[18:19]
	v_mul_f64_e32 v[18:19], v[148:149], v[18:19]
	scratch_load_b128 v[12:15], off, off offset:624
	v_add_f64_e32 v[150:151], v[150:151], v[152:153]
	s_wait_loadcnt_dscnt 0xa00
	v_mul_f64_e32 v[152:153], v[4:5], v[22:23]
	v_add_f64_e32 v[160:161], v[140:141], v[138:139]
	v_mul_f64_e32 v[22:23], v[6:7], v[22:23]
	ds_load_b128 v[138:141], v2 offset:1120
	v_fmac_f64_e32 v[154:155], v[148:149], v[16:17]
	v_fma_f64 v[16:17], v[146:147], v[16:17], -v[18:19]
	s_wait_loadcnt_dscnt 0x900
	v_mul_f64_e32 v[148:149], v[138:139], v[108:109]
	v_mul_f64_e32 v[108:109], v[140:141], v[108:109]
	v_add_f64_e32 v[146:147], v[150:151], v[156:157]
	v_fmac_f64_e32 v[152:153], v[6:7], v[20:21]
	v_add_f64_e32 v[18:19], v[160:161], v[158:159]
	v_fma_f64 v[20:21], v[4:5], v[20:21], -v[22:23]
	v_fmac_f64_e32 v[148:149], v[140:141], v[106:107]
	v_fma_f64 v[106:107], v[138:139], v[106:107], -v[108:109]
	v_add_f64_e32 v[146:147], v[146:147], v[154:155]
	v_add_f64_e32 v[22:23], v[18:19], v[16:17]
	ds_load_b128 v[4:7], v2 offset:1136
	ds_load_b128 v[16:19], v2 offset:1152
	s_wait_loadcnt_dscnt 0x801
	v_mul_f64_e32 v[150:151], v[4:5], v[112:113]
	v_mul_f64_e32 v[112:113], v[6:7], v[112:113]
	s_wait_loadcnt_dscnt 0x700
	v_mul_f64_e32 v[108:109], v[16:17], v[116:117]
	v_mul_f64_e32 v[116:117], v[18:19], v[116:117]
	v_add_f64_e32 v[20:21], v[22:23], v[20:21]
	v_add_f64_e32 v[22:23], v[146:147], v[152:153]
	v_fmac_f64_e32 v[150:151], v[6:7], v[110:111]
	v_fma_f64 v[110:111], v[4:5], v[110:111], -v[112:113]
	v_fmac_f64_e32 v[108:109], v[18:19], v[114:115]
	v_fma_f64 v[16:17], v[16:17], v[114:115], -v[116:117]
	v_add_f64_e32 v[106:107], v[20:21], v[106:107]
	v_add_f64_e32 v[112:113], v[22:23], v[148:149]
	ds_load_b128 v[4:7], v2 offset:1168
	ds_load_b128 v[20:23], v2 offset:1184
	s_wait_loadcnt_dscnt 0x601
	v_mul_f64_e32 v[138:139], v[4:5], v[120:121]
	v_mul_f64_e32 v[120:121], v[6:7], v[120:121]
	v_add_f64_e32 v[18:19], v[106:107], v[110:111]
	v_add_f64_e32 v[106:107], v[112:113], v[150:151]
	s_wait_loadcnt_dscnt 0x500
	v_mul_f64_e32 v[110:111], v[20:21], v[124:125]
	v_mul_f64_e32 v[112:113], v[22:23], v[124:125]
	v_fmac_f64_e32 v[138:139], v[6:7], v[118:119]
	v_fma_f64 v[114:115], v[4:5], v[118:119], -v[120:121]
	v_add_f64_e32 v[116:117], v[18:19], v[16:17]
	v_add_f64_e32 v[106:107], v[106:107], v[108:109]
	ds_load_b128 v[4:7], v2 offset:1200
	ds_load_b128 v[16:19], v2 offset:1216
	v_fmac_f64_e32 v[110:111], v[22:23], v[122:123]
	v_fma_f64 v[20:21], v[20:21], v[122:123], -v[112:113]
	s_wait_loadcnt_dscnt 0x401
	v_mul_f64_e32 v[108:109], v[4:5], v[132:133]
	v_mul_f64_e32 v[118:119], v[6:7], v[132:133]
	s_wait_loadcnt_dscnt 0x300
	v_mul_f64_e32 v[112:113], v[16:17], v[144:145]
	v_add_f64_e32 v[22:23], v[116:117], v[114:115]
	v_add_f64_e32 v[106:107], v[106:107], v[138:139]
	v_mul_f64_e32 v[114:115], v[18:19], v[144:145]
	v_fmac_f64_e32 v[108:109], v[6:7], v[130:131]
	v_fma_f64 v[116:117], v[4:5], v[130:131], -v[118:119]
	v_fmac_f64_e32 v[112:113], v[18:19], v[142:143]
	v_add_f64_e32 v[118:119], v[22:23], v[20:21]
	v_add_f64_e32 v[106:107], v[106:107], v[110:111]
	ds_load_b128 v[4:7], v2 offset:1232
	ds_load_b128 v[20:23], v2 offset:1248
	v_fma_f64 v[16:17], v[16:17], v[142:143], -v[114:115]
	s_wait_loadcnt_dscnt 0x201
	v_mul_f64_e32 v[110:111], v[4:5], v[128:129]
	v_mul_f64_e32 v[120:121], v[6:7], v[128:129]
	v_add_f64_e32 v[18:19], v[118:119], v[116:117]
	v_add_f64_e32 v[106:107], v[106:107], v[108:109]
	s_wait_loadcnt_dscnt 0x100
	v_mul_f64_e32 v[108:109], v[20:21], v[10:11]
	v_mul_f64_e32 v[10:11], v[22:23], v[10:11]
	v_fmac_f64_e32 v[110:111], v[6:7], v[126:127]
	v_fma_f64 v[114:115], v[4:5], v[126:127], -v[120:121]
	ds_load_b128 v[4:7], v2 offset:1264
	v_add_f64_e32 v[16:17], v[18:19], v[16:17]
	v_add_f64_e32 v[18:19], v[106:107], v[112:113]
	v_fmac_f64_e32 v[108:109], v[22:23], v[8:9]
	v_fma_f64 v[8:9], v[20:21], v[8:9], -v[10:11]
	s_wait_loadcnt_dscnt 0x0
	v_mul_f64_e32 v[106:107], v[4:5], v[14:15]
	v_mul_f64_e32 v[14:15], v[6:7], v[14:15]
	v_add_f64_e32 v[10:11], v[16:17], v[114:115]
	v_add_f64_e32 v[16:17], v[18:19], v[110:111]
	s_delay_alu instid0(VALU_DEP_4) | instskip(NEXT) | instid1(VALU_DEP_4)
	v_fmac_f64_e32 v[106:107], v[6:7], v[12:13]
	v_fma_f64 v[4:5], v[4:5], v[12:13], -v[14:15]
	s_delay_alu instid0(VALU_DEP_4) | instskip(NEXT) | instid1(VALU_DEP_4)
	v_add_f64_e32 v[6:7], v[10:11], v[8:9]
	v_add_f64_e32 v[8:9], v[16:17], v[108:109]
	s_delay_alu instid0(VALU_DEP_2) | instskip(NEXT) | instid1(VALU_DEP_2)
	v_add_f64_e32 v[4:5], v[6:7], v[4:5]
	v_add_f64_e32 v[6:7], v[8:9], v[106:107]
	s_delay_alu instid0(VALU_DEP_2) | instskip(NEXT) | instid1(VALU_DEP_2)
	v_add_f64_e64 v[4:5], v[134:135], -v[4:5]
	v_add_f64_e64 v[6:7], v[136:137], -v[6:7]
	scratch_store_b128 off, v[4:7], off offset:192
	s_wait_xcnt 0x0
	v_cmpx_lt_u32_e32 11, v1
	s_cbranch_execz .LBB103_231
; %bb.230:
	scratch_load_b128 v[6:9], off, s45
	v_dual_mov_b32 v3, v2 :: v_dual_mov_b32 v4, v2
	v_mov_b32_e32 v5, v2
	scratch_store_b128 off, v[2:5], off offset:176
	s_wait_loadcnt 0x0
	ds_store_b128 v104, v[6:9]
.LBB103_231:
	s_wait_xcnt 0x0
	s_or_b32 exec_lo, exec_lo, s2
	s_wait_storecnt_dscnt 0x0
	s_barrier_signal -1
	s_barrier_wait -1
	s_clause 0x9
	scratch_load_b128 v[4:7], off, off offset:192
	scratch_load_b128 v[8:11], off, off offset:208
	;; [unrolled: 1-line block ×10, first 2 shown]
	ds_load_b128 v[126:129], v2 offset:832
	ds_load_b128 v[134:137], v2 offset:848
	s_clause 0x2
	scratch_load_b128 v[130:133], off, off offset:352
	scratch_load_b128 v[138:141], off, off offset:176
	;; [unrolled: 1-line block ×3, first 2 shown]
	s_mov_b32 s2, exec_lo
	s_wait_loadcnt_dscnt 0xc01
	v_mul_f64_e32 v[146:147], v[128:129], v[6:7]
	v_mul_f64_e32 v[150:151], v[126:127], v[6:7]
	s_wait_loadcnt_dscnt 0xb00
	v_mul_f64_e32 v[152:153], v[134:135], v[10:11]
	v_mul_f64_e32 v[10:11], v[136:137], v[10:11]
	s_delay_alu instid0(VALU_DEP_4) | instskip(NEXT) | instid1(VALU_DEP_4)
	v_fma_f64 v[154:155], v[126:127], v[4:5], -v[146:147]
	v_fmac_f64_e32 v[150:151], v[128:129], v[4:5]
	ds_load_b128 v[4:7], v2 offset:864
	ds_load_b128 v[126:129], v2 offset:880
	scratch_load_b128 v[146:149], off, off offset:384
	v_fmac_f64_e32 v[152:153], v[136:137], v[8:9]
	v_fma_f64 v[134:135], v[134:135], v[8:9], -v[10:11]
	scratch_load_b128 v[8:11], off, off offset:400
	s_wait_loadcnt_dscnt 0xc01
	v_mul_f64_e32 v[156:157], v[4:5], v[14:15]
	v_mul_f64_e32 v[14:15], v[6:7], v[14:15]
	v_add_f64_e32 v[136:137], 0, v[154:155]
	v_add_f64_e32 v[150:151], 0, v[150:151]
	s_wait_loadcnt_dscnt 0xb00
	v_mul_f64_e32 v[154:155], v[126:127], v[18:19]
	v_mul_f64_e32 v[18:19], v[128:129], v[18:19]
	v_fmac_f64_e32 v[156:157], v[6:7], v[12:13]
	v_fma_f64 v[158:159], v[4:5], v[12:13], -v[14:15]
	ds_load_b128 v[4:7], v2 offset:896
	ds_load_b128 v[12:15], v2 offset:912
	v_add_f64_e32 v[160:161], v[136:137], v[134:135]
	v_add_f64_e32 v[150:151], v[150:151], v[152:153]
	scratch_load_b128 v[134:137], off, off offset:416
	v_fmac_f64_e32 v[154:155], v[128:129], v[16:17]
	v_fma_f64 v[126:127], v[126:127], v[16:17], -v[18:19]
	scratch_load_b128 v[16:19], off, off offset:432
	s_wait_loadcnt_dscnt 0xc01
	v_mul_f64_e32 v[152:153], v[4:5], v[22:23]
	v_mul_f64_e32 v[22:23], v[6:7], v[22:23]
	v_add_f64_e32 v[128:129], v[160:161], v[158:159]
	v_add_f64_e32 v[150:151], v[150:151], v[156:157]
	s_wait_loadcnt_dscnt 0xb00
	v_mul_f64_e32 v[156:157], v[12:13], v[108:109]
	v_mul_f64_e32 v[108:109], v[14:15], v[108:109]
	v_fmac_f64_e32 v[152:153], v[6:7], v[20:21]
	v_fma_f64 v[158:159], v[4:5], v[20:21], -v[22:23]
	ds_load_b128 v[4:7], v2 offset:928
	ds_load_b128 v[20:23], v2 offset:944
	v_add_f64_e32 v[160:161], v[128:129], v[126:127]
	v_add_f64_e32 v[150:151], v[150:151], v[154:155]
	scratch_load_b128 v[126:129], off, off offset:448
	s_wait_loadcnt_dscnt 0xb01
	v_mul_f64_e32 v[154:155], v[4:5], v[112:113]
	v_mul_f64_e32 v[112:113], v[6:7], v[112:113]
	v_fmac_f64_e32 v[156:157], v[14:15], v[106:107]
	v_fma_f64 v[106:107], v[12:13], v[106:107], -v[108:109]
	scratch_load_b128 v[12:15], off, off offset:464
	v_add_f64_e32 v[108:109], v[160:161], v[158:159]
	v_add_f64_e32 v[150:151], v[150:151], v[152:153]
	s_wait_loadcnt_dscnt 0xb00
	v_mul_f64_e32 v[152:153], v[20:21], v[116:117]
	v_mul_f64_e32 v[116:117], v[22:23], v[116:117]
	v_fmac_f64_e32 v[154:155], v[6:7], v[110:111]
	v_fma_f64 v[158:159], v[4:5], v[110:111], -v[112:113]
	v_add_f64_e32 v[160:161], v[108:109], v[106:107]
	v_add_f64_e32 v[150:151], v[150:151], v[156:157]
	ds_load_b128 v[4:7], v2 offset:960
	ds_load_b128 v[106:109], v2 offset:976
	scratch_load_b128 v[110:113], off, off offset:480
	v_fmac_f64_e32 v[152:153], v[22:23], v[114:115]
	v_fma_f64 v[114:115], v[20:21], v[114:115], -v[116:117]
	scratch_load_b128 v[20:23], off, off offset:496
	s_wait_loadcnt_dscnt 0xc01
	v_mul_f64_e32 v[156:157], v[4:5], v[120:121]
	v_mul_f64_e32 v[120:121], v[6:7], v[120:121]
	v_add_f64_e32 v[116:117], v[160:161], v[158:159]
	v_add_f64_e32 v[150:151], v[150:151], v[154:155]
	s_wait_loadcnt_dscnt 0xb00
	v_mul_f64_e32 v[154:155], v[106:107], v[124:125]
	v_mul_f64_e32 v[124:125], v[108:109], v[124:125]
	v_fmac_f64_e32 v[156:157], v[6:7], v[118:119]
	v_fma_f64 v[158:159], v[4:5], v[118:119], -v[120:121]
	v_add_f64_e32 v[160:161], v[116:117], v[114:115]
	v_add_f64_e32 v[150:151], v[150:151], v[152:153]
	ds_load_b128 v[4:7], v2 offset:992
	ds_load_b128 v[114:117], v2 offset:1008
	scratch_load_b128 v[118:121], off, off offset:512
	v_fmac_f64_e32 v[154:155], v[108:109], v[122:123]
	v_fma_f64 v[122:123], v[106:107], v[122:123], -v[124:125]
	scratch_load_b128 v[106:109], off, off offset:528
	s_wait_loadcnt_dscnt 0xc01
	v_mul_f64_e32 v[152:153], v[4:5], v[132:133]
	v_mul_f64_e32 v[132:133], v[6:7], v[132:133]
	;; [unrolled: 18-line block ×5, first 2 shown]
	v_add_f64_e32 v[144:145], v[160:161], v[158:159]
	v_add_f64_e32 v[150:151], v[150:151], v[156:157]
	s_wait_loadcnt_dscnt 0xa00
	v_mul_f64_e32 v[156:157], v[122:123], v[14:15]
	v_mul_f64_e32 v[14:15], v[124:125], v[14:15]
	v_fmac_f64_e32 v[152:153], v[6:7], v[126:127]
	v_fma_f64 v[158:159], v[4:5], v[126:127], -v[128:129]
	ds_load_b128 v[4:7], v2 offset:1120
	ds_load_b128 v[126:129], v2 offset:1136
	v_add_f64_e32 v[142:143], v[144:145], v[142:143]
	v_add_f64_e32 v[144:145], v[150:151], v[154:155]
	v_fmac_f64_e32 v[156:157], v[124:125], v[12:13]
	v_fma_f64 v[12:13], v[122:123], v[12:13], -v[14:15]
	s_wait_loadcnt_dscnt 0x901
	v_mul_f64_e32 v[150:151], v[4:5], v[112:113]
	v_mul_f64_e32 v[112:113], v[6:7], v[112:113]
	s_wait_loadcnt_dscnt 0x800
	v_mul_f64_e32 v[124:125], v[126:127], v[22:23]
	v_mul_f64_e32 v[22:23], v[128:129], v[22:23]
	v_add_f64_e32 v[14:15], v[142:143], v[158:159]
	v_add_f64_e32 v[122:123], v[144:145], v[152:153]
	v_fmac_f64_e32 v[150:151], v[6:7], v[110:111]
	v_fma_f64 v[110:111], v[4:5], v[110:111], -v[112:113]
	v_fmac_f64_e32 v[124:125], v[128:129], v[20:21]
	v_fma_f64 v[20:21], v[126:127], v[20:21], -v[22:23]
	v_add_f64_e32 v[112:113], v[14:15], v[12:13]
	v_add_f64_e32 v[122:123], v[122:123], v[156:157]
	ds_load_b128 v[4:7], v2 offset:1152
	ds_load_b128 v[12:15], v2 offset:1168
	s_wait_loadcnt_dscnt 0x701
	v_mul_f64_e32 v[142:143], v[4:5], v[120:121]
	v_mul_f64_e32 v[120:121], v[6:7], v[120:121]
	v_add_f64_e32 v[22:23], v[112:113], v[110:111]
	v_add_f64_e32 v[110:111], v[122:123], v[150:151]
	s_wait_loadcnt_dscnt 0x600
	v_mul_f64_e32 v[112:113], v[12:13], v[108:109]
	v_mul_f64_e32 v[108:109], v[14:15], v[108:109]
	v_fmac_f64_e32 v[142:143], v[6:7], v[118:119]
	v_fma_f64 v[118:119], v[4:5], v[118:119], -v[120:121]
	v_add_f64_e32 v[120:121], v[22:23], v[20:21]
	v_add_f64_e32 v[110:111], v[110:111], v[124:125]
	ds_load_b128 v[4:7], v2 offset:1184
	ds_load_b128 v[20:23], v2 offset:1200
	v_fmac_f64_e32 v[112:113], v[14:15], v[106:107]
	v_fma_f64 v[12:13], v[12:13], v[106:107], -v[108:109]
	s_wait_loadcnt_dscnt 0x501
	v_mul_f64_e32 v[122:123], v[4:5], v[132:133]
	v_mul_f64_e32 v[124:125], v[6:7], v[132:133]
	s_wait_loadcnt_dscnt 0x400
	v_mul_f64_e32 v[108:109], v[20:21], v[116:117]
	v_add_f64_e32 v[14:15], v[120:121], v[118:119]
	v_add_f64_e32 v[106:107], v[110:111], v[142:143]
	v_mul_f64_e32 v[110:111], v[22:23], v[116:117]
	v_fmac_f64_e32 v[122:123], v[6:7], v[130:131]
	v_fma_f64 v[116:117], v[4:5], v[130:131], -v[124:125]
	v_fmac_f64_e32 v[108:109], v[22:23], v[114:115]
	v_add_f64_e32 v[118:119], v[14:15], v[12:13]
	v_add_f64_e32 v[106:107], v[106:107], v[112:113]
	ds_load_b128 v[4:7], v2 offset:1216
	ds_load_b128 v[12:15], v2 offset:1232
	v_fma_f64 v[20:21], v[20:21], v[114:115], -v[110:111]
	s_wait_loadcnt_dscnt 0x301
	v_mul_f64_e32 v[112:113], v[4:5], v[148:149]
	v_mul_f64_e32 v[120:121], v[6:7], v[148:149]
	s_wait_loadcnt_dscnt 0x200
	v_mul_f64_e32 v[110:111], v[12:13], v[10:11]
	v_mul_f64_e32 v[10:11], v[14:15], v[10:11]
	v_add_f64_e32 v[22:23], v[118:119], v[116:117]
	v_add_f64_e32 v[106:107], v[106:107], v[122:123]
	v_fmac_f64_e32 v[112:113], v[6:7], v[146:147]
	v_fma_f64 v[114:115], v[4:5], v[146:147], -v[120:121]
	v_fmac_f64_e32 v[110:111], v[14:15], v[8:9]
	v_fma_f64 v[8:9], v[12:13], v[8:9], -v[10:11]
	v_add_f64_e32 v[116:117], v[22:23], v[20:21]
	v_add_f64_e32 v[106:107], v[106:107], v[108:109]
	ds_load_b128 v[4:7], v2 offset:1248
	ds_load_b128 v[20:23], v2 offset:1264
	s_wait_loadcnt_dscnt 0x101
	v_mul_f64_e32 v[2:3], v[4:5], v[136:137]
	v_mul_f64_e32 v[108:109], v[6:7], v[136:137]
	s_wait_loadcnt_dscnt 0x0
	v_mul_f64_e32 v[14:15], v[20:21], v[18:19]
	v_mul_f64_e32 v[18:19], v[22:23], v[18:19]
	v_add_f64_e32 v[10:11], v[116:117], v[114:115]
	v_add_f64_e32 v[12:13], v[106:107], v[112:113]
	v_fmac_f64_e32 v[2:3], v[6:7], v[134:135]
	v_fma_f64 v[4:5], v[4:5], v[134:135], -v[108:109]
	v_fmac_f64_e32 v[14:15], v[22:23], v[16:17]
	v_add_f64_e32 v[6:7], v[10:11], v[8:9]
	v_add_f64_e32 v[8:9], v[12:13], v[110:111]
	v_fma_f64 v[10:11], v[20:21], v[16:17], -v[18:19]
	s_delay_alu instid0(VALU_DEP_3) | instskip(NEXT) | instid1(VALU_DEP_3)
	v_add_f64_e32 v[4:5], v[6:7], v[4:5]
	v_add_f64_e32 v[2:3], v[8:9], v[2:3]
	s_delay_alu instid0(VALU_DEP_2) | instskip(NEXT) | instid1(VALU_DEP_2)
	v_add_f64_e32 v[4:5], v[4:5], v[10:11]
	v_add_f64_e32 v[6:7], v[2:3], v[14:15]
	s_delay_alu instid0(VALU_DEP_2) | instskip(NEXT) | instid1(VALU_DEP_2)
	v_add_f64_e64 v[2:3], v[138:139], -v[4:5]
	v_add_f64_e64 v[4:5], v[140:141], -v[6:7]
	scratch_store_b128 off, v[2:5], off offset:176
	s_wait_xcnt 0x0
	v_cmpx_lt_u32_e32 10, v1
	s_cbranch_execz .LBB103_233
; %bb.232:
	scratch_load_b128 v[2:5], off, s46
	v_mov_b32_e32 v6, 0
	s_delay_alu instid0(VALU_DEP_1)
	v_dual_mov_b32 v7, v6 :: v_dual_mov_b32 v8, v6
	v_mov_b32_e32 v9, v6
	scratch_store_b128 off, v[6:9], off offset:160
	s_wait_loadcnt 0x0
	ds_store_b128 v104, v[2:5]
.LBB103_233:
	s_wait_xcnt 0x0
	s_or_b32 exec_lo, exec_lo, s2
	s_wait_storecnt_dscnt 0x0
	s_barrier_signal -1
	s_barrier_wait -1
	s_clause 0x9
	scratch_load_b128 v[4:7], off, off offset:176
	scratch_load_b128 v[8:11], off, off offset:192
	;; [unrolled: 1-line block ×10, first 2 shown]
	v_mov_b32_e32 v2, 0
	s_mov_b32 s2, exec_lo
	ds_load_b128 v[126:129], v2 offset:816
	s_clause 0x2
	scratch_load_b128 v[130:133], off, off offset:336
	scratch_load_b128 v[134:137], off, off offset:160
	;; [unrolled: 1-line block ×3, first 2 shown]
	s_wait_loadcnt_dscnt 0xc00
	v_mul_f64_e32 v[146:147], v[128:129], v[6:7]
	v_mul_f64_e32 v[150:151], v[126:127], v[6:7]
	ds_load_b128 v[138:141], v2 offset:832
	v_fma_f64 v[154:155], v[126:127], v[4:5], -v[146:147]
	v_fmac_f64_e32 v[150:151], v[128:129], v[4:5]
	ds_load_b128 v[4:7], v2 offset:848
	s_wait_loadcnt_dscnt 0xb01
	v_mul_f64_e32 v[152:153], v[138:139], v[10:11]
	v_mul_f64_e32 v[10:11], v[140:141], v[10:11]
	scratch_load_b128 v[126:129], off, off offset:368
	ds_load_b128 v[146:149], v2 offset:864
	s_wait_loadcnt_dscnt 0xb01
	v_mul_f64_e32 v[156:157], v[4:5], v[14:15]
	v_mul_f64_e32 v[14:15], v[6:7], v[14:15]
	v_add_f64_e32 v[150:151], 0, v[150:151]
	v_fmac_f64_e32 v[152:153], v[140:141], v[8:9]
	v_fma_f64 v[138:139], v[138:139], v[8:9], -v[10:11]
	v_add_f64_e32 v[140:141], 0, v[154:155]
	scratch_load_b128 v[8:11], off, off offset:384
	v_fmac_f64_e32 v[156:157], v[6:7], v[12:13]
	v_fma_f64 v[158:159], v[4:5], v[12:13], -v[14:15]
	ds_load_b128 v[4:7], v2 offset:880
	s_wait_loadcnt_dscnt 0xb01
	v_mul_f64_e32 v[154:155], v[146:147], v[18:19]
	v_mul_f64_e32 v[18:19], v[148:149], v[18:19]
	scratch_load_b128 v[12:15], off, off offset:400
	v_add_f64_e32 v[150:151], v[150:151], v[152:153]
	v_add_f64_e32 v[160:161], v[140:141], v[138:139]
	ds_load_b128 v[138:141], v2 offset:896
	s_wait_loadcnt_dscnt 0xb01
	v_mul_f64_e32 v[152:153], v[4:5], v[22:23]
	v_mul_f64_e32 v[22:23], v[6:7], v[22:23]
	v_fmac_f64_e32 v[154:155], v[148:149], v[16:17]
	v_fma_f64 v[146:147], v[146:147], v[16:17], -v[18:19]
	scratch_load_b128 v[16:19], off, off offset:416
	v_add_f64_e32 v[150:151], v[150:151], v[156:157]
	v_add_f64_e32 v[148:149], v[160:161], v[158:159]
	v_fmac_f64_e32 v[152:153], v[6:7], v[20:21]
	v_fma_f64 v[158:159], v[4:5], v[20:21], -v[22:23]
	ds_load_b128 v[4:7], v2 offset:912
	s_wait_loadcnt_dscnt 0xb01
	v_mul_f64_e32 v[156:157], v[138:139], v[108:109]
	v_mul_f64_e32 v[108:109], v[140:141], v[108:109]
	scratch_load_b128 v[20:23], off, off offset:432
	v_add_f64_e32 v[150:151], v[150:151], v[154:155]
	s_wait_loadcnt_dscnt 0xb00
	v_mul_f64_e32 v[154:155], v[4:5], v[112:113]
	v_add_f64_e32 v[160:161], v[148:149], v[146:147]
	v_mul_f64_e32 v[112:113], v[6:7], v[112:113]
	ds_load_b128 v[146:149], v2 offset:928
	v_fmac_f64_e32 v[156:157], v[140:141], v[106:107]
	v_fma_f64 v[138:139], v[138:139], v[106:107], -v[108:109]
	scratch_load_b128 v[106:109], off, off offset:448
	v_add_f64_e32 v[150:151], v[150:151], v[152:153]
	v_fmac_f64_e32 v[154:155], v[6:7], v[110:111]
	v_add_f64_e32 v[140:141], v[160:161], v[158:159]
	v_fma_f64 v[158:159], v[4:5], v[110:111], -v[112:113]
	ds_load_b128 v[4:7], v2 offset:944
	s_wait_loadcnt_dscnt 0xb01
	v_mul_f64_e32 v[152:153], v[146:147], v[116:117]
	v_mul_f64_e32 v[116:117], v[148:149], v[116:117]
	scratch_load_b128 v[110:113], off, off offset:464
	v_add_f64_e32 v[150:151], v[150:151], v[156:157]
	s_wait_loadcnt_dscnt 0xb00
	v_mul_f64_e32 v[156:157], v[4:5], v[120:121]
	v_add_f64_e32 v[160:161], v[140:141], v[138:139]
	v_mul_f64_e32 v[120:121], v[6:7], v[120:121]
	ds_load_b128 v[138:141], v2 offset:960
	v_fmac_f64_e32 v[152:153], v[148:149], v[114:115]
	v_fma_f64 v[146:147], v[146:147], v[114:115], -v[116:117]
	scratch_load_b128 v[114:117], off, off offset:480
	v_add_f64_e32 v[150:151], v[150:151], v[154:155]
	v_fmac_f64_e32 v[156:157], v[6:7], v[118:119]
	v_add_f64_e32 v[148:149], v[160:161], v[158:159]
	;; [unrolled: 18-line block ×3, first 2 shown]
	v_fma_f64 v[158:159], v[4:5], v[130:131], -v[132:133]
	ds_load_b128 v[4:7], v2 offset:1008
	s_wait_loadcnt_dscnt 0xa01
	v_mul_f64_e32 v[156:157], v[146:147], v[144:145]
	v_mul_f64_e32 v[144:145], v[148:149], v[144:145]
	scratch_load_b128 v[130:133], off, off offset:528
	v_add_f64_e32 v[150:151], v[150:151], v[154:155]
	v_add_f64_e32 v[160:161], v[140:141], v[138:139]
	s_wait_loadcnt_dscnt 0xa00
	v_mul_f64_e32 v[154:155], v[4:5], v[128:129]
	v_mul_f64_e32 v[128:129], v[6:7], v[128:129]
	v_fmac_f64_e32 v[156:157], v[148:149], v[142:143]
	v_fma_f64 v[146:147], v[146:147], v[142:143], -v[144:145]
	ds_load_b128 v[138:141], v2 offset:1024
	scratch_load_b128 v[142:145], off, off offset:544
	v_add_f64_e32 v[150:151], v[150:151], v[152:153]
	v_add_f64_e32 v[148:149], v[160:161], v[158:159]
	v_fmac_f64_e32 v[154:155], v[6:7], v[126:127]
	v_fma_f64 v[158:159], v[4:5], v[126:127], -v[128:129]
	ds_load_b128 v[4:7], v2 offset:1040
	s_wait_loadcnt_dscnt 0xa01
	v_mul_f64_e32 v[152:153], v[138:139], v[10:11]
	v_mul_f64_e32 v[10:11], v[140:141], v[10:11]
	scratch_load_b128 v[126:129], off, off offset:560
	v_add_f64_e32 v[150:151], v[150:151], v[156:157]
	s_wait_loadcnt_dscnt 0xa00
	v_mul_f64_e32 v[156:157], v[4:5], v[14:15]
	v_add_f64_e32 v[160:161], v[148:149], v[146:147]
	v_mul_f64_e32 v[14:15], v[6:7], v[14:15]
	ds_load_b128 v[146:149], v2 offset:1056
	v_fmac_f64_e32 v[152:153], v[140:141], v[8:9]
	v_fma_f64 v[138:139], v[138:139], v[8:9], -v[10:11]
	scratch_load_b128 v[8:11], off, off offset:576
	v_add_f64_e32 v[150:151], v[150:151], v[154:155]
	v_fmac_f64_e32 v[156:157], v[6:7], v[12:13]
	v_add_f64_e32 v[140:141], v[160:161], v[158:159]
	v_fma_f64 v[158:159], v[4:5], v[12:13], -v[14:15]
	ds_load_b128 v[4:7], v2 offset:1072
	s_wait_loadcnt_dscnt 0xa01
	v_mul_f64_e32 v[154:155], v[146:147], v[18:19]
	v_mul_f64_e32 v[18:19], v[148:149], v[18:19]
	scratch_load_b128 v[12:15], off, off offset:592
	v_add_f64_e32 v[150:151], v[150:151], v[152:153]
	s_wait_loadcnt_dscnt 0xa00
	v_mul_f64_e32 v[152:153], v[4:5], v[22:23]
	v_add_f64_e32 v[160:161], v[140:141], v[138:139]
	v_mul_f64_e32 v[22:23], v[6:7], v[22:23]
	ds_load_b128 v[138:141], v2 offset:1088
	v_fmac_f64_e32 v[154:155], v[148:149], v[16:17]
	v_fma_f64 v[146:147], v[146:147], v[16:17], -v[18:19]
	scratch_load_b128 v[16:19], off, off offset:608
	v_add_f64_e32 v[150:151], v[150:151], v[156:157]
	v_fmac_f64_e32 v[152:153], v[6:7], v[20:21]
	v_add_f64_e32 v[148:149], v[160:161], v[158:159]
	v_fma_f64 v[158:159], v[4:5], v[20:21], -v[22:23]
	ds_load_b128 v[4:7], v2 offset:1104
	s_wait_loadcnt_dscnt 0xa01
	v_mul_f64_e32 v[156:157], v[138:139], v[108:109]
	v_mul_f64_e32 v[108:109], v[140:141], v[108:109]
	scratch_load_b128 v[20:23], off, off offset:624
	v_add_f64_e32 v[150:151], v[150:151], v[154:155]
	s_wait_loadcnt_dscnt 0xa00
	v_mul_f64_e32 v[154:155], v[4:5], v[112:113]
	v_add_f64_e32 v[160:161], v[148:149], v[146:147]
	v_mul_f64_e32 v[112:113], v[6:7], v[112:113]
	ds_load_b128 v[146:149], v2 offset:1120
	v_fmac_f64_e32 v[156:157], v[140:141], v[106:107]
	v_fma_f64 v[106:107], v[138:139], v[106:107], -v[108:109]
	s_wait_loadcnt_dscnt 0x900
	v_mul_f64_e32 v[140:141], v[146:147], v[116:117]
	v_mul_f64_e32 v[116:117], v[148:149], v[116:117]
	v_add_f64_e32 v[138:139], v[150:151], v[152:153]
	v_fmac_f64_e32 v[154:155], v[6:7], v[110:111]
	v_add_f64_e32 v[108:109], v[160:161], v[158:159]
	v_fma_f64 v[110:111], v[4:5], v[110:111], -v[112:113]
	v_fmac_f64_e32 v[140:141], v[148:149], v[114:115]
	v_fma_f64 v[114:115], v[146:147], v[114:115], -v[116:117]
	v_add_f64_e32 v[138:139], v[138:139], v[156:157]
	v_add_f64_e32 v[112:113], v[108:109], v[106:107]
	ds_load_b128 v[4:7], v2 offset:1136
	ds_load_b128 v[106:109], v2 offset:1152
	s_wait_loadcnt_dscnt 0x801
	v_mul_f64_e32 v[150:151], v[4:5], v[120:121]
	v_mul_f64_e32 v[120:121], v[6:7], v[120:121]
	s_wait_loadcnt_dscnt 0x700
	v_mul_f64_e32 v[116:117], v[106:107], v[124:125]
	v_mul_f64_e32 v[124:125], v[108:109], v[124:125]
	v_add_f64_e32 v[110:111], v[112:113], v[110:111]
	v_add_f64_e32 v[112:113], v[138:139], v[154:155]
	v_fmac_f64_e32 v[150:151], v[6:7], v[118:119]
	v_fma_f64 v[118:119], v[4:5], v[118:119], -v[120:121]
	v_fmac_f64_e32 v[116:117], v[108:109], v[122:123]
	v_fma_f64 v[106:107], v[106:107], v[122:123], -v[124:125]
	v_add_f64_e32 v[114:115], v[110:111], v[114:115]
	v_add_f64_e32 v[120:121], v[112:113], v[140:141]
	ds_load_b128 v[4:7], v2 offset:1168
	ds_load_b128 v[110:113], v2 offset:1184
	s_wait_loadcnt_dscnt 0x601
	v_mul_f64_e32 v[138:139], v[4:5], v[132:133]
	v_mul_f64_e32 v[132:133], v[6:7], v[132:133]
	v_add_f64_e32 v[108:109], v[114:115], v[118:119]
	v_add_f64_e32 v[114:115], v[120:121], v[150:151]
	s_wait_loadcnt_dscnt 0x500
	v_mul_f64_e32 v[118:119], v[110:111], v[144:145]
	v_mul_f64_e32 v[120:121], v[112:113], v[144:145]
	v_fmac_f64_e32 v[138:139], v[6:7], v[130:131]
	v_fma_f64 v[122:123], v[4:5], v[130:131], -v[132:133]
	v_add_f64_e32 v[124:125], v[108:109], v[106:107]
	v_add_f64_e32 v[114:115], v[114:115], v[116:117]
	ds_load_b128 v[4:7], v2 offset:1200
	ds_load_b128 v[106:109], v2 offset:1216
	v_fmac_f64_e32 v[118:119], v[112:113], v[142:143]
	v_fma_f64 v[110:111], v[110:111], v[142:143], -v[120:121]
	s_wait_loadcnt_dscnt 0x401
	v_mul_f64_e32 v[116:117], v[4:5], v[128:129]
	v_mul_f64_e32 v[128:129], v[6:7], v[128:129]
	s_wait_loadcnt_dscnt 0x300
	v_mul_f64_e32 v[120:121], v[106:107], v[10:11]
	v_mul_f64_e32 v[10:11], v[108:109], v[10:11]
	v_add_f64_e32 v[112:113], v[124:125], v[122:123]
	v_add_f64_e32 v[114:115], v[114:115], v[138:139]
	v_fmac_f64_e32 v[116:117], v[6:7], v[126:127]
	v_fma_f64 v[122:123], v[4:5], v[126:127], -v[128:129]
	v_fmac_f64_e32 v[120:121], v[108:109], v[8:9]
	v_fma_f64 v[8:9], v[106:107], v[8:9], -v[10:11]
	v_add_f64_e32 v[124:125], v[112:113], v[110:111]
	v_add_f64_e32 v[114:115], v[114:115], v[118:119]
	ds_load_b128 v[4:7], v2 offset:1232
	ds_load_b128 v[110:113], v2 offset:1248
	s_wait_loadcnt_dscnt 0x201
	v_mul_f64_e32 v[118:119], v[4:5], v[14:15]
	v_mul_f64_e32 v[14:15], v[6:7], v[14:15]
	s_wait_loadcnt_dscnt 0x100
	v_mul_f64_e32 v[108:109], v[110:111], v[18:19]
	v_mul_f64_e32 v[18:19], v[112:113], v[18:19]
	v_add_f64_e32 v[10:11], v[124:125], v[122:123]
	v_add_f64_e32 v[106:107], v[114:115], v[116:117]
	v_fmac_f64_e32 v[118:119], v[6:7], v[12:13]
	v_fma_f64 v[12:13], v[4:5], v[12:13], -v[14:15]
	ds_load_b128 v[4:7], v2 offset:1264
	v_fmac_f64_e32 v[108:109], v[112:113], v[16:17]
	v_fma_f64 v[16:17], v[110:111], v[16:17], -v[18:19]
	v_add_f64_e32 v[8:9], v[10:11], v[8:9]
	v_add_f64_e32 v[10:11], v[106:107], v[120:121]
	s_wait_loadcnt_dscnt 0x0
	v_mul_f64_e32 v[14:15], v[4:5], v[22:23]
	v_mul_f64_e32 v[22:23], v[6:7], v[22:23]
	s_delay_alu instid0(VALU_DEP_4) | instskip(NEXT) | instid1(VALU_DEP_4)
	v_add_f64_e32 v[8:9], v[8:9], v[12:13]
	v_add_f64_e32 v[10:11], v[10:11], v[118:119]
	s_delay_alu instid0(VALU_DEP_4) | instskip(NEXT) | instid1(VALU_DEP_4)
	v_fmac_f64_e32 v[14:15], v[6:7], v[20:21]
	v_fma_f64 v[4:5], v[4:5], v[20:21], -v[22:23]
	s_delay_alu instid0(VALU_DEP_4) | instskip(NEXT) | instid1(VALU_DEP_4)
	v_add_f64_e32 v[6:7], v[8:9], v[16:17]
	v_add_f64_e32 v[8:9], v[10:11], v[108:109]
	s_delay_alu instid0(VALU_DEP_2) | instskip(NEXT) | instid1(VALU_DEP_2)
	v_add_f64_e32 v[4:5], v[6:7], v[4:5]
	v_add_f64_e32 v[6:7], v[8:9], v[14:15]
	s_delay_alu instid0(VALU_DEP_2) | instskip(NEXT) | instid1(VALU_DEP_2)
	v_add_f64_e64 v[4:5], v[134:135], -v[4:5]
	v_add_f64_e64 v[6:7], v[136:137], -v[6:7]
	scratch_store_b128 off, v[4:7], off offset:160
	s_wait_xcnt 0x0
	v_cmpx_lt_u32_e32 9, v1
	s_cbranch_execz .LBB103_235
; %bb.234:
	scratch_load_b128 v[6:9], off, s47
	v_dual_mov_b32 v3, v2 :: v_dual_mov_b32 v4, v2
	v_mov_b32_e32 v5, v2
	scratch_store_b128 off, v[2:5], off offset:144
	s_wait_loadcnt 0x0
	ds_store_b128 v104, v[6:9]
.LBB103_235:
	s_wait_xcnt 0x0
	s_or_b32 exec_lo, exec_lo, s2
	s_wait_storecnt_dscnt 0x0
	s_barrier_signal -1
	s_barrier_wait -1
	s_clause 0x9
	scratch_load_b128 v[4:7], off, off offset:160
	scratch_load_b128 v[8:11], off, off offset:176
	;; [unrolled: 1-line block ×10, first 2 shown]
	ds_load_b128 v[126:129], v2 offset:800
	ds_load_b128 v[134:137], v2 offset:816
	s_clause 0x2
	scratch_load_b128 v[130:133], off, off offset:320
	scratch_load_b128 v[138:141], off, off offset:144
	scratch_load_b128 v[142:145], off, off offset:336
	s_mov_b32 s2, exec_lo
	s_wait_loadcnt_dscnt 0xc01
	v_mul_f64_e32 v[146:147], v[128:129], v[6:7]
	v_mul_f64_e32 v[150:151], v[126:127], v[6:7]
	s_wait_loadcnt_dscnt 0xb00
	v_mul_f64_e32 v[152:153], v[134:135], v[10:11]
	v_mul_f64_e32 v[10:11], v[136:137], v[10:11]
	s_delay_alu instid0(VALU_DEP_4) | instskip(NEXT) | instid1(VALU_DEP_4)
	v_fma_f64 v[154:155], v[126:127], v[4:5], -v[146:147]
	v_fmac_f64_e32 v[150:151], v[128:129], v[4:5]
	ds_load_b128 v[4:7], v2 offset:832
	ds_load_b128 v[126:129], v2 offset:848
	scratch_load_b128 v[146:149], off, off offset:352
	v_fmac_f64_e32 v[152:153], v[136:137], v[8:9]
	v_fma_f64 v[134:135], v[134:135], v[8:9], -v[10:11]
	scratch_load_b128 v[8:11], off, off offset:368
	s_wait_loadcnt_dscnt 0xc01
	v_mul_f64_e32 v[156:157], v[4:5], v[14:15]
	v_mul_f64_e32 v[14:15], v[6:7], v[14:15]
	v_add_f64_e32 v[136:137], 0, v[154:155]
	v_add_f64_e32 v[150:151], 0, v[150:151]
	s_wait_loadcnt_dscnt 0xb00
	v_mul_f64_e32 v[154:155], v[126:127], v[18:19]
	v_mul_f64_e32 v[18:19], v[128:129], v[18:19]
	v_fmac_f64_e32 v[156:157], v[6:7], v[12:13]
	v_fma_f64 v[158:159], v[4:5], v[12:13], -v[14:15]
	ds_load_b128 v[4:7], v2 offset:864
	ds_load_b128 v[12:15], v2 offset:880
	v_add_f64_e32 v[160:161], v[136:137], v[134:135]
	v_add_f64_e32 v[150:151], v[150:151], v[152:153]
	scratch_load_b128 v[134:137], off, off offset:384
	v_fmac_f64_e32 v[154:155], v[128:129], v[16:17]
	v_fma_f64 v[126:127], v[126:127], v[16:17], -v[18:19]
	scratch_load_b128 v[16:19], off, off offset:400
	s_wait_loadcnt_dscnt 0xc01
	v_mul_f64_e32 v[152:153], v[4:5], v[22:23]
	v_mul_f64_e32 v[22:23], v[6:7], v[22:23]
	v_add_f64_e32 v[128:129], v[160:161], v[158:159]
	v_add_f64_e32 v[150:151], v[150:151], v[156:157]
	s_wait_loadcnt_dscnt 0xb00
	v_mul_f64_e32 v[156:157], v[12:13], v[108:109]
	v_mul_f64_e32 v[108:109], v[14:15], v[108:109]
	v_fmac_f64_e32 v[152:153], v[6:7], v[20:21]
	v_fma_f64 v[158:159], v[4:5], v[20:21], -v[22:23]
	ds_load_b128 v[4:7], v2 offset:896
	ds_load_b128 v[20:23], v2 offset:912
	v_add_f64_e32 v[160:161], v[128:129], v[126:127]
	v_add_f64_e32 v[150:151], v[150:151], v[154:155]
	scratch_load_b128 v[126:129], off, off offset:416
	s_wait_loadcnt_dscnt 0xb01
	v_mul_f64_e32 v[154:155], v[4:5], v[112:113]
	v_mul_f64_e32 v[112:113], v[6:7], v[112:113]
	v_fmac_f64_e32 v[156:157], v[14:15], v[106:107]
	v_fma_f64 v[106:107], v[12:13], v[106:107], -v[108:109]
	scratch_load_b128 v[12:15], off, off offset:432
	v_add_f64_e32 v[108:109], v[160:161], v[158:159]
	v_add_f64_e32 v[150:151], v[150:151], v[152:153]
	s_wait_loadcnt_dscnt 0xb00
	v_mul_f64_e32 v[152:153], v[20:21], v[116:117]
	v_mul_f64_e32 v[116:117], v[22:23], v[116:117]
	v_fmac_f64_e32 v[154:155], v[6:7], v[110:111]
	v_fma_f64 v[158:159], v[4:5], v[110:111], -v[112:113]
	v_add_f64_e32 v[160:161], v[108:109], v[106:107]
	v_add_f64_e32 v[150:151], v[150:151], v[156:157]
	ds_load_b128 v[4:7], v2 offset:928
	ds_load_b128 v[106:109], v2 offset:944
	scratch_load_b128 v[110:113], off, off offset:448
	v_fmac_f64_e32 v[152:153], v[22:23], v[114:115]
	v_fma_f64 v[114:115], v[20:21], v[114:115], -v[116:117]
	scratch_load_b128 v[20:23], off, off offset:464
	s_wait_loadcnt_dscnt 0xc01
	v_mul_f64_e32 v[156:157], v[4:5], v[120:121]
	v_mul_f64_e32 v[120:121], v[6:7], v[120:121]
	v_add_f64_e32 v[116:117], v[160:161], v[158:159]
	v_add_f64_e32 v[150:151], v[150:151], v[154:155]
	s_wait_loadcnt_dscnt 0xb00
	v_mul_f64_e32 v[154:155], v[106:107], v[124:125]
	v_mul_f64_e32 v[124:125], v[108:109], v[124:125]
	v_fmac_f64_e32 v[156:157], v[6:7], v[118:119]
	v_fma_f64 v[158:159], v[4:5], v[118:119], -v[120:121]
	v_add_f64_e32 v[160:161], v[116:117], v[114:115]
	v_add_f64_e32 v[150:151], v[150:151], v[152:153]
	ds_load_b128 v[4:7], v2 offset:960
	ds_load_b128 v[114:117], v2 offset:976
	scratch_load_b128 v[118:121], off, off offset:480
	v_fmac_f64_e32 v[154:155], v[108:109], v[122:123]
	v_fma_f64 v[122:123], v[106:107], v[122:123], -v[124:125]
	scratch_load_b128 v[106:109], off, off offset:496
	s_wait_loadcnt_dscnt 0xc01
	v_mul_f64_e32 v[152:153], v[4:5], v[132:133]
	v_mul_f64_e32 v[132:133], v[6:7], v[132:133]
	;; [unrolled: 18-line block ×5, first 2 shown]
	v_add_f64_e32 v[144:145], v[160:161], v[158:159]
	v_add_f64_e32 v[150:151], v[150:151], v[156:157]
	s_wait_loadcnt_dscnt 0xa00
	v_mul_f64_e32 v[156:157], v[122:123], v[14:15]
	v_mul_f64_e32 v[14:15], v[124:125], v[14:15]
	v_fmac_f64_e32 v[152:153], v[6:7], v[126:127]
	v_fma_f64 v[158:159], v[4:5], v[126:127], -v[128:129]
	ds_load_b128 v[4:7], v2 offset:1088
	ds_load_b128 v[126:129], v2 offset:1104
	v_add_f64_e32 v[160:161], v[144:145], v[142:143]
	v_add_f64_e32 v[150:151], v[150:151], v[154:155]
	scratch_load_b128 v[142:145], off, off offset:608
	v_fmac_f64_e32 v[156:157], v[124:125], v[12:13]
	v_fma_f64 v[122:123], v[122:123], v[12:13], -v[14:15]
	scratch_load_b128 v[12:15], off, off offset:624
	s_wait_loadcnt_dscnt 0xb01
	v_mul_f64_e32 v[154:155], v[4:5], v[112:113]
	v_mul_f64_e32 v[112:113], v[6:7], v[112:113]
	v_add_f64_e32 v[124:125], v[160:161], v[158:159]
	v_add_f64_e32 v[150:151], v[150:151], v[152:153]
	s_wait_loadcnt_dscnt 0xa00
	v_mul_f64_e32 v[152:153], v[126:127], v[22:23]
	v_mul_f64_e32 v[22:23], v[128:129], v[22:23]
	v_fmac_f64_e32 v[154:155], v[6:7], v[110:111]
	v_fma_f64 v[158:159], v[4:5], v[110:111], -v[112:113]
	ds_load_b128 v[4:7], v2 offset:1120
	ds_load_b128 v[110:113], v2 offset:1136
	v_add_f64_e32 v[122:123], v[124:125], v[122:123]
	v_add_f64_e32 v[124:125], v[150:151], v[156:157]
	v_fmac_f64_e32 v[152:153], v[128:129], v[20:21]
	s_wait_loadcnt_dscnt 0x901
	v_mul_f64_e32 v[150:151], v[4:5], v[120:121]
	v_mul_f64_e32 v[120:121], v[6:7], v[120:121]
	v_fma_f64 v[20:21], v[126:127], v[20:21], -v[22:23]
	v_add_f64_e32 v[22:23], v[122:123], v[158:159]
	v_add_f64_e32 v[122:123], v[124:125], v[154:155]
	s_wait_loadcnt_dscnt 0x800
	v_mul_f64_e32 v[124:125], v[110:111], v[108:109]
	v_mul_f64_e32 v[108:109], v[112:113], v[108:109]
	v_fmac_f64_e32 v[150:151], v[6:7], v[118:119]
	v_fma_f64 v[118:119], v[4:5], v[118:119], -v[120:121]
	v_add_f64_e32 v[120:121], v[22:23], v[20:21]
	v_add_f64_e32 v[122:123], v[122:123], v[152:153]
	ds_load_b128 v[4:7], v2 offset:1152
	ds_load_b128 v[20:23], v2 offset:1168
	v_fmac_f64_e32 v[124:125], v[112:113], v[106:107]
	v_fma_f64 v[106:107], v[110:111], v[106:107], -v[108:109]
	s_wait_loadcnt_dscnt 0x701
	v_mul_f64_e32 v[126:127], v[4:5], v[132:133]
	v_mul_f64_e32 v[128:129], v[6:7], v[132:133]
	s_wait_loadcnt_dscnt 0x600
	v_mul_f64_e32 v[112:113], v[20:21], v[116:117]
	v_mul_f64_e32 v[116:117], v[22:23], v[116:117]
	v_add_f64_e32 v[108:109], v[120:121], v[118:119]
	v_add_f64_e32 v[110:111], v[122:123], v[150:151]
	v_fmac_f64_e32 v[126:127], v[6:7], v[130:131]
	v_fma_f64 v[118:119], v[4:5], v[130:131], -v[128:129]
	v_fmac_f64_e32 v[112:113], v[22:23], v[114:115]
	v_fma_f64 v[20:21], v[20:21], v[114:115], -v[116:117]
	v_add_f64_e32 v[120:121], v[108:109], v[106:107]
	v_add_f64_e32 v[110:111], v[110:111], v[124:125]
	ds_load_b128 v[4:7], v2 offset:1184
	ds_load_b128 v[106:109], v2 offset:1200
	s_wait_loadcnt_dscnt 0x501
	v_mul_f64_e32 v[122:123], v[4:5], v[148:149]
	v_mul_f64_e32 v[124:125], v[6:7], v[148:149]
	s_wait_loadcnt_dscnt 0x400
	v_mul_f64_e32 v[114:115], v[106:107], v[10:11]
	v_mul_f64_e32 v[10:11], v[108:109], v[10:11]
	v_add_f64_e32 v[22:23], v[120:121], v[118:119]
	v_add_f64_e32 v[110:111], v[110:111], v[126:127]
	v_fmac_f64_e32 v[122:123], v[6:7], v[146:147]
	v_fma_f64 v[116:117], v[4:5], v[146:147], -v[124:125]
	v_fmac_f64_e32 v[114:115], v[108:109], v[8:9]
	v_fma_f64 v[8:9], v[106:107], v[8:9], -v[10:11]
	v_add_f64_e32 v[118:119], v[22:23], v[20:21]
	v_add_f64_e32 v[110:111], v[110:111], v[112:113]
	ds_load_b128 v[4:7], v2 offset:1216
	ds_load_b128 v[20:23], v2 offset:1232
	;; [unrolled: 16-line block ×3, first 2 shown]
	s_wait_loadcnt_dscnt 0x101
	v_mul_f64_e32 v[2:3], v[4:5], v[144:145]
	v_mul_f64_e32 v[114:115], v[6:7], v[144:145]
	s_wait_loadcnt_dscnt 0x0
	v_mul_f64_e32 v[22:23], v[8:9], v[14:15]
	v_mul_f64_e32 v[14:15], v[10:11], v[14:15]
	v_add_f64_e32 v[18:19], v[116:117], v[110:111]
	v_add_f64_e32 v[20:21], v[106:107], v[112:113]
	v_fmac_f64_e32 v[2:3], v[6:7], v[142:143]
	v_fma_f64 v[4:5], v[4:5], v[142:143], -v[114:115]
	v_fmac_f64_e32 v[22:23], v[10:11], v[12:13]
	v_fma_f64 v[8:9], v[8:9], v[12:13], -v[14:15]
	v_add_f64_e32 v[6:7], v[18:19], v[16:17]
	v_add_f64_e32 v[16:17], v[20:21], v[108:109]
	s_delay_alu instid0(VALU_DEP_2) | instskip(NEXT) | instid1(VALU_DEP_2)
	v_add_f64_e32 v[4:5], v[6:7], v[4:5]
	v_add_f64_e32 v[2:3], v[16:17], v[2:3]
	s_delay_alu instid0(VALU_DEP_2) | instskip(NEXT) | instid1(VALU_DEP_2)
	;; [unrolled: 3-line block ×3, first 2 shown]
	v_add_f64_e64 v[2:3], v[138:139], -v[4:5]
	v_add_f64_e64 v[4:5], v[140:141], -v[6:7]
	scratch_store_b128 off, v[2:5], off offset:144
	s_wait_xcnt 0x0
	v_cmpx_lt_u32_e32 8, v1
	s_cbranch_execz .LBB103_237
; %bb.236:
	scratch_load_b128 v[2:5], off, s48
	v_mov_b32_e32 v6, 0
	s_delay_alu instid0(VALU_DEP_1)
	v_dual_mov_b32 v7, v6 :: v_dual_mov_b32 v8, v6
	v_mov_b32_e32 v9, v6
	scratch_store_b128 off, v[6:9], off offset:128
	s_wait_loadcnt 0x0
	ds_store_b128 v104, v[2:5]
.LBB103_237:
	s_wait_xcnt 0x0
	s_or_b32 exec_lo, exec_lo, s2
	s_wait_storecnt_dscnt 0x0
	s_barrier_signal -1
	s_barrier_wait -1
	s_clause 0x9
	scratch_load_b128 v[4:7], off, off offset:144
	scratch_load_b128 v[8:11], off, off offset:160
	;; [unrolled: 1-line block ×10, first 2 shown]
	v_mov_b32_e32 v2, 0
	s_mov_b32 s2, exec_lo
	ds_load_b128 v[126:129], v2 offset:784
	s_clause 0x2
	scratch_load_b128 v[130:133], off, off offset:304
	scratch_load_b128 v[134:137], off, off offset:128
	;; [unrolled: 1-line block ×3, first 2 shown]
	s_wait_loadcnt_dscnt 0xc00
	v_mul_f64_e32 v[146:147], v[128:129], v[6:7]
	v_mul_f64_e32 v[150:151], v[126:127], v[6:7]
	ds_load_b128 v[138:141], v2 offset:800
	v_fma_f64 v[154:155], v[126:127], v[4:5], -v[146:147]
	v_fmac_f64_e32 v[150:151], v[128:129], v[4:5]
	ds_load_b128 v[4:7], v2 offset:816
	s_wait_loadcnt_dscnt 0xb01
	v_mul_f64_e32 v[152:153], v[138:139], v[10:11]
	v_mul_f64_e32 v[10:11], v[140:141], v[10:11]
	scratch_load_b128 v[126:129], off, off offset:336
	ds_load_b128 v[146:149], v2 offset:832
	s_wait_loadcnt_dscnt 0xb01
	v_mul_f64_e32 v[156:157], v[4:5], v[14:15]
	v_mul_f64_e32 v[14:15], v[6:7], v[14:15]
	v_add_f64_e32 v[150:151], 0, v[150:151]
	v_fmac_f64_e32 v[152:153], v[140:141], v[8:9]
	v_fma_f64 v[138:139], v[138:139], v[8:9], -v[10:11]
	v_add_f64_e32 v[140:141], 0, v[154:155]
	scratch_load_b128 v[8:11], off, off offset:352
	v_fmac_f64_e32 v[156:157], v[6:7], v[12:13]
	v_fma_f64 v[158:159], v[4:5], v[12:13], -v[14:15]
	ds_load_b128 v[4:7], v2 offset:848
	s_wait_loadcnt_dscnt 0xb01
	v_mul_f64_e32 v[154:155], v[146:147], v[18:19]
	v_mul_f64_e32 v[18:19], v[148:149], v[18:19]
	scratch_load_b128 v[12:15], off, off offset:368
	v_add_f64_e32 v[150:151], v[150:151], v[152:153]
	v_add_f64_e32 v[160:161], v[140:141], v[138:139]
	ds_load_b128 v[138:141], v2 offset:864
	s_wait_loadcnt_dscnt 0xb01
	v_mul_f64_e32 v[152:153], v[4:5], v[22:23]
	v_mul_f64_e32 v[22:23], v[6:7], v[22:23]
	v_fmac_f64_e32 v[154:155], v[148:149], v[16:17]
	v_fma_f64 v[146:147], v[146:147], v[16:17], -v[18:19]
	scratch_load_b128 v[16:19], off, off offset:384
	v_add_f64_e32 v[150:151], v[150:151], v[156:157]
	v_add_f64_e32 v[148:149], v[160:161], v[158:159]
	v_fmac_f64_e32 v[152:153], v[6:7], v[20:21]
	v_fma_f64 v[158:159], v[4:5], v[20:21], -v[22:23]
	ds_load_b128 v[4:7], v2 offset:880
	s_wait_loadcnt_dscnt 0xb01
	v_mul_f64_e32 v[156:157], v[138:139], v[108:109]
	v_mul_f64_e32 v[108:109], v[140:141], v[108:109]
	scratch_load_b128 v[20:23], off, off offset:400
	v_add_f64_e32 v[150:151], v[150:151], v[154:155]
	s_wait_loadcnt_dscnt 0xb00
	v_mul_f64_e32 v[154:155], v[4:5], v[112:113]
	v_add_f64_e32 v[160:161], v[148:149], v[146:147]
	v_mul_f64_e32 v[112:113], v[6:7], v[112:113]
	ds_load_b128 v[146:149], v2 offset:896
	v_fmac_f64_e32 v[156:157], v[140:141], v[106:107]
	v_fma_f64 v[138:139], v[138:139], v[106:107], -v[108:109]
	scratch_load_b128 v[106:109], off, off offset:416
	v_add_f64_e32 v[150:151], v[150:151], v[152:153]
	v_fmac_f64_e32 v[154:155], v[6:7], v[110:111]
	v_add_f64_e32 v[140:141], v[160:161], v[158:159]
	v_fma_f64 v[158:159], v[4:5], v[110:111], -v[112:113]
	ds_load_b128 v[4:7], v2 offset:912
	s_wait_loadcnt_dscnt 0xb01
	v_mul_f64_e32 v[152:153], v[146:147], v[116:117]
	v_mul_f64_e32 v[116:117], v[148:149], v[116:117]
	scratch_load_b128 v[110:113], off, off offset:432
	v_add_f64_e32 v[150:151], v[150:151], v[156:157]
	s_wait_loadcnt_dscnt 0xb00
	v_mul_f64_e32 v[156:157], v[4:5], v[120:121]
	v_add_f64_e32 v[160:161], v[140:141], v[138:139]
	v_mul_f64_e32 v[120:121], v[6:7], v[120:121]
	ds_load_b128 v[138:141], v2 offset:928
	v_fmac_f64_e32 v[152:153], v[148:149], v[114:115]
	v_fma_f64 v[146:147], v[146:147], v[114:115], -v[116:117]
	scratch_load_b128 v[114:117], off, off offset:448
	v_add_f64_e32 v[150:151], v[150:151], v[154:155]
	v_fmac_f64_e32 v[156:157], v[6:7], v[118:119]
	v_add_f64_e32 v[148:149], v[160:161], v[158:159]
	;; [unrolled: 18-line block ×3, first 2 shown]
	v_fma_f64 v[158:159], v[4:5], v[130:131], -v[132:133]
	ds_load_b128 v[4:7], v2 offset:976
	s_wait_loadcnt_dscnt 0xa01
	v_mul_f64_e32 v[156:157], v[146:147], v[144:145]
	v_mul_f64_e32 v[144:145], v[148:149], v[144:145]
	scratch_load_b128 v[130:133], off, off offset:496
	v_add_f64_e32 v[150:151], v[150:151], v[154:155]
	v_add_f64_e32 v[160:161], v[140:141], v[138:139]
	s_wait_loadcnt_dscnt 0xa00
	v_mul_f64_e32 v[154:155], v[4:5], v[128:129]
	v_mul_f64_e32 v[128:129], v[6:7], v[128:129]
	v_fmac_f64_e32 v[156:157], v[148:149], v[142:143]
	v_fma_f64 v[146:147], v[146:147], v[142:143], -v[144:145]
	ds_load_b128 v[138:141], v2 offset:992
	scratch_load_b128 v[142:145], off, off offset:512
	v_add_f64_e32 v[150:151], v[150:151], v[152:153]
	v_add_f64_e32 v[148:149], v[160:161], v[158:159]
	v_fmac_f64_e32 v[154:155], v[6:7], v[126:127]
	v_fma_f64 v[158:159], v[4:5], v[126:127], -v[128:129]
	ds_load_b128 v[4:7], v2 offset:1008
	s_wait_loadcnt_dscnt 0xa01
	v_mul_f64_e32 v[152:153], v[138:139], v[10:11]
	v_mul_f64_e32 v[10:11], v[140:141], v[10:11]
	scratch_load_b128 v[126:129], off, off offset:528
	v_add_f64_e32 v[150:151], v[150:151], v[156:157]
	s_wait_loadcnt_dscnt 0xa00
	v_mul_f64_e32 v[156:157], v[4:5], v[14:15]
	v_add_f64_e32 v[160:161], v[148:149], v[146:147]
	v_mul_f64_e32 v[14:15], v[6:7], v[14:15]
	ds_load_b128 v[146:149], v2 offset:1024
	v_fmac_f64_e32 v[152:153], v[140:141], v[8:9]
	v_fma_f64 v[138:139], v[138:139], v[8:9], -v[10:11]
	scratch_load_b128 v[8:11], off, off offset:544
	v_add_f64_e32 v[150:151], v[150:151], v[154:155]
	v_fmac_f64_e32 v[156:157], v[6:7], v[12:13]
	v_add_f64_e32 v[140:141], v[160:161], v[158:159]
	v_fma_f64 v[158:159], v[4:5], v[12:13], -v[14:15]
	ds_load_b128 v[4:7], v2 offset:1040
	s_wait_loadcnt_dscnt 0xa01
	v_mul_f64_e32 v[154:155], v[146:147], v[18:19]
	v_mul_f64_e32 v[18:19], v[148:149], v[18:19]
	scratch_load_b128 v[12:15], off, off offset:560
	v_add_f64_e32 v[150:151], v[150:151], v[152:153]
	s_wait_loadcnt_dscnt 0xa00
	v_mul_f64_e32 v[152:153], v[4:5], v[22:23]
	v_add_f64_e32 v[160:161], v[140:141], v[138:139]
	v_mul_f64_e32 v[22:23], v[6:7], v[22:23]
	ds_load_b128 v[138:141], v2 offset:1056
	v_fmac_f64_e32 v[154:155], v[148:149], v[16:17]
	v_fma_f64 v[146:147], v[146:147], v[16:17], -v[18:19]
	scratch_load_b128 v[16:19], off, off offset:576
	v_add_f64_e32 v[150:151], v[150:151], v[156:157]
	v_fmac_f64_e32 v[152:153], v[6:7], v[20:21]
	v_add_f64_e32 v[148:149], v[160:161], v[158:159]
	;; [unrolled: 18-line block ×3, first 2 shown]
	v_fma_f64 v[158:159], v[4:5], v[110:111], -v[112:113]
	ds_load_b128 v[4:7], v2 offset:1104
	s_wait_loadcnt_dscnt 0xa01
	v_mul_f64_e32 v[152:153], v[146:147], v[116:117]
	v_mul_f64_e32 v[116:117], v[148:149], v[116:117]
	scratch_load_b128 v[110:113], off, off offset:624
	v_add_f64_e32 v[150:151], v[150:151], v[156:157]
	s_wait_loadcnt_dscnt 0xa00
	v_mul_f64_e32 v[156:157], v[4:5], v[120:121]
	v_add_f64_e32 v[160:161], v[140:141], v[138:139]
	v_mul_f64_e32 v[120:121], v[6:7], v[120:121]
	ds_load_b128 v[138:141], v2 offset:1120
	v_fmac_f64_e32 v[152:153], v[148:149], v[114:115]
	v_fma_f64 v[114:115], v[146:147], v[114:115], -v[116:117]
	s_wait_loadcnt_dscnt 0x900
	v_mul_f64_e32 v[148:149], v[138:139], v[124:125]
	v_mul_f64_e32 v[124:125], v[140:141], v[124:125]
	v_add_f64_e32 v[146:147], v[150:151], v[154:155]
	v_fmac_f64_e32 v[156:157], v[6:7], v[118:119]
	v_add_f64_e32 v[116:117], v[160:161], v[158:159]
	v_fma_f64 v[118:119], v[4:5], v[118:119], -v[120:121]
	v_fmac_f64_e32 v[148:149], v[140:141], v[122:123]
	v_fma_f64 v[122:123], v[138:139], v[122:123], -v[124:125]
	v_add_f64_e32 v[146:147], v[146:147], v[152:153]
	v_add_f64_e32 v[120:121], v[116:117], v[114:115]
	ds_load_b128 v[4:7], v2 offset:1136
	ds_load_b128 v[114:117], v2 offset:1152
	s_wait_loadcnt_dscnt 0x801
	v_mul_f64_e32 v[150:151], v[4:5], v[132:133]
	v_mul_f64_e32 v[132:133], v[6:7], v[132:133]
	s_wait_loadcnt_dscnt 0x700
	v_mul_f64_e32 v[124:125], v[114:115], v[144:145]
	v_mul_f64_e32 v[138:139], v[116:117], v[144:145]
	v_add_f64_e32 v[118:119], v[120:121], v[118:119]
	v_add_f64_e32 v[120:121], v[146:147], v[156:157]
	v_fmac_f64_e32 v[150:151], v[6:7], v[130:131]
	v_fma_f64 v[130:131], v[4:5], v[130:131], -v[132:133]
	v_fmac_f64_e32 v[124:125], v[116:117], v[142:143]
	v_fma_f64 v[114:115], v[114:115], v[142:143], -v[138:139]
	v_add_f64_e32 v[122:123], v[118:119], v[122:123]
	v_add_f64_e32 v[132:133], v[120:121], v[148:149]
	ds_load_b128 v[4:7], v2 offset:1168
	ds_load_b128 v[118:121], v2 offset:1184
	s_wait_loadcnt_dscnt 0x601
	v_mul_f64_e32 v[140:141], v[4:5], v[128:129]
	v_mul_f64_e32 v[128:129], v[6:7], v[128:129]
	v_add_f64_e32 v[116:117], v[122:123], v[130:131]
	v_add_f64_e32 v[122:123], v[132:133], v[150:151]
	s_wait_loadcnt_dscnt 0x500
	v_mul_f64_e32 v[130:131], v[118:119], v[10:11]
	v_mul_f64_e32 v[10:11], v[120:121], v[10:11]
	v_fmac_f64_e32 v[140:141], v[6:7], v[126:127]
	v_fma_f64 v[126:127], v[4:5], v[126:127], -v[128:129]
	v_add_f64_e32 v[128:129], v[116:117], v[114:115]
	v_add_f64_e32 v[122:123], v[122:123], v[124:125]
	ds_load_b128 v[4:7], v2 offset:1200
	ds_load_b128 v[114:117], v2 offset:1216
	v_fmac_f64_e32 v[130:131], v[120:121], v[8:9]
	v_fma_f64 v[8:9], v[118:119], v[8:9], -v[10:11]
	s_wait_loadcnt_dscnt 0x401
	v_mul_f64_e32 v[124:125], v[4:5], v[14:15]
	v_mul_f64_e32 v[14:15], v[6:7], v[14:15]
	s_wait_loadcnt_dscnt 0x300
	v_mul_f64_e32 v[120:121], v[114:115], v[18:19]
	v_mul_f64_e32 v[18:19], v[116:117], v[18:19]
	v_add_f64_e32 v[10:11], v[128:129], v[126:127]
	v_add_f64_e32 v[118:119], v[122:123], v[140:141]
	v_fmac_f64_e32 v[124:125], v[6:7], v[12:13]
	v_fma_f64 v[12:13], v[4:5], v[12:13], -v[14:15]
	v_fmac_f64_e32 v[120:121], v[116:117], v[16:17]
	v_fma_f64 v[16:17], v[114:115], v[16:17], -v[18:19]
	v_add_f64_e32 v[14:15], v[10:11], v[8:9]
	v_add_f64_e32 v[118:119], v[118:119], v[130:131]
	ds_load_b128 v[4:7], v2 offset:1232
	ds_load_b128 v[8:11], v2 offset:1248
	s_wait_loadcnt_dscnt 0x201
	v_mul_f64_e32 v[122:123], v[4:5], v[22:23]
	v_mul_f64_e32 v[22:23], v[6:7], v[22:23]
	s_wait_loadcnt_dscnt 0x100
	v_mul_f64_e32 v[18:19], v[8:9], v[108:109]
	v_mul_f64_e32 v[108:109], v[10:11], v[108:109]
	v_add_f64_e32 v[12:13], v[14:15], v[12:13]
	v_add_f64_e32 v[14:15], v[118:119], v[124:125]
	v_fmac_f64_e32 v[122:123], v[6:7], v[20:21]
	v_fma_f64 v[20:21], v[4:5], v[20:21], -v[22:23]
	ds_load_b128 v[4:7], v2 offset:1264
	v_fmac_f64_e32 v[18:19], v[10:11], v[106:107]
	v_fma_f64 v[8:9], v[8:9], v[106:107], -v[108:109]
	v_add_f64_e32 v[12:13], v[12:13], v[16:17]
	v_add_f64_e32 v[14:15], v[14:15], v[120:121]
	s_wait_loadcnt_dscnt 0x0
	v_mul_f64_e32 v[16:17], v[4:5], v[112:113]
	v_mul_f64_e32 v[22:23], v[6:7], v[112:113]
	s_delay_alu instid0(VALU_DEP_4) | instskip(NEXT) | instid1(VALU_DEP_4)
	v_add_f64_e32 v[10:11], v[12:13], v[20:21]
	v_add_f64_e32 v[12:13], v[14:15], v[122:123]
	s_delay_alu instid0(VALU_DEP_4) | instskip(NEXT) | instid1(VALU_DEP_4)
	v_fmac_f64_e32 v[16:17], v[6:7], v[110:111]
	v_fma_f64 v[4:5], v[4:5], v[110:111], -v[22:23]
	s_delay_alu instid0(VALU_DEP_4) | instskip(NEXT) | instid1(VALU_DEP_4)
	v_add_f64_e32 v[6:7], v[10:11], v[8:9]
	v_add_f64_e32 v[8:9], v[12:13], v[18:19]
	s_delay_alu instid0(VALU_DEP_2) | instskip(NEXT) | instid1(VALU_DEP_2)
	v_add_f64_e32 v[4:5], v[6:7], v[4:5]
	v_add_f64_e32 v[6:7], v[8:9], v[16:17]
	s_delay_alu instid0(VALU_DEP_2) | instskip(NEXT) | instid1(VALU_DEP_2)
	v_add_f64_e64 v[4:5], v[134:135], -v[4:5]
	v_add_f64_e64 v[6:7], v[136:137], -v[6:7]
	scratch_store_b128 off, v[4:7], off offset:128
	s_wait_xcnt 0x0
	v_cmpx_lt_u32_e32 7, v1
	s_cbranch_execz .LBB103_239
; %bb.238:
	scratch_load_b128 v[6:9], off, s49
	v_dual_mov_b32 v3, v2 :: v_dual_mov_b32 v4, v2
	v_mov_b32_e32 v5, v2
	scratch_store_b128 off, v[2:5], off offset:112
	s_wait_loadcnt 0x0
	ds_store_b128 v104, v[6:9]
.LBB103_239:
	s_wait_xcnt 0x0
	s_or_b32 exec_lo, exec_lo, s2
	s_wait_storecnt_dscnt 0x0
	s_barrier_signal -1
	s_barrier_wait -1
	s_clause 0x9
	scratch_load_b128 v[4:7], off, off offset:128
	scratch_load_b128 v[8:11], off, off offset:144
	;; [unrolled: 1-line block ×10, first 2 shown]
	ds_load_b128 v[126:129], v2 offset:768
	ds_load_b128 v[134:137], v2 offset:784
	s_clause 0x2
	scratch_load_b128 v[130:133], off, off offset:288
	scratch_load_b128 v[138:141], off, off offset:112
	;; [unrolled: 1-line block ×3, first 2 shown]
	s_mov_b32 s2, exec_lo
	s_wait_loadcnt_dscnt 0xc01
	v_mul_f64_e32 v[146:147], v[128:129], v[6:7]
	v_mul_f64_e32 v[150:151], v[126:127], v[6:7]
	s_wait_loadcnt_dscnt 0xb00
	v_mul_f64_e32 v[152:153], v[134:135], v[10:11]
	v_mul_f64_e32 v[10:11], v[136:137], v[10:11]
	s_delay_alu instid0(VALU_DEP_4) | instskip(NEXT) | instid1(VALU_DEP_4)
	v_fma_f64 v[154:155], v[126:127], v[4:5], -v[146:147]
	v_fmac_f64_e32 v[150:151], v[128:129], v[4:5]
	ds_load_b128 v[4:7], v2 offset:800
	ds_load_b128 v[126:129], v2 offset:816
	scratch_load_b128 v[146:149], off, off offset:320
	v_fmac_f64_e32 v[152:153], v[136:137], v[8:9]
	v_fma_f64 v[134:135], v[134:135], v[8:9], -v[10:11]
	scratch_load_b128 v[8:11], off, off offset:336
	s_wait_loadcnt_dscnt 0xc01
	v_mul_f64_e32 v[156:157], v[4:5], v[14:15]
	v_mul_f64_e32 v[14:15], v[6:7], v[14:15]
	v_add_f64_e32 v[136:137], 0, v[154:155]
	v_add_f64_e32 v[150:151], 0, v[150:151]
	s_wait_loadcnt_dscnt 0xb00
	v_mul_f64_e32 v[154:155], v[126:127], v[18:19]
	v_mul_f64_e32 v[18:19], v[128:129], v[18:19]
	v_fmac_f64_e32 v[156:157], v[6:7], v[12:13]
	v_fma_f64 v[158:159], v[4:5], v[12:13], -v[14:15]
	ds_load_b128 v[4:7], v2 offset:832
	ds_load_b128 v[12:15], v2 offset:848
	v_add_f64_e32 v[160:161], v[136:137], v[134:135]
	v_add_f64_e32 v[150:151], v[150:151], v[152:153]
	scratch_load_b128 v[134:137], off, off offset:352
	v_fmac_f64_e32 v[154:155], v[128:129], v[16:17]
	v_fma_f64 v[126:127], v[126:127], v[16:17], -v[18:19]
	scratch_load_b128 v[16:19], off, off offset:368
	s_wait_loadcnt_dscnt 0xc01
	v_mul_f64_e32 v[152:153], v[4:5], v[22:23]
	v_mul_f64_e32 v[22:23], v[6:7], v[22:23]
	v_add_f64_e32 v[128:129], v[160:161], v[158:159]
	v_add_f64_e32 v[150:151], v[150:151], v[156:157]
	s_wait_loadcnt_dscnt 0xb00
	v_mul_f64_e32 v[156:157], v[12:13], v[108:109]
	v_mul_f64_e32 v[108:109], v[14:15], v[108:109]
	v_fmac_f64_e32 v[152:153], v[6:7], v[20:21]
	v_fma_f64 v[158:159], v[4:5], v[20:21], -v[22:23]
	ds_load_b128 v[4:7], v2 offset:864
	ds_load_b128 v[20:23], v2 offset:880
	v_add_f64_e32 v[160:161], v[128:129], v[126:127]
	v_add_f64_e32 v[150:151], v[150:151], v[154:155]
	scratch_load_b128 v[126:129], off, off offset:384
	s_wait_loadcnt_dscnt 0xb01
	v_mul_f64_e32 v[154:155], v[4:5], v[112:113]
	v_mul_f64_e32 v[112:113], v[6:7], v[112:113]
	v_fmac_f64_e32 v[156:157], v[14:15], v[106:107]
	v_fma_f64 v[106:107], v[12:13], v[106:107], -v[108:109]
	scratch_load_b128 v[12:15], off, off offset:400
	v_add_f64_e32 v[108:109], v[160:161], v[158:159]
	v_add_f64_e32 v[150:151], v[150:151], v[152:153]
	s_wait_loadcnt_dscnt 0xb00
	v_mul_f64_e32 v[152:153], v[20:21], v[116:117]
	v_mul_f64_e32 v[116:117], v[22:23], v[116:117]
	v_fmac_f64_e32 v[154:155], v[6:7], v[110:111]
	v_fma_f64 v[158:159], v[4:5], v[110:111], -v[112:113]
	v_add_f64_e32 v[160:161], v[108:109], v[106:107]
	v_add_f64_e32 v[150:151], v[150:151], v[156:157]
	ds_load_b128 v[4:7], v2 offset:896
	ds_load_b128 v[106:109], v2 offset:912
	scratch_load_b128 v[110:113], off, off offset:416
	v_fmac_f64_e32 v[152:153], v[22:23], v[114:115]
	v_fma_f64 v[114:115], v[20:21], v[114:115], -v[116:117]
	scratch_load_b128 v[20:23], off, off offset:432
	s_wait_loadcnt_dscnt 0xc01
	v_mul_f64_e32 v[156:157], v[4:5], v[120:121]
	v_mul_f64_e32 v[120:121], v[6:7], v[120:121]
	v_add_f64_e32 v[116:117], v[160:161], v[158:159]
	v_add_f64_e32 v[150:151], v[150:151], v[154:155]
	s_wait_loadcnt_dscnt 0xb00
	v_mul_f64_e32 v[154:155], v[106:107], v[124:125]
	v_mul_f64_e32 v[124:125], v[108:109], v[124:125]
	v_fmac_f64_e32 v[156:157], v[6:7], v[118:119]
	v_fma_f64 v[158:159], v[4:5], v[118:119], -v[120:121]
	v_add_f64_e32 v[160:161], v[116:117], v[114:115]
	v_add_f64_e32 v[150:151], v[150:151], v[152:153]
	ds_load_b128 v[4:7], v2 offset:928
	ds_load_b128 v[114:117], v2 offset:944
	scratch_load_b128 v[118:121], off, off offset:448
	v_fmac_f64_e32 v[154:155], v[108:109], v[122:123]
	v_fma_f64 v[122:123], v[106:107], v[122:123], -v[124:125]
	scratch_load_b128 v[106:109], off, off offset:464
	s_wait_loadcnt_dscnt 0xc01
	v_mul_f64_e32 v[152:153], v[4:5], v[132:133]
	v_mul_f64_e32 v[132:133], v[6:7], v[132:133]
	;; [unrolled: 18-line block ×5, first 2 shown]
	v_add_f64_e32 v[144:145], v[160:161], v[158:159]
	v_add_f64_e32 v[150:151], v[150:151], v[156:157]
	s_wait_loadcnt_dscnt 0xa00
	v_mul_f64_e32 v[156:157], v[122:123], v[14:15]
	v_mul_f64_e32 v[14:15], v[124:125], v[14:15]
	v_fmac_f64_e32 v[152:153], v[6:7], v[126:127]
	v_fma_f64 v[158:159], v[4:5], v[126:127], -v[128:129]
	ds_load_b128 v[4:7], v2 offset:1056
	ds_load_b128 v[126:129], v2 offset:1072
	v_add_f64_e32 v[160:161], v[144:145], v[142:143]
	v_add_f64_e32 v[150:151], v[150:151], v[154:155]
	scratch_load_b128 v[142:145], off, off offset:576
	v_fmac_f64_e32 v[156:157], v[124:125], v[12:13]
	v_fma_f64 v[122:123], v[122:123], v[12:13], -v[14:15]
	scratch_load_b128 v[12:15], off, off offset:592
	s_wait_loadcnt_dscnt 0xb01
	v_mul_f64_e32 v[154:155], v[4:5], v[112:113]
	v_mul_f64_e32 v[112:113], v[6:7], v[112:113]
	v_add_f64_e32 v[124:125], v[160:161], v[158:159]
	v_add_f64_e32 v[150:151], v[150:151], v[152:153]
	s_wait_loadcnt_dscnt 0xa00
	v_mul_f64_e32 v[152:153], v[126:127], v[22:23]
	v_mul_f64_e32 v[22:23], v[128:129], v[22:23]
	v_fmac_f64_e32 v[154:155], v[6:7], v[110:111]
	v_fma_f64 v[158:159], v[4:5], v[110:111], -v[112:113]
	ds_load_b128 v[4:7], v2 offset:1088
	ds_load_b128 v[110:113], v2 offset:1104
	v_add_f64_e32 v[160:161], v[124:125], v[122:123]
	v_add_f64_e32 v[150:151], v[150:151], v[156:157]
	scratch_load_b128 v[122:125], off, off offset:608
	s_wait_loadcnt_dscnt 0xa01
	v_mul_f64_e32 v[156:157], v[4:5], v[120:121]
	v_mul_f64_e32 v[120:121], v[6:7], v[120:121]
	v_fmac_f64_e32 v[152:153], v[128:129], v[20:21]
	v_fma_f64 v[126:127], v[126:127], v[20:21], -v[22:23]
	scratch_load_b128 v[20:23], off, off offset:624
	v_add_f64_e32 v[128:129], v[160:161], v[158:159]
	v_add_f64_e32 v[150:151], v[150:151], v[154:155]
	s_wait_loadcnt_dscnt 0xa00
	v_mul_f64_e32 v[154:155], v[110:111], v[108:109]
	v_mul_f64_e32 v[108:109], v[112:113], v[108:109]
	v_fmac_f64_e32 v[156:157], v[6:7], v[118:119]
	v_fma_f64 v[158:159], v[4:5], v[118:119], -v[120:121]
	ds_load_b128 v[4:7], v2 offset:1120
	ds_load_b128 v[118:121], v2 offset:1136
	v_add_f64_e32 v[126:127], v[128:129], v[126:127]
	v_add_f64_e32 v[128:129], v[150:151], v[152:153]
	v_fmac_f64_e32 v[154:155], v[112:113], v[106:107]
	s_wait_loadcnt_dscnt 0x901
	v_mul_f64_e32 v[150:151], v[4:5], v[132:133]
	v_mul_f64_e32 v[132:133], v[6:7], v[132:133]
	v_fma_f64 v[106:107], v[110:111], v[106:107], -v[108:109]
	s_wait_loadcnt_dscnt 0x800
	v_mul_f64_e32 v[112:113], v[118:119], v[116:117]
	v_mul_f64_e32 v[116:117], v[120:121], v[116:117]
	v_add_f64_e32 v[108:109], v[126:127], v[158:159]
	v_add_f64_e32 v[110:111], v[128:129], v[156:157]
	v_fmac_f64_e32 v[150:151], v[6:7], v[130:131]
	v_fma_f64 v[126:127], v[4:5], v[130:131], -v[132:133]
	v_fmac_f64_e32 v[112:113], v[120:121], v[114:115]
	v_fma_f64 v[114:115], v[118:119], v[114:115], -v[116:117]
	v_add_f64_e32 v[128:129], v[108:109], v[106:107]
	v_add_f64_e32 v[110:111], v[110:111], v[154:155]
	ds_load_b128 v[4:7], v2 offset:1152
	ds_load_b128 v[106:109], v2 offset:1168
	s_wait_loadcnt_dscnt 0x701
	v_mul_f64_e32 v[130:131], v[4:5], v[148:149]
	v_mul_f64_e32 v[132:133], v[6:7], v[148:149]
	s_wait_loadcnt_dscnt 0x600
	v_mul_f64_e32 v[118:119], v[106:107], v[10:11]
	v_mul_f64_e32 v[10:11], v[108:109], v[10:11]
	v_add_f64_e32 v[116:117], v[128:129], v[126:127]
	v_add_f64_e32 v[110:111], v[110:111], v[150:151]
	v_fmac_f64_e32 v[130:131], v[6:7], v[146:147]
	v_fma_f64 v[120:121], v[4:5], v[146:147], -v[132:133]
	v_fmac_f64_e32 v[118:119], v[108:109], v[8:9]
	v_fma_f64 v[8:9], v[106:107], v[8:9], -v[10:11]
	v_add_f64_e32 v[114:115], v[116:117], v[114:115]
	v_add_f64_e32 v[116:117], v[110:111], v[112:113]
	ds_load_b128 v[4:7], v2 offset:1184
	ds_load_b128 v[110:113], v2 offset:1200
	s_wait_loadcnt_dscnt 0x501
	v_mul_f64_e32 v[126:127], v[4:5], v[136:137]
	v_mul_f64_e32 v[128:129], v[6:7], v[136:137]
	;; [unrolled: 16-line block ×4, first 2 shown]
	v_add_f64_e32 v[10:11], v[18:19], v[114:115]
	v_add_f64_e32 v[12:13], v[106:107], v[118:119]
	s_wait_loadcnt_dscnt 0x0
	v_mul_f64_e32 v[18:19], v[14:15], v[22:23]
	v_mul_f64_e32 v[22:23], v[16:17], v[22:23]
	v_fmac_f64_e32 v[2:3], v[6:7], v[122:123]
	v_fma_f64 v[4:5], v[4:5], v[122:123], -v[108:109]
	v_add_f64_e32 v[6:7], v[10:11], v[8:9]
	v_add_f64_e32 v[8:9], v[12:13], v[110:111]
	v_fmac_f64_e32 v[18:19], v[16:17], v[20:21]
	v_fma_f64 v[10:11], v[14:15], v[20:21], -v[22:23]
	s_delay_alu instid0(VALU_DEP_4) | instskip(NEXT) | instid1(VALU_DEP_4)
	v_add_f64_e32 v[4:5], v[6:7], v[4:5]
	v_add_f64_e32 v[2:3], v[8:9], v[2:3]
	s_delay_alu instid0(VALU_DEP_2) | instskip(NEXT) | instid1(VALU_DEP_2)
	v_add_f64_e32 v[4:5], v[4:5], v[10:11]
	v_add_f64_e32 v[6:7], v[2:3], v[18:19]
	s_delay_alu instid0(VALU_DEP_2) | instskip(NEXT) | instid1(VALU_DEP_2)
	v_add_f64_e64 v[2:3], v[138:139], -v[4:5]
	v_add_f64_e64 v[4:5], v[140:141], -v[6:7]
	scratch_store_b128 off, v[2:5], off offset:112
	s_wait_xcnt 0x0
	v_cmpx_lt_u32_e32 6, v1
	s_cbranch_execz .LBB103_241
; %bb.240:
	scratch_load_b128 v[2:5], off, s50
	v_mov_b32_e32 v6, 0
	s_delay_alu instid0(VALU_DEP_1)
	v_dual_mov_b32 v7, v6 :: v_dual_mov_b32 v8, v6
	v_mov_b32_e32 v9, v6
	scratch_store_b128 off, v[6:9], off offset:96
	s_wait_loadcnt 0x0
	ds_store_b128 v104, v[2:5]
.LBB103_241:
	s_wait_xcnt 0x0
	s_or_b32 exec_lo, exec_lo, s2
	s_wait_storecnt_dscnt 0x0
	s_barrier_signal -1
	s_barrier_wait -1
	s_clause 0x9
	scratch_load_b128 v[4:7], off, off offset:112
	scratch_load_b128 v[8:11], off, off offset:128
	;; [unrolled: 1-line block ×10, first 2 shown]
	v_mov_b32_e32 v2, 0
	s_mov_b32 s2, exec_lo
	ds_load_b128 v[126:129], v2 offset:752
	s_clause 0x2
	scratch_load_b128 v[130:133], off, off offset:272
	scratch_load_b128 v[134:137], off, off offset:96
	;; [unrolled: 1-line block ×3, first 2 shown]
	s_wait_loadcnt_dscnt 0xc00
	v_mul_f64_e32 v[146:147], v[128:129], v[6:7]
	v_mul_f64_e32 v[150:151], v[126:127], v[6:7]
	ds_load_b128 v[138:141], v2 offset:768
	v_fma_f64 v[154:155], v[126:127], v[4:5], -v[146:147]
	v_fmac_f64_e32 v[150:151], v[128:129], v[4:5]
	ds_load_b128 v[4:7], v2 offset:784
	s_wait_loadcnt_dscnt 0xb01
	v_mul_f64_e32 v[152:153], v[138:139], v[10:11]
	v_mul_f64_e32 v[10:11], v[140:141], v[10:11]
	scratch_load_b128 v[126:129], off, off offset:304
	ds_load_b128 v[146:149], v2 offset:800
	s_wait_loadcnt_dscnt 0xb01
	v_mul_f64_e32 v[156:157], v[4:5], v[14:15]
	v_mul_f64_e32 v[14:15], v[6:7], v[14:15]
	v_add_f64_e32 v[150:151], 0, v[150:151]
	v_fmac_f64_e32 v[152:153], v[140:141], v[8:9]
	v_fma_f64 v[138:139], v[138:139], v[8:9], -v[10:11]
	v_add_f64_e32 v[140:141], 0, v[154:155]
	scratch_load_b128 v[8:11], off, off offset:320
	v_fmac_f64_e32 v[156:157], v[6:7], v[12:13]
	v_fma_f64 v[158:159], v[4:5], v[12:13], -v[14:15]
	ds_load_b128 v[4:7], v2 offset:816
	s_wait_loadcnt_dscnt 0xb01
	v_mul_f64_e32 v[154:155], v[146:147], v[18:19]
	v_mul_f64_e32 v[18:19], v[148:149], v[18:19]
	scratch_load_b128 v[12:15], off, off offset:336
	v_add_f64_e32 v[150:151], v[150:151], v[152:153]
	v_add_f64_e32 v[160:161], v[140:141], v[138:139]
	ds_load_b128 v[138:141], v2 offset:832
	s_wait_loadcnt_dscnt 0xb01
	v_mul_f64_e32 v[152:153], v[4:5], v[22:23]
	v_mul_f64_e32 v[22:23], v[6:7], v[22:23]
	v_fmac_f64_e32 v[154:155], v[148:149], v[16:17]
	v_fma_f64 v[146:147], v[146:147], v[16:17], -v[18:19]
	scratch_load_b128 v[16:19], off, off offset:352
	v_add_f64_e32 v[150:151], v[150:151], v[156:157]
	v_add_f64_e32 v[148:149], v[160:161], v[158:159]
	v_fmac_f64_e32 v[152:153], v[6:7], v[20:21]
	v_fma_f64 v[158:159], v[4:5], v[20:21], -v[22:23]
	ds_load_b128 v[4:7], v2 offset:848
	s_wait_loadcnt_dscnt 0xb01
	v_mul_f64_e32 v[156:157], v[138:139], v[108:109]
	v_mul_f64_e32 v[108:109], v[140:141], v[108:109]
	scratch_load_b128 v[20:23], off, off offset:368
	v_add_f64_e32 v[150:151], v[150:151], v[154:155]
	s_wait_loadcnt_dscnt 0xb00
	v_mul_f64_e32 v[154:155], v[4:5], v[112:113]
	v_add_f64_e32 v[160:161], v[148:149], v[146:147]
	v_mul_f64_e32 v[112:113], v[6:7], v[112:113]
	ds_load_b128 v[146:149], v2 offset:864
	v_fmac_f64_e32 v[156:157], v[140:141], v[106:107]
	v_fma_f64 v[138:139], v[138:139], v[106:107], -v[108:109]
	scratch_load_b128 v[106:109], off, off offset:384
	v_add_f64_e32 v[150:151], v[150:151], v[152:153]
	v_fmac_f64_e32 v[154:155], v[6:7], v[110:111]
	v_add_f64_e32 v[140:141], v[160:161], v[158:159]
	v_fma_f64 v[158:159], v[4:5], v[110:111], -v[112:113]
	ds_load_b128 v[4:7], v2 offset:880
	s_wait_loadcnt_dscnt 0xb01
	v_mul_f64_e32 v[152:153], v[146:147], v[116:117]
	v_mul_f64_e32 v[116:117], v[148:149], v[116:117]
	scratch_load_b128 v[110:113], off, off offset:400
	v_add_f64_e32 v[150:151], v[150:151], v[156:157]
	s_wait_loadcnt_dscnt 0xb00
	v_mul_f64_e32 v[156:157], v[4:5], v[120:121]
	v_add_f64_e32 v[160:161], v[140:141], v[138:139]
	v_mul_f64_e32 v[120:121], v[6:7], v[120:121]
	ds_load_b128 v[138:141], v2 offset:896
	v_fmac_f64_e32 v[152:153], v[148:149], v[114:115]
	v_fma_f64 v[146:147], v[146:147], v[114:115], -v[116:117]
	scratch_load_b128 v[114:117], off, off offset:416
	v_add_f64_e32 v[150:151], v[150:151], v[154:155]
	v_fmac_f64_e32 v[156:157], v[6:7], v[118:119]
	v_add_f64_e32 v[148:149], v[160:161], v[158:159]
	v_fma_f64 v[158:159], v[4:5], v[118:119], -v[120:121]
	ds_load_b128 v[4:7], v2 offset:912
	s_wait_loadcnt_dscnt 0xb01
	v_mul_f64_e32 v[154:155], v[138:139], v[124:125]
	v_mul_f64_e32 v[124:125], v[140:141], v[124:125]
	scratch_load_b128 v[118:121], off, off offset:432
	v_add_f64_e32 v[150:151], v[150:151], v[152:153]
	s_wait_loadcnt_dscnt 0xb00
	v_mul_f64_e32 v[152:153], v[4:5], v[132:133]
	v_add_f64_e32 v[160:161], v[148:149], v[146:147]
	v_mul_f64_e32 v[132:133], v[6:7], v[132:133]
	ds_load_b128 v[146:149], v2 offset:928
	v_fmac_f64_e32 v[154:155], v[140:141], v[122:123]
	v_fma_f64 v[138:139], v[138:139], v[122:123], -v[124:125]
	scratch_load_b128 v[122:125], off, off offset:448
	v_add_f64_e32 v[150:151], v[150:151], v[156:157]
	v_fmac_f64_e32 v[152:153], v[6:7], v[130:131]
	v_add_f64_e32 v[140:141], v[160:161], v[158:159]
	v_fma_f64 v[158:159], v[4:5], v[130:131], -v[132:133]
	ds_load_b128 v[4:7], v2 offset:944
	s_wait_loadcnt_dscnt 0xa01
	v_mul_f64_e32 v[156:157], v[146:147], v[144:145]
	v_mul_f64_e32 v[144:145], v[148:149], v[144:145]
	scratch_load_b128 v[130:133], off, off offset:464
	v_add_f64_e32 v[150:151], v[150:151], v[154:155]
	v_add_f64_e32 v[160:161], v[140:141], v[138:139]
	s_wait_loadcnt_dscnt 0xa00
	v_mul_f64_e32 v[154:155], v[4:5], v[128:129]
	v_mul_f64_e32 v[128:129], v[6:7], v[128:129]
	v_fmac_f64_e32 v[156:157], v[148:149], v[142:143]
	v_fma_f64 v[146:147], v[146:147], v[142:143], -v[144:145]
	ds_load_b128 v[138:141], v2 offset:960
	scratch_load_b128 v[142:145], off, off offset:480
	v_add_f64_e32 v[150:151], v[150:151], v[152:153]
	v_add_f64_e32 v[148:149], v[160:161], v[158:159]
	v_fmac_f64_e32 v[154:155], v[6:7], v[126:127]
	v_fma_f64 v[158:159], v[4:5], v[126:127], -v[128:129]
	ds_load_b128 v[4:7], v2 offset:976
	s_wait_loadcnt_dscnt 0xa01
	v_mul_f64_e32 v[152:153], v[138:139], v[10:11]
	v_mul_f64_e32 v[10:11], v[140:141], v[10:11]
	scratch_load_b128 v[126:129], off, off offset:496
	v_add_f64_e32 v[150:151], v[150:151], v[156:157]
	s_wait_loadcnt_dscnt 0xa00
	v_mul_f64_e32 v[156:157], v[4:5], v[14:15]
	v_add_f64_e32 v[160:161], v[148:149], v[146:147]
	v_mul_f64_e32 v[14:15], v[6:7], v[14:15]
	ds_load_b128 v[146:149], v2 offset:992
	v_fmac_f64_e32 v[152:153], v[140:141], v[8:9]
	v_fma_f64 v[138:139], v[138:139], v[8:9], -v[10:11]
	scratch_load_b128 v[8:11], off, off offset:512
	v_add_f64_e32 v[150:151], v[150:151], v[154:155]
	v_fmac_f64_e32 v[156:157], v[6:7], v[12:13]
	v_add_f64_e32 v[140:141], v[160:161], v[158:159]
	v_fma_f64 v[158:159], v[4:5], v[12:13], -v[14:15]
	ds_load_b128 v[4:7], v2 offset:1008
	s_wait_loadcnt_dscnt 0xa01
	v_mul_f64_e32 v[154:155], v[146:147], v[18:19]
	v_mul_f64_e32 v[18:19], v[148:149], v[18:19]
	scratch_load_b128 v[12:15], off, off offset:528
	v_add_f64_e32 v[150:151], v[150:151], v[152:153]
	s_wait_loadcnt_dscnt 0xa00
	v_mul_f64_e32 v[152:153], v[4:5], v[22:23]
	v_add_f64_e32 v[160:161], v[140:141], v[138:139]
	v_mul_f64_e32 v[22:23], v[6:7], v[22:23]
	ds_load_b128 v[138:141], v2 offset:1024
	v_fmac_f64_e32 v[154:155], v[148:149], v[16:17]
	v_fma_f64 v[146:147], v[146:147], v[16:17], -v[18:19]
	scratch_load_b128 v[16:19], off, off offset:544
	v_add_f64_e32 v[150:151], v[150:151], v[156:157]
	v_fmac_f64_e32 v[152:153], v[6:7], v[20:21]
	v_add_f64_e32 v[148:149], v[160:161], v[158:159]
	;; [unrolled: 18-line block ×4, first 2 shown]
	v_fma_f64 v[158:159], v[4:5], v[118:119], -v[120:121]
	ds_load_b128 v[4:7], v2 offset:1104
	s_wait_loadcnt_dscnt 0xa01
	v_mul_f64_e32 v[154:155], v[138:139], v[124:125]
	v_mul_f64_e32 v[124:125], v[140:141], v[124:125]
	scratch_load_b128 v[118:121], off, off offset:624
	v_add_f64_e32 v[150:151], v[150:151], v[152:153]
	s_wait_loadcnt_dscnt 0xa00
	v_mul_f64_e32 v[152:153], v[4:5], v[132:133]
	v_add_f64_e32 v[160:161], v[148:149], v[146:147]
	v_mul_f64_e32 v[132:133], v[6:7], v[132:133]
	ds_load_b128 v[146:149], v2 offset:1120
	v_fmac_f64_e32 v[154:155], v[140:141], v[122:123]
	v_fma_f64 v[122:123], v[138:139], v[122:123], -v[124:125]
	s_wait_loadcnt_dscnt 0x900
	v_mul_f64_e32 v[140:141], v[146:147], v[144:145]
	v_mul_f64_e32 v[144:145], v[148:149], v[144:145]
	v_add_f64_e32 v[138:139], v[150:151], v[156:157]
	v_fmac_f64_e32 v[152:153], v[6:7], v[130:131]
	v_add_f64_e32 v[124:125], v[160:161], v[158:159]
	v_fma_f64 v[130:131], v[4:5], v[130:131], -v[132:133]
	v_fmac_f64_e32 v[140:141], v[148:149], v[142:143]
	v_fma_f64 v[142:143], v[146:147], v[142:143], -v[144:145]
	v_add_f64_e32 v[138:139], v[138:139], v[154:155]
	v_add_f64_e32 v[132:133], v[124:125], v[122:123]
	ds_load_b128 v[4:7], v2 offset:1136
	ds_load_b128 v[122:125], v2 offset:1152
	s_wait_loadcnt_dscnt 0x801
	v_mul_f64_e32 v[150:151], v[4:5], v[128:129]
	v_mul_f64_e32 v[128:129], v[6:7], v[128:129]
	v_add_f64_e32 v[130:131], v[132:133], v[130:131]
	v_add_f64_e32 v[132:133], v[138:139], v[152:153]
	s_wait_loadcnt_dscnt 0x700
	v_mul_f64_e32 v[138:139], v[122:123], v[10:11]
	v_mul_f64_e32 v[10:11], v[124:125], v[10:11]
	v_fmac_f64_e32 v[150:151], v[6:7], v[126:127]
	v_fma_f64 v[144:145], v[4:5], v[126:127], -v[128:129]
	ds_load_b128 v[4:7], v2 offset:1168
	ds_load_b128 v[126:129], v2 offset:1184
	v_add_f64_e32 v[130:131], v[130:131], v[142:143]
	v_add_f64_e32 v[132:133], v[132:133], v[140:141]
	v_fmac_f64_e32 v[138:139], v[124:125], v[8:9]
	v_fma_f64 v[8:9], v[122:123], v[8:9], -v[10:11]
	s_wait_loadcnt_dscnt 0x601
	v_mul_f64_e32 v[140:141], v[4:5], v[14:15]
	v_mul_f64_e32 v[14:15], v[6:7], v[14:15]
	s_wait_loadcnt_dscnt 0x500
	v_mul_f64_e32 v[124:125], v[126:127], v[18:19]
	v_mul_f64_e32 v[18:19], v[128:129], v[18:19]
	v_add_f64_e32 v[10:11], v[130:131], v[144:145]
	v_add_f64_e32 v[122:123], v[132:133], v[150:151]
	v_fmac_f64_e32 v[140:141], v[6:7], v[12:13]
	v_fma_f64 v[12:13], v[4:5], v[12:13], -v[14:15]
	v_fmac_f64_e32 v[124:125], v[128:129], v[16:17]
	v_fma_f64 v[16:17], v[126:127], v[16:17], -v[18:19]
	v_add_f64_e32 v[14:15], v[10:11], v[8:9]
	v_add_f64_e32 v[122:123], v[122:123], v[138:139]
	ds_load_b128 v[4:7], v2 offset:1200
	ds_load_b128 v[8:11], v2 offset:1216
	s_wait_loadcnt_dscnt 0x401
	v_mul_f64_e32 v[130:131], v[4:5], v[22:23]
	v_mul_f64_e32 v[22:23], v[6:7], v[22:23]
	s_wait_loadcnt_dscnt 0x300
	v_mul_f64_e32 v[18:19], v[8:9], v[108:109]
	v_mul_f64_e32 v[108:109], v[10:11], v[108:109]
	v_add_f64_e32 v[12:13], v[14:15], v[12:13]
	v_add_f64_e32 v[14:15], v[122:123], v[140:141]
	v_fmac_f64_e32 v[130:131], v[6:7], v[20:21]
	v_fma_f64 v[20:21], v[4:5], v[20:21], -v[22:23]
	v_fmac_f64_e32 v[18:19], v[10:11], v[106:107]
	v_fma_f64 v[8:9], v[8:9], v[106:107], -v[108:109]
	v_add_f64_e32 v[16:17], v[12:13], v[16:17]
	v_add_f64_e32 v[22:23], v[14:15], v[124:125]
	ds_load_b128 v[4:7], v2 offset:1232
	ds_load_b128 v[12:15], v2 offset:1248
	s_wait_loadcnt_dscnt 0x201
	v_mul_f64_e32 v[122:123], v[4:5], v[112:113]
	v_mul_f64_e32 v[112:113], v[6:7], v[112:113]
	v_add_f64_e32 v[10:11], v[16:17], v[20:21]
	v_add_f64_e32 v[16:17], v[22:23], v[130:131]
	s_wait_loadcnt_dscnt 0x100
	v_mul_f64_e32 v[20:21], v[12:13], v[116:117]
	v_mul_f64_e32 v[22:23], v[14:15], v[116:117]
	v_fmac_f64_e32 v[122:123], v[6:7], v[110:111]
	v_fma_f64 v[106:107], v[4:5], v[110:111], -v[112:113]
	ds_load_b128 v[4:7], v2 offset:1264
	v_add_f64_e32 v[8:9], v[10:11], v[8:9]
	v_add_f64_e32 v[10:11], v[16:17], v[18:19]
	v_fmac_f64_e32 v[20:21], v[14:15], v[114:115]
	v_fma_f64 v[12:13], v[12:13], v[114:115], -v[22:23]
	s_wait_loadcnt_dscnt 0x0
	v_mul_f64_e32 v[16:17], v[4:5], v[120:121]
	v_mul_f64_e32 v[18:19], v[6:7], v[120:121]
	v_add_f64_e32 v[8:9], v[8:9], v[106:107]
	v_add_f64_e32 v[10:11], v[10:11], v[122:123]
	s_delay_alu instid0(VALU_DEP_4) | instskip(NEXT) | instid1(VALU_DEP_4)
	v_fmac_f64_e32 v[16:17], v[6:7], v[118:119]
	v_fma_f64 v[4:5], v[4:5], v[118:119], -v[18:19]
	s_delay_alu instid0(VALU_DEP_4) | instskip(NEXT) | instid1(VALU_DEP_4)
	v_add_f64_e32 v[6:7], v[8:9], v[12:13]
	v_add_f64_e32 v[8:9], v[10:11], v[20:21]
	s_delay_alu instid0(VALU_DEP_2) | instskip(NEXT) | instid1(VALU_DEP_2)
	v_add_f64_e32 v[4:5], v[6:7], v[4:5]
	v_add_f64_e32 v[6:7], v[8:9], v[16:17]
	s_delay_alu instid0(VALU_DEP_2) | instskip(NEXT) | instid1(VALU_DEP_2)
	v_add_f64_e64 v[4:5], v[134:135], -v[4:5]
	v_add_f64_e64 v[6:7], v[136:137], -v[6:7]
	scratch_store_b128 off, v[4:7], off offset:96
	s_wait_xcnt 0x0
	v_cmpx_lt_u32_e32 5, v1
	s_cbranch_execz .LBB103_243
; %bb.242:
	scratch_load_b128 v[6:9], off, s51
	v_dual_mov_b32 v3, v2 :: v_dual_mov_b32 v4, v2
	v_mov_b32_e32 v5, v2
	scratch_store_b128 off, v[2:5], off offset:80
	s_wait_loadcnt 0x0
	ds_store_b128 v104, v[6:9]
.LBB103_243:
	s_wait_xcnt 0x0
	s_or_b32 exec_lo, exec_lo, s2
	s_wait_storecnt_dscnt 0x0
	s_barrier_signal -1
	s_barrier_wait -1
	s_clause 0x9
	scratch_load_b128 v[4:7], off, off offset:96
	scratch_load_b128 v[8:11], off, off offset:112
	scratch_load_b128 v[12:15], off, off offset:128
	scratch_load_b128 v[16:19], off, off offset:144
	scratch_load_b128 v[20:23], off, off offset:160
	scratch_load_b128 v[106:109], off, off offset:176
	scratch_load_b128 v[110:113], off, off offset:192
	scratch_load_b128 v[114:117], off, off offset:208
	scratch_load_b128 v[118:121], off, off offset:224
	scratch_load_b128 v[122:125], off, off offset:240
	ds_load_b128 v[126:129], v2 offset:736
	ds_load_b128 v[134:137], v2 offset:752
	s_clause 0x2
	scratch_load_b128 v[130:133], off, off offset:256
	scratch_load_b128 v[138:141], off, off offset:80
	;; [unrolled: 1-line block ×3, first 2 shown]
	s_mov_b32 s2, exec_lo
	s_wait_loadcnt_dscnt 0xc01
	v_mul_f64_e32 v[146:147], v[128:129], v[6:7]
	v_mul_f64_e32 v[150:151], v[126:127], v[6:7]
	s_wait_loadcnt_dscnt 0xb00
	v_mul_f64_e32 v[152:153], v[134:135], v[10:11]
	v_mul_f64_e32 v[10:11], v[136:137], v[10:11]
	s_delay_alu instid0(VALU_DEP_4) | instskip(NEXT) | instid1(VALU_DEP_4)
	v_fma_f64 v[154:155], v[126:127], v[4:5], -v[146:147]
	v_fmac_f64_e32 v[150:151], v[128:129], v[4:5]
	ds_load_b128 v[4:7], v2 offset:768
	ds_load_b128 v[126:129], v2 offset:784
	scratch_load_b128 v[146:149], off, off offset:288
	v_fmac_f64_e32 v[152:153], v[136:137], v[8:9]
	v_fma_f64 v[134:135], v[134:135], v[8:9], -v[10:11]
	scratch_load_b128 v[8:11], off, off offset:304
	s_wait_loadcnt_dscnt 0xc01
	v_mul_f64_e32 v[156:157], v[4:5], v[14:15]
	v_mul_f64_e32 v[14:15], v[6:7], v[14:15]
	v_add_f64_e32 v[136:137], 0, v[154:155]
	v_add_f64_e32 v[150:151], 0, v[150:151]
	s_wait_loadcnt_dscnt 0xb00
	v_mul_f64_e32 v[154:155], v[126:127], v[18:19]
	v_mul_f64_e32 v[18:19], v[128:129], v[18:19]
	v_fmac_f64_e32 v[156:157], v[6:7], v[12:13]
	v_fma_f64 v[158:159], v[4:5], v[12:13], -v[14:15]
	ds_load_b128 v[4:7], v2 offset:800
	ds_load_b128 v[12:15], v2 offset:816
	v_add_f64_e32 v[160:161], v[136:137], v[134:135]
	v_add_f64_e32 v[150:151], v[150:151], v[152:153]
	scratch_load_b128 v[134:137], off, off offset:320
	v_fmac_f64_e32 v[154:155], v[128:129], v[16:17]
	v_fma_f64 v[126:127], v[126:127], v[16:17], -v[18:19]
	scratch_load_b128 v[16:19], off, off offset:336
	s_wait_loadcnt_dscnt 0xc01
	v_mul_f64_e32 v[152:153], v[4:5], v[22:23]
	v_mul_f64_e32 v[22:23], v[6:7], v[22:23]
	v_add_f64_e32 v[128:129], v[160:161], v[158:159]
	v_add_f64_e32 v[150:151], v[150:151], v[156:157]
	s_wait_loadcnt_dscnt 0xb00
	v_mul_f64_e32 v[156:157], v[12:13], v[108:109]
	v_mul_f64_e32 v[108:109], v[14:15], v[108:109]
	v_fmac_f64_e32 v[152:153], v[6:7], v[20:21]
	v_fma_f64 v[158:159], v[4:5], v[20:21], -v[22:23]
	ds_load_b128 v[4:7], v2 offset:832
	ds_load_b128 v[20:23], v2 offset:848
	v_add_f64_e32 v[160:161], v[128:129], v[126:127]
	v_add_f64_e32 v[150:151], v[150:151], v[154:155]
	scratch_load_b128 v[126:129], off, off offset:352
	s_wait_loadcnt_dscnt 0xb01
	v_mul_f64_e32 v[154:155], v[4:5], v[112:113]
	v_mul_f64_e32 v[112:113], v[6:7], v[112:113]
	v_fmac_f64_e32 v[156:157], v[14:15], v[106:107]
	v_fma_f64 v[106:107], v[12:13], v[106:107], -v[108:109]
	scratch_load_b128 v[12:15], off, off offset:368
	v_add_f64_e32 v[108:109], v[160:161], v[158:159]
	v_add_f64_e32 v[150:151], v[150:151], v[152:153]
	s_wait_loadcnt_dscnt 0xb00
	v_mul_f64_e32 v[152:153], v[20:21], v[116:117]
	v_mul_f64_e32 v[116:117], v[22:23], v[116:117]
	v_fmac_f64_e32 v[154:155], v[6:7], v[110:111]
	v_fma_f64 v[158:159], v[4:5], v[110:111], -v[112:113]
	v_add_f64_e32 v[160:161], v[108:109], v[106:107]
	v_add_f64_e32 v[150:151], v[150:151], v[156:157]
	ds_load_b128 v[4:7], v2 offset:864
	ds_load_b128 v[106:109], v2 offset:880
	scratch_load_b128 v[110:113], off, off offset:384
	v_fmac_f64_e32 v[152:153], v[22:23], v[114:115]
	v_fma_f64 v[114:115], v[20:21], v[114:115], -v[116:117]
	scratch_load_b128 v[20:23], off, off offset:400
	s_wait_loadcnt_dscnt 0xc01
	v_mul_f64_e32 v[156:157], v[4:5], v[120:121]
	v_mul_f64_e32 v[120:121], v[6:7], v[120:121]
	v_add_f64_e32 v[116:117], v[160:161], v[158:159]
	v_add_f64_e32 v[150:151], v[150:151], v[154:155]
	s_wait_loadcnt_dscnt 0xb00
	v_mul_f64_e32 v[154:155], v[106:107], v[124:125]
	v_mul_f64_e32 v[124:125], v[108:109], v[124:125]
	v_fmac_f64_e32 v[156:157], v[6:7], v[118:119]
	v_fma_f64 v[158:159], v[4:5], v[118:119], -v[120:121]
	v_add_f64_e32 v[160:161], v[116:117], v[114:115]
	v_add_f64_e32 v[150:151], v[150:151], v[152:153]
	ds_load_b128 v[4:7], v2 offset:896
	ds_load_b128 v[114:117], v2 offset:912
	scratch_load_b128 v[118:121], off, off offset:416
	v_fmac_f64_e32 v[154:155], v[108:109], v[122:123]
	v_fma_f64 v[122:123], v[106:107], v[122:123], -v[124:125]
	scratch_load_b128 v[106:109], off, off offset:432
	s_wait_loadcnt_dscnt 0xc01
	v_mul_f64_e32 v[152:153], v[4:5], v[132:133]
	v_mul_f64_e32 v[132:133], v[6:7], v[132:133]
	;; [unrolled: 18-line block ×5, first 2 shown]
	v_add_f64_e32 v[144:145], v[160:161], v[158:159]
	v_add_f64_e32 v[150:151], v[150:151], v[156:157]
	s_wait_loadcnt_dscnt 0xa00
	v_mul_f64_e32 v[156:157], v[122:123], v[14:15]
	v_mul_f64_e32 v[14:15], v[124:125], v[14:15]
	v_fmac_f64_e32 v[152:153], v[6:7], v[126:127]
	v_fma_f64 v[158:159], v[4:5], v[126:127], -v[128:129]
	ds_load_b128 v[4:7], v2 offset:1024
	ds_load_b128 v[126:129], v2 offset:1040
	v_add_f64_e32 v[160:161], v[144:145], v[142:143]
	v_add_f64_e32 v[150:151], v[150:151], v[154:155]
	scratch_load_b128 v[142:145], off, off offset:544
	v_fmac_f64_e32 v[156:157], v[124:125], v[12:13]
	v_fma_f64 v[122:123], v[122:123], v[12:13], -v[14:15]
	scratch_load_b128 v[12:15], off, off offset:560
	s_wait_loadcnt_dscnt 0xb01
	v_mul_f64_e32 v[154:155], v[4:5], v[112:113]
	v_mul_f64_e32 v[112:113], v[6:7], v[112:113]
	v_add_f64_e32 v[124:125], v[160:161], v[158:159]
	v_add_f64_e32 v[150:151], v[150:151], v[152:153]
	s_wait_loadcnt_dscnt 0xa00
	v_mul_f64_e32 v[152:153], v[126:127], v[22:23]
	v_mul_f64_e32 v[22:23], v[128:129], v[22:23]
	v_fmac_f64_e32 v[154:155], v[6:7], v[110:111]
	v_fma_f64 v[158:159], v[4:5], v[110:111], -v[112:113]
	ds_load_b128 v[4:7], v2 offset:1056
	ds_load_b128 v[110:113], v2 offset:1072
	v_add_f64_e32 v[160:161], v[124:125], v[122:123]
	v_add_f64_e32 v[150:151], v[150:151], v[156:157]
	scratch_load_b128 v[122:125], off, off offset:576
	s_wait_loadcnt_dscnt 0xa01
	v_mul_f64_e32 v[156:157], v[4:5], v[120:121]
	v_mul_f64_e32 v[120:121], v[6:7], v[120:121]
	v_fmac_f64_e32 v[152:153], v[128:129], v[20:21]
	v_fma_f64 v[126:127], v[126:127], v[20:21], -v[22:23]
	scratch_load_b128 v[20:23], off, off offset:592
	v_add_f64_e32 v[128:129], v[160:161], v[158:159]
	v_add_f64_e32 v[150:151], v[150:151], v[154:155]
	s_wait_loadcnt_dscnt 0xa00
	v_mul_f64_e32 v[154:155], v[110:111], v[108:109]
	v_mul_f64_e32 v[108:109], v[112:113], v[108:109]
	v_fmac_f64_e32 v[156:157], v[6:7], v[118:119]
	v_fma_f64 v[158:159], v[4:5], v[118:119], -v[120:121]
	ds_load_b128 v[4:7], v2 offset:1088
	ds_load_b128 v[118:121], v2 offset:1104
	v_add_f64_e32 v[160:161], v[128:129], v[126:127]
	v_add_f64_e32 v[150:151], v[150:151], v[152:153]
	scratch_load_b128 v[126:129], off, off offset:608
	s_wait_loadcnt_dscnt 0xa01
	v_mul_f64_e32 v[152:153], v[4:5], v[132:133]
	v_mul_f64_e32 v[132:133], v[6:7], v[132:133]
	v_fmac_f64_e32 v[154:155], v[112:113], v[106:107]
	v_fma_f64 v[110:111], v[110:111], v[106:107], -v[108:109]
	scratch_load_b128 v[106:109], off, off offset:624
	v_add_f64_e32 v[112:113], v[160:161], v[158:159]
	v_add_f64_e32 v[150:151], v[150:151], v[156:157]
	s_wait_loadcnt_dscnt 0xa00
	v_mul_f64_e32 v[156:157], v[118:119], v[116:117]
	v_mul_f64_e32 v[116:117], v[120:121], v[116:117]
	v_fmac_f64_e32 v[152:153], v[6:7], v[130:131]
	v_fma_f64 v[130:131], v[4:5], v[130:131], -v[132:133]
	v_add_f64_e32 v[132:133], v[112:113], v[110:111]
	v_add_f64_e32 v[150:151], v[150:151], v[154:155]
	ds_load_b128 v[4:7], v2 offset:1120
	ds_load_b128 v[110:113], v2 offset:1136
	v_fmac_f64_e32 v[156:157], v[120:121], v[114:115]
	v_fma_f64 v[114:115], v[118:119], v[114:115], -v[116:117]
	s_wait_loadcnt_dscnt 0x901
	v_mul_f64_e32 v[154:155], v[4:5], v[148:149]
	v_mul_f64_e32 v[148:149], v[6:7], v[148:149]
	s_wait_loadcnt_dscnt 0x800
	v_mul_f64_e32 v[120:121], v[110:111], v[10:11]
	v_mul_f64_e32 v[10:11], v[112:113], v[10:11]
	v_add_f64_e32 v[116:117], v[132:133], v[130:131]
	v_add_f64_e32 v[118:119], v[150:151], v[152:153]
	v_fmac_f64_e32 v[154:155], v[6:7], v[146:147]
	v_fma_f64 v[130:131], v[4:5], v[146:147], -v[148:149]
	v_fmac_f64_e32 v[120:121], v[112:113], v[8:9]
	v_fma_f64 v[8:9], v[110:111], v[8:9], -v[10:11]
	v_add_f64_e32 v[132:133], v[116:117], v[114:115]
	v_add_f64_e32 v[118:119], v[118:119], v[156:157]
	ds_load_b128 v[4:7], v2 offset:1152
	ds_load_b128 v[114:117], v2 offset:1168
	s_wait_loadcnt_dscnt 0x701
	v_mul_f64_e32 v[146:147], v[4:5], v[136:137]
	v_mul_f64_e32 v[136:137], v[6:7], v[136:137]
	s_wait_loadcnt_dscnt 0x600
	v_mul_f64_e32 v[112:113], v[114:115], v[18:19]
	v_mul_f64_e32 v[18:19], v[116:117], v[18:19]
	v_add_f64_e32 v[10:11], v[132:133], v[130:131]
	v_add_f64_e32 v[110:111], v[118:119], v[154:155]
	v_fmac_f64_e32 v[146:147], v[6:7], v[134:135]
	v_fma_f64 v[118:119], v[4:5], v[134:135], -v[136:137]
	v_fmac_f64_e32 v[112:113], v[116:117], v[16:17]
	v_fma_f64 v[16:17], v[114:115], v[16:17], -v[18:19]
	v_add_f64_e32 v[130:131], v[10:11], v[8:9]
	v_add_f64_e32 v[110:111], v[110:111], v[120:121]
	ds_load_b128 v[4:7], v2 offset:1184
	ds_load_b128 v[8:11], v2 offset:1200
	;; [unrolled: 16-line block ×3, first 2 shown]
	s_wait_loadcnt_dscnt 0x301
	v_mul_f64_e32 v[112:113], v[4:5], v[124:125]
	v_mul_f64_e32 v[124:125], v[6:7], v[124:125]
	v_add_f64_e32 v[10:11], v[18:19], v[118:119]
	v_add_f64_e32 v[12:13], v[110:111], v[120:121]
	s_wait_loadcnt_dscnt 0x200
	v_mul_f64_e32 v[18:19], v[14:15], v[22:23]
	v_mul_f64_e32 v[22:23], v[16:17], v[22:23]
	v_fmac_f64_e32 v[112:113], v[6:7], v[122:123]
	v_fma_f64 v[110:111], v[4:5], v[122:123], -v[124:125]
	v_add_f64_e32 v[116:117], v[10:11], v[8:9]
	v_add_f64_e32 v[12:13], v[12:13], v[114:115]
	ds_load_b128 v[4:7], v2 offset:1248
	ds_load_b128 v[8:11], v2 offset:1264
	v_fmac_f64_e32 v[18:19], v[16:17], v[20:21]
	v_fma_f64 v[14:15], v[14:15], v[20:21], -v[22:23]
	s_wait_loadcnt_dscnt 0x101
	v_mul_f64_e32 v[2:3], v[4:5], v[128:129]
	v_mul_f64_e32 v[114:115], v[6:7], v[128:129]
	s_wait_loadcnt_dscnt 0x0
	v_mul_f64_e32 v[20:21], v[8:9], v[108:109]
	v_mul_f64_e32 v[22:23], v[10:11], v[108:109]
	v_add_f64_e32 v[16:17], v[116:117], v[110:111]
	v_add_f64_e32 v[12:13], v[12:13], v[112:113]
	v_fmac_f64_e32 v[2:3], v[6:7], v[126:127]
	v_fma_f64 v[4:5], v[4:5], v[126:127], -v[114:115]
	v_fmac_f64_e32 v[20:21], v[10:11], v[106:107]
	v_fma_f64 v[8:9], v[8:9], v[106:107], -v[22:23]
	v_add_f64_e32 v[6:7], v[16:17], v[14:15]
	v_add_f64_e32 v[12:13], v[12:13], v[18:19]
	s_delay_alu instid0(VALU_DEP_2) | instskip(NEXT) | instid1(VALU_DEP_2)
	v_add_f64_e32 v[4:5], v[6:7], v[4:5]
	v_add_f64_e32 v[2:3], v[12:13], v[2:3]
	s_delay_alu instid0(VALU_DEP_2) | instskip(NEXT) | instid1(VALU_DEP_2)
	;; [unrolled: 3-line block ×3, first 2 shown]
	v_add_f64_e64 v[2:3], v[138:139], -v[4:5]
	v_add_f64_e64 v[4:5], v[140:141], -v[6:7]
	scratch_store_b128 off, v[2:5], off offset:80
	s_wait_xcnt 0x0
	v_cmpx_lt_u32_e32 4, v1
	s_cbranch_execz .LBB103_245
; %bb.244:
	scratch_load_b128 v[2:5], off, s12
	v_mov_b32_e32 v6, 0
	s_delay_alu instid0(VALU_DEP_1)
	v_dual_mov_b32 v7, v6 :: v_dual_mov_b32 v8, v6
	v_mov_b32_e32 v9, v6
	scratch_store_b128 off, v[6:9], off offset:64
	s_wait_loadcnt 0x0
	ds_store_b128 v104, v[2:5]
.LBB103_245:
	s_wait_xcnt 0x0
	s_or_b32 exec_lo, exec_lo, s2
	s_wait_storecnt_dscnt 0x0
	s_barrier_signal -1
	s_barrier_wait -1
	s_clause 0x9
	scratch_load_b128 v[4:7], off, off offset:80
	scratch_load_b128 v[8:11], off, off offset:96
	;; [unrolled: 1-line block ×10, first 2 shown]
	v_mov_b32_e32 v2, 0
	s_mov_b32 s2, exec_lo
	ds_load_b128 v[126:129], v2 offset:720
	s_clause 0x2
	scratch_load_b128 v[130:133], off, off offset:240
	scratch_load_b128 v[134:137], off, off offset:64
	;; [unrolled: 1-line block ×3, first 2 shown]
	s_wait_loadcnt_dscnt 0xc00
	v_mul_f64_e32 v[146:147], v[128:129], v[6:7]
	v_mul_f64_e32 v[150:151], v[126:127], v[6:7]
	ds_load_b128 v[138:141], v2 offset:736
	v_fma_f64 v[154:155], v[126:127], v[4:5], -v[146:147]
	v_fmac_f64_e32 v[150:151], v[128:129], v[4:5]
	ds_load_b128 v[4:7], v2 offset:752
	s_wait_loadcnt_dscnt 0xb01
	v_mul_f64_e32 v[152:153], v[138:139], v[10:11]
	v_mul_f64_e32 v[10:11], v[140:141], v[10:11]
	scratch_load_b128 v[126:129], off, off offset:272
	ds_load_b128 v[146:149], v2 offset:768
	s_wait_loadcnt_dscnt 0xb01
	v_mul_f64_e32 v[156:157], v[4:5], v[14:15]
	v_mul_f64_e32 v[14:15], v[6:7], v[14:15]
	v_add_f64_e32 v[150:151], 0, v[150:151]
	v_fmac_f64_e32 v[152:153], v[140:141], v[8:9]
	v_fma_f64 v[138:139], v[138:139], v[8:9], -v[10:11]
	v_add_f64_e32 v[140:141], 0, v[154:155]
	scratch_load_b128 v[8:11], off, off offset:288
	v_fmac_f64_e32 v[156:157], v[6:7], v[12:13]
	v_fma_f64 v[158:159], v[4:5], v[12:13], -v[14:15]
	ds_load_b128 v[4:7], v2 offset:784
	s_wait_loadcnt_dscnt 0xb01
	v_mul_f64_e32 v[154:155], v[146:147], v[18:19]
	v_mul_f64_e32 v[18:19], v[148:149], v[18:19]
	scratch_load_b128 v[12:15], off, off offset:304
	v_add_f64_e32 v[150:151], v[150:151], v[152:153]
	v_add_f64_e32 v[160:161], v[140:141], v[138:139]
	ds_load_b128 v[138:141], v2 offset:800
	s_wait_loadcnt_dscnt 0xb01
	v_mul_f64_e32 v[152:153], v[4:5], v[22:23]
	v_mul_f64_e32 v[22:23], v[6:7], v[22:23]
	v_fmac_f64_e32 v[154:155], v[148:149], v[16:17]
	v_fma_f64 v[146:147], v[146:147], v[16:17], -v[18:19]
	scratch_load_b128 v[16:19], off, off offset:320
	v_add_f64_e32 v[150:151], v[150:151], v[156:157]
	v_add_f64_e32 v[148:149], v[160:161], v[158:159]
	v_fmac_f64_e32 v[152:153], v[6:7], v[20:21]
	v_fma_f64 v[158:159], v[4:5], v[20:21], -v[22:23]
	ds_load_b128 v[4:7], v2 offset:816
	s_wait_loadcnt_dscnt 0xb01
	v_mul_f64_e32 v[156:157], v[138:139], v[108:109]
	v_mul_f64_e32 v[108:109], v[140:141], v[108:109]
	scratch_load_b128 v[20:23], off, off offset:336
	v_add_f64_e32 v[150:151], v[150:151], v[154:155]
	s_wait_loadcnt_dscnt 0xb00
	v_mul_f64_e32 v[154:155], v[4:5], v[112:113]
	v_add_f64_e32 v[160:161], v[148:149], v[146:147]
	v_mul_f64_e32 v[112:113], v[6:7], v[112:113]
	ds_load_b128 v[146:149], v2 offset:832
	v_fmac_f64_e32 v[156:157], v[140:141], v[106:107]
	v_fma_f64 v[138:139], v[138:139], v[106:107], -v[108:109]
	scratch_load_b128 v[106:109], off, off offset:352
	v_add_f64_e32 v[150:151], v[150:151], v[152:153]
	v_fmac_f64_e32 v[154:155], v[6:7], v[110:111]
	v_add_f64_e32 v[140:141], v[160:161], v[158:159]
	v_fma_f64 v[158:159], v[4:5], v[110:111], -v[112:113]
	ds_load_b128 v[4:7], v2 offset:848
	s_wait_loadcnt_dscnt 0xb01
	v_mul_f64_e32 v[152:153], v[146:147], v[116:117]
	v_mul_f64_e32 v[116:117], v[148:149], v[116:117]
	scratch_load_b128 v[110:113], off, off offset:368
	v_add_f64_e32 v[150:151], v[150:151], v[156:157]
	s_wait_loadcnt_dscnt 0xb00
	v_mul_f64_e32 v[156:157], v[4:5], v[120:121]
	v_add_f64_e32 v[160:161], v[140:141], v[138:139]
	v_mul_f64_e32 v[120:121], v[6:7], v[120:121]
	ds_load_b128 v[138:141], v2 offset:864
	v_fmac_f64_e32 v[152:153], v[148:149], v[114:115]
	v_fma_f64 v[146:147], v[146:147], v[114:115], -v[116:117]
	scratch_load_b128 v[114:117], off, off offset:384
	v_add_f64_e32 v[150:151], v[150:151], v[154:155]
	v_fmac_f64_e32 v[156:157], v[6:7], v[118:119]
	v_add_f64_e32 v[148:149], v[160:161], v[158:159]
	;; [unrolled: 18-line block ×3, first 2 shown]
	v_fma_f64 v[158:159], v[4:5], v[130:131], -v[132:133]
	ds_load_b128 v[4:7], v2 offset:912
	s_wait_loadcnt_dscnt 0xa01
	v_mul_f64_e32 v[156:157], v[146:147], v[144:145]
	v_mul_f64_e32 v[144:145], v[148:149], v[144:145]
	scratch_load_b128 v[130:133], off, off offset:432
	v_add_f64_e32 v[150:151], v[150:151], v[154:155]
	v_add_f64_e32 v[160:161], v[140:141], v[138:139]
	s_wait_loadcnt_dscnt 0xa00
	v_mul_f64_e32 v[154:155], v[4:5], v[128:129]
	v_mul_f64_e32 v[128:129], v[6:7], v[128:129]
	v_fmac_f64_e32 v[156:157], v[148:149], v[142:143]
	v_fma_f64 v[146:147], v[146:147], v[142:143], -v[144:145]
	ds_load_b128 v[138:141], v2 offset:928
	scratch_load_b128 v[142:145], off, off offset:448
	v_add_f64_e32 v[150:151], v[150:151], v[152:153]
	v_add_f64_e32 v[148:149], v[160:161], v[158:159]
	v_fmac_f64_e32 v[154:155], v[6:7], v[126:127]
	v_fma_f64 v[158:159], v[4:5], v[126:127], -v[128:129]
	ds_load_b128 v[4:7], v2 offset:944
	s_wait_loadcnt_dscnt 0xa01
	v_mul_f64_e32 v[152:153], v[138:139], v[10:11]
	v_mul_f64_e32 v[10:11], v[140:141], v[10:11]
	scratch_load_b128 v[126:129], off, off offset:464
	v_add_f64_e32 v[150:151], v[150:151], v[156:157]
	s_wait_loadcnt_dscnt 0xa00
	v_mul_f64_e32 v[156:157], v[4:5], v[14:15]
	v_add_f64_e32 v[160:161], v[148:149], v[146:147]
	v_mul_f64_e32 v[14:15], v[6:7], v[14:15]
	ds_load_b128 v[146:149], v2 offset:960
	v_fmac_f64_e32 v[152:153], v[140:141], v[8:9]
	v_fma_f64 v[138:139], v[138:139], v[8:9], -v[10:11]
	scratch_load_b128 v[8:11], off, off offset:480
	v_add_f64_e32 v[150:151], v[150:151], v[154:155]
	v_fmac_f64_e32 v[156:157], v[6:7], v[12:13]
	v_add_f64_e32 v[140:141], v[160:161], v[158:159]
	v_fma_f64 v[158:159], v[4:5], v[12:13], -v[14:15]
	ds_load_b128 v[4:7], v2 offset:976
	s_wait_loadcnt_dscnt 0xa01
	v_mul_f64_e32 v[154:155], v[146:147], v[18:19]
	v_mul_f64_e32 v[18:19], v[148:149], v[18:19]
	scratch_load_b128 v[12:15], off, off offset:496
	v_add_f64_e32 v[150:151], v[150:151], v[152:153]
	s_wait_loadcnt_dscnt 0xa00
	v_mul_f64_e32 v[152:153], v[4:5], v[22:23]
	v_add_f64_e32 v[160:161], v[140:141], v[138:139]
	v_mul_f64_e32 v[22:23], v[6:7], v[22:23]
	ds_load_b128 v[138:141], v2 offset:992
	v_fmac_f64_e32 v[154:155], v[148:149], v[16:17]
	v_fma_f64 v[146:147], v[146:147], v[16:17], -v[18:19]
	scratch_load_b128 v[16:19], off, off offset:512
	v_add_f64_e32 v[150:151], v[150:151], v[156:157]
	v_fmac_f64_e32 v[152:153], v[6:7], v[20:21]
	v_add_f64_e32 v[148:149], v[160:161], v[158:159]
	;; [unrolled: 18-line block ×5, first 2 shown]
	v_fma_f64 v[158:159], v[4:5], v[130:131], -v[132:133]
	ds_load_b128 v[4:7], v2 offset:1104
	s_wait_loadcnt_dscnt 0xa01
	v_mul_f64_e32 v[156:157], v[146:147], v[144:145]
	v_mul_f64_e32 v[144:145], v[148:149], v[144:145]
	scratch_load_b128 v[130:133], off, off offset:624
	v_add_f64_e32 v[150:151], v[150:151], v[154:155]
	s_wait_loadcnt_dscnt 0xa00
	v_mul_f64_e32 v[154:155], v[4:5], v[128:129]
	v_add_f64_e32 v[160:161], v[140:141], v[138:139]
	v_mul_f64_e32 v[128:129], v[6:7], v[128:129]
	ds_load_b128 v[138:141], v2 offset:1120
	v_fmac_f64_e32 v[156:157], v[148:149], v[142:143]
	v_fma_f64 v[142:143], v[146:147], v[142:143], -v[144:145]
	s_wait_loadcnt_dscnt 0x900
	v_mul_f64_e32 v[148:149], v[138:139], v[10:11]
	v_mul_f64_e32 v[10:11], v[140:141], v[10:11]
	v_add_f64_e32 v[146:147], v[150:151], v[152:153]
	v_fmac_f64_e32 v[154:155], v[6:7], v[126:127]
	v_add_f64_e32 v[144:145], v[160:161], v[158:159]
	v_fma_f64 v[150:151], v[4:5], v[126:127], -v[128:129]
	ds_load_b128 v[4:7], v2 offset:1136
	ds_load_b128 v[126:129], v2 offset:1152
	v_fmac_f64_e32 v[148:149], v[140:141], v[8:9]
	v_fma_f64 v[8:9], v[138:139], v[8:9], -v[10:11]
	v_add_f64_e32 v[142:143], v[144:145], v[142:143]
	v_add_f64_e32 v[144:145], v[146:147], v[156:157]
	s_wait_loadcnt_dscnt 0x801
	v_mul_f64_e32 v[146:147], v[4:5], v[14:15]
	v_mul_f64_e32 v[14:15], v[6:7], v[14:15]
	s_wait_loadcnt_dscnt 0x700
	v_mul_f64_e32 v[140:141], v[126:127], v[18:19]
	v_mul_f64_e32 v[18:19], v[128:129], v[18:19]
	v_add_f64_e32 v[10:11], v[142:143], v[150:151]
	v_add_f64_e32 v[138:139], v[144:145], v[154:155]
	v_fmac_f64_e32 v[146:147], v[6:7], v[12:13]
	v_fma_f64 v[12:13], v[4:5], v[12:13], -v[14:15]
	v_fmac_f64_e32 v[140:141], v[128:129], v[16:17]
	v_fma_f64 v[16:17], v[126:127], v[16:17], -v[18:19]
	v_add_f64_e32 v[14:15], v[10:11], v[8:9]
	v_add_f64_e32 v[138:139], v[138:139], v[148:149]
	ds_load_b128 v[4:7], v2 offset:1168
	ds_load_b128 v[8:11], v2 offset:1184
	s_wait_loadcnt_dscnt 0x601
	v_mul_f64_e32 v[142:143], v[4:5], v[22:23]
	v_mul_f64_e32 v[22:23], v[6:7], v[22:23]
	s_wait_loadcnt_dscnt 0x500
	v_mul_f64_e32 v[18:19], v[8:9], v[108:109]
	v_mul_f64_e32 v[108:109], v[10:11], v[108:109]
	v_add_f64_e32 v[12:13], v[14:15], v[12:13]
	v_add_f64_e32 v[14:15], v[138:139], v[146:147]
	v_fmac_f64_e32 v[142:143], v[6:7], v[20:21]
	v_fma_f64 v[20:21], v[4:5], v[20:21], -v[22:23]
	v_fmac_f64_e32 v[18:19], v[10:11], v[106:107]
	v_fma_f64 v[8:9], v[8:9], v[106:107], -v[108:109]
	v_add_f64_e32 v[16:17], v[12:13], v[16:17]
	v_add_f64_e32 v[22:23], v[14:15], v[140:141]
	ds_load_b128 v[4:7], v2 offset:1200
	ds_load_b128 v[12:15], v2 offset:1216
	s_wait_loadcnt_dscnt 0x401
	v_mul_f64_e32 v[126:127], v[4:5], v[112:113]
	v_mul_f64_e32 v[112:113], v[6:7], v[112:113]
	v_add_f64_e32 v[10:11], v[16:17], v[20:21]
	v_add_f64_e32 v[16:17], v[22:23], v[142:143]
	s_wait_loadcnt_dscnt 0x300
	v_mul_f64_e32 v[20:21], v[12:13], v[116:117]
	v_mul_f64_e32 v[22:23], v[14:15], v[116:117]
	v_fmac_f64_e32 v[126:127], v[6:7], v[110:111]
	v_fma_f64 v[106:107], v[4:5], v[110:111], -v[112:113]
	v_add_f64_e32 v[108:109], v[10:11], v[8:9]
	v_add_f64_e32 v[16:17], v[16:17], v[18:19]
	ds_load_b128 v[4:7], v2 offset:1232
	ds_load_b128 v[8:11], v2 offset:1248
	v_fmac_f64_e32 v[20:21], v[14:15], v[114:115]
	v_fma_f64 v[12:13], v[12:13], v[114:115], -v[22:23]
	s_wait_loadcnt_dscnt 0x201
	v_mul_f64_e32 v[18:19], v[4:5], v[120:121]
	v_mul_f64_e32 v[110:111], v[6:7], v[120:121]
	s_wait_loadcnt_dscnt 0x100
	v_mul_f64_e32 v[22:23], v[8:9], v[124:125]
	v_add_f64_e32 v[14:15], v[108:109], v[106:107]
	v_add_f64_e32 v[16:17], v[16:17], v[126:127]
	v_mul_f64_e32 v[106:107], v[10:11], v[124:125]
	v_fmac_f64_e32 v[18:19], v[6:7], v[118:119]
	v_fma_f64 v[108:109], v[4:5], v[118:119], -v[110:111]
	ds_load_b128 v[4:7], v2 offset:1264
	v_fmac_f64_e32 v[22:23], v[10:11], v[122:123]
	v_add_f64_e32 v[12:13], v[14:15], v[12:13]
	v_add_f64_e32 v[14:15], v[16:17], v[20:21]
	v_fma_f64 v[8:9], v[8:9], v[122:123], -v[106:107]
	s_wait_loadcnt_dscnt 0x0
	v_mul_f64_e32 v[16:17], v[4:5], v[132:133]
	v_mul_f64_e32 v[20:21], v[6:7], v[132:133]
	v_add_f64_e32 v[10:11], v[12:13], v[108:109]
	v_add_f64_e32 v[12:13], v[14:15], v[18:19]
	s_delay_alu instid0(VALU_DEP_4) | instskip(NEXT) | instid1(VALU_DEP_4)
	v_fmac_f64_e32 v[16:17], v[6:7], v[130:131]
	v_fma_f64 v[4:5], v[4:5], v[130:131], -v[20:21]
	s_delay_alu instid0(VALU_DEP_4) | instskip(NEXT) | instid1(VALU_DEP_4)
	v_add_f64_e32 v[6:7], v[10:11], v[8:9]
	v_add_f64_e32 v[8:9], v[12:13], v[22:23]
	s_delay_alu instid0(VALU_DEP_2) | instskip(NEXT) | instid1(VALU_DEP_2)
	v_add_f64_e32 v[4:5], v[6:7], v[4:5]
	v_add_f64_e32 v[6:7], v[8:9], v[16:17]
	s_delay_alu instid0(VALU_DEP_2) | instskip(NEXT) | instid1(VALU_DEP_2)
	v_add_f64_e64 v[4:5], v[134:135], -v[4:5]
	v_add_f64_e64 v[6:7], v[136:137], -v[6:7]
	scratch_store_b128 off, v[4:7], off offset:64
	s_wait_xcnt 0x0
	v_cmpx_lt_u32_e32 3, v1
	s_cbranch_execz .LBB103_247
; %bb.246:
	scratch_load_b128 v[6:9], off, s14
	v_dual_mov_b32 v3, v2 :: v_dual_mov_b32 v4, v2
	v_mov_b32_e32 v5, v2
	scratch_store_b128 off, v[2:5], off offset:48
	s_wait_loadcnt 0x0
	ds_store_b128 v104, v[6:9]
.LBB103_247:
	s_wait_xcnt 0x0
	s_or_b32 exec_lo, exec_lo, s2
	s_wait_storecnt_dscnt 0x0
	s_barrier_signal -1
	s_barrier_wait -1
	s_clause 0x9
	scratch_load_b128 v[4:7], off, off offset:64
	scratch_load_b128 v[8:11], off, off offset:80
	;; [unrolled: 1-line block ×10, first 2 shown]
	ds_load_b128 v[126:129], v2 offset:704
	ds_load_b128 v[134:137], v2 offset:720
	s_clause 0x2
	scratch_load_b128 v[130:133], off, off offset:224
	scratch_load_b128 v[138:141], off, off offset:48
	;; [unrolled: 1-line block ×3, first 2 shown]
	s_mov_b32 s2, exec_lo
	s_wait_loadcnt_dscnt 0xc01
	v_mul_f64_e32 v[146:147], v[128:129], v[6:7]
	v_mul_f64_e32 v[150:151], v[126:127], v[6:7]
	s_wait_loadcnt_dscnt 0xb00
	v_mul_f64_e32 v[152:153], v[134:135], v[10:11]
	v_mul_f64_e32 v[10:11], v[136:137], v[10:11]
	s_delay_alu instid0(VALU_DEP_4) | instskip(NEXT) | instid1(VALU_DEP_4)
	v_fma_f64 v[154:155], v[126:127], v[4:5], -v[146:147]
	v_fmac_f64_e32 v[150:151], v[128:129], v[4:5]
	ds_load_b128 v[4:7], v2 offset:736
	ds_load_b128 v[126:129], v2 offset:752
	scratch_load_b128 v[146:149], off, off offset:256
	v_fmac_f64_e32 v[152:153], v[136:137], v[8:9]
	v_fma_f64 v[134:135], v[134:135], v[8:9], -v[10:11]
	scratch_load_b128 v[8:11], off, off offset:272
	s_wait_loadcnt_dscnt 0xc01
	v_mul_f64_e32 v[156:157], v[4:5], v[14:15]
	v_mul_f64_e32 v[14:15], v[6:7], v[14:15]
	v_add_f64_e32 v[136:137], 0, v[154:155]
	v_add_f64_e32 v[150:151], 0, v[150:151]
	s_wait_loadcnt_dscnt 0xb00
	v_mul_f64_e32 v[154:155], v[126:127], v[18:19]
	v_mul_f64_e32 v[18:19], v[128:129], v[18:19]
	v_fmac_f64_e32 v[156:157], v[6:7], v[12:13]
	v_fma_f64 v[158:159], v[4:5], v[12:13], -v[14:15]
	ds_load_b128 v[4:7], v2 offset:768
	ds_load_b128 v[12:15], v2 offset:784
	v_add_f64_e32 v[160:161], v[136:137], v[134:135]
	v_add_f64_e32 v[150:151], v[150:151], v[152:153]
	scratch_load_b128 v[134:137], off, off offset:288
	v_fmac_f64_e32 v[154:155], v[128:129], v[16:17]
	v_fma_f64 v[126:127], v[126:127], v[16:17], -v[18:19]
	scratch_load_b128 v[16:19], off, off offset:304
	s_wait_loadcnt_dscnt 0xc01
	v_mul_f64_e32 v[152:153], v[4:5], v[22:23]
	v_mul_f64_e32 v[22:23], v[6:7], v[22:23]
	v_add_f64_e32 v[128:129], v[160:161], v[158:159]
	v_add_f64_e32 v[150:151], v[150:151], v[156:157]
	s_wait_loadcnt_dscnt 0xb00
	v_mul_f64_e32 v[156:157], v[12:13], v[108:109]
	v_mul_f64_e32 v[108:109], v[14:15], v[108:109]
	v_fmac_f64_e32 v[152:153], v[6:7], v[20:21]
	v_fma_f64 v[158:159], v[4:5], v[20:21], -v[22:23]
	ds_load_b128 v[4:7], v2 offset:800
	ds_load_b128 v[20:23], v2 offset:816
	v_add_f64_e32 v[160:161], v[128:129], v[126:127]
	v_add_f64_e32 v[150:151], v[150:151], v[154:155]
	scratch_load_b128 v[126:129], off, off offset:320
	s_wait_loadcnt_dscnt 0xb01
	v_mul_f64_e32 v[154:155], v[4:5], v[112:113]
	v_mul_f64_e32 v[112:113], v[6:7], v[112:113]
	v_fmac_f64_e32 v[156:157], v[14:15], v[106:107]
	v_fma_f64 v[106:107], v[12:13], v[106:107], -v[108:109]
	scratch_load_b128 v[12:15], off, off offset:336
	v_add_f64_e32 v[108:109], v[160:161], v[158:159]
	v_add_f64_e32 v[150:151], v[150:151], v[152:153]
	s_wait_loadcnt_dscnt 0xb00
	v_mul_f64_e32 v[152:153], v[20:21], v[116:117]
	v_mul_f64_e32 v[116:117], v[22:23], v[116:117]
	v_fmac_f64_e32 v[154:155], v[6:7], v[110:111]
	v_fma_f64 v[158:159], v[4:5], v[110:111], -v[112:113]
	v_add_f64_e32 v[160:161], v[108:109], v[106:107]
	v_add_f64_e32 v[150:151], v[150:151], v[156:157]
	ds_load_b128 v[4:7], v2 offset:832
	ds_load_b128 v[106:109], v2 offset:848
	scratch_load_b128 v[110:113], off, off offset:352
	v_fmac_f64_e32 v[152:153], v[22:23], v[114:115]
	v_fma_f64 v[114:115], v[20:21], v[114:115], -v[116:117]
	scratch_load_b128 v[20:23], off, off offset:368
	s_wait_loadcnt_dscnt 0xc01
	v_mul_f64_e32 v[156:157], v[4:5], v[120:121]
	v_mul_f64_e32 v[120:121], v[6:7], v[120:121]
	v_add_f64_e32 v[116:117], v[160:161], v[158:159]
	v_add_f64_e32 v[150:151], v[150:151], v[154:155]
	s_wait_loadcnt_dscnt 0xb00
	v_mul_f64_e32 v[154:155], v[106:107], v[124:125]
	v_mul_f64_e32 v[124:125], v[108:109], v[124:125]
	v_fmac_f64_e32 v[156:157], v[6:7], v[118:119]
	v_fma_f64 v[158:159], v[4:5], v[118:119], -v[120:121]
	v_add_f64_e32 v[160:161], v[116:117], v[114:115]
	v_add_f64_e32 v[150:151], v[150:151], v[152:153]
	ds_load_b128 v[4:7], v2 offset:864
	ds_load_b128 v[114:117], v2 offset:880
	scratch_load_b128 v[118:121], off, off offset:384
	v_fmac_f64_e32 v[154:155], v[108:109], v[122:123]
	v_fma_f64 v[122:123], v[106:107], v[122:123], -v[124:125]
	scratch_load_b128 v[106:109], off, off offset:400
	s_wait_loadcnt_dscnt 0xc01
	v_mul_f64_e32 v[152:153], v[4:5], v[132:133]
	v_mul_f64_e32 v[132:133], v[6:7], v[132:133]
	;; [unrolled: 18-line block ×5, first 2 shown]
	v_add_f64_e32 v[144:145], v[160:161], v[158:159]
	v_add_f64_e32 v[150:151], v[150:151], v[156:157]
	s_wait_loadcnt_dscnt 0xa00
	v_mul_f64_e32 v[156:157], v[122:123], v[14:15]
	v_mul_f64_e32 v[14:15], v[124:125], v[14:15]
	v_fmac_f64_e32 v[152:153], v[6:7], v[126:127]
	v_fma_f64 v[158:159], v[4:5], v[126:127], -v[128:129]
	ds_load_b128 v[4:7], v2 offset:992
	ds_load_b128 v[126:129], v2 offset:1008
	v_add_f64_e32 v[160:161], v[144:145], v[142:143]
	v_add_f64_e32 v[150:151], v[150:151], v[154:155]
	scratch_load_b128 v[142:145], off, off offset:512
	v_fmac_f64_e32 v[156:157], v[124:125], v[12:13]
	v_fma_f64 v[122:123], v[122:123], v[12:13], -v[14:15]
	scratch_load_b128 v[12:15], off, off offset:528
	s_wait_loadcnt_dscnt 0xb01
	v_mul_f64_e32 v[154:155], v[4:5], v[112:113]
	v_mul_f64_e32 v[112:113], v[6:7], v[112:113]
	v_add_f64_e32 v[124:125], v[160:161], v[158:159]
	v_add_f64_e32 v[150:151], v[150:151], v[152:153]
	s_wait_loadcnt_dscnt 0xa00
	v_mul_f64_e32 v[152:153], v[126:127], v[22:23]
	v_mul_f64_e32 v[22:23], v[128:129], v[22:23]
	v_fmac_f64_e32 v[154:155], v[6:7], v[110:111]
	v_fma_f64 v[158:159], v[4:5], v[110:111], -v[112:113]
	ds_load_b128 v[4:7], v2 offset:1024
	ds_load_b128 v[110:113], v2 offset:1040
	v_add_f64_e32 v[160:161], v[124:125], v[122:123]
	v_add_f64_e32 v[150:151], v[150:151], v[156:157]
	scratch_load_b128 v[122:125], off, off offset:544
	s_wait_loadcnt_dscnt 0xa01
	v_mul_f64_e32 v[156:157], v[4:5], v[120:121]
	v_mul_f64_e32 v[120:121], v[6:7], v[120:121]
	v_fmac_f64_e32 v[152:153], v[128:129], v[20:21]
	v_fma_f64 v[126:127], v[126:127], v[20:21], -v[22:23]
	scratch_load_b128 v[20:23], off, off offset:560
	v_add_f64_e32 v[128:129], v[160:161], v[158:159]
	v_add_f64_e32 v[150:151], v[150:151], v[154:155]
	s_wait_loadcnt_dscnt 0xa00
	v_mul_f64_e32 v[154:155], v[110:111], v[108:109]
	v_mul_f64_e32 v[108:109], v[112:113], v[108:109]
	v_fmac_f64_e32 v[156:157], v[6:7], v[118:119]
	v_fma_f64 v[158:159], v[4:5], v[118:119], -v[120:121]
	ds_load_b128 v[4:7], v2 offset:1056
	ds_load_b128 v[118:121], v2 offset:1072
	v_add_f64_e32 v[160:161], v[128:129], v[126:127]
	v_add_f64_e32 v[150:151], v[150:151], v[152:153]
	scratch_load_b128 v[126:129], off, off offset:576
	s_wait_loadcnt_dscnt 0xa01
	v_mul_f64_e32 v[152:153], v[4:5], v[132:133]
	v_mul_f64_e32 v[132:133], v[6:7], v[132:133]
	v_fmac_f64_e32 v[154:155], v[112:113], v[106:107]
	v_fma_f64 v[110:111], v[110:111], v[106:107], -v[108:109]
	scratch_load_b128 v[106:109], off, off offset:592
	v_add_f64_e32 v[112:113], v[160:161], v[158:159]
	v_add_f64_e32 v[150:151], v[150:151], v[156:157]
	s_wait_loadcnt_dscnt 0xa00
	v_mul_f64_e32 v[156:157], v[118:119], v[116:117]
	v_mul_f64_e32 v[116:117], v[120:121], v[116:117]
	v_fmac_f64_e32 v[152:153], v[6:7], v[130:131]
	v_fma_f64 v[158:159], v[4:5], v[130:131], -v[132:133]
	v_add_f64_e32 v[160:161], v[112:113], v[110:111]
	v_add_f64_e32 v[150:151], v[150:151], v[154:155]
	ds_load_b128 v[4:7], v2 offset:1088
	ds_load_b128 v[110:113], v2 offset:1104
	scratch_load_b128 v[130:133], off, off offset:608
	v_fmac_f64_e32 v[156:157], v[120:121], v[114:115]
	v_fma_f64 v[118:119], v[118:119], v[114:115], -v[116:117]
	scratch_load_b128 v[114:117], off, off offset:624
	s_wait_loadcnt_dscnt 0xb01
	v_mul_f64_e32 v[154:155], v[4:5], v[148:149]
	v_mul_f64_e32 v[148:149], v[6:7], v[148:149]
	v_add_f64_e32 v[120:121], v[160:161], v[158:159]
	v_add_f64_e32 v[150:151], v[150:151], v[152:153]
	s_wait_loadcnt_dscnt 0xa00
	v_mul_f64_e32 v[152:153], v[110:111], v[10:11]
	v_mul_f64_e32 v[10:11], v[112:113], v[10:11]
	v_fmac_f64_e32 v[154:155], v[6:7], v[146:147]
	v_fma_f64 v[146:147], v[4:5], v[146:147], -v[148:149]
	v_add_f64_e32 v[148:149], v[120:121], v[118:119]
	v_add_f64_e32 v[150:151], v[150:151], v[156:157]
	ds_load_b128 v[4:7], v2 offset:1120
	ds_load_b128 v[118:121], v2 offset:1136
	v_fmac_f64_e32 v[152:153], v[112:113], v[8:9]
	v_fma_f64 v[8:9], v[110:111], v[8:9], -v[10:11]
	s_wait_loadcnt_dscnt 0x901
	v_mul_f64_e32 v[156:157], v[4:5], v[136:137]
	v_mul_f64_e32 v[136:137], v[6:7], v[136:137]
	s_wait_loadcnt_dscnt 0x800
	v_mul_f64_e32 v[112:113], v[118:119], v[18:19]
	v_mul_f64_e32 v[18:19], v[120:121], v[18:19]
	v_add_f64_e32 v[10:11], v[148:149], v[146:147]
	v_add_f64_e32 v[110:111], v[150:151], v[154:155]
	v_fmac_f64_e32 v[156:157], v[6:7], v[134:135]
	v_fma_f64 v[134:135], v[4:5], v[134:135], -v[136:137]
	v_fmac_f64_e32 v[112:113], v[120:121], v[16:17]
	v_fma_f64 v[16:17], v[118:119], v[16:17], -v[18:19]
	v_add_f64_e32 v[136:137], v[10:11], v[8:9]
	v_add_f64_e32 v[110:111], v[110:111], v[152:153]
	ds_load_b128 v[4:7], v2 offset:1152
	ds_load_b128 v[8:11], v2 offset:1168
	s_wait_loadcnt_dscnt 0x701
	v_mul_f64_e32 v[146:147], v[4:5], v[144:145]
	v_mul_f64_e32 v[144:145], v[6:7], v[144:145]
	s_wait_loadcnt_dscnt 0x600
	v_mul_f64_e32 v[118:119], v[8:9], v[14:15]
	v_mul_f64_e32 v[120:121], v[10:11], v[14:15]
	v_add_f64_e32 v[18:19], v[136:137], v[134:135]
	v_add_f64_e32 v[110:111], v[110:111], v[156:157]
	v_fmac_f64_e32 v[146:147], v[6:7], v[142:143]
	v_fma_f64 v[134:135], v[4:5], v[142:143], -v[144:145]
	v_fmac_f64_e32 v[118:119], v[10:11], v[12:13]
	v_fma_f64 v[8:9], v[8:9], v[12:13], -v[120:121]
	v_add_f64_e32 v[18:19], v[18:19], v[16:17]
	v_add_f64_e32 v[110:111], v[110:111], v[112:113]
	ds_load_b128 v[4:7], v2 offset:1184
	ds_load_b128 v[14:17], v2 offset:1200
	s_wait_loadcnt_dscnt 0x501
	v_mul_f64_e32 v[112:113], v[4:5], v[124:125]
	v_mul_f64_e32 v[124:125], v[6:7], v[124:125]
	v_add_f64_e32 v[10:11], v[18:19], v[134:135]
	v_add_f64_e32 v[12:13], v[110:111], v[146:147]
	s_wait_loadcnt_dscnt 0x400
	v_mul_f64_e32 v[18:19], v[14:15], v[22:23]
	v_mul_f64_e32 v[22:23], v[16:17], v[22:23]
	v_fmac_f64_e32 v[112:113], v[6:7], v[122:123]
	v_fma_f64 v[110:111], v[4:5], v[122:123], -v[124:125]
	v_add_f64_e32 v[120:121], v[10:11], v[8:9]
	v_add_f64_e32 v[12:13], v[12:13], v[118:119]
	ds_load_b128 v[4:7], v2 offset:1216
	ds_load_b128 v[8:11], v2 offset:1232
	v_fmac_f64_e32 v[18:19], v[16:17], v[20:21]
	v_fma_f64 v[14:15], v[14:15], v[20:21], -v[22:23]
	s_wait_loadcnt_dscnt 0x301
	v_mul_f64_e32 v[118:119], v[4:5], v[128:129]
	v_mul_f64_e32 v[122:123], v[6:7], v[128:129]
	s_wait_loadcnt_dscnt 0x200
	v_mul_f64_e32 v[20:21], v[8:9], v[108:109]
	v_mul_f64_e32 v[22:23], v[10:11], v[108:109]
	v_add_f64_e32 v[16:17], v[120:121], v[110:111]
	v_add_f64_e32 v[12:13], v[12:13], v[112:113]
	v_fmac_f64_e32 v[118:119], v[6:7], v[126:127]
	v_fma_f64 v[108:109], v[4:5], v[126:127], -v[122:123]
	v_fmac_f64_e32 v[20:21], v[10:11], v[106:107]
	v_fma_f64 v[8:9], v[8:9], v[106:107], -v[22:23]
	v_add_f64_e32 v[16:17], v[16:17], v[14:15]
	v_add_f64_e32 v[18:19], v[12:13], v[18:19]
	ds_load_b128 v[4:7], v2 offset:1248
	ds_load_b128 v[12:15], v2 offset:1264
	s_wait_loadcnt_dscnt 0x101
	v_mul_f64_e32 v[2:3], v[4:5], v[132:133]
	v_mul_f64_e32 v[110:111], v[6:7], v[132:133]
	s_wait_loadcnt_dscnt 0x0
	v_mul_f64_e32 v[22:23], v[14:15], v[116:117]
	v_add_f64_e32 v[10:11], v[16:17], v[108:109]
	v_add_f64_e32 v[16:17], v[18:19], v[118:119]
	v_mul_f64_e32 v[18:19], v[12:13], v[116:117]
	v_fmac_f64_e32 v[2:3], v[6:7], v[130:131]
	v_fma_f64 v[4:5], v[4:5], v[130:131], -v[110:111]
	v_add_f64_e32 v[6:7], v[10:11], v[8:9]
	v_add_f64_e32 v[8:9], v[16:17], v[20:21]
	v_fmac_f64_e32 v[18:19], v[14:15], v[114:115]
	v_fma_f64 v[10:11], v[12:13], v[114:115], -v[22:23]
	s_delay_alu instid0(VALU_DEP_4) | instskip(NEXT) | instid1(VALU_DEP_4)
	v_add_f64_e32 v[4:5], v[6:7], v[4:5]
	v_add_f64_e32 v[2:3], v[8:9], v[2:3]
	s_delay_alu instid0(VALU_DEP_2) | instskip(NEXT) | instid1(VALU_DEP_2)
	v_add_f64_e32 v[4:5], v[4:5], v[10:11]
	v_add_f64_e32 v[6:7], v[2:3], v[18:19]
	s_delay_alu instid0(VALU_DEP_2) | instskip(NEXT) | instid1(VALU_DEP_2)
	v_add_f64_e64 v[2:3], v[138:139], -v[4:5]
	v_add_f64_e64 v[4:5], v[140:141], -v[6:7]
	scratch_store_b128 off, v[2:5], off offset:48
	s_wait_xcnt 0x0
	v_cmpx_lt_u32_e32 2, v1
	s_cbranch_execz .LBB103_249
; %bb.248:
	scratch_load_b128 v[2:5], off, s16
	v_mov_b32_e32 v6, 0
	s_delay_alu instid0(VALU_DEP_1)
	v_dual_mov_b32 v7, v6 :: v_dual_mov_b32 v8, v6
	v_mov_b32_e32 v9, v6
	scratch_store_b128 off, v[6:9], off offset:32
	s_wait_loadcnt 0x0
	ds_store_b128 v104, v[2:5]
.LBB103_249:
	s_wait_xcnt 0x0
	s_or_b32 exec_lo, exec_lo, s2
	s_wait_storecnt_dscnt 0x0
	s_barrier_signal -1
	s_barrier_wait -1
	s_clause 0x9
	scratch_load_b128 v[4:7], off, off offset:48
	scratch_load_b128 v[8:11], off, off offset:64
	;; [unrolled: 1-line block ×10, first 2 shown]
	v_mov_b32_e32 v2, 0
	s_mov_b32 s2, exec_lo
	v_dual_ashrrev_i32 v29, 31, v28 :: v_dual_ashrrev_i32 v31, 31, v30
	v_ashrrev_i32_e32 v33, 31, v32
	ds_load_b128 v[126:129], v2 offset:688
	s_clause 0x2
	scratch_load_b128 v[130:133], off, off offset:208
	scratch_load_b128 v[134:137], off, off offset:32
	;; [unrolled: 1-line block ×3, first 2 shown]
	v_ashrrev_i32_e32 v37, 31, v36
	v_ashrrev_i32_e32 v41, 31, v40
	v_dual_ashrrev_i32 v45, 31, v44 :: v_dual_ashrrev_i32 v35, 31, v34
	v_ashrrev_i32_e32 v49, 31, v48
	v_dual_ashrrev_i32 v53, 31, v52 :: v_dual_ashrrev_i32 v39, 31, v38
	;; [unrolled: 2-line block ×3, first 2 shown]
	v_ashrrev_i32_e32 v65, 31, v64
	v_ashrrev_i32_e32 v69, 31, v68
	v_dual_ashrrev_i32 v73, 31, v72 :: v_dual_ashrrev_i32 v47, 31, v46
	v_dual_ashrrev_i32 v51, 31, v50 :: v_dual_ashrrev_i32 v77, 31, v76
	v_ashrrev_i32_e32 v55, 31, v54
	v_ashrrev_i32_e32 v59, 31, v58
	v_dual_ashrrev_i32 v63, 31, v62 :: v_dual_ashrrev_i32 v81, 31, v80
	v_dual_ashrrev_i32 v85, 31, v84 :: v_dual_ashrrev_i32 v67, 31, v66
	;; [unrolled: 1-line block ×4, first 2 shown]
	v_ashrrev_i32_e32 v79, 31, v78
	v_dual_ashrrev_i32 v83, 31, v82 :: v_dual_ashrrev_i32 v97, 31, v96
	v_dual_ashrrev_i32 v87, 31, v86 :: v_dual_ashrrev_i32 v101, 31, v100
	v_ashrrev_i32_e32 v91, 31, v90
	v_ashrrev_i32_e32 v95, 31, v94
	;; [unrolled: 1-line block ×4, first 2 shown]
	s_wait_loadcnt_dscnt 0xc00
	v_mul_f64_e32 v[146:147], v[128:129], v[6:7]
	v_mul_f64_e32 v[150:151], v[126:127], v[6:7]
	ds_load_b128 v[138:141], v2 offset:704
	v_fma_f64 v[154:155], v[126:127], v[4:5], -v[146:147]
	v_fmac_f64_e32 v[150:151], v[128:129], v[4:5]
	ds_load_b128 v[4:7], v2 offset:720
	s_wait_loadcnt_dscnt 0xb01
	v_mul_f64_e32 v[152:153], v[138:139], v[10:11]
	v_mul_f64_e32 v[10:11], v[140:141], v[10:11]
	scratch_load_b128 v[126:129], off, off offset:240
	ds_load_b128 v[146:149], v2 offset:736
	s_wait_loadcnt_dscnt 0xb01
	v_mul_f64_e32 v[156:157], v[4:5], v[14:15]
	v_mul_f64_e32 v[14:15], v[6:7], v[14:15]
	v_add_f64_e32 v[150:151], 0, v[150:151]
	v_fmac_f64_e32 v[152:153], v[140:141], v[8:9]
	v_fma_f64 v[138:139], v[138:139], v[8:9], -v[10:11]
	v_add_f64_e32 v[140:141], 0, v[154:155]
	scratch_load_b128 v[8:11], off, off offset:256
	v_fmac_f64_e32 v[156:157], v[6:7], v[12:13]
	v_fma_f64 v[158:159], v[4:5], v[12:13], -v[14:15]
	ds_load_b128 v[4:7], v2 offset:752
	s_wait_loadcnt_dscnt 0xb01
	v_mul_f64_e32 v[154:155], v[146:147], v[18:19]
	v_mul_f64_e32 v[18:19], v[148:149], v[18:19]
	scratch_load_b128 v[12:15], off, off offset:272
	v_add_f64_e32 v[150:151], v[150:151], v[152:153]
	v_add_f64_e32 v[160:161], v[140:141], v[138:139]
	ds_load_b128 v[138:141], v2 offset:768
	s_wait_loadcnt_dscnt 0xb01
	v_mul_f64_e32 v[152:153], v[4:5], v[22:23]
	v_mul_f64_e32 v[22:23], v[6:7], v[22:23]
	v_fmac_f64_e32 v[154:155], v[148:149], v[16:17]
	v_fma_f64 v[146:147], v[146:147], v[16:17], -v[18:19]
	scratch_load_b128 v[16:19], off, off offset:288
	v_add_f64_e32 v[150:151], v[150:151], v[156:157]
	v_add_f64_e32 v[148:149], v[160:161], v[158:159]
	v_fmac_f64_e32 v[152:153], v[6:7], v[20:21]
	v_fma_f64 v[158:159], v[4:5], v[20:21], -v[22:23]
	ds_load_b128 v[4:7], v2 offset:784
	s_wait_loadcnt_dscnt 0xb01
	v_mul_f64_e32 v[156:157], v[138:139], v[108:109]
	v_mul_f64_e32 v[108:109], v[140:141], v[108:109]
	scratch_load_b128 v[20:23], off, off offset:304
	v_add_f64_e32 v[150:151], v[150:151], v[154:155]
	s_wait_loadcnt_dscnt 0xb00
	v_mul_f64_e32 v[154:155], v[4:5], v[112:113]
	v_add_f64_e32 v[160:161], v[148:149], v[146:147]
	v_mul_f64_e32 v[112:113], v[6:7], v[112:113]
	ds_load_b128 v[146:149], v2 offset:800
	v_fmac_f64_e32 v[156:157], v[140:141], v[106:107]
	v_fma_f64 v[138:139], v[138:139], v[106:107], -v[108:109]
	scratch_load_b128 v[106:109], off, off offset:320
	v_add_f64_e32 v[150:151], v[150:151], v[152:153]
	v_fmac_f64_e32 v[154:155], v[6:7], v[110:111]
	v_add_f64_e32 v[140:141], v[160:161], v[158:159]
	v_fma_f64 v[158:159], v[4:5], v[110:111], -v[112:113]
	ds_load_b128 v[4:7], v2 offset:816
	s_wait_loadcnt_dscnt 0xb01
	v_mul_f64_e32 v[152:153], v[146:147], v[116:117]
	v_mul_f64_e32 v[116:117], v[148:149], v[116:117]
	scratch_load_b128 v[110:113], off, off offset:336
	v_add_f64_e32 v[150:151], v[150:151], v[156:157]
	s_wait_loadcnt_dscnt 0xb00
	v_mul_f64_e32 v[156:157], v[4:5], v[120:121]
	v_add_f64_e32 v[160:161], v[140:141], v[138:139]
	v_mul_f64_e32 v[120:121], v[6:7], v[120:121]
	ds_load_b128 v[138:141], v2 offset:832
	v_fmac_f64_e32 v[152:153], v[148:149], v[114:115]
	v_fma_f64 v[146:147], v[146:147], v[114:115], -v[116:117]
	scratch_load_b128 v[114:117], off, off offset:352
	v_add_f64_e32 v[150:151], v[150:151], v[154:155]
	v_fmac_f64_e32 v[156:157], v[6:7], v[118:119]
	v_add_f64_e32 v[148:149], v[160:161], v[158:159]
	;; [unrolled: 18-line block ×3, first 2 shown]
	v_fma_f64 v[158:159], v[4:5], v[130:131], -v[132:133]
	ds_load_b128 v[4:7], v2 offset:880
	s_wait_loadcnt_dscnt 0xa01
	v_mul_f64_e32 v[156:157], v[146:147], v[144:145]
	v_mul_f64_e32 v[144:145], v[148:149], v[144:145]
	scratch_load_b128 v[130:133], off, off offset:400
	v_add_f64_e32 v[150:151], v[150:151], v[154:155]
	v_add_f64_e32 v[160:161], v[140:141], v[138:139]
	s_wait_loadcnt_dscnt 0xa00
	v_mul_f64_e32 v[154:155], v[4:5], v[128:129]
	v_mul_f64_e32 v[128:129], v[6:7], v[128:129]
	v_fmac_f64_e32 v[156:157], v[148:149], v[142:143]
	v_fma_f64 v[146:147], v[146:147], v[142:143], -v[144:145]
	ds_load_b128 v[138:141], v2 offset:896
	scratch_load_b128 v[142:145], off, off offset:416
	v_add_f64_e32 v[150:151], v[150:151], v[152:153]
	v_add_f64_e32 v[148:149], v[160:161], v[158:159]
	v_fmac_f64_e32 v[154:155], v[6:7], v[126:127]
	v_fma_f64 v[158:159], v[4:5], v[126:127], -v[128:129]
	ds_load_b128 v[4:7], v2 offset:912
	s_wait_loadcnt_dscnt 0xa01
	v_mul_f64_e32 v[152:153], v[138:139], v[10:11]
	v_mul_f64_e32 v[10:11], v[140:141], v[10:11]
	scratch_load_b128 v[126:129], off, off offset:432
	v_add_f64_e32 v[150:151], v[150:151], v[156:157]
	s_wait_loadcnt_dscnt 0xa00
	v_mul_f64_e32 v[156:157], v[4:5], v[14:15]
	v_add_f64_e32 v[160:161], v[148:149], v[146:147]
	v_mul_f64_e32 v[14:15], v[6:7], v[14:15]
	ds_load_b128 v[146:149], v2 offset:928
	v_fmac_f64_e32 v[152:153], v[140:141], v[8:9]
	v_fma_f64 v[138:139], v[138:139], v[8:9], -v[10:11]
	scratch_load_b128 v[8:11], off, off offset:448
	v_add_f64_e32 v[150:151], v[150:151], v[154:155]
	v_fmac_f64_e32 v[156:157], v[6:7], v[12:13]
	v_add_f64_e32 v[140:141], v[160:161], v[158:159]
	v_fma_f64 v[158:159], v[4:5], v[12:13], -v[14:15]
	ds_load_b128 v[4:7], v2 offset:944
	s_wait_loadcnt_dscnt 0xa01
	v_mul_f64_e32 v[154:155], v[146:147], v[18:19]
	v_mul_f64_e32 v[18:19], v[148:149], v[18:19]
	scratch_load_b128 v[12:15], off, off offset:464
	v_add_f64_e32 v[150:151], v[150:151], v[152:153]
	s_wait_loadcnt_dscnt 0xa00
	v_mul_f64_e32 v[152:153], v[4:5], v[22:23]
	v_add_f64_e32 v[160:161], v[140:141], v[138:139]
	v_mul_f64_e32 v[22:23], v[6:7], v[22:23]
	ds_load_b128 v[138:141], v2 offset:960
	v_fmac_f64_e32 v[154:155], v[148:149], v[16:17]
	v_fma_f64 v[146:147], v[146:147], v[16:17], -v[18:19]
	scratch_load_b128 v[16:19], off, off offset:480
	v_add_f64_e32 v[150:151], v[150:151], v[156:157]
	v_fmac_f64_e32 v[152:153], v[6:7], v[20:21]
	v_add_f64_e32 v[148:149], v[160:161], v[158:159]
	;; [unrolled: 18-line block ×6, first 2 shown]
	v_fma_f64 v[158:159], v[4:5], v[126:127], -v[128:129]
	ds_load_b128 v[4:7], v2 offset:1104
	s_wait_loadcnt_dscnt 0xa01
	v_mul_f64_e32 v[152:153], v[138:139], v[10:11]
	v_mul_f64_e32 v[10:11], v[140:141], v[10:11]
	scratch_load_b128 v[126:129], off, off offset:624
	v_add_f64_e32 v[150:151], v[150:151], v[156:157]
	s_wait_loadcnt_dscnt 0xa00
	v_mul_f64_e32 v[156:157], v[4:5], v[14:15]
	v_add_f64_e32 v[160:161], v[148:149], v[146:147]
	v_mul_f64_e32 v[14:15], v[6:7], v[14:15]
	ds_load_b128 v[146:149], v2 offset:1120
	v_fmac_f64_e32 v[152:153], v[140:141], v[8:9]
	v_fma_f64 v[8:9], v[138:139], v[8:9], -v[10:11]
	s_wait_loadcnt_dscnt 0x900
	v_mul_f64_e32 v[140:141], v[146:147], v[18:19]
	v_mul_f64_e32 v[18:19], v[148:149], v[18:19]
	v_add_f64_e32 v[138:139], v[150:151], v[154:155]
	v_fmac_f64_e32 v[156:157], v[6:7], v[12:13]
	v_add_f64_e32 v[10:11], v[160:161], v[158:159]
	v_fma_f64 v[12:13], v[4:5], v[12:13], -v[14:15]
	v_fmac_f64_e32 v[140:141], v[148:149], v[16:17]
	v_fma_f64 v[16:17], v[146:147], v[16:17], -v[18:19]
	v_add_f64_e32 v[138:139], v[138:139], v[152:153]
	v_add_f64_e32 v[14:15], v[10:11], v[8:9]
	ds_load_b128 v[4:7], v2 offset:1136
	ds_load_b128 v[8:11], v2 offset:1152
	s_wait_loadcnt_dscnt 0x801
	v_mul_f64_e32 v[150:151], v[4:5], v[22:23]
	v_mul_f64_e32 v[22:23], v[6:7], v[22:23]
	s_wait_loadcnt_dscnt 0x700
	v_mul_f64_e32 v[18:19], v[8:9], v[108:109]
	v_mul_f64_e32 v[108:109], v[10:11], v[108:109]
	v_add_f64_e32 v[12:13], v[14:15], v[12:13]
	v_add_f64_e32 v[14:15], v[138:139], v[156:157]
	v_fmac_f64_e32 v[150:151], v[6:7], v[20:21]
	v_fma_f64 v[20:21], v[4:5], v[20:21], -v[22:23]
	v_fmac_f64_e32 v[18:19], v[10:11], v[106:107]
	v_fma_f64 v[8:9], v[8:9], v[106:107], -v[108:109]
	v_add_f64_e32 v[16:17], v[12:13], v[16:17]
	v_add_f64_e32 v[22:23], v[14:15], v[140:141]
	ds_load_b128 v[4:7], v2 offset:1168
	ds_load_b128 v[12:15], v2 offset:1184
	s_wait_loadcnt_dscnt 0x601
	v_mul_f64_e32 v[138:139], v[4:5], v[112:113]
	v_mul_f64_e32 v[112:113], v[6:7], v[112:113]
	v_add_f64_e32 v[10:11], v[16:17], v[20:21]
	v_add_f64_e32 v[16:17], v[22:23], v[150:151]
	s_wait_loadcnt_dscnt 0x500
	v_mul_f64_e32 v[20:21], v[12:13], v[116:117]
	v_mul_f64_e32 v[22:23], v[14:15], v[116:117]
	v_fmac_f64_e32 v[138:139], v[6:7], v[110:111]
	v_fma_f64 v[106:107], v[4:5], v[110:111], -v[112:113]
	v_add_f64_e32 v[108:109], v[10:11], v[8:9]
	v_add_f64_e32 v[16:17], v[16:17], v[18:19]
	ds_load_b128 v[4:7], v2 offset:1200
	ds_load_b128 v[8:11], v2 offset:1216
	v_fmac_f64_e32 v[20:21], v[14:15], v[114:115]
	v_fma_f64 v[12:13], v[12:13], v[114:115], -v[22:23]
	s_wait_loadcnt_dscnt 0x401
	v_mul_f64_e32 v[18:19], v[4:5], v[120:121]
	v_mul_f64_e32 v[110:111], v[6:7], v[120:121]
	s_wait_loadcnt_dscnt 0x300
	v_mul_f64_e32 v[22:23], v[8:9], v[124:125]
	v_add_f64_e32 v[14:15], v[108:109], v[106:107]
	v_add_f64_e32 v[16:17], v[16:17], v[138:139]
	v_mul_f64_e32 v[106:107], v[10:11], v[124:125]
	v_fmac_f64_e32 v[18:19], v[6:7], v[118:119]
	v_fma_f64 v[108:109], v[4:5], v[118:119], -v[110:111]
	v_fmac_f64_e32 v[22:23], v[10:11], v[122:123]
	v_add_f64_e32 v[110:111], v[14:15], v[12:13]
	v_add_f64_e32 v[16:17], v[16:17], v[20:21]
	ds_load_b128 v[4:7], v2 offset:1232
	ds_load_b128 v[12:15], v2 offset:1248
	v_fma_f64 v[8:9], v[8:9], v[122:123], -v[106:107]
	s_wait_loadcnt_dscnt 0x201
	v_mul_f64_e32 v[20:21], v[4:5], v[132:133]
	v_mul_f64_e32 v[112:113], v[6:7], v[132:133]
	s_wait_loadcnt_dscnt 0x100
	v_mul_f64_e32 v[106:107], v[14:15], v[144:145]
	v_add_f64_e32 v[10:11], v[110:111], v[108:109]
	v_add_f64_e32 v[16:17], v[16:17], v[18:19]
	v_mul_f64_e32 v[18:19], v[12:13], v[144:145]
	v_fmac_f64_e32 v[20:21], v[6:7], v[130:131]
	v_fma_f64 v[108:109], v[4:5], v[130:131], -v[112:113]
	ds_load_b128 v[4:7], v2 offset:1264
	v_fma_f64 v[12:13], v[12:13], v[142:143], -v[106:107]
	v_add_f64_e32 v[8:9], v[10:11], v[8:9]
	v_add_f64_e32 v[10:11], v[16:17], v[22:23]
	v_fmac_f64_e32 v[18:19], v[14:15], v[142:143]
	s_wait_loadcnt_dscnt 0x0
	v_mul_f64_e32 v[16:17], v[4:5], v[128:129]
	v_mul_f64_e32 v[22:23], v[6:7], v[128:129]
	v_add_f64_e32 v[8:9], v[8:9], v[108:109]
	v_add_f64_e32 v[10:11], v[10:11], v[20:21]
	s_delay_alu instid0(VALU_DEP_4) | instskip(NEXT) | instid1(VALU_DEP_4)
	v_fmac_f64_e32 v[16:17], v[6:7], v[126:127]
	v_fma_f64 v[4:5], v[4:5], v[126:127], -v[22:23]
	s_delay_alu instid0(VALU_DEP_4) | instskip(NEXT) | instid1(VALU_DEP_4)
	v_add_f64_e32 v[6:7], v[8:9], v[12:13]
	v_add_f64_e32 v[8:9], v[10:11], v[18:19]
	s_delay_alu instid0(VALU_DEP_2) | instskip(NEXT) | instid1(VALU_DEP_2)
	v_add_f64_e32 v[4:5], v[6:7], v[4:5]
	v_add_f64_e32 v[6:7], v[8:9], v[16:17]
	s_delay_alu instid0(VALU_DEP_2) | instskip(NEXT) | instid1(VALU_DEP_2)
	v_add_f64_e64 v[4:5], v[134:135], -v[4:5]
	v_add_f64_e64 v[6:7], v[136:137], -v[6:7]
	scratch_store_b128 off, v[4:7], off offset:32
	s_wait_xcnt 0x0
	v_cmpx_lt_u32_e32 1, v1
	s_cbranch_execz .LBB103_251
; %bb.250:
	scratch_load_b128 v[6:9], off, s18
	v_dual_mov_b32 v3, v2 :: v_dual_mov_b32 v4, v2
	v_mov_b32_e32 v5, v2
	scratch_store_b128 off, v[2:5], off offset:16
	s_wait_loadcnt 0x0
	ds_store_b128 v104, v[6:9]
.LBB103_251:
	s_wait_xcnt 0x0
	s_or_b32 exec_lo, exec_lo, s2
	s_wait_storecnt_dscnt 0x0
	s_barrier_signal -1
	s_barrier_wait -1
	s_clause 0x9
	scratch_load_b128 v[4:7], off, off offset:32
	scratch_load_b128 v[8:11], off, off offset:48
	scratch_load_b128 v[12:15], off, off offset:64
	scratch_load_b128 v[16:19], off, off offset:80
	scratch_load_b128 v[20:23], off, off offset:96
	scratch_load_b128 v[106:109], off, off offset:112
	scratch_load_b128 v[110:113], off, off offset:128
	scratch_load_b128 v[114:117], off, off offset:144
	scratch_load_b128 v[118:121], off, off offset:160
	scratch_load_b128 v[122:125], off, off offset:176
	ds_load_b128 v[126:129], v2 offset:672
	ds_load_b128 v[134:137], v2 offset:688
	s_clause 0x2
	scratch_load_b128 v[130:133], off, off offset:192
	scratch_load_b128 v[138:141], off, off offset:16
	;; [unrolled: 1-line block ×3, first 2 shown]
	s_mov_b32 s2, exec_lo
	s_wait_loadcnt_dscnt 0xc01
	v_mul_f64_e32 v[146:147], v[128:129], v[6:7]
	v_mul_f64_e32 v[150:151], v[126:127], v[6:7]
	s_wait_loadcnt_dscnt 0xb00
	v_mul_f64_e32 v[152:153], v[134:135], v[10:11]
	v_mul_f64_e32 v[10:11], v[136:137], v[10:11]
	s_delay_alu instid0(VALU_DEP_4) | instskip(NEXT) | instid1(VALU_DEP_4)
	v_fma_f64 v[154:155], v[126:127], v[4:5], -v[146:147]
	v_fmac_f64_e32 v[150:151], v[128:129], v[4:5]
	ds_load_b128 v[4:7], v2 offset:704
	ds_load_b128 v[126:129], v2 offset:720
	scratch_load_b128 v[146:149], off, off offset:224
	v_fmac_f64_e32 v[152:153], v[136:137], v[8:9]
	v_fma_f64 v[134:135], v[134:135], v[8:9], -v[10:11]
	scratch_load_b128 v[8:11], off, off offset:240
	s_wait_loadcnt_dscnt 0xc01
	v_mul_f64_e32 v[156:157], v[4:5], v[14:15]
	v_mul_f64_e32 v[14:15], v[6:7], v[14:15]
	v_add_f64_e32 v[136:137], 0, v[154:155]
	v_add_f64_e32 v[150:151], 0, v[150:151]
	s_wait_loadcnt_dscnt 0xb00
	v_mul_f64_e32 v[154:155], v[126:127], v[18:19]
	v_mul_f64_e32 v[18:19], v[128:129], v[18:19]
	v_fmac_f64_e32 v[156:157], v[6:7], v[12:13]
	v_fma_f64 v[158:159], v[4:5], v[12:13], -v[14:15]
	ds_load_b128 v[4:7], v2 offset:736
	ds_load_b128 v[12:15], v2 offset:752
	v_add_f64_e32 v[160:161], v[136:137], v[134:135]
	v_add_f64_e32 v[150:151], v[150:151], v[152:153]
	scratch_load_b128 v[134:137], off, off offset:256
	v_fmac_f64_e32 v[154:155], v[128:129], v[16:17]
	v_fma_f64 v[126:127], v[126:127], v[16:17], -v[18:19]
	scratch_load_b128 v[16:19], off, off offset:272
	s_wait_loadcnt_dscnt 0xc01
	v_mul_f64_e32 v[152:153], v[4:5], v[22:23]
	v_mul_f64_e32 v[22:23], v[6:7], v[22:23]
	v_add_f64_e32 v[128:129], v[160:161], v[158:159]
	v_add_f64_e32 v[150:151], v[150:151], v[156:157]
	s_wait_loadcnt_dscnt 0xb00
	v_mul_f64_e32 v[156:157], v[12:13], v[108:109]
	v_mul_f64_e32 v[108:109], v[14:15], v[108:109]
	v_fmac_f64_e32 v[152:153], v[6:7], v[20:21]
	v_fma_f64 v[158:159], v[4:5], v[20:21], -v[22:23]
	ds_load_b128 v[4:7], v2 offset:768
	ds_load_b128 v[20:23], v2 offset:784
	v_add_f64_e32 v[160:161], v[128:129], v[126:127]
	v_add_f64_e32 v[150:151], v[150:151], v[154:155]
	scratch_load_b128 v[126:129], off, off offset:288
	s_wait_loadcnt_dscnt 0xb01
	v_mul_f64_e32 v[154:155], v[4:5], v[112:113]
	v_mul_f64_e32 v[112:113], v[6:7], v[112:113]
	v_fmac_f64_e32 v[156:157], v[14:15], v[106:107]
	v_fma_f64 v[106:107], v[12:13], v[106:107], -v[108:109]
	scratch_load_b128 v[12:15], off, off offset:304
	v_add_f64_e32 v[108:109], v[160:161], v[158:159]
	v_add_f64_e32 v[150:151], v[150:151], v[152:153]
	s_wait_loadcnt_dscnt 0xb00
	v_mul_f64_e32 v[152:153], v[20:21], v[116:117]
	v_mul_f64_e32 v[116:117], v[22:23], v[116:117]
	v_fmac_f64_e32 v[154:155], v[6:7], v[110:111]
	v_fma_f64 v[158:159], v[4:5], v[110:111], -v[112:113]
	v_add_f64_e32 v[160:161], v[108:109], v[106:107]
	v_add_f64_e32 v[150:151], v[150:151], v[156:157]
	ds_load_b128 v[4:7], v2 offset:800
	ds_load_b128 v[106:109], v2 offset:816
	scratch_load_b128 v[110:113], off, off offset:320
	v_fmac_f64_e32 v[152:153], v[22:23], v[114:115]
	v_fma_f64 v[114:115], v[20:21], v[114:115], -v[116:117]
	scratch_load_b128 v[20:23], off, off offset:336
	s_wait_loadcnt_dscnt 0xc01
	v_mul_f64_e32 v[156:157], v[4:5], v[120:121]
	v_mul_f64_e32 v[120:121], v[6:7], v[120:121]
	v_add_f64_e32 v[116:117], v[160:161], v[158:159]
	v_add_f64_e32 v[150:151], v[150:151], v[154:155]
	s_wait_loadcnt_dscnt 0xb00
	v_mul_f64_e32 v[154:155], v[106:107], v[124:125]
	v_mul_f64_e32 v[124:125], v[108:109], v[124:125]
	v_fmac_f64_e32 v[156:157], v[6:7], v[118:119]
	v_fma_f64 v[158:159], v[4:5], v[118:119], -v[120:121]
	v_add_f64_e32 v[160:161], v[116:117], v[114:115]
	v_add_f64_e32 v[150:151], v[150:151], v[152:153]
	ds_load_b128 v[4:7], v2 offset:832
	ds_load_b128 v[114:117], v2 offset:848
	scratch_load_b128 v[118:121], off, off offset:352
	v_fmac_f64_e32 v[154:155], v[108:109], v[122:123]
	v_fma_f64 v[122:123], v[106:107], v[122:123], -v[124:125]
	scratch_load_b128 v[106:109], off, off offset:368
	s_wait_loadcnt_dscnt 0xc01
	v_mul_f64_e32 v[152:153], v[4:5], v[132:133]
	v_mul_f64_e32 v[132:133], v[6:7], v[132:133]
	;; [unrolled: 18-line block ×5, first 2 shown]
	v_add_f64_e32 v[144:145], v[160:161], v[158:159]
	v_add_f64_e32 v[150:151], v[150:151], v[156:157]
	s_wait_loadcnt_dscnt 0xa00
	v_mul_f64_e32 v[156:157], v[122:123], v[14:15]
	v_mul_f64_e32 v[14:15], v[124:125], v[14:15]
	v_fmac_f64_e32 v[152:153], v[6:7], v[126:127]
	v_fma_f64 v[158:159], v[4:5], v[126:127], -v[128:129]
	ds_load_b128 v[4:7], v2 offset:960
	ds_load_b128 v[126:129], v2 offset:976
	v_add_f64_e32 v[160:161], v[144:145], v[142:143]
	v_add_f64_e32 v[150:151], v[150:151], v[154:155]
	scratch_load_b128 v[142:145], off, off offset:480
	v_fmac_f64_e32 v[156:157], v[124:125], v[12:13]
	v_fma_f64 v[122:123], v[122:123], v[12:13], -v[14:15]
	scratch_load_b128 v[12:15], off, off offset:496
	s_wait_loadcnt_dscnt 0xb01
	v_mul_f64_e32 v[154:155], v[4:5], v[112:113]
	v_mul_f64_e32 v[112:113], v[6:7], v[112:113]
	v_add_f64_e32 v[124:125], v[160:161], v[158:159]
	v_add_f64_e32 v[150:151], v[150:151], v[152:153]
	s_wait_loadcnt_dscnt 0xa00
	v_mul_f64_e32 v[152:153], v[126:127], v[22:23]
	v_mul_f64_e32 v[22:23], v[128:129], v[22:23]
	v_fmac_f64_e32 v[154:155], v[6:7], v[110:111]
	v_fma_f64 v[158:159], v[4:5], v[110:111], -v[112:113]
	ds_load_b128 v[4:7], v2 offset:992
	ds_load_b128 v[110:113], v2 offset:1008
	v_add_f64_e32 v[160:161], v[124:125], v[122:123]
	v_add_f64_e32 v[150:151], v[150:151], v[156:157]
	scratch_load_b128 v[122:125], off, off offset:512
	s_wait_loadcnt_dscnt 0xa01
	v_mul_f64_e32 v[156:157], v[4:5], v[120:121]
	v_mul_f64_e32 v[120:121], v[6:7], v[120:121]
	v_fmac_f64_e32 v[152:153], v[128:129], v[20:21]
	v_fma_f64 v[126:127], v[126:127], v[20:21], -v[22:23]
	scratch_load_b128 v[20:23], off, off offset:528
	v_add_f64_e32 v[128:129], v[160:161], v[158:159]
	v_add_f64_e32 v[150:151], v[150:151], v[154:155]
	s_wait_loadcnt_dscnt 0xa00
	v_mul_f64_e32 v[154:155], v[110:111], v[108:109]
	v_mul_f64_e32 v[108:109], v[112:113], v[108:109]
	v_fmac_f64_e32 v[156:157], v[6:7], v[118:119]
	v_fma_f64 v[158:159], v[4:5], v[118:119], -v[120:121]
	ds_load_b128 v[4:7], v2 offset:1024
	ds_load_b128 v[118:121], v2 offset:1040
	v_add_f64_e32 v[160:161], v[128:129], v[126:127]
	v_add_f64_e32 v[150:151], v[150:151], v[152:153]
	scratch_load_b128 v[126:129], off, off offset:544
	s_wait_loadcnt_dscnt 0xa01
	v_mul_f64_e32 v[152:153], v[4:5], v[132:133]
	v_mul_f64_e32 v[132:133], v[6:7], v[132:133]
	v_fmac_f64_e32 v[154:155], v[112:113], v[106:107]
	v_fma_f64 v[110:111], v[110:111], v[106:107], -v[108:109]
	scratch_load_b128 v[106:109], off, off offset:560
	v_add_f64_e32 v[112:113], v[160:161], v[158:159]
	v_add_f64_e32 v[150:151], v[150:151], v[156:157]
	s_wait_loadcnt_dscnt 0xa00
	v_mul_f64_e32 v[156:157], v[118:119], v[116:117]
	v_mul_f64_e32 v[116:117], v[120:121], v[116:117]
	v_fmac_f64_e32 v[152:153], v[6:7], v[130:131]
	v_fma_f64 v[158:159], v[4:5], v[130:131], -v[132:133]
	v_add_f64_e32 v[160:161], v[112:113], v[110:111]
	v_add_f64_e32 v[150:151], v[150:151], v[154:155]
	ds_load_b128 v[4:7], v2 offset:1056
	ds_load_b128 v[110:113], v2 offset:1072
	scratch_load_b128 v[130:133], off, off offset:576
	v_fmac_f64_e32 v[156:157], v[120:121], v[114:115]
	v_fma_f64 v[118:119], v[118:119], v[114:115], -v[116:117]
	scratch_load_b128 v[114:117], off, off offset:592
	s_wait_loadcnt_dscnt 0xb01
	v_mul_f64_e32 v[154:155], v[4:5], v[148:149]
	v_mul_f64_e32 v[148:149], v[6:7], v[148:149]
	v_add_f64_e32 v[120:121], v[160:161], v[158:159]
	v_add_f64_e32 v[150:151], v[150:151], v[152:153]
	s_wait_loadcnt_dscnt 0xa00
	v_mul_f64_e32 v[152:153], v[110:111], v[10:11]
	v_mul_f64_e32 v[10:11], v[112:113], v[10:11]
	v_fmac_f64_e32 v[154:155], v[6:7], v[146:147]
	v_fma_f64 v[158:159], v[4:5], v[146:147], -v[148:149]
	v_add_f64_e32 v[160:161], v[120:121], v[118:119]
	v_add_f64_e32 v[150:151], v[150:151], v[156:157]
	ds_load_b128 v[4:7], v2 offset:1088
	ds_load_b128 v[118:121], v2 offset:1104
	scratch_load_b128 v[146:149], off, off offset:608
	v_fmac_f64_e32 v[152:153], v[112:113], v[8:9]
	v_fma_f64 v[110:111], v[110:111], v[8:9], -v[10:11]
	scratch_load_b128 v[8:11], off, off offset:624
	s_wait_loadcnt_dscnt 0xb01
	v_mul_f64_e32 v[156:157], v[4:5], v[136:137]
	v_mul_f64_e32 v[136:137], v[6:7], v[136:137]
	v_add_f64_e32 v[112:113], v[160:161], v[158:159]
	v_add_f64_e32 v[150:151], v[150:151], v[154:155]
	s_wait_loadcnt_dscnt 0xa00
	v_mul_f64_e32 v[154:155], v[118:119], v[18:19]
	v_mul_f64_e32 v[18:19], v[120:121], v[18:19]
	v_fmac_f64_e32 v[156:157], v[6:7], v[134:135]
	v_fma_f64 v[134:135], v[4:5], v[134:135], -v[136:137]
	v_add_f64_e32 v[136:137], v[112:113], v[110:111]
	v_add_f64_e32 v[150:151], v[150:151], v[152:153]
	ds_load_b128 v[4:7], v2 offset:1120
	ds_load_b128 v[110:113], v2 offset:1136
	v_fmac_f64_e32 v[154:155], v[120:121], v[16:17]
	v_fma_f64 v[16:17], v[118:119], v[16:17], -v[18:19]
	s_wait_loadcnt_dscnt 0x901
	v_mul_f64_e32 v[152:153], v[4:5], v[144:145]
	v_mul_f64_e32 v[144:145], v[6:7], v[144:145]
	s_wait_loadcnt_dscnt 0x800
	v_mul_f64_e32 v[120:121], v[110:111], v[14:15]
	v_add_f64_e32 v[18:19], v[136:137], v[134:135]
	v_add_f64_e32 v[118:119], v[150:151], v[156:157]
	v_mul_f64_e32 v[134:135], v[112:113], v[14:15]
	v_fmac_f64_e32 v[152:153], v[6:7], v[142:143]
	v_fma_f64 v[136:137], v[4:5], v[142:143], -v[144:145]
	v_fmac_f64_e32 v[120:121], v[112:113], v[12:13]
	v_add_f64_e32 v[18:19], v[18:19], v[16:17]
	v_add_f64_e32 v[118:119], v[118:119], v[154:155]
	ds_load_b128 v[4:7], v2 offset:1152
	ds_load_b128 v[14:17], v2 offset:1168
	v_fma_f64 v[12:13], v[110:111], v[12:13], -v[134:135]
	s_wait_loadcnt_dscnt 0x701
	v_mul_f64_e32 v[142:143], v[4:5], v[124:125]
	v_mul_f64_e32 v[124:125], v[6:7], v[124:125]
	v_add_f64_e32 v[18:19], v[18:19], v[136:137]
	v_add_f64_e32 v[110:111], v[118:119], v[152:153]
	s_wait_loadcnt_dscnt 0x600
	v_mul_f64_e32 v[118:119], v[14:15], v[22:23]
	v_mul_f64_e32 v[22:23], v[16:17], v[22:23]
	v_fmac_f64_e32 v[142:143], v[6:7], v[122:123]
	v_fma_f64 v[122:123], v[4:5], v[122:123], -v[124:125]
	v_add_f64_e32 v[12:13], v[18:19], v[12:13]
	v_add_f64_e32 v[18:19], v[110:111], v[120:121]
	ds_load_b128 v[4:7], v2 offset:1184
	ds_load_b128 v[110:113], v2 offset:1200
	v_fmac_f64_e32 v[118:119], v[16:17], v[20:21]
	v_fma_f64 v[14:15], v[14:15], v[20:21], -v[22:23]
	s_wait_loadcnt_dscnt 0x501
	v_mul_f64_e32 v[120:121], v[4:5], v[128:129]
	v_mul_f64_e32 v[124:125], v[6:7], v[128:129]
	s_wait_loadcnt_dscnt 0x400
	v_mul_f64_e32 v[20:21], v[112:113], v[108:109]
	v_add_f64_e32 v[12:13], v[12:13], v[122:123]
	v_add_f64_e32 v[16:17], v[18:19], v[142:143]
	v_mul_f64_e32 v[18:19], v[110:111], v[108:109]
	v_fmac_f64_e32 v[120:121], v[6:7], v[126:127]
	v_fma_f64 v[22:23], v[4:5], v[126:127], -v[124:125]
	v_fma_f64 v[20:21], v[110:111], v[106:107], -v[20:21]
	v_add_f64_e32 v[108:109], v[12:13], v[14:15]
	v_add_f64_e32 v[16:17], v[16:17], v[118:119]
	ds_load_b128 v[4:7], v2 offset:1216
	ds_load_b128 v[12:15], v2 offset:1232
	v_fmac_f64_e32 v[18:19], v[112:113], v[106:107]
	s_wait_loadcnt_dscnt 0x301
	v_mul_f64_e32 v[118:119], v[4:5], v[132:133]
	v_mul_f64_e32 v[122:123], v[6:7], v[132:133]
	s_wait_loadcnt_dscnt 0x200
	v_mul_f64_e32 v[106:107], v[12:13], v[116:117]
	v_add_f64_e32 v[22:23], v[108:109], v[22:23]
	v_add_f64_e32 v[16:17], v[16:17], v[120:121]
	v_mul_f64_e32 v[108:109], v[14:15], v[116:117]
	v_fmac_f64_e32 v[118:119], v[6:7], v[130:131]
	v_fma_f64 v[110:111], v[4:5], v[130:131], -v[122:123]
	v_fmac_f64_e32 v[106:107], v[14:15], v[114:115]
	v_add_f64_e32 v[20:21], v[22:23], v[20:21]
	v_add_f64_e32 v[22:23], v[16:17], v[18:19]
	ds_load_b128 v[4:7], v2 offset:1248
	ds_load_b128 v[16:19], v2 offset:1264
	v_fma_f64 v[12:13], v[12:13], v[114:115], -v[108:109]
	s_wait_loadcnt_dscnt 0x101
	v_mul_f64_e32 v[2:3], v[4:5], v[148:149]
	v_mul_f64_e32 v[112:113], v[6:7], v[148:149]
	v_add_f64_e32 v[14:15], v[20:21], v[110:111]
	v_add_f64_e32 v[20:21], v[22:23], v[118:119]
	s_wait_loadcnt_dscnt 0x0
	v_mul_f64_e32 v[22:23], v[16:17], v[10:11]
	v_mul_f64_e32 v[10:11], v[18:19], v[10:11]
	v_fmac_f64_e32 v[2:3], v[6:7], v[146:147]
	v_fma_f64 v[4:5], v[4:5], v[146:147], -v[112:113]
	v_add_f64_e32 v[6:7], v[14:15], v[12:13]
	v_add_f64_e32 v[12:13], v[20:21], v[106:107]
	v_fmac_f64_e32 v[22:23], v[18:19], v[8:9]
	v_fma_f64 v[8:9], v[16:17], v[8:9], -v[10:11]
	s_delay_alu instid0(VALU_DEP_4) | instskip(NEXT) | instid1(VALU_DEP_4)
	v_add_f64_e32 v[4:5], v[6:7], v[4:5]
	v_add_f64_e32 v[2:3], v[12:13], v[2:3]
	s_delay_alu instid0(VALU_DEP_2) | instskip(NEXT) | instid1(VALU_DEP_2)
	v_add_f64_e32 v[4:5], v[4:5], v[8:9]
	v_add_f64_e32 v[6:7], v[2:3], v[22:23]
	s_delay_alu instid0(VALU_DEP_2) | instskip(NEXT) | instid1(VALU_DEP_2)
	v_add_f64_e64 v[2:3], v[138:139], -v[4:5]
	v_add_f64_e64 v[4:5], v[140:141], -v[6:7]
	scratch_store_b128 off, v[2:5], off offset:16
	s_wait_xcnt 0x0
	v_cmpx_ne_u32_e32 0, v1
	s_cbranch_execz .LBB103_253
; %bb.252:
	scratch_load_b128 v[2:5], off, off
	v_mov_b32_e32 v6, 0
	s_delay_alu instid0(VALU_DEP_1)
	v_dual_mov_b32 v7, v6 :: v_dual_mov_b32 v8, v6
	v_mov_b32_e32 v9, v6
	scratch_store_b128 off, v[6:9], off
	s_wait_loadcnt 0x0
	ds_store_b128 v104, v[2:5]
.LBB103_253:
	s_wait_xcnt 0x0
	s_or_b32 exec_lo, exec_lo, s2
	s_wait_storecnt_dscnt 0x0
	s_barrier_signal -1
	s_barrier_wait -1
	s_clause 0x9
	scratch_load_b128 v[2:5], off, off offset:16
	scratch_load_b128 v[6:9], off, off offset:32
	;; [unrolled: 1-line block ×10, first 2 shown]
	v_mov_b32_e32 v130, 0
	v_lshl_add_u64 v[54:55], v[54:55], 4, s[4:5]
	s_and_b32 vcc_lo, exec_lo, s52
	ds_load_b128 v[124:127], v130 offset:656
	s_clause 0x2
	scratch_load_b128 v[132:135], off, off offset:176
	scratch_load_b128 v[136:139], off, off
	scratch_load_b128 v[144:147], off, off offset:192
	s_wait_loadcnt_dscnt 0xc00
	v_mul_f64_e32 v[22:23], v[126:127], v[4:5]
	v_mul_f64_e32 v[128:129], v[124:125], v[4:5]
	ds_load_b128 v[140:143], v130 offset:672
	ds_load_b128 v[148:151], v130 offset:704
	v_fma_f64 v[22:23], v[124:125], v[2:3], -v[22:23]
	v_fmac_f64_e32 v[128:129], v[126:127], v[2:3]
	ds_load_b128 v[2:5], v130 offset:688
	s_wait_loadcnt_dscnt 0xb02
	v_mul_f64_e32 v[152:153], v[140:141], v[8:9]
	v_mul_f64_e32 v[8:9], v[142:143], v[8:9]
	scratch_load_b128 v[124:127], off, off offset:208
	s_wait_loadcnt_dscnt 0xb00
	v_mul_f64_e32 v[154:155], v[2:3], v[12:13]
	v_mul_f64_e32 v[12:13], v[4:5], v[12:13]
	v_add_f64_e32 v[22:23], 0, v[22:23]
	v_add_f64_e32 v[128:129], 0, v[128:129]
	v_fmac_f64_e32 v[152:153], v[142:143], v[6:7]
	v_fma_f64 v[140:141], v[140:141], v[6:7], -v[8:9]
	scratch_load_b128 v[6:9], off, off offset:224
	v_fmac_f64_e32 v[154:155], v[4:5], v[10:11]
	v_fma_f64 v[158:159], v[2:3], v[10:11], -v[12:13]
	ds_load_b128 v[2:5], v130 offset:720
	s_wait_loadcnt 0xb
	v_mul_f64_e32 v[156:157], v[148:149], v[16:17]
	v_mul_f64_e32 v[16:17], v[150:151], v[16:17]
	scratch_load_b128 v[10:13], off, off offset:240
	v_add_f64_e32 v[128:129], v[128:129], v[152:153]
	v_add_f64_e32 v[22:23], v[22:23], v[140:141]
	ds_load_b128 v[140:143], v130 offset:736
	s_wait_loadcnt_dscnt 0xb01
	v_mul_f64_e32 v[152:153], v[2:3], v[20:21]
	v_mul_f64_e32 v[20:21], v[4:5], v[20:21]
	v_fmac_f64_e32 v[156:157], v[150:151], v[14:15]
	v_fma_f64 v[148:149], v[148:149], v[14:15], -v[16:17]
	scratch_load_b128 v[14:17], off, off offset:256
	v_add_f64_e32 v[128:129], v[128:129], v[154:155]
	v_add_f64_e32 v[22:23], v[22:23], v[158:159]
	v_fmac_f64_e32 v[152:153], v[4:5], v[18:19]
	v_fma_f64 v[158:159], v[2:3], v[18:19], -v[20:21]
	ds_load_b128 v[2:5], v130 offset:752
	s_wait_loadcnt_dscnt 0xb01
	v_mul_f64_e32 v[154:155], v[140:141], v[106:107]
	v_mul_f64_e32 v[106:107], v[142:143], v[106:107]
	scratch_load_b128 v[18:21], off, off offset:272
	v_add_f64_e32 v[128:129], v[128:129], v[156:157]
	v_add_f64_e32 v[22:23], v[22:23], v[148:149]
	s_wait_loadcnt_dscnt 0xb00
	v_mul_f64_e32 v[156:157], v[2:3], v[110:111]
	v_mul_f64_e32 v[110:111], v[4:5], v[110:111]
	ds_load_b128 v[148:151], v130 offset:768
	v_fmac_f64_e32 v[154:155], v[142:143], v[104:105]
	v_fma_f64 v[140:141], v[140:141], v[104:105], -v[106:107]
	scratch_load_b128 v[104:107], off, off offset:288
	v_add_f64_e32 v[128:129], v[128:129], v[152:153]
	v_add_f64_e32 v[22:23], v[22:23], v[158:159]
	v_fmac_f64_e32 v[156:157], v[4:5], v[108:109]
	v_fma_f64 v[158:159], v[2:3], v[108:109], -v[110:111]
	ds_load_b128 v[2:5], v130 offset:784
	s_wait_loadcnt_dscnt 0xb01
	v_mul_f64_e32 v[152:153], v[148:149], v[114:115]
	v_mul_f64_e32 v[114:115], v[150:151], v[114:115]
	scratch_load_b128 v[108:111], off, off offset:304
	v_add_f64_e32 v[128:129], v[128:129], v[154:155]
	v_add_f64_e32 v[22:23], v[22:23], v[140:141]
	s_wait_loadcnt_dscnt 0xb00
	v_mul_f64_e32 v[154:155], v[2:3], v[118:119]
	v_mul_f64_e32 v[118:119], v[4:5], v[118:119]
	ds_load_b128 v[140:143], v130 offset:800
	;; [unrolled: 18-line block ×4, first 2 shown]
	v_fmac_f64_e32 v[154:155], v[150:151], v[144:145]
	v_fma_f64 v[144:145], v[148:149], v[144:145], -v[146:147]
	ds_load_b128 v[148:151], v130 offset:896
	v_add_f64_e32 v[146:147], v[128:129], v[152:153]
	v_add_f64_e32 v[22:23], v[22:23], v[158:159]
	scratch_load_b128 v[126:129], off, off offset:384
	v_fmac_f64_e32 v[156:157], v[4:5], v[124:125]
	v_fma_f64 v[124:125], v[2:3], v[124:125], -v[160:161]
	ds_load_b128 v[2:5], v130 offset:880
	s_wait_loadcnt_dscnt 0xa02
	v_mul_f64_e32 v[152:153], v[140:141], v[8:9]
	v_mul_f64_e32 v[8:9], v[142:143], v[8:9]
	s_wait_loadcnt_dscnt 0x900
	v_mul_f64_e32 v[158:159], v[2:3], v[12:13]
	v_mul_f64_e32 v[12:13], v[4:5], v[12:13]
	v_add_f64_e32 v[154:155], v[146:147], v[154:155]
	v_add_f64_e32 v[22:23], v[22:23], v[144:145]
	scratch_load_b128 v[144:147], off, off offset:400
	v_fmac_f64_e32 v[152:153], v[142:143], v[6:7]
	v_fma_f64 v[140:141], v[140:141], v[6:7], -v[8:9]
	scratch_load_b128 v[6:9], off, off offset:416
	v_fmac_f64_e32 v[158:159], v[4:5], v[10:11]
	v_add_f64_e32 v[22:23], v[22:23], v[124:125]
	v_add_f64_e32 v[124:125], v[154:155], v[156:157]
	v_fma_f64 v[156:157], v[2:3], v[10:11], -v[12:13]
	ds_load_b128 v[2:5], v130 offset:912
	s_wait_loadcnt 0xa
	v_mul_f64_e32 v[154:155], v[148:149], v[16:17]
	v_mul_f64_e32 v[16:17], v[150:151], v[16:17]
	scratch_load_b128 v[10:13], off, off offset:432
	v_add_f64_e32 v[22:23], v[22:23], v[140:141]
	v_add_f64_e32 v[124:125], v[124:125], v[152:153]
	s_wait_loadcnt_dscnt 0xa00
	v_mul_f64_e32 v[152:153], v[2:3], v[20:21]
	v_mul_f64_e32 v[20:21], v[4:5], v[20:21]
	v_fmac_f64_e32 v[154:155], v[150:151], v[14:15]
	v_fma_f64 v[148:149], v[148:149], v[14:15], -v[16:17]
	ds_load_b128 v[140:143], v130 offset:928
	scratch_load_b128 v[14:17], off, off offset:448
	v_add_f64_e32 v[22:23], v[22:23], v[156:157]
	v_add_f64_e32 v[124:125], v[124:125], v[158:159]
	v_fmac_f64_e32 v[152:153], v[4:5], v[18:19]
	v_fma_f64 v[158:159], v[2:3], v[18:19], -v[20:21]
	ds_load_b128 v[2:5], v130 offset:944
	s_wait_loadcnt_dscnt 0xa01
	v_mul_f64_e32 v[156:157], v[140:141], v[106:107]
	v_mul_f64_e32 v[106:107], v[142:143], v[106:107]
	scratch_load_b128 v[18:21], off, off offset:464
	v_add_f64_e32 v[22:23], v[22:23], v[148:149]
	v_add_f64_e32 v[124:125], v[124:125], v[154:155]
	s_wait_loadcnt_dscnt 0xa00
	v_mul_f64_e32 v[154:155], v[2:3], v[110:111]
	v_mul_f64_e32 v[110:111], v[4:5], v[110:111]
	ds_load_b128 v[148:151], v130 offset:960
	v_fmac_f64_e32 v[156:157], v[142:143], v[104:105]
	v_fma_f64 v[140:141], v[140:141], v[104:105], -v[106:107]
	scratch_load_b128 v[104:107], off, off offset:480
	v_add_f64_e32 v[22:23], v[22:23], v[158:159]
	v_add_f64_e32 v[124:125], v[124:125], v[152:153]
	v_fmac_f64_e32 v[154:155], v[4:5], v[108:109]
	v_fma_f64 v[158:159], v[2:3], v[108:109], -v[110:111]
	ds_load_b128 v[2:5], v130 offset:976
	s_wait_loadcnt_dscnt 0xa01
	v_mul_f64_e32 v[152:153], v[148:149], v[114:115]
	v_mul_f64_e32 v[114:115], v[150:151], v[114:115]
	scratch_load_b128 v[108:111], off, off offset:496
	v_add_f64_e32 v[22:23], v[22:23], v[140:141]
	v_add_f64_e32 v[124:125], v[124:125], v[156:157]
	s_wait_loadcnt_dscnt 0xa00
	v_mul_f64_e32 v[156:157], v[2:3], v[118:119]
	v_mul_f64_e32 v[118:119], v[4:5], v[118:119]
	ds_load_b128 v[140:143], v130 offset:992
	v_fmac_f64_e32 v[152:153], v[150:151], v[112:113]
	v_fma_f64 v[148:149], v[148:149], v[112:113], -v[114:115]
	scratch_load_b128 v[112:115], off, off offset:512
	v_add_f64_e32 v[22:23], v[22:23], v[158:159]
	v_add_f64_e32 v[124:125], v[124:125], v[154:155]
	v_fmac_f64_e32 v[156:157], v[4:5], v[116:117]
	v_fma_f64 v[158:159], v[2:3], v[116:117], -v[118:119]
	ds_load_b128 v[2:5], v130 offset:1008
	s_wait_loadcnt_dscnt 0xa01
	v_mul_f64_e32 v[150:151], v[140:141], v[122:123]
	v_mul_f64_e32 v[154:155], v[142:143], v[122:123]
	scratch_load_b128 v[116:119], off, off offset:528
	v_add_f64_e32 v[22:23], v[22:23], v[148:149]
	v_add_f64_e32 v[148:149], v[124:125], v[152:153]
	s_wait_loadcnt_dscnt 0xa00
	v_mul_f64_e32 v[152:153], v[2:3], v[134:135]
	v_mul_f64_e32 v[134:135], v[4:5], v[134:135]
	ds_load_b128 v[122:125], v130 offset:1024
	v_fmac_f64_e32 v[150:151], v[142:143], v[120:121]
	v_fma_f64 v[120:121], v[140:141], v[120:121], -v[154:155]
	scratch_load_b128 v[140:143], off, off offset:544
	v_add_f64_e32 v[22:23], v[22:23], v[158:159]
	v_add_f64_e32 v[148:149], v[148:149], v[156:157]
	v_fmac_f64_e32 v[152:153], v[4:5], v[132:133]
	v_fma_f64 v[156:157], v[2:3], v[132:133], -v[134:135]
	ds_load_b128 v[2:5], v130 offset:1040
	s_wait_loadcnt_dscnt 0xa01
	v_mul_f64_e32 v[154:155], v[122:123], v[128:129]
	v_mul_f64_e32 v[128:129], v[124:125], v[128:129]
	scratch_load_b128 v[132:135], off, off offset:560
	v_add_f64_e32 v[22:23], v[22:23], v[120:121]
	v_add_f64_e32 v[120:121], v[148:149], v[150:151]
	s_wait_loadcnt_dscnt 0xa00
	v_mul_f64_e32 v[158:159], v[2:3], v[146:147]
	v_mul_f64_e32 v[146:147], v[4:5], v[146:147]
	ds_load_b128 v[148:151], v130 offset:1056
	v_fmac_f64_e32 v[154:155], v[124:125], v[126:127]
	v_fma_f64 v[124:125], v[122:123], v[126:127], -v[128:129]
	v_add_f64_e32 v[22:23], v[22:23], v[156:157]
	v_add_f64_e32 v[126:127], v[120:121], v[152:153]
	scratch_load_b128 v[120:123], off, off offset:576
	v_fmac_f64_e32 v[158:159], v[4:5], v[144:145]
	v_fma_f64 v[152:153], v[2:3], v[144:145], -v[146:147]
	ds_load_b128 v[2:5], v130 offset:1072
	s_wait_loadcnt_dscnt 0xa01
	v_mul_f64_e32 v[128:129], v[148:149], v[8:9]
	v_mul_f64_e32 v[8:9], v[150:151], v[8:9]
	ds_load_b128 v[144:147], v130 offset:1088
	s_wait_loadcnt_dscnt 0x901
	v_mul_f64_e32 v[156:157], v[2:3], v[12:13]
	v_mul_f64_e32 v[12:13], v[4:5], v[12:13]
	v_add_f64_e32 v[22:23], v[22:23], v[124:125]
	v_add_f64_e32 v[154:155], v[126:127], v[154:155]
	scratch_load_b128 v[124:127], off, off offset:592
	v_fmac_f64_e32 v[128:129], v[150:151], v[6:7]
	v_fma_f64 v[148:149], v[148:149], v[6:7], -v[8:9]
	scratch_load_b128 v[6:9], off, off offset:608
	v_fmac_f64_e32 v[156:157], v[4:5], v[10:11]
	v_add_f64_e32 v[22:23], v[22:23], v[152:153]
	v_add_f64_e32 v[150:151], v[154:155], v[158:159]
	v_fma_f64 v[154:155], v[2:3], v[10:11], -v[12:13]
	ds_load_b128 v[2:5], v130 offset:1104
	s_wait_loadcnt_dscnt 0xa01
	v_mul_f64_e32 v[152:153], v[144:145], v[16:17]
	v_mul_f64_e32 v[16:17], v[146:147], v[16:17]
	scratch_load_b128 v[10:13], off, off offset:624
	s_wait_loadcnt_dscnt 0xa00
	v_mul_f64_e32 v[158:159], v[2:3], v[20:21]
	v_mul_f64_e32 v[20:21], v[4:5], v[20:21]
	v_add_f64_e32 v[22:23], v[22:23], v[148:149]
	v_add_f64_e32 v[128:129], v[150:151], v[128:129]
	ds_load_b128 v[148:151], v130 offset:1120
	v_fmac_f64_e32 v[152:153], v[146:147], v[14:15]
	v_fma_f64 v[14:15], v[144:145], v[14:15], -v[16:17]
	v_fmac_f64_e32 v[158:159], v[4:5], v[18:19]
	v_fma_f64 v[18:19], v[2:3], v[18:19], -v[20:21]
	v_add_f64_e32 v[16:17], v[22:23], v[154:155]
	v_add_f64_e32 v[22:23], v[128:129], v[156:157]
	s_wait_loadcnt_dscnt 0x900
	v_mul_f64_e32 v[128:129], v[148:149], v[106:107]
	v_mul_f64_e32 v[106:107], v[150:151], v[106:107]
	s_delay_alu instid0(VALU_DEP_4) | instskip(NEXT) | instid1(VALU_DEP_4)
	v_add_f64_e32 v[20:21], v[16:17], v[14:15]
	v_add_f64_e32 v[22:23], v[22:23], v[152:153]
	ds_load_b128 v[2:5], v130 offset:1136
	ds_load_b128 v[14:17], v130 offset:1152
	v_fmac_f64_e32 v[128:129], v[150:151], v[104:105]
	v_fma_f64 v[104:105], v[148:149], v[104:105], -v[106:107]
	s_wait_loadcnt_dscnt 0x801
	v_mul_f64_e32 v[144:145], v[2:3], v[110:111]
	v_mul_f64_e32 v[110:111], v[4:5], v[110:111]
	s_wait_loadcnt_dscnt 0x700
	v_mul_f64_e32 v[106:107], v[16:17], v[114:115]
	v_add_f64_e32 v[18:19], v[20:21], v[18:19]
	v_add_f64_e32 v[20:21], v[22:23], v[158:159]
	v_mul_f64_e32 v[22:23], v[14:15], v[114:115]
	v_fmac_f64_e32 v[144:145], v[4:5], v[108:109]
	v_fma_f64 v[108:109], v[2:3], v[108:109], -v[110:111]
	v_fma_f64 v[14:15], v[14:15], v[112:113], -v[106:107]
	v_add_f64_e32 v[104:105], v[18:19], v[104:105]
	v_add_f64_e32 v[110:111], v[20:21], v[128:129]
	ds_load_b128 v[2:5], v130 offset:1168
	ds_load_b128 v[18:21], v130 offset:1184
	v_fmac_f64_e32 v[22:23], v[16:17], v[112:113]
	v_lshl_add_u64 v[128:129], v[28:29], 4, s[4:5]
	v_lshl_add_u64 v[28:29], v[80:81], 4, s[4:5]
	s_wait_loadcnt_dscnt 0x601
	v_mul_f64_e32 v[114:115], v[2:3], v[118:119]
	v_mul_f64_e32 v[118:119], v[4:5], v[118:119]
	s_wait_loadcnt_dscnt 0x500
	v_mul_f64_e32 v[106:107], v[18:19], v[142:143]
	v_add_f64_e32 v[16:17], v[104:105], v[108:109]
	v_add_f64_e32 v[104:105], v[110:111], v[144:145]
	v_mul_f64_e32 v[108:109], v[20:21], v[142:143]
	v_fmac_f64_e32 v[114:115], v[4:5], v[116:117]
	v_fma_f64 v[110:111], v[2:3], v[116:117], -v[118:119]
	v_fmac_f64_e32 v[106:107], v[20:21], v[140:141]
	v_lshl_add_u64 v[118:119], v[34:35], 4, s[4:5]
	v_lshl_add_u64 v[34:35], v[74:75], 4, s[4:5]
	v_add_f64_e32 v[112:113], v[16:17], v[14:15]
	v_add_f64_e32 v[22:23], v[104:105], v[22:23]
	ds_load_b128 v[2:5], v130 offset:1200
	ds_load_b128 v[14:17], v130 offset:1216
	v_fma_f64 v[18:19], v[18:19], v[140:141], -v[108:109]
	s_wait_loadcnt_dscnt 0x401
	v_mul_f64_e32 v[104:105], v[2:3], v[134:135]
	v_mul_f64_e32 v[116:117], v[4:5], v[134:135]
	v_add_f64_e32 v[20:21], v[112:113], v[110:111]
	v_add_f64_e32 v[22:23], v[22:23], v[114:115]
	s_wait_loadcnt_dscnt 0x300
	v_mul_f64_e32 v[108:109], v[14:15], v[122:123]
	v_mul_f64_e32 v[110:111], v[16:17], v[122:123]
	v_lshl_add_u64 v[122:123], v[32:33], 4, s[4:5]
	v_lshl_add_u64 v[32:33], v[76:77], 4, s[4:5]
	v_fmac_f64_e32 v[104:105], v[4:5], v[132:133]
	v_fma_f64 v[112:113], v[2:3], v[132:133], -v[116:117]
	v_add_f64_e32 v[114:115], v[20:21], v[18:19]
	v_add_f64_e32 v[22:23], v[22:23], v[106:107]
	ds_load_b128 v[2:5], v130 offset:1232
	ds_load_b128 v[18:21], v130 offset:1248
	v_fmac_f64_e32 v[108:109], v[16:17], v[120:121]
	v_fma_f64 v[14:15], v[14:15], v[120:121], -v[110:111]
	v_lshl_add_u64 v[120:121], v[46:47], 4, s[4:5]
	v_lshl_add_u64 v[46:47], v[62:63], 4, s[4:5]
	s_wait_loadcnt_dscnt 0x201
	v_mul_f64_e32 v[106:107], v[2:3], v[126:127]
	v_mul_f64_e32 v[116:117], v[4:5], v[126:127]
	v_lshl_add_u64 v[126:127], v[30:31], 4, s[4:5]
	v_lshl_add_u64 v[30:31], v[78:79], 4, s[4:5]
	v_add_f64_e32 v[16:17], v[114:115], v[112:113]
	v_add_f64_e32 v[22:23], v[22:23], v[104:105]
	s_wait_loadcnt_dscnt 0x100
	v_mul_f64_e32 v[104:105], v[18:19], v[8:9]
	v_mul_f64_e32 v[8:9], v[20:21], v[8:9]
	v_lshl_add_u64 v[114:115], v[36:37], 4, s[4:5]
	v_lshl_add_u64 v[112:113], v[50:51], 4, s[4:5]
	;; [unrolled: 1-line block ×4, first 2 shown]
	v_fmac_f64_e32 v[106:107], v[4:5], v[124:125]
	v_fma_f64 v[110:111], v[2:3], v[124:125], -v[116:117]
	ds_load_b128 v[2:5], v130 offset:1264
	v_lshl_add_u64 v[124:125], v[42:43], 4, s[4:5]
	v_lshl_add_u64 v[116:117], v[48:49], 4, s[4:5]
	v_lshl_add_u64 v[48:49], v[60:61], 4, s[4:5]
	v_lshl_add_u64 v[42:43], v[66:67], 4, s[4:5]
	v_add_f64_e32 v[14:15], v[16:17], v[14:15]
	v_add_f64_e32 v[16:17], v[22:23], v[108:109]
	v_fmac_f64_e32 v[104:105], v[20:21], v[6:7]
	v_fma_f64 v[6:7], v[18:19], v[6:7], -v[8:9]
	v_lshl_add_u64 v[108:109], v[52:53], 4, s[4:5]
	v_lshl_add_u64 v[52:53], v[56:57], 4, s[4:5]
	;; [unrolled: 1-line block ×4, first 2 shown]
	s_wait_loadcnt_dscnt 0x0
	v_mul_f64_e32 v[22:23], v[2:3], v[12:13]
	v_mul_f64_e32 v[12:13], v[4:5], v[12:13]
	v_add_f64_e32 v[8:9], v[14:15], v[110:111]
	v_add_f64_e32 v[14:15], v[16:17], v[106:107]
	v_lshl_add_u64 v[110:111], v[38:39], 4, s[4:5]
	v_lshl_add_u64 v[106:107], v[40:41], 4, s[4:5]
	;; [unrolled: 1-line block ×5, first 2 shown]
	v_fmac_f64_e32 v[22:23], v[4:5], v[10:11]
	v_fma_f64 v[2:3], v[2:3], v[10:11], -v[12:13]
	v_lshl_add_u64 v[12:13], v[92:93], 4, s[4:5]
	v_lshl_add_u64 v[10:11], v[94:95], 4, s[4:5]
	v_add_f64_e32 v[4:5], v[8:9], v[6:7]
	v_add_f64_e32 v[6:7], v[14:15], v[104:105]
	v_lshl_add_u64 v[104:105], v[44:45], 4, s[4:5]
	v_lshl_add_u64 v[44:45], v[64:65], 4, s[4:5]
	;; [unrolled: 1-line block ×4, first 2 shown]
	v_add_f64_e32 v[2:3], v[4:5], v[2:3]
	v_add_f64_e32 v[4:5], v[6:7], v[22:23]
	v_lshl_add_u64 v[22:23], v[82:83], 4, s[4:5]
	v_lshl_add_u64 v[6:7], v[98:99], 4, s[4:5]
	s_delay_alu instid0(VALU_DEP_4) | instskip(NEXT) | instid1(VALU_DEP_4)
	v_add_f64_e64 v[132:133], v[136:137], -v[2:3]
	v_add_f64_e64 v[134:135], v[138:139], -v[4:5]
	v_lshl_add_u64 v[4:5], v[100:101], 4, s[4:5]
	v_lshl_add_u64 v[2:3], v[102:103], 4, s[4:5]
	scratch_store_b128 off, v[132:135], off
	s_cbranch_vccz .LBB103_332
; %bb.254:
	global_load_b32 v56, v130, s[8:9] offset:152
	s_load_b64 s[2:3], s[0:1], 0x4
	v_bfe_u32 v57, v0, 10, 10
	v_bfe_u32 v0, v0, 20, 10
	s_wait_kmcnt 0x0
	s_lshr_b32 s0, s2, 16
	s_delay_alu instid0(VALU_DEP_2) | instskip(SKIP_1) | instid1(SALU_CYCLE_1)
	v_mul_u32_u24_e32 v57, s3, v57
	s_mul_i32 s0, s0, s3
	v_mul_u32_u24_e32 v1, s0, v1
	s_delay_alu instid0(VALU_DEP_1) | instskip(NEXT) | instid1(VALU_DEP_1)
	v_add3_u32 v0, v1, v57, v0
	v_lshl_add_u32 v0, v0, 4, 0x508
	s_wait_loadcnt 0x0
	v_cmp_ne_u32_e32 vcc_lo, 39, v56
	s_cbranch_vccz .LBB103_256
; %bb.255:
	v_lshlrev_b32_e32 v1, 4, v56
	s_clause 0x1
	scratch_load_b128 v[56:59], off, s15
	scratch_load_b128 v[60:63], v1, off offset:-16
	s_wait_loadcnt 0x1
	ds_store_2addr_b64 v0, v[56:57], v[58:59] offset1:1
	s_wait_loadcnt 0x0
	s_clause 0x1
	scratch_store_b128 off, v[60:63], s15
	scratch_store_b128 v1, v[56:59], off offset:-16
.LBB103_256:
	s_wait_xcnt 0x0
	v_mov_b32_e32 v1, 0
	global_load_b32 v56, v1, s[8:9] offset:148
	s_wait_loadcnt 0x0
	v_cmp_eq_u32_e32 vcc_lo, 38, v56
	s_cbranch_vccnz .LBB103_258
; %bb.257:
	v_lshlrev_b32_e32 v56, 4, v56
	s_delay_alu instid0(VALU_DEP_1)
	v_mov_b32_e32 v64, v56
	s_clause 0x1
	scratch_load_b128 v[56:59], off, s17
	scratch_load_b128 v[60:63], v64, off offset:-16
	s_wait_loadcnt 0x1
	ds_store_2addr_b64 v0, v[56:57], v[58:59] offset1:1
	s_wait_loadcnt 0x0
	s_clause 0x1
	scratch_store_b128 off, v[60:63], s17
	scratch_store_b128 v64, v[56:59], off offset:-16
.LBB103_258:
	global_load_b32 v1, v1, s[8:9] offset:144
	s_wait_loadcnt 0x0
	v_cmp_eq_u32_e32 vcc_lo, 37, v1
	s_cbranch_vccnz .LBB103_260
; %bb.259:
	s_wait_xcnt 0x0
	v_lshlrev_b32_e32 v1, 4, v1
	s_clause 0x1
	scratch_load_b128 v[56:59], off, s19
	scratch_load_b128 v[60:63], v1, off offset:-16
	s_wait_loadcnt 0x1
	ds_store_2addr_b64 v0, v[56:57], v[58:59] offset1:1
	s_wait_loadcnt 0x0
	s_clause 0x1
	scratch_store_b128 off, v[60:63], s19
	scratch_store_b128 v1, v[56:59], off offset:-16
.LBB103_260:
	s_wait_xcnt 0x0
	v_mov_b32_e32 v1, 0
	global_load_b32 v56, v1, s[8:9] offset:140
	s_wait_loadcnt 0x0
	v_cmp_eq_u32_e32 vcc_lo, 36, v56
	s_cbranch_vccnz .LBB103_262
; %bb.261:
	v_lshlrev_b32_e32 v56, 4, v56
	s_delay_alu instid0(VALU_DEP_1)
	v_mov_b32_e32 v64, v56
	s_clause 0x1
	scratch_load_b128 v[56:59], off, s20
	scratch_load_b128 v[60:63], v64, off offset:-16
	s_wait_loadcnt 0x1
	ds_store_2addr_b64 v0, v[56:57], v[58:59] offset1:1
	s_wait_loadcnt 0x0
	s_clause 0x1
	scratch_store_b128 off, v[60:63], s20
	scratch_store_b128 v64, v[56:59], off offset:-16
.LBB103_262:
	global_load_b32 v1, v1, s[8:9] offset:136
	s_wait_loadcnt 0x0
	v_cmp_eq_u32_e32 vcc_lo, 35, v1
	s_cbranch_vccnz .LBB103_264
; %bb.263:
	s_wait_xcnt 0x0
	v_lshlrev_b32_e32 v1, 4, v1
	s_clause 0x1
	scratch_load_b128 v[56:59], off, s21
	scratch_load_b128 v[60:63], v1, off offset:-16
	s_wait_loadcnt 0x1
	ds_store_2addr_b64 v0, v[56:57], v[58:59] offset1:1
	s_wait_loadcnt 0x0
	s_clause 0x1
	scratch_store_b128 off, v[60:63], s21
	scratch_store_b128 v1, v[56:59], off offset:-16
.LBB103_264:
	;; [unrolled: 37-line block ×18, first 2 shown]
	s_wait_xcnt 0x0
	v_mov_b32_e32 v1, 0
	global_load_b32 v56, v1, s[8:9] offset:4
	s_wait_loadcnt 0x0
	v_cmp_eq_u32_e32 vcc_lo, 2, v56
	s_cbranch_vccnz .LBB103_330
; %bb.329:
	v_lshlrev_b32_e32 v56, 4, v56
	s_delay_alu instid0(VALU_DEP_1)
	v_mov_b32_e32 v64, v56
	s_clause 0x1
	scratch_load_b128 v[56:59], off, s18
	scratch_load_b128 v[60:63], v64, off offset:-16
	s_wait_loadcnt 0x1
	ds_store_2addr_b64 v0, v[56:57], v[58:59] offset1:1
	s_wait_loadcnt 0x0
	s_clause 0x1
	scratch_store_b128 off, v[60:63], s18
	scratch_store_b128 v64, v[56:59], off offset:-16
.LBB103_330:
	global_load_b32 v1, v1, s[8:9]
	s_wait_loadcnt 0x0
	v_cmp_eq_u32_e32 vcc_lo, 1, v1
	s_cbranch_vccnz .LBB103_332
; %bb.331:
	s_wait_xcnt 0x0
	v_lshlrev_b32_e32 v1, 4, v1
	scratch_load_b128 v[56:59], off, off
	scratch_load_b128 v[60:63], v1, off offset:-16
	s_wait_loadcnt 0x1
	ds_store_2addr_b64 v0, v[56:57], v[58:59] offset1:1
	s_wait_loadcnt 0x0
	scratch_store_b128 off, v[60:63], off
	scratch_store_b128 v1, v[56:59], off offset:-16
.LBB103_332:
	scratch_load_b128 v[56:59], off, off
	s_wait_loadcnt 0x0
	flat_store_b128 v[24:25], v[56:59]
	scratch_load_b128 v[56:59], off, s18
	s_wait_loadcnt 0x0
	flat_store_b128 v[26:27], v[56:59]
	scratch_load_b128 v[24:27], off, s16
	;; [unrolled: 3-line block ×39, first 2 shown]
	s_wait_loadcnt 0x0
	flat_store_b128 v[2:3], v[4:7]
	s_sendmsg sendmsg(MSG_DEALLOC_VGPRS)
	s_endpgm
	.section	.rodata,"a",@progbits
	.p2align	6, 0x0
	.amdhsa_kernel _ZN9rocsolver6v33100L18getri_kernel_smallILi40E19rocblas_complex_numIdEPKPS3_EEvT1_iilPiilS8_bb
		.amdhsa_group_segment_fixed_size 2312
		.amdhsa_private_segment_fixed_size 656
		.amdhsa_kernarg_size 60
		.amdhsa_user_sgpr_count 4
		.amdhsa_user_sgpr_dispatch_ptr 1
		.amdhsa_user_sgpr_queue_ptr 0
		.amdhsa_user_sgpr_kernarg_segment_ptr 1
		.amdhsa_user_sgpr_dispatch_id 0
		.amdhsa_user_sgpr_kernarg_preload_length 0
		.amdhsa_user_sgpr_kernarg_preload_offset 0
		.amdhsa_user_sgpr_private_segment_size 0
		.amdhsa_wavefront_size32 1
		.amdhsa_uses_dynamic_stack 0
		.amdhsa_enable_private_segment 1
		.amdhsa_system_sgpr_workgroup_id_x 1
		.amdhsa_system_sgpr_workgroup_id_y 0
		.amdhsa_system_sgpr_workgroup_id_z 0
		.amdhsa_system_sgpr_workgroup_info 0
		.amdhsa_system_vgpr_workitem_id 2
		.amdhsa_next_free_vgpr 162
		.amdhsa_next_free_sgpr 70
		.amdhsa_named_barrier_count 0
		.amdhsa_reserve_vcc 1
		.amdhsa_float_round_mode_32 0
		.amdhsa_float_round_mode_16_64 0
		.amdhsa_float_denorm_mode_32 3
		.amdhsa_float_denorm_mode_16_64 3
		.amdhsa_fp16_overflow 0
		.amdhsa_memory_ordered 1
		.amdhsa_forward_progress 1
		.amdhsa_inst_pref_size 255
		.amdhsa_round_robin_scheduling 0
		.amdhsa_exception_fp_ieee_invalid_op 0
		.amdhsa_exception_fp_denorm_src 0
		.amdhsa_exception_fp_ieee_div_zero 0
		.amdhsa_exception_fp_ieee_overflow 0
		.amdhsa_exception_fp_ieee_underflow 0
		.amdhsa_exception_fp_ieee_inexact 0
		.amdhsa_exception_int_div_zero 0
	.end_amdhsa_kernel
	.section	.text._ZN9rocsolver6v33100L18getri_kernel_smallILi40E19rocblas_complex_numIdEPKPS3_EEvT1_iilPiilS8_bb,"axG",@progbits,_ZN9rocsolver6v33100L18getri_kernel_smallILi40E19rocblas_complex_numIdEPKPS3_EEvT1_iilPiilS8_bb,comdat
.Lfunc_end103:
	.size	_ZN9rocsolver6v33100L18getri_kernel_smallILi40E19rocblas_complex_numIdEPKPS3_EEvT1_iilPiilS8_bb, .Lfunc_end103-_ZN9rocsolver6v33100L18getri_kernel_smallILi40E19rocblas_complex_numIdEPKPS3_EEvT1_iilPiilS8_bb
                                        ; -- End function
	.set _ZN9rocsolver6v33100L18getri_kernel_smallILi40E19rocblas_complex_numIdEPKPS3_EEvT1_iilPiilS8_bb.num_vgpr, 162
	.set _ZN9rocsolver6v33100L18getri_kernel_smallILi40E19rocblas_complex_numIdEPKPS3_EEvT1_iilPiilS8_bb.num_agpr, 0
	.set _ZN9rocsolver6v33100L18getri_kernel_smallILi40E19rocblas_complex_numIdEPKPS3_EEvT1_iilPiilS8_bb.numbered_sgpr, 70
	.set _ZN9rocsolver6v33100L18getri_kernel_smallILi40E19rocblas_complex_numIdEPKPS3_EEvT1_iilPiilS8_bb.num_named_barrier, 0
	.set _ZN9rocsolver6v33100L18getri_kernel_smallILi40E19rocblas_complex_numIdEPKPS3_EEvT1_iilPiilS8_bb.private_seg_size, 656
	.set _ZN9rocsolver6v33100L18getri_kernel_smallILi40E19rocblas_complex_numIdEPKPS3_EEvT1_iilPiilS8_bb.uses_vcc, 1
	.set _ZN9rocsolver6v33100L18getri_kernel_smallILi40E19rocblas_complex_numIdEPKPS3_EEvT1_iilPiilS8_bb.uses_flat_scratch, 1
	.set _ZN9rocsolver6v33100L18getri_kernel_smallILi40E19rocblas_complex_numIdEPKPS3_EEvT1_iilPiilS8_bb.has_dyn_sized_stack, 0
	.set _ZN9rocsolver6v33100L18getri_kernel_smallILi40E19rocblas_complex_numIdEPKPS3_EEvT1_iilPiilS8_bb.has_recursion, 0
	.set _ZN9rocsolver6v33100L18getri_kernel_smallILi40E19rocblas_complex_numIdEPKPS3_EEvT1_iilPiilS8_bb.has_indirect_call, 0
	.section	.AMDGPU.csdata,"",@progbits
; Kernel info:
; codeLenInByte = 65540
; TotalNumSgprs: 72
; NumVgprs: 162
; ScratchSize: 656
; MemoryBound: 0
; FloatMode: 240
; IeeeMode: 1
; LDSByteSize: 2312 bytes/workgroup (compile time only)
; SGPRBlocks: 0
; VGPRBlocks: 10
; NumSGPRsForWavesPerEU: 72
; NumVGPRsForWavesPerEU: 162
; NamedBarCnt: 0
; Occupancy: 5
; WaveLimiterHint : 1
; COMPUTE_PGM_RSRC2:SCRATCH_EN: 1
; COMPUTE_PGM_RSRC2:USER_SGPR: 4
; COMPUTE_PGM_RSRC2:TRAP_HANDLER: 0
; COMPUTE_PGM_RSRC2:TGID_X_EN: 1
; COMPUTE_PGM_RSRC2:TGID_Y_EN: 0
; COMPUTE_PGM_RSRC2:TGID_Z_EN: 0
; COMPUTE_PGM_RSRC2:TIDIG_COMP_CNT: 2
	.section	.text._ZN9rocsolver6v33100L18getri_kernel_smallILi41E19rocblas_complex_numIdEPKPS3_EEvT1_iilPiilS8_bb,"axG",@progbits,_ZN9rocsolver6v33100L18getri_kernel_smallILi41E19rocblas_complex_numIdEPKPS3_EEvT1_iilPiilS8_bb,comdat
	.globl	_ZN9rocsolver6v33100L18getri_kernel_smallILi41E19rocblas_complex_numIdEPKPS3_EEvT1_iilPiilS8_bb ; -- Begin function _ZN9rocsolver6v33100L18getri_kernel_smallILi41E19rocblas_complex_numIdEPKPS3_EEvT1_iilPiilS8_bb
	.p2align	8
	.type	_ZN9rocsolver6v33100L18getri_kernel_smallILi41E19rocblas_complex_numIdEPKPS3_EEvT1_iilPiilS8_bb,@function
_ZN9rocsolver6v33100L18getri_kernel_smallILi41E19rocblas_complex_numIdEPKPS3_EEvT1_iilPiilS8_bb: ; @_ZN9rocsolver6v33100L18getri_kernel_smallILi41E19rocblas_complex_numIdEPKPS3_EEvT1_iilPiilS8_bb
; %bb.0:
	v_and_b32_e32 v1, 0x3ff, v0
	s_mov_b32 s4, exec_lo
	s_delay_alu instid0(VALU_DEP_1)
	v_cmpx_gt_u32_e32 41, v1
	s_cbranch_execz .LBB104_178
; %bb.1:
	s_clause 0x1
	s_load_b32 s16, s[2:3], 0x38
	s_load_b64 s[8:9], s[2:3], 0x0
	s_getreg_b32 s6, hwreg(HW_REG_IB_STS2, 6, 4)
	s_wait_kmcnt 0x0
	s_bitcmp1_b32 s16, 8
	s_cselect_b32 s53, -1, 0
	s_bfe_u32 s4, ttmp6, 0x4000c
	s_and_b32 s5, ttmp6, 15
	s_add_co_i32 s4, s4, 1
	s_delay_alu instid0(SALU_CYCLE_1) | instskip(NEXT) | instid1(SALU_CYCLE_1)
	s_mul_i32 s4, ttmp9, s4
	s_add_co_i32 s5, s5, s4
	s_cmp_eq_u32 s6, 0
	s_cselect_b32 s10, ttmp9, s5
	s_load_b128 s[4:7], s[2:3], 0x28
	s_ashr_i32 s11, s10, 31
	s_delay_alu instid0(SALU_CYCLE_1) | instskip(NEXT) | instid1(SALU_CYCLE_1)
	s_lshl_b64 s[12:13], s[10:11], 3
	s_add_nc_u64 s[8:9], s[8:9], s[12:13]
	s_load_b64 s[14:15], s[8:9], 0x0
	s_wait_xcnt 0x0
	s_bfe_u32 s8, s16, 0x10008
	s_delay_alu instid0(SALU_CYCLE_1)
	s_cmp_eq_u32 s8, 0
                                        ; implicit-def: $sgpr8_sgpr9
	s_cbranch_scc1 .LBB104_3
; %bb.2:
	s_load_b96 s[16:18], s[2:3], 0x18
	s_wait_kmcnt 0x0
	s_mul_u64 s[4:5], s[4:5], s[10:11]
	s_delay_alu instid0(SALU_CYCLE_1) | instskip(SKIP_4) | instid1(SALU_CYCLE_1)
	s_lshl_b64 s[4:5], s[4:5], 2
	s_ashr_i32 s9, s18, 31
	s_mov_b32 s8, s18
	s_add_nc_u64 s[4:5], s[16:17], s[4:5]
	s_lshl_b64 s[8:9], s[8:9], 2
	s_add_nc_u64 s[8:9], s[4:5], s[8:9]
.LBB104_3:
	s_clause 0x1
	s_load_b64 s[12:13], s[2:3], 0x8
	s_load_b32 s54, s[2:3], 0x38
	v_dual_mov_b32 v15, 0 :: v_dual_lshlrev_b32 v14, 4, v1
	s_movk_i32 s55, 0x180
	s_movk_i32 s56, 0x190
	;; [unrolled: 1-line block ×16, first 2 shown]
	s_wait_kmcnt 0x0
	s_ashr_i32 s3, s12, 31
	s_mov_b32 s2, s12
	v_add3_u32 v28, s13, s13, v1
	s_lshl_b64 s[2:3], s[2:3], 4
	s_movk_i32 s71, 0x280
	s_add_nc_u64 s[4:5], s[14:15], s[2:3]
	s_ashr_i32 s3, s13, 31
	flat_load_b128 v[2:5], v1, s[4:5] scale_offset
	v_add_nc_u64_e32 v[24:25], s[4:5], v[14:15]
	s_mov_b32 s2, s13
	v_add_nc_u32_e32 v30, s13, v28
	s_mov_b32 s18, 16
	s_mov_b32 s16, 32
	;; [unrolled: 1-line block ×4, first 2 shown]
	v_lshl_add_u64 v[26:27], s[2:3], 4, v[24:25]
	v_add_nc_u32_e32 v32, s13, v30
	s_movk_i32 s52, 0x50
	s_movk_i32 s51, 0x60
	s_movk_i32 s50, 0x70
	s_movk_i32 s49, 0x80
	v_add_nc_u32_e32 v34, s13, v32
	s_movk_i32 s48, 0x90
	s_movk_i32 s47, 0xa0
	s_movk_i32 s46, 0xb0
	s_movk_i32 s45, 0xc0
	;; [unrolled: 5-line block ×4, first 2 shown]
	v_add_nc_u32_e32 v40, s13, v38
	s_movk_i32 s36, 0x150
	s_movk_i32 s35, 0x160
	;; [unrolled: 1-line block ×3, first 2 shown]
	s_mov_b32 s33, s55
	v_add_nc_u32_e32 v42, s13, v40
	s_mov_b32 s31, s56
	s_mov_b32 s30, s57
	s_mov_b32 s29, s58
	s_mov_b32 s28, s59
	v_add_nc_u32_e32 v46, s13, v42
	s_mov_b32 s27, s60
	s_mov_b32 s26, s61
	s_mov_b32 s25, s62
	;; [unrolled: 5-line block ×4, first 2 shown]
	s_bitcmp0_b32 s54, 0
	v_add_nc_u32_e32 v50, s13, v48
	s_mov_b32 s3, -1
	s_delay_alu instid0(VALU_DEP_1) | instskip(NEXT) | instid1(VALU_DEP_1)
	v_add_nc_u32_e32 v52, s13, v50
	v_add_nc_u32_e32 v54, s13, v52
	s_delay_alu instid0(VALU_DEP_1) | instskip(NEXT) | instid1(VALU_DEP_1)
	v_add_nc_u32_e32 v56, s13, v54
	v_add_nc_u32_e32 v58, s13, v56
	s_delay_alu instid0(VALU_DEP_1) | instskip(NEXT) | instid1(VALU_DEP_1)
	v_add_nc_u32_e32 v60, s13, v58
	v_add_nc_u32_e32 v62, s13, v60
	s_delay_alu instid0(VALU_DEP_1) | instskip(NEXT) | instid1(VALU_DEP_1)
	v_add_nc_u32_e32 v64, s13, v62
	v_add_nc_u32_e32 v66, s13, v64
	s_delay_alu instid0(VALU_DEP_1) | instskip(NEXT) | instid1(VALU_DEP_1)
	v_add_nc_u32_e32 v68, s13, v66
	v_add_nc_u32_e32 v70, s13, v68
	s_delay_alu instid0(VALU_DEP_1) | instskip(NEXT) | instid1(VALU_DEP_1)
	v_add_nc_u32_e32 v72, s13, v70
	v_add_nc_u32_e32 v74, s13, v72
	s_delay_alu instid0(VALU_DEP_1) | instskip(NEXT) | instid1(VALU_DEP_1)
	v_add_nc_u32_e32 v76, s13, v74
	v_add_nc_u32_e32 v78, s13, v76
	s_delay_alu instid0(VALU_DEP_1) | instskip(NEXT) | instid1(VALU_DEP_1)
	v_add_nc_u32_e32 v80, s13, v78
	v_add_nc_u32_e32 v82, s13, v80
	s_delay_alu instid0(VALU_DEP_1) | instskip(NEXT) | instid1(VALU_DEP_1)
	v_add_nc_u32_e32 v84, s13, v82
	v_add_nc_u32_e32 v86, s13, v84
	s_delay_alu instid0(VALU_DEP_1) | instskip(NEXT) | instid1(VALU_DEP_1)
	v_add_nc_u32_e32 v88, s13, v86
	v_add_nc_u32_e32 v90, s13, v88
	s_delay_alu instid0(VALU_DEP_1) | instskip(NEXT) | instid1(VALU_DEP_1)
	v_add_nc_u32_e32 v92, s13, v90
	v_add_nc_u32_e32 v94, s13, v92
	s_delay_alu instid0(VALU_DEP_1) | instskip(NEXT) | instid1(VALU_DEP_1)
	v_add_nc_u32_e32 v96, s13, v94
	v_add_nc_u32_e32 v98, s13, v96
	s_delay_alu instid0(VALU_DEP_1) | instskip(NEXT) | instid1(VALU_DEP_1)
	v_add_nc_u32_e32 v100, s13, v98
	v_add_nc_u32_e32 v102, s13, v100
	s_delay_alu instid0(VALU_DEP_1)
	v_add_nc_u32_e32 v104, s13, v102
	s_mov_b32 s13, s71
	s_wait_loadcnt_dscnt 0x0
	scratch_store_b128 off, v[2:5], off
	flat_load_b128 v[2:5], v[26:27]
	s_wait_loadcnt_dscnt 0x0
	scratch_store_b128 off, v[2:5], off offset:16
	flat_load_b128 v[2:5], v28, s[4:5] scale_offset
	s_wait_loadcnt_dscnt 0x0
	scratch_store_b128 off, v[2:5], off offset:32
	flat_load_b128 v[2:5], v30, s[4:5] scale_offset
	;; [unrolled: 3-line block ×39, first 2 shown]
	s_wait_loadcnt_dscnt 0x0
	scratch_store_b128 off, v[2:5], off offset:640
	s_cbranch_scc1 .LBB104_176
; %bb.4:
	v_cmp_eq_u32_e64 s2, 0, v1
	s_wait_xcnt 0x0
	s_and_saveexec_b32 s3, s2
; %bb.5:
	v_mov_b32_e32 v2, 0
	ds_store_b32 v2, v2 offset:1312
; %bb.6:
	s_or_b32 exec_lo, exec_lo, s3
	s_wait_storecnt_dscnt 0x0
	s_barrier_signal -1
	s_barrier_wait -1
	scratch_load_b128 v[2:5], v1, off scale_offset
	s_wait_loadcnt 0x0
	v_cmp_eq_f64_e32 vcc_lo, 0, v[2:3]
	v_cmp_eq_f64_e64 s3, 0, v[4:5]
	s_and_b32 s3, vcc_lo, s3
	s_delay_alu instid0(SALU_CYCLE_1)
	s_and_saveexec_b32 s54, s3
	s_cbranch_execz .LBB104_10
; %bb.7:
	v_mov_b32_e32 v2, 0
	s_mov_b32 s55, 0
	ds_load_b32 v3, v2 offset:1312
	s_wait_dscnt 0x0
	v_readfirstlane_b32 s3, v3
	v_add_nc_u32_e32 v3, 1, v1
	s_cmp_eq_u32 s3, 0
	s_delay_alu instid0(VALU_DEP_1) | instskip(SKIP_1) | instid1(SALU_CYCLE_1)
	v_cmp_gt_i32_e32 vcc_lo, s3, v3
	s_cselect_b32 s56, -1, 0
	s_or_b32 s56, s56, vcc_lo
	s_delay_alu instid0(SALU_CYCLE_1)
	s_and_b32 exec_lo, exec_lo, s56
	s_cbranch_execz .LBB104_10
; %bb.8:
	v_mov_b32_e32 v4, s3
.LBB104_9:                              ; =>This Inner Loop Header: Depth=1
	ds_cmpstore_rtn_b32 v4, v2, v3, v4 offset:1312
	s_wait_dscnt 0x0
	v_cmp_ne_u32_e32 vcc_lo, 0, v4
	v_cmp_le_i32_e64 s3, v4, v3
	s_and_b32 s3, vcc_lo, s3
	s_delay_alu instid0(SALU_CYCLE_1) | instskip(NEXT) | instid1(SALU_CYCLE_1)
	s_and_b32 s3, exec_lo, s3
	s_or_b32 s55, s3, s55
	s_delay_alu instid0(SALU_CYCLE_1)
	s_and_not1_b32 exec_lo, exec_lo, s55
	s_cbranch_execnz .LBB104_9
.LBB104_10:
	s_or_b32 exec_lo, exec_lo, s54
	v_mov_b32_e32 v2, 0
	s_barrier_signal -1
	s_barrier_wait -1
	ds_load_b32 v3, v2 offset:1312
	s_and_saveexec_b32 s3, s2
	s_cbranch_execz .LBB104_12
; %bb.11:
	s_lshl_b64 s[54:55], s[10:11], 2
	s_delay_alu instid0(SALU_CYCLE_1)
	s_add_nc_u64 s[54:55], s[6:7], s[54:55]
	s_wait_dscnt 0x0
	global_store_b32 v2, v3, s[54:55]
.LBB104_12:
	s_wait_xcnt 0x0
	s_or_b32 exec_lo, exec_lo, s3
	s_wait_dscnt 0x0
	v_cmp_ne_u32_e32 vcc_lo, 0, v3
	s_mov_b32 s3, 0
	s_cbranch_vccnz .LBB104_176
; %bb.13:
	v_lshl_add_u32 v15, v1, 4, 0
                                        ; implicit-def: $vgpr6_vgpr7
                                        ; implicit-def: $vgpr10_vgpr11
	scratch_load_b128 v[2:5], v15, off
	s_wait_loadcnt 0x0
	v_cmp_ngt_f64_e64 s3, |v[2:3]|, |v[4:5]|
	s_wait_xcnt 0x0
	s_and_saveexec_b32 s54, s3
	s_delay_alu instid0(SALU_CYCLE_1)
	s_xor_b32 s3, exec_lo, s54
	s_cbranch_execz .LBB104_15
; %bb.14:
	v_div_scale_f64 v[6:7], null, v[4:5], v[4:5], v[2:3]
	v_div_scale_f64 v[12:13], vcc_lo, v[2:3], v[4:5], v[2:3]
	s_delay_alu instid0(VALU_DEP_2) | instskip(SKIP_1) | instid1(TRANS32_DEP_1)
	v_rcp_f64_e32 v[8:9], v[6:7]
	v_nop
	v_fma_f64 v[10:11], -v[6:7], v[8:9], 1.0
	s_delay_alu instid0(VALU_DEP_1) | instskip(NEXT) | instid1(VALU_DEP_1)
	v_fmac_f64_e32 v[8:9], v[8:9], v[10:11]
	v_fma_f64 v[10:11], -v[6:7], v[8:9], 1.0
	s_delay_alu instid0(VALU_DEP_1) | instskip(NEXT) | instid1(VALU_DEP_1)
	v_fmac_f64_e32 v[8:9], v[8:9], v[10:11]
	v_mul_f64_e32 v[10:11], v[12:13], v[8:9]
	s_delay_alu instid0(VALU_DEP_1) | instskip(NEXT) | instid1(VALU_DEP_1)
	v_fma_f64 v[6:7], -v[6:7], v[10:11], v[12:13]
	v_div_fmas_f64 v[6:7], v[6:7], v[8:9], v[10:11]
	s_delay_alu instid0(VALU_DEP_1) | instskip(NEXT) | instid1(VALU_DEP_1)
	v_div_fixup_f64 v[6:7], v[6:7], v[4:5], v[2:3]
	v_fmac_f64_e32 v[4:5], v[2:3], v[6:7]
	s_delay_alu instid0(VALU_DEP_1) | instskip(SKIP_1) | instid1(VALU_DEP_2)
	v_div_scale_f64 v[2:3], null, v[4:5], v[4:5], 1.0
	v_div_scale_f64 v[12:13], vcc_lo, 1.0, v[4:5], 1.0
	v_rcp_f64_e32 v[8:9], v[2:3]
	v_nop
	s_delay_alu instid0(TRANS32_DEP_1) | instskip(NEXT) | instid1(VALU_DEP_1)
	v_fma_f64 v[10:11], -v[2:3], v[8:9], 1.0
	v_fmac_f64_e32 v[8:9], v[8:9], v[10:11]
	s_delay_alu instid0(VALU_DEP_1) | instskip(NEXT) | instid1(VALU_DEP_1)
	v_fma_f64 v[10:11], -v[2:3], v[8:9], 1.0
	v_fmac_f64_e32 v[8:9], v[8:9], v[10:11]
	s_delay_alu instid0(VALU_DEP_1) | instskip(NEXT) | instid1(VALU_DEP_1)
	v_mul_f64_e32 v[10:11], v[12:13], v[8:9]
	v_fma_f64 v[2:3], -v[2:3], v[10:11], v[12:13]
	s_delay_alu instid0(VALU_DEP_1) | instskip(NEXT) | instid1(VALU_DEP_1)
	v_div_fmas_f64 v[2:3], v[2:3], v[8:9], v[10:11]
	v_div_fixup_f64 v[8:9], v[2:3], v[4:5], 1.0
                                        ; implicit-def: $vgpr2_vgpr3
	s_delay_alu instid0(VALU_DEP_1) | instskip(SKIP_1) | instid1(VALU_DEP_2)
	v_mul_f64_e32 v[6:7], v[6:7], v[8:9]
	v_xor_b32_e32 v9, 0x80000000, v9
	v_xor_b32_e32 v11, 0x80000000, v7
	s_delay_alu instid0(VALU_DEP_3)
	v_mov_b32_e32 v10, v6
.LBB104_15:
	s_and_not1_saveexec_b32 s3, s3
	s_cbranch_execz .LBB104_17
; %bb.16:
	v_div_scale_f64 v[6:7], null, v[2:3], v[2:3], v[4:5]
	v_div_scale_f64 v[12:13], vcc_lo, v[4:5], v[2:3], v[4:5]
	s_delay_alu instid0(VALU_DEP_2) | instskip(SKIP_1) | instid1(TRANS32_DEP_1)
	v_rcp_f64_e32 v[8:9], v[6:7]
	v_nop
	v_fma_f64 v[10:11], -v[6:7], v[8:9], 1.0
	s_delay_alu instid0(VALU_DEP_1) | instskip(NEXT) | instid1(VALU_DEP_1)
	v_fmac_f64_e32 v[8:9], v[8:9], v[10:11]
	v_fma_f64 v[10:11], -v[6:7], v[8:9], 1.0
	s_delay_alu instid0(VALU_DEP_1) | instskip(NEXT) | instid1(VALU_DEP_1)
	v_fmac_f64_e32 v[8:9], v[8:9], v[10:11]
	v_mul_f64_e32 v[10:11], v[12:13], v[8:9]
	s_delay_alu instid0(VALU_DEP_1) | instskip(NEXT) | instid1(VALU_DEP_1)
	v_fma_f64 v[6:7], -v[6:7], v[10:11], v[12:13]
	v_div_fmas_f64 v[6:7], v[6:7], v[8:9], v[10:11]
	s_delay_alu instid0(VALU_DEP_1) | instskip(NEXT) | instid1(VALU_DEP_1)
	v_div_fixup_f64 v[8:9], v[6:7], v[2:3], v[4:5]
	v_fmac_f64_e32 v[2:3], v[4:5], v[8:9]
	s_delay_alu instid0(VALU_DEP_1) | instskip(NEXT) | instid1(VALU_DEP_1)
	v_div_scale_f64 v[4:5], null, v[2:3], v[2:3], 1.0
	v_rcp_f64_e32 v[6:7], v[4:5]
	v_nop
	s_delay_alu instid0(TRANS32_DEP_1) | instskip(NEXT) | instid1(VALU_DEP_1)
	v_fma_f64 v[10:11], -v[4:5], v[6:7], 1.0
	v_fmac_f64_e32 v[6:7], v[6:7], v[10:11]
	s_delay_alu instid0(VALU_DEP_1) | instskip(NEXT) | instid1(VALU_DEP_1)
	v_fma_f64 v[10:11], -v[4:5], v[6:7], 1.0
	v_fmac_f64_e32 v[6:7], v[6:7], v[10:11]
	v_div_scale_f64 v[10:11], vcc_lo, 1.0, v[2:3], 1.0
	s_delay_alu instid0(VALU_DEP_1) | instskip(NEXT) | instid1(VALU_DEP_1)
	v_mul_f64_e32 v[12:13], v[10:11], v[6:7]
	v_fma_f64 v[4:5], -v[4:5], v[12:13], v[10:11]
	s_delay_alu instid0(VALU_DEP_1) | instskip(NEXT) | instid1(VALU_DEP_1)
	v_div_fmas_f64 v[4:5], v[4:5], v[6:7], v[12:13]
	v_div_fixup_f64 v[6:7], v[4:5], v[2:3], 1.0
	s_delay_alu instid0(VALU_DEP_1)
	v_mul_f64_e64 v[8:9], v[8:9], -v[6:7]
	v_xor_b32_e32 v11, 0x80000000, v7
	v_mov_b32_e32 v10, v6
.LBB104_17:
	s_or_b32 exec_lo, exec_lo, s3
	s_clause 0x1
	scratch_store_b128 v15, v[6:9], off
	scratch_load_b128 v[2:5], off, s18
	v_xor_b32_e32 v13, 0x80000000, v9
	v_mov_b32_e32 v12, v8
	s_wait_xcnt 0x1
	v_add_nc_u32_e32 v6, 0x290, v14
	ds_store_b128 v14, v[10:13]
	s_wait_loadcnt 0x0
	ds_store_b128 v14, v[2:5] offset:656
	s_wait_storecnt_dscnt 0x0
	s_barrier_signal -1
	s_barrier_wait -1
	s_wait_xcnt 0x0
	s_and_saveexec_b32 s3, s2
	s_cbranch_execz .LBB104_19
; %bb.18:
	scratch_load_b128 v[2:5], v15, off
	ds_load_b128 v[8:11], v6
	v_mov_b32_e32 v7, 0
	ds_load_b128 v[16:19], v7 offset:16
	s_wait_loadcnt_dscnt 0x1
	v_mul_f64_e32 v[12:13], v[8:9], v[4:5]
	v_mul_f64_e32 v[4:5], v[10:11], v[4:5]
	s_delay_alu instid0(VALU_DEP_2) | instskip(NEXT) | instid1(VALU_DEP_2)
	v_fmac_f64_e32 v[12:13], v[10:11], v[2:3]
	v_fma_f64 v[2:3], v[8:9], v[2:3], -v[4:5]
	s_delay_alu instid0(VALU_DEP_2) | instskip(NEXT) | instid1(VALU_DEP_2)
	v_add_f64_e32 v[8:9], 0, v[12:13]
	v_add_f64_e32 v[2:3], 0, v[2:3]
	s_wait_dscnt 0x0
	s_delay_alu instid0(VALU_DEP_2) | instskip(NEXT) | instid1(VALU_DEP_2)
	v_mul_f64_e32 v[10:11], v[8:9], v[18:19]
	v_mul_f64_e32 v[4:5], v[2:3], v[18:19]
	s_delay_alu instid0(VALU_DEP_2) | instskip(NEXT) | instid1(VALU_DEP_2)
	v_fma_f64 v[2:3], v[2:3], v[16:17], -v[10:11]
	v_fmac_f64_e32 v[4:5], v[8:9], v[16:17]
	scratch_store_b128 off, v[2:5], off offset:16
.LBB104_19:
	s_wait_xcnt 0x0
	s_or_b32 exec_lo, exec_lo, s3
	s_wait_storecnt 0x0
	s_barrier_signal -1
	s_barrier_wait -1
	scratch_load_b128 v[2:5], off, s16
	s_mov_b32 s3, exec_lo
	s_wait_loadcnt 0x0
	ds_store_b128 v6, v[2:5]
	s_wait_dscnt 0x0
	s_barrier_signal -1
	s_barrier_wait -1
	v_cmpx_gt_u32_e32 2, v1
	s_cbranch_execz .LBB104_23
; %bb.20:
	scratch_load_b128 v[2:5], v15, off
	ds_load_b128 v[8:11], v6
	s_wait_loadcnt_dscnt 0x0
	v_mul_f64_e32 v[12:13], v[10:11], v[4:5]
	v_mul_f64_e32 v[16:17], v[8:9], v[4:5]
	s_delay_alu instid0(VALU_DEP_2) | instskip(NEXT) | instid1(VALU_DEP_2)
	v_fma_f64 v[4:5], v[8:9], v[2:3], -v[12:13]
	v_fmac_f64_e32 v[16:17], v[10:11], v[2:3]
	s_delay_alu instid0(VALU_DEP_2) | instskip(NEXT) | instid1(VALU_DEP_2)
	v_add_f64_e32 v[4:5], 0, v[4:5]
	v_add_f64_e32 v[2:3], 0, v[16:17]
	s_and_saveexec_b32 s54, s2
	s_cbranch_execz .LBB104_22
; %bb.21:
	scratch_load_b128 v[8:11], off, off offset:16
	v_mov_b32_e32 v7, 0
	ds_load_b128 v[16:19], v7 offset:672
	s_wait_loadcnt_dscnt 0x0
	v_mul_f64_e32 v[12:13], v[16:17], v[10:11]
	v_mul_f64_e32 v[10:11], v[18:19], v[10:11]
	s_delay_alu instid0(VALU_DEP_2) | instskip(NEXT) | instid1(VALU_DEP_2)
	v_fmac_f64_e32 v[12:13], v[18:19], v[8:9]
	v_fma_f64 v[8:9], v[16:17], v[8:9], -v[10:11]
	s_delay_alu instid0(VALU_DEP_2) | instskip(NEXT) | instid1(VALU_DEP_2)
	v_add_f64_e32 v[2:3], v[2:3], v[12:13]
	v_add_f64_e32 v[4:5], v[4:5], v[8:9]
.LBB104_22:
	s_or_b32 exec_lo, exec_lo, s54
	v_mov_b32_e32 v7, 0
	ds_load_b128 v[8:11], v7 offset:32
	s_wait_dscnt 0x0
	v_mul_f64_e32 v[16:17], v[2:3], v[10:11]
	v_mul_f64_e32 v[12:13], v[4:5], v[10:11]
	s_delay_alu instid0(VALU_DEP_2) | instskip(NEXT) | instid1(VALU_DEP_2)
	v_fma_f64 v[10:11], v[4:5], v[8:9], -v[16:17]
	v_fmac_f64_e32 v[12:13], v[2:3], v[8:9]
	scratch_store_b128 off, v[10:13], off offset:32
.LBB104_23:
	s_wait_xcnt 0x0
	s_or_b32 exec_lo, exec_lo, s3
	s_wait_storecnt 0x0
	s_barrier_signal -1
	s_barrier_wait -1
	scratch_load_b128 v[2:5], off, s14
	v_add_nc_u32_e32 v7, -1, v1
	s_mov_b32 s2, exec_lo
	s_wait_loadcnt 0x0
	ds_store_b128 v6, v[2:5]
	s_wait_dscnt 0x0
	s_barrier_signal -1
	s_barrier_wait -1
	v_cmpx_gt_u32_e32 3, v1
	s_cbranch_execz .LBB104_27
; %bb.24:
	v_dual_mov_b32 v10, v14 :: v_dual_add_nc_u32 v8, -1, v1
	v_mov_b64_e32 v[2:3], 0
	v_mov_b64_e32 v[4:5], 0
	v_add_nc_u32_e32 v9, 0x290, v14
	s_delay_alu instid0(VALU_DEP_4)
	v_or_b32_e32 v10, 8, v10
	s_mov_b32 s3, 0
.LBB104_25:                             ; =>This Inner Loop Header: Depth=1
	scratch_load_b128 v[16:19], v10, off offset:-8
	ds_load_b128 v[20:23], v9
	v_dual_add_nc_u32 v8, 1, v8 :: v_dual_add_nc_u32 v9, 16, v9
	s_wait_xcnt 0x0
	v_add_nc_u32_e32 v10, 16, v10
	s_delay_alu instid0(VALU_DEP_2) | instskip(SKIP_4) | instid1(VALU_DEP_2)
	v_cmp_lt_u32_e32 vcc_lo, 1, v8
	s_or_b32 s3, vcc_lo, s3
	s_wait_loadcnt_dscnt 0x0
	v_mul_f64_e32 v[12:13], v[22:23], v[18:19]
	v_mul_f64_e32 v[18:19], v[20:21], v[18:19]
	v_fma_f64 v[12:13], v[20:21], v[16:17], -v[12:13]
	s_delay_alu instid0(VALU_DEP_2) | instskip(NEXT) | instid1(VALU_DEP_2)
	v_fmac_f64_e32 v[18:19], v[22:23], v[16:17]
	v_add_f64_e32 v[4:5], v[4:5], v[12:13]
	s_delay_alu instid0(VALU_DEP_2)
	v_add_f64_e32 v[2:3], v[2:3], v[18:19]
	s_and_not1_b32 exec_lo, exec_lo, s3
	s_cbranch_execnz .LBB104_25
; %bb.26:
	s_or_b32 exec_lo, exec_lo, s3
	v_mov_b32_e32 v8, 0
	ds_load_b128 v[8:11], v8 offset:48
	s_wait_dscnt 0x0
	v_mul_f64_e32 v[16:17], v[2:3], v[10:11]
	v_mul_f64_e32 v[12:13], v[4:5], v[10:11]
	s_delay_alu instid0(VALU_DEP_2) | instskip(NEXT) | instid1(VALU_DEP_2)
	v_fma_f64 v[10:11], v[4:5], v[8:9], -v[16:17]
	v_fmac_f64_e32 v[12:13], v[2:3], v[8:9]
	scratch_store_b128 off, v[10:13], off offset:48
.LBB104_27:
	s_wait_xcnt 0x0
	s_or_b32 exec_lo, exec_lo, s2
	s_wait_storecnt 0x0
	s_barrier_signal -1
	s_barrier_wait -1
	scratch_load_b128 v[2:5], off, s12
	s_mov_b32 s2, exec_lo
	s_wait_loadcnt 0x0
	ds_store_b128 v6, v[2:5]
	s_wait_dscnt 0x0
	s_barrier_signal -1
	s_barrier_wait -1
	v_cmpx_gt_u32_e32 4, v1
	s_cbranch_execz .LBB104_31
; %bb.28:
	v_dual_mov_b32 v10, v14 :: v_dual_add_nc_u32 v8, -1, v1
	v_mov_b64_e32 v[2:3], 0
	v_mov_b64_e32 v[4:5], 0
	v_add_nc_u32_e32 v9, 0x290, v14
	s_delay_alu instid0(VALU_DEP_4)
	v_or_b32_e32 v10, 8, v10
	s_mov_b32 s3, 0
.LBB104_29:                             ; =>This Inner Loop Header: Depth=1
	scratch_load_b128 v[16:19], v10, off offset:-8
	ds_load_b128 v[20:23], v9
	v_dual_add_nc_u32 v8, 1, v8 :: v_dual_add_nc_u32 v9, 16, v9
	s_wait_xcnt 0x0
	v_add_nc_u32_e32 v10, 16, v10
	s_delay_alu instid0(VALU_DEP_2) | instskip(SKIP_4) | instid1(VALU_DEP_2)
	v_cmp_lt_u32_e32 vcc_lo, 2, v8
	s_or_b32 s3, vcc_lo, s3
	s_wait_loadcnt_dscnt 0x0
	v_mul_f64_e32 v[12:13], v[22:23], v[18:19]
	v_mul_f64_e32 v[18:19], v[20:21], v[18:19]
	v_fma_f64 v[12:13], v[20:21], v[16:17], -v[12:13]
	s_delay_alu instid0(VALU_DEP_2) | instskip(NEXT) | instid1(VALU_DEP_2)
	v_fmac_f64_e32 v[18:19], v[22:23], v[16:17]
	v_add_f64_e32 v[4:5], v[4:5], v[12:13]
	s_delay_alu instid0(VALU_DEP_2)
	v_add_f64_e32 v[2:3], v[2:3], v[18:19]
	s_and_not1_b32 exec_lo, exec_lo, s3
	s_cbranch_execnz .LBB104_29
; %bb.30:
	s_or_b32 exec_lo, exec_lo, s3
	v_mov_b32_e32 v8, 0
	ds_load_b128 v[8:11], v8 offset:64
	s_wait_dscnt 0x0
	v_mul_f64_e32 v[16:17], v[2:3], v[10:11]
	v_mul_f64_e32 v[12:13], v[4:5], v[10:11]
	s_delay_alu instid0(VALU_DEP_2) | instskip(NEXT) | instid1(VALU_DEP_2)
	v_fma_f64 v[10:11], v[4:5], v[8:9], -v[16:17]
	v_fmac_f64_e32 v[12:13], v[2:3], v[8:9]
	scratch_store_b128 off, v[10:13], off offset:64
.LBB104_31:
	s_wait_xcnt 0x0
	s_or_b32 exec_lo, exec_lo, s2
	s_wait_storecnt 0x0
	s_barrier_signal -1
	s_barrier_wait -1
	scratch_load_b128 v[2:5], off, s52
	;; [unrolled: 54-line block ×19, first 2 shown]
	s_mov_b32 s2, exec_lo
	s_wait_loadcnt 0x0
	ds_store_b128 v6, v[2:5]
	s_wait_dscnt 0x0
	s_barrier_signal -1
	s_barrier_wait -1
	v_cmpx_gt_u32_e32 22, v1
	s_cbranch_execz .LBB104_103
; %bb.100:
	v_dual_mov_b32 v10, v14 :: v_dual_add_nc_u32 v8, -1, v1
	v_mov_b64_e32 v[2:3], 0
	v_mov_b64_e32 v[4:5], 0
	v_add_nc_u32_e32 v9, 0x290, v14
	s_delay_alu instid0(VALU_DEP_4)
	v_or_b32_e32 v10, 8, v10
	s_mov_b32 s3, 0
.LBB104_101:                            ; =>This Inner Loop Header: Depth=1
	scratch_load_b128 v[16:19], v10, off offset:-8
	ds_load_b128 v[20:23], v9
	v_dual_add_nc_u32 v8, 1, v8 :: v_dual_add_nc_u32 v9, 16, v9
	s_wait_xcnt 0x0
	v_add_nc_u32_e32 v10, 16, v10
	s_delay_alu instid0(VALU_DEP_2) | instskip(SKIP_4) | instid1(VALU_DEP_2)
	v_cmp_lt_u32_e32 vcc_lo, 20, v8
	s_or_b32 s3, vcc_lo, s3
	s_wait_loadcnt_dscnt 0x0
	v_mul_f64_e32 v[12:13], v[22:23], v[18:19]
	v_mul_f64_e32 v[18:19], v[20:21], v[18:19]
	v_fma_f64 v[12:13], v[20:21], v[16:17], -v[12:13]
	s_delay_alu instid0(VALU_DEP_2) | instskip(NEXT) | instid1(VALU_DEP_2)
	v_fmac_f64_e32 v[18:19], v[22:23], v[16:17]
	v_add_f64_e32 v[4:5], v[4:5], v[12:13]
	s_delay_alu instid0(VALU_DEP_2)
	v_add_f64_e32 v[2:3], v[2:3], v[18:19]
	s_and_not1_b32 exec_lo, exec_lo, s3
	s_cbranch_execnz .LBB104_101
; %bb.102:
	s_or_b32 exec_lo, exec_lo, s3
	v_mov_b32_e32 v8, 0
	ds_load_b128 v[8:11], v8 offset:352
	s_wait_dscnt 0x0
	v_mul_f64_e32 v[16:17], v[2:3], v[10:11]
	v_mul_f64_e32 v[12:13], v[4:5], v[10:11]
	s_delay_alu instid0(VALU_DEP_2) | instskip(NEXT) | instid1(VALU_DEP_2)
	v_fma_f64 v[10:11], v[4:5], v[8:9], -v[16:17]
	v_fmac_f64_e32 v[12:13], v[2:3], v[8:9]
	scratch_store_b128 off, v[10:13], off offset:352
.LBB104_103:
	s_wait_xcnt 0x0
	s_or_b32 exec_lo, exec_lo, s2
	s_wait_storecnt 0x0
	s_barrier_signal -1
	s_barrier_wait -1
	scratch_load_b128 v[2:5], off, s34
	s_mov_b32 s2, exec_lo
	s_wait_loadcnt 0x0
	ds_store_b128 v6, v[2:5]
	s_wait_dscnt 0x0
	s_barrier_signal -1
	s_barrier_wait -1
	v_cmpx_gt_u32_e32 23, v1
	s_cbranch_execz .LBB104_107
; %bb.104:
	v_dual_mov_b32 v10, v14 :: v_dual_add_nc_u32 v8, -1, v1
	v_mov_b64_e32 v[2:3], 0
	v_mov_b64_e32 v[4:5], 0
	v_add_nc_u32_e32 v9, 0x290, v14
	s_delay_alu instid0(VALU_DEP_4)
	v_or_b32_e32 v10, 8, v10
	s_mov_b32 s3, 0
.LBB104_105:                            ; =>This Inner Loop Header: Depth=1
	scratch_load_b128 v[16:19], v10, off offset:-8
	ds_load_b128 v[20:23], v9
	v_dual_add_nc_u32 v8, 1, v8 :: v_dual_add_nc_u32 v9, 16, v9
	s_wait_xcnt 0x0
	v_add_nc_u32_e32 v10, 16, v10
	s_delay_alu instid0(VALU_DEP_2) | instskip(SKIP_4) | instid1(VALU_DEP_2)
	v_cmp_lt_u32_e32 vcc_lo, 21, v8
	s_or_b32 s3, vcc_lo, s3
	s_wait_loadcnt_dscnt 0x0
	v_mul_f64_e32 v[12:13], v[22:23], v[18:19]
	v_mul_f64_e32 v[18:19], v[20:21], v[18:19]
	v_fma_f64 v[12:13], v[20:21], v[16:17], -v[12:13]
	s_delay_alu instid0(VALU_DEP_2) | instskip(NEXT) | instid1(VALU_DEP_2)
	v_fmac_f64_e32 v[18:19], v[22:23], v[16:17]
	v_add_f64_e32 v[4:5], v[4:5], v[12:13]
	s_delay_alu instid0(VALU_DEP_2)
	v_add_f64_e32 v[2:3], v[2:3], v[18:19]
	s_and_not1_b32 exec_lo, exec_lo, s3
	s_cbranch_execnz .LBB104_105
; %bb.106:
	s_or_b32 exec_lo, exec_lo, s3
	v_mov_b32_e32 v8, 0
	ds_load_b128 v[8:11], v8 offset:368
	s_wait_dscnt 0x0
	v_mul_f64_e32 v[16:17], v[2:3], v[10:11]
	v_mul_f64_e32 v[12:13], v[4:5], v[10:11]
	s_delay_alu instid0(VALU_DEP_2) | instskip(NEXT) | instid1(VALU_DEP_2)
	v_fma_f64 v[10:11], v[4:5], v[8:9], -v[16:17]
	v_fmac_f64_e32 v[12:13], v[2:3], v[8:9]
	scratch_store_b128 off, v[10:13], off offset:368
.LBB104_107:
	s_wait_xcnt 0x0
	s_or_b32 exec_lo, exec_lo, s2
	s_wait_storecnt 0x0
	s_barrier_signal -1
	s_barrier_wait -1
	scratch_load_b128 v[2:5], off, s33
	;; [unrolled: 54-line block ×18, first 2 shown]
	s_mov_b32 s2, exec_lo
	s_wait_loadcnt 0x0
	ds_store_b128 v6, v[2:5]
	s_wait_dscnt 0x0
	s_barrier_signal -1
	s_barrier_wait -1
	v_cmpx_ne_u32_e32 40, v1
	s_cbranch_execz .LBB104_175
; %bb.172:
	v_mov_b32_e32 v8, v14
	v_mov_b64_e32 v[2:3], 0
	v_mov_b64_e32 v[4:5], 0
	s_mov_b32 s3, 0
	s_delay_alu instid0(VALU_DEP_3)
	v_or_b32_e32 v8, 8, v8
.LBB104_173:                            ; =>This Inner Loop Header: Depth=1
	scratch_load_b128 v[10:13], v8, off offset:-8
	ds_load_b128 v[14:17], v6
	v_dual_add_nc_u32 v7, 1, v7 :: v_dual_add_nc_u32 v6, 16, v6
	s_wait_xcnt 0x0
	v_add_nc_u32_e32 v8, 16, v8
	s_delay_alu instid0(VALU_DEP_2) | instskip(SKIP_4) | instid1(VALU_DEP_2)
	v_cmp_lt_u32_e32 vcc_lo, 38, v7
	s_or_b32 s3, vcc_lo, s3
	s_wait_loadcnt_dscnt 0x0
	v_mul_f64_e32 v[18:19], v[16:17], v[12:13]
	v_mul_f64_e32 v[12:13], v[14:15], v[12:13]
	v_fma_f64 v[14:15], v[14:15], v[10:11], -v[18:19]
	s_delay_alu instid0(VALU_DEP_2) | instskip(NEXT) | instid1(VALU_DEP_2)
	v_fmac_f64_e32 v[12:13], v[16:17], v[10:11]
	v_add_f64_e32 v[4:5], v[4:5], v[14:15]
	s_delay_alu instid0(VALU_DEP_2)
	v_add_f64_e32 v[2:3], v[2:3], v[12:13]
	s_and_not1_b32 exec_lo, exec_lo, s3
	s_cbranch_execnz .LBB104_173
; %bb.174:
	s_or_b32 exec_lo, exec_lo, s3
	v_mov_b32_e32 v6, 0
	ds_load_b128 v[6:9], v6 offset:640
	s_wait_dscnt 0x0
	v_mul_f64_e32 v[12:13], v[2:3], v[8:9]
	v_mul_f64_e32 v[10:11], v[4:5], v[8:9]
	s_delay_alu instid0(VALU_DEP_2) | instskip(NEXT) | instid1(VALU_DEP_2)
	v_fma_f64 v[8:9], v[4:5], v[6:7], -v[12:13]
	v_fmac_f64_e32 v[10:11], v[2:3], v[6:7]
	scratch_store_b128 off, v[8:11], off offset:640
.LBB104_175:
	s_wait_xcnt 0x0
	s_or_b32 exec_lo, exec_lo, s2
	s_mov_b32 s3, -1
	s_wait_storecnt 0x0
	s_barrier_signal -1
	s_barrier_wait -1
.LBB104_176:
	s_and_b32 vcc_lo, exec_lo, s3
	s_cbranch_vccz .LBB104_178
; %bb.177:
	s_wait_xcnt 0x0
	v_mov_b32_e32 v2, 0
	s_lshl_b64 s[2:3], s[10:11], 2
	s_delay_alu instid0(SALU_CYCLE_1)
	s_add_nc_u64 s[2:3], s[6:7], s[2:3]
	global_load_b32 v2, v2, s[2:3]
	s_wait_loadcnt 0x0
	v_cmp_ne_u32_e32 vcc_lo, 0, v2
	s_cbranch_vccz .LBB104_179
.LBB104_178:
	s_sendmsg sendmsg(MSG_DEALLOC_VGPRS)
	s_endpgm
.LBB104_179:
	v_lshl_add_u32 v106, v1, 4, 0x290
	s_wait_xcnt 0x0
	s_mov_b32 s2, exec_lo
	v_cmpx_eq_u32_e32 40, v1
	s_cbranch_execz .LBB104_181
; %bb.180:
	scratch_load_b128 v[2:5], off, s15
	v_mov_b32_e32 v6, 0
	s_delay_alu instid0(VALU_DEP_1)
	v_dual_mov_b32 v7, v6 :: v_dual_mov_b32 v8, v6
	v_mov_b32_e32 v9, v6
	scratch_store_b128 off, v[6:9], off offset:624
	s_wait_loadcnt 0x0
	ds_store_b128 v106, v[2:5]
.LBB104_181:
	s_wait_xcnt 0x0
	s_or_b32 exec_lo, exec_lo, s2
	s_wait_storecnt_dscnt 0x0
	s_barrier_signal -1
	s_barrier_wait -1
	s_clause 0x1
	scratch_load_b128 v[4:7], off, off offset:640
	scratch_load_b128 v[8:11], off, off offset:624
	v_mov_b32_e32 v2, 0
	s_mov_b32 s2, exec_lo
	ds_load_b128 v[12:15], v2 offset:1296
	s_wait_loadcnt_dscnt 0x100
	v_mul_f64_e32 v[16:17], v[14:15], v[6:7]
	v_mul_f64_e32 v[6:7], v[12:13], v[6:7]
	s_delay_alu instid0(VALU_DEP_2) | instskip(NEXT) | instid1(VALU_DEP_2)
	v_fma_f64 v[12:13], v[12:13], v[4:5], -v[16:17]
	v_fmac_f64_e32 v[6:7], v[14:15], v[4:5]
	s_delay_alu instid0(VALU_DEP_2) | instskip(NEXT) | instid1(VALU_DEP_2)
	v_add_f64_e32 v[4:5], 0, v[12:13]
	v_add_f64_e32 v[6:7], 0, v[6:7]
	s_wait_loadcnt 0x0
	s_delay_alu instid0(VALU_DEP_2) | instskip(NEXT) | instid1(VALU_DEP_2)
	v_add_f64_e64 v[4:5], v[8:9], -v[4:5]
	v_add_f64_e64 v[6:7], v[10:11], -v[6:7]
	scratch_store_b128 off, v[4:7], off offset:624
	s_wait_xcnt 0x0
	v_cmpx_lt_u32_e32 38, v1
	s_cbranch_execz .LBB104_183
; %bb.182:
	scratch_load_b128 v[6:9], off, s17
	v_dual_mov_b32 v3, v2 :: v_dual_mov_b32 v4, v2
	v_mov_b32_e32 v5, v2
	scratch_store_b128 off, v[2:5], off offset:608
	s_wait_loadcnt 0x0
	ds_store_b128 v106, v[6:9]
.LBB104_183:
	s_wait_xcnt 0x0
	s_or_b32 exec_lo, exec_lo, s2
	s_wait_storecnt_dscnt 0x0
	s_barrier_signal -1
	s_barrier_wait -1
	s_clause 0x2
	scratch_load_b128 v[4:7], off, off offset:624
	scratch_load_b128 v[8:11], off, off offset:640
	;; [unrolled: 1-line block ×3, first 2 shown]
	ds_load_b128 v[16:19], v2 offset:1280
	ds_load_b128 v[20:23], v2 offset:1296
	s_mov_b32 s2, exec_lo
	s_wait_loadcnt_dscnt 0x201
	v_mul_f64_e32 v[2:3], v[18:19], v[6:7]
	v_mul_f64_e32 v[6:7], v[16:17], v[6:7]
	s_wait_loadcnt_dscnt 0x100
	v_mul_f64_e32 v[108:109], v[20:21], v[10:11]
	v_mul_f64_e32 v[10:11], v[22:23], v[10:11]
	s_delay_alu instid0(VALU_DEP_4) | instskip(NEXT) | instid1(VALU_DEP_4)
	v_fma_f64 v[2:3], v[16:17], v[4:5], -v[2:3]
	v_fmac_f64_e32 v[6:7], v[18:19], v[4:5]
	s_delay_alu instid0(VALU_DEP_4) | instskip(NEXT) | instid1(VALU_DEP_4)
	v_fmac_f64_e32 v[108:109], v[22:23], v[8:9]
	v_fma_f64 v[4:5], v[20:21], v[8:9], -v[10:11]
	s_delay_alu instid0(VALU_DEP_4) | instskip(NEXT) | instid1(VALU_DEP_4)
	v_add_f64_e32 v[2:3], 0, v[2:3]
	v_add_f64_e32 v[6:7], 0, v[6:7]
	s_delay_alu instid0(VALU_DEP_2) | instskip(NEXT) | instid1(VALU_DEP_2)
	v_add_f64_e32 v[2:3], v[2:3], v[4:5]
	v_add_f64_e32 v[4:5], v[6:7], v[108:109]
	s_wait_loadcnt 0x0
	s_delay_alu instid0(VALU_DEP_2) | instskip(NEXT) | instid1(VALU_DEP_2)
	v_add_f64_e64 v[2:3], v[12:13], -v[2:3]
	v_add_f64_e64 v[4:5], v[14:15], -v[4:5]
	scratch_store_b128 off, v[2:5], off offset:608
	s_wait_xcnt 0x0
	v_cmpx_lt_u32_e32 37, v1
	s_cbranch_execz .LBB104_185
; %bb.184:
	scratch_load_b128 v[2:5], off, s19
	v_mov_b32_e32 v6, 0
	s_delay_alu instid0(VALU_DEP_1)
	v_dual_mov_b32 v7, v6 :: v_dual_mov_b32 v8, v6
	v_mov_b32_e32 v9, v6
	scratch_store_b128 off, v[6:9], off offset:592
	s_wait_loadcnt 0x0
	ds_store_b128 v106, v[2:5]
.LBB104_185:
	s_wait_xcnt 0x0
	s_or_b32 exec_lo, exec_lo, s2
	s_wait_storecnt_dscnt 0x0
	s_barrier_signal -1
	s_barrier_wait -1
	s_clause 0x3
	scratch_load_b128 v[4:7], off, off offset:608
	scratch_load_b128 v[8:11], off, off offset:624
	;; [unrolled: 1-line block ×4, first 2 shown]
	v_mov_b32_e32 v2, 0
	ds_load_b128 v[20:23], v2 offset:1264
	ds_load_b128 v[108:111], v2 offset:1280
	s_mov_b32 s2, exec_lo
	s_wait_loadcnt_dscnt 0x301
	v_mul_f64_e32 v[112:113], v[22:23], v[6:7]
	v_mul_f64_e32 v[114:115], v[20:21], v[6:7]
	s_wait_loadcnt_dscnt 0x200
	v_mul_f64_e32 v[116:117], v[108:109], v[10:11]
	v_mul_f64_e32 v[10:11], v[110:111], v[10:11]
	s_delay_alu instid0(VALU_DEP_4) | instskip(NEXT) | instid1(VALU_DEP_4)
	v_fma_f64 v[20:21], v[20:21], v[4:5], -v[112:113]
	v_fmac_f64_e32 v[114:115], v[22:23], v[4:5]
	ds_load_b128 v[4:7], v2 offset:1296
	v_fmac_f64_e32 v[116:117], v[110:111], v[8:9]
	v_fma_f64 v[8:9], v[108:109], v[8:9], -v[10:11]
	s_wait_loadcnt_dscnt 0x100
	v_mul_f64_e32 v[22:23], v[4:5], v[14:15]
	v_mul_f64_e32 v[14:15], v[6:7], v[14:15]
	v_add_f64_e32 v[10:11], 0, v[20:21]
	v_add_f64_e32 v[20:21], 0, v[114:115]
	s_delay_alu instid0(VALU_DEP_4) | instskip(NEXT) | instid1(VALU_DEP_4)
	v_fmac_f64_e32 v[22:23], v[6:7], v[12:13]
	v_fma_f64 v[4:5], v[4:5], v[12:13], -v[14:15]
	s_delay_alu instid0(VALU_DEP_4) | instskip(NEXT) | instid1(VALU_DEP_4)
	v_add_f64_e32 v[6:7], v[10:11], v[8:9]
	v_add_f64_e32 v[8:9], v[20:21], v[116:117]
	s_delay_alu instid0(VALU_DEP_2) | instskip(NEXT) | instid1(VALU_DEP_2)
	v_add_f64_e32 v[4:5], v[6:7], v[4:5]
	v_add_f64_e32 v[6:7], v[8:9], v[22:23]
	s_wait_loadcnt 0x0
	s_delay_alu instid0(VALU_DEP_2) | instskip(NEXT) | instid1(VALU_DEP_2)
	v_add_f64_e64 v[4:5], v[16:17], -v[4:5]
	v_add_f64_e64 v[6:7], v[18:19], -v[6:7]
	scratch_store_b128 off, v[4:7], off offset:592
	s_wait_xcnt 0x0
	v_cmpx_lt_u32_e32 36, v1
	s_cbranch_execz .LBB104_187
; %bb.186:
	scratch_load_b128 v[6:9], off, s20
	v_dual_mov_b32 v3, v2 :: v_dual_mov_b32 v4, v2
	v_mov_b32_e32 v5, v2
	scratch_store_b128 off, v[2:5], off offset:576
	s_wait_loadcnt 0x0
	ds_store_b128 v106, v[6:9]
.LBB104_187:
	s_wait_xcnt 0x0
	s_or_b32 exec_lo, exec_lo, s2
	s_wait_storecnt_dscnt 0x0
	s_barrier_signal -1
	s_barrier_wait -1
	s_clause 0x4
	scratch_load_b128 v[4:7], off, off offset:592
	scratch_load_b128 v[8:11], off, off offset:608
	;; [unrolled: 1-line block ×5, first 2 shown]
	ds_load_b128 v[108:111], v2 offset:1248
	ds_load_b128 v[112:115], v2 offset:1264
	s_mov_b32 s2, exec_lo
	s_wait_loadcnt_dscnt 0x401
	v_mul_f64_e32 v[116:117], v[110:111], v[6:7]
	v_mul_f64_e32 v[118:119], v[108:109], v[6:7]
	s_wait_loadcnt_dscnt 0x300
	v_mul_f64_e32 v[120:121], v[112:113], v[10:11]
	v_mul_f64_e32 v[10:11], v[114:115], v[10:11]
	s_delay_alu instid0(VALU_DEP_4) | instskip(NEXT) | instid1(VALU_DEP_4)
	v_fma_f64 v[116:117], v[108:109], v[4:5], -v[116:117]
	v_fmac_f64_e32 v[118:119], v[110:111], v[4:5]
	ds_load_b128 v[4:7], v2 offset:1280
	ds_load_b128 v[108:111], v2 offset:1296
	v_fmac_f64_e32 v[120:121], v[114:115], v[8:9]
	v_fma_f64 v[8:9], v[112:113], v[8:9], -v[10:11]
	s_wait_loadcnt_dscnt 0x201
	v_mul_f64_e32 v[2:3], v[4:5], v[14:15]
	v_mul_f64_e32 v[14:15], v[6:7], v[14:15]
	s_wait_loadcnt_dscnt 0x100
	v_mul_f64_e32 v[114:115], v[108:109], v[18:19]
	v_mul_f64_e32 v[18:19], v[110:111], v[18:19]
	v_add_f64_e32 v[10:11], 0, v[116:117]
	v_add_f64_e32 v[112:113], 0, v[118:119]
	v_fmac_f64_e32 v[2:3], v[6:7], v[12:13]
	v_fma_f64 v[4:5], v[4:5], v[12:13], -v[14:15]
	v_fmac_f64_e32 v[114:115], v[110:111], v[16:17]
	v_add_f64_e32 v[6:7], v[10:11], v[8:9]
	v_add_f64_e32 v[8:9], v[112:113], v[120:121]
	v_fma_f64 v[10:11], v[108:109], v[16:17], -v[18:19]
	s_delay_alu instid0(VALU_DEP_3) | instskip(NEXT) | instid1(VALU_DEP_3)
	v_add_f64_e32 v[4:5], v[6:7], v[4:5]
	v_add_f64_e32 v[2:3], v[8:9], v[2:3]
	s_delay_alu instid0(VALU_DEP_2) | instskip(NEXT) | instid1(VALU_DEP_2)
	v_add_f64_e32 v[4:5], v[4:5], v[10:11]
	v_add_f64_e32 v[6:7], v[2:3], v[114:115]
	s_wait_loadcnt 0x0
	s_delay_alu instid0(VALU_DEP_2) | instskip(NEXT) | instid1(VALU_DEP_2)
	v_add_f64_e64 v[2:3], v[20:21], -v[4:5]
	v_add_f64_e64 v[4:5], v[22:23], -v[6:7]
	scratch_store_b128 off, v[2:5], off offset:576
	s_wait_xcnt 0x0
	v_cmpx_lt_u32_e32 35, v1
	s_cbranch_execz .LBB104_189
; %bb.188:
	scratch_load_b128 v[2:5], off, s21
	v_mov_b32_e32 v6, 0
	s_delay_alu instid0(VALU_DEP_1)
	v_dual_mov_b32 v7, v6 :: v_dual_mov_b32 v8, v6
	v_mov_b32_e32 v9, v6
	scratch_store_b128 off, v[6:9], off offset:560
	s_wait_loadcnt 0x0
	ds_store_b128 v106, v[2:5]
.LBB104_189:
	s_wait_xcnt 0x0
	s_or_b32 exec_lo, exec_lo, s2
	s_wait_storecnt_dscnt 0x0
	s_barrier_signal -1
	s_barrier_wait -1
	s_clause 0x5
	scratch_load_b128 v[4:7], off, off offset:576
	scratch_load_b128 v[8:11], off, off offset:592
	;; [unrolled: 1-line block ×6, first 2 shown]
	v_mov_b32_e32 v2, 0
	ds_load_b128 v[112:115], v2 offset:1232
	ds_load_b128 v[116:119], v2 offset:1248
	s_mov_b32 s2, exec_lo
	s_wait_loadcnt_dscnt 0x501
	v_mul_f64_e32 v[120:121], v[114:115], v[6:7]
	v_mul_f64_e32 v[122:123], v[112:113], v[6:7]
	s_wait_loadcnt_dscnt 0x400
	v_mul_f64_e32 v[124:125], v[116:117], v[10:11]
	v_mul_f64_e32 v[10:11], v[118:119], v[10:11]
	s_delay_alu instid0(VALU_DEP_4) | instskip(NEXT) | instid1(VALU_DEP_4)
	v_fma_f64 v[120:121], v[112:113], v[4:5], -v[120:121]
	v_fmac_f64_e32 v[122:123], v[114:115], v[4:5]
	ds_load_b128 v[4:7], v2 offset:1264
	ds_load_b128 v[112:115], v2 offset:1280
	v_fmac_f64_e32 v[124:125], v[118:119], v[8:9]
	v_fma_f64 v[8:9], v[116:117], v[8:9], -v[10:11]
	s_wait_loadcnt_dscnt 0x301
	v_mul_f64_e32 v[126:127], v[4:5], v[14:15]
	v_mul_f64_e32 v[14:15], v[6:7], v[14:15]
	s_wait_loadcnt_dscnt 0x200
	v_mul_f64_e32 v[118:119], v[112:113], v[18:19]
	v_mul_f64_e32 v[18:19], v[114:115], v[18:19]
	v_add_f64_e32 v[10:11], 0, v[120:121]
	v_add_f64_e32 v[116:117], 0, v[122:123]
	v_fmac_f64_e32 v[126:127], v[6:7], v[12:13]
	v_fma_f64 v[12:13], v[4:5], v[12:13], -v[14:15]
	ds_load_b128 v[4:7], v2 offset:1296
	v_fmac_f64_e32 v[118:119], v[114:115], v[16:17]
	v_fma_f64 v[16:17], v[112:113], v[16:17], -v[18:19]
	v_add_f64_e32 v[8:9], v[10:11], v[8:9]
	v_add_f64_e32 v[10:11], v[116:117], v[124:125]
	s_wait_loadcnt_dscnt 0x100
	v_mul_f64_e32 v[14:15], v[4:5], v[22:23]
	v_mul_f64_e32 v[22:23], v[6:7], v[22:23]
	s_delay_alu instid0(VALU_DEP_4) | instskip(NEXT) | instid1(VALU_DEP_4)
	v_add_f64_e32 v[8:9], v[8:9], v[12:13]
	v_add_f64_e32 v[10:11], v[10:11], v[126:127]
	s_delay_alu instid0(VALU_DEP_4) | instskip(NEXT) | instid1(VALU_DEP_4)
	v_fmac_f64_e32 v[14:15], v[6:7], v[20:21]
	v_fma_f64 v[4:5], v[4:5], v[20:21], -v[22:23]
	s_delay_alu instid0(VALU_DEP_4) | instskip(NEXT) | instid1(VALU_DEP_4)
	v_add_f64_e32 v[6:7], v[8:9], v[16:17]
	v_add_f64_e32 v[8:9], v[10:11], v[118:119]
	s_delay_alu instid0(VALU_DEP_2) | instskip(NEXT) | instid1(VALU_DEP_2)
	v_add_f64_e32 v[4:5], v[6:7], v[4:5]
	v_add_f64_e32 v[6:7], v[8:9], v[14:15]
	s_wait_loadcnt 0x0
	s_delay_alu instid0(VALU_DEP_2) | instskip(NEXT) | instid1(VALU_DEP_2)
	v_add_f64_e64 v[4:5], v[108:109], -v[4:5]
	v_add_f64_e64 v[6:7], v[110:111], -v[6:7]
	scratch_store_b128 off, v[4:7], off offset:560
	s_wait_xcnt 0x0
	v_cmpx_lt_u32_e32 34, v1
	s_cbranch_execz .LBB104_191
; %bb.190:
	scratch_load_b128 v[6:9], off, s22
	v_dual_mov_b32 v3, v2 :: v_dual_mov_b32 v4, v2
	v_mov_b32_e32 v5, v2
	scratch_store_b128 off, v[2:5], off offset:544
	s_wait_loadcnt 0x0
	ds_store_b128 v106, v[6:9]
.LBB104_191:
	s_wait_xcnt 0x0
	s_or_b32 exec_lo, exec_lo, s2
	s_wait_storecnt_dscnt 0x0
	s_barrier_signal -1
	s_barrier_wait -1
	s_clause 0x6
	scratch_load_b128 v[4:7], off, off offset:560
	scratch_load_b128 v[8:11], off, off offset:576
	;; [unrolled: 1-line block ×7, first 2 shown]
	ds_load_b128 v[116:119], v2 offset:1216
	ds_load_b128 v[120:123], v2 offset:1232
	s_mov_b32 s2, exec_lo
	s_wait_loadcnt_dscnt 0x601
	v_mul_f64_e32 v[124:125], v[118:119], v[6:7]
	v_mul_f64_e32 v[126:127], v[116:117], v[6:7]
	s_wait_loadcnt_dscnt 0x500
	v_mul_f64_e32 v[128:129], v[120:121], v[10:11]
	v_mul_f64_e32 v[10:11], v[122:123], v[10:11]
	s_delay_alu instid0(VALU_DEP_4) | instskip(NEXT) | instid1(VALU_DEP_4)
	v_fma_f64 v[124:125], v[116:117], v[4:5], -v[124:125]
	v_fmac_f64_e32 v[126:127], v[118:119], v[4:5]
	ds_load_b128 v[4:7], v2 offset:1248
	ds_load_b128 v[116:119], v2 offset:1264
	v_fmac_f64_e32 v[128:129], v[122:123], v[8:9]
	v_fma_f64 v[8:9], v[120:121], v[8:9], -v[10:11]
	s_wait_loadcnt_dscnt 0x401
	v_mul_f64_e32 v[130:131], v[4:5], v[14:15]
	v_mul_f64_e32 v[14:15], v[6:7], v[14:15]
	s_wait_loadcnt_dscnt 0x300
	v_mul_f64_e32 v[122:123], v[116:117], v[18:19]
	v_mul_f64_e32 v[18:19], v[118:119], v[18:19]
	v_add_f64_e32 v[10:11], 0, v[124:125]
	v_add_f64_e32 v[120:121], 0, v[126:127]
	v_fmac_f64_e32 v[130:131], v[6:7], v[12:13]
	v_fma_f64 v[12:13], v[4:5], v[12:13], -v[14:15]
	v_fmac_f64_e32 v[122:123], v[118:119], v[16:17]
	v_fma_f64 v[16:17], v[116:117], v[16:17], -v[18:19]
	v_add_f64_e32 v[14:15], v[10:11], v[8:9]
	v_add_f64_e32 v[120:121], v[120:121], v[128:129]
	ds_load_b128 v[4:7], v2 offset:1280
	ds_load_b128 v[8:11], v2 offset:1296
	s_wait_loadcnt_dscnt 0x201
	v_mul_f64_e32 v[2:3], v[4:5], v[22:23]
	v_mul_f64_e32 v[22:23], v[6:7], v[22:23]
	s_wait_loadcnt_dscnt 0x100
	v_mul_f64_e32 v[18:19], v[8:9], v[110:111]
	v_mul_f64_e32 v[110:111], v[10:11], v[110:111]
	v_add_f64_e32 v[12:13], v[14:15], v[12:13]
	v_add_f64_e32 v[14:15], v[120:121], v[130:131]
	v_fmac_f64_e32 v[2:3], v[6:7], v[20:21]
	v_fma_f64 v[4:5], v[4:5], v[20:21], -v[22:23]
	v_fmac_f64_e32 v[18:19], v[10:11], v[108:109]
	v_fma_f64 v[8:9], v[8:9], v[108:109], -v[110:111]
	v_add_f64_e32 v[6:7], v[12:13], v[16:17]
	v_add_f64_e32 v[12:13], v[14:15], v[122:123]
	s_delay_alu instid0(VALU_DEP_2) | instskip(NEXT) | instid1(VALU_DEP_2)
	v_add_f64_e32 v[4:5], v[6:7], v[4:5]
	v_add_f64_e32 v[2:3], v[12:13], v[2:3]
	s_delay_alu instid0(VALU_DEP_2) | instskip(NEXT) | instid1(VALU_DEP_2)
	v_add_f64_e32 v[4:5], v[4:5], v[8:9]
	v_add_f64_e32 v[6:7], v[2:3], v[18:19]
	s_wait_loadcnt 0x0
	s_delay_alu instid0(VALU_DEP_2) | instskip(NEXT) | instid1(VALU_DEP_2)
	v_add_f64_e64 v[2:3], v[112:113], -v[4:5]
	v_add_f64_e64 v[4:5], v[114:115], -v[6:7]
	scratch_store_b128 off, v[2:5], off offset:544
	s_wait_xcnt 0x0
	v_cmpx_lt_u32_e32 33, v1
	s_cbranch_execz .LBB104_193
; %bb.192:
	scratch_load_b128 v[2:5], off, s23
	v_mov_b32_e32 v6, 0
	s_delay_alu instid0(VALU_DEP_1)
	v_dual_mov_b32 v7, v6 :: v_dual_mov_b32 v8, v6
	v_mov_b32_e32 v9, v6
	scratch_store_b128 off, v[6:9], off offset:528
	s_wait_loadcnt 0x0
	ds_store_b128 v106, v[2:5]
.LBB104_193:
	s_wait_xcnt 0x0
	s_or_b32 exec_lo, exec_lo, s2
	s_wait_storecnt_dscnt 0x0
	s_barrier_signal -1
	s_barrier_wait -1
	s_clause 0x7
	scratch_load_b128 v[4:7], off, off offset:544
	scratch_load_b128 v[8:11], off, off offset:560
	;; [unrolled: 1-line block ×8, first 2 shown]
	v_mov_b32_e32 v2, 0
	ds_load_b128 v[120:123], v2 offset:1200
	ds_load_b128 v[124:127], v2 offset:1216
	s_mov_b32 s2, exec_lo
	s_wait_loadcnt_dscnt 0x701
	v_mul_f64_e32 v[128:129], v[122:123], v[6:7]
	v_mul_f64_e32 v[130:131], v[120:121], v[6:7]
	s_wait_loadcnt_dscnt 0x600
	v_mul_f64_e32 v[132:133], v[124:125], v[10:11]
	v_mul_f64_e32 v[10:11], v[126:127], v[10:11]
	s_delay_alu instid0(VALU_DEP_4) | instskip(NEXT) | instid1(VALU_DEP_4)
	v_fma_f64 v[128:129], v[120:121], v[4:5], -v[128:129]
	v_fmac_f64_e32 v[130:131], v[122:123], v[4:5]
	ds_load_b128 v[4:7], v2 offset:1232
	ds_load_b128 v[120:123], v2 offset:1248
	v_fmac_f64_e32 v[132:133], v[126:127], v[8:9]
	v_fma_f64 v[8:9], v[124:125], v[8:9], -v[10:11]
	s_wait_loadcnt_dscnt 0x501
	v_mul_f64_e32 v[134:135], v[4:5], v[14:15]
	v_mul_f64_e32 v[14:15], v[6:7], v[14:15]
	s_wait_loadcnt_dscnt 0x400
	v_mul_f64_e32 v[126:127], v[120:121], v[18:19]
	v_mul_f64_e32 v[18:19], v[122:123], v[18:19]
	v_add_f64_e32 v[10:11], 0, v[128:129]
	v_add_f64_e32 v[124:125], 0, v[130:131]
	v_fmac_f64_e32 v[134:135], v[6:7], v[12:13]
	v_fma_f64 v[12:13], v[4:5], v[12:13], -v[14:15]
	v_fmac_f64_e32 v[126:127], v[122:123], v[16:17]
	v_fma_f64 v[16:17], v[120:121], v[16:17], -v[18:19]
	v_add_f64_e32 v[14:15], v[10:11], v[8:9]
	v_add_f64_e32 v[124:125], v[124:125], v[132:133]
	ds_load_b128 v[4:7], v2 offset:1264
	ds_load_b128 v[8:11], v2 offset:1280
	s_wait_loadcnt_dscnt 0x301
	v_mul_f64_e32 v[128:129], v[4:5], v[22:23]
	v_mul_f64_e32 v[22:23], v[6:7], v[22:23]
	s_wait_loadcnt_dscnt 0x200
	v_mul_f64_e32 v[18:19], v[8:9], v[110:111]
	v_mul_f64_e32 v[110:111], v[10:11], v[110:111]
	v_add_f64_e32 v[12:13], v[14:15], v[12:13]
	v_add_f64_e32 v[14:15], v[124:125], v[134:135]
	v_fmac_f64_e32 v[128:129], v[6:7], v[20:21]
	v_fma_f64 v[20:21], v[4:5], v[20:21], -v[22:23]
	ds_load_b128 v[4:7], v2 offset:1296
	v_fmac_f64_e32 v[18:19], v[10:11], v[108:109]
	v_fma_f64 v[8:9], v[8:9], v[108:109], -v[110:111]
	v_add_f64_e32 v[12:13], v[12:13], v[16:17]
	v_add_f64_e32 v[14:15], v[14:15], v[126:127]
	s_wait_loadcnt_dscnt 0x100
	v_mul_f64_e32 v[16:17], v[4:5], v[114:115]
	v_mul_f64_e32 v[22:23], v[6:7], v[114:115]
	s_delay_alu instid0(VALU_DEP_4) | instskip(NEXT) | instid1(VALU_DEP_4)
	v_add_f64_e32 v[10:11], v[12:13], v[20:21]
	v_add_f64_e32 v[12:13], v[14:15], v[128:129]
	s_delay_alu instid0(VALU_DEP_4) | instskip(NEXT) | instid1(VALU_DEP_4)
	v_fmac_f64_e32 v[16:17], v[6:7], v[112:113]
	v_fma_f64 v[4:5], v[4:5], v[112:113], -v[22:23]
	s_delay_alu instid0(VALU_DEP_4) | instskip(NEXT) | instid1(VALU_DEP_4)
	v_add_f64_e32 v[6:7], v[10:11], v[8:9]
	v_add_f64_e32 v[8:9], v[12:13], v[18:19]
	s_delay_alu instid0(VALU_DEP_2) | instskip(NEXT) | instid1(VALU_DEP_2)
	v_add_f64_e32 v[4:5], v[6:7], v[4:5]
	v_add_f64_e32 v[6:7], v[8:9], v[16:17]
	s_wait_loadcnt 0x0
	s_delay_alu instid0(VALU_DEP_2) | instskip(NEXT) | instid1(VALU_DEP_2)
	v_add_f64_e64 v[4:5], v[116:117], -v[4:5]
	v_add_f64_e64 v[6:7], v[118:119], -v[6:7]
	scratch_store_b128 off, v[4:7], off offset:528
	s_wait_xcnt 0x0
	v_cmpx_lt_u32_e32 32, v1
	s_cbranch_execz .LBB104_195
; %bb.194:
	scratch_load_b128 v[6:9], off, s24
	v_dual_mov_b32 v3, v2 :: v_dual_mov_b32 v4, v2
	v_mov_b32_e32 v5, v2
	scratch_store_b128 off, v[2:5], off offset:512
	s_wait_loadcnt 0x0
	ds_store_b128 v106, v[6:9]
.LBB104_195:
	s_wait_xcnt 0x0
	s_or_b32 exec_lo, exec_lo, s2
	s_wait_storecnt_dscnt 0x0
	s_barrier_signal -1
	s_barrier_wait -1
	s_clause 0x7
	scratch_load_b128 v[4:7], off, off offset:528
	scratch_load_b128 v[8:11], off, off offset:544
	;; [unrolled: 1-line block ×8, first 2 shown]
	ds_load_b128 v[120:123], v2 offset:1184
	ds_load_b128 v[124:127], v2 offset:1200
	scratch_load_b128 v[128:131], off, off offset:512
	s_mov_b32 s2, exec_lo
	s_wait_loadcnt_dscnt 0x801
	v_mul_f64_e32 v[132:133], v[122:123], v[6:7]
	v_mul_f64_e32 v[134:135], v[120:121], v[6:7]
	s_wait_loadcnt_dscnt 0x700
	v_mul_f64_e32 v[136:137], v[124:125], v[10:11]
	v_mul_f64_e32 v[10:11], v[126:127], v[10:11]
	s_delay_alu instid0(VALU_DEP_4) | instskip(NEXT) | instid1(VALU_DEP_4)
	v_fma_f64 v[132:133], v[120:121], v[4:5], -v[132:133]
	v_fmac_f64_e32 v[134:135], v[122:123], v[4:5]
	ds_load_b128 v[4:7], v2 offset:1216
	ds_load_b128 v[120:123], v2 offset:1232
	v_fmac_f64_e32 v[136:137], v[126:127], v[8:9]
	v_fma_f64 v[8:9], v[124:125], v[8:9], -v[10:11]
	s_wait_loadcnt_dscnt 0x601
	v_mul_f64_e32 v[138:139], v[4:5], v[14:15]
	v_mul_f64_e32 v[14:15], v[6:7], v[14:15]
	s_wait_loadcnt_dscnt 0x500
	v_mul_f64_e32 v[126:127], v[120:121], v[18:19]
	v_mul_f64_e32 v[18:19], v[122:123], v[18:19]
	v_add_f64_e32 v[10:11], 0, v[132:133]
	v_add_f64_e32 v[124:125], 0, v[134:135]
	v_fmac_f64_e32 v[138:139], v[6:7], v[12:13]
	v_fma_f64 v[12:13], v[4:5], v[12:13], -v[14:15]
	v_fmac_f64_e32 v[126:127], v[122:123], v[16:17]
	v_fma_f64 v[16:17], v[120:121], v[16:17], -v[18:19]
	v_add_f64_e32 v[14:15], v[10:11], v[8:9]
	v_add_f64_e32 v[124:125], v[124:125], v[136:137]
	ds_load_b128 v[4:7], v2 offset:1248
	ds_load_b128 v[8:11], v2 offset:1264
	s_wait_loadcnt_dscnt 0x401
	v_mul_f64_e32 v[132:133], v[4:5], v[22:23]
	v_mul_f64_e32 v[22:23], v[6:7], v[22:23]
	s_wait_loadcnt_dscnt 0x300
	v_mul_f64_e32 v[18:19], v[8:9], v[110:111]
	v_mul_f64_e32 v[110:111], v[10:11], v[110:111]
	v_add_f64_e32 v[12:13], v[14:15], v[12:13]
	v_add_f64_e32 v[14:15], v[124:125], v[138:139]
	v_fmac_f64_e32 v[132:133], v[6:7], v[20:21]
	v_fma_f64 v[20:21], v[4:5], v[20:21], -v[22:23]
	v_fmac_f64_e32 v[18:19], v[10:11], v[108:109]
	v_fma_f64 v[8:9], v[8:9], v[108:109], -v[110:111]
	v_add_f64_e32 v[16:17], v[12:13], v[16:17]
	v_add_f64_e32 v[22:23], v[14:15], v[126:127]
	ds_load_b128 v[4:7], v2 offset:1280
	ds_load_b128 v[12:15], v2 offset:1296
	s_wait_loadcnt_dscnt 0x201
	v_mul_f64_e32 v[2:3], v[4:5], v[114:115]
	v_mul_f64_e32 v[114:115], v[6:7], v[114:115]
	v_add_f64_e32 v[10:11], v[16:17], v[20:21]
	v_add_f64_e32 v[16:17], v[22:23], v[132:133]
	s_wait_loadcnt_dscnt 0x100
	v_mul_f64_e32 v[20:21], v[12:13], v[118:119]
	v_mul_f64_e32 v[22:23], v[14:15], v[118:119]
	v_fmac_f64_e32 v[2:3], v[6:7], v[112:113]
	v_fma_f64 v[4:5], v[4:5], v[112:113], -v[114:115]
	v_add_f64_e32 v[6:7], v[10:11], v[8:9]
	v_add_f64_e32 v[8:9], v[16:17], v[18:19]
	v_fmac_f64_e32 v[20:21], v[14:15], v[116:117]
	v_fma_f64 v[10:11], v[12:13], v[116:117], -v[22:23]
	s_delay_alu instid0(VALU_DEP_4) | instskip(NEXT) | instid1(VALU_DEP_4)
	v_add_f64_e32 v[4:5], v[6:7], v[4:5]
	v_add_f64_e32 v[2:3], v[8:9], v[2:3]
	s_delay_alu instid0(VALU_DEP_2) | instskip(NEXT) | instid1(VALU_DEP_2)
	v_add_f64_e32 v[4:5], v[4:5], v[10:11]
	v_add_f64_e32 v[6:7], v[2:3], v[20:21]
	s_wait_loadcnt 0x0
	s_delay_alu instid0(VALU_DEP_2) | instskip(NEXT) | instid1(VALU_DEP_2)
	v_add_f64_e64 v[2:3], v[128:129], -v[4:5]
	v_add_f64_e64 v[4:5], v[130:131], -v[6:7]
	scratch_store_b128 off, v[2:5], off offset:512
	s_wait_xcnt 0x0
	v_cmpx_lt_u32_e32 31, v1
	s_cbranch_execz .LBB104_197
; %bb.196:
	scratch_load_b128 v[2:5], off, s25
	v_mov_b32_e32 v6, 0
	s_delay_alu instid0(VALU_DEP_1)
	v_dual_mov_b32 v7, v6 :: v_dual_mov_b32 v8, v6
	v_mov_b32_e32 v9, v6
	scratch_store_b128 off, v[6:9], off offset:496
	s_wait_loadcnt 0x0
	ds_store_b128 v106, v[2:5]
.LBB104_197:
	s_wait_xcnt 0x0
	s_or_b32 exec_lo, exec_lo, s2
	s_wait_storecnt_dscnt 0x0
	s_barrier_signal -1
	s_barrier_wait -1
	s_clause 0x8
	scratch_load_b128 v[4:7], off, off offset:512
	scratch_load_b128 v[8:11], off, off offset:528
	;; [unrolled: 1-line block ×9, first 2 shown]
	v_mov_b32_e32 v2, 0
	scratch_load_b128 v[128:131], off, off offset:496
	s_mov_b32 s2, exec_lo
	ds_load_b128 v[124:127], v2 offset:1168
	ds_load_b128 v[132:135], v2 offset:1184
	s_wait_loadcnt_dscnt 0x901
	v_mul_f64_e32 v[136:137], v[126:127], v[6:7]
	v_mul_f64_e32 v[138:139], v[124:125], v[6:7]
	s_wait_loadcnt_dscnt 0x800
	v_mul_f64_e32 v[140:141], v[132:133], v[10:11]
	v_mul_f64_e32 v[10:11], v[134:135], v[10:11]
	s_delay_alu instid0(VALU_DEP_4) | instskip(NEXT) | instid1(VALU_DEP_4)
	v_fma_f64 v[136:137], v[124:125], v[4:5], -v[136:137]
	v_fmac_f64_e32 v[138:139], v[126:127], v[4:5]
	ds_load_b128 v[4:7], v2 offset:1200
	ds_load_b128 v[124:127], v2 offset:1216
	v_fmac_f64_e32 v[140:141], v[134:135], v[8:9]
	v_fma_f64 v[8:9], v[132:133], v[8:9], -v[10:11]
	s_wait_loadcnt_dscnt 0x701
	v_mul_f64_e32 v[142:143], v[4:5], v[14:15]
	v_mul_f64_e32 v[14:15], v[6:7], v[14:15]
	s_wait_loadcnt_dscnt 0x600
	v_mul_f64_e32 v[134:135], v[124:125], v[18:19]
	v_mul_f64_e32 v[18:19], v[126:127], v[18:19]
	v_add_f64_e32 v[10:11], 0, v[136:137]
	v_add_f64_e32 v[132:133], 0, v[138:139]
	v_fmac_f64_e32 v[142:143], v[6:7], v[12:13]
	v_fma_f64 v[12:13], v[4:5], v[12:13], -v[14:15]
	v_fmac_f64_e32 v[134:135], v[126:127], v[16:17]
	v_fma_f64 v[16:17], v[124:125], v[16:17], -v[18:19]
	v_add_f64_e32 v[14:15], v[10:11], v[8:9]
	v_add_f64_e32 v[132:133], v[132:133], v[140:141]
	ds_load_b128 v[4:7], v2 offset:1232
	ds_load_b128 v[8:11], v2 offset:1248
	s_wait_loadcnt_dscnt 0x501
	v_mul_f64_e32 v[136:137], v[4:5], v[22:23]
	v_mul_f64_e32 v[22:23], v[6:7], v[22:23]
	s_wait_loadcnt_dscnt 0x400
	v_mul_f64_e32 v[18:19], v[8:9], v[110:111]
	v_mul_f64_e32 v[110:111], v[10:11], v[110:111]
	v_add_f64_e32 v[12:13], v[14:15], v[12:13]
	v_add_f64_e32 v[14:15], v[132:133], v[142:143]
	v_fmac_f64_e32 v[136:137], v[6:7], v[20:21]
	v_fma_f64 v[20:21], v[4:5], v[20:21], -v[22:23]
	v_fmac_f64_e32 v[18:19], v[10:11], v[108:109]
	v_fma_f64 v[8:9], v[8:9], v[108:109], -v[110:111]
	v_add_f64_e32 v[16:17], v[12:13], v[16:17]
	v_add_f64_e32 v[22:23], v[14:15], v[134:135]
	ds_load_b128 v[4:7], v2 offset:1264
	ds_load_b128 v[12:15], v2 offset:1280
	s_wait_loadcnt_dscnt 0x301
	v_mul_f64_e32 v[124:125], v[4:5], v[114:115]
	v_mul_f64_e32 v[114:115], v[6:7], v[114:115]
	v_add_f64_e32 v[10:11], v[16:17], v[20:21]
	v_add_f64_e32 v[16:17], v[22:23], v[136:137]
	s_wait_loadcnt_dscnt 0x200
	v_mul_f64_e32 v[20:21], v[12:13], v[118:119]
	v_mul_f64_e32 v[22:23], v[14:15], v[118:119]
	v_fmac_f64_e32 v[124:125], v[6:7], v[112:113]
	v_fma_f64 v[108:109], v[4:5], v[112:113], -v[114:115]
	ds_load_b128 v[4:7], v2 offset:1296
	v_add_f64_e32 v[8:9], v[10:11], v[8:9]
	v_add_f64_e32 v[10:11], v[16:17], v[18:19]
	v_fmac_f64_e32 v[20:21], v[14:15], v[116:117]
	v_fma_f64 v[12:13], v[12:13], v[116:117], -v[22:23]
	s_wait_loadcnt_dscnt 0x100
	v_mul_f64_e32 v[16:17], v[4:5], v[122:123]
	v_mul_f64_e32 v[18:19], v[6:7], v[122:123]
	v_add_f64_e32 v[8:9], v[8:9], v[108:109]
	v_add_f64_e32 v[10:11], v[10:11], v[124:125]
	s_delay_alu instid0(VALU_DEP_4) | instskip(NEXT) | instid1(VALU_DEP_4)
	v_fmac_f64_e32 v[16:17], v[6:7], v[120:121]
	v_fma_f64 v[4:5], v[4:5], v[120:121], -v[18:19]
	s_delay_alu instid0(VALU_DEP_4) | instskip(NEXT) | instid1(VALU_DEP_4)
	v_add_f64_e32 v[6:7], v[8:9], v[12:13]
	v_add_f64_e32 v[8:9], v[10:11], v[20:21]
	s_delay_alu instid0(VALU_DEP_2) | instskip(NEXT) | instid1(VALU_DEP_2)
	v_add_f64_e32 v[4:5], v[6:7], v[4:5]
	v_add_f64_e32 v[6:7], v[8:9], v[16:17]
	s_wait_loadcnt 0x0
	s_delay_alu instid0(VALU_DEP_2) | instskip(NEXT) | instid1(VALU_DEP_2)
	v_add_f64_e64 v[4:5], v[128:129], -v[4:5]
	v_add_f64_e64 v[6:7], v[130:131], -v[6:7]
	scratch_store_b128 off, v[4:7], off offset:496
	s_wait_xcnt 0x0
	v_cmpx_lt_u32_e32 30, v1
	s_cbranch_execz .LBB104_199
; %bb.198:
	scratch_load_b128 v[6:9], off, s26
	v_dual_mov_b32 v3, v2 :: v_dual_mov_b32 v4, v2
	v_mov_b32_e32 v5, v2
	scratch_store_b128 off, v[2:5], off offset:480
	s_wait_loadcnt 0x0
	ds_store_b128 v106, v[6:9]
.LBB104_199:
	s_wait_xcnt 0x0
	s_or_b32 exec_lo, exec_lo, s2
	s_wait_storecnt_dscnt 0x0
	s_barrier_signal -1
	s_barrier_wait -1
	s_clause 0x9
	scratch_load_b128 v[4:7], off, off offset:496
	scratch_load_b128 v[8:11], off, off offset:512
	;; [unrolled: 1-line block ×10, first 2 shown]
	ds_load_b128 v[128:131], v2 offset:1152
	ds_load_b128 v[132:135], v2 offset:1168
	scratch_load_b128 v[136:139], off, off offset:480
	s_mov_b32 s2, exec_lo
	s_wait_loadcnt_dscnt 0xa01
	v_mul_f64_e32 v[140:141], v[130:131], v[6:7]
	v_mul_f64_e32 v[142:143], v[128:129], v[6:7]
	s_wait_loadcnt_dscnt 0x900
	v_mul_f64_e32 v[144:145], v[132:133], v[10:11]
	v_mul_f64_e32 v[10:11], v[134:135], v[10:11]
	s_delay_alu instid0(VALU_DEP_4) | instskip(NEXT) | instid1(VALU_DEP_4)
	v_fma_f64 v[140:141], v[128:129], v[4:5], -v[140:141]
	v_fmac_f64_e32 v[142:143], v[130:131], v[4:5]
	ds_load_b128 v[4:7], v2 offset:1184
	ds_load_b128 v[128:131], v2 offset:1200
	v_fmac_f64_e32 v[144:145], v[134:135], v[8:9]
	v_fma_f64 v[8:9], v[132:133], v[8:9], -v[10:11]
	s_wait_loadcnt_dscnt 0x801
	v_mul_f64_e32 v[146:147], v[4:5], v[14:15]
	v_mul_f64_e32 v[14:15], v[6:7], v[14:15]
	s_wait_loadcnt_dscnt 0x700
	v_mul_f64_e32 v[134:135], v[128:129], v[18:19]
	v_mul_f64_e32 v[18:19], v[130:131], v[18:19]
	v_add_f64_e32 v[10:11], 0, v[140:141]
	v_add_f64_e32 v[132:133], 0, v[142:143]
	v_fmac_f64_e32 v[146:147], v[6:7], v[12:13]
	v_fma_f64 v[12:13], v[4:5], v[12:13], -v[14:15]
	v_fmac_f64_e32 v[134:135], v[130:131], v[16:17]
	v_fma_f64 v[16:17], v[128:129], v[16:17], -v[18:19]
	v_add_f64_e32 v[14:15], v[10:11], v[8:9]
	v_add_f64_e32 v[132:133], v[132:133], v[144:145]
	ds_load_b128 v[4:7], v2 offset:1216
	ds_load_b128 v[8:11], v2 offset:1232
	s_wait_loadcnt_dscnt 0x601
	v_mul_f64_e32 v[140:141], v[4:5], v[22:23]
	v_mul_f64_e32 v[22:23], v[6:7], v[22:23]
	s_wait_loadcnt_dscnt 0x500
	v_mul_f64_e32 v[18:19], v[8:9], v[110:111]
	v_mul_f64_e32 v[110:111], v[10:11], v[110:111]
	v_add_f64_e32 v[12:13], v[14:15], v[12:13]
	v_add_f64_e32 v[14:15], v[132:133], v[146:147]
	v_fmac_f64_e32 v[140:141], v[6:7], v[20:21]
	v_fma_f64 v[20:21], v[4:5], v[20:21], -v[22:23]
	v_fmac_f64_e32 v[18:19], v[10:11], v[108:109]
	v_fma_f64 v[8:9], v[8:9], v[108:109], -v[110:111]
	v_add_f64_e32 v[16:17], v[12:13], v[16:17]
	v_add_f64_e32 v[22:23], v[14:15], v[134:135]
	ds_load_b128 v[4:7], v2 offset:1248
	ds_load_b128 v[12:15], v2 offset:1264
	s_wait_loadcnt_dscnt 0x401
	v_mul_f64_e32 v[128:129], v[4:5], v[114:115]
	v_mul_f64_e32 v[114:115], v[6:7], v[114:115]
	v_add_f64_e32 v[10:11], v[16:17], v[20:21]
	v_add_f64_e32 v[16:17], v[22:23], v[140:141]
	s_wait_loadcnt_dscnt 0x300
	v_mul_f64_e32 v[20:21], v[12:13], v[118:119]
	v_mul_f64_e32 v[22:23], v[14:15], v[118:119]
	v_fmac_f64_e32 v[128:129], v[6:7], v[112:113]
	v_fma_f64 v[108:109], v[4:5], v[112:113], -v[114:115]
	v_add_f64_e32 v[110:111], v[10:11], v[8:9]
	v_add_f64_e32 v[16:17], v[16:17], v[18:19]
	ds_load_b128 v[4:7], v2 offset:1280
	ds_load_b128 v[8:11], v2 offset:1296
	v_fmac_f64_e32 v[20:21], v[14:15], v[116:117]
	v_fma_f64 v[12:13], v[12:13], v[116:117], -v[22:23]
	s_wait_loadcnt_dscnt 0x201
	v_mul_f64_e32 v[2:3], v[4:5], v[122:123]
	v_mul_f64_e32 v[18:19], v[6:7], v[122:123]
	s_wait_loadcnt_dscnt 0x100
	v_mul_f64_e32 v[22:23], v[8:9], v[126:127]
	v_add_f64_e32 v[14:15], v[110:111], v[108:109]
	v_add_f64_e32 v[16:17], v[16:17], v[128:129]
	v_mul_f64_e32 v[108:109], v[10:11], v[126:127]
	v_fmac_f64_e32 v[2:3], v[6:7], v[120:121]
	v_fma_f64 v[4:5], v[4:5], v[120:121], -v[18:19]
	v_fmac_f64_e32 v[22:23], v[10:11], v[124:125]
	v_add_f64_e32 v[6:7], v[14:15], v[12:13]
	v_add_f64_e32 v[12:13], v[16:17], v[20:21]
	v_fma_f64 v[8:9], v[8:9], v[124:125], -v[108:109]
	s_delay_alu instid0(VALU_DEP_3) | instskip(NEXT) | instid1(VALU_DEP_3)
	v_add_f64_e32 v[4:5], v[6:7], v[4:5]
	v_add_f64_e32 v[2:3], v[12:13], v[2:3]
	s_delay_alu instid0(VALU_DEP_2) | instskip(NEXT) | instid1(VALU_DEP_2)
	v_add_f64_e32 v[4:5], v[4:5], v[8:9]
	v_add_f64_e32 v[6:7], v[2:3], v[22:23]
	s_wait_loadcnt 0x0
	s_delay_alu instid0(VALU_DEP_2) | instskip(NEXT) | instid1(VALU_DEP_2)
	v_add_f64_e64 v[2:3], v[136:137], -v[4:5]
	v_add_f64_e64 v[4:5], v[138:139], -v[6:7]
	scratch_store_b128 off, v[2:5], off offset:480
	s_wait_xcnt 0x0
	v_cmpx_lt_u32_e32 29, v1
	s_cbranch_execz .LBB104_201
; %bb.200:
	scratch_load_b128 v[2:5], off, s27
	v_mov_b32_e32 v6, 0
	s_delay_alu instid0(VALU_DEP_1)
	v_dual_mov_b32 v7, v6 :: v_dual_mov_b32 v8, v6
	v_mov_b32_e32 v9, v6
	scratch_store_b128 off, v[6:9], off offset:464
	s_wait_loadcnt 0x0
	ds_store_b128 v106, v[2:5]
.LBB104_201:
	s_wait_xcnt 0x0
	s_or_b32 exec_lo, exec_lo, s2
	s_wait_storecnt_dscnt 0x0
	s_barrier_signal -1
	s_barrier_wait -1
	s_clause 0x9
	scratch_load_b128 v[4:7], off, off offset:480
	scratch_load_b128 v[8:11], off, off offset:496
	;; [unrolled: 1-line block ×10, first 2 shown]
	v_mov_b32_e32 v2, 0
	s_mov_b32 s2, exec_lo
	ds_load_b128 v[128:131], v2 offset:1136
	s_clause 0x1
	scratch_load_b128 v[132:135], off, off offset:640
	scratch_load_b128 v[136:139], off, off offset:464
	s_wait_loadcnt_dscnt 0xb00
	v_mul_f64_e32 v[144:145], v[130:131], v[6:7]
	v_mul_f64_e32 v[146:147], v[128:129], v[6:7]
	ds_load_b128 v[140:143], v2 offset:1152
	s_wait_loadcnt_dscnt 0xa00
	v_mul_f64_e32 v[148:149], v[140:141], v[10:11]
	v_mul_f64_e32 v[10:11], v[142:143], v[10:11]
	v_fma_f64 v[144:145], v[128:129], v[4:5], -v[144:145]
	v_fmac_f64_e32 v[146:147], v[130:131], v[4:5]
	ds_load_b128 v[4:7], v2 offset:1168
	ds_load_b128 v[128:131], v2 offset:1184
	s_wait_loadcnt_dscnt 0x901
	v_mul_f64_e32 v[150:151], v[4:5], v[14:15]
	v_mul_f64_e32 v[14:15], v[6:7], v[14:15]
	v_fmac_f64_e32 v[148:149], v[142:143], v[8:9]
	v_fma_f64 v[8:9], v[140:141], v[8:9], -v[10:11]
	s_wait_loadcnt_dscnt 0x800
	v_mul_f64_e32 v[142:143], v[128:129], v[18:19]
	v_mul_f64_e32 v[18:19], v[130:131], v[18:19]
	v_add_f64_e32 v[10:11], 0, v[144:145]
	v_add_f64_e32 v[140:141], 0, v[146:147]
	v_fmac_f64_e32 v[150:151], v[6:7], v[12:13]
	v_fma_f64 v[12:13], v[4:5], v[12:13], -v[14:15]
	v_fmac_f64_e32 v[142:143], v[130:131], v[16:17]
	v_fma_f64 v[16:17], v[128:129], v[16:17], -v[18:19]
	v_add_f64_e32 v[14:15], v[10:11], v[8:9]
	v_add_f64_e32 v[140:141], v[140:141], v[148:149]
	ds_load_b128 v[4:7], v2 offset:1200
	ds_load_b128 v[8:11], v2 offset:1216
	s_wait_loadcnt_dscnt 0x701
	v_mul_f64_e32 v[144:145], v[4:5], v[22:23]
	v_mul_f64_e32 v[22:23], v[6:7], v[22:23]
	s_wait_loadcnt_dscnt 0x600
	v_mul_f64_e32 v[18:19], v[8:9], v[110:111]
	v_mul_f64_e32 v[110:111], v[10:11], v[110:111]
	v_add_f64_e32 v[12:13], v[14:15], v[12:13]
	v_add_f64_e32 v[14:15], v[140:141], v[150:151]
	v_fmac_f64_e32 v[144:145], v[6:7], v[20:21]
	v_fma_f64 v[20:21], v[4:5], v[20:21], -v[22:23]
	v_fmac_f64_e32 v[18:19], v[10:11], v[108:109]
	v_fma_f64 v[8:9], v[8:9], v[108:109], -v[110:111]
	v_add_f64_e32 v[16:17], v[12:13], v[16:17]
	v_add_f64_e32 v[22:23], v[14:15], v[142:143]
	ds_load_b128 v[4:7], v2 offset:1232
	ds_load_b128 v[12:15], v2 offset:1248
	s_wait_loadcnt_dscnt 0x501
	v_mul_f64_e32 v[128:129], v[4:5], v[114:115]
	v_mul_f64_e32 v[114:115], v[6:7], v[114:115]
	v_add_f64_e32 v[10:11], v[16:17], v[20:21]
	v_add_f64_e32 v[16:17], v[22:23], v[144:145]
	s_wait_loadcnt_dscnt 0x400
	v_mul_f64_e32 v[20:21], v[12:13], v[118:119]
	v_mul_f64_e32 v[22:23], v[14:15], v[118:119]
	v_fmac_f64_e32 v[128:129], v[6:7], v[112:113]
	v_fma_f64 v[108:109], v[4:5], v[112:113], -v[114:115]
	v_add_f64_e32 v[110:111], v[10:11], v[8:9]
	v_add_f64_e32 v[16:17], v[16:17], v[18:19]
	ds_load_b128 v[4:7], v2 offset:1264
	ds_load_b128 v[8:11], v2 offset:1280
	v_fmac_f64_e32 v[20:21], v[14:15], v[116:117]
	v_fma_f64 v[12:13], v[12:13], v[116:117], -v[22:23]
	s_wait_loadcnt_dscnt 0x301
	v_mul_f64_e32 v[18:19], v[4:5], v[122:123]
	v_mul_f64_e32 v[112:113], v[6:7], v[122:123]
	s_wait_loadcnt_dscnt 0x200
	v_mul_f64_e32 v[22:23], v[8:9], v[126:127]
	v_add_f64_e32 v[14:15], v[110:111], v[108:109]
	v_add_f64_e32 v[16:17], v[16:17], v[128:129]
	v_mul_f64_e32 v[108:109], v[10:11], v[126:127]
	v_fmac_f64_e32 v[18:19], v[6:7], v[120:121]
	v_fma_f64 v[110:111], v[4:5], v[120:121], -v[112:113]
	ds_load_b128 v[4:7], v2 offset:1296
	v_fmac_f64_e32 v[22:23], v[10:11], v[124:125]
	v_add_f64_e32 v[12:13], v[14:15], v[12:13]
	v_add_f64_e32 v[14:15], v[16:17], v[20:21]
	v_fma_f64 v[8:9], v[8:9], v[124:125], -v[108:109]
	s_wait_loadcnt_dscnt 0x100
	v_mul_f64_e32 v[16:17], v[4:5], v[134:135]
	v_mul_f64_e32 v[20:21], v[6:7], v[134:135]
	v_add_f64_e32 v[10:11], v[12:13], v[110:111]
	v_add_f64_e32 v[12:13], v[14:15], v[18:19]
	s_delay_alu instid0(VALU_DEP_4) | instskip(NEXT) | instid1(VALU_DEP_4)
	v_fmac_f64_e32 v[16:17], v[6:7], v[132:133]
	v_fma_f64 v[4:5], v[4:5], v[132:133], -v[20:21]
	s_delay_alu instid0(VALU_DEP_4) | instskip(NEXT) | instid1(VALU_DEP_4)
	v_add_f64_e32 v[6:7], v[10:11], v[8:9]
	v_add_f64_e32 v[8:9], v[12:13], v[22:23]
	s_delay_alu instid0(VALU_DEP_2) | instskip(NEXT) | instid1(VALU_DEP_2)
	v_add_f64_e32 v[4:5], v[6:7], v[4:5]
	v_add_f64_e32 v[6:7], v[8:9], v[16:17]
	s_wait_loadcnt 0x0
	s_delay_alu instid0(VALU_DEP_2) | instskip(NEXT) | instid1(VALU_DEP_2)
	v_add_f64_e64 v[4:5], v[136:137], -v[4:5]
	v_add_f64_e64 v[6:7], v[138:139], -v[6:7]
	scratch_store_b128 off, v[4:7], off offset:464
	s_wait_xcnt 0x0
	v_cmpx_lt_u32_e32 28, v1
	s_cbranch_execz .LBB104_203
; %bb.202:
	scratch_load_b128 v[6:9], off, s28
	v_dual_mov_b32 v3, v2 :: v_dual_mov_b32 v4, v2
	v_mov_b32_e32 v5, v2
	scratch_store_b128 off, v[2:5], off offset:448
	s_wait_loadcnt 0x0
	ds_store_b128 v106, v[6:9]
.LBB104_203:
	s_wait_xcnt 0x0
	s_or_b32 exec_lo, exec_lo, s2
	s_wait_storecnt_dscnt 0x0
	s_barrier_signal -1
	s_barrier_wait -1
	s_clause 0x9
	scratch_load_b128 v[4:7], off, off offset:464
	scratch_load_b128 v[8:11], off, off offset:480
	;; [unrolled: 1-line block ×10, first 2 shown]
	ds_load_b128 v[128:131], v2 offset:1120
	ds_load_b128 v[136:139], v2 offset:1136
	s_clause 0x2
	scratch_load_b128 v[132:135], off, off offset:624
	scratch_load_b128 v[140:143], off, off offset:448
	;; [unrolled: 1-line block ×3, first 2 shown]
	s_mov_b32 s2, exec_lo
	s_wait_loadcnt_dscnt 0xc01
	v_mul_f64_e32 v[148:149], v[130:131], v[6:7]
	v_mul_f64_e32 v[150:151], v[128:129], v[6:7]
	s_wait_loadcnt_dscnt 0xb00
	v_mul_f64_e32 v[152:153], v[136:137], v[10:11]
	v_mul_f64_e32 v[10:11], v[138:139], v[10:11]
	s_delay_alu instid0(VALU_DEP_4) | instskip(NEXT) | instid1(VALU_DEP_4)
	v_fma_f64 v[148:149], v[128:129], v[4:5], -v[148:149]
	v_fmac_f64_e32 v[150:151], v[130:131], v[4:5]
	ds_load_b128 v[4:7], v2 offset:1152
	ds_load_b128 v[128:131], v2 offset:1168
	v_fmac_f64_e32 v[152:153], v[138:139], v[8:9]
	v_fma_f64 v[8:9], v[136:137], v[8:9], -v[10:11]
	s_wait_loadcnt_dscnt 0xa01
	v_mul_f64_e32 v[154:155], v[4:5], v[14:15]
	v_mul_f64_e32 v[14:15], v[6:7], v[14:15]
	s_wait_loadcnt_dscnt 0x900
	v_mul_f64_e32 v[138:139], v[128:129], v[18:19]
	v_mul_f64_e32 v[18:19], v[130:131], v[18:19]
	v_add_f64_e32 v[10:11], 0, v[148:149]
	v_add_f64_e32 v[136:137], 0, v[150:151]
	v_fmac_f64_e32 v[154:155], v[6:7], v[12:13]
	v_fma_f64 v[12:13], v[4:5], v[12:13], -v[14:15]
	v_fmac_f64_e32 v[138:139], v[130:131], v[16:17]
	v_fma_f64 v[16:17], v[128:129], v[16:17], -v[18:19]
	v_add_f64_e32 v[14:15], v[10:11], v[8:9]
	v_add_f64_e32 v[136:137], v[136:137], v[152:153]
	ds_load_b128 v[4:7], v2 offset:1184
	ds_load_b128 v[8:11], v2 offset:1200
	s_wait_loadcnt_dscnt 0x801
	v_mul_f64_e32 v[148:149], v[4:5], v[22:23]
	v_mul_f64_e32 v[22:23], v[6:7], v[22:23]
	s_wait_loadcnt_dscnt 0x700
	v_mul_f64_e32 v[18:19], v[8:9], v[110:111]
	v_mul_f64_e32 v[110:111], v[10:11], v[110:111]
	v_add_f64_e32 v[12:13], v[14:15], v[12:13]
	v_add_f64_e32 v[14:15], v[136:137], v[154:155]
	v_fmac_f64_e32 v[148:149], v[6:7], v[20:21]
	v_fma_f64 v[20:21], v[4:5], v[20:21], -v[22:23]
	v_fmac_f64_e32 v[18:19], v[10:11], v[108:109]
	v_fma_f64 v[8:9], v[8:9], v[108:109], -v[110:111]
	v_add_f64_e32 v[16:17], v[12:13], v[16:17]
	v_add_f64_e32 v[22:23], v[14:15], v[138:139]
	ds_load_b128 v[4:7], v2 offset:1216
	ds_load_b128 v[12:15], v2 offset:1232
	s_wait_loadcnt_dscnt 0x601
	v_mul_f64_e32 v[128:129], v[4:5], v[114:115]
	v_mul_f64_e32 v[114:115], v[6:7], v[114:115]
	v_add_f64_e32 v[10:11], v[16:17], v[20:21]
	v_add_f64_e32 v[16:17], v[22:23], v[148:149]
	s_wait_loadcnt_dscnt 0x500
	v_mul_f64_e32 v[20:21], v[12:13], v[118:119]
	v_mul_f64_e32 v[22:23], v[14:15], v[118:119]
	v_fmac_f64_e32 v[128:129], v[6:7], v[112:113]
	v_fma_f64 v[108:109], v[4:5], v[112:113], -v[114:115]
	v_add_f64_e32 v[110:111], v[10:11], v[8:9]
	v_add_f64_e32 v[16:17], v[16:17], v[18:19]
	ds_load_b128 v[4:7], v2 offset:1248
	ds_load_b128 v[8:11], v2 offset:1264
	v_fmac_f64_e32 v[20:21], v[14:15], v[116:117]
	v_fma_f64 v[12:13], v[12:13], v[116:117], -v[22:23]
	s_wait_loadcnt_dscnt 0x401
	v_mul_f64_e32 v[18:19], v[4:5], v[122:123]
	v_mul_f64_e32 v[112:113], v[6:7], v[122:123]
	s_wait_loadcnt_dscnt 0x300
	v_mul_f64_e32 v[22:23], v[8:9], v[126:127]
	v_add_f64_e32 v[14:15], v[110:111], v[108:109]
	v_add_f64_e32 v[16:17], v[16:17], v[128:129]
	v_mul_f64_e32 v[108:109], v[10:11], v[126:127]
	v_fmac_f64_e32 v[18:19], v[6:7], v[120:121]
	v_fma_f64 v[110:111], v[4:5], v[120:121], -v[112:113]
	v_fmac_f64_e32 v[22:23], v[10:11], v[124:125]
	v_add_f64_e32 v[112:113], v[14:15], v[12:13]
	v_add_f64_e32 v[16:17], v[16:17], v[20:21]
	ds_load_b128 v[4:7], v2 offset:1280
	ds_load_b128 v[12:15], v2 offset:1296
	v_fma_f64 v[8:9], v[8:9], v[124:125], -v[108:109]
	s_wait_loadcnt_dscnt 0x201
	v_mul_f64_e32 v[2:3], v[4:5], v[134:135]
	v_mul_f64_e32 v[20:21], v[6:7], v[134:135]
	s_wait_loadcnt_dscnt 0x0
	v_mul_f64_e32 v[108:109], v[14:15], v[146:147]
	v_add_f64_e32 v[10:11], v[112:113], v[110:111]
	v_add_f64_e32 v[16:17], v[16:17], v[18:19]
	v_mul_f64_e32 v[18:19], v[12:13], v[146:147]
	v_fmac_f64_e32 v[2:3], v[6:7], v[132:133]
	v_fma_f64 v[4:5], v[4:5], v[132:133], -v[20:21]
	v_add_f64_e32 v[6:7], v[10:11], v[8:9]
	v_add_f64_e32 v[8:9], v[16:17], v[22:23]
	v_fmac_f64_e32 v[18:19], v[14:15], v[144:145]
	v_fma_f64 v[10:11], v[12:13], v[144:145], -v[108:109]
	s_delay_alu instid0(VALU_DEP_4) | instskip(NEXT) | instid1(VALU_DEP_4)
	v_add_f64_e32 v[4:5], v[6:7], v[4:5]
	v_add_f64_e32 v[2:3], v[8:9], v[2:3]
	s_delay_alu instid0(VALU_DEP_2) | instskip(NEXT) | instid1(VALU_DEP_2)
	v_add_f64_e32 v[4:5], v[4:5], v[10:11]
	v_add_f64_e32 v[6:7], v[2:3], v[18:19]
	s_delay_alu instid0(VALU_DEP_2) | instskip(NEXT) | instid1(VALU_DEP_2)
	v_add_f64_e64 v[2:3], v[140:141], -v[4:5]
	v_add_f64_e64 v[4:5], v[142:143], -v[6:7]
	scratch_store_b128 off, v[2:5], off offset:448
	s_wait_xcnt 0x0
	v_cmpx_lt_u32_e32 27, v1
	s_cbranch_execz .LBB104_205
; %bb.204:
	scratch_load_b128 v[2:5], off, s29
	v_mov_b32_e32 v6, 0
	s_delay_alu instid0(VALU_DEP_1)
	v_dual_mov_b32 v7, v6 :: v_dual_mov_b32 v8, v6
	v_mov_b32_e32 v9, v6
	scratch_store_b128 off, v[6:9], off offset:432
	s_wait_loadcnt 0x0
	ds_store_b128 v106, v[2:5]
.LBB104_205:
	s_wait_xcnt 0x0
	s_or_b32 exec_lo, exec_lo, s2
	s_wait_storecnt_dscnt 0x0
	s_barrier_signal -1
	s_barrier_wait -1
	s_clause 0x9
	scratch_load_b128 v[4:7], off, off offset:448
	scratch_load_b128 v[8:11], off, off offset:464
	;; [unrolled: 1-line block ×10, first 2 shown]
	v_mov_b32_e32 v2, 0
	s_mov_b32 s2, exec_lo
	ds_load_b128 v[128:131], v2 offset:1104
	s_clause 0x2
	scratch_load_b128 v[132:135], off, off offset:608
	scratch_load_b128 v[136:139], off, off offset:432
	;; [unrolled: 1-line block ×3, first 2 shown]
	s_wait_loadcnt_dscnt 0xc00
	v_mul_f64_e32 v[148:149], v[130:131], v[6:7]
	v_mul_f64_e32 v[152:153], v[128:129], v[6:7]
	ds_load_b128 v[140:143], v2 offset:1120
	v_fma_f64 v[156:157], v[128:129], v[4:5], -v[148:149]
	v_fmac_f64_e32 v[152:153], v[130:131], v[4:5]
	ds_load_b128 v[4:7], v2 offset:1136
	s_wait_loadcnt_dscnt 0xb01
	v_mul_f64_e32 v[154:155], v[140:141], v[10:11]
	v_mul_f64_e32 v[10:11], v[142:143], v[10:11]
	scratch_load_b128 v[128:131], off, off offset:640
	ds_load_b128 v[148:151], v2 offset:1152
	s_wait_loadcnt_dscnt 0xb01
	v_mul_f64_e32 v[158:159], v[4:5], v[14:15]
	v_mul_f64_e32 v[14:15], v[6:7], v[14:15]
	v_fmac_f64_e32 v[154:155], v[142:143], v[8:9]
	v_fma_f64 v[8:9], v[140:141], v[8:9], -v[10:11]
	v_add_f64_e32 v[10:11], 0, v[156:157]
	v_add_f64_e32 v[140:141], 0, v[152:153]
	s_wait_loadcnt_dscnt 0xa00
	v_mul_f64_e32 v[142:143], v[148:149], v[18:19]
	v_mul_f64_e32 v[18:19], v[150:151], v[18:19]
	v_fmac_f64_e32 v[158:159], v[6:7], v[12:13]
	v_fma_f64 v[12:13], v[4:5], v[12:13], -v[14:15]
	v_add_f64_e32 v[14:15], v[10:11], v[8:9]
	v_add_f64_e32 v[140:141], v[140:141], v[154:155]
	ds_load_b128 v[4:7], v2 offset:1168
	ds_load_b128 v[8:11], v2 offset:1184
	v_fmac_f64_e32 v[142:143], v[150:151], v[16:17]
	v_fma_f64 v[16:17], v[148:149], v[16:17], -v[18:19]
	s_wait_loadcnt_dscnt 0x901
	v_mul_f64_e32 v[152:153], v[4:5], v[22:23]
	v_mul_f64_e32 v[22:23], v[6:7], v[22:23]
	s_wait_loadcnt_dscnt 0x800
	v_mul_f64_e32 v[18:19], v[8:9], v[110:111]
	v_mul_f64_e32 v[110:111], v[10:11], v[110:111]
	v_add_f64_e32 v[12:13], v[14:15], v[12:13]
	v_add_f64_e32 v[14:15], v[140:141], v[158:159]
	v_fmac_f64_e32 v[152:153], v[6:7], v[20:21]
	v_fma_f64 v[20:21], v[4:5], v[20:21], -v[22:23]
	v_fmac_f64_e32 v[18:19], v[10:11], v[108:109]
	v_fma_f64 v[8:9], v[8:9], v[108:109], -v[110:111]
	v_add_f64_e32 v[16:17], v[12:13], v[16:17]
	v_add_f64_e32 v[22:23], v[14:15], v[142:143]
	ds_load_b128 v[4:7], v2 offset:1200
	ds_load_b128 v[12:15], v2 offset:1216
	s_wait_loadcnt_dscnt 0x701
	v_mul_f64_e32 v[140:141], v[4:5], v[114:115]
	v_mul_f64_e32 v[114:115], v[6:7], v[114:115]
	v_add_f64_e32 v[10:11], v[16:17], v[20:21]
	v_add_f64_e32 v[16:17], v[22:23], v[152:153]
	s_wait_loadcnt_dscnt 0x600
	v_mul_f64_e32 v[20:21], v[12:13], v[118:119]
	v_mul_f64_e32 v[22:23], v[14:15], v[118:119]
	v_fmac_f64_e32 v[140:141], v[6:7], v[112:113]
	v_fma_f64 v[108:109], v[4:5], v[112:113], -v[114:115]
	v_add_f64_e32 v[110:111], v[10:11], v[8:9]
	v_add_f64_e32 v[16:17], v[16:17], v[18:19]
	ds_load_b128 v[4:7], v2 offset:1232
	ds_load_b128 v[8:11], v2 offset:1248
	v_fmac_f64_e32 v[20:21], v[14:15], v[116:117]
	v_fma_f64 v[12:13], v[12:13], v[116:117], -v[22:23]
	s_wait_loadcnt_dscnt 0x501
	v_mul_f64_e32 v[18:19], v[4:5], v[122:123]
	v_mul_f64_e32 v[112:113], v[6:7], v[122:123]
	s_wait_loadcnt_dscnt 0x400
	v_mul_f64_e32 v[22:23], v[8:9], v[126:127]
	v_add_f64_e32 v[14:15], v[110:111], v[108:109]
	v_add_f64_e32 v[16:17], v[16:17], v[140:141]
	v_mul_f64_e32 v[108:109], v[10:11], v[126:127]
	v_fmac_f64_e32 v[18:19], v[6:7], v[120:121]
	v_fma_f64 v[110:111], v[4:5], v[120:121], -v[112:113]
	v_fmac_f64_e32 v[22:23], v[10:11], v[124:125]
	v_add_f64_e32 v[112:113], v[14:15], v[12:13]
	v_add_f64_e32 v[16:17], v[16:17], v[20:21]
	ds_load_b128 v[4:7], v2 offset:1264
	ds_load_b128 v[12:15], v2 offset:1280
	v_fma_f64 v[8:9], v[8:9], v[124:125], -v[108:109]
	s_wait_loadcnt_dscnt 0x301
	v_mul_f64_e32 v[20:21], v[4:5], v[134:135]
	v_mul_f64_e32 v[114:115], v[6:7], v[134:135]
	s_wait_loadcnt_dscnt 0x100
	v_mul_f64_e32 v[108:109], v[14:15], v[146:147]
	v_add_f64_e32 v[10:11], v[112:113], v[110:111]
	v_add_f64_e32 v[16:17], v[16:17], v[18:19]
	v_mul_f64_e32 v[18:19], v[12:13], v[146:147]
	v_fmac_f64_e32 v[20:21], v[6:7], v[132:133]
	v_fma_f64 v[110:111], v[4:5], v[132:133], -v[114:115]
	ds_load_b128 v[4:7], v2 offset:1296
	v_fma_f64 v[12:13], v[12:13], v[144:145], -v[108:109]
	v_add_f64_e32 v[8:9], v[10:11], v[8:9]
	v_add_f64_e32 v[10:11], v[16:17], v[22:23]
	v_fmac_f64_e32 v[18:19], v[14:15], v[144:145]
	s_wait_loadcnt_dscnt 0x0
	v_mul_f64_e32 v[16:17], v[4:5], v[130:131]
	v_mul_f64_e32 v[22:23], v[6:7], v[130:131]
	v_add_f64_e32 v[8:9], v[8:9], v[110:111]
	v_add_f64_e32 v[10:11], v[10:11], v[20:21]
	s_delay_alu instid0(VALU_DEP_4) | instskip(NEXT) | instid1(VALU_DEP_4)
	v_fmac_f64_e32 v[16:17], v[6:7], v[128:129]
	v_fma_f64 v[4:5], v[4:5], v[128:129], -v[22:23]
	s_delay_alu instid0(VALU_DEP_4) | instskip(NEXT) | instid1(VALU_DEP_4)
	v_add_f64_e32 v[6:7], v[8:9], v[12:13]
	v_add_f64_e32 v[8:9], v[10:11], v[18:19]
	s_delay_alu instid0(VALU_DEP_2) | instskip(NEXT) | instid1(VALU_DEP_2)
	v_add_f64_e32 v[4:5], v[6:7], v[4:5]
	v_add_f64_e32 v[6:7], v[8:9], v[16:17]
	s_delay_alu instid0(VALU_DEP_2) | instskip(NEXT) | instid1(VALU_DEP_2)
	v_add_f64_e64 v[4:5], v[136:137], -v[4:5]
	v_add_f64_e64 v[6:7], v[138:139], -v[6:7]
	scratch_store_b128 off, v[4:7], off offset:432
	s_wait_xcnt 0x0
	v_cmpx_lt_u32_e32 26, v1
	s_cbranch_execz .LBB104_207
; %bb.206:
	scratch_load_b128 v[6:9], off, s30
	v_dual_mov_b32 v3, v2 :: v_dual_mov_b32 v4, v2
	v_mov_b32_e32 v5, v2
	scratch_store_b128 off, v[2:5], off offset:416
	s_wait_loadcnt 0x0
	ds_store_b128 v106, v[6:9]
.LBB104_207:
	s_wait_xcnt 0x0
	s_or_b32 exec_lo, exec_lo, s2
	s_wait_storecnt_dscnt 0x0
	s_barrier_signal -1
	s_barrier_wait -1
	s_clause 0x9
	scratch_load_b128 v[4:7], off, off offset:432
	scratch_load_b128 v[8:11], off, off offset:448
	;; [unrolled: 1-line block ×10, first 2 shown]
	ds_load_b128 v[128:131], v2 offset:1088
	ds_load_b128 v[136:139], v2 offset:1104
	s_clause 0x2
	scratch_load_b128 v[132:135], off, off offset:592
	scratch_load_b128 v[140:143], off, off offset:416
	;; [unrolled: 1-line block ×3, first 2 shown]
	s_mov_b32 s2, exec_lo
	s_wait_loadcnt_dscnt 0xc01
	v_mul_f64_e32 v[148:149], v[130:131], v[6:7]
	v_mul_f64_e32 v[152:153], v[128:129], v[6:7]
	s_wait_loadcnt_dscnt 0xb00
	v_mul_f64_e32 v[154:155], v[136:137], v[10:11]
	v_mul_f64_e32 v[10:11], v[138:139], v[10:11]
	s_delay_alu instid0(VALU_DEP_4) | instskip(NEXT) | instid1(VALU_DEP_4)
	v_fma_f64 v[156:157], v[128:129], v[4:5], -v[148:149]
	v_fmac_f64_e32 v[152:153], v[130:131], v[4:5]
	ds_load_b128 v[4:7], v2 offset:1120
	ds_load_b128 v[128:131], v2 offset:1136
	scratch_load_b128 v[148:151], off, off offset:624
	v_fmac_f64_e32 v[154:155], v[138:139], v[8:9]
	v_fma_f64 v[136:137], v[136:137], v[8:9], -v[10:11]
	scratch_load_b128 v[8:11], off, off offset:640
	s_wait_loadcnt_dscnt 0xc01
	v_mul_f64_e32 v[158:159], v[4:5], v[14:15]
	v_mul_f64_e32 v[14:15], v[6:7], v[14:15]
	v_add_f64_e32 v[138:139], 0, v[156:157]
	v_add_f64_e32 v[152:153], 0, v[152:153]
	s_wait_loadcnt_dscnt 0xb00
	v_mul_f64_e32 v[156:157], v[128:129], v[18:19]
	v_mul_f64_e32 v[18:19], v[130:131], v[18:19]
	v_fmac_f64_e32 v[158:159], v[6:7], v[12:13]
	v_fma_f64 v[160:161], v[4:5], v[12:13], -v[14:15]
	ds_load_b128 v[4:7], v2 offset:1152
	ds_load_b128 v[12:15], v2 offset:1168
	v_add_f64_e32 v[136:137], v[138:139], v[136:137]
	v_add_f64_e32 v[138:139], v[152:153], v[154:155]
	v_fmac_f64_e32 v[156:157], v[130:131], v[16:17]
	v_fma_f64 v[16:17], v[128:129], v[16:17], -v[18:19]
	s_wait_loadcnt_dscnt 0xa01
	v_mul_f64_e32 v[152:153], v[4:5], v[22:23]
	v_mul_f64_e32 v[22:23], v[6:7], v[22:23]
	s_wait_loadcnt_dscnt 0x900
	v_mul_f64_e32 v[130:131], v[12:13], v[110:111]
	v_mul_f64_e32 v[110:111], v[14:15], v[110:111]
	v_add_f64_e32 v[18:19], v[136:137], v[160:161]
	v_add_f64_e32 v[128:129], v[138:139], v[158:159]
	v_fmac_f64_e32 v[152:153], v[6:7], v[20:21]
	v_fma_f64 v[20:21], v[4:5], v[20:21], -v[22:23]
	v_fmac_f64_e32 v[130:131], v[14:15], v[108:109]
	v_fma_f64 v[12:13], v[12:13], v[108:109], -v[110:111]
	v_add_f64_e32 v[22:23], v[18:19], v[16:17]
	v_add_f64_e32 v[128:129], v[128:129], v[156:157]
	ds_load_b128 v[4:7], v2 offset:1184
	ds_load_b128 v[16:19], v2 offset:1200
	s_wait_loadcnt_dscnt 0x801
	v_mul_f64_e32 v[136:137], v[4:5], v[114:115]
	v_mul_f64_e32 v[114:115], v[6:7], v[114:115]
	s_wait_loadcnt_dscnt 0x700
	v_mul_f64_e32 v[108:109], v[18:19], v[118:119]
	v_add_f64_e32 v[14:15], v[22:23], v[20:21]
	v_add_f64_e32 v[20:21], v[128:129], v[152:153]
	v_mul_f64_e32 v[22:23], v[16:17], v[118:119]
	v_fmac_f64_e32 v[136:137], v[6:7], v[112:113]
	v_fma_f64 v[110:111], v[4:5], v[112:113], -v[114:115]
	v_fma_f64 v[16:17], v[16:17], v[116:117], -v[108:109]
	v_add_f64_e32 v[112:113], v[14:15], v[12:13]
	v_add_f64_e32 v[20:21], v[20:21], v[130:131]
	ds_load_b128 v[4:7], v2 offset:1216
	ds_load_b128 v[12:15], v2 offset:1232
	v_fmac_f64_e32 v[22:23], v[18:19], v[116:117]
	s_wait_loadcnt_dscnt 0x601
	v_mul_f64_e32 v[114:115], v[4:5], v[122:123]
	v_mul_f64_e32 v[118:119], v[6:7], v[122:123]
	s_wait_loadcnt_dscnt 0x500
	v_mul_f64_e32 v[108:109], v[12:13], v[126:127]
	v_add_f64_e32 v[18:19], v[112:113], v[110:111]
	v_add_f64_e32 v[20:21], v[20:21], v[136:137]
	v_mul_f64_e32 v[110:111], v[14:15], v[126:127]
	v_fmac_f64_e32 v[114:115], v[6:7], v[120:121]
	v_fma_f64 v[112:113], v[4:5], v[120:121], -v[118:119]
	v_fmac_f64_e32 v[108:109], v[14:15], v[124:125]
	v_add_f64_e32 v[116:117], v[18:19], v[16:17]
	v_add_f64_e32 v[20:21], v[20:21], v[22:23]
	ds_load_b128 v[4:7], v2 offset:1248
	ds_load_b128 v[16:19], v2 offset:1264
	v_fma_f64 v[12:13], v[12:13], v[124:125], -v[110:111]
	s_wait_loadcnt_dscnt 0x401
	v_mul_f64_e32 v[22:23], v[4:5], v[134:135]
	v_mul_f64_e32 v[118:119], v[6:7], v[134:135]
	s_wait_loadcnt_dscnt 0x200
	v_mul_f64_e32 v[110:111], v[16:17], v[146:147]
	v_add_f64_e32 v[14:15], v[116:117], v[112:113]
	v_add_f64_e32 v[20:21], v[20:21], v[114:115]
	v_mul_f64_e32 v[112:113], v[18:19], v[146:147]
	v_fmac_f64_e32 v[22:23], v[6:7], v[132:133]
	v_fma_f64 v[114:115], v[4:5], v[132:133], -v[118:119]
	v_fmac_f64_e32 v[110:111], v[18:19], v[144:145]
	v_add_f64_e32 v[116:117], v[14:15], v[12:13]
	v_add_f64_e32 v[20:21], v[20:21], v[108:109]
	ds_load_b128 v[4:7], v2 offset:1280
	ds_load_b128 v[12:15], v2 offset:1296
	v_fma_f64 v[16:17], v[16:17], v[144:145], -v[112:113]
	s_wait_loadcnt_dscnt 0x101
	v_mul_f64_e32 v[2:3], v[4:5], v[150:151]
	v_mul_f64_e32 v[108:109], v[6:7], v[150:151]
	v_add_f64_e32 v[18:19], v[116:117], v[114:115]
	v_add_f64_e32 v[20:21], v[20:21], v[22:23]
	s_wait_loadcnt_dscnt 0x0
	v_mul_f64_e32 v[22:23], v[12:13], v[10:11]
	v_mul_f64_e32 v[10:11], v[14:15], v[10:11]
	v_fmac_f64_e32 v[2:3], v[6:7], v[148:149]
	v_fma_f64 v[4:5], v[4:5], v[148:149], -v[108:109]
	v_add_f64_e32 v[6:7], v[18:19], v[16:17]
	v_add_f64_e32 v[16:17], v[20:21], v[110:111]
	v_fmac_f64_e32 v[22:23], v[14:15], v[8:9]
	v_fma_f64 v[8:9], v[12:13], v[8:9], -v[10:11]
	s_delay_alu instid0(VALU_DEP_4) | instskip(NEXT) | instid1(VALU_DEP_4)
	v_add_f64_e32 v[4:5], v[6:7], v[4:5]
	v_add_f64_e32 v[2:3], v[16:17], v[2:3]
	s_delay_alu instid0(VALU_DEP_2) | instskip(NEXT) | instid1(VALU_DEP_2)
	v_add_f64_e32 v[4:5], v[4:5], v[8:9]
	v_add_f64_e32 v[6:7], v[2:3], v[22:23]
	s_delay_alu instid0(VALU_DEP_2) | instskip(NEXT) | instid1(VALU_DEP_2)
	v_add_f64_e64 v[2:3], v[140:141], -v[4:5]
	v_add_f64_e64 v[4:5], v[142:143], -v[6:7]
	scratch_store_b128 off, v[2:5], off offset:416
	s_wait_xcnt 0x0
	v_cmpx_lt_u32_e32 25, v1
	s_cbranch_execz .LBB104_209
; %bb.208:
	scratch_load_b128 v[2:5], off, s31
	v_mov_b32_e32 v6, 0
	s_delay_alu instid0(VALU_DEP_1)
	v_dual_mov_b32 v7, v6 :: v_dual_mov_b32 v8, v6
	v_mov_b32_e32 v9, v6
	scratch_store_b128 off, v[6:9], off offset:400
	s_wait_loadcnt 0x0
	ds_store_b128 v106, v[2:5]
.LBB104_209:
	s_wait_xcnt 0x0
	s_or_b32 exec_lo, exec_lo, s2
	s_wait_storecnt_dscnt 0x0
	s_barrier_signal -1
	s_barrier_wait -1
	s_clause 0x9
	scratch_load_b128 v[4:7], off, off offset:416
	scratch_load_b128 v[8:11], off, off offset:432
	;; [unrolled: 1-line block ×10, first 2 shown]
	v_mov_b32_e32 v2, 0
	s_mov_b32 s2, exec_lo
	ds_load_b128 v[128:131], v2 offset:1072
	s_clause 0x2
	scratch_load_b128 v[132:135], off, off offset:576
	scratch_load_b128 v[136:139], off, off offset:400
	scratch_load_b128 v[144:147], off, off offset:592
	s_wait_loadcnt_dscnt 0xc00
	v_mul_f64_e32 v[148:149], v[130:131], v[6:7]
	v_mul_f64_e32 v[152:153], v[128:129], v[6:7]
	ds_load_b128 v[140:143], v2 offset:1088
	v_fma_f64 v[156:157], v[128:129], v[4:5], -v[148:149]
	v_fmac_f64_e32 v[152:153], v[130:131], v[4:5]
	ds_load_b128 v[4:7], v2 offset:1104
	s_wait_loadcnt_dscnt 0xb01
	v_mul_f64_e32 v[154:155], v[140:141], v[10:11]
	v_mul_f64_e32 v[10:11], v[142:143], v[10:11]
	scratch_load_b128 v[128:131], off, off offset:608
	ds_load_b128 v[148:151], v2 offset:1120
	s_wait_loadcnt_dscnt 0xb01
	v_mul_f64_e32 v[158:159], v[4:5], v[14:15]
	v_mul_f64_e32 v[14:15], v[6:7], v[14:15]
	v_add_f64_e32 v[152:153], 0, v[152:153]
	v_fmac_f64_e32 v[154:155], v[142:143], v[8:9]
	v_fma_f64 v[140:141], v[140:141], v[8:9], -v[10:11]
	v_add_f64_e32 v[142:143], 0, v[156:157]
	scratch_load_b128 v[8:11], off, off offset:624
	v_fmac_f64_e32 v[158:159], v[6:7], v[12:13]
	v_fma_f64 v[160:161], v[4:5], v[12:13], -v[14:15]
	ds_load_b128 v[4:7], v2 offset:1136
	s_wait_loadcnt_dscnt 0xb01
	v_mul_f64_e32 v[156:157], v[148:149], v[18:19]
	v_mul_f64_e32 v[18:19], v[150:151], v[18:19]
	scratch_load_b128 v[12:15], off, off offset:640
	v_add_f64_e32 v[152:153], v[152:153], v[154:155]
	v_add_f64_e32 v[162:163], v[142:143], v[140:141]
	ds_load_b128 v[140:143], v2 offset:1152
	s_wait_loadcnt_dscnt 0xb01
	v_mul_f64_e32 v[154:155], v[4:5], v[22:23]
	v_mul_f64_e32 v[22:23], v[6:7], v[22:23]
	v_fmac_f64_e32 v[156:157], v[150:151], v[16:17]
	v_fma_f64 v[16:17], v[148:149], v[16:17], -v[18:19]
	s_wait_loadcnt_dscnt 0xa00
	v_mul_f64_e32 v[150:151], v[140:141], v[110:111]
	v_mul_f64_e32 v[110:111], v[142:143], v[110:111]
	v_add_f64_e32 v[148:149], v[152:153], v[158:159]
	v_add_f64_e32 v[18:19], v[162:163], v[160:161]
	v_fmac_f64_e32 v[154:155], v[6:7], v[20:21]
	v_fma_f64 v[20:21], v[4:5], v[20:21], -v[22:23]
	v_fmac_f64_e32 v[150:151], v[142:143], v[108:109]
	v_fma_f64 v[108:109], v[140:141], v[108:109], -v[110:111]
	v_add_f64_e32 v[148:149], v[148:149], v[156:157]
	v_add_f64_e32 v[22:23], v[18:19], v[16:17]
	ds_load_b128 v[4:7], v2 offset:1168
	ds_load_b128 v[16:19], v2 offset:1184
	s_wait_loadcnt_dscnt 0x901
	v_mul_f64_e32 v[152:153], v[4:5], v[114:115]
	v_mul_f64_e32 v[114:115], v[6:7], v[114:115]
	s_wait_loadcnt_dscnt 0x800
	v_mul_f64_e32 v[110:111], v[16:17], v[118:119]
	v_mul_f64_e32 v[118:119], v[18:19], v[118:119]
	v_add_f64_e32 v[20:21], v[22:23], v[20:21]
	v_add_f64_e32 v[22:23], v[148:149], v[154:155]
	v_fmac_f64_e32 v[152:153], v[6:7], v[112:113]
	v_fma_f64 v[112:113], v[4:5], v[112:113], -v[114:115]
	v_fmac_f64_e32 v[110:111], v[18:19], v[116:117]
	v_fma_f64 v[16:17], v[16:17], v[116:117], -v[118:119]
	v_add_f64_e32 v[108:109], v[20:21], v[108:109]
	v_add_f64_e32 v[114:115], v[22:23], v[150:151]
	ds_load_b128 v[4:7], v2 offset:1200
	ds_load_b128 v[20:23], v2 offset:1216
	s_wait_loadcnt_dscnt 0x701
	v_mul_f64_e32 v[140:141], v[4:5], v[122:123]
	v_mul_f64_e32 v[122:123], v[6:7], v[122:123]
	v_add_f64_e32 v[18:19], v[108:109], v[112:113]
	v_add_f64_e32 v[108:109], v[114:115], v[152:153]
	s_wait_loadcnt_dscnt 0x600
	v_mul_f64_e32 v[112:113], v[20:21], v[126:127]
	v_mul_f64_e32 v[114:115], v[22:23], v[126:127]
	v_fmac_f64_e32 v[140:141], v[6:7], v[120:121]
	v_fma_f64 v[116:117], v[4:5], v[120:121], -v[122:123]
	v_add_f64_e32 v[118:119], v[18:19], v[16:17]
	v_add_f64_e32 v[108:109], v[108:109], v[110:111]
	ds_load_b128 v[4:7], v2 offset:1232
	ds_load_b128 v[16:19], v2 offset:1248
	v_fmac_f64_e32 v[112:113], v[22:23], v[124:125]
	v_fma_f64 v[20:21], v[20:21], v[124:125], -v[114:115]
	s_wait_loadcnt_dscnt 0x501
	v_mul_f64_e32 v[110:111], v[4:5], v[134:135]
	v_mul_f64_e32 v[120:121], v[6:7], v[134:135]
	s_wait_loadcnt_dscnt 0x300
	v_mul_f64_e32 v[114:115], v[16:17], v[146:147]
	v_add_f64_e32 v[22:23], v[118:119], v[116:117]
	v_add_f64_e32 v[108:109], v[108:109], v[140:141]
	v_mul_f64_e32 v[116:117], v[18:19], v[146:147]
	v_fmac_f64_e32 v[110:111], v[6:7], v[132:133]
	v_fma_f64 v[118:119], v[4:5], v[132:133], -v[120:121]
	v_fmac_f64_e32 v[114:115], v[18:19], v[144:145]
	v_add_f64_e32 v[120:121], v[22:23], v[20:21]
	v_add_f64_e32 v[108:109], v[108:109], v[112:113]
	ds_load_b128 v[4:7], v2 offset:1264
	ds_load_b128 v[20:23], v2 offset:1280
	v_fma_f64 v[16:17], v[16:17], v[144:145], -v[116:117]
	s_wait_loadcnt_dscnt 0x201
	v_mul_f64_e32 v[112:113], v[4:5], v[130:131]
	v_mul_f64_e32 v[122:123], v[6:7], v[130:131]
	v_add_f64_e32 v[18:19], v[120:121], v[118:119]
	v_add_f64_e32 v[108:109], v[108:109], v[110:111]
	s_wait_loadcnt_dscnt 0x100
	v_mul_f64_e32 v[110:111], v[20:21], v[10:11]
	v_mul_f64_e32 v[10:11], v[22:23], v[10:11]
	v_fmac_f64_e32 v[112:113], v[6:7], v[128:129]
	v_fma_f64 v[116:117], v[4:5], v[128:129], -v[122:123]
	ds_load_b128 v[4:7], v2 offset:1296
	v_add_f64_e32 v[16:17], v[18:19], v[16:17]
	v_add_f64_e32 v[18:19], v[108:109], v[114:115]
	v_fmac_f64_e32 v[110:111], v[22:23], v[8:9]
	v_fma_f64 v[8:9], v[20:21], v[8:9], -v[10:11]
	s_wait_loadcnt_dscnt 0x0
	v_mul_f64_e32 v[108:109], v[4:5], v[14:15]
	v_mul_f64_e32 v[14:15], v[6:7], v[14:15]
	v_add_f64_e32 v[10:11], v[16:17], v[116:117]
	v_add_f64_e32 v[16:17], v[18:19], v[112:113]
	s_delay_alu instid0(VALU_DEP_4) | instskip(NEXT) | instid1(VALU_DEP_4)
	v_fmac_f64_e32 v[108:109], v[6:7], v[12:13]
	v_fma_f64 v[4:5], v[4:5], v[12:13], -v[14:15]
	s_delay_alu instid0(VALU_DEP_4) | instskip(NEXT) | instid1(VALU_DEP_4)
	v_add_f64_e32 v[6:7], v[10:11], v[8:9]
	v_add_f64_e32 v[8:9], v[16:17], v[110:111]
	s_delay_alu instid0(VALU_DEP_2) | instskip(NEXT) | instid1(VALU_DEP_2)
	v_add_f64_e32 v[4:5], v[6:7], v[4:5]
	v_add_f64_e32 v[6:7], v[8:9], v[108:109]
	s_delay_alu instid0(VALU_DEP_2) | instskip(NEXT) | instid1(VALU_DEP_2)
	v_add_f64_e64 v[4:5], v[136:137], -v[4:5]
	v_add_f64_e64 v[6:7], v[138:139], -v[6:7]
	scratch_store_b128 off, v[4:7], off offset:400
	s_wait_xcnt 0x0
	v_cmpx_lt_u32_e32 24, v1
	s_cbranch_execz .LBB104_211
; %bb.210:
	scratch_load_b128 v[6:9], off, s33
	v_dual_mov_b32 v3, v2 :: v_dual_mov_b32 v4, v2
	v_mov_b32_e32 v5, v2
	scratch_store_b128 off, v[2:5], off offset:384
	s_wait_loadcnt 0x0
	ds_store_b128 v106, v[6:9]
.LBB104_211:
	s_wait_xcnt 0x0
	s_or_b32 exec_lo, exec_lo, s2
	s_wait_storecnt_dscnt 0x0
	s_barrier_signal -1
	s_barrier_wait -1
	s_clause 0x9
	scratch_load_b128 v[4:7], off, off offset:400
	scratch_load_b128 v[8:11], off, off offset:416
	;; [unrolled: 1-line block ×10, first 2 shown]
	ds_load_b128 v[128:131], v2 offset:1056
	ds_load_b128 v[136:139], v2 offset:1072
	s_clause 0x2
	scratch_load_b128 v[132:135], off, off offset:560
	scratch_load_b128 v[140:143], off, off offset:384
	;; [unrolled: 1-line block ×3, first 2 shown]
	s_mov_b32 s2, exec_lo
	s_wait_loadcnt_dscnt 0xc01
	v_mul_f64_e32 v[148:149], v[130:131], v[6:7]
	v_mul_f64_e32 v[152:153], v[128:129], v[6:7]
	s_wait_loadcnt_dscnt 0xb00
	v_mul_f64_e32 v[154:155], v[136:137], v[10:11]
	v_mul_f64_e32 v[10:11], v[138:139], v[10:11]
	s_delay_alu instid0(VALU_DEP_4) | instskip(NEXT) | instid1(VALU_DEP_4)
	v_fma_f64 v[156:157], v[128:129], v[4:5], -v[148:149]
	v_fmac_f64_e32 v[152:153], v[130:131], v[4:5]
	ds_load_b128 v[4:7], v2 offset:1088
	ds_load_b128 v[128:131], v2 offset:1104
	scratch_load_b128 v[148:151], off, off offset:592
	v_fmac_f64_e32 v[154:155], v[138:139], v[8:9]
	v_fma_f64 v[136:137], v[136:137], v[8:9], -v[10:11]
	scratch_load_b128 v[8:11], off, off offset:608
	s_wait_loadcnt_dscnt 0xc01
	v_mul_f64_e32 v[158:159], v[4:5], v[14:15]
	v_mul_f64_e32 v[14:15], v[6:7], v[14:15]
	v_add_f64_e32 v[138:139], 0, v[156:157]
	v_add_f64_e32 v[152:153], 0, v[152:153]
	s_wait_loadcnt_dscnt 0xb00
	v_mul_f64_e32 v[156:157], v[128:129], v[18:19]
	v_mul_f64_e32 v[18:19], v[130:131], v[18:19]
	v_fmac_f64_e32 v[158:159], v[6:7], v[12:13]
	v_fma_f64 v[160:161], v[4:5], v[12:13], -v[14:15]
	ds_load_b128 v[4:7], v2 offset:1120
	ds_load_b128 v[12:15], v2 offset:1136
	v_add_f64_e32 v[162:163], v[138:139], v[136:137]
	v_add_f64_e32 v[152:153], v[152:153], v[154:155]
	scratch_load_b128 v[136:139], off, off offset:624
	v_fmac_f64_e32 v[156:157], v[130:131], v[16:17]
	v_fma_f64 v[128:129], v[128:129], v[16:17], -v[18:19]
	scratch_load_b128 v[16:19], off, off offset:640
	s_wait_loadcnt_dscnt 0xc01
	v_mul_f64_e32 v[154:155], v[4:5], v[22:23]
	v_mul_f64_e32 v[22:23], v[6:7], v[22:23]
	v_add_f64_e32 v[130:131], v[162:163], v[160:161]
	v_add_f64_e32 v[152:153], v[152:153], v[158:159]
	s_wait_loadcnt_dscnt 0xb00
	v_mul_f64_e32 v[158:159], v[12:13], v[110:111]
	v_mul_f64_e32 v[110:111], v[14:15], v[110:111]
	v_fmac_f64_e32 v[154:155], v[6:7], v[20:21]
	v_fma_f64 v[160:161], v[4:5], v[20:21], -v[22:23]
	ds_load_b128 v[4:7], v2 offset:1152
	ds_load_b128 v[20:23], v2 offset:1168
	v_add_f64_e32 v[128:129], v[130:131], v[128:129]
	v_add_f64_e32 v[130:131], v[152:153], v[156:157]
	s_wait_loadcnt_dscnt 0xa01
	v_mul_f64_e32 v[152:153], v[4:5], v[114:115]
	v_mul_f64_e32 v[114:115], v[6:7], v[114:115]
	v_fmac_f64_e32 v[158:159], v[14:15], v[108:109]
	v_fma_f64 v[12:13], v[12:13], v[108:109], -v[110:111]
	s_wait_loadcnt_dscnt 0x900
	v_mul_f64_e32 v[110:111], v[20:21], v[118:119]
	v_mul_f64_e32 v[118:119], v[22:23], v[118:119]
	v_add_f64_e32 v[14:15], v[128:129], v[160:161]
	v_add_f64_e32 v[108:109], v[130:131], v[154:155]
	v_fmac_f64_e32 v[152:153], v[6:7], v[112:113]
	v_fma_f64 v[112:113], v[4:5], v[112:113], -v[114:115]
	v_fmac_f64_e32 v[110:111], v[22:23], v[116:117]
	v_fma_f64 v[20:21], v[20:21], v[116:117], -v[118:119]
	v_add_f64_e32 v[114:115], v[14:15], v[12:13]
	v_add_f64_e32 v[108:109], v[108:109], v[158:159]
	ds_load_b128 v[4:7], v2 offset:1184
	ds_load_b128 v[12:15], v2 offset:1200
	s_wait_loadcnt_dscnt 0x801
	v_mul_f64_e32 v[128:129], v[4:5], v[122:123]
	v_mul_f64_e32 v[122:123], v[6:7], v[122:123]
	v_add_f64_e32 v[22:23], v[114:115], v[112:113]
	v_add_f64_e32 v[108:109], v[108:109], v[152:153]
	s_wait_loadcnt_dscnt 0x700
	v_mul_f64_e32 v[112:113], v[12:13], v[126:127]
	v_mul_f64_e32 v[114:115], v[14:15], v[126:127]
	v_fmac_f64_e32 v[128:129], v[6:7], v[120:121]
	v_fma_f64 v[116:117], v[4:5], v[120:121], -v[122:123]
	v_add_f64_e32 v[118:119], v[22:23], v[20:21]
	v_add_f64_e32 v[108:109], v[108:109], v[110:111]
	ds_load_b128 v[4:7], v2 offset:1216
	ds_load_b128 v[20:23], v2 offset:1232
	v_fmac_f64_e32 v[112:113], v[14:15], v[124:125]
	v_fma_f64 v[12:13], v[12:13], v[124:125], -v[114:115]
	s_wait_loadcnt_dscnt 0x601
	v_mul_f64_e32 v[110:111], v[4:5], v[134:135]
	v_mul_f64_e32 v[120:121], v[6:7], v[134:135]
	s_wait_loadcnt_dscnt 0x400
	v_mul_f64_e32 v[114:115], v[20:21], v[146:147]
	v_add_f64_e32 v[14:15], v[118:119], v[116:117]
	v_add_f64_e32 v[108:109], v[108:109], v[128:129]
	v_mul_f64_e32 v[116:117], v[22:23], v[146:147]
	v_fmac_f64_e32 v[110:111], v[6:7], v[132:133]
	v_fma_f64 v[118:119], v[4:5], v[132:133], -v[120:121]
	v_fmac_f64_e32 v[114:115], v[22:23], v[144:145]
	v_add_f64_e32 v[120:121], v[14:15], v[12:13]
	v_add_f64_e32 v[108:109], v[108:109], v[112:113]
	ds_load_b128 v[4:7], v2 offset:1248
	ds_load_b128 v[12:15], v2 offset:1264
	v_fma_f64 v[20:21], v[20:21], v[144:145], -v[116:117]
	s_wait_loadcnt_dscnt 0x301
	v_mul_f64_e32 v[112:113], v[4:5], v[150:151]
	v_mul_f64_e32 v[122:123], v[6:7], v[150:151]
	v_add_f64_e32 v[22:23], v[120:121], v[118:119]
	v_add_f64_e32 v[108:109], v[108:109], v[110:111]
	s_wait_loadcnt_dscnt 0x200
	v_mul_f64_e32 v[110:111], v[12:13], v[10:11]
	v_mul_f64_e32 v[10:11], v[14:15], v[10:11]
	v_fmac_f64_e32 v[112:113], v[6:7], v[148:149]
	v_fma_f64 v[116:117], v[4:5], v[148:149], -v[122:123]
	v_add_f64_e32 v[118:119], v[22:23], v[20:21]
	v_add_f64_e32 v[108:109], v[108:109], v[114:115]
	ds_load_b128 v[4:7], v2 offset:1280
	ds_load_b128 v[20:23], v2 offset:1296
	v_fmac_f64_e32 v[110:111], v[14:15], v[8:9]
	v_fma_f64 v[8:9], v[12:13], v[8:9], -v[10:11]
	s_wait_loadcnt_dscnt 0x101
	v_mul_f64_e32 v[2:3], v[4:5], v[138:139]
	v_mul_f64_e32 v[114:115], v[6:7], v[138:139]
	s_wait_loadcnt_dscnt 0x0
	v_mul_f64_e32 v[14:15], v[20:21], v[18:19]
	v_mul_f64_e32 v[18:19], v[22:23], v[18:19]
	v_add_f64_e32 v[10:11], v[118:119], v[116:117]
	v_add_f64_e32 v[12:13], v[108:109], v[112:113]
	v_fmac_f64_e32 v[2:3], v[6:7], v[136:137]
	v_fma_f64 v[4:5], v[4:5], v[136:137], -v[114:115]
	v_fmac_f64_e32 v[14:15], v[22:23], v[16:17]
	v_add_f64_e32 v[6:7], v[10:11], v[8:9]
	v_add_f64_e32 v[8:9], v[12:13], v[110:111]
	v_fma_f64 v[10:11], v[20:21], v[16:17], -v[18:19]
	s_delay_alu instid0(VALU_DEP_3) | instskip(NEXT) | instid1(VALU_DEP_3)
	v_add_f64_e32 v[4:5], v[6:7], v[4:5]
	v_add_f64_e32 v[2:3], v[8:9], v[2:3]
	s_delay_alu instid0(VALU_DEP_2) | instskip(NEXT) | instid1(VALU_DEP_2)
	v_add_f64_e32 v[4:5], v[4:5], v[10:11]
	v_add_f64_e32 v[6:7], v[2:3], v[14:15]
	s_delay_alu instid0(VALU_DEP_2) | instskip(NEXT) | instid1(VALU_DEP_2)
	v_add_f64_e64 v[2:3], v[140:141], -v[4:5]
	v_add_f64_e64 v[4:5], v[142:143], -v[6:7]
	scratch_store_b128 off, v[2:5], off offset:384
	s_wait_xcnt 0x0
	v_cmpx_lt_u32_e32 23, v1
	s_cbranch_execz .LBB104_213
; %bb.212:
	scratch_load_b128 v[2:5], off, s34
	v_mov_b32_e32 v6, 0
	s_delay_alu instid0(VALU_DEP_1)
	v_dual_mov_b32 v7, v6 :: v_dual_mov_b32 v8, v6
	v_mov_b32_e32 v9, v6
	scratch_store_b128 off, v[6:9], off offset:368
	s_wait_loadcnt 0x0
	ds_store_b128 v106, v[2:5]
.LBB104_213:
	s_wait_xcnt 0x0
	s_or_b32 exec_lo, exec_lo, s2
	s_wait_storecnt_dscnt 0x0
	s_barrier_signal -1
	s_barrier_wait -1
	s_clause 0x9
	scratch_load_b128 v[4:7], off, off offset:384
	scratch_load_b128 v[8:11], off, off offset:400
	;; [unrolled: 1-line block ×10, first 2 shown]
	v_mov_b32_e32 v2, 0
	s_mov_b32 s2, exec_lo
	ds_load_b128 v[128:131], v2 offset:1040
	s_clause 0x2
	scratch_load_b128 v[132:135], off, off offset:544
	scratch_load_b128 v[136:139], off, off offset:368
	;; [unrolled: 1-line block ×3, first 2 shown]
	s_wait_loadcnt_dscnt 0xc00
	v_mul_f64_e32 v[148:149], v[130:131], v[6:7]
	v_mul_f64_e32 v[152:153], v[128:129], v[6:7]
	ds_load_b128 v[140:143], v2 offset:1056
	v_fma_f64 v[156:157], v[128:129], v[4:5], -v[148:149]
	v_fmac_f64_e32 v[152:153], v[130:131], v[4:5]
	ds_load_b128 v[4:7], v2 offset:1072
	s_wait_loadcnt_dscnt 0xb01
	v_mul_f64_e32 v[154:155], v[140:141], v[10:11]
	v_mul_f64_e32 v[10:11], v[142:143], v[10:11]
	scratch_load_b128 v[128:131], off, off offset:576
	ds_load_b128 v[148:151], v2 offset:1088
	s_wait_loadcnt_dscnt 0xb01
	v_mul_f64_e32 v[158:159], v[4:5], v[14:15]
	v_mul_f64_e32 v[14:15], v[6:7], v[14:15]
	v_add_f64_e32 v[152:153], 0, v[152:153]
	v_fmac_f64_e32 v[154:155], v[142:143], v[8:9]
	v_fma_f64 v[140:141], v[140:141], v[8:9], -v[10:11]
	v_add_f64_e32 v[142:143], 0, v[156:157]
	scratch_load_b128 v[8:11], off, off offset:592
	v_fmac_f64_e32 v[158:159], v[6:7], v[12:13]
	v_fma_f64 v[160:161], v[4:5], v[12:13], -v[14:15]
	ds_load_b128 v[4:7], v2 offset:1104
	s_wait_loadcnt_dscnt 0xb01
	v_mul_f64_e32 v[156:157], v[148:149], v[18:19]
	v_mul_f64_e32 v[18:19], v[150:151], v[18:19]
	scratch_load_b128 v[12:15], off, off offset:608
	v_add_f64_e32 v[152:153], v[152:153], v[154:155]
	v_add_f64_e32 v[162:163], v[142:143], v[140:141]
	ds_load_b128 v[140:143], v2 offset:1120
	s_wait_loadcnt_dscnt 0xb01
	v_mul_f64_e32 v[154:155], v[4:5], v[22:23]
	v_mul_f64_e32 v[22:23], v[6:7], v[22:23]
	v_fmac_f64_e32 v[156:157], v[150:151], v[16:17]
	v_fma_f64 v[148:149], v[148:149], v[16:17], -v[18:19]
	scratch_load_b128 v[16:19], off, off offset:624
	v_add_f64_e32 v[152:153], v[152:153], v[158:159]
	v_add_f64_e32 v[150:151], v[162:163], v[160:161]
	v_fmac_f64_e32 v[154:155], v[6:7], v[20:21]
	v_fma_f64 v[160:161], v[4:5], v[20:21], -v[22:23]
	ds_load_b128 v[4:7], v2 offset:1136
	s_wait_loadcnt_dscnt 0xb01
	v_mul_f64_e32 v[158:159], v[140:141], v[110:111]
	v_mul_f64_e32 v[110:111], v[142:143], v[110:111]
	scratch_load_b128 v[20:23], off, off offset:640
	v_add_f64_e32 v[152:153], v[152:153], v[156:157]
	s_wait_loadcnt_dscnt 0xb00
	v_mul_f64_e32 v[156:157], v[4:5], v[114:115]
	v_add_f64_e32 v[162:163], v[150:151], v[148:149]
	v_mul_f64_e32 v[114:115], v[6:7], v[114:115]
	ds_load_b128 v[148:151], v2 offset:1152
	v_fmac_f64_e32 v[158:159], v[142:143], v[108:109]
	v_fma_f64 v[108:109], v[140:141], v[108:109], -v[110:111]
	s_wait_loadcnt_dscnt 0xa00
	v_mul_f64_e32 v[142:143], v[148:149], v[118:119]
	v_mul_f64_e32 v[118:119], v[150:151], v[118:119]
	v_add_f64_e32 v[140:141], v[152:153], v[154:155]
	v_fmac_f64_e32 v[156:157], v[6:7], v[112:113]
	v_add_f64_e32 v[110:111], v[162:163], v[160:161]
	v_fma_f64 v[112:113], v[4:5], v[112:113], -v[114:115]
	v_fmac_f64_e32 v[142:143], v[150:151], v[116:117]
	v_fma_f64 v[116:117], v[148:149], v[116:117], -v[118:119]
	v_add_f64_e32 v[140:141], v[140:141], v[158:159]
	v_add_f64_e32 v[114:115], v[110:111], v[108:109]
	ds_load_b128 v[4:7], v2 offset:1168
	ds_load_b128 v[108:111], v2 offset:1184
	s_wait_loadcnt_dscnt 0x901
	v_mul_f64_e32 v[152:153], v[4:5], v[122:123]
	v_mul_f64_e32 v[122:123], v[6:7], v[122:123]
	s_wait_loadcnt_dscnt 0x800
	v_mul_f64_e32 v[118:119], v[108:109], v[126:127]
	v_mul_f64_e32 v[126:127], v[110:111], v[126:127]
	v_add_f64_e32 v[112:113], v[114:115], v[112:113]
	v_add_f64_e32 v[114:115], v[140:141], v[156:157]
	v_fmac_f64_e32 v[152:153], v[6:7], v[120:121]
	v_fma_f64 v[120:121], v[4:5], v[120:121], -v[122:123]
	v_fmac_f64_e32 v[118:119], v[110:111], v[124:125]
	v_fma_f64 v[108:109], v[108:109], v[124:125], -v[126:127]
	v_add_f64_e32 v[116:117], v[112:113], v[116:117]
	v_add_f64_e32 v[122:123], v[114:115], v[142:143]
	ds_load_b128 v[4:7], v2 offset:1200
	ds_load_b128 v[112:115], v2 offset:1216
	s_wait_loadcnt_dscnt 0x701
	v_mul_f64_e32 v[140:141], v[4:5], v[134:135]
	v_mul_f64_e32 v[134:135], v[6:7], v[134:135]
	v_add_f64_e32 v[110:111], v[116:117], v[120:121]
	v_add_f64_e32 v[116:117], v[122:123], v[152:153]
	s_wait_loadcnt_dscnt 0x500
	v_mul_f64_e32 v[120:121], v[112:113], v[146:147]
	v_mul_f64_e32 v[122:123], v[114:115], v[146:147]
	v_fmac_f64_e32 v[140:141], v[6:7], v[132:133]
	v_fma_f64 v[124:125], v[4:5], v[132:133], -v[134:135]
	v_add_f64_e32 v[126:127], v[110:111], v[108:109]
	v_add_f64_e32 v[116:117], v[116:117], v[118:119]
	ds_load_b128 v[4:7], v2 offset:1232
	ds_load_b128 v[108:111], v2 offset:1248
	v_fmac_f64_e32 v[120:121], v[114:115], v[144:145]
	v_fma_f64 v[112:113], v[112:113], v[144:145], -v[122:123]
	s_wait_loadcnt_dscnt 0x401
	v_mul_f64_e32 v[118:119], v[4:5], v[130:131]
	v_mul_f64_e32 v[130:131], v[6:7], v[130:131]
	v_add_f64_e32 v[114:115], v[126:127], v[124:125]
	v_add_f64_e32 v[116:117], v[116:117], v[140:141]
	s_wait_loadcnt_dscnt 0x300
	v_mul_f64_e32 v[122:123], v[108:109], v[10:11]
	v_mul_f64_e32 v[10:11], v[110:111], v[10:11]
	v_fmac_f64_e32 v[118:119], v[6:7], v[128:129]
	v_fma_f64 v[124:125], v[4:5], v[128:129], -v[130:131]
	v_add_f64_e32 v[126:127], v[114:115], v[112:113]
	v_add_f64_e32 v[116:117], v[116:117], v[120:121]
	ds_load_b128 v[4:7], v2 offset:1264
	ds_load_b128 v[112:115], v2 offset:1280
	v_fmac_f64_e32 v[122:123], v[110:111], v[8:9]
	v_fma_f64 v[8:9], v[108:109], v[8:9], -v[10:11]
	s_wait_loadcnt_dscnt 0x201
	v_mul_f64_e32 v[120:121], v[4:5], v[14:15]
	v_mul_f64_e32 v[14:15], v[6:7], v[14:15]
	s_wait_loadcnt_dscnt 0x100
	v_mul_f64_e32 v[110:111], v[112:113], v[18:19]
	v_mul_f64_e32 v[18:19], v[114:115], v[18:19]
	v_add_f64_e32 v[10:11], v[126:127], v[124:125]
	v_add_f64_e32 v[108:109], v[116:117], v[118:119]
	v_fmac_f64_e32 v[120:121], v[6:7], v[12:13]
	v_fma_f64 v[12:13], v[4:5], v[12:13], -v[14:15]
	ds_load_b128 v[4:7], v2 offset:1296
	v_fmac_f64_e32 v[110:111], v[114:115], v[16:17]
	v_fma_f64 v[16:17], v[112:113], v[16:17], -v[18:19]
	v_add_f64_e32 v[8:9], v[10:11], v[8:9]
	v_add_f64_e32 v[10:11], v[108:109], v[122:123]
	s_wait_loadcnt_dscnt 0x0
	v_mul_f64_e32 v[14:15], v[4:5], v[22:23]
	v_mul_f64_e32 v[22:23], v[6:7], v[22:23]
	s_delay_alu instid0(VALU_DEP_4) | instskip(NEXT) | instid1(VALU_DEP_4)
	v_add_f64_e32 v[8:9], v[8:9], v[12:13]
	v_add_f64_e32 v[10:11], v[10:11], v[120:121]
	s_delay_alu instid0(VALU_DEP_4) | instskip(NEXT) | instid1(VALU_DEP_4)
	v_fmac_f64_e32 v[14:15], v[6:7], v[20:21]
	v_fma_f64 v[4:5], v[4:5], v[20:21], -v[22:23]
	s_delay_alu instid0(VALU_DEP_4) | instskip(NEXT) | instid1(VALU_DEP_4)
	v_add_f64_e32 v[6:7], v[8:9], v[16:17]
	v_add_f64_e32 v[8:9], v[10:11], v[110:111]
	s_delay_alu instid0(VALU_DEP_2) | instskip(NEXT) | instid1(VALU_DEP_2)
	v_add_f64_e32 v[4:5], v[6:7], v[4:5]
	v_add_f64_e32 v[6:7], v[8:9], v[14:15]
	s_delay_alu instid0(VALU_DEP_2) | instskip(NEXT) | instid1(VALU_DEP_2)
	v_add_f64_e64 v[4:5], v[136:137], -v[4:5]
	v_add_f64_e64 v[6:7], v[138:139], -v[6:7]
	scratch_store_b128 off, v[4:7], off offset:368
	s_wait_xcnt 0x0
	v_cmpx_lt_u32_e32 22, v1
	s_cbranch_execz .LBB104_215
; %bb.214:
	scratch_load_b128 v[6:9], off, s35
	v_dual_mov_b32 v3, v2 :: v_dual_mov_b32 v4, v2
	v_mov_b32_e32 v5, v2
	scratch_store_b128 off, v[2:5], off offset:352
	s_wait_loadcnt 0x0
	ds_store_b128 v106, v[6:9]
.LBB104_215:
	s_wait_xcnt 0x0
	s_or_b32 exec_lo, exec_lo, s2
	s_wait_storecnt_dscnt 0x0
	s_barrier_signal -1
	s_barrier_wait -1
	s_clause 0x9
	scratch_load_b128 v[4:7], off, off offset:368
	scratch_load_b128 v[8:11], off, off offset:384
	;; [unrolled: 1-line block ×10, first 2 shown]
	ds_load_b128 v[128:131], v2 offset:1024
	ds_load_b128 v[136:139], v2 offset:1040
	s_clause 0x2
	scratch_load_b128 v[132:135], off, off offset:528
	scratch_load_b128 v[140:143], off, off offset:352
	;; [unrolled: 1-line block ×3, first 2 shown]
	s_mov_b32 s2, exec_lo
	s_wait_loadcnt_dscnt 0xc01
	v_mul_f64_e32 v[148:149], v[130:131], v[6:7]
	v_mul_f64_e32 v[152:153], v[128:129], v[6:7]
	s_wait_loadcnt_dscnt 0xb00
	v_mul_f64_e32 v[154:155], v[136:137], v[10:11]
	v_mul_f64_e32 v[10:11], v[138:139], v[10:11]
	s_delay_alu instid0(VALU_DEP_4) | instskip(NEXT) | instid1(VALU_DEP_4)
	v_fma_f64 v[156:157], v[128:129], v[4:5], -v[148:149]
	v_fmac_f64_e32 v[152:153], v[130:131], v[4:5]
	ds_load_b128 v[4:7], v2 offset:1056
	ds_load_b128 v[128:131], v2 offset:1072
	scratch_load_b128 v[148:151], off, off offset:560
	v_fmac_f64_e32 v[154:155], v[138:139], v[8:9]
	v_fma_f64 v[136:137], v[136:137], v[8:9], -v[10:11]
	scratch_load_b128 v[8:11], off, off offset:576
	s_wait_loadcnt_dscnt 0xc01
	v_mul_f64_e32 v[158:159], v[4:5], v[14:15]
	v_mul_f64_e32 v[14:15], v[6:7], v[14:15]
	v_add_f64_e32 v[138:139], 0, v[156:157]
	v_add_f64_e32 v[152:153], 0, v[152:153]
	s_wait_loadcnt_dscnt 0xb00
	v_mul_f64_e32 v[156:157], v[128:129], v[18:19]
	v_mul_f64_e32 v[18:19], v[130:131], v[18:19]
	v_fmac_f64_e32 v[158:159], v[6:7], v[12:13]
	v_fma_f64 v[160:161], v[4:5], v[12:13], -v[14:15]
	ds_load_b128 v[4:7], v2 offset:1088
	ds_load_b128 v[12:15], v2 offset:1104
	v_add_f64_e32 v[162:163], v[138:139], v[136:137]
	v_add_f64_e32 v[152:153], v[152:153], v[154:155]
	scratch_load_b128 v[136:139], off, off offset:592
	v_fmac_f64_e32 v[156:157], v[130:131], v[16:17]
	v_fma_f64 v[128:129], v[128:129], v[16:17], -v[18:19]
	scratch_load_b128 v[16:19], off, off offset:608
	s_wait_loadcnt_dscnt 0xc01
	v_mul_f64_e32 v[154:155], v[4:5], v[22:23]
	v_mul_f64_e32 v[22:23], v[6:7], v[22:23]
	v_add_f64_e32 v[130:131], v[162:163], v[160:161]
	v_add_f64_e32 v[152:153], v[152:153], v[158:159]
	s_wait_loadcnt_dscnt 0xb00
	v_mul_f64_e32 v[158:159], v[12:13], v[110:111]
	v_mul_f64_e32 v[110:111], v[14:15], v[110:111]
	v_fmac_f64_e32 v[154:155], v[6:7], v[20:21]
	v_fma_f64 v[160:161], v[4:5], v[20:21], -v[22:23]
	ds_load_b128 v[4:7], v2 offset:1120
	ds_load_b128 v[20:23], v2 offset:1136
	v_add_f64_e32 v[162:163], v[130:131], v[128:129]
	v_add_f64_e32 v[152:153], v[152:153], v[156:157]
	scratch_load_b128 v[128:131], off, off offset:624
	s_wait_loadcnt_dscnt 0xb01
	v_mul_f64_e32 v[156:157], v[4:5], v[114:115]
	v_mul_f64_e32 v[114:115], v[6:7], v[114:115]
	v_fmac_f64_e32 v[158:159], v[14:15], v[108:109]
	v_fma_f64 v[108:109], v[12:13], v[108:109], -v[110:111]
	scratch_load_b128 v[12:15], off, off offset:640
	v_add_f64_e32 v[110:111], v[162:163], v[160:161]
	v_add_f64_e32 v[152:153], v[152:153], v[154:155]
	s_wait_loadcnt_dscnt 0xb00
	v_mul_f64_e32 v[154:155], v[20:21], v[118:119]
	v_mul_f64_e32 v[118:119], v[22:23], v[118:119]
	v_fmac_f64_e32 v[156:157], v[6:7], v[112:113]
	v_fma_f64 v[112:113], v[4:5], v[112:113], -v[114:115]
	v_add_f64_e32 v[114:115], v[110:111], v[108:109]
	v_add_f64_e32 v[152:153], v[152:153], v[158:159]
	ds_load_b128 v[4:7], v2 offset:1152
	ds_load_b128 v[108:111], v2 offset:1168
	v_fmac_f64_e32 v[154:155], v[22:23], v[116:117]
	v_fma_f64 v[20:21], v[20:21], v[116:117], -v[118:119]
	s_wait_loadcnt_dscnt 0xa01
	v_mul_f64_e32 v[158:159], v[4:5], v[122:123]
	v_mul_f64_e32 v[122:123], v[6:7], v[122:123]
	s_wait_loadcnt_dscnt 0x900
	v_mul_f64_e32 v[116:117], v[110:111], v[126:127]
	v_add_f64_e32 v[22:23], v[114:115], v[112:113]
	v_add_f64_e32 v[112:113], v[152:153], v[156:157]
	v_mul_f64_e32 v[114:115], v[108:109], v[126:127]
	v_fmac_f64_e32 v[158:159], v[6:7], v[120:121]
	v_fma_f64 v[118:119], v[4:5], v[120:121], -v[122:123]
	v_fma_f64 v[108:109], v[108:109], v[124:125], -v[116:117]
	v_add_f64_e32 v[120:121], v[22:23], v[20:21]
	v_add_f64_e32 v[112:113], v[112:113], v[154:155]
	ds_load_b128 v[4:7], v2 offset:1184
	ds_load_b128 v[20:23], v2 offset:1200
	v_fmac_f64_e32 v[114:115], v[110:111], v[124:125]
	s_wait_loadcnt_dscnt 0x801
	v_mul_f64_e32 v[122:123], v[4:5], v[134:135]
	v_mul_f64_e32 v[126:127], v[6:7], v[134:135]
	s_wait_loadcnt_dscnt 0x600
	v_mul_f64_e32 v[116:117], v[20:21], v[146:147]
	v_add_f64_e32 v[110:111], v[120:121], v[118:119]
	v_add_f64_e32 v[112:113], v[112:113], v[158:159]
	v_mul_f64_e32 v[118:119], v[22:23], v[146:147]
	v_fmac_f64_e32 v[122:123], v[6:7], v[132:133]
	v_fma_f64 v[120:121], v[4:5], v[132:133], -v[126:127]
	v_fmac_f64_e32 v[116:117], v[22:23], v[144:145]
	v_add_f64_e32 v[124:125], v[110:111], v[108:109]
	v_add_f64_e32 v[112:113], v[112:113], v[114:115]
	ds_load_b128 v[4:7], v2 offset:1216
	ds_load_b128 v[108:111], v2 offset:1232
	v_fma_f64 v[20:21], v[20:21], v[144:145], -v[118:119]
	s_wait_loadcnt_dscnt 0x501
	v_mul_f64_e32 v[114:115], v[4:5], v[150:151]
	v_mul_f64_e32 v[126:127], v[6:7], v[150:151]
	s_wait_loadcnt_dscnt 0x400
	v_mul_f64_e32 v[118:119], v[108:109], v[10:11]
	v_mul_f64_e32 v[10:11], v[110:111], v[10:11]
	v_add_f64_e32 v[22:23], v[124:125], v[120:121]
	v_add_f64_e32 v[112:113], v[112:113], v[122:123]
	v_fmac_f64_e32 v[114:115], v[6:7], v[148:149]
	v_fma_f64 v[120:121], v[4:5], v[148:149], -v[126:127]
	v_fmac_f64_e32 v[118:119], v[110:111], v[8:9]
	v_fma_f64 v[8:9], v[108:109], v[8:9], -v[10:11]
	v_add_f64_e32 v[122:123], v[22:23], v[20:21]
	v_add_f64_e32 v[112:113], v[112:113], v[116:117]
	ds_load_b128 v[4:7], v2 offset:1248
	ds_load_b128 v[20:23], v2 offset:1264
	s_wait_loadcnt_dscnt 0x301
	v_mul_f64_e32 v[116:117], v[4:5], v[138:139]
	v_mul_f64_e32 v[124:125], v[6:7], v[138:139]
	s_wait_loadcnt_dscnt 0x200
	v_mul_f64_e32 v[110:111], v[20:21], v[18:19]
	v_mul_f64_e32 v[18:19], v[22:23], v[18:19]
	v_add_f64_e32 v[10:11], v[122:123], v[120:121]
	v_add_f64_e32 v[108:109], v[112:113], v[114:115]
	v_fmac_f64_e32 v[116:117], v[6:7], v[136:137]
	v_fma_f64 v[112:113], v[4:5], v[136:137], -v[124:125]
	v_fmac_f64_e32 v[110:111], v[22:23], v[16:17]
	v_fma_f64 v[16:17], v[20:21], v[16:17], -v[18:19]
	v_add_f64_e32 v[114:115], v[10:11], v[8:9]
	v_add_f64_e32 v[108:109], v[108:109], v[118:119]
	ds_load_b128 v[4:7], v2 offset:1280
	ds_load_b128 v[8:11], v2 offset:1296
	s_wait_loadcnt_dscnt 0x101
	v_mul_f64_e32 v[2:3], v[4:5], v[130:131]
	v_mul_f64_e32 v[118:119], v[6:7], v[130:131]
	s_wait_loadcnt_dscnt 0x0
	v_mul_f64_e32 v[22:23], v[8:9], v[14:15]
	v_mul_f64_e32 v[14:15], v[10:11], v[14:15]
	v_add_f64_e32 v[18:19], v[114:115], v[112:113]
	v_add_f64_e32 v[20:21], v[108:109], v[116:117]
	v_fmac_f64_e32 v[2:3], v[6:7], v[128:129]
	v_fma_f64 v[4:5], v[4:5], v[128:129], -v[118:119]
	v_fmac_f64_e32 v[22:23], v[10:11], v[12:13]
	v_fma_f64 v[8:9], v[8:9], v[12:13], -v[14:15]
	v_add_f64_e32 v[6:7], v[18:19], v[16:17]
	v_add_f64_e32 v[16:17], v[20:21], v[110:111]
	s_delay_alu instid0(VALU_DEP_2) | instskip(NEXT) | instid1(VALU_DEP_2)
	v_add_f64_e32 v[4:5], v[6:7], v[4:5]
	v_add_f64_e32 v[2:3], v[16:17], v[2:3]
	s_delay_alu instid0(VALU_DEP_2) | instskip(NEXT) | instid1(VALU_DEP_2)
	;; [unrolled: 3-line block ×3, first 2 shown]
	v_add_f64_e64 v[2:3], v[140:141], -v[4:5]
	v_add_f64_e64 v[4:5], v[142:143], -v[6:7]
	scratch_store_b128 off, v[2:5], off offset:352
	s_wait_xcnt 0x0
	v_cmpx_lt_u32_e32 21, v1
	s_cbranch_execz .LBB104_217
; %bb.216:
	scratch_load_b128 v[2:5], off, s36
	v_mov_b32_e32 v6, 0
	s_delay_alu instid0(VALU_DEP_1)
	v_dual_mov_b32 v7, v6 :: v_dual_mov_b32 v8, v6
	v_mov_b32_e32 v9, v6
	scratch_store_b128 off, v[6:9], off offset:336
	s_wait_loadcnt 0x0
	ds_store_b128 v106, v[2:5]
.LBB104_217:
	s_wait_xcnt 0x0
	s_or_b32 exec_lo, exec_lo, s2
	s_wait_storecnt_dscnt 0x0
	s_barrier_signal -1
	s_barrier_wait -1
	s_clause 0x9
	scratch_load_b128 v[4:7], off, off offset:352
	scratch_load_b128 v[8:11], off, off offset:368
	;; [unrolled: 1-line block ×10, first 2 shown]
	v_mov_b32_e32 v2, 0
	s_mov_b32 s2, exec_lo
	ds_load_b128 v[128:131], v2 offset:1008
	s_clause 0x2
	scratch_load_b128 v[132:135], off, off offset:512
	scratch_load_b128 v[136:139], off, off offset:336
	;; [unrolled: 1-line block ×3, first 2 shown]
	s_wait_loadcnt_dscnt 0xc00
	v_mul_f64_e32 v[148:149], v[130:131], v[6:7]
	v_mul_f64_e32 v[152:153], v[128:129], v[6:7]
	ds_load_b128 v[140:143], v2 offset:1024
	v_fma_f64 v[156:157], v[128:129], v[4:5], -v[148:149]
	v_fmac_f64_e32 v[152:153], v[130:131], v[4:5]
	ds_load_b128 v[4:7], v2 offset:1040
	s_wait_loadcnt_dscnt 0xb01
	v_mul_f64_e32 v[154:155], v[140:141], v[10:11]
	v_mul_f64_e32 v[10:11], v[142:143], v[10:11]
	scratch_load_b128 v[128:131], off, off offset:544
	ds_load_b128 v[148:151], v2 offset:1056
	s_wait_loadcnt_dscnt 0xb01
	v_mul_f64_e32 v[158:159], v[4:5], v[14:15]
	v_mul_f64_e32 v[14:15], v[6:7], v[14:15]
	v_add_f64_e32 v[152:153], 0, v[152:153]
	v_fmac_f64_e32 v[154:155], v[142:143], v[8:9]
	v_fma_f64 v[140:141], v[140:141], v[8:9], -v[10:11]
	v_add_f64_e32 v[142:143], 0, v[156:157]
	scratch_load_b128 v[8:11], off, off offset:560
	v_fmac_f64_e32 v[158:159], v[6:7], v[12:13]
	v_fma_f64 v[160:161], v[4:5], v[12:13], -v[14:15]
	ds_load_b128 v[4:7], v2 offset:1072
	s_wait_loadcnt_dscnt 0xb01
	v_mul_f64_e32 v[156:157], v[148:149], v[18:19]
	v_mul_f64_e32 v[18:19], v[150:151], v[18:19]
	scratch_load_b128 v[12:15], off, off offset:576
	v_add_f64_e32 v[152:153], v[152:153], v[154:155]
	v_add_f64_e32 v[162:163], v[142:143], v[140:141]
	ds_load_b128 v[140:143], v2 offset:1088
	s_wait_loadcnt_dscnt 0xb01
	v_mul_f64_e32 v[154:155], v[4:5], v[22:23]
	v_mul_f64_e32 v[22:23], v[6:7], v[22:23]
	v_fmac_f64_e32 v[156:157], v[150:151], v[16:17]
	v_fma_f64 v[148:149], v[148:149], v[16:17], -v[18:19]
	scratch_load_b128 v[16:19], off, off offset:592
	v_add_f64_e32 v[152:153], v[152:153], v[158:159]
	v_add_f64_e32 v[150:151], v[162:163], v[160:161]
	v_fmac_f64_e32 v[154:155], v[6:7], v[20:21]
	v_fma_f64 v[160:161], v[4:5], v[20:21], -v[22:23]
	ds_load_b128 v[4:7], v2 offset:1104
	s_wait_loadcnt_dscnt 0xb01
	v_mul_f64_e32 v[158:159], v[140:141], v[110:111]
	v_mul_f64_e32 v[110:111], v[142:143], v[110:111]
	scratch_load_b128 v[20:23], off, off offset:608
	v_add_f64_e32 v[152:153], v[152:153], v[156:157]
	s_wait_loadcnt_dscnt 0xb00
	v_mul_f64_e32 v[156:157], v[4:5], v[114:115]
	v_add_f64_e32 v[162:163], v[150:151], v[148:149]
	v_mul_f64_e32 v[114:115], v[6:7], v[114:115]
	ds_load_b128 v[148:151], v2 offset:1120
	v_fmac_f64_e32 v[158:159], v[142:143], v[108:109]
	v_fma_f64 v[140:141], v[140:141], v[108:109], -v[110:111]
	scratch_load_b128 v[108:111], off, off offset:624
	v_add_f64_e32 v[152:153], v[152:153], v[154:155]
	v_fmac_f64_e32 v[156:157], v[6:7], v[112:113]
	v_add_f64_e32 v[142:143], v[162:163], v[160:161]
	v_fma_f64 v[160:161], v[4:5], v[112:113], -v[114:115]
	ds_load_b128 v[4:7], v2 offset:1136
	s_wait_loadcnt_dscnt 0xb01
	v_mul_f64_e32 v[154:155], v[148:149], v[118:119]
	v_mul_f64_e32 v[118:119], v[150:151], v[118:119]
	scratch_load_b128 v[112:115], off, off offset:640
	v_add_f64_e32 v[152:153], v[152:153], v[158:159]
	s_wait_loadcnt_dscnt 0xb00
	v_mul_f64_e32 v[158:159], v[4:5], v[122:123]
	v_add_f64_e32 v[162:163], v[142:143], v[140:141]
	v_mul_f64_e32 v[122:123], v[6:7], v[122:123]
	ds_load_b128 v[140:143], v2 offset:1152
	v_fmac_f64_e32 v[154:155], v[150:151], v[116:117]
	v_fma_f64 v[116:117], v[148:149], v[116:117], -v[118:119]
	s_wait_loadcnt_dscnt 0xa00
	v_mul_f64_e32 v[150:151], v[140:141], v[126:127]
	v_mul_f64_e32 v[126:127], v[142:143], v[126:127]
	v_add_f64_e32 v[148:149], v[152:153], v[156:157]
	v_fmac_f64_e32 v[158:159], v[6:7], v[120:121]
	v_add_f64_e32 v[118:119], v[162:163], v[160:161]
	v_fma_f64 v[120:121], v[4:5], v[120:121], -v[122:123]
	v_fmac_f64_e32 v[150:151], v[142:143], v[124:125]
	v_fma_f64 v[124:125], v[140:141], v[124:125], -v[126:127]
	v_add_f64_e32 v[148:149], v[148:149], v[154:155]
	v_add_f64_e32 v[122:123], v[118:119], v[116:117]
	ds_load_b128 v[4:7], v2 offset:1168
	ds_load_b128 v[116:119], v2 offset:1184
	s_wait_loadcnt_dscnt 0x901
	v_mul_f64_e32 v[152:153], v[4:5], v[134:135]
	v_mul_f64_e32 v[134:135], v[6:7], v[134:135]
	s_wait_loadcnt_dscnt 0x700
	v_mul_f64_e32 v[126:127], v[116:117], v[146:147]
	v_mul_f64_e32 v[140:141], v[118:119], v[146:147]
	v_add_f64_e32 v[120:121], v[122:123], v[120:121]
	v_add_f64_e32 v[122:123], v[148:149], v[158:159]
	v_fmac_f64_e32 v[152:153], v[6:7], v[132:133]
	v_fma_f64 v[132:133], v[4:5], v[132:133], -v[134:135]
	v_fmac_f64_e32 v[126:127], v[118:119], v[144:145]
	v_fma_f64 v[116:117], v[116:117], v[144:145], -v[140:141]
	v_add_f64_e32 v[124:125], v[120:121], v[124:125]
	v_add_f64_e32 v[134:135], v[122:123], v[150:151]
	ds_load_b128 v[4:7], v2 offset:1200
	ds_load_b128 v[120:123], v2 offset:1216
	s_wait_loadcnt_dscnt 0x601
	v_mul_f64_e32 v[142:143], v[4:5], v[130:131]
	v_mul_f64_e32 v[130:131], v[6:7], v[130:131]
	v_add_f64_e32 v[118:119], v[124:125], v[132:133]
	v_add_f64_e32 v[124:125], v[134:135], v[152:153]
	s_wait_loadcnt_dscnt 0x500
	v_mul_f64_e32 v[132:133], v[120:121], v[10:11]
	v_mul_f64_e32 v[10:11], v[122:123], v[10:11]
	v_fmac_f64_e32 v[142:143], v[6:7], v[128:129]
	v_fma_f64 v[128:129], v[4:5], v[128:129], -v[130:131]
	v_add_f64_e32 v[130:131], v[118:119], v[116:117]
	v_add_f64_e32 v[124:125], v[124:125], v[126:127]
	ds_load_b128 v[4:7], v2 offset:1232
	ds_load_b128 v[116:119], v2 offset:1248
	v_fmac_f64_e32 v[132:133], v[122:123], v[8:9]
	v_fma_f64 v[8:9], v[120:121], v[8:9], -v[10:11]
	s_wait_loadcnt_dscnt 0x401
	v_mul_f64_e32 v[126:127], v[4:5], v[14:15]
	v_mul_f64_e32 v[14:15], v[6:7], v[14:15]
	s_wait_loadcnt_dscnt 0x300
	v_mul_f64_e32 v[122:123], v[116:117], v[18:19]
	v_mul_f64_e32 v[18:19], v[118:119], v[18:19]
	v_add_f64_e32 v[10:11], v[130:131], v[128:129]
	v_add_f64_e32 v[120:121], v[124:125], v[142:143]
	v_fmac_f64_e32 v[126:127], v[6:7], v[12:13]
	v_fma_f64 v[12:13], v[4:5], v[12:13], -v[14:15]
	v_fmac_f64_e32 v[122:123], v[118:119], v[16:17]
	v_fma_f64 v[16:17], v[116:117], v[16:17], -v[18:19]
	v_add_f64_e32 v[14:15], v[10:11], v[8:9]
	v_add_f64_e32 v[120:121], v[120:121], v[132:133]
	ds_load_b128 v[4:7], v2 offset:1264
	ds_load_b128 v[8:11], v2 offset:1280
	s_wait_loadcnt_dscnt 0x201
	v_mul_f64_e32 v[124:125], v[4:5], v[22:23]
	v_mul_f64_e32 v[22:23], v[6:7], v[22:23]
	s_wait_loadcnt_dscnt 0x100
	v_mul_f64_e32 v[18:19], v[8:9], v[110:111]
	v_mul_f64_e32 v[110:111], v[10:11], v[110:111]
	v_add_f64_e32 v[12:13], v[14:15], v[12:13]
	v_add_f64_e32 v[14:15], v[120:121], v[126:127]
	v_fmac_f64_e32 v[124:125], v[6:7], v[20:21]
	v_fma_f64 v[20:21], v[4:5], v[20:21], -v[22:23]
	ds_load_b128 v[4:7], v2 offset:1296
	v_fmac_f64_e32 v[18:19], v[10:11], v[108:109]
	v_fma_f64 v[8:9], v[8:9], v[108:109], -v[110:111]
	v_add_f64_e32 v[12:13], v[12:13], v[16:17]
	v_add_f64_e32 v[14:15], v[14:15], v[122:123]
	s_wait_loadcnt_dscnt 0x0
	v_mul_f64_e32 v[16:17], v[4:5], v[114:115]
	v_mul_f64_e32 v[22:23], v[6:7], v[114:115]
	s_delay_alu instid0(VALU_DEP_4) | instskip(NEXT) | instid1(VALU_DEP_4)
	v_add_f64_e32 v[10:11], v[12:13], v[20:21]
	v_add_f64_e32 v[12:13], v[14:15], v[124:125]
	s_delay_alu instid0(VALU_DEP_4) | instskip(NEXT) | instid1(VALU_DEP_4)
	v_fmac_f64_e32 v[16:17], v[6:7], v[112:113]
	v_fma_f64 v[4:5], v[4:5], v[112:113], -v[22:23]
	s_delay_alu instid0(VALU_DEP_4) | instskip(NEXT) | instid1(VALU_DEP_4)
	v_add_f64_e32 v[6:7], v[10:11], v[8:9]
	v_add_f64_e32 v[8:9], v[12:13], v[18:19]
	s_delay_alu instid0(VALU_DEP_2) | instskip(NEXT) | instid1(VALU_DEP_2)
	v_add_f64_e32 v[4:5], v[6:7], v[4:5]
	v_add_f64_e32 v[6:7], v[8:9], v[16:17]
	s_delay_alu instid0(VALU_DEP_2) | instskip(NEXT) | instid1(VALU_DEP_2)
	v_add_f64_e64 v[4:5], v[136:137], -v[4:5]
	v_add_f64_e64 v[6:7], v[138:139], -v[6:7]
	scratch_store_b128 off, v[4:7], off offset:336
	s_wait_xcnt 0x0
	v_cmpx_lt_u32_e32 20, v1
	s_cbranch_execz .LBB104_219
; %bb.218:
	scratch_load_b128 v[6:9], off, s37
	v_dual_mov_b32 v3, v2 :: v_dual_mov_b32 v4, v2
	v_mov_b32_e32 v5, v2
	scratch_store_b128 off, v[2:5], off offset:320
	s_wait_loadcnt 0x0
	ds_store_b128 v106, v[6:9]
.LBB104_219:
	s_wait_xcnt 0x0
	s_or_b32 exec_lo, exec_lo, s2
	s_wait_storecnt_dscnt 0x0
	s_barrier_signal -1
	s_barrier_wait -1
	s_clause 0x9
	scratch_load_b128 v[4:7], off, off offset:336
	scratch_load_b128 v[8:11], off, off offset:352
	;; [unrolled: 1-line block ×10, first 2 shown]
	ds_load_b128 v[128:131], v2 offset:992
	ds_load_b128 v[136:139], v2 offset:1008
	s_clause 0x2
	scratch_load_b128 v[132:135], off, off offset:496
	scratch_load_b128 v[140:143], off, off offset:320
	;; [unrolled: 1-line block ×3, first 2 shown]
	s_mov_b32 s2, exec_lo
	s_wait_loadcnt_dscnt 0xc01
	v_mul_f64_e32 v[148:149], v[130:131], v[6:7]
	v_mul_f64_e32 v[152:153], v[128:129], v[6:7]
	s_wait_loadcnt_dscnt 0xb00
	v_mul_f64_e32 v[154:155], v[136:137], v[10:11]
	v_mul_f64_e32 v[10:11], v[138:139], v[10:11]
	s_delay_alu instid0(VALU_DEP_4) | instskip(NEXT) | instid1(VALU_DEP_4)
	v_fma_f64 v[156:157], v[128:129], v[4:5], -v[148:149]
	v_fmac_f64_e32 v[152:153], v[130:131], v[4:5]
	ds_load_b128 v[4:7], v2 offset:1024
	ds_load_b128 v[128:131], v2 offset:1040
	scratch_load_b128 v[148:151], off, off offset:528
	v_fmac_f64_e32 v[154:155], v[138:139], v[8:9]
	v_fma_f64 v[136:137], v[136:137], v[8:9], -v[10:11]
	scratch_load_b128 v[8:11], off, off offset:544
	s_wait_loadcnt_dscnt 0xc01
	v_mul_f64_e32 v[158:159], v[4:5], v[14:15]
	v_mul_f64_e32 v[14:15], v[6:7], v[14:15]
	v_add_f64_e32 v[138:139], 0, v[156:157]
	v_add_f64_e32 v[152:153], 0, v[152:153]
	s_wait_loadcnt_dscnt 0xb00
	v_mul_f64_e32 v[156:157], v[128:129], v[18:19]
	v_mul_f64_e32 v[18:19], v[130:131], v[18:19]
	v_fmac_f64_e32 v[158:159], v[6:7], v[12:13]
	v_fma_f64 v[160:161], v[4:5], v[12:13], -v[14:15]
	ds_load_b128 v[4:7], v2 offset:1056
	ds_load_b128 v[12:15], v2 offset:1072
	v_add_f64_e32 v[162:163], v[138:139], v[136:137]
	v_add_f64_e32 v[152:153], v[152:153], v[154:155]
	scratch_load_b128 v[136:139], off, off offset:560
	v_fmac_f64_e32 v[156:157], v[130:131], v[16:17]
	v_fma_f64 v[128:129], v[128:129], v[16:17], -v[18:19]
	scratch_load_b128 v[16:19], off, off offset:576
	s_wait_loadcnt_dscnt 0xc01
	v_mul_f64_e32 v[154:155], v[4:5], v[22:23]
	v_mul_f64_e32 v[22:23], v[6:7], v[22:23]
	v_add_f64_e32 v[130:131], v[162:163], v[160:161]
	v_add_f64_e32 v[152:153], v[152:153], v[158:159]
	s_wait_loadcnt_dscnt 0xb00
	v_mul_f64_e32 v[158:159], v[12:13], v[110:111]
	v_mul_f64_e32 v[110:111], v[14:15], v[110:111]
	v_fmac_f64_e32 v[154:155], v[6:7], v[20:21]
	v_fma_f64 v[160:161], v[4:5], v[20:21], -v[22:23]
	ds_load_b128 v[4:7], v2 offset:1088
	ds_load_b128 v[20:23], v2 offset:1104
	v_add_f64_e32 v[162:163], v[130:131], v[128:129]
	v_add_f64_e32 v[152:153], v[152:153], v[156:157]
	scratch_load_b128 v[128:131], off, off offset:592
	s_wait_loadcnt_dscnt 0xb01
	v_mul_f64_e32 v[156:157], v[4:5], v[114:115]
	v_mul_f64_e32 v[114:115], v[6:7], v[114:115]
	v_fmac_f64_e32 v[158:159], v[14:15], v[108:109]
	v_fma_f64 v[108:109], v[12:13], v[108:109], -v[110:111]
	scratch_load_b128 v[12:15], off, off offset:608
	v_add_f64_e32 v[110:111], v[162:163], v[160:161]
	v_add_f64_e32 v[152:153], v[152:153], v[154:155]
	s_wait_loadcnt_dscnt 0xb00
	v_mul_f64_e32 v[154:155], v[20:21], v[118:119]
	v_mul_f64_e32 v[118:119], v[22:23], v[118:119]
	v_fmac_f64_e32 v[156:157], v[6:7], v[112:113]
	v_fma_f64 v[160:161], v[4:5], v[112:113], -v[114:115]
	v_add_f64_e32 v[162:163], v[110:111], v[108:109]
	v_add_f64_e32 v[152:153], v[152:153], v[158:159]
	ds_load_b128 v[4:7], v2 offset:1120
	ds_load_b128 v[108:111], v2 offset:1136
	scratch_load_b128 v[112:115], off, off offset:624
	v_fmac_f64_e32 v[154:155], v[22:23], v[116:117]
	v_fma_f64 v[116:117], v[20:21], v[116:117], -v[118:119]
	scratch_load_b128 v[20:23], off, off offset:640
	s_wait_loadcnt_dscnt 0xc01
	v_mul_f64_e32 v[158:159], v[4:5], v[122:123]
	v_mul_f64_e32 v[122:123], v[6:7], v[122:123]
	v_add_f64_e32 v[118:119], v[162:163], v[160:161]
	v_add_f64_e32 v[152:153], v[152:153], v[156:157]
	s_wait_loadcnt_dscnt 0xb00
	v_mul_f64_e32 v[156:157], v[108:109], v[126:127]
	v_mul_f64_e32 v[126:127], v[110:111], v[126:127]
	v_fmac_f64_e32 v[158:159], v[6:7], v[120:121]
	v_fma_f64 v[120:121], v[4:5], v[120:121], -v[122:123]
	v_add_f64_e32 v[122:123], v[118:119], v[116:117]
	v_add_f64_e32 v[152:153], v[152:153], v[154:155]
	ds_load_b128 v[4:7], v2 offset:1152
	ds_load_b128 v[116:119], v2 offset:1168
	v_fmac_f64_e32 v[156:157], v[110:111], v[124:125]
	v_fma_f64 v[108:109], v[108:109], v[124:125], -v[126:127]
	s_wait_loadcnt_dscnt 0xa01
	v_mul_f64_e32 v[154:155], v[4:5], v[134:135]
	v_mul_f64_e32 v[134:135], v[6:7], v[134:135]
	s_wait_loadcnt_dscnt 0x800
	v_mul_f64_e32 v[124:125], v[118:119], v[146:147]
	v_add_f64_e32 v[110:111], v[122:123], v[120:121]
	v_add_f64_e32 v[120:121], v[152:153], v[158:159]
	v_mul_f64_e32 v[122:123], v[116:117], v[146:147]
	v_fmac_f64_e32 v[154:155], v[6:7], v[132:133]
	v_fma_f64 v[126:127], v[4:5], v[132:133], -v[134:135]
	v_fma_f64 v[116:117], v[116:117], v[144:145], -v[124:125]
	v_add_f64_e32 v[132:133], v[110:111], v[108:109]
	v_add_f64_e32 v[120:121], v[120:121], v[156:157]
	ds_load_b128 v[4:7], v2 offset:1184
	ds_load_b128 v[108:111], v2 offset:1200
	v_fmac_f64_e32 v[122:123], v[118:119], v[144:145]
	s_wait_loadcnt_dscnt 0x701
	v_mul_f64_e32 v[134:135], v[4:5], v[150:151]
	v_mul_f64_e32 v[146:147], v[6:7], v[150:151]
	s_wait_loadcnt_dscnt 0x600
	v_mul_f64_e32 v[124:125], v[108:109], v[10:11]
	v_mul_f64_e32 v[10:11], v[110:111], v[10:11]
	v_add_f64_e32 v[118:119], v[132:133], v[126:127]
	v_add_f64_e32 v[120:121], v[120:121], v[154:155]
	v_fmac_f64_e32 v[134:135], v[6:7], v[148:149]
	v_fma_f64 v[126:127], v[4:5], v[148:149], -v[146:147]
	v_fmac_f64_e32 v[124:125], v[110:111], v[8:9]
	v_fma_f64 v[8:9], v[108:109], v[8:9], -v[10:11]
	v_add_f64_e32 v[132:133], v[118:119], v[116:117]
	v_add_f64_e32 v[120:121], v[120:121], v[122:123]
	ds_load_b128 v[4:7], v2 offset:1216
	ds_load_b128 v[116:119], v2 offset:1232
	s_wait_loadcnt_dscnt 0x501
	v_mul_f64_e32 v[122:123], v[4:5], v[138:139]
	v_mul_f64_e32 v[138:139], v[6:7], v[138:139]
	s_wait_loadcnt_dscnt 0x400
	v_mul_f64_e32 v[110:111], v[116:117], v[18:19]
	v_mul_f64_e32 v[18:19], v[118:119], v[18:19]
	v_add_f64_e32 v[10:11], v[132:133], v[126:127]
	v_add_f64_e32 v[108:109], v[120:121], v[134:135]
	v_fmac_f64_e32 v[122:123], v[6:7], v[136:137]
	v_fma_f64 v[120:121], v[4:5], v[136:137], -v[138:139]
	v_fmac_f64_e32 v[110:111], v[118:119], v[16:17]
	v_fma_f64 v[16:17], v[116:117], v[16:17], -v[18:19]
	v_add_f64_e32 v[126:127], v[10:11], v[8:9]
	v_add_f64_e32 v[108:109], v[108:109], v[124:125]
	ds_load_b128 v[4:7], v2 offset:1248
	ds_load_b128 v[8:11], v2 offset:1264
	s_wait_loadcnt_dscnt 0x301
	v_mul_f64_e32 v[124:125], v[4:5], v[130:131]
	v_mul_f64_e32 v[130:131], v[6:7], v[130:131]
	s_wait_loadcnt_dscnt 0x200
	v_mul_f64_e32 v[116:117], v[8:9], v[14:15]
	v_mul_f64_e32 v[118:119], v[10:11], v[14:15]
	v_add_f64_e32 v[18:19], v[126:127], v[120:121]
	v_add_f64_e32 v[108:109], v[108:109], v[122:123]
	v_fmac_f64_e32 v[124:125], v[6:7], v[128:129]
	v_fma_f64 v[120:121], v[4:5], v[128:129], -v[130:131]
	v_fmac_f64_e32 v[116:117], v[10:11], v[12:13]
	v_fma_f64 v[8:9], v[8:9], v[12:13], -v[118:119]
	v_add_f64_e32 v[18:19], v[18:19], v[16:17]
	v_add_f64_e32 v[108:109], v[108:109], v[110:111]
	ds_load_b128 v[4:7], v2 offset:1280
	ds_load_b128 v[14:17], v2 offset:1296
	s_wait_loadcnt_dscnt 0x101
	v_mul_f64_e32 v[2:3], v[4:5], v[114:115]
	v_mul_f64_e32 v[110:111], v[6:7], v[114:115]
	v_add_f64_e32 v[10:11], v[18:19], v[120:121]
	v_add_f64_e32 v[12:13], v[108:109], v[124:125]
	s_wait_loadcnt_dscnt 0x0
	v_mul_f64_e32 v[18:19], v[14:15], v[22:23]
	v_mul_f64_e32 v[22:23], v[16:17], v[22:23]
	v_fmac_f64_e32 v[2:3], v[6:7], v[112:113]
	v_fma_f64 v[4:5], v[4:5], v[112:113], -v[110:111]
	v_add_f64_e32 v[6:7], v[10:11], v[8:9]
	v_add_f64_e32 v[8:9], v[12:13], v[116:117]
	v_fmac_f64_e32 v[18:19], v[16:17], v[20:21]
	v_fma_f64 v[10:11], v[14:15], v[20:21], -v[22:23]
	s_delay_alu instid0(VALU_DEP_4) | instskip(NEXT) | instid1(VALU_DEP_4)
	v_add_f64_e32 v[4:5], v[6:7], v[4:5]
	v_add_f64_e32 v[2:3], v[8:9], v[2:3]
	s_delay_alu instid0(VALU_DEP_2) | instskip(NEXT) | instid1(VALU_DEP_2)
	v_add_f64_e32 v[4:5], v[4:5], v[10:11]
	v_add_f64_e32 v[6:7], v[2:3], v[18:19]
	s_delay_alu instid0(VALU_DEP_2) | instskip(NEXT) | instid1(VALU_DEP_2)
	v_add_f64_e64 v[2:3], v[140:141], -v[4:5]
	v_add_f64_e64 v[4:5], v[142:143], -v[6:7]
	scratch_store_b128 off, v[2:5], off offset:320
	s_wait_xcnt 0x0
	v_cmpx_lt_u32_e32 19, v1
	s_cbranch_execz .LBB104_221
; %bb.220:
	scratch_load_b128 v[2:5], off, s38
	v_mov_b32_e32 v6, 0
	s_delay_alu instid0(VALU_DEP_1)
	v_dual_mov_b32 v7, v6 :: v_dual_mov_b32 v8, v6
	v_mov_b32_e32 v9, v6
	scratch_store_b128 off, v[6:9], off offset:304
	s_wait_loadcnt 0x0
	ds_store_b128 v106, v[2:5]
.LBB104_221:
	s_wait_xcnt 0x0
	s_or_b32 exec_lo, exec_lo, s2
	s_wait_storecnt_dscnt 0x0
	s_barrier_signal -1
	s_barrier_wait -1
	s_clause 0x9
	scratch_load_b128 v[4:7], off, off offset:320
	scratch_load_b128 v[8:11], off, off offset:336
	;; [unrolled: 1-line block ×10, first 2 shown]
	v_mov_b32_e32 v2, 0
	s_mov_b32 s2, exec_lo
	ds_load_b128 v[128:131], v2 offset:976
	s_clause 0x2
	scratch_load_b128 v[132:135], off, off offset:480
	scratch_load_b128 v[136:139], off, off offset:304
	;; [unrolled: 1-line block ×3, first 2 shown]
	s_wait_loadcnt_dscnt 0xc00
	v_mul_f64_e32 v[148:149], v[130:131], v[6:7]
	v_mul_f64_e32 v[152:153], v[128:129], v[6:7]
	ds_load_b128 v[140:143], v2 offset:992
	v_fma_f64 v[156:157], v[128:129], v[4:5], -v[148:149]
	v_fmac_f64_e32 v[152:153], v[130:131], v[4:5]
	ds_load_b128 v[4:7], v2 offset:1008
	s_wait_loadcnt_dscnt 0xb01
	v_mul_f64_e32 v[154:155], v[140:141], v[10:11]
	v_mul_f64_e32 v[10:11], v[142:143], v[10:11]
	scratch_load_b128 v[128:131], off, off offset:512
	ds_load_b128 v[148:151], v2 offset:1024
	s_wait_loadcnt_dscnt 0xb01
	v_mul_f64_e32 v[158:159], v[4:5], v[14:15]
	v_mul_f64_e32 v[14:15], v[6:7], v[14:15]
	v_add_f64_e32 v[152:153], 0, v[152:153]
	v_fmac_f64_e32 v[154:155], v[142:143], v[8:9]
	v_fma_f64 v[140:141], v[140:141], v[8:9], -v[10:11]
	v_add_f64_e32 v[142:143], 0, v[156:157]
	scratch_load_b128 v[8:11], off, off offset:528
	v_fmac_f64_e32 v[158:159], v[6:7], v[12:13]
	v_fma_f64 v[160:161], v[4:5], v[12:13], -v[14:15]
	ds_load_b128 v[4:7], v2 offset:1040
	s_wait_loadcnt_dscnt 0xb01
	v_mul_f64_e32 v[156:157], v[148:149], v[18:19]
	v_mul_f64_e32 v[18:19], v[150:151], v[18:19]
	scratch_load_b128 v[12:15], off, off offset:544
	v_add_f64_e32 v[152:153], v[152:153], v[154:155]
	v_add_f64_e32 v[162:163], v[142:143], v[140:141]
	ds_load_b128 v[140:143], v2 offset:1056
	s_wait_loadcnt_dscnt 0xb01
	v_mul_f64_e32 v[154:155], v[4:5], v[22:23]
	v_mul_f64_e32 v[22:23], v[6:7], v[22:23]
	v_fmac_f64_e32 v[156:157], v[150:151], v[16:17]
	v_fma_f64 v[148:149], v[148:149], v[16:17], -v[18:19]
	scratch_load_b128 v[16:19], off, off offset:560
	v_add_f64_e32 v[152:153], v[152:153], v[158:159]
	v_add_f64_e32 v[150:151], v[162:163], v[160:161]
	v_fmac_f64_e32 v[154:155], v[6:7], v[20:21]
	v_fma_f64 v[160:161], v[4:5], v[20:21], -v[22:23]
	ds_load_b128 v[4:7], v2 offset:1072
	s_wait_loadcnt_dscnt 0xb01
	v_mul_f64_e32 v[158:159], v[140:141], v[110:111]
	v_mul_f64_e32 v[110:111], v[142:143], v[110:111]
	scratch_load_b128 v[20:23], off, off offset:576
	v_add_f64_e32 v[152:153], v[152:153], v[156:157]
	s_wait_loadcnt_dscnt 0xb00
	v_mul_f64_e32 v[156:157], v[4:5], v[114:115]
	v_add_f64_e32 v[162:163], v[150:151], v[148:149]
	v_mul_f64_e32 v[114:115], v[6:7], v[114:115]
	ds_load_b128 v[148:151], v2 offset:1088
	v_fmac_f64_e32 v[158:159], v[142:143], v[108:109]
	v_fma_f64 v[140:141], v[140:141], v[108:109], -v[110:111]
	scratch_load_b128 v[108:111], off, off offset:592
	v_add_f64_e32 v[152:153], v[152:153], v[154:155]
	v_fmac_f64_e32 v[156:157], v[6:7], v[112:113]
	v_add_f64_e32 v[142:143], v[162:163], v[160:161]
	v_fma_f64 v[160:161], v[4:5], v[112:113], -v[114:115]
	ds_load_b128 v[4:7], v2 offset:1104
	s_wait_loadcnt_dscnt 0xb01
	v_mul_f64_e32 v[154:155], v[148:149], v[118:119]
	v_mul_f64_e32 v[118:119], v[150:151], v[118:119]
	scratch_load_b128 v[112:115], off, off offset:608
	v_add_f64_e32 v[152:153], v[152:153], v[158:159]
	s_wait_loadcnt_dscnt 0xb00
	v_mul_f64_e32 v[158:159], v[4:5], v[122:123]
	v_add_f64_e32 v[162:163], v[142:143], v[140:141]
	v_mul_f64_e32 v[122:123], v[6:7], v[122:123]
	ds_load_b128 v[140:143], v2 offset:1120
	v_fmac_f64_e32 v[154:155], v[150:151], v[116:117]
	v_fma_f64 v[148:149], v[148:149], v[116:117], -v[118:119]
	scratch_load_b128 v[116:119], off, off offset:624
	v_add_f64_e32 v[152:153], v[152:153], v[156:157]
	v_fmac_f64_e32 v[158:159], v[6:7], v[120:121]
	v_add_f64_e32 v[150:151], v[162:163], v[160:161]
	v_fma_f64 v[160:161], v[4:5], v[120:121], -v[122:123]
	ds_load_b128 v[4:7], v2 offset:1136
	s_wait_loadcnt_dscnt 0xb01
	v_mul_f64_e32 v[156:157], v[140:141], v[126:127]
	v_mul_f64_e32 v[126:127], v[142:143], v[126:127]
	scratch_load_b128 v[120:123], off, off offset:640
	v_add_f64_e32 v[152:153], v[152:153], v[154:155]
	s_wait_loadcnt_dscnt 0xb00
	v_mul_f64_e32 v[154:155], v[4:5], v[134:135]
	v_add_f64_e32 v[162:163], v[150:151], v[148:149]
	v_mul_f64_e32 v[134:135], v[6:7], v[134:135]
	ds_load_b128 v[148:151], v2 offset:1152
	v_fmac_f64_e32 v[156:157], v[142:143], v[124:125]
	v_fma_f64 v[124:125], v[140:141], v[124:125], -v[126:127]
	s_wait_loadcnt_dscnt 0x900
	v_mul_f64_e32 v[142:143], v[148:149], v[146:147]
	v_mul_f64_e32 v[146:147], v[150:151], v[146:147]
	v_add_f64_e32 v[140:141], v[152:153], v[158:159]
	v_fmac_f64_e32 v[154:155], v[6:7], v[132:133]
	v_add_f64_e32 v[126:127], v[162:163], v[160:161]
	v_fma_f64 v[132:133], v[4:5], v[132:133], -v[134:135]
	v_fmac_f64_e32 v[142:143], v[150:151], v[144:145]
	v_fma_f64 v[144:145], v[148:149], v[144:145], -v[146:147]
	v_add_f64_e32 v[140:141], v[140:141], v[156:157]
	v_add_f64_e32 v[134:135], v[126:127], v[124:125]
	ds_load_b128 v[4:7], v2 offset:1168
	ds_load_b128 v[124:127], v2 offset:1184
	s_wait_loadcnt_dscnt 0x801
	v_mul_f64_e32 v[152:153], v[4:5], v[130:131]
	v_mul_f64_e32 v[130:131], v[6:7], v[130:131]
	v_add_f64_e32 v[132:133], v[134:135], v[132:133]
	v_add_f64_e32 v[134:135], v[140:141], v[154:155]
	s_wait_loadcnt_dscnt 0x700
	v_mul_f64_e32 v[140:141], v[124:125], v[10:11]
	v_mul_f64_e32 v[10:11], v[126:127], v[10:11]
	v_fmac_f64_e32 v[152:153], v[6:7], v[128:129]
	v_fma_f64 v[146:147], v[4:5], v[128:129], -v[130:131]
	ds_load_b128 v[4:7], v2 offset:1200
	ds_load_b128 v[128:131], v2 offset:1216
	v_add_f64_e32 v[132:133], v[132:133], v[144:145]
	v_add_f64_e32 v[134:135], v[134:135], v[142:143]
	v_fmac_f64_e32 v[140:141], v[126:127], v[8:9]
	v_fma_f64 v[8:9], v[124:125], v[8:9], -v[10:11]
	s_wait_loadcnt_dscnt 0x601
	v_mul_f64_e32 v[142:143], v[4:5], v[14:15]
	v_mul_f64_e32 v[14:15], v[6:7], v[14:15]
	s_wait_loadcnt_dscnt 0x500
	v_mul_f64_e32 v[126:127], v[128:129], v[18:19]
	v_mul_f64_e32 v[18:19], v[130:131], v[18:19]
	v_add_f64_e32 v[10:11], v[132:133], v[146:147]
	v_add_f64_e32 v[124:125], v[134:135], v[152:153]
	v_fmac_f64_e32 v[142:143], v[6:7], v[12:13]
	v_fma_f64 v[12:13], v[4:5], v[12:13], -v[14:15]
	v_fmac_f64_e32 v[126:127], v[130:131], v[16:17]
	v_fma_f64 v[16:17], v[128:129], v[16:17], -v[18:19]
	v_add_f64_e32 v[14:15], v[10:11], v[8:9]
	v_add_f64_e32 v[124:125], v[124:125], v[140:141]
	ds_load_b128 v[4:7], v2 offset:1232
	ds_load_b128 v[8:11], v2 offset:1248
	s_wait_loadcnt_dscnt 0x401
	v_mul_f64_e32 v[132:133], v[4:5], v[22:23]
	v_mul_f64_e32 v[22:23], v[6:7], v[22:23]
	s_wait_loadcnt_dscnt 0x300
	v_mul_f64_e32 v[18:19], v[8:9], v[110:111]
	v_mul_f64_e32 v[110:111], v[10:11], v[110:111]
	v_add_f64_e32 v[12:13], v[14:15], v[12:13]
	v_add_f64_e32 v[14:15], v[124:125], v[142:143]
	v_fmac_f64_e32 v[132:133], v[6:7], v[20:21]
	v_fma_f64 v[20:21], v[4:5], v[20:21], -v[22:23]
	v_fmac_f64_e32 v[18:19], v[10:11], v[108:109]
	v_fma_f64 v[8:9], v[8:9], v[108:109], -v[110:111]
	v_add_f64_e32 v[16:17], v[12:13], v[16:17]
	v_add_f64_e32 v[22:23], v[14:15], v[126:127]
	ds_load_b128 v[4:7], v2 offset:1264
	ds_load_b128 v[12:15], v2 offset:1280
	s_wait_loadcnt_dscnt 0x201
	v_mul_f64_e32 v[124:125], v[4:5], v[114:115]
	v_mul_f64_e32 v[114:115], v[6:7], v[114:115]
	v_add_f64_e32 v[10:11], v[16:17], v[20:21]
	v_add_f64_e32 v[16:17], v[22:23], v[132:133]
	s_wait_loadcnt_dscnt 0x100
	v_mul_f64_e32 v[20:21], v[12:13], v[118:119]
	v_mul_f64_e32 v[22:23], v[14:15], v[118:119]
	v_fmac_f64_e32 v[124:125], v[6:7], v[112:113]
	v_fma_f64 v[108:109], v[4:5], v[112:113], -v[114:115]
	ds_load_b128 v[4:7], v2 offset:1296
	v_add_f64_e32 v[8:9], v[10:11], v[8:9]
	v_add_f64_e32 v[10:11], v[16:17], v[18:19]
	v_fmac_f64_e32 v[20:21], v[14:15], v[116:117]
	v_fma_f64 v[12:13], v[12:13], v[116:117], -v[22:23]
	s_wait_loadcnt_dscnt 0x0
	v_mul_f64_e32 v[16:17], v[4:5], v[122:123]
	v_mul_f64_e32 v[18:19], v[6:7], v[122:123]
	v_add_f64_e32 v[8:9], v[8:9], v[108:109]
	v_add_f64_e32 v[10:11], v[10:11], v[124:125]
	s_delay_alu instid0(VALU_DEP_4) | instskip(NEXT) | instid1(VALU_DEP_4)
	v_fmac_f64_e32 v[16:17], v[6:7], v[120:121]
	v_fma_f64 v[4:5], v[4:5], v[120:121], -v[18:19]
	s_delay_alu instid0(VALU_DEP_4) | instskip(NEXT) | instid1(VALU_DEP_4)
	v_add_f64_e32 v[6:7], v[8:9], v[12:13]
	v_add_f64_e32 v[8:9], v[10:11], v[20:21]
	s_delay_alu instid0(VALU_DEP_2) | instskip(NEXT) | instid1(VALU_DEP_2)
	v_add_f64_e32 v[4:5], v[6:7], v[4:5]
	v_add_f64_e32 v[6:7], v[8:9], v[16:17]
	s_delay_alu instid0(VALU_DEP_2) | instskip(NEXT) | instid1(VALU_DEP_2)
	v_add_f64_e64 v[4:5], v[136:137], -v[4:5]
	v_add_f64_e64 v[6:7], v[138:139], -v[6:7]
	scratch_store_b128 off, v[4:7], off offset:304
	s_wait_xcnt 0x0
	v_cmpx_lt_u32_e32 18, v1
	s_cbranch_execz .LBB104_223
; %bb.222:
	scratch_load_b128 v[6:9], off, s39
	v_dual_mov_b32 v3, v2 :: v_dual_mov_b32 v4, v2
	v_mov_b32_e32 v5, v2
	scratch_store_b128 off, v[2:5], off offset:288
	s_wait_loadcnt 0x0
	ds_store_b128 v106, v[6:9]
.LBB104_223:
	s_wait_xcnt 0x0
	s_or_b32 exec_lo, exec_lo, s2
	s_wait_storecnt_dscnt 0x0
	s_barrier_signal -1
	s_barrier_wait -1
	s_clause 0x9
	scratch_load_b128 v[4:7], off, off offset:304
	scratch_load_b128 v[8:11], off, off offset:320
	;; [unrolled: 1-line block ×10, first 2 shown]
	ds_load_b128 v[128:131], v2 offset:960
	ds_load_b128 v[136:139], v2 offset:976
	s_clause 0x2
	scratch_load_b128 v[132:135], off, off offset:464
	scratch_load_b128 v[140:143], off, off offset:288
	;; [unrolled: 1-line block ×3, first 2 shown]
	s_mov_b32 s2, exec_lo
	s_wait_loadcnt_dscnt 0xc01
	v_mul_f64_e32 v[148:149], v[130:131], v[6:7]
	v_mul_f64_e32 v[152:153], v[128:129], v[6:7]
	s_wait_loadcnt_dscnt 0xb00
	v_mul_f64_e32 v[154:155], v[136:137], v[10:11]
	v_mul_f64_e32 v[10:11], v[138:139], v[10:11]
	s_delay_alu instid0(VALU_DEP_4) | instskip(NEXT) | instid1(VALU_DEP_4)
	v_fma_f64 v[156:157], v[128:129], v[4:5], -v[148:149]
	v_fmac_f64_e32 v[152:153], v[130:131], v[4:5]
	ds_load_b128 v[4:7], v2 offset:992
	ds_load_b128 v[128:131], v2 offset:1008
	scratch_load_b128 v[148:151], off, off offset:496
	v_fmac_f64_e32 v[154:155], v[138:139], v[8:9]
	v_fma_f64 v[136:137], v[136:137], v[8:9], -v[10:11]
	scratch_load_b128 v[8:11], off, off offset:512
	s_wait_loadcnt_dscnt 0xc01
	v_mul_f64_e32 v[158:159], v[4:5], v[14:15]
	v_mul_f64_e32 v[14:15], v[6:7], v[14:15]
	v_add_f64_e32 v[138:139], 0, v[156:157]
	v_add_f64_e32 v[152:153], 0, v[152:153]
	s_wait_loadcnt_dscnt 0xb00
	v_mul_f64_e32 v[156:157], v[128:129], v[18:19]
	v_mul_f64_e32 v[18:19], v[130:131], v[18:19]
	v_fmac_f64_e32 v[158:159], v[6:7], v[12:13]
	v_fma_f64 v[160:161], v[4:5], v[12:13], -v[14:15]
	ds_load_b128 v[4:7], v2 offset:1024
	ds_load_b128 v[12:15], v2 offset:1040
	v_add_f64_e32 v[162:163], v[138:139], v[136:137]
	v_add_f64_e32 v[152:153], v[152:153], v[154:155]
	scratch_load_b128 v[136:139], off, off offset:528
	v_fmac_f64_e32 v[156:157], v[130:131], v[16:17]
	v_fma_f64 v[128:129], v[128:129], v[16:17], -v[18:19]
	scratch_load_b128 v[16:19], off, off offset:544
	s_wait_loadcnt_dscnt 0xc01
	v_mul_f64_e32 v[154:155], v[4:5], v[22:23]
	v_mul_f64_e32 v[22:23], v[6:7], v[22:23]
	v_add_f64_e32 v[130:131], v[162:163], v[160:161]
	v_add_f64_e32 v[152:153], v[152:153], v[158:159]
	s_wait_loadcnt_dscnt 0xb00
	v_mul_f64_e32 v[158:159], v[12:13], v[110:111]
	v_mul_f64_e32 v[110:111], v[14:15], v[110:111]
	v_fmac_f64_e32 v[154:155], v[6:7], v[20:21]
	v_fma_f64 v[160:161], v[4:5], v[20:21], -v[22:23]
	ds_load_b128 v[4:7], v2 offset:1056
	ds_load_b128 v[20:23], v2 offset:1072
	v_add_f64_e32 v[162:163], v[130:131], v[128:129]
	v_add_f64_e32 v[152:153], v[152:153], v[156:157]
	scratch_load_b128 v[128:131], off, off offset:560
	s_wait_loadcnt_dscnt 0xb01
	v_mul_f64_e32 v[156:157], v[4:5], v[114:115]
	v_mul_f64_e32 v[114:115], v[6:7], v[114:115]
	v_fmac_f64_e32 v[158:159], v[14:15], v[108:109]
	v_fma_f64 v[108:109], v[12:13], v[108:109], -v[110:111]
	scratch_load_b128 v[12:15], off, off offset:576
	v_add_f64_e32 v[110:111], v[162:163], v[160:161]
	v_add_f64_e32 v[152:153], v[152:153], v[154:155]
	s_wait_loadcnt_dscnt 0xb00
	v_mul_f64_e32 v[154:155], v[20:21], v[118:119]
	v_mul_f64_e32 v[118:119], v[22:23], v[118:119]
	v_fmac_f64_e32 v[156:157], v[6:7], v[112:113]
	v_fma_f64 v[160:161], v[4:5], v[112:113], -v[114:115]
	v_add_f64_e32 v[162:163], v[110:111], v[108:109]
	v_add_f64_e32 v[152:153], v[152:153], v[158:159]
	ds_load_b128 v[4:7], v2 offset:1088
	ds_load_b128 v[108:111], v2 offset:1104
	scratch_load_b128 v[112:115], off, off offset:592
	v_fmac_f64_e32 v[154:155], v[22:23], v[116:117]
	v_fma_f64 v[116:117], v[20:21], v[116:117], -v[118:119]
	scratch_load_b128 v[20:23], off, off offset:608
	s_wait_loadcnt_dscnt 0xc01
	v_mul_f64_e32 v[158:159], v[4:5], v[122:123]
	v_mul_f64_e32 v[122:123], v[6:7], v[122:123]
	v_add_f64_e32 v[118:119], v[162:163], v[160:161]
	v_add_f64_e32 v[152:153], v[152:153], v[156:157]
	s_wait_loadcnt_dscnt 0xb00
	v_mul_f64_e32 v[156:157], v[108:109], v[126:127]
	v_mul_f64_e32 v[126:127], v[110:111], v[126:127]
	v_fmac_f64_e32 v[158:159], v[6:7], v[120:121]
	v_fma_f64 v[160:161], v[4:5], v[120:121], -v[122:123]
	v_add_f64_e32 v[162:163], v[118:119], v[116:117]
	v_add_f64_e32 v[152:153], v[152:153], v[154:155]
	ds_load_b128 v[4:7], v2 offset:1120
	ds_load_b128 v[116:119], v2 offset:1136
	scratch_load_b128 v[120:123], off, off offset:624
	v_fmac_f64_e32 v[156:157], v[110:111], v[124:125]
	v_fma_f64 v[124:125], v[108:109], v[124:125], -v[126:127]
	scratch_load_b128 v[108:111], off, off offset:640
	s_wait_loadcnt_dscnt 0xc01
	v_mul_f64_e32 v[154:155], v[4:5], v[134:135]
	v_mul_f64_e32 v[134:135], v[6:7], v[134:135]
	v_add_f64_e32 v[126:127], v[162:163], v[160:161]
	v_add_f64_e32 v[152:153], v[152:153], v[158:159]
	s_wait_loadcnt_dscnt 0xa00
	v_mul_f64_e32 v[158:159], v[116:117], v[146:147]
	v_mul_f64_e32 v[146:147], v[118:119], v[146:147]
	v_fmac_f64_e32 v[154:155], v[6:7], v[132:133]
	v_fma_f64 v[132:133], v[4:5], v[132:133], -v[134:135]
	v_add_f64_e32 v[134:135], v[126:127], v[124:125]
	v_add_f64_e32 v[152:153], v[152:153], v[156:157]
	ds_load_b128 v[4:7], v2 offset:1152
	ds_load_b128 v[124:127], v2 offset:1168
	v_fmac_f64_e32 v[158:159], v[118:119], v[144:145]
	v_fma_f64 v[116:117], v[116:117], v[144:145], -v[146:147]
	s_wait_loadcnt_dscnt 0x901
	v_mul_f64_e32 v[156:157], v[4:5], v[150:151]
	v_mul_f64_e32 v[150:151], v[6:7], v[150:151]
	v_add_f64_e32 v[118:119], v[134:135], v[132:133]
	v_add_f64_e32 v[132:133], v[152:153], v[154:155]
	s_wait_loadcnt_dscnt 0x800
	v_mul_f64_e32 v[134:135], v[124:125], v[10:11]
	v_mul_f64_e32 v[10:11], v[126:127], v[10:11]
	v_fmac_f64_e32 v[156:157], v[6:7], v[148:149]
	v_fma_f64 v[144:145], v[4:5], v[148:149], -v[150:151]
	v_add_f64_e32 v[146:147], v[118:119], v[116:117]
	v_add_f64_e32 v[132:133], v[132:133], v[158:159]
	ds_load_b128 v[4:7], v2 offset:1184
	ds_load_b128 v[116:119], v2 offset:1200
	v_fmac_f64_e32 v[134:135], v[126:127], v[8:9]
	v_fma_f64 v[8:9], v[124:125], v[8:9], -v[10:11]
	s_wait_loadcnt_dscnt 0x701
	v_mul_f64_e32 v[148:149], v[4:5], v[138:139]
	v_mul_f64_e32 v[138:139], v[6:7], v[138:139]
	s_wait_loadcnt_dscnt 0x600
	v_mul_f64_e32 v[126:127], v[116:117], v[18:19]
	v_mul_f64_e32 v[18:19], v[118:119], v[18:19]
	v_add_f64_e32 v[10:11], v[146:147], v[144:145]
	v_add_f64_e32 v[124:125], v[132:133], v[156:157]
	v_fmac_f64_e32 v[148:149], v[6:7], v[136:137]
	v_fma_f64 v[132:133], v[4:5], v[136:137], -v[138:139]
	v_fmac_f64_e32 v[126:127], v[118:119], v[16:17]
	v_fma_f64 v[16:17], v[116:117], v[16:17], -v[18:19]
	v_add_f64_e32 v[136:137], v[10:11], v[8:9]
	v_add_f64_e32 v[124:125], v[124:125], v[134:135]
	ds_load_b128 v[4:7], v2 offset:1216
	ds_load_b128 v[8:11], v2 offset:1232
	s_wait_loadcnt_dscnt 0x501
	v_mul_f64_e32 v[134:135], v[4:5], v[130:131]
	v_mul_f64_e32 v[130:131], v[6:7], v[130:131]
	s_wait_loadcnt_dscnt 0x400
	v_mul_f64_e32 v[118:119], v[8:9], v[14:15]
	v_add_f64_e32 v[18:19], v[136:137], v[132:133]
	v_add_f64_e32 v[116:117], v[124:125], v[148:149]
	v_mul_f64_e32 v[124:125], v[10:11], v[14:15]
	v_fmac_f64_e32 v[134:135], v[6:7], v[128:129]
	v_fma_f64 v[128:129], v[4:5], v[128:129], -v[130:131]
	v_fmac_f64_e32 v[118:119], v[10:11], v[12:13]
	v_add_f64_e32 v[18:19], v[18:19], v[16:17]
	v_add_f64_e32 v[116:117], v[116:117], v[126:127]
	ds_load_b128 v[4:7], v2 offset:1248
	ds_load_b128 v[14:17], v2 offset:1264
	v_fma_f64 v[8:9], v[8:9], v[12:13], -v[124:125]
	s_wait_loadcnt_dscnt 0x301
	v_mul_f64_e32 v[126:127], v[4:5], v[114:115]
	v_mul_f64_e32 v[114:115], v[6:7], v[114:115]
	v_add_f64_e32 v[10:11], v[18:19], v[128:129]
	v_add_f64_e32 v[12:13], v[116:117], v[134:135]
	s_wait_loadcnt_dscnt 0x200
	v_mul_f64_e32 v[18:19], v[14:15], v[22:23]
	v_mul_f64_e32 v[22:23], v[16:17], v[22:23]
	v_fmac_f64_e32 v[126:127], v[6:7], v[112:113]
	v_fma_f64 v[112:113], v[4:5], v[112:113], -v[114:115]
	v_add_f64_e32 v[114:115], v[10:11], v[8:9]
	v_add_f64_e32 v[12:13], v[12:13], v[118:119]
	ds_load_b128 v[4:7], v2 offset:1280
	ds_load_b128 v[8:11], v2 offset:1296
	v_fmac_f64_e32 v[18:19], v[16:17], v[20:21]
	v_fma_f64 v[14:15], v[14:15], v[20:21], -v[22:23]
	s_wait_loadcnt_dscnt 0x101
	v_mul_f64_e32 v[2:3], v[4:5], v[122:123]
	v_mul_f64_e32 v[116:117], v[6:7], v[122:123]
	s_wait_loadcnt_dscnt 0x0
	v_mul_f64_e32 v[20:21], v[8:9], v[110:111]
	v_mul_f64_e32 v[22:23], v[10:11], v[110:111]
	v_add_f64_e32 v[16:17], v[114:115], v[112:113]
	v_add_f64_e32 v[12:13], v[12:13], v[126:127]
	v_fmac_f64_e32 v[2:3], v[6:7], v[120:121]
	v_fma_f64 v[4:5], v[4:5], v[120:121], -v[116:117]
	v_fmac_f64_e32 v[20:21], v[10:11], v[108:109]
	v_fma_f64 v[8:9], v[8:9], v[108:109], -v[22:23]
	v_add_f64_e32 v[6:7], v[16:17], v[14:15]
	v_add_f64_e32 v[12:13], v[12:13], v[18:19]
	s_delay_alu instid0(VALU_DEP_2) | instskip(NEXT) | instid1(VALU_DEP_2)
	v_add_f64_e32 v[4:5], v[6:7], v[4:5]
	v_add_f64_e32 v[2:3], v[12:13], v[2:3]
	s_delay_alu instid0(VALU_DEP_2) | instskip(NEXT) | instid1(VALU_DEP_2)
	;; [unrolled: 3-line block ×3, first 2 shown]
	v_add_f64_e64 v[2:3], v[140:141], -v[4:5]
	v_add_f64_e64 v[4:5], v[142:143], -v[6:7]
	scratch_store_b128 off, v[2:5], off offset:288
	s_wait_xcnt 0x0
	v_cmpx_lt_u32_e32 17, v1
	s_cbranch_execz .LBB104_225
; %bb.224:
	scratch_load_b128 v[2:5], off, s40
	v_mov_b32_e32 v6, 0
	s_delay_alu instid0(VALU_DEP_1)
	v_dual_mov_b32 v7, v6 :: v_dual_mov_b32 v8, v6
	v_mov_b32_e32 v9, v6
	scratch_store_b128 off, v[6:9], off offset:272
	s_wait_loadcnt 0x0
	ds_store_b128 v106, v[2:5]
.LBB104_225:
	s_wait_xcnt 0x0
	s_or_b32 exec_lo, exec_lo, s2
	s_wait_storecnt_dscnt 0x0
	s_barrier_signal -1
	s_barrier_wait -1
	s_clause 0x9
	scratch_load_b128 v[4:7], off, off offset:288
	scratch_load_b128 v[8:11], off, off offset:304
	;; [unrolled: 1-line block ×10, first 2 shown]
	v_mov_b32_e32 v2, 0
	s_mov_b32 s2, exec_lo
	ds_load_b128 v[128:131], v2 offset:944
	s_clause 0x2
	scratch_load_b128 v[132:135], off, off offset:448
	scratch_load_b128 v[136:139], off, off offset:272
	scratch_load_b128 v[144:147], off, off offset:464
	s_wait_loadcnt_dscnt 0xc00
	v_mul_f64_e32 v[148:149], v[130:131], v[6:7]
	v_mul_f64_e32 v[152:153], v[128:129], v[6:7]
	ds_load_b128 v[140:143], v2 offset:960
	v_fma_f64 v[156:157], v[128:129], v[4:5], -v[148:149]
	v_fmac_f64_e32 v[152:153], v[130:131], v[4:5]
	ds_load_b128 v[4:7], v2 offset:976
	s_wait_loadcnt_dscnt 0xb01
	v_mul_f64_e32 v[154:155], v[140:141], v[10:11]
	v_mul_f64_e32 v[10:11], v[142:143], v[10:11]
	scratch_load_b128 v[128:131], off, off offset:480
	ds_load_b128 v[148:151], v2 offset:992
	s_wait_loadcnt_dscnt 0xb01
	v_mul_f64_e32 v[158:159], v[4:5], v[14:15]
	v_mul_f64_e32 v[14:15], v[6:7], v[14:15]
	v_add_f64_e32 v[152:153], 0, v[152:153]
	v_fmac_f64_e32 v[154:155], v[142:143], v[8:9]
	v_fma_f64 v[140:141], v[140:141], v[8:9], -v[10:11]
	v_add_f64_e32 v[142:143], 0, v[156:157]
	scratch_load_b128 v[8:11], off, off offset:496
	v_fmac_f64_e32 v[158:159], v[6:7], v[12:13]
	v_fma_f64 v[160:161], v[4:5], v[12:13], -v[14:15]
	ds_load_b128 v[4:7], v2 offset:1008
	s_wait_loadcnt_dscnt 0xb01
	v_mul_f64_e32 v[156:157], v[148:149], v[18:19]
	v_mul_f64_e32 v[18:19], v[150:151], v[18:19]
	scratch_load_b128 v[12:15], off, off offset:512
	v_add_f64_e32 v[152:153], v[152:153], v[154:155]
	v_add_f64_e32 v[162:163], v[142:143], v[140:141]
	ds_load_b128 v[140:143], v2 offset:1024
	s_wait_loadcnt_dscnt 0xb01
	v_mul_f64_e32 v[154:155], v[4:5], v[22:23]
	v_mul_f64_e32 v[22:23], v[6:7], v[22:23]
	v_fmac_f64_e32 v[156:157], v[150:151], v[16:17]
	v_fma_f64 v[148:149], v[148:149], v[16:17], -v[18:19]
	scratch_load_b128 v[16:19], off, off offset:528
	v_add_f64_e32 v[152:153], v[152:153], v[158:159]
	v_add_f64_e32 v[150:151], v[162:163], v[160:161]
	v_fmac_f64_e32 v[154:155], v[6:7], v[20:21]
	v_fma_f64 v[160:161], v[4:5], v[20:21], -v[22:23]
	ds_load_b128 v[4:7], v2 offset:1040
	s_wait_loadcnt_dscnt 0xb01
	v_mul_f64_e32 v[158:159], v[140:141], v[110:111]
	v_mul_f64_e32 v[110:111], v[142:143], v[110:111]
	scratch_load_b128 v[20:23], off, off offset:544
	v_add_f64_e32 v[152:153], v[152:153], v[156:157]
	s_wait_loadcnt_dscnt 0xb00
	v_mul_f64_e32 v[156:157], v[4:5], v[114:115]
	v_add_f64_e32 v[162:163], v[150:151], v[148:149]
	v_mul_f64_e32 v[114:115], v[6:7], v[114:115]
	ds_load_b128 v[148:151], v2 offset:1056
	v_fmac_f64_e32 v[158:159], v[142:143], v[108:109]
	v_fma_f64 v[140:141], v[140:141], v[108:109], -v[110:111]
	scratch_load_b128 v[108:111], off, off offset:560
	v_add_f64_e32 v[152:153], v[152:153], v[154:155]
	v_fmac_f64_e32 v[156:157], v[6:7], v[112:113]
	v_add_f64_e32 v[142:143], v[162:163], v[160:161]
	v_fma_f64 v[160:161], v[4:5], v[112:113], -v[114:115]
	ds_load_b128 v[4:7], v2 offset:1072
	s_wait_loadcnt_dscnt 0xb01
	v_mul_f64_e32 v[154:155], v[148:149], v[118:119]
	v_mul_f64_e32 v[118:119], v[150:151], v[118:119]
	scratch_load_b128 v[112:115], off, off offset:576
	v_add_f64_e32 v[152:153], v[152:153], v[158:159]
	s_wait_loadcnt_dscnt 0xb00
	v_mul_f64_e32 v[158:159], v[4:5], v[122:123]
	v_add_f64_e32 v[162:163], v[142:143], v[140:141]
	v_mul_f64_e32 v[122:123], v[6:7], v[122:123]
	ds_load_b128 v[140:143], v2 offset:1088
	v_fmac_f64_e32 v[154:155], v[150:151], v[116:117]
	v_fma_f64 v[148:149], v[148:149], v[116:117], -v[118:119]
	scratch_load_b128 v[116:119], off, off offset:592
	v_add_f64_e32 v[152:153], v[152:153], v[156:157]
	v_fmac_f64_e32 v[158:159], v[6:7], v[120:121]
	v_add_f64_e32 v[150:151], v[162:163], v[160:161]
	;; [unrolled: 18-line block ×3, first 2 shown]
	v_fma_f64 v[160:161], v[4:5], v[132:133], -v[134:135]
	ds_load_b128 v[4:7], v2 offset:1136
	s_wait_loadcnt_dscnt 0xa01
	v_mul_f64_e32 v[158:159], v[148:149], v[146:147]
	v_mul_f64_e32 v[146:147], v[150:151], v[146:147]
	scratch_load_b128 v[132:135], off, off offset:640
	v_add_f64_e32 v[152:153], v[152:153], v[156:157]
	v_add_f64_e32 v[162:163], v[142:143], v[140:141]
	s_wait_loadcnt_dscnt 0xa00
	v_mul_f64_e32 v[156:157], v[4:5], v[130:131]
	v_mul_f64_e32 v[130:131], v[6:7], v[130:131]
	v_fmac_f64_e32 v[158:159], v[150:151], v[144:145]
	v_fma_f64 v[144:145], v[148:149], v[144:145], -v[146:147]
	ds_load_b128 v[140:143], v2 offset:1152
	v_add_f64_e32 v[148:149], v[152:153], v[154:155]
	v_add_f64_e32 v[146:147], v[162:163], v[160:161]
	s_wait_loadcnt_dscnt 0x900
	v_mul_f64_e32 v[150:151], v[140:141], v[10:11]
	v_mul_f64_e32 v[10:11], v[142:143], v[10:11]
	v_fmac_f64_e32 v[156:157], v[6:7], v[128:129]
	v_fma_f64 v[152:153], v[4:5], v[128:129], -v[130:131]
	ds_load_b128 v[4:7], v2 offset:1168
	ds_load_b128 v[128:131], v2 offset:1184
	v_add_f64_e32 v[144:145], v[146:147], v[144:145]
	v_add_f64_e32 v[146:147], v[148:149], v[158:159]
	s_wait_loadcnt_dscnt 0x801
	v_mul_f64_e32 v[148:149], v[4:5], v[14:15]
	v_mul_f64_e32 v[14:15], v[6:7], v[14:15]
	v_fmac_f64_e32 v[150:151], v[142:143], v[8:9]
	v_fma_f64 v[8:9], v[140:141], v[8:9], -v[10:11]
	s_wait_loadcnt_dscnt 0x700
	v_mul_f64_e32 v[142:143], v[128:129], v[18:19]
	v_mul_f64_e32 v[18:19], v[130:131], v[18:19]
	v_add_f64_e32 v[10:11], v[144:145], v[152:153]
	v_add_f64_e32 v[140:141], v[146:147], v[156:157]
	v_fmac_f64_e32 v[148:149], v[6:7], v[12:13]
	v_fma_f64 v[12:13], v[4:5], v[12:13], -v[14:15]
	v_fmac_f64_e32 v[142:143], v[130:131], v[16:17]
	v_fma_f64 v[16:17], v[128:129], v[16:17], -v[18:19]
	v_add_f64_e32 v[14:15], v[10:11], v[8:9]
	v_add_f64_e32 v[140:141], v[140:141], v[150:151]
	ds_load_b128 v[4:7], v2 offset:1200
	ds_load_b128 v[8:11], v2 offset:1216
	s_wait_loadcnt_dscnt 0x601
	v_mul_f64_e32 v[144:145], v[4:5], v[22:23]
	v_mul_f64_e32 v[22:23], v[6:7], v[22:23]
	s_wait_loadcnt_dscnt 0x500
	v_mul_f64_e32 v[18:19], v[8:9], v[110:111]
	v_mul_f64_e32 v[110:111], v[10:11], v[110:111]
	v_add_f64_e32 v[12:13], v[14:15], v[12:13]
	v_add_f64_e32 v[14:15], v[140:141], v[148:149]
	v_fmac_f64_e32 v[144:145], v[6:7], v[20:21]
	v_fma_f64 v[20:21], v[4:5], v[20:21], -v[22:23]
	v_fmac_f64_e32 v[18:19], v[10:11], v[108:109]
	v_fma_f64 v[8:9], v[8:9], v[108:109], -v[110:111]
	v_add_f64_e32 v[16:17], v[12:13], v[16:17]
	v_add_f64_e32 v[22:23], v[14:15], v[142:143]
	ds_load_b128 v[4:7], v2 offset:1232
	ds_load_b128 v[12:15], v2 offset:1248
	s_wait_loadcnt_dscnt 0x401
	v_mul_f64_e32 v[128:129], v[4:5], v[114:115]
	v_mul_f64_e32 v[114:115], v[6:7], v[114:115]
	v_add_f64_e32 v[10:11], v[16:17], v[20:21]
	v_add_f64_e32 v[16:17], v[22:23], v[144:145]
	s_wait_loadcnt_dscnt 0x300
	v_mul_f64_e32 v[20:21], v[12:13], v[118:119]
	v_mul_f64_e32 v[22:23], v[14:15], v[118:119]
	v_fmac_f64_e32 v[128:129], v[6:7], v[112:113]
	v_fma_f64 v[108:109], v[4:5], v[112:113], -v[114:115]
	v_add_f64_e32 v[110:111], v[10:11], v[8:9]
	v_add_f64_e32 v[16:17], v[16:17], v[18:19]
	ds_load_b128 v[4:7], v2 offset:1264
	ds_load_b128 v[8:11], v2 offset:1280
	v_fmac_f64_e32 v[20:21], v[14:15], v[116:117]
	v_fma_f64 v[12:13], v[12:13], v[116:117], -v[22:23]
	s_wait_loadcnt_dscnt 0x201
	v_mul_f64_e32 v[18:19], v[4:5], v[122:123]
	v_mul_f64_e32 v[112:113], v[6:7], v[122:123]
	s_wait_loadcnt_dscnt 0x100
	v_mul_f64_e32 v[22:23], v[8:9], v[126:127]
	v_add_f64_e32 v[14:15], v[110:111], v[108:109]
	v_add_f64_e32 v[16:17], v[16:17], v[128:129]
	v_mul_f64_e32 v[108:109], v[10:11], v[126:127]
	v_fmac_f64_e32 v[18:19], v[6:7], v[120:121]
	v_fma_f64 v[110:111], v[4:5], v[120:121], -v[112:113]
	ds_load_b128 v[4:7], v2 offset:1296
	v_fmac_f64_e32 v[22:23], v[10:11], v[124:125]
	v_add_f64_e32 v[12:13], v[14:15], v[12:13]
	v_add_f64_e32 v[14:15], v[16:17], v[20:21]
	v_fma_f64 v[8:9], v[8:9], v[124:125], -v[108:109]
	s_wait_loadcnt_dscnt 0x0
	v_mul_f64_e32 v[16:17], v[4:5], v[134:135]
	v_mul_f64_e32 v[20:21], v[6:7], v[134:135]
	v_add_f64_e32 v[10:11], v[12:13], v[110:111]
	v_add_f64_e32 v[12:13], v[14:15], v[18:19]
	s_delay_alu instid0(VALU_DEP_4) | instskip(NEXT) | instid1(VALU_DEP_4)
	v_fmac_f64_e32 v[16:17], v[6:7], v[132:133]
	v_fma_f64 v[4:5], v[4:5], v[132:133], -v[20:21]
	s_delay_alu instid0(VALU_DEP_4) | instskip(NEXT) | instid1(VALU_DEP_4)
	v_add_f64_e32 v[6:7], v[10:11], v[8:9]
	v_add_f64_e32 v[8:9], v[12:13], v[22:23]
	s_delay_alu instid0(VALU_DEP_2) | instskip(NEXT) | instid1(VALU_DEP_2)
	v_add_f64_e32 v[4:5], v[6:7], v[4:5]
	v_add_f64_e32 v[6:7], v[8:9], v[16:17]
	s_delay_alu instid0(VALU_DEP_2) | instskip(NEXT) | instid1(VALU_DEP_2)
	v_add_f64_e64 v[4:5], v[136:137], -v[4:5]
	v_add_f64_e64 v[6:7], v[138:139], -v[6:7]
	scratch_store_b128 off, v[4:7], off offset:272
	s_wait_xcnt 0x0
	v_cmpx_lt_u32_e32 16, v1
	s_cbranch_execz .LBB104_227
; %bb.226:
	scratch_load_b128 v[6:9], off, s41
	v_dual_mov_b32 v3, v2 :: v_dual_mov_b32 v4, v2
	v_mov_b32_e32 v5, v2
	scratch_store_b128 off, v[2:5], off offset:256
	s_wait_loadcnt 0x0
	ds_store_b128 v106, v[6:9]
.LBB104_227:
	s_wait_xcnt 0x0
	s_or_b32 exec_lo, exec_lo, s2
	s_wait_storecnt_dscnt 0x0
	s_barrier_signal -1
	s_barrier_wait -1
	s_clause 0x9
	scratch_load_b128 v[4:7], off, off offset:272
	scratch_load_b128 v[8:11], off, off offset:288
	;; [unrolled: 1-line block ×10, first 2 shown]
	ds_load_b128 v[128:131], v2 offset:928
	ds_load_b128 v[136:139], v2 offset:944
	s_clause 0x2
	scratch_load_b128 v[132:135], off, off offset:432
	scratch_load_b128 v[140:143], off, off offset:256
	;; [unrolled: 1-line block ×3, first 2 shown]
	s_mov_b32 s2, exec_lo
	s_wait_loadcnt_dscnt 0xc01
	v_mul_f64_e32 v[148:149], v[130:131], v[6:7]
	v_mul_f64_e32 v[152:153], v[128:129], v[6:7]
	s_wait_loadcnt_dscnt 0xb00
	v_mul_f64_e32 v[154:155], v[136:137], v[10:11]
	v_mul_f64_e32 v[10:11], v[138:139], v[10:11]
	s_delay_alu instid0(VALU_DEP_4) | instskip(NEXT) | instid1(VALU_DEP_4)
	v_fma_f64 v[156:157], v[128:129], v[4:5], -v[148:149]
	v_fmac_f64_e32 v[152:153], v[130:131], v[4:5]
	ds_load_b128 v[4:7], v2 offset:960
	ds_load_b128 v[128:131], v2 offset:976
	scratch_load_b128 v[148:151], off, off offset:464
	v_fmac_f64_e32 v[154:155], v[138:139], v[8:9]
	v_fma_f64 v[136:137], v[136:137], v[8:9], -v[10:11]
	scratch_load_b128 v[8:11], off, off offset:480
	s_wait_loadcnt_dscnt 0xc01
	v_mul_f64_e32 v[158:159], v[4:5], v[14:15]
	v_mul_f64_e32 v[14:15], v[6:7], v[14:15]
	v_add_f64_e32 v[138:139], 0, v[156:157]
	v_add_f64_e32 v[152:153], 0, v[152:153]
	s_wait_loadcnt_dscnt 0xb00
	v_mul_f64_e32 v[156:157], v[128:129], v[18:19]
	v_mul_f64_e32 v[18:19], v[130:131], v[18:19]
	v_fmac_f64_e32 v[158:159], v[6:7], v[12:13]
	v_fma_f64 v[160:161], v[4:5], v[12:13], -v[14:15]
	ds_load_b128 v[4:7], v2 offset:992
	ds_load_b128 v[12:15], v2 offset:1008
	v_add_f64_e32 v[162:163], v[138:139], v[136:137]
	v_add_f64_e32 v[152:153], v[152:153], v[154:155]
	scratch_load_b128 v[136:139], off, off offset:496
	v_fmac_f64_e32 v[156:157], v[130:131], v[16:17]
	v_fma_f64 v[128:129], v[128:129], v[16:17], -v[18:19]
	scratch_load_b128 v[16:19], off, off offset:512
	s_wait_loadcnt_dscnt 0xc01
	v_mul_f64_e32 v[154:155], v[4:5], v[22:23]
	v_mul_f64_e32 v[22:23], v[6:7], v[22:23]
	v_add_f64_e32 v[130:131], v[162:163], v[160:161]
	v_add_f64_e32 v[152:153], v[152:153], v[158:159]
	s_wait_loadcnt_dscnt 0xb00
	v_mul_f64_e32 v[158:159], v[12:13], v[110:111]
	v_mul_f64_e32 v[110:111], v[14:15], v[110:111]
	v_fmac_f64_e32 v[154:155], v[6:7], v[20:21]
	v_fma_f64 v[160:161], v[4:5], v[20:21], -v[22:23]
	ds_load_b128 v[4:7], v2 offset:1024
	ds_load_b128 v[20:23], v2 offset:1040
	v_add_f64_e32 v[162:163], v[130:131], v[128:129]
	v_add_f64_e32 v[152:153], v[152:153], v[156:157]
	scratch_load_b128 v[128:131], off, off offset:528
	s_wait_loadcnt_dscnt 0xb01
	v_mul_f64_e32 v[156:157], v[4:5], v[114:115]
	v_mul_f64_e32 v[114:115], v[6:7], v[114:115]
	v_fmac_f64_e32 v[158:159], v[14:15], v[108:109]
	v_fma_f64 v[108:109], v[12:13], v[108:109], -v[110:111]
	scratch_load_b128 v[12:15], off, off offset:544
	v_add_f64_e32 v[110:111], v[162:163], v[160:161]
	v_add_f64_e32 v[152:153], v[152:153], v[154:155]
	s_wait_loadcnt_dscnt 0xb00
	v_mul_f64_e32 v[154:155], v[20:21], v[118:119]
	v_mul_f64_e32 v[118:119], v[22:23], v[118:119]
	v_fmac_f64_e32 v[156:157], v[6:7], v[112:113]
	v_fma_f64 v[160:161], v[4:5], v[112:113], -v[114:115]
	v_add_f64_e32 v[162:163], v[110:111], v[108:109]
	v_add_f64_e32 v[152:153], v[152:153], v[158:159]
	ds_load_b128 v[4:7], v2 offset:1056
	ds_load_b128 v[108:111], v2 offset:1072
	scratch_load_b128 v[112:115], off, off offset:560
	v_fmac_f64_e32 v[154:155], v[22:23], v[116:117]
	v_fma_f64 v[116:117], v[20:21], v[116:117], -v[118:119]
	scratch_load_b128 v[20:23], off, off offset:576
	s_wait_loadcnt_dscnt 0xc01
	v_mul_f64_e32 v[158:159], v[4:5], v[122:123]
	v_mul_f64_e32 v[122:123], v[6:7], v[122:123]
	v_add_f64_e32 v[118:119], v[162:163], v[160:161]
	v_add_f64_e32 v[152:153], v[152:153], v[156:157]
	s_wait_loadcnt_dscnt 0xb00
	v_mul_f64_e32 v[156:157], v[108:109], v[126:127]
	v_mul_f64_e32 v[126:127], v[110:111], v[126:127]
	v_fmac_f64_e32 v[158:159], v[6:7], v[120:121]
	v_fma_f64 v[160:161], v[4:5], v[120:121], -v[122:123]
	v_add_f64_e32 v[162:163], v[118:119], v[116:117]
	v_add_f64_e32 v[152:153], v[152:153], v[154:155]
	ds_load_b128 v[4:7], v2 offset:1088
	ds_load_b128 v[116:119], v2 offset:1104
	scratch_load_b128 v[120:123], off, off offset:592
	v_fmac_f64_e32 v[156:157], v[110:111], v[124:125]
	v_fma_f64 v[124:125], v[108:109], v[124:125], -v[126:127]
	scratch_load_b128 v[108:111], off, off offset:608
	s_wait_loadcnt_dscnt 0xc01
	v_mul_f64_e32 v[154:155], v[4:5], v[134:135]
	v_mul_f64_e32 v[134:135], v[6:7], v[134:135]
	;; [unrolled: 18-line block ×3, first 2 shown]
	v_add_f64_e32 v[146:147], v[162:163], v[160:161]
	v_add_f64_e32 v[152:153], v[152:153], v[154:155]
	s_wait_loadcnt_dscnt 0xa00
	v_mul_f64_e32 v[154:155], v[124:125], v[10:11]
	v_mul_f64_e32 v[10:11], v[126:127], v[10:11]
	v_fmac_f64_e32 v[156:157], v[6:7], v[148:149]
	v_fma_f64 v[148:149], v[4:5], v[148:149], -v[150:151]
	v_add_f64_e32 v[150:151], v[146:147], v[144:145]
	v_add_f64_e32 v[152:153], v[152:153], v[158:159]
	ds_load_b128 v[4:7], v2 offset:1152
	ds_load_b128 v[144:147], v2 offset:1168
	v_fmac_f64_e32 v[154:155], v[126:127], v[8:9]
	v_fma_f64 v[8:9], v[124:125], v[8:9], -v[10:11]
	s_wait_loadcnt_dscnt 0x901
	v_mul_f64_e32 v[158:159], v[4:5], v[138:139]
	v_mul_f64_e32 v[138:139], v[6:7], v[138:139]
	s_wait_loadcnt_dscnt 0x800
	v_mul_f64_e32 v[126:127], v[144:145], v[18:19]
	v_mul_f64_e32 v[18:19], v[146:147], v[18:19]
	v_add_f64_e32 v[10:11], v[150:151], v[148:149]
	v_add_f64_e32 v[124:125], v[152:153], v[156:157]
	v_fmac_f64_e32 v[158:159], v[6:7], v[136:137]
	v_fma_f64 v[136:137], v[4:5], v[136:137], -v[138:139]
	v_fmac_f64_e32 v[126:127], v[146:147], v[16:17]
	v_fma_f64 v[16:17], v[144:145], v[16:17], -v[18:19]
	v_add_f64_e32 v[138:139], v[10:11], v[8:9]
	v_add_f64_e32 v[124:125], v[124:125], v[154:155]
	ds_load_b128 v[4:7], v2 offset:1184
	ds_load_b128 v[8:11], v2 offset:1200
	s_wait_loadcnt_dscnt 0x701
	v_mul_f64_e32 v[148:149], v[4:5], v[130:131]
	v_mul_f64_e32 v[130:131], v[6:7], v[130:131]
	v_add_f64_e32 v[18:19], v[138:139], v[136:137]
	v_add_f64_e32 v[124:125], v[124:125], v[158:159]
	s_wait_loadcnt_dscnt 0x600
	v_mul_f64_e32 v[136:137], v[8:9], v[14:15]
	v_mul_f64_e32 v[138:139], v[10:11], v[14:15]
	v_fmac_f64_e32 v[148:149], v[6:7], v[128:129]
	v_fma_f64 v[128:129], v[4:5], v[128:129], -v[130:131]
	v_add_f64_e32 v[18:19], v[18:19], v[16:17]
	v_add_f64_e32 v[124:125], v[124:125], v[126:127]
	ds_load_b128 v[4:7], v2 offset:1216
	ds_load_b128 v[14:17], v2 offset:1232
	v_fmac_f64_e32 v[136:137], v[10:11], v[12:13]
	v_fma_f64 v[8:9], v[8:9], v[12:13], -v[138:139]
	s_wait_loadcnt_dscnt 0x501
	v_mul_f64_e32 v[126:127], v[4:5], v[114:115]
	v_mul_f64_e32 v[114:115], v[6:7], v[114:115]
	v_add_f64_e32 v[10:11], v[18:19], v[128:129]
	v_add_f64_e32 v[12:13], v[124:125], v[148:149]
	s_wait_loadcnt_dscnt 0x400
	v_mul_f64_e32 v[18:19], v[14:15], v[22:23]
	v_mul_f64_e32 v[22:23], v[16:17], v[22:23]
	v_fmac_f64_e32 v[126:127], v[6:7], v[112:113]
	v_fma_f64 v[112:113], v[4:5], v[112:113], -v[114:115]
	v_add_f64_e32 v[114:115], v[10:11], v[8:9]
	v_add_f64_e32 v[12:13], v[12:13], v[136:137]
	ds_load_b128 v[4:7], v2 offset:1248
	ds_load_b128 v[8:11], v2 offset:1264
	v_fmac_f64_e32 v[18:19], v[16:17], v[20:21]
	v_fma_f64 v[14:15], v[14:15], v[20:21], -v[22:23]
	s_wait_loadcnt_dscnt 0x301
	v_mul_f64_e32 v[124:125], v[4:5], v[122:123]
	v_mul_f64_e32 v[122:123], v[6:7], v[122:123]
	s_wait_loadcnt_dscnt 0x200
	v_mul_f64_e32 v[20:21], v[8:9], v[110:111]
	v_mul_f64_e32 v[22:23], v[10:11], v[110:111]
	v_add_f64_e32 v[16:17], v[114:115], v[112:113]
	v_add_f64_e32 v[12:13], v[12:13], v[126:127]
	v_fmac_f64_e32 v[124:125], v[6:7], v[120:121]
	v_fma_f64 v[110:111], v[4:5], v[120:121], -v[122:123]
	v_fmac_f64_e32 v[20:21], v[10:11], v[108:109]
	v_fma_f64 v[8:9], v[8:9], v[108:109], -v[22:23]
	v_add_f64_e32 v[16:17], v[16:17], v[14:15]
	v_add_f64_e32 v[18:19], v[12:13], v[18:19]
	ds_load_b128 v[4:7], v2 offset:1280
	ds_load_b128 v[12:15], v2 offset:1296
	s_wait_loadcnt_dscnt 0x101
	v_mul_f64_e32 v[2:3], v[4:5], v[134:135]
	v_mul_f64_e32 v[112:113], v[6:7], v[134:135]
	s_wait_loadcnt_dscnt 0x0
	v_mul_f64_e32 v[22:23], v[14:15], v[118:119]
	v_add_f64_e32 v[10:11], v[16:17], v[110:111]
	v_add_f64_e32 v[16:17], v[18:19], v[124:125]
	v_mul_f64_e32 v[18:19], v[12:13], v[118:119]
	v_fmac_f64_e32 v[2:3], v[6:7], v[132:133]
	v_fma_f64 v[4:5], v[4:5], v[132:133], -v[112:113]
	v_add_f64_e32 v[6:7], v[10:11], v[8:9]
	v_add_f64_e32 v[8:9], v[16:17], v[20:21]
	v_fmac_f64_e32 v[18:19], v[14:15], v[116:117]
	v_fma_f64 v[10:11], v[12:13], v[116:117], -v[22:23]
	s_delay_alu instid0(VALU_DEP_4) | instskip(NEXT) | instid1(VALU_DEP_4)
	v_add_f64_e32 v[4:5], v[6:7], v[4:5]
	v_add_f64_e32 v[2:3], v[8:9], v[2:3]
	s_delay_alu instid0(VALU_DEP_2) | instskip(NEXT) | instid1(VALU_DEP_2)
	v_add_f64_e32 v[4:5], v[4:5], v[10:11]
	v_add_f64_e32 v[6:7], v[2:3], v[18:19]
	s_delay_alu instid0(VALU_DEP_2) | instskip(NEXT) | instid1(VALU_DEP_2)
	v_add_f64_e64 v[2:3], v[140:141], -v[4:5]
	v_add_f64_e64 v[4:5], v[142:143], -v[6:7]
	scratch_store_b128 off, v[2:5], off offset:256
	s_wait_xcnt 0x0
	v_cmpx_lt_u32_e32 15, v1
	s_cbranch_execz .LBB104_229
; %bb.228:
	scratch_load_b128 v[2:5], off, s42
	v_mov_b32_e32 v6, 0
	s_delay_alu instid0(VALU_DEP_1)
	v_dual_mov_b32 v7, v6 :: v_dual_mov_b32 v8, v6
	v_mov_b32_e32 v9, v6
	scratch_store_b128 off, v[6:9], off offset:240
	s_wait_loadcnt 0x0
	ds_store_b128 v106, v[2:5]
.LBB104_229:
	s_wait_xcnt 0x0
	s_or_b32 exec_lo, exec_lo, s2
	s_wait_storecnt_dscnt 0x0
	s_barrier_signal -1
	s_barrier_wait -1
	s_clause 0x9
	scratch_load_b128 v[4:7], off, off offset:256
	scratch_load_b128 v[8:11], off, off offset:272
	;; [unrolled: 1-line block ×10, first 2 shown]
	v_mov_b32_e32 v2, 0
	s_mov_b32 s2, exec_lo
	ds_load_b128 v[128:131], v2 offset:912
	s_clause 0x2
	scratch_load_b128 v[132:135], off, off offset:416
	scratch_load_b128 v[136:139], off, off offset:240
	;; [unrolled: 1-line block ×3, first 2 shown]
	s_wait_loadcnt_dscnt 0xc00
	v_mul_f64_e32 v[148:149], v[130:131], v[6:7]
	v_mul_f64_e32 v[152:153], v[128:129], v[6:7]
	ds_load_b128 v[140:143], v2 offset:928
	v_fma_f64 v[156:157], v[128:129], v[4:5], -v[148:149]
	v_fmac_f64_e32 v[152:153], v[130:131], v[4:5]
	ds_load_b128 v[4:7], v2 offset:944
	s_wait_loadcnt_dscnt 0xb01
	v_mul_f64_e32 v[154:155], v[140:141], v[10:11]
	v_mul_f64_e32 v[10:11], v[142:143], v[10:11]
	scratch_load_b128 v[128:131], off, off offset:448
	ds_load_b128 v[148:151], v2 offset:960
	s_wait_loadcnt_dscnt 0xb01
	v_mul_f64_e32 v[158:159], v[4:5], v[14:15]
	v_mul_f64_e32 v[14:15], v[6:7], v[14:15]
	v_add_f64_e32 v[152:153], 0, v[152:153]
	v_fmac_f64_e32 v[154:155], v[142:143], v[8:9]
	v_fma_f64 v[140:141], v[140:141], v[8:9], -v[10:11]
	v_add_f64_e32 v[142:143], 0, v[156:157]
	scratch_load_b128 v[8:11], off, off offset:464
	v_fmac_f64_e32 v[158:159], v[6:7], v[12:13]
	v_fma_f64 v[160:161], v[4:5], v[12:13], -v[14:15]
	ds_load_b128 v[4:7], v2 offset:976
	s_wait_loadcnt_dscnt 0xb01
	v_mul_f64_e32 v[156:157], v[148:149], v[18:19]
	v_mul_f64_e32 v[18:19], v[150:151], v[18:19]
	scratch_load_b128 v[12:15], off, off offset:480
	v_add_f64_e32 v[152:153], v[152:153], v[154:155]
	v_add_f64_e32 v[162:163], v[142:143], v[140:141]
	ds_load_b128 v[140:143], v2 offset:992
	s_wait_loadcnt_dscnt 0xb01
	v_mul_f64_e32 v[154:155], v[4:5], v[22:23]
	v_mul_f64_e32 v[22:23], v[6:7], v[22:23]
	v_fmac_f64_e32 v[156:157], v[150:151], v[16:17]
	v_fma_f64 v[148:149], v[148:149], v[16:17], -v[18:19]
	scratch_load_b128 v[16:19], off, off offset:496
	v_add_f64_e32 v[152:153], v[152:153], v[158:159]
	v_add_f64_e32 v[150:151], v[162:163], v[160:161]
	v_fmac_f64_e32 v[154:155], v[6:7], v[20:21]
	v_fma_f64 v[160:161], v[4:5], v[20:21], -v[22:23]
	ds_load_b128 v[4:7], v2 offset:1008
	s_wait_loadcnt_dscnt 0xb01
	v_mul_f64_e32 v[158:159], v[140:141], v[110:111]
	v_mul_f64_e32 v[110:111], v[142:143], v[110:111]
	scratch_load_b128 v[20:23], off, off offset:512
	v_add_f64_e32 v[152:153], v[152:153], v[156:157]
	s_wait_loadcnt_dscnt 0xb00
	v_mul_f64_e32 v[156:157], v[4:5], v[114:115]
	v_add_f64_e32 v[162:163], v[150:151], v[148:149]
	v_mul_f64_e32 v[114:115], v[6:7], v[114:115]
	ds_load_b128 v[148:151], v2 offset:1024
	v_fmac_f64_e32 v[158:159], v[142:143], v[108:109]
	v_fma_f64 v[140:141], v[140:141], v[108:109], -v[110:111]
	scratch_load_b128 v[108:111], off, off offset:528
	v_add_f64_e32 v[152:153], v[152:153], v[154:155]
	v_fmac_f64_e32 v[156:157], v[6:7], v[112:113]
	v_add_f64_e32 v[142:143], v[162:163], v[160:161]
	v_fma_f64 v[160:161], v[4:5], v[112:113], -v[114:115]
	ds_load_b128 v[4:7], v2 offset:1040
	s_wait_loadcnt_dscnt 0xb01
	v_mul_f64_e32 v[154:155], v[148:149], v[118:119]
	v_mul_f64_e32 v[118:119], v[150:151], v[118:119]
	scratch_load_b128 v[112:115], off, off offset:544
	v_add_f64_e32 v[152:153], v[152:153], v[158:159]
	s_wait_loadcnt_dscnt 0xb00
	v_mul_f64_e32 v[158:159], v[4:5], v[122:123]
	v_add_f64_e32 v[162:163], v[142:143], v[140:141]
	v_mul_f64_e32 v[122:123], v[6:7], v[122:123]
	ds_load_b128 v[140:143], v2 offset:1056
	v_fmac_f64_e32 v[154:155], v[150:151], v[116:117]
	v_fma_f64 v[148:149], v[148:149], v[116:117], -v[118:119]
	scratch_load_b128 v[116:119], off, off offset:560
	v_add_f64_e32 v[152:153], v[152:153], v[156:157]
	v_fmac_f64_e32 v[158:159], v[6:7], v[120:121]
	v_add_f64_e32 v[150:151], v[162:163], v[160:161]
	;; [unrolled: 18-line block ×3, first 2 shown]
	v_fma_f64 v[160:161], v[4:5], v[132:133], -v[134:135]
	ds_load_b128 v[4:7], v2 offset:1104
	s_wait_loadcnt_dscnt 0xa01
	v_mul_f64_e32 v[158:159], v[148:149], v[146:147]
	v_mul_f64_e32 v[146:147], v[150:151], v[146:147]
	scratch_load_b128 v[132:135], off, off offset:608
	v_add_f64_e32 v[152:153], v[152:153], v[156:157]
	v_add_f64_e32 v[162:163], v[142:143], v[140:141]
	s_wait_loadcnt_dscnt 0xa00
	v_mul_f64_e32 v[156:157], v[4:5], v[130:131]
	v_mul_f64_e32 v[130:131], v[6:7], v[130:131]
	v_fmac_f64_e32 v[158:159], v[150:151], v[144:145]
	v_fma_f64 v[148:149], v[148:149], v[144:145], -v[146:147]
	ds_load_b128 v[140:143], v2 offset:1120
	scratch_load_b128 v[144:147], off, off offset:624
	v_add_f64_e32 v[152:153], v[152:153], v[154:155]
	v_add_f64_e32 v[150:151], v[162:163], v[160:161]
	v_fmac_f64_e32 v[156:157], v[6:7], v[128:129]
	v_fma_f64 v[160:161], v[4:5], v[128:129], -v[130:131]
	ds_load_b128 v[4:7], v2 offset:1136
	s_wait_loadcnt_dscnt 0xa01
	v_mul_f64_e32 v[154:155], v[140:141], v[10:11]
	v_mul_f64_e32 v[10:11], v[142:143], v[10:11]
	scratch_load_b128 v[128:131], off, off offset:640
	v_add_f64_e32 v[152:153], v[152:153], v[158:159]
	s_wait_loadcnt_dscnt 0xa00
	v_mul_f64_e32 v[158:159], v[4:5], v[14:15]
	v_add_f64_e32 v[162:163], v[150:151], v[148:149]
	v_mul_f64_e32 v[14:15], v[6:7], v[14:15]
	ds_load_b128 v[148:151], v2 offset:1152
	v_fmac_f64_e32 v[154:155], v[142:143], v[8:9]
	v_fma_f64 v[8:9], v[140:141], v[8:9], -v[10:11]
	s_wait_loadcnt_dscnt 0x900
	v_mul_f64_e32 v[142:143], v[148:149], v[18:19]
	v_mul_f64_e32 v[18:19], v[150:151], v[18:19]
	v_add_f64_e32 v[140:141], v[152:153], v[156:157]
	v_fmac_f64_e32 v[158:159], v[6:7], v[12:13]
	v_add_f64_e32 v[10:11], v[162:163], v[160:161]
	v_fma_f64 v[12:13], v[4:5], v[12:13], -v[14:15]
	v_fmac_f64_e32 v[142:143], v[150:151], v[16:17]
	v_fma_f64 v[16:17], v[148:149], v[16:17], -v[18:19]
	v_add_f64_e32 v[140:141], v[140:141], v[154:155]
	v_add_f64_e32 v[14:15], v[10:11], v[8:9]
	ds_load_b128 v[4:7], v2 offset:1168
	ds_load_b128 v[8:11], v2 offset:1184
	s_wait_loadcnt_dscnt 0x801
	v_mul_f64_e32 v[152:153], v[4:5], v[22:23]
	v_mul_f64_e32 v[22:23], v[6:7], v[22:23]
	s_wait_loadcnt_dscnt 0x700
	v_mul_f64_e32 v[18:19], v[8:9], v[110:111]
	v_mul_f64_e32 v[110:111], v[10:11], v[110:111]
	v_add_f64_e32 v[12:13], v[14:15], v[12:13]
	v_add_f64_e32 v[14:15], v[140:141], v[158:159]
	v_fmac_f64_e32 v[152:153], v[6:7], v[20:21]
	v_fma_f64 v[20:21], v[4:5], v[20:21], -v[22:23]
	v_fmac_f64_e32 v[18:19], v[10:11], v[108:109]
	v_fma_f64 v[8:9], v[8:9], v[108:109], -v[110:111]
	v_add_f64_e32 v[16:17], v[12:13], v[16:17]
	v_add_f64_e32 v[22:23], v[14:15], v[142:143]
	ds_load_b128 v[4:7], v2 offset:1200
	ds_load_b128 v[12:15], v2 offset:1216
	s_wait_loadcnt_dscnt 0x601
	v_mul_f64_e32 v[140:141], v[4:5], v[114:115]
	v_mul_f64_e32 v[114:115], v[6:7], v[114:115]
	v_add_f64_e32 v[10:11], v[16:17], v[20:21]
	v_add_f64_e32 v[16:17], v[22:23], v[152:153]
	s_wait_loadcnt_dscnt 0x500
	v_mul_f64_e32 v[20:21], v[12:13], v[118:119]
	v_mul_f64_e32 v[22:23], v[14:15], v[118:119]
	v_fmac_f64_e32 v[140:141], v[6:7], v[112:113]
	v_fma_f64 v[108:109], v[4:5], v[112:113], -v[114:115]
	v_add_f64_e32 v[110:111], v[10:11], v[8:9]
	v_add_f64_e32 v[16:17], v[16:17], v[18:19]
	ds_load_b128 v[4:7], v2 offset:1232
	ds_load_b128 v[8:11], v2 offset:1248
	v_fmac_f64_e32 v[20:21], v[14:15], v[116:117]
	v_fma_f64 v[12:13], v[12:13], v[116:117], -v[22:23]
	s_wait_loadcnt_dscnt 0x401
	v_mul_f64_e32 v[18:19], v[4:5], v[122:123]
	v_mul_f64_e32 v[112:113], v[6:7], v[122:123]
	s_wait_loadcnt_dscnt 0x300
	v_mul_f64_e32 v[22:23], v[8:9], v[126:127]
	v_add_f64_e32 v[14:15], v[110:111], v[108:109]
	v_add_f64_e32 v[16:17], v[16:17], v[140:141]
	v_mul_f64_e32 v[108:109], v[10:11], v[126:127]
	v_fmac_f64_e32 v[18:19], v[6:7], v[120:121]
	v_fma_f64 v[110:111], v[4:5], v[120:121], -v[112:113]
	v_fmac_f64_e32 v[22:23], v[10:11], v[124:125]
	v_add_f64_e32 v[112:113], v[14:15], v[12:13]
	v_add_f64_e32 v[16:17], v[16:17], v[20:21]
	ds_load_b128 v[4:7], v2 offset:1264
	ds_load_b128 v[12:15], v2 offset:1280
	v_fma_f64 v[8:9], v[8:9], v[124:125], -v[108:109]
	s_wait_loadcnt_dscnt 0x201
	v_mul_f64_e32 v[20:21], v[4:5], v[134:135]
	v_mul_f64_e32 v[114:115], v[6:7], v[134:135]
	s_wait_loadcnt_dscnt 0x100
	v_mul_f64_e32 v[108:109], v[14:15], v[146:147]
	v_add_f64_e32 v[10:11], v[112:113], v[110:111]
	v_add_f64_e32 v[16:17], v[16:17], v[18:19]
	v_mul_f64_e32 v[18:19], v[12:13], v[146:147]
	v_fmac_f64_e32 v[20:21], v[6:7], v[132:133]
	v_fma_f64 v[110:111], v[4:5], v[132:133], -v[114:115]
	ds_load_b128 v[4:7], v2 offset:1296
	v_fma_f64 v[12:13], v[12:13], v[144:145], -v[108:109]
	v_add_f64_e32 v[8:9], v[10:11], v[8:9]
	v_add_f64_e32 v[10:11], v[16:17], v[22:23]
	v_fmac_f64_e32 v[18:19], v[14:15], v[144:145]
	s_wait_loadcnt_dscnt 0x0
	v_mul_f64_e32 v[16:17], v[4:5], v[130:131]
	v_mul_f64_e32 v[22:23], v[6:7], v[130:131]
	v_add_f64_e32 v[8:9], v[8:9], v[110:111]
	v_add_f64_e32 v[10:11], v[10:11], v[20:21]
	s_delay_alu instid0(VALU_DEP_4) | instskip(NEXT) | instid1(VALU_DEP_4)
	v_fmac_f64_e32 v[16:17], v[6:7], v[128:129]
	v_fma_f64 v[4:5], v[4:5], v[128:129], -v[22:23]
	s_delay_alu instid0(VALU_DEP_4) | instskip(NEXT) | instid1(VALU_DEP_4)
	v_add_f64_e32 v[6:7], v[8:9], v[12:13]
	v_add_f64_e32 v[8:9], v[10:11], v[18:19]
	s_delay_alu instid0(VALU_DEP_2) | instskip(NEXT) | instid1(VALU_DEP_2)
	v_add_f64_e32 v[4:5], v[6:7], v[4:5]
	v_add_f64_e32 v[6:7], v[8:9], v[16:17]
	s_delay_alu instid0(VALU_DEP_2) | instskip(NEXT) | instid1(VALU_DEP_2)
	v_add_f64_e64 v[4:5], v[136:137], -v[4:5]
	v_add_f64_e64 v[6:7], v[138:139], -v[6:7]
	scratch_store_b128 off, v[4:7], off offset:240
	s_wait_xcnt 0x0
	v_cmpx_lt_u32_e32 14, v1
	s_cbranch_execz .LBB104_231
; %bb.230:
	scratch_load_b128 v[6:9], off, s43
	v_dual_mov_b32 v3, v2 :: v_dual_mov_b32 v4, v2
	v_mov_b32_e32 v5, v2
	scratch_store_b128 off, v[2:5], off offset:224
	s_wait_loadcnt 0x0
	ds_store_b128 v106, v[6:9]
.LBB104_231:
	s_wait_xcnt 0x0
	s_or_b32 exec_lo, exec_lo, s2
	s_wait_storecnt_dscnt 0x0
	s_barrier_signal -1
	s_barrier_wait -1
	s_clause 0x9
	scratch_load_b128 v[4:7], off, off offset:240
	scratch_load_b128 v[8:11], off, off offset:256
	;; [unrolled: 1-line block ×10, first 2 shown]
	ds_load_b128 v[128:131], v2 offset:896
	ds_load_b128 v[136:139], v2 offset:912
	s_clause 0x2
	scratch_load_b128 v[132:135], off, off offset:400
	scratch_load_b128 v[140:143], off, off offset:224
	;; [unrolled: 1-line block ×3, first 2 shown]
	s_mov_b32 s2, exec_lo
	s_wait_loadcnt_dscnt 0xc01
	v_mul_f64_e32 v[148:149], v[130:131], v[6:7]
	v_mul_f64_e32 v[152:153], v[128:129], v[6:7]
	s_wait_loadcnt_dscnt 0xb00
	v_mul_f64_e32 v[154:155], v[136:137], v[10:11]
	v_mul_f64_e32 v[10:11], v[138:139], v[10:11]
	s_delay_alu instid0(VALU_DEP_4) | instskip(NEXT) | instid1(VALU_DEP_4)
	v_fma_f64 v[156:157], v[128:129], v[4:5], -v[148:149]
	v_fmac_f64_e32 v[152:153], v[130:131], v[4:5]
	ds_load_b128 v[4:7], v2 offset:928
	ds_load_b128 v[128:131], v2 offset:944
	scratch_load_b128 v[148:151], off, off offset:432
	v_fmac_f64_e32 v[154:155], v[138:139], v[8:9]
	v_fma_f64 v[136:137], v[136:137], v[8:9], -v[10:11]
	scratch_load_b128 v[8:11], off, off offset:448
	s_wait_loadcnt_dscnt 0xc01
	v_mul_f64_e32 v[158:159], v[4:5], v[14:15]
	v_mul_f64_e32 v[14:15], v[6:7], v[14:15]
	v_add_f64_e32 v[138:139], 0, v[156:157]
	v_add_f64_e32 v[152:153], 0, v[152:153]
	s_wait_loadcnt_dscnt 0xb00
	v_mul_f64_e32 v[156:157], v[128:129], v[18:19]
	v_mul_f64_e32 v[18:19], v[130:131], v[18:19]
	v_fmac_f64_e32 v[158:159], v[6:7], v[12:13]
	v_fma_f64 v[160:161], v[4:5], v[12:13], -v[14:15]
	ds_load_b128 v[4:7], v2 offset:960
	ds_load_b128 v[12:15], v2 offset:976
	v_add_f64_e32 v[162:163], v[138:139], v[136:137]
	v_add_f64_e32 v[152:153], v[152:153], v[154:155]
	scratch_load_b128 v[136:139], off, off offset:464
	v_fmac_f64_e32 v[156:157], v[130:131], v[16:17]
	v_fma_f64 v[128:129], v[128:129], v[16:17], -v[18:19]
	scratch_load_b128 v[16:19], off, off offset:480
	s_wait_loadcnt_dscnt 0xc01
	v_mul_f64_e32 v[154:155], v[4:5], v[22:23]
	v_mul_f64_e32 v[22:23], v[6:7], v[22:23]
	v_add_f64_e32 v[130:131], v[162:163], v[160:161]
	v_add_f64_e32 v[152:153], v[152:153], v[158:159]
	s_wait_loadcnt_dscnt 0xb00
	v_mul_f64_e32 v[158:159], v[12:13], v[110:111]
	v_mul_f64_e32 v[110:111], v[14:15], v[110:111]
	v_fmac_f64_e32 v[154:155], v[6:7], v[20:21]
	v_fma_f64 v[160:161], v[4:5], v[20:21], -v[22:23]
	ds_load_b128 v[4:7], v2 offset:992
	ds_load_b128 v[20:23], v2 offset:1008
	v_add_f64_e32 v[162:163], v[130:131], v[128:129]
	v_add_f64_e32 v[152:153], v[152:153], v[156:157]
	scratch_load_b128 v[128:131], off, off offset:496
	s_wait_loadcnt_dscnt 0xb01
	v_mul_f64_e32 v[156:157], v[4:5], v[114:115]
	v_mul_f64_e32 v[114:115], v[6:7], v[114:115]
	v_fmac_f64_e32 v[158:159], v[14:15], v[108:109]
	v_fma_f64 v[108:109], v[12:13], v[108:109], -v[110:111]
	scratch_load_b128 v[12:15], off, off offset:512
	v_add_f64_e32 v[110:111], v[162:163], v[160:161]
	v_add_f64_e32 v[152:153], v[152:153], v[154:155]
	s_wait_loadcnt_dscnt 0xb00
	v_mul_f64_e32 v[154:155], v[20:21], v[118:119]
	v_mul_f64_e32 v[118:119], v[22:23], v[118:119]
	v_fmac_f64_e32 v[156:157], v[6:7], v[112:113]
	v_fma_f64 v[160:161], v[4:5], v[112:113], -v[114:115]
	v_add_f64_e32 v[162:163], v[110:111], v[108:109]
	v_add_f64_e32 v[152:153], v[152:153], v[158:159]
	ds_load_b128 v[4:7], v2 offset:1024
	ds_load_b128 v[108:111], v2 offset:1040
	scratch_load_b128 v[112:115], off, off offset:528
	v_fmac_f64_e32 v[154:155], v[22:23], v[116:117]
	v_fma_f64 v[116:117], v[20:21], v[116:117], -v[118:119]
	scratch_load_b128 v[20:23], off, off offset:544
	s_wait_loadcnt_dscnt 0xc01
	v_mul_f64_e32 v[158:159], v[4:5], v[122:123]
	v_mul_f64_e32 v[122:123], v[6:7], v[122:123]
	v_add_f64_e32 v[118:119], v[162:163], v[160:161]
	v_add_f64_e32 v[152:153], v[152:153], v[156:157]
	s_wait_loadcnt_dscnt 0xb00
	v_mul_f64_e32 v[156:157], v[108:109], v[126:127]
	v_mul_f64_e32 v[126:127], v[110:111], v[126:127]
	v_fmac_f64_e32 v[158:159], v[6:7], v[120:121]
	v_fma_f64 v[160:161], v[4:5], v[120:121], -v[122:123]
	v_add_f64_e32 v[162:163], v[118:119], v[116:117]
	v_add_f64_e32 v[152:153], v[152:153], v[154:155]
	ds_load_b128 v[4:7], v2 offset:1056
	ds_load_b128 v[116:119], v2 offset:1072
	scratch_load_b128 v[120:123], off, off offset:560
	v_fmac_f64_e32 v[156:157], v[110:111], v[124:125]
	v_fma_f64 v[124:125], v[108:109], v[124:125], -v[126:127]
	scratch_load_b128 v[108:111], off, off offset:576
	s_wait_loadcnt_dscnt 0xc01
	v_mul_f64_e32 v[154:155], v[4:5], v[134:135]
	v_mul_f64_e32 v[134:135], v[6:7], v[134:135]
	;; [unrolled: 18-line block ×4, first 2 shown]
	v_add_f64_e32 v[126:127], v[162:163], v[160:161]
	v_add_f64_e32 v[152:153], v[152:153], v[156:157]
	s_wait_loadcnt_dscnt 0xa00
	v_mul_f64_e32 v[156:157], v[144:145], v[18:19]
	v_mul_f64_e32 v[18:19], v[146:147], v[18:19]
	v_fmac_f64_e32 v[158:159], v[6:7], v[136:137]
	v_fma_f64 v[136:137], v[4:5], v[136:137], -v[138:139]
	v_add_f64_e32 v[138:139], v[126:127], v[124:125]
	v_add_f64_e32 v[152:153], v[152:153], v[154:155]
	ds_load_b128 v[4:7], v2 offset:1152
	ds_load_b128 v[124:127], v2 offset:1168
	v_fmac_f64_e32 v[156:157], v[146:147], v[16:17]
	v_fma_f64 v[16:17], v[144:145], v[16:17], -v[18:19]
	s_wait_loadcnt_dscnt 0x901
	v_mul_f64_e32 v[154:155], v[4:5], v[130:131]
	v_mul_f64_e32 v[130:131], v[6:7], v[130:131]
	s_wait_loadcnt_dscnt 0x800
	v_mul_f64_e32 v[144:145], v[126:127], v[14:15]
	v_add_f64_e32 v[18:19], v[138:139], v[136:137]
	v_add_f64_e32 v[136:137], v[152:153], v[158:159]
	v_mul_f64_e32 v[138:139], v[124:125], v[14:15]
	v_fmac_f64_e32 v[154:155], v[6:7], v[128:129]
	v_fma_f64 v[128:129], v[4:5], v[128:129], -v[130:131]
	v_add_f64_e32 v[18:19], v[18:19], v[16:17]
	v_add_f64_e32 v[130:131], v[136:137], v[156:157]
	ds_load_b128 v[4:7], v2 offset:1184
	ds_load_b128 v[14:17], v2 offset:1200
	v_fmac_f64_e32 v[138:139], v[126:127], v[12:13]
	v_fma_f64 v[12:13], v[124:125], v[12:13], -v[144:145]
	s_wait_loadcnt_dscnt 0x701
	v_mul_f64_e32 v[136:137], v[4:5], v[114:115]
	v_mul_f64_e32 v[114:115], v[6:7], v[114:115]
	s_wait_loadcnt_dscnt 0x600
	v_mul_f64_e32 v[126:127], v[14:15], v[22:23]
	v_mul_f64_e32 v[22:23], v[16:17], v[22:23]
	v_add_f64_e32 v[18:19], v[18:19], v[128:129]
	v_add_f64_e32 v[124:125], v[130:131], v[154:155]
	v_fmac_f64_e32 v[136:137], v[6:7], v[112:113]
	v_fma_f64 v[128:129], v[4:5], v[112:113], -v[114:115]
	ds_load_b128 v[4:7], v2 offset:1216
	ds_load_b128 v[112:115], v2 offset:1232
	v_fmac_f64_e32 v[126:127], v[16:17], v[20:21]
	v_fma_f64 v[14:15], v[14:15], v[20:21], -v[22:23]
	v_add_f64_e32 v[12:13], v[18:19], v[12:13]
	v_add_f64_e32 v[18:19], v[124:125], v[138:139]
	s_wait_loadcnt_dscnt 0x501
	v_mul_f64_e32 v[124:125], v[4:5], v[122:123]
	v_mul_f64_e32 v[122:123], v[6:7], v[122:123]
	s_wait_loadcnt_dscnt 0x400
	v_mul_f64_e32 v[20:21], v[114:115], v[110:111]
	v_add_f64_e32 v[12:13], v[12:13], v[128:129]
	v_add_f64_e32 v[16:17], v[18:19], v[136:137]
	v_mul_f64_e32 v[18:19], v[112:113], v[110:111]
	v_fmac_f64_e32 v[124:125], v[6:7], v[120:121]
	v_fma_f64 v[22:23], v[4:5], v[120:121], -v[122:123]
	v_fma_f64 v[20:21], v[112:113], v[108:109], -v[20:21]
	v_add_f64_e32 v[110:111], v[12:13], v[14:15]
	v_add_f64_e32 v[16:17], v[16:17], v[126:127]
	ds_load_b128 v[4:7], v2 offset:1248
	ds_load_b128 v[12:15], v2 offset:1264
	v_fmac_f64_e32 v[18:19], v[114:115], v[108:109]
	s_wait_loadcnt_dscnt 0x301
	v_mul_f64_e32 v[120:121], v[4:5], v[134:135]
	v_mul_f64_e32 v[122:123], v[6:7], v[134:135]
	s_wait_loadcnt_dscnt 0x200
	v_mul_f64_e32 v[108:109], v[12:13], v[118:119]
	v_add_f64_e32 v[22:23], v[110:111], v[22:23]
	v_add_f64_e32 v[16:17], v[16:17], v[124:125]
	v_mul_f64_e32 v[110:111], v[14:15], v[118:119]
	v_fmac_f64_e32 v[120:121], v[6:7], v[132:133]
	v_fma_f64 v[112:113], v[4:5], v[132:133], -v[122:123]
	v_fmac_f64_e32 v[108:109], v[14:15], v[116:117]
	v_add_f64_e32 v[20:21], v[22:23], v[20:21]
	v_add_f64_e32 v[22:23], v[16:17], v[18:19]
	ds_load_b128 v[4:7], v2 offset:1280
	ds_load_b128 v[16:19], v2 offset:1296
	v_fma_f64 v[12:13], v[12:13], v[116:117], -v[110:111]
	s_wait_loadcnt_dscnt 0x101
	v_mul_f64_e32 v[2:3], v[4:5], v[150:151]
	v_mul_f64_e32 v[114:115], v[6:7], v[150:151]
	v_add_f64_e32 v[14:15], v[20:21], v[112:113]
	v_add_f64_e32 v[20:21], v[22:23], v[120:121]
	s_wait_loadcnt_dscnt 0x0
	v_mul_f64_e32 v[22:23], v[16:17], v[10:11]
	v_mul_f64_e32 v[10:11], v[18:19], v[10:11]
	v_fmac_f64_e32 v[2:3], v[6:7], v[148:149]
	v_fma_f64 v[4:5], v[4:5], v[148:149], -v[114:115]
	v_add_f64_e32 v[6:7], v[14:15], v[12:13]
	v_add_f64_e32 v[12:13], v[20:21], v[108:109]
	v_fmac_f64_e32 v[22:23], v[18:19], v[8:9]
	v_fma_f64 v[8:9], v[16:17], v[8:9], -v[10:11]
	s_delay_alu instid0(VALU_DEP_4) | instskip(NEXT) | instid1(VALU_DEP_4)
	v_add_f64_e32 v[4:5], v[6:7], v[4:5]
	v_add_f64_e32 v[2:3], v[12:13], v[2:3]
	s_delay_alu instid0(VALU_DEP_2) | instskip(NEXT) | instid1(VALU_DEP_2)
	v_add_f64_e32 v[4:5], v[4:5], v[8:9]
	v_add_f64_e32 v[6:7], v[2:3], v[22:23]
	s_delay_alu instid0(VALU_DEP_2) | instskip(NEXT) | instid1(VALU_DEP_2)
	v_add_f64_e64 v[2:3], v[140:141], -v[4:5]
	v_add_f64_e64 v[4:5], v[142:143], -v[6:7]
	scratch_store_b128 off, v[2:5], off offset:224
	s_wait_xcnt 0x0
	v_cmpx_lt_u32_e32 13, v1
	s_cbranch_execz .LBB104_233
; %bb.232:
	scratch_load_b128 v[2:5], off, s44
	v_mov_b32_e32 v6, 0
	s_delay_alu instid0(VALU_DEP_1)
	v_dual_mov_b32 v7, v6 :: v_dual_mov_b32 v8, v6
	v_mov_b32_e32 v9, v6
	scratch_store_b128 off, v[6:9], off offset:208
	s_wait_loadcnt 0x0
	ds_store_b128 v106, v[2:5]
.LBB104_233:
	s_wait_xcnt 0x0
	s_or_b32 exec_lo, exec_lo, s2
	s_wait_storecnt_dscnt 0x0
	s_barrier_signal -1
	s_barrier_wait -1
	s_clause 0x9
	scratch_load_b128 v[4:7], off, off offset:224
	scratch_load_b128 v[8:11], off, off offset:240
	;; [unrolled: 1-line block ×10, first 2 shown]
	v_mov_b32_e32 v2, 0
	s_mov_b32 s2, exec_lo
	ds_load_b128 v[128:131], v2 offset:880
	s_clause 0x2
	scratch_load_b128 v[132:135], off, off offset:384
	scratch_load_b128 v[136:139], off, off offset:208
	;; [unrolled: 1-line block ×3, first 2 shown]
	s_wait_loadcnt_dscnt 0xc00
	v_mul_f64_e32 v[148:149], v[130:131], v[6:7]
	v_mul_f64_e32 v[152:153], v[128:129], v[6:7]
	ds_load_b128 v[140:143], v2 offset:896
	v_fma_f64 v[156:157], v[128:129], v[4:5], -v[148:149]
	v_fmac_f64_e32 v[152:153], v[130:131], v[4:5]
	ds_load_b128 v[4:7], v2 offset:912
	s_wait_loadcnt_dscnt 0xb01
	v_mul_f64_e32 v[154:155], v[140:141], v[10:11]
	v_mul_f64_e32 v[10:11], v[142:143], v[10:11]
	scratch_load_b128 v[128:131], off, off offset:416
	ds_load_b128 v[148:151], v2 offset:928
	s_wait_loadcnt_dscnt 0xb01
	v_mul_f64_e32 v[158:159], v[4:5], v[14:15]
	v_mul_f64_e32 v[14:15], v[6:7], v[14:15]
	v_add_f64_e32 v[152:153], 0, v[152:153]
	v_fmac_f64_e32 v[154:155], v[142:143], v[8:9]
	v_fma_f64 v[140:141], v[140:141], v[8:9], -v[10:11]
	v_add_f64_e32 v[142:143], 0, v[156:157]
	scratch_load_b128 v[8:11], off, off offset:432
	v_fmac_f64_e32 v[158:159], v[6:7], v[12:13]
	v_fma_f64 v[160:161], v[4:5], v[12:13], -v[14:15]
	ds_load_b128 v[4:7], v2 offset:944
	s_wait_loadcnt_dscnt 0xb01
	v_mul_f64_e32 v[156:157], v[148:149], v[18:19]
	v_mul_f64_e32 v[18:19], v[150:151], v[18:19]
	scratch_load_b128 v[12:15], off, off offset:448
	v_add_f64_e32 v[152:153], v[152:153], v[154:155]
	v_add_f64_e32 v[162:163], v[142:143], v[140:141]
	ds_load_b128 v[140:143], v2 offset:960
	s_wait_loadcnt_dscnt 0xb01
	v_mul_f64_e32 v[154:155], v[4:5], v[22:23]
	v_mul_f64_e32 v[22:23], v[6:7], v[22:23]
	v_fmac_f64_e32 v[156:157], v[150:151], v[16:17]
	v_fma_f64 v[148:149], v[148:149], v[16:17], -v[18:19]
	scratch_load_b128 v[16:19], off, off offset:464
	v_add_f64_e32 v[152:153], v[152:153], v[158:159]
	v_add_f64_e32 v[150:151], v[162:163], v[160:161]
	v_fmac_f64_e32 v[154:155], v[6:7], v[20:21]
	v_fma_f64 v[160:161], v[4:5], v[20:21], -v[22:23]
	ds_load_b128 v[4:7], v2 offset:976
	s_wait_loadcnt_dscnt 0xb01
	v_mul_f64_e32 v[158:159], v[140:141], v[110:111]
	v_mul_f64_e32 v[110:111], v[142:143], v[110:111]
	scratch_load_b128 v[20:23], off, off offset:480
	v_add_f64_e32 v[152:153], v[152:153], v[156:157]
	s_wait_loadcnt_dscnt 0xb00
	v_mul_f64_e32 v[156:157], v[4:5], v[114:115]
	v_add_f64_e32 v[162:163], v[150:151], v[148:149]
	v_mul_f64_e32 v[114:115], v[6:7], v[114:115]
	ds_load_b128 v[148:151], v2 offset:992
	v_fmac_f64_e32 v[158:159], v[142:143], v[108:109]
	v_fma_f64 v[140:141], v[140:141], v[108:109], -v[110:111]
	scratch_load_b128 v[108:111], off, off offset:496
	v_add_f64_e32 v[152:153], v[152:153], v[154:155]
	v_fmac_f64_e32 v[156:157], v[6:7], v[112:113]
	v_add_f64_e32 v[142:143], v[162:163], v[160:161]
	v_fma_f64 v[160:161], v[4:5], v[112:113], -v[114:115]
	ds_load_b128 v[4:7], v2 offset:1008
	s_wait_loadcnt_dscnt 0xb01
	v_mul_f64_e32 v[154:155], v[148:149], v[118:119]
	v_mul_f64_e32 v[118:119], v[150:151], v[118:119]
	scratch_load_b128 v[112:115], off, off offset:512
	v_add_f64_e32 v[152:153], v[152:153], v[158:159]
	s_wait_loadcnt_dscnt 0xb00
	v_mul_f64_e32 v[158:159], v[4:5], v[122:123]
	v_add_f64_e32 v[162:163], v[142:143], v[140:141]
	v_mul_f64_e32 v[122:123], v[6:7], v[122:123]
	ds_load_b128 v[140:143], v2 offset:1024
	v_fmac_f64_e32 v[154:155], v[150:151], v[116:117]
	v_fma_f64 v[148:149], v[148:149], v[116:117], -v[118:119]
	scratch_load_b128 v[116:119], off, off offset:528
	v_add_f64_e32 v[152:153], v[152:153], v[156:157]
	v_fmac_f64_e32 v[158:159], v[6:7], v[120:121]
	v_add_f64_e32 v[150:151], v[162:163], v[160:161]
	;; [unrolled: 18-line block ×3, first 2 shown]
	v_fma_f64 v[160:161], v[4:5], v[132:133], -v[134:135]
	ds_load_b128 v[4:7], v2 offset:1072
	s_wait_loadcnt_dscnt 0xa01
	v_mul_f64_e32 v[158:159], v[148:149], v[146:147]
	v_mul_f64_e32 v[146:147], v[150:151], v[146:147]
	scratch_load_b128 v[132:135], off, off offset:576
	v_add_f64_e32 v[152:153], v[152:153], v[156:157]
	v_add_f64_e32 v[162:163], v[142:143], v[140:141]
	s_wait_loadcnt_dscnt 0xa00
	v_mul_f64_e32 v[156:157], v[4:5], v[130:131]
	v_mul_f64_e32 v[130:131], v[6:7], v[130:131]
	v_fmac_f64_e32 v[158:159], v[150:151], v[144:145]
	v_fma_f64 v[148:149], v[148:149], v[144:145], -v[146:147]
	ds_load_b128 v[140:143], v2 offset:1088
	scratch_load_b128 v[144:147], off, off offset:592
	v_add_f64_e32 v[152:153], v[152:153], v[154:155]
	v_add_f64_e32 v[150:151], v[162:163], v[160:161]
	v_fmac_f64_e32 v[156:157], v[6:7], v[128:129]
	v_fma_f64 v[160:161], v[4:5], v[128:129], -v[130:131]
	ds_load_b128 v[4:7], v2 offset:1104
	s_wait_loadcnt_dscnt 0xa01
	v_mul_f64_e32 v[154:155], v[140:141], v[10:11]
	v_mul_f64_e32 v[10:11], v[142:143], v[10:11]
	scratch_load_b128 v[128:131], off, off offset:608
	v_add_f64_e32 v[152:153], v[152:153], v[158:159]
	s_wait_loadcnt_dscnt 0xa00
	v_mul_f64_e32 v[158:159], v[4:5], v[14:15]
	v_add_f64_e32 v[162:163], v[150:151], v[148:149]
	v_mul_f64_e32 v[14:15], v[6:7], v[14:15]
	ds_load_b128 v[148:151], v2 offset:1120
	v_fmac_f64_e32 v[154:155], v[142:143], v[8:9]
	v_fma_f64 v[140:141], v[140:141], v[8:9], -v[10:11]
	scratch_load_b128 v[8:11], off, off offset:624
	v_add_f64_e32 v[152:153], v[152:153], v[156:157]
	v_fmac_f64_e32 v[158:159], v[6:7], v[12:13]
	v_add_f64_e32 v[142:143], v[162:163], v[160:161]
	v_fma_f64 v[160:161], v[4:5], v[12:13], -v[14:15]
	ds_load_b128 v[4:7], v2 offset:1136
	s_wait_loadcnt_dscnt 0xa01
	v_mul_f64_e32 v[156:157], v[148:149], v[18:19]
	v_mul_f64_e32 v[18:19], v[150:151], v[18:19]
	scratch_load_b128 v[12:15], off, off offset:640
	v_add_f64_e32 v[152:153], v[152:153], v[154:155]
	s_wait_loadcnt_dscnt 0xa00
	v_mul_f64_e32 v[154:155], v[4:5], v[22:23]
	v_add_f64_e32 v[162:163], v[142:143], v[140:141]
	v_mul_f64_e32 v[22:23], v[6:7], v[22:23]
	ds_load_b128 v[140:143], v2 offset:1152
	v_fmac_f64_e32 v[156:157], v[150:151], v[16:17]
	v_fma_f64 v[16:17], v[148:149], v[16:17], -v[18:19]
	s_wait_loadcnt_dscnt 0x900
	v_mul_f64_e32 v[150:151], v[140:141], v[110:111]
	v_mul_f64_e32 v[110:111], v[142:143], v[110:111]
	v_add_f64_e32 v[148:149], v[152:153], v[158:159]
	v_fmac_f64_e32 v[154:155], v[6:7], v[20:21]
	v_add_f64_e32 v[18:19], v[162:163], v[160:161]
	v_fma_f64 v[20:21], v[4:5], v[20:21], -v[22:23]
	v_fmac_f64_e32 v[150:151], v[142:143], v[108:109]
	v_fma_f64 v[108:109], v[140:141], v[108:109], -v[110:111]
	v_add_f64_e32 v[148:149], v[148:149], v[156:157]
	v_add_f64_e32 v[22:23], v[18:19], v[16:17]
	ds_load_b128 v[4:7], v2 offset:1168
	ds_load_b128 v[16:19], v2 offset:1184
	s_wait_loadcnt_dscnt 0x801
	v_mul_f64_e32 v[152:153], v[4:5], v[114:115]
	v_mul_f64_e32 v[114:115], v[6:7], v[114:115]
	s_wait_loadcnt_dscnt 0x700
	v_mul_f64_e32 v[110:111], v[16:17], v[118:119]
	v_mul_f64_e32 v[118:119], v[18:19], v[118:119]
	v_add_f64_e32 v[20:21], v[22:23], v[20:21]
	v_add_f64_e32 v[22:23], v[148:149], v[154:155]
	v_fmac_f64_e32 v[152:153], v[6:7], v[112:113]
	v_fma_f64 v[112:113], v[4:5], v[112:113], -v[114:115]
	v_fmac_f64_e32 v[110:111], v[18:19], v[116:117]
	v_fma_f64 v[16:17], v[16:17], v[116:117], -v[118:119]
	v_add_f64_e32 v[108:109], v[20:21], v[108:109]
	v_add_f64_e32 v[114:115], v[22:23], v[150:151]
	ds_load_b128 v[4:7], v2 offset:1200
	ds_load_b128 v[20:23], v2 offset:1216
	s_wait_loadcnt_dscnt 0x601
	v_mul_f64_e32 v[140:141], v[4:5], v[122:123]
	v_mul_f64_e32 v[122:123], v[6:7], v[122:123]
	v_add_f64_e32 v[18:19], v[108:109], v[112:113]
	v_add_f64_e32 v[108:109], v[114:115], v[152:153]
	s_wait_loadcnt_dscnt 0x500
	v_mul_f64_e32 v[112:113], v[20:21], v[126:127]
	v_mul_f64_e32 v[114:115], v[22:23], v[126:127]
	v_fmac_f64_e32 v[140:141], v[6:7], v[120:121]
	v_fma_f64 v[116:117], v[4:5], v[120:121], -v[122:123]
	v_add_f64_e32 v[118:119], v[18:19], v[16:17]
	v_add_f64_e32 v[108:109], v[108:109], v[110:111]
	ds_load_b128 v[4:7], v2 offset:1232
	ds_load_b128 v[16:19], v2 offset:1248
	v_fmac_f64_e32 v[112:113], v[22:23], v[124:125]
	v_fma_f64 v[20:21], v[20:21], v[124:125], -v[114:115]
	s_wait_loadcnt_dscnt 0x401
	v_mul_f64_e32 v[110:111], v[4:5], v[134:135]
	v_mul_f64_e32 v[120:121], v[6:7], v[134:135]
	s_wait_loadcnt_dscnt 0x300
	v_mul_f64_e32 v[114:115], v[16:17], v[146:147]
	v_add_f64_e32 v[22:23], v[118:119], v[116:117]
	v_add_f64_e32 v[108:109], v[108:109], v[140:141]
	v_mul_f64_e32 v[116:117], v[18:19], v[146:147]
	v_fmac_f64_e32 v[110:111], v[6:7], v[132:133]
	v_fma_f64 v[118:119], v[4:5], v[132:133], -v[120:121]
	v_fmac_f64_e32 v[114:115], v[18:19], v[144:145]
	v_add_f64_e32 v[120:121], v[22:23], v[20:21]
	v_add_f64_e32 v[108:109], v[108:109], v[112:113]
	ds_load_b128 v[4:7], v2 offset:1264
	ds_load_b128 v[20:23], v2 offset:1280
	v_fma_f64 v[16:17], v[16:17], v[144:145], -v[116:117]
	s_wait_loadcnt_dscnt 0x201
	v_mul_f64_e32 v[112:113], v[4:5], v[130:131]
	v_mul_f64_e32 v[122:123], v[6:7], v[130:131]
	v_add_f64_e32 v[18:19], v[120:121], v[118:119]
	v_add_f64_e32 v[108:109], v[108:109], v[110:111]
	s_wait_loadcnt_dscnt 0x100
	v_mul_f64_e32 v[110:111], v[20:21], v[10:11]
	v_mul_f64_e32 v[10:11], v[22:23], v[10:11]
	v_fmac_f64_e32 v[112:113], v[6:7], v[128:129]
	v_fma_f64 v[116:117], v[4:5], v[128:129], -v[122:123]
	ds_load_b128 v[4:7], v2 offset:1296
	v_add_f64_e32 v[16:17], v[18:19], v[16:17]
	v_add_f64_e32 v[18:19], v[108:109], v[114:115]
	v_fmac_f64_e32 v[110:111], v[22:23], v[8:9]
	v_fma_f64 v[8:9], v[20:21], v[8:9], -v[10:11]
	s_wait_loadcnt_dscnt 0x0
	v_mul_f64_e32 v[108:109], v[4:5], v[14:15]
	v_mul_f64_e32 v[14:15], v[6:7], v[14:15]
	v_add_f64_e32 v[10:11], v[16:17], v[116:117]
	v_add_f64_e32 v[16:17], v[18:19], v[112:113]
	s_delay_alu instid0(VALU_DEP_4) | instskip(NEXT) | instid1(VALU_DEP_4)
	v_fmac_f64_e32 v[108:109], v[6:7], v[12:13]
	v_fma_f64 v[4:5], v[4:5], v[12:13], -v[14:15]
	s_delay_alu instid0(VALU_DEP_4) | instskip(NEXT) | instid1(VALU_DEP_4)
	v_add_f64_e32 v[6:7], v[10:11], v[8:9]
	v_add_f64_e32 v[8:9], v[16:17], v[110:111]
	s_delay_alu instid0(VALU_DEP_2) | instskip(NEXT) | instid1(VALU_DEP_2)
	v_add_f64_e32 v[4:5], v[6:7], v[4:5]
	v_add_f64_e32 v[6:7], v[8:9], v[108:109]
	s_delay_alu instid0(VALU_DEP_2) | instskip(NEXT) | instid1(VALU_DEP_2)
	v_add_f64_e64 v[4:5], v[136:137], -v[4:5]
	v_add_f64_e64 v[6:7], v[138:139], -v[6:7]
	scratch_store_b128 off, v[4:7], off offset:208
	s_wait_xcnt 0x0
	v_cmpx_lt_u32_e32 12, v1
	s_cbranch_execz .LBB104_235
; %bb.234:
	scratch_load_b128 v[6:9], off, s45
	v_dual_mov_b32 v3, v2 :: v_dual_mov_b32 v4, v2
	v_mov_b32_e32 v5, v2
	scratch_store_b128 off, v[2:5], off offset:192
	s_wait_loadcnt 0x0
	ds_store_b128 v106, v[6:9]
.LBB104_235:
	s_wait_xcnt 0x0
	s_or_b32 exec_lo, exec_lo, s2
	s_wait_storecnt_dscnt 0x0
	s_barrier_signal -1
	s_barrier_wait -1
	s_clause 0x9
	scratch_load_b128 v[4:7], off, off offset:208
	scratch_load_b128 v[8:11], off, off offset:224
	;; [unrolled: 1-line block ×10, first 2 shown]
	ds_load_b128 v[128:131], v2 offset:864
	ds_load_b128 v[136:139], v2 offset:880
	s_clause 0x2
	scratch_load_b128 v[132:135], off, off offset:368
	scratch_load_b128 v[140:143], off, off offset:192
	;; [unrolled: 1-line block ×3, first 2 shown]
	s_mov_b32 s2, exec_lo
	s_wait_loadcnt_dscnt 0xc01
	v_mul_f64_e32 v[148:149], v[130:131], v[6:7]
	v_mul_f64_e32 v[152:153], v[128:129], v[6:7]
	s_wait_loadcnt_dscnt 0xb00
	v_mul_f64_e32 v[154:155], v[136:137], v[10:11]
	v_mul_f64_e32 v[10:11], v[138:139], v[10:11]
	s_delay_alu instid0(VALU_DEP_4) | instskip(NEXT) | instid1(VALU_DEP_4)
	v_fma_f64 v[156:157], v[128:129], v[4:5], -v[148:149]
	v_fmac_f64_e32 v[152:153], v[130:131], v[4:5]
	ds_load_b128 v[4:7], v2 offset:896
	ds_load_b128 v[128:131], v2 offset:912
	scratch_load_b128 v[148:151], off, off offset:400
	v_fmac_f64_e32 v[154:155], v[138:139], v[8:9]
	v_fma_f64 v[136:137], v[136:137], v[8:9], -v[10:11]
	scratch_load_b128 v[8:11], off, off offset:416
	s_wait_loadcnt_dscnt 0xc01
	v_mul_f64_e32 v[158:159], v[4:5], v[14:15]
	v_mul_f64_e32 v[14:15], v[6:7], v[14:15]
	v_add_f64_e32 v[138:139], 0, v[156:157]
	v_add_f64_e32 v[152:153], 0, v[152:153]
	s_wait_loadcnt_dscnt 0xb00
	v_mul_f64_e32 v[156:157], v[128:129], v[18:19]
	v_mul_f64_e32 v[18:19], v[130:131], v[18:19]
	v_fmac_f64_e32 v[158:159], v[6:7], v[12:13]
	v_fma_f64 v[160:161], v[4:5], v[12:13], -v[14:15]
	ds_load_b128 v[4:7], v2 offset:928
	ds_load_b128 v[12:15], v2 offset:944
	v_add_f64_e32 v[162:163], v[138:139], v[136:137]
	v_add_f64_e32 v[152:153], v[152:153], v[154:155]
	scratch_load_b128 v[136:139], off, off offset:432
	v_fmac_f64_e32 v[156:157], v[130:131], v[16:17]
	v_fma_f64 v[128:129], v[128:129], v[16:17], -v[18:19]
	scratch_load_b128 v[16:19], off, off offset:448
	s_wait_loadcnt_dscnt 0xc01
	v_mul_f64_e32 v[154:155], v[4:5], v[22:23]
	v_mul_f64_e32 v[22:23], v[6:7], v[22:23]
	v_add_f64_e32 v[130:131], v[162:163], v[160:161]
	v_add_f64_e32 v[152:153], v[152:153], v[158:159]
	s_wait_loadcnt_dscnt 0xb00
	v_mul_f64_e32 v[158:159], v[12:13], v[110:111]
	v_mul_f64_e32 v[110:111], v[14:15], v[110:111]
	v_fmac_f64_e32 v[154:155], v[6:7], v[20:21]
	v_fma_f64 v[160:161], v[4:5], v[20:21], -v[22:23]
	ds_load_b128 v[4:7], v2 offset:960
	ds_load_b128 v[20:23], v2 offset:976
	v_add_f64_e32 v[162:163], v[130:131], v[128:129]
	v_add_f64_e32 v[152:153], v[152:153], v[156:157]
	scratch_load_b128 v[128:131], off, off offset:464
	s_wait_loadcnt_dscnt 0xb01
	v_mul_f64_e32 v[156:157], v[4:5], v[114:115]
	v_mul_f64_e32 v[114:115], v[6:7], v[114:115]
	v_fmac_f64_e32 v[158:159], v[14:15], v[108:109]
	v_fma_f64 v[108:109], v[12:13], v[108:109], -v[110:111]
	scratch_load_b128 v[12:15], off, off offset:480
	v_add_f64_e32 v[110:111], v[162:163], v[160:161]
	v_add_f64_e32 v[152:153], v[152:153], v[154:155]
	s_wait_loadcnt_dscnt 0xb00
	v_mul_f64_e32 v[154:155], v[20:21], v[118:119]
	v_mul_f64_e32 v[118:119], v[22:23], v[118:119]
	v_fmac_f64_e32 v[156:157], v[6:7], v[112:113]
	v_fma_f64 v[160:161], v[4:5], v[112:113], -v[114:115]
	v_add_f64_e32 v[162:163], v[110:111], v[108:109]
	v_add_f64_e32 v[152:153], v[152:153], v[158:159]
	ds_load_b128 v[4:7], v2 offset:992
	ds_load_b128 v[108:111], v2 offset:1008
	scratch_load_b128 v[112:115], off, off offset:496
	v_fmac_f64_e32 v[154:155], v[22:23], v[116:117]
	v_fma_f64 v[116:117], v[20:21], v[116:117], -v[118:119]
	scratch_load_b128 v[20:23], off, off offset:512
	s_wait_loadcnt_dscnt 0xc01
	v_mul_f64_e32 v[158:159], v[4:5], v[122:123]
	v_mul_f64_e32 v[122:123], v[6:7], v[122:123]
	v_add_f64_e32 v[118:119], v[162:163], v[160:161]
	v_add_f64_e32 v[152:153], v[152:153], v[156:157]
	s_wait_loadcnt_dscnt 0xb00
	v_mul_f64_e32 v[156:157], v[108:109], v[126:127]
	v_mul_f64_e32 v[126:127], v[110:111], v[126:127]
	v_fmac_f64_e32 v[158:159], v[6:7], v[120:121]
	v_fma_f64 v[160:161], v[4:5], v[120:121], -v[122:123]
	v_add_f64_e32 v[162:163], v[118:119], v[116:117]
	v_add_f64_e32 v[152:153], v[152:153], v[154:155]
	ds_load_b128 v[4:7], v2 offset:1024
	ds_load_b128 v[116:119], v2 offset:1040
	scratch_load_b128 v[120:123], off, off offset:528
	v_fmac_f64_e32 v[156:157], v[110:111], v[124:125]
	v_fma_f64 v[124:125], v[108:109], v[124:125], -v[126:127]
	scratch_load_b128 v[108:111], off, off offset:544
	s_wait_loadcnt_dscnt 0xc01
	v_mul_f64_e32 v[154:155], v[4:5], v[134:135]
	v_mul_f64_e32 v[134:135], v[6:7], v[134:135]
	;; [unrolled: 18-line block ×5, first 2 shown]
	v_add_f64_e32 v[146:147], v[162:163], v[160:161]
	v_add_f64_e32 v[152:153], v[152:153], v[158:159]
	s_wait_loadcnt_dscnt 0xa00
	v_mul_f64_e32 v[158:159], v[124:125], v[14:15]
	v_mul_f64_e32 v[14:15], v[126:127], v[14:15]
	v_fmac_f64_e32 v[154:155], v[6:7], v[128:129]
	v_fma_f64 v[160:161], v[4:5], v[128:129], -v[130:131]
	ds_load_b128 v[4:7], v2 offset:1152
	ds_load_b128 v[128:131], v2 offset:1168
	v_add_f64_e32 v[144:145], v[146:147], v[144:145]
	v_add_f64_e32 v[146:147], v[152:153], v[156:157]
	v_fmac_f64_e32 v[158:159], v[126:127], v[12:13]
	v_fma_f64 v[12:13], v[124:125], v[12:13], -v[14:15]
	s_wait_loadcnt_dscnt 0x901
	v_mul_f64_e32 v[152:153], v[4:5], v[114:115]
	v_mul_f64_e32 v[114:115], v[6:7], v[114:115]
	s_wait_loadcnt_dscnt 0x800
	v_mul_f64_e32 v[126:127], v[128:129], v[22:23]
	v_mul_f64_e32 v[22:23], v[130:131], v[22:23]
	v_add_f64_e32 v[14:15], v[144:145], v[160:161]
	v_add_f64_e32 v[124:125], v[146:147], v[154:155]
	v_fmac_f64_e32 v[152:153], v[6:7], v[112:113]
	v_fma_f64 v[112:113], v[4:5], v[112:113], -v[114:115]
	v_fmac_f64_e32 v[126:127], v[130:131], v[20:21]
	v_fma_f64 v[20:21], v[128:129], v[20:21], -v[22:23]
	v_add_f64_e32 v[114:115], v[14:15], v[12:13]
	v_add_f64_e32 v[124:125], v[124:125], v[158:159]
	ds_load_b128 v[4:7], v2 offset:1184
	ds_load_b128 v[12:15], v2 offset:1200
	s_wait_loadcnt_dscnt 0x701
	v_mul_f64_e32 v[144:145], v[4:5], v[122:123]
	v_mul_f64_e32 v[122:123], v[6:7], v[122:123]
	v_add_f64_e32 v[22:23], v[114:115], v[112:113]
	v_add_f64_e32 v[112:113], v[124:125], v[152:153]
	s_wait_loadcnt_dscnt 0x600
	v_mul_f64_e32 v[114:115], v[12:13], v[110:111]
	v_mul_f64_e32 v[110:111], v[14:15], v[110:111]
	v_fmac_f64_e32 v[144:145], v[6:7], v[120:121]
	v_fma_f64 v[120:121], v[4:5], v[120:121], -v[122:123]
	v_add_f64_e32 v[122:123], v[22:23], v[20:21]
	v_add_f64_e32 v[112:113], v[112:113], v[126:127]
	ds_load_b128 v[4:7], v2 offset:1216
	ds_load_b128 v[20:23], v2 offset:1232
	v_fmac_f64_e32 v[114:115], v[14:15], v[108:109]
	v_fma_f64 v[12:13], v[12:13], v[108:109], -v[110:111]
	s_wait_loadcnt_dscnt 0x501
	v_mul_f64_e32 v[124:125], v[4:5], v[134:135]
	v_mul_f64_e32 v[126:127], v[6:7], v[134:135]
	s_wait_loadcnt_dscnt 0x400
	v_mul_f64_e32 v[110:111], v[20:21], v[118:119]
	v_add_f64_e32 v[14:15], v[122:123], v[120:121]
	v_add_f64_e32 v[108:109], v[112:113], v[144:145]
	v_mul_f64_e32 v[112:113], v[22:23], v[118:119]
	v_fmac_f64_e32 v[124:125], v[6:7], v[132:133]
	v_fma_f64 v[118:119], v[4:5], v[132:133], -v[126:127]
	v_fmac_f64_e32 v[110:111], v[22:23], v[116:117]
	v_add_f64_e32 v[120:121], v[14:15], v[12:13]
	v_add_f64_e32 v[108:109], v[108:109], v[114:115]
	ds_load_b128 v[4:7], v2 offset:1248
	ds_load_b128 v[12:15], v2 offset:1264
	v_fma_f64 v[20:21], v[20:21], v[116:117], -v[112:113]
	s_wait_loadcnt_dscnt 0x301
	v_mul_f64_e32 v[114:115], v[4:5], v[150:151]
	v_mul_f64_e32 v[122:123], v[6:7], v[150:151]
	s_wait_loadcnt_dscnt 0x200
	v_mul_f64_e32 v[112:113], v[12:13], v[10:11]
	v_mul_f64_e32 v[10:11], v[14:15], v[10:11]
	v_add_f64_e32 v[22:23], v[120:121], v[118:119]
	v_add_f64_e32 v[108:109], v[108:109], v[124:125]
	v_fmac_f64_e32 v[114:115], v[6:7], v[148:149]
	v_fma_f64 v[116:117], v[4:5], v[148:149], -v[122:123]
	v_fmac_f64_e32 v[112:113], v[14:15], v[8:9]
	v_fma_f64 v[8:9], v[12:13], v[8:9], -v[10:11]
	v_add_f64_e32 v[118:119], v[22:23], v[20:21]
	v_add_f64_e32 v[108:109], v[108:109], v[110:111]
	ds_load_b128 v[4:7], v2 offset:1280
	ds_load_b128 v[20:23], v2 offset:1296
	s_wait_loadcnt_dscnt 0x101
	v_mul_f64_e32 v[2:3], v[4:5], v[138:139]
	v_mul_f64_e32 v[110:111], v[6:7], v[138:139]
	s_wait_loadcnt_dscnt 0x0
	v_mul_f64_e32 v[14:15], v[20:21], v[18:19]
	v_mul_f64_e32 v[18:19], v[22:23], v[18:19]
	v_add_f64_e32 v[10:11], v[118:119], v[116:117]
	v_add_f64_e32 v[12:13], v[108:109], v[114:115]
	v_fmac_f64_e32 v[2:3], v[6:7], v[136:137]
	v_fma_f64 v[4:5], v[4:5], v[136:137], -v[110:111]
	v_fmac_f64_e32 v[14:15], v[22:23], v[16:17]
	v_add_f64_e32 v[6:7], v[10:11], v[8:9]
	v_add_f64_e32 v[8:9], v[12:13], v[112:113]
	v_fma_f64 v[10:11], v[20:21], v[16:17], -v[18:19]
	s_delay_alu instid0(VALU_DEP_3) | instskip(NEXT) | instid1(VALU_DEP_3)
	v_add_f64_e32 v[4:5], v[6:7], v[4:5]
	v_add_f64_e32 v[2:3], v[8:9], v[2:3]
	s_delay_alu instid0(VALU_DEP_2) | instskip(NEXT) | instid1(VALU_DEP_2)
	v_add_f64_e32 v[4:5], v[4:5], v[10:11]
	v_add_f64_e32 v[6:7], v[2:3], v[14:15]
	s_delay_alu instid0(VALU_DEP_2) | instskip(NEXT) | instid1(VALU_DEP_2)
	v_add_f64_e64 v[2:3], v[140:141], -v[4:5]
	v_add_f64_e64 v[4:5], v[142:143], -v[6:7]
	scratch_store_b128 off, v[2:5], off offset:192
	s_wait_xcnt 0x0
	v_cmpx_lt_u32_e32 11, v1
	s_cbranch_execz .LBB104_237
; %bb.236:
	scratch_load_b128 v[2:5], off, s46
	v_mov_b32_e32 v6, 0
	s_delay_alu instid0(VALU_DEP_1)
	v_dual_mov_b32 v7, v6 :: v_dual_mov_b32 v8, v6
	v_mov_b32_e32 v9, v6
	scratch_store_b128 off, v[6:9], off offset:176
	s_wait_loadcnt 0x0
	ds_store_b128 v106, v[2:5]
.LBB104_237:
	s_wait_xcnt 0x0
	s_or_b32 exec_lo, exec_lo, s2
	s_wait_storecnt_dscnt 0x0
	s_barrier_signal -1
	s_barrier_wait -1
	s_clause 0x9
	scratch_load_b128 v[4:7], off, off offset:192
	scratch_load_b128 v[8:11], off, off offset:208
	;; [unrolled: 1-line block ×10, first 2 shown]
	v_mov_b32_e32 v2, 0
	s_mov_b32 s2, exec_lo
	ds_load_b128 v[128:131], v2 offset:848
	s_clause 0x2
	scratch_load_b128 v[132:135], off, off offset:352
	scratch_load_b128 v[136:139], off, off offset:176
	;; [unrolled: 1-line block ×3, first 2 shown]
	s_wait_loadcnt_dscnt 0xc00
	v_mul_f64_e32 v[148:149], v[130:131], v[6:7]
	v_mul_f64_e32 v[152:153], v[128:129], v[6:7]
	ds_load_b128 v[140:143], v2 offset:864
	v_fma_f64 v[156:157], v[128:129], v[4:5], -v[148:149]
	v_fmac_f64_e32 v[152:153], v[130:131], v[4:5]
	ds_load_b128 v[4:7], v2 offset:880
	s_wait_loadcnt_dscnt 0xb01
	v_mul_f64_e32 v[154:155], v[140:141], v[10:11]
	v_mul_f64_e32 v[10:11], v[142:143], v[10:11]
	scratch_load_b128 v[128:131], off, off offset:384
	ds_load_b128 v[148:151], v2 offset:896
	s_wait_loadcnt_dscnt 0xb01
	v_mul_f64_e32 v[158:159], v[4:5], v[14:15]
	v_mul_f64_e32 v[14:15], v[6:7], v[14:15]
	v_add_f64_e32 v[152:153], 0, v[152:153]
	v_fmac_f64_e32 v[154:155], v[142:143], v[8:9]
	v_fma_f64 v[140:141], v[140:141], v[8:9], -v[10:11]
	v_add_f64_e32 v[142:143], 0, v[156:157]
	scratch_load_b128 v[8:11], off, off offset:400
	v_fmac_f64_e32 v[158:159], v[6:7], v[12:13]
	v_fma_f64 v[160:161], v[4:5], v[12:13], -v[14:15]
	ds_load_b128 v[4:7], v2 offset:912
	s_wait_loadcnt_dscnt 0xb01
	v_mul_f64_e32 v[156:157], v[148:149], v[18:19]
	v_mul_f64_e32 v[18:19], v[150:151], v[18:19]
	scratch_load_b128 v[12:15], off, off offset:416
	v_add_f64_e32 v[152:153], v[152:153], v[154:155]
	v_add_f64_e32 v[162:163], v[142:143], v[140:141]
	ds_load_b128 v[140:143], v2 offset:928
	s_wait_loadcnt_dscnt 0xb01
	v_mul_f64_e32 v[154:155], v[4:5], v[22:23]
	v_mul_f64_e32 v[22:23], v[6:7], v[22:23]
	v_fmac_f64_e32 v[156:157], v[150:151], v[16:17]
	v_fma_f64 v[148:149], v[148:149], v[16:17], -v[18:19]
	scratch_load_b128 v[16:19], off, off offset:432
	v_add_f64_e32 v[152:153], v[152:153], v[158:159]
	v_add_f64_e32 v[150:151], v[162:163], v[160:161]
	v_fmac_f64_e32 v[154:155], v[6:7], v[20:21]
	v_fma_f64 v[160:161], v[4:5], v[20:21], -v[22:23]
	ds_load_b128 v[4:7], v2 offset:944
	s_wait_loadcnt_dscnt 0xb01
	v_mul_f64_e32 v[158:159], v[140:141], v[110:111]
	v_mul_f64_e32 v[110:111], v[142:143], v[110:111]
	scratch_load_b128 v[20:23], off, off offset:448
	v_add_f64_e32 v[152:153], v[152:153], v[156:157]
	s_wait_loadcnt_dscnt 0xb00
	v_mul_f64_e32 v[156:157], v[4:5], v[114:115]
	v_add_f64_e32 v[162:163], v[150:151], v[148:149]
	v_mul_f64_e32 v[114:115], v[6:7], v[114:115]
	ds_load_b128 v[148:151], v2 offset:960
	v_fmac_f64_e32 v[158:159], v[142:143], v[108:109]
	v_fma_f64 v[140:141], v[140:141], v[108:109], -v[110:111]
	scratch_load_b128 v[108:111], off, off offset:464
	v_add_f64_e32 v[152:153], v[152:153], v[154:155]
	v_fmac_f64_e32 v[156:157], v[6:7], v[112:113]
	v_add_f64_e32 v[142:143], v[162:163], v[160:161]
	v_fma_f64 v[160:161], v[4:5], v[112:113], -v[114:115]
	ds_load_b128 v[4:7], v2 offset:976
	s_wait_loadcnt_dscnt 0xb01
	v_mul_f64_e32 v[154:155], v[148:149], v[118:119]
	v_mul_f64_e32 v[118:119], v[150:151], v[118:119]
	scratch_load_b128 v[112:115], off, off offset:480
	v_add_f64_e32 v[152:153], v[152:153], v[158:159]
	s_wait_loadcnt_dscnt 0xb00
	v_mul_f64_e32 v[158:159], v[4:5], v[122:123]
	v_add_f64_e32 v[162:163], v[142:143], v[140:141]
	v_mul_f64_e32 v[122:123], v[6:7], v[122:123]
	ds_load_b128 v[140:143], v2 offset:992
	v_fmac_f64_e32 v[154:155], v[150:151], v[116:117]
	v_fma_f64 v[148:149], v[148:149], v[116:117], -v[118:119]
	scratch_load_b128 v[116:119], off, off offset:496
	v_add_f64_e32 v[152:153], v[152:153], v[156:157]
	v_fmac_f64_e32 v[158:159], v[6:7], v[120:121]
	v_add_f64_e32 v[150:151], v[162:163], v[160:161]
	;; [unrolled: 18-line block ×3, first 2 shown]
	v_fma_f64 v[160:161], v[4:5], v[132:133], -v[134:135]
	ds_load_b128 v[4:7], v2 offset:1040
	s_wait_loadcnt_dscnt 0xa01
	v_mul_f64_e32 v[158:159], v[148:149], v[146:147]
	v_mul_f64_e32 v[146:147], v[150:151], v[146:147]
	scratch_load_b128 v[132:135], off, off offset:544
	v_add_f64_e32 v[152:153], v[152:153], v[156:157]
	v_add_f64_e32 v[162:163], v[142:143], v[140:141]
	s_wait_loadcnt_dscnt 0xa00
	v_mul_f64_e32 v[156:157], v[4:5], v[130:131]
	v_mul_f64_e32 v[130:131], v[6:7], v[130:131]
	v_fmac_f64_e32 v[158:159], v[150:151], v[144:145]
	v_fma_f64 v[148:149], v[148:149], v[144:145], -v[146:147]
	ds_load_b128 v[140:143], v2 offset:1056
	scratch_load_b128 v[144:147], off, off offset:560
	v_add_f64_e32 v[152:153], v[152:153], v[154:155]
	v_add_f64_e32 v[150:151], v[162:163], v[160:161]
	v_fmac_f64_e32 v[156:157], v[6:7], v[128:129]
	v_fma_f64 v[160:161], v[4:5], v[128:129], -v[130:131]
	ds_load_b128 v[4:7], v2 offset:1072
	s_wait_loadcnt_dscnt 0xa01
	v_mul_f64_e32 v[154:155], v[140:141], v[10:11]
	v_mul_f64_e32 v[10:11], v[142:143], v[10:11]
	scratch_load_b128 v[128:131], off, off offset:576
	v_add_f64_e32 v[152:153], v[152:153], v[158:159]
	s_wait_loadcnt_dscnt 0xa00
	v_mul_f64_e32 v[158:159], v[4:5], v[14:15]
	v_add_f64_e32 v[162:163], v[150:151], v[148:149]
	v_mul_f64_e32 v[14:15], v[6:7], v[14:15]
	ds_load_b128 v[148:151], v2 offset:1088
	v_fmac_f64_e32 v[154:155], v[142:143], v[8:9]
	v_fma_f64 v[140:141], v[140:141], v[8:9], -v[10:11]
	scratch_load_b128 v[8:11], off, off offset:592
	v_add_f64_e32 v[152:153], v[152:153], v[156:157]
	v_fmac_f64_e32 v[158:159], v[6:7], v[12:13]
	v_add_f64_e32 v[142:143], v[162:163], v[160:161]
	v_fma_f64 v[160:161], v[4:5], v[12:13], -v[14:15]
	ds_load_b128 v[4:7], v2 offset:1104
	s_wait_loadcnt_dscnt 0xa01
	v_mul_f64_e32 v[156:157], v[148:149], v[18:19]
	v_mul_f64_e32 v[18:19], v[150:151], v[18:19]
	scratch_load_b128 v[12:15], off, off offset:608
	v_add_f64_e32 v[152:153], v[152:153], v[154:155]
	s_wait_loadcnt_dscnt 0xa00
	v_mul_f64_e32 v[154:155], v[4:5], v[22:23]
	v_add_f64_e32 v[162:163], v[142:143], v[140:141]
	v_mul_f64_e32 v[22:23], v[6:7], v[22:23]
	ds_load_b128 v[140:143], v2 offset:1120
	v_fmac_f64_e32 v[156:157], v[150:151], v[16:17]
	v_fma_f64 v[148:149], v[148:149], v[16:17], -v[18:19]
	scratch_load_b128 v[16:19], off, off offset:624
	v_add_f64_e32 v[152:153], v[152:153], v[158:159]
	v_fmac_f64_e32 v[154:155], v[6:7], v[20:21]
	v_add_f64_e32 v[150:151], v[162:163], v[160:161]
	v_fma_f64 v[160:161], v[4:5], v[20:21], -v[22:23]
	ds_load_b128 v[4:7], v2 offset:1136
	s_wait_loadcnt_dscnt 0xa01
	v_mul_f64_e32 v[158:159], v[140:141], v[110:111]
	v_mul_f64_e32 v[110:111], v[142:143], v[110:111]
	scratch_load_b128 v[20:23], off, off offset:640
	v_add_f64_e32 v[152:153], v[152:153], v[156:157]
	s_wait_loadcnt_dscnt 0xa00
	v_mul_f64_e32 v[156:157], v[4:5], v[114:115]
	v_add_f64_e32 v[162:163], v[150:151], v[148:149]
	v_mul_f64_e32 v[114:115], v[6:7], v[114:115]
	ds_load_b128 v[148:151], v2 offset:1152
	v_fmac_f64_e32 v[158:159], v[142:143], v[108:109]
	v_fma_f64 v[108:109], v[140:141], v[108:109], -v[110:111]
	s_wait_loadcnt_dscnt 0x900
	v_mul_f64_e32 v[142:143], v[148:149], v[118:119]
	v_mul_f64_e32 v[118:119], v[150:151], v[118:119]
	v_add_f64_e32 v[140:141], v[152:153], v[154:155]
	v_fmac_f64_e32 v[156:157], v[6:7], v[112:113]
	v_add_f64_e32 v[110:111], v[162:163], v[160:161]
	v_fma_f64 v[112:113], v[4:5], v[112:113], -v[114:115]
	v_fmac_f64_e32 v[142:143], v[150:151], v[116:117]
	v_fma_f64 v[116:117], v[148:149], v[116:117], -v[118:119]
	v_add_f64_e32 v[140:141], v[140:141], v[158:159]
	v_add_f64_e32 v[114:115], v[110:111], v[108:109]
	ds_load_b128 v[4:7], v2 offset:1168
	ds_load_b128 v[108:111], v2 offset:1184
	s_wait_loadcnt_dscnt 0x801
	v_mul_f64_e32 v[152:153], v[4:5], v[122:123]
	v_mul_f64_e32 v[122:123], v[6:7], v[122:123]
	s_wait_loadcnt_dscnt 0x700
	v_mul_f64_e32 v[118:119], v[108:109], v[126:127]
	v_mul_f64_e32 v[126:127], v[110:111], v[126:127]
	v_add_f64_e32 v[112:113], v[114:115], v[112:113]
	v_add_f64_e32 v[114:115], v[140:141], v[156:157]
	v_fmac_f64_e32 v[152:153], v[6:7], v[120:121]
	v_fma_f64 v[120:121], v[4:5], v[120:121], -v[122:123]
	v_fmac_f64_e32 v[118:119], v[110:111], v[124:125]
	v_fma_f64 v[108:109], v[108:109], v[124:125], -v[126:127]
	v_add_f64_e32 v[116:117], v[112:113], v[116:117]
	v_add_f64_e32 v[122:123], v[114:115], v[142:143]
	ds_load_b128 v[4:7], v2 offset:1200
	ds_load_b128 v[112:115], v2 offset:1216
	s_wait_loadcnt_dscnt 0x601
	v_mul_f64_e32 v[140:141], v[4:5], v[134:135]
	v_mul_f64_e32 v[134:135], v[6:7], v[134:135]
	v_add_f64_e32 v[110:111], v[116:117], v[120:121]
	v_add_f64_e32 v[116:117], v[122:123], v[152:153]
	s_wait_loadcnt_dscnt 0x500
	v_mul_f64_e32 v[120:121], v[112:113], v[146:147]
	v_mul_f64_e32 v[122:123], v[114:115], v[146:147]
	v_fmac_f64_e32 v[140:141], v[6:7], v[132:133]
	v_fma_f64 v[124:125], v[4:5], v[132:133], -v[134:135]
	v_add_f64_e32 v[126:127], v[110:111], v[108:109]
	v_add_f64_e32 v[116:117], v[116:117], v[118:119]
	ds_load_b128 v[4:7], v2 offset:1232
	ds_load_b128 v[108:111], v2 offset:1248
	v_fmac_f64_e32 v[120:121], v[114:115], v[144:145]
	v_fma_f64 v[112:113], v[112:113], v[144:145], -v[122:123]
	s_wait_loadcnt_dscnt 0x401
	v_mul_f64_e32 v[118:119], v[4:5], v[130:131]
	v_mul_f64_e32 v[130:131], v[6:7], v[130:131]
	s_wait_loadcnt_dscnt 0x300
	v_mul_f64_e32 v[122:123], v[108:109], v[10:11]
	v_mul_f64_e32 v[10:11], v[110:111], v[10:11]
	v_add_f64_e32 v[114:115], v[126:127], v[124:125]
	v_add_f64_e32 v[116:117], v[116:117], v[140:141]
	v_fmac_f64_e32 v[118:119], v[6:7], v[128:129]
	v_fma_f64 v[124:125], v[4:5], v[128:129], -v[130:131]
	v_fmac_f64_e32 v[122:123], v[110:111], v[8:9]
	v_fma_f64 v[8:9], v[108:109], v[8:9], -v[10:11]
	v_add_f64_e32 v[126:127], v[114:115], v[112:113]
	v_add_f64_e32 v[116:117], v[116:117], v[120:121]
	ds_load_b128 v[4:7], v2 offset:1264
	ds_load_b128 v[112:115], v2 offset:1280
	s_wait_loadcnt_dscnt 0x201
	v_mul_f64_e32 v[120:121], v[4:5], v[14:15]
	v_mul_f64_e32 v[14:15], v[6:7], v[14:15]
	s_wait_loadcnt_dscnt 0x100
	v_mul_f64_e32 v[110:111], v[112:113], v[18:19]
	v_mul_f64_e32 v[18:19], v[114:115], v[18:19]
	v_add_f64_e32 v[10:11], v[126:127], v[124:125]
	v_add_f64_e32 v[108:109], v[116:117], v[118:119]
	v_fmac_f64_e32 v[120:121], v[6:7], v[12:13]
	v_fma_f64 v[12:13], v[4:5], v[12:13], -v[14:15]
	ds_load_b128 v[4:7], v2 offset:1296
	v_fmac_f64_e32 v[110:111], v[114:115], v[16:17]
	v_fma_f64 v[16:17], v[112:113], v[16:17], -v[18:19]
	v_add_f64_e32 v[8:9], v[10:11], v[8:9]
	v_add_f64_e32 v[10:11], v[108:109], v[122:123]
	s_wait_loadcnt_dscnt 0x0
	v_mul_f64_e32 v[14:15], v[4:5], v[22:23]
	v_mul_f64_e32 v[22:23], v[6:7], v[22:23]
	s_delay_alu instid0(VALU_DEP_4) | instskip(NEXT) | instid1(VALU_DEP_4)
	v_add_f64_e32 v[8:9], v[8:9], v[12:13]
	v_add_f64_e32 v[10:11], v[10:11], v[120:121]
	s_delay_alu instid0(VALU_DEP_4) | instskip(NEXT) | instid1(VALU_DEP_4)
	v_fmac_f64_e32 v[14:15], v[6:7], v[20:21]
	v_fma_f64 v[4:5], v[4:5], v[20:21], -v[22:23]
	s_delay_alu instid0(VALU_DEP_4) | instskip(NEXT) | instid1(VALU_DEP_4)
	v_add_f64_e32 v[6:7], v[8:9], v[16:17]
	v_add_f64_e32 v[8:9], v[10:11], v[110:111]
	s_delay_alu instid0(VALU_DEP_2) | instskip(NEXT) | instid1(VALU_DEP_2)
	v_add_f64_e32 v[4:5], v[6:7], v[4:5]
	v_add_f64_e32 v[6:7], v[8:9], v[14:15]
	s_delay_alu instid0(VALU_DEP_2) | instskip(NEXT) | instid1(VALU_DEP_2)
	v_add_f64_e64 v[4:5], v[136:137], -v[4:5]
	v_add_f64_e64 v[6:7], v[138:139], -v[6:7]
	scratch_store_b128 off, v[4:7], off offset:176
	s_wait_xcnt 0x0
	v_cmpx_lt_u32_e32 10, v1
	s_cbranch_execz .LBB104_239
; %bb.238:
	scratch_load_b128 v[6:9], off, s47
	v_dual_mov_b32 v3, v2 :: v_dual_mov_b32 v4, v2
	v_mov_b32_e32 v5, v2
	scratch_store_b128 off, v[2:5], off offset:160
	s_wait_loadcnt 0x0
	ds_store_b128 v106, v[6:9]
.LBB104_239:
	s_wait_xcnt 0x0
	s_or_b32 exec_lo, exec_lo, s2
	s_wait_storecnt_dscnt 0x0
	s_barrier_signal -1
	s_barrier_wait -1
	s_clause 0x9
	scratch_load_b128 v[4:7], off, off offset:176
	scratch_load_b128 v[8:11], off, off offset:192
	;; [unrolled: 1-line block ×10, first 2 shown]
	ds_load_b128 v[128:131], v2 offset:832
	ds_load_b128 v[136:139], v2 offset:848
	s_clause 0x2
	scratch_load_b128 v[132:135], off, off offset:336
	scratch_load_b128 v[140:143], off, off offset:160
	;; [unrolled: 1-line block ×3, first 2 shown]
	s_mov_b32 s2, exec_lo
	s_wait_loadcnt_dscnt 0xc01
	v_mul_f64_e32 v[148:149], v[130:131], v[6:7]
	v_mul_f64_e32 v[152:153], v[128:129], v[6:7]
	s_wait_loadcnt_dscnt 0xb00
	v_mul_f64_e32 v[154:155], v[136:137], v[10:11]
	v_mul_f64_e32 v[10:11], v[138:139], v[10:11]
	s_delay_alu instid0(VALU_DEP_4) | instskip(NEXT) | instid1(VALU_DEP_4)
	v_fma_f64 v[156:157], v[128:129], v[4:5], -v[148:149]
	v_fmac_f64_e32 v[152:153], v[130:131], v[4:5]
	ds_load_b128 v[4:7], v2 offset:864
	ds_load_b128 v[128:131], v2 offset:880
	scratch_load_b128 v[148:151], off, off offset:368
	v_fmac_f64_e32 v[154:155], v[138:139], v[8:9]
	v_fma_f64 v[136:137], v[136:137], v[8:9], -v[10:11]
	scratch_load_b128 v[8:11], off, off offset:384
	s_wait_loadcnt_dscnt 0xc01
	v_mul_f64_e32 v[158:159], v[4:5], v[14:15]
	v_mul_f64_e32 v[14:15], v[6:7], v[14:15]
	v_add_f64_e32 v[138:139], 0, v[156:157]
	v_add_f64_e32 v[152:153], 0, v[152:153]
	s_wait_loadcnt_dscnt 0xb00
	v_mul_f64_e32 v[156:157], v[128:129], v[18:19]
	v_mul_f64_e32 v[18:19], v[130:131], v[18:19]
	v_fmac_f64_e32 v[158:159], v[6:7], v[12:13]
	v_fma_f64 v[160:161], v[4:5], v[12:13], -v[14:15]
	ds_load_b128 v[4:7], v2 offset:896
	ds_load_b128 v[12:15], v2 offset:912
	v_add_f64_e32 v[162:163], v[138:139], v[136:137]
	v_add_f64_e32 v[152:153], v[152:153], v[154:155]
	scratch_load_b128 v[136:139], off, off offset:400
	v_fmac_f64_e32 v[156:157], v[130:131], v[16:17]
	v_fma_f64 v[128:129], v[128:129], v[16:17], -v[18:19]
	scratch_load_b128 v[16:19], off, off offset:416
	s_wait_loadcnt_dscnt 0xc01
	v_mul_f64_e32 v[154:155], v[4:5], v[22:23]
	v_mul_f64_e32 v[22:23], v[6:7], v[22:23]
	v_add_f64_e32 v[130:131], v[162:163], v[160:161]
	v_add_f64_e32 v[152:153], v[152:153], v[158:159]
	s_wait_loadcnt_dscnt 0xb00
	v_mul_f64_e32 v[158:159], v[12:13], v[110:111]
	v_mul_f64_e32 v[110:111], v[14:15], v[110:111]
	v_fmac_f64_e32 v[154:155], v[6:7], v[20:21]
	v_fma_f64 v[160:161], v[4:5], v[20:21], -v[22:23]
	ds_load_b128 v[4:7], v2 offset:928
	ds_load_b128 v[20:23], v2 offset:944
	v_add_f64_e32 v[162:163], v[130:131], v[128:129]
	v_add_f64_e32 v[152:153], v[152:153], v[156:157]
	scratch_load_b128 v[128:131], off, off offset:432
	s_wait_loadcnt_dscnt 0xb01
	v_mul_f64_e32 v[156:157], v[4:5], v[114:115]
	v_mul_f64_e32 v[114:115], v[6:7], v[114:115]
	v_fmac_f64_e32 v[158:159], v[14:15], v[108:109]
	v_fma_f64 v[108:109], v[12:13], v[108:109], -v[110:111]
	scratch_load_b128 v[12:15], off, off offset:448
	v_add_f64_e32 v[110:111], v[162:163], v[160:161]
	v_add_f64_e32 v[152:153], v[152:153], v[154:155]
	s_wait_loadcnt_dscnt 0xb00
	v_mul_f64_e32 v[154:155], v[20:21], v[118:119]
	v_mul_f64_e32 v[118:119], v[22:23], v[118:119]
	v_fmac_f64_e32 v[156:157], v[6:7], v[112:113]
	v_fma_f64 v[160:161], v[4:5], v[112:113], -v[114:115]
	v_add_f64_e32 v[162:163], v[110:111], v[108:109]
	v_add_f64_e32 v[152:153], v[152:153], v[158:159]
	ds_load_b128 v[4:7], v2 offset:960
	ds_load_b128 v[108:111], v2 offset:976
	scratch_load_b128 v[112:115], off, off offset:464
	v_fmac_f64_e32 v[154:155], v[22:23], v[116:117]
	v_fma_f64 v[116:117], v[20:21], v[116:117], -v[118:119]
	scratch_load_b128 v[20:23], off, off offset:480
	s_wait_loadcnt_dscnt 0xc01
	v_mul_f64_e32 v[158:159], v[4:5], v[122:123]
	v_mul_f64_e32 v[122:123], v[6:7], v[122:123]
	v_add_f64_e32 v[118:119], v[162:163], v[160:161]
	v_add_f64_e32 v[152:153], v[152:153], v[156:157]
	s_wait_loadcnt_dscnt 0xb00
	v_mul_f64_e32 v[156:157], v[108:109], v[126:127]
	v_mul_f64_e32 v[126:127], v[110:111], v[126:127]
	v_fmac_f64_e32 v[158:159], v[6:7], v[120:121]
	v_fma_f64 v[160:161], v[4:5], v[120:121], -v[122:123]
	v_add_f64_e32 v[162:163], v[118:119], v[116:117]
	v_add_f64_e32 v[152:153], v[152:153], v[154:155]
	ds_load_b128 v[4:7], v2 offset:992
	ds_load_b128 v[116:119], v2 offset:1008
	scratch_load_b128 v[120:123], off, off offset:496
	v_fmac_f64_e32 v[156:157], v[110:111], v[124:125]
	v_fma_f64 v[124:125], v[108:109], v[124:125], -v[126:127]
	scratch_load_b128 v[108:111], off, off offset:512
	s_wait_loadcnt_dscnt 0xc01
	v_mul_f64_e32 v[154:155], v[4:5], v[134:135]
	v_mul_f64_e32 v[134:135], v[6:7], v[134:135]
	;; [unrolled: 18-line block ×5, first 2 shown]
	v_add_f64_e32 v[146:147], v[162:163], v[160:161]
	v_add_f64_e32 v[152:153], v[152:153], v[158:159]
	s_wait_loadcnt_dscnt 0xa00
	v_mul_f64_e32 v[158:159], v[124:125], v[14:15]
	v_mul_f64_e32 v[14:15], v[126:127], v[14:15]
	v_fmac_f64_e32 v[154:155], v[6:7], v[128:129]
	v_fma_f64 v[160:161], v[4:5], v[128:129], -v[130:131]
	ds_load_b128 v[4:7], v2 offset:1120
	ds_load_b128 v[128:131], v2 offset:1136
	v_add_f64_e32 v[162:163], v[146:147], v[144:145]
	v_add_f64_e32 v[152:153], v[152:153], v[156:157]
	scratch_load_b128 v[144:147], off, off offset:624
	v_fmac_f64_e32 v[158:159], v[126:127], v[12:13]
	v_fma_f64 v[124:125], v[124:125], v[12:13], -v[14:15]
	scratch_load_b128 v[12:15], off, off offset:640
	s_wait_loadcnt_dscnt 0xb01
	v_mul_f64_e32 v[156:157], v[4:5], v[114:115]
	v_mul_f64_e32 v[114:115], v[6:7], v[114:115]
	v_add_f64_e32 v[126:127], v[162:163], v[160:161]
	v_add_f64_e32 v[152:153], v[152:153], v[154:155]
	s_wait_loadcnt_dscnt 0xa00
	v_mul_f64_e32 v[154:155], v[128:129], v[22:23]
	v_mul_f64_e32 v[22:23], v[130:131], v[22:23]
	v_fmac_f64_e32 v[156:157], v[6:7], v[112:113]
	v_fma_f64 v[160:161], v[4:5], v[112:113], -v[114:115]
	ds_load_b128 v[4:7], v2 offset:1152
	ds_load_b128 v[112:115], v2 offset:1168
	v_add_f64_e32 v[124:125], v[126:127], v[124:125]
	v_add_f64_e32 v[126:127], v[152:153], v[158:159]
	v_fmac_f64_e32 v[154:155], v[130:131], v[20:21]
	s_wait_loadcnt_dscnt 0x901
	v_mul_f64_e32 v[152:153], v[4:5], v[122:123]
	v_mul_f64_e32 v[122:123], v[6:7], v[122:123]
	v_fma_f64 v[20:21], v[128:129], v[20:21], -v[22:23]
	v_add_f64_e32 v[22:23], v[124:125], v[160:161]
	v_add_f64_e32 v[124:125], v[126:127], v[156:157]
	s_wait_loadcnt_dscnt 0x800
	v_mul_f64_e32 v[126:127], v[112:113], v[110:111]
	v_mul_f64_e32 v[110:111], v[114:115], v[110:111]
	v_fmac_f64_e32 v[152:153], v[6:7], v[120:121]
	v_fma_f64 v[120:121], v[4:5], v[120:121], -v[122:123]
	v_add_f64_e32 v[122:123], v[22:23], v[20:21]
	v_add_f64_e32 v[124:125], v[124:125], v[154:155]
	ds_load_b128 v[4:7], v2 offset:1184
	ds_load_b128 v[20:23], v2 offset:1200
	v_fmac_f64_e32 v[126:127], v[114:115], v[108:109]
	v_fma_f64 v[108:109], v[112:113], v[108:109], -v[110:111]
	s_wait_loadcnt_dscnt 0x701
	v_mul_f64_e32 v[128:129], v[4:5], v[134:135]
	v_mul_f64_e32 v[130:131], v[6:7], v[134:135]
	s_wait_loadcnt_dscnt 0x600
	v_mul_f64_e32 v[114:115], v[20:21], v[118:119]
	v_mul_f64_e32 v[118:119], v[22:23], v[118:119]
	v_add_f64_e32 v[110:111], v[122:123], v[120:121]
	v_add_f64_e32 v[112:113], v[124:125], v[152:153]
	v_fmac_f64_e32 v[128:129], v[6:7], v[132:133]
	v_fma_f64 v[120:121], v[4:5], v[132:133], -v[130:131]
	v_fmac_f64_e32 v[114:115], v[22:23], v[116:117]
	v_fma_f64 v[20:21], v[20:21], v[116:117], -v[118:119]
	v_add_f64_e32 v[122:123], v[110:111], v[108:109]
	v_add_f64_e32 v[112:113], v[112:113], v[126:127]
	ds_load_b128 v[4:7], v2 offset:1216
	ds_load_b128 v[108:111], v2 offset:1232
	s_wait_loadcnt_dscnt 0x501
	v_mul_f64_e32 v[124:125], v[4:5], v[150:151]
	v_mul_f64_e32 v[126:127], v[6:7], v[150:151]
	s_wait_loadcnt_dscnt 0x400
	v_mul_f64_e32 v[116:117], v[108:109], v[10:11]
	v_mul_f64_e32 v[10:11], v[110:111], v[10:11]
	v_add_f64_e32 v[22:23], v[122:123], v[120:121]
	v_add_f64_e32 v[112:113], v[112:113], v[128:129]
	v_fmac_f64_e32 v[124:125], v[6:7], v[148:149]
	v_fma_f64 v[118:119], v[4:5], v[148:149], -v[126:127]
	v_fmac_f64_e32 v[116:117], v[110:111], v[8:9]
	v_fma_f64 v[8:9], v[108:109], v[8:9], -v[10:11]
	v_add_f64_e32 v[120:121], v[22:23], v[20:21]
	v_add_f64_e32 v[112:113], v[112:113], v[114:115]
	ds_load_b128 v[4:7], v2 offset:1248
	ds_load_b128 v[20:23], v2 offset:1264
	;; [unrolled: 16-line block ×3, first 2 shown]
	s_wait_loadcnt_dscnt 0x101
	v_mul_f64_e32 v[2:3], v[4:5], v[146:147]
	v_mul_f64_e32 v[116:117], v[6:7], v[146:147]
	s_wait_loadcnt_dscnt 0x0
	v_mul_f64_e32 v[22:23], v[8:9], v[14:15]
	v_mul_f64_e32 v[14:15], v[10:11], v[14:15]
	v_add_f64_e32 v[18:19], v[118:119], v[112:113]
	v_add_f64_e32 v[20:21], v[108:109], v[114:115]
	v_fmac_f64_e32 v[2:3], v[6:7], v[144:145]
	v_fma_f64 v[4:5], v[4:5], v[144:145], -v[116:117]
	v_fmac_f64_e32 v[22:23], v[10:11], v[12:13]
	v_fma_f64 v[8:9], v[8:9], v[12:13], -v[14:15]
	v_add_f64_e32 v[6:7], v[18:19], v[16:17]
	v_add_f64_e32 v[16:17], v[20:21], v[110:111]
	s_delay_alu instid0(VALU_DEP_2) | instskip(NEXT) | instid1(VALU_DEP_2)
	v_add_f64_e32 v[4:5], v[6:7], v[4:5]
	v_add_f64_e32 v[2:3], v[16:17], v[2:3]
	s_delay_alu instid0(VALU_DEP_2) | instskip(NEXT) | instid1(VALU_DEP_2)
	;; [unrolled: 3-line block ×3, first 2 shown]
	v_add_f64_e64 v[2:3], v[140:141], -v[4:5]
	v_add_f64_e64 v[4:5], v[142:143], -v[6:7]
	scratch_store_b128 off, v[2:5], off offset:160
	s_wait_xcnt 0x0
	v_cmpx_lt_u32_e32 9, v1
	s_cbranch_execz .LBB104_241
; %bb.240:
	scratch_load_b128 v[2:5], off, s48
	v_mov_b32_e32 v6, 0
	s_delay_alu instid0(VALU_DEP_1)
	v_dual_mov_b32 v7, v6 :: v_dual_mov_b32 v8, v6
	v_mov_b32_e32 v9, v6
	scratch_store_b128 off, v[6:9], off offset:144
	s_wait_loadcnt 0x0
	ds_store_b128 v106, v[2:5]
.LBB104_241:
	s_wait_xcnt 0x0
	s_or_b32 exec_lo, exec_lo, s2
	s_wait_storecnt_dscnt 0x0
	s_barrier_signal -1
	s_barrier_wait -1
	s_clause 0x9
	scratch_load_b128 v[4:7], off, off offset:160
	scratch_load_b128 v[8:11], off, off offset:176
	;; [unrolled: 1-line block ×10, first 2 shown]
	v_mov_b32_e32 v2, 0
	s_mov_b32 s2, exec_lo
	ds_load_b128 v[128:131], v2 offset:816
	s_clause 0x2
	scratch_load_b128 v[132:135], off, off offset:320
	scratch_load_b128 v[136:139], off, off offset:144
	;; [unrolled: 1-line block ×3, first 2 shown]
	s_wait_loadcnt_dscnt 0xc00
	v_mul_f64_e32 v[148:149], v[130:131], v[6:7]
	v_mul_f64_e32 v[152:153], v[128:129], v[6:7]
	ds_load_b128 v[140:143], v2 offset:832
	v_fma_f64 v[156:157], v[128:129], v[4:5], -v[148:149]
	v_fmac_f64_e32 v[152:153], v[130:131], v[4:5]
	ds_load_b128 v[4:7], v2 offset:848
	s_wait_loadcnt_dscnt 0xb01
	v_mul_f64_e32 v[154:155], v[140:141], v[10:11]
	v_mul_f64_e32 v[10:11], v[142:143], v[10:11]
	scratch_load_b128 v[128:131], off, off offset:352
	ds_load_b128 v[148:151], v2 offset:864
	s_wait_loadcnt_dscnt 0xb01
	v_mul_f64_e32 v[158:159], v[4:5], v[14:15]
	v_mul_f64_e32 v[14:15], v[6:7], v[14:15]
	v_add_f64_e32 v[152:153], 0, v[152:153]
	v_fmac_f64_e32 v[154:155], v[142:143], v[8:9]
	v_fma_f64 v[140:141], v[140:141], v[8:9], -v[10:11]
	v_add_f64_e32 v[142:143], 0, v[156:157]
	scratch_load_b128 v[8:11], off, off offset:368
	v_fmac_f64_e32 v[158:159], v[6:7], v[12:13]
	v_fma_f64 v[160:161], v[4:5], v[12:13], -v[14:15]
	ds_load_b128 v[4:7], v2 offset:880
	s_wait_loadcnt_dscnt 0xb01
	v_mul_f64_e32 v[156:157], v[148:149], v[18:19]
	v_mul_f64_e32 v[18:19], v[150:151], v[18:19]
	scratch_load_b128 v[12:15], off, off offset:384
	v_add_f64_e32 v[152:153], v[152:153], v[154:155]
	v_add_f64_e32 v[162:163], v[142:143], v[140:141]
	ds_load_b128 v[140:143], v2 offset:896
	s_wait_loadcnt_dscnt 0xb01
	v_mul_f64_e32 v[154:155], v[4:5], v[22:23]
	v_mul_f64_e32 v[22:23], v[6:7], v[22:23]
	v_fmac_f64_e32 v[156:157], v[150:151], v[16:17]
	v_fma_f64 v[148:149], v[148:149], v[16:17], -v[18:19]
	scratch_load_b128 v[16:19], off, off offset:400
	v_add_f64_e32 v[152:153], v[152:153], v[158:159]
	v_add_f64_e32 v[150:151], v[162:163], v[160:161]
	v_fmac_f64_e32 v[154:155], v[6:7], v[20:21]
	v_fma_f64 v[160:161], v[4:5], v[20:21], -v[22:23]
	ds_load_b128 v[4:7], v2 offset:912
	s_wait_loadcnt_dscnt 0xb01
	v_mul_f64_e32 v[158:159], v[140:141], v[110:111]
	v_mul_f64_e32 v[110:111], v[142:143], v[110:111]
	scratch_load_b128 v[20:23], off, off offset:416
	v_add_f64_e32 v[152:153], v[152:153], v[156:157]
	s_wait_loadcnt_dscnt 0xb00
	v_mul_f64_e32 v[156:157], v[4:5], v[114:115]
	v_add_f64_e32 v[162:163], v[150:151], v[148:149]
	v_mul_f64_e32 v[114:115], v[6:7], v[114:115]
	ds_load_b128 v[148:151], v2 offset:928
	v_fmac_f64_e32 v[158:159], v[142:143], v[108:109]
	v_fma_f64 v[140:141], v[140:141], v[108:109], -v[110:111]
	scratch_load_b128 v[108:111], off, off offset:432
	v_add_f64_e32 v[152:153], v[152:153], v[154:155]
	v_fmac_f64_e32 v[156:157], v[6:7], v[112:113]
	v_add_f64_e32 v[142:143], v[162:163], v[160:161]
	v_fma_f64 v[160:161], v[4:5], v[112:113], -v[114:115]
	ds_load_b128 v[4:7], v2 offset:944
	s_wait_loadcnt_dscnt 0xb01
	v_mul_f64_e32 v[154:155], v[148:149], v[118:119]
	v_mul_f64_e32 v[118:119], v[150:151], v[118:119]
	scratch_load_b128 v[112:115], off, off offset:448
	v_add_f64_e32 v[152:153], v[152:153], v[158:159]
	s_wait_loadcnt_dscnt 0xb00
	v_mul_f64_e32 v[158:159], v[4:5], v[122:123]
	v_add_f64_e32 v[162:163], v[142:143], v[140:141]
	v_mul_f64_e32 v[122:123], v[6:7], v[122:123]
	ds_load_b128 v[140:143], v2 offset:960
	v_fmac_f64_e32 v[154:155], v[150:151], v[116:117]
	v_fma_f64 v[148:149], v[148:149], v[116:117], -v[118:119]
	scratch_load_b128 v[116:119], off, off offset:464
	v_add_f64_e32 v[152:153], v[152:153], v[156:157]
	v_fmac_f64_e32 v[158:159], v[6:7], v[120:121]
	v_add_f64_e32 v[150:151], v[162:163], v[160:161]
	v_fma_f64 v[160:161], v[4:5], v[120:121], -v[122:123]
	ds_load_b128 v[4:7], v2 offset:976
	s_wait_loadcnt_dscnt 0xb01
	v_mul_f64_e32 v[156:157], v[140:141], v[126:127]
	v_mul_f64_e32 v[126:127], v[142:143], v[126:127]
	scratch_load_b128 v[120:123], off, off offset:480
	v_add_f64_e32 v[152:153], v[152:153], v[154:155]
	s_wait_loadcnt_dscnt 0xb00
	v_mul_f64_e32 v[154:155], v[4:5], v[134:135]
	v_add_f64_e32 v[162:163], v[150:151], v[148:149]
	v_mul_f64_e32 v[134:135], v[6:7], v[134:135]
	ds_load_b128 v[148:151], v2 offset:992
	v_fmac_f64_e32 v[156:157], v[142:143], v[124:125]
	v_fma_f64 v[140:141], v[140:141], v[124:125], -v[126:127]
	scratch_load_b128 v[124:127], off, off offset:496
	v_add_f64_e32 v[152:153], v[152:153], v[158:159]
	v_fmac_f64_e32 v[154:155], v[6:7], v[132:133]
	v_add_f64_e32 v[142:143], v[162:163], v[160:161]
	v_fma_f64 v[160:161], v[4:5], v[132:133], -v[134:135]
	ds_load_b128 v[4:7], v2 offset:1008
	s_wait_loadcnt_dscnt 0xa01
	v_mul_f64_e32 v[158:159], v[148:149], v[146:147]
	v_mul_f64_e32 v[146:147], v[150:151], v[146:147]
	scratch_load_b128 v[132:135], off, off offset:512
	v_add_f64_e32 v[152:153], v[152:153], v[156:157]
	v_add_f64_e32 v[162:163], v[142:143], v[140:141]
	s_wait_loadcnt_dscnt 0xa00
	v_mul_f64_e32 v[156:157], v[4:5], v[130:131]
	v_mul_f64_e32 v[130:131], v[6:7], v[130:131]
	v_fmac_f64_e32 v[158:159], v[150:151], v[144:145]
	v_fma_f64 v[148:149], v[148:149], v[144:145], -v[146:147]
	ds_load_b128 v[140:143], v2 offset:1024
	scratch_load_b128 v[144:147], off, off offset:528
	v_add_f64_e32 v[152:153], v[152:153], v[154:155]
	v_add_f64_e32 v[150:151], v[162:163], v[160:161]
	v_fmac_f64_e32 v[156:157], v[6:7], v[128:129]
	v_fma_f64 v[160:161], v[4:5], v[128:129], -v[130:131]
	ds_load_b128 v[4:7], v2 offset:1040
	s_wait_loadcnt_dscnt 0xa01
	v_mul_f64_e32 v[154:155], v[140:141], v[10:11]
	v_mul_f64_e32 v[10:11], v[142:143], v[10:11]
	scratch_load_b128 v[128:131], off, off offset:544
	v_add_f64_e32 v[152:153], v[152:153], v[158:159]
	s_wait_loadcnt_dscnt 0xa00
	v_mul_f64_e32 v[158:159], v[4:5], v[14:15]
	v_add_f64_e32 v[162:163], v[150:151], v[148:149]
	v_mul_f64_e32 v[14:15], v[6:7], v[14:15]
	ds_load_b128 v[148:151], v2 offset:1056
	v_fmac_f64_e32 v[154:155], v[142:143], v[8:9]
	v_fma_f64 v[140:141], v[140:141], v[8:9], -v[10:11]
	scratch_load_b128 v[8:11], off, off offset:560
	v_add_f64_e32 v[152:153], v[152:153], v[156:157]
	v_fmac_f64_e32 v[158:159], v[6:7], v[12:13]
	v_add_f64_e32 v[142:143], v[162:163], v[160:161]
	v_fma_f64 v[160:161], v[4:5], v[12:13], -v[14:15]
	ds_load_b128 v[4:7], v2 offset:1072
	s_wait_loadcnt_dscnt 0xa01
	v_mul_f64_e32 v[156:157], v[148:149], v[18:19]
	v_mul_f64_e32 v[18:19], v[150:151], v[18:19]
	scratch_load_b128 v[12:15], off, off offset:576
	v_add_f64_e32 v[152:153], v[152:153], v[154:155]
	s_wait_loadcnt_dscnt 0xa00
	v_mul_f64_e32 v[154:155], v[4:5], v[22:23]
	v_add_f64_e32 v[162:163], v[142:143], v[140:141]
	v_mul_f64_e32 v[22:23], v[6:7], v[22:23]
	ds_load_b128 v[140:143], v2 offset:1088
	v_fmac_f64_e32 v[156:157], v[150:151], v[16:17]
	v_fma_f64 v[148:149], v[148:149], v[16:17], -v[18:19]
	scratch_load_b128 v[16:19], off, off offset:592
	v_add_f64_e32 v[152:153], v[152:153], v[158:159]
	v_fmac_f64_e32 v[154:155], v[6:7], v[20:21]
	v_add_f64_e32 v[150:151], v[162:163], v[160:161]
	;; [unrolled: 18-line block ×3, first 2 shown]
	v_fma_f64 v[160:161], v[4:5], v[112:113], -v[114:115]
	ds_load_b128 v[4:7], v2 offset:1136
	s_wait_loadcnt_dscnt 0xa01
	v_mul_f64_e32 v[154:155], v[148:149], v[118:119]
	v_mul_f64_e32 v[118:119], v[150:151], v[118:119]
	scratch_load_b128 v[112:115], off, off offset:640
	v_add_f64_e32 v[152:153], v[152:153], v[158:159]
	s_wait_loadcnt_dscnt 0xa00
	v_mul_f64_e32 v[158:159], v[4:5], v[122:123]
	v_add_f64_e32 v[162:163], v[142:143], v[140:141]
	v_mul_f64_e32 v[122:123], v[6:7], v[122:123]
	ds_load_b128 v[140:143], v2 offset:1152
	v_fmac_f64_e32 v[154:155], v[150:151], v[116:117]
	v_fma_f64 v[116:117], v[148:149], v[116:117], -v[118:119]
	s_wait_loadcnt_dscnt 0x900
	v_mul_f64_e32 v[150:151], v[140:141], v[126:127]
	v_mul_f64_e32 v[126:127], v[142:143], v[126:127]
	v_add_f64_e32 v[148:149], v[152:153], v[156:157]
	v_fmac_f64_e32 v[158:159], v[6:7], v[120:121]
	v_add_f64_e32 v[118:119], v[162:163], v[160:161]
	v_fma_f64 v[120:121], v[4:5], v[120:121], -v[122:123]
	v_fmac_f64_e32 v[150:151], v[142:143], v[124:125]
	v_fma_f64 v[124:125], v[140:141], v[124:125], -v[126:127]
	v_add_f64_e32 v[148:149], v[148:149], v[154:155]
	v_add_f64_e32 v[122:123], v[118:119], v[116:117]
	ds_load_b128 v[4:7], v2 offset:1168
	ds_load_b128 v[116:119], v2 offset:1184
	s_wait_loadcnt_dscnt 0x801
	v_mul_f64_e32 v[152:153], v[4:5], v[134:135]
	v_mul_f64_e32 v[134:135], v[6:7], v[134:135]
	s_wait_loadcnt_dscnt 0x700
	v_mul_f64_e32 v[126:127], v[116:117], v[146:147]
	v_mul_f64_e32 v[140:141], v[118:119], v[146:147]
	v_add_f64_e32 v[120:121], v[122:123], v[120:121]
	v_add_f64_e32 v[122:123], v[148:149], v[158:159]
	v_fmac_f64_e32 v[152:153], v[6:7], v[132:133]
	v_fma_f64 v[132:133], v[4:5], v[132:133], -v[134:135]
	v_fmac_f64_e32 v[126:127], v[118:119], v[144:145]
	v_fma_f64 v[116:117], v[116:117], v[144:145], -v[140:141]
	v_add_f64_e32 v[124:125], v[120:121], v[124:125]
	v_add_f64_e32 v[134:135], v[122:123], v[150:151]
	ds_load_b128 v[4:7], v2 offset:1200
	ds_load_b128 v[120:123], v2 offset:1216
	s_wait_loadcnt_dscnt 0x601
	v_mul_f64_e32 v[142:143], v[4:5], v[130:131]
	v_mul_f64_e32 v[130:131], v[6:7], v[130:131]
	v_add_f64_e32 v[118:119], v[124:125], v[132:133]
	v_add_f64_e32 v[124:125], v[134:135], v[152:153]
	s_wait_loadcnt_dscnt 0x500
	v_mul_f64_e32 v[132:133], v[120:121], v[10:11]
	v_mul_f64_e32 v[10:11], v[122:123], v[10:11]
	v_fmac_f64_e32 v[142:143], v[6:7], v[128:129]
	v_fma_f64 v[128:129], v[4:5], v[128:129], -v[130:131]
	v_add_f64_e32 v[130:131], v[118:119], v[116:117]
	v_add_f64_e32 v[124:125], v[124:125], v[126:127]
	ds_load_b128 v[4:7], v2 offset:1232
	ds_load_b128 v[116:119], v2 offset:1248
	v_fmac_f64_e32 v[132:133], v[122:123], v[8:9]
	v_fma_f64 v[8:9], v[120:121], v[8:9], -v[10:11]
	s_wait_loadcnt_dscnt 0x401
	v_mul_f64_e32 v[126:127], v[4:5], v[14:15]
	v_mul_f64_e32 v[14:15], v[6:7], v[14:15]
	s_wait_loadcnt_dscnt 0x300
	v_mul_f64_e32 v[122:123], v[116:117], v[18:19]
	v_mul_f64_e32 v[18:19], v[118:119], v[18:19]
	v_add_f64_e32 v[10:11], v[130:131], v[128:129]
	v_add_f64_e32 v[120:121], v[124:125], v[142:143]
	v_fmac_f64_e32 v[126:127], v[6:7], v[12:13]
	v_fma_f64 v[12:13], v[4:5], v[12:13], -v[14:15]
	v_fmac_f64_e32 v[122:123], v[118:119], v[16:17]
	v_fma_f64 v[16:17], v[116:117], v[16:17], -v[18:19]
	v_add_f64_e32 v[14:15], v[10:11], v[8:9]
	v_add_f64_e32 v[120:121], v[120:121], v[132:133]
	ds_load_b128 v[4:7], v2 offset:1264
	ds_load_b128 v[8:11], v2 offset:1280
	s_wait_loadcnt_dscnt 0x201
	v_mul_f64_e32 v[124:125], v[4:5], v[22:23]
	v_mul_f64_e32 v[22:23], v[6:7], v[22:23]
	s_wait_loadcnt_dscnt 0x100
	v_mul_f64_e32 v[18:19], v[8:9], v[110:111]
	v_mul_f64_e32 v[110:111], v[10:11], v[110:111]
	v_add_f64_e32 v[12:13], v[14:15], v[12:13]
	v_add_f64_e32 v[14:15], v[120:121], v[126:127]
	v_fmac_f64_e32 v[124:125], v[6:7], v[20:21]
	v_fma_f64 v[20:21], v[4:5], v[20:21], -v[22:23]
	ds_load_b128 v[4:7], v2 offset:1296
	v_fmac_f64_e32 v[18:19], v[10:11], v[108:109]
	v_fma_f64 v[8:9], v[8:9], v[108:109], -v[110:111]
	v_add_f64_e32 v[12:13], v[12:13], v[16:17]
	v_add_f64_e32 v[14:15], v[14:15], v[122:123]
	s_wait_loadcnt_dscnt 0x0
	v_mul_f64_e32 v[16:17], v[4:5], v[114:115]
	v_mul_f64_e32 v[22:23], v[6:7], v[114:115]
	s_delay_alu instid0(VALU_DEP_4) | instskip(NEXT) | instid1(VALU_DEP_4)
	v_add_f64_e32 v[10:11], v[12:13], v[20:21]
	v_add_f64_e32 v[12:13], v[14:15], v[124:125]
	s_delay_alu instid0(VALU_DEP_4) | instskip(NEXT) | instid1(VALU_DEP_4)
	v_fmac_f64_e32 v[16:17], v[6:7], v[112:113]
	v_fma_f64 v[4:5], v[4:5], v[112:113], -v[22:23]
	s_delay_alu instid0(VALU_DEP_4) | instskip(NEXT) | instid1(VALU_DEP_4)
	v_add_f64_e32 v[6:7], v[10:11], v[8:9]
	v_add_f64_e32 v[8:9], v[12:13], v[18:19]
	s_delay_alu instid0(VALU_DEP_2) | instskip(NEXT) | instid1(VALU_DEP_2)
	v_add_f64_e32 v[4:5], v[6:7], v[4:5]
	v_add_f64_e32 v[6:7], v[8:9], v[16:17]
	s_delay_alu instid0(VALU_DEP_2) | instskip(NEXT) | instid1(VALU_DEP_2)
	v_add_f64_e64 v[4:5], v[136:137], -v[4:5]
	v_add_f64_e64 v[6:7], v[138:139], -v[6:7]
	scratch_store_b128 off, v[4:7], off offset:144
	s_wait_xcnt 0x0
	v_cmpx_lt_u32_e32 8, v1
	s_cbranch_execz .LBB104_243
; %bb.242:
	scratch_load_b128 v[6:9], off, s49
	v_dual_mov_b32 v3, v2 :: v_dual_mov_b32 v4, v2
	v_mov_b32_e32 v5, v2
	scratch_store_b128 off, v[2:5], off offset:128
	s_wait_loadcnt 0x0
	ds_store_b128 v106, v[6:9]
.LBB104_243:
	s_wait_xcnt 0x0
	s_or_b32 exec_lo, exec_lo, s2
	s_wait_storecnt_dscnt 0x0
	s_barrier_signal -1
	s_barrier_wait -1
	s_clause 0x9
	scratch_load_b128 v[4:7], off, off offset:144
	scratch_load_b128 v[8:11], off, off offset:160
	scratch_load_b128 v[12:15], off, off offset:176
	scratch_load_b128 v[16:19], off, off offset:192
	scratch_load_b128 v[20:23], off, off offset:208
	scratch_load_b128 v[108:111], off, off offset:224
	scratch_load_b128 v[112:115], off, off offset:240
	scratch_load_b128 v[116:119], off, off offset:256
	scratch_load_b128 v[120:123], off, off offset:272
	scratch_load_b128 v[124:127], off, off offset:288
	ds_load_b128 v[128:131], v2 offset:800
	ds_load_b128 v[136:139], v2 offset:816
	s_clause 0x2
	scratch_load_b128 v[132:135], off, off offset:304
	scratch_load_b128 v[140:143], off, off offset:128
	;; [unrolled: 1-line block ×3, first 2 shown]
	s_mov_b32 s2, exec_lo
	s_wait_loadcnt_dscnt 0xc01
	v_mul_f64_e32 v[148:149], v[130:131], v[6:7]
	v_mul_f64_e32 v[152:153], v[128:129], v[6:7]
	s_wait_loadcnt_dscnt 0xb00
	v_mul_f64_e32 v[154:155], v[136:137], v[10:11]
	v_mul_f64_e32 v[10:11], v[138:139], v[10:11]
	s_delay_alu instid0(VALU_DEP_4) | instskip(NEXT) | instid1(VALU_DEP_4)
	v_fma_f64 v[156:157], v[128:129], v[4:5], -v[148:149]
	v_fmac_f64_e32 v[152:153], v[130:131], v[4:5]
	ds_load_b128 v[4:7], v2 offset:832
	ds_load_b128 v[128:131], v2 offset:848
	scratch_load_b128 v[148:151], off, off offset:336
	v_fmac_f64_e32 v[154:155], v[138:139], v[8:9]
	v_fma_f64 v[136:137], v[136:137], v[8:9], -v[10:11]
	scratch_load_b128 v[8:11], off, off offset:352
	s_wait_loadcnt_dscnt 0xc01
	v_mul_f64_e32 v[158:159], v[4:5], v[14:15]
	v_mul_f64_e32 v[14:15], v[6:7], v[14:15]
	v_add_f64_e32 v[138:139], 0, v[156:157]
	v_add_f64_e32 v[152:153], 0, v[152:153]
	s_wait_loadcnt_dscnt 0xb00
	v_mul_f64_e32 v[156:157], v[128:129], v[18:19]
	v_mul_f64_e32 v[18:19], v[130:131], v[18:19]
	v_fmac_f64_e32 v[158:159], v[6:7], v[12:13]
	v_fma_f64 v[160:161], v[4:5], v[12:13], -v[14:15]
	ds_load_b128 v[4:7], v2 offset:864
	ds_load_b128 v[12:15], v2 offset:880
	v_add_f64_e32 v[162:163], v[138:139], v[136:137]
	v_add_f64_e32 v[152:153], v[152:153], v[154:155]
	scratch_load_b128 v[136:139], off, off offset:368
	v_fmac_f64_e32 v[156:157], v[130:131], v[16:17]
	v_fma_f64 v[128:129], v[128:129], v[16:17], -v[18:19]
	scratch_load_b128 v[16:19], off, off offset:384
	s_wait_loadcnt_dscnt 0xc01
	v_mul_f64_e32 v[154:155], v[4:5], v[22:23]
	v_mul_f64_e32 v[22:23], v[6:7], v[22:23]
	v_add_f64_e32 v[130:131], v[162:163], v[160:161]
	v_add_f64_e32 v[152:153], v[152:153], v[158:159]
	s_wait_loadcnt_dscnt 0xb00
	v_mul_f64_e32 v[158:159], v[12:13], v[110:111]
	v_mul_f64_e32 v[110:111], v[14:15], v[110:111]
	v_fmac_f64_e32 v[154:155], v[6:7], v[20:21]
	v_fma_f64 v[160:161], v[4:5], v[20:21], -v[22:23]
	ds_load_b128 v[4:7], v2 offset:896
	ds_load_b128 v[20:23], v2 offset:912
	v_add_f64_e32 v[162:163], v[130:131], v[128:129]
	v_add_f64_e32 v[152:153], v[152:153], v[156:157]
	scratch_load_b128 v[128:131], off, off offset:400
	s_wait_loadcnt_dscnt 0xb01
	v_mul_f64_e32 v[156:157], v[4:5], v[114:115]
	v_mul_f64_e32 v[114:115], v[6:7], v[114:115]
	v_fmac_f64_e32 v[158:159], v[14:15], v[108:109]
	v_fma_f64 v[108:109], v[12:13], v[108:109], -v[110:111]
	scratch_load_b128 v[12:15], off, off offset:416
	v_add_f64_e32 v[110:111], v[162:163], v[160:161]
	v_add_f64_e32 v[152:153], v[152:153], v[154:155]
	s_wait_loadcnt_dscnt 0xb00
	v_mul_f64_e32 v[154:155], v[20:21], v[118:119]
	v_mul_f64_e32 v[118:119], v[22:23], v[118:119]
	v_fmac_f64_e32 v[156:157], v[6:7], v[112:113]
	v_fma_f64 v[160:161], v[4:5], v[112:113], -v[114:115]
	v_add_f64_e32 v[162:163], v[110:111], v[108:109]
	v_add_f64_e32 v[152:153], v[152:153], v[158:159]
	ds_load_b128 v[4:7], v2 offset:928
	ds_load_b128 v[108:111], v2 offset:944
	scratch_load_b128 v[112:115], off, off offset:432
	v_fmac_f64_e32 v[154:155], v[22:23], v[116:117]
	v_fma_f64 v[116:117], v[20:21], v[116:117], -v[118:119]
	scratch_load_b128 v[20:23], off, off offset:448
	s_wait_loadcnt_dscnt 0xc01
	v_mul_f64_e32 v[158:159], v[4:5], v[122:123]
	v_mul_f64_e32 v[122:123], v[6:7], v[122:123]
	v_add_f64_e32 v[118:119], v[162:163], v[160:161]
	v_add_f64_e32 v[152:153], v[152:153], v[156:157]
	s_wait_loadcnt_dscnt 0xb00
	v_mul_f64_e32 v[156:157], v[108:109], v[126:127]
	v_mul_f64_e32 v[126:127], v[110:111], v[126:127]
	v_fmac_f64_e32 v[158:159], v[6:7], v[120:121]
	v_fma_f64 v[160:161], v[4:5], v[120:121], -v[122:123]
	v_add_f64_e32 v[162:163], v[118:119], v[116:117]
	v_add_f64_e32 v[152:153], v[152:153], v[154:155]
	ds_load_b128 v[4:7], v2 offset:960
	ds_load_b128 v[116:119], v2 offset:976
	scratch_load_b128 v[120:123], off, off offset:464
	v_fmac_f64_e32 v[156:157], v[110:111], v[124:125]
	v_fma_f64 v[124:125], v[108:109], v[124:125], -v[126:127]
	scratch_load_b128 v[108:111], off, off offset:480
	s_wait_loadcnt_dscnt 0xc01
	v_mul_f64_e32 v[154:155], v[4:5], v[134:135]
	v_mul_f64_e32 v[134:135], v[6:7], v[134:135]
	;; [unrolled: 18-line block ×5, first 2 shown]
	v_add_f64_e32 v[146:147], v[162:163], v[160:161]
	v_add_f64_e32 v[152:153], v[152:153], v[158:159]
	s_wait_loadcnt_dscnt 0xa00
	v_mul_f64_e32 v[158:159], v[124:125], v[14:15]
	v_mul_f64_e32 v[14:15], v[126:127], v[14:15]
	v_fmac_f64_e32 v[154:155], v[6:7], v[128:129]
	v_fma_f64 v[160:161], v[4:5], v[128:129], -v[130:131]
	ds_load_b128 v[4:7], v2 offset:1088
	ds_load_b128 v[128:131], v2 offset:1104
	v_add_f64_e32 v[162:163], v[146:147], v[144:145]
	v_add_f64_e32 v[152:153], v[152:153], v[156:157]
	scratch_load_b128 v[144:147], off, off offset:592
	v_fmac_f64_e32 v[158:159], v[126:127], v[12:13]
	v_fma_f64 v[124:125], v[124:125], v[12:13], -v[14:15]
	scratch_load_b128 v[12:15], off, off offset:608
	s_wait_loadcnt_dscnt 0xb01
	v_mul_f64_e32 v[156:157], v[4:5], v[114:115]
	v_mul_f64_e32 v[114:115], v[6:7], v[114:115]
	v_add_f64_e32 v[126:127], v[162:163], v[160:161]
	v_add_f64_e32 v[152:153], v[152:153], v[154:155]
	s_wait_loadcnt_dscnt 0xa00
	v_mul_f64_e32 v[154:155], v[128:129], v[22:23]
	v_mul_f64_e32 v[22:23], v[130:131], v[22:23]
	v_fmac_f64_e32 v[156:157], v[6:7], v[112:113]
	v_fma_f64 v[160:161], v[4:5], v[112:113], -v[114:115]
	ds_load_b128 v[4:7], v2 offset:1120
	ds_load_b128 v[112:115], v2 offset:1136
	v_add_f64_e32 v[162:163], v[126:127], v[124:125]
	v_add_f64_e32 v[152:153], v[152:153], v[158:159]
	scratch_load_b128 v[124:127], off, off offset:624
	s_wait_loadcnt_dscnt 0xa01
	v_mul_f64_e32 v[158:159], v[4:5], v[122:123]
	v_mul_f64_e32 v[122:123], v[6:7], v[122:123]
	v_fmac_f64_e32 v[154:155], v[130:131], v[20:21]
	v_fma_f64 v[128:129], v[128:129], v[20:21], -v[22:23]
	scratch_load_b128 v[20:23], off, off offset:640
	v_add_f64_e32 v[130:131], v[162:163], v[160:161]
	v_add_f64_e32 v[152:153], v[152:153], v[156:157]
	s_wait_loadcnt_dscnt 0xa00
	v_mul_f64_e32 v[156:157], v[112:113], v[110:111]
	v_mul_f64_e32 v[110:111], v[114:115], v[110:111]
	v_fmac_f64_e32 v[158:159], v[6:7], v[120:121]
	v_fma_f64 v[160:161], v[4:5], v[120:121], -v[122:123]
	ds_load_b128 v[4:7], v2 offset:1152
	ds_load_b128 v[120:123], v2 offset:1168
	v_add_f64_e32 v[128:129], v[130:131], v[128:129]
	v_add_f64_e32 v[130:131], v[152:153], v[154:155]
	v_fmac_f64_e32 v[156:157], v[114:115], v[108:109]
	s_wait_loadcnt_dscnt 0x901
	v_mul_f64_e32 v[152:153], v[4:5], v[134:135]
	v_mul_f64_e32 v[134:135], v[6:7], v[134:135]
	v_fma_f64 v[108:109], v[112:113], v[108:109], -v[110:111]
	s_wait_loadcnt_dscnt 0x800
	v_mul_f64_e32 v[114:115], v[120:121], v[118:119]
	v_mul_f64_e32 v[118:119], v[122:123], v[118:119]
	v_add_f64_e32 v[110:111], v[128:129], v[160:161]
	v_add_f64_e32 v[112:113], v[130:131], v[158:159]
	v_fmac_f64_e32 v[152:153], v[6:7], v[132:133]
	v_fma_f64 v[128:129], v[4:5], v[132:133], -v[134:135]
	v_fmac_f64_e32 v[114:115], v[122:123], v[116:117]
	v_fma_f64 v[116:117], v[120:121], v[116:117], -v[118:119]
	v_add_f64_e32 v[130:131], v[110:111], v[108:109]
	v_add_f64_e32 v[112:113], v[112:113], v[156:157]
	ds_load_b128 v[4:7], v2 offset:1184
	ds_load_b128 v[108:111], v2 offset:1200
	s_wait_loadcnt_dscnt 0x701
	v_mul_f64_e32 v[132:133], v[4:5], v[150:151]
	v_mul_f64_e32 v[134:135], v[6:7], v[150:151]
	s_wait_loadcnt_dscnt 0x600
	v_mul_f64_e32 v[120:121], v[108:109], v[10:11]
	v_mul_f64_e32 v[10:11], v[110:111], v[10:11]
	v_add_f64_e32 v[118:119], v[130:131], v[128:129]
	v_add_f64_e32 v[112:113], v[112:113], v[152:153]
	v_fmac_f64_e32 v[132:133], v[6:7], v[148:149]
	v_fma_f64 v[122:123], v[4:5], v[148:149], -v[134:135]
	v_fmac_f64_e32 v[120:121], v[110:111], v[8:9]
	v_fma_f64 v[8:9], v[108:109], v[8:9], -v[10:11]
	v_add_f64_e32 v[116:117], v[118:119], v[116:117]
	v_add_f64_e32 v[118:119], v[112:113], v[114:115]
	ds_load_b128 v[4:7], v2 offset:1216
	ds_load_b128 v[112:115], v2 offset:1232
	s_wait_loadcnt_dscnt 0x501
	v_mul_f64_e32 v[128:129], v[4:5], v[138:139]
	v_mul_f64_e32 v[130:131], v[6:7], v[138:139]
	;; [unrolled: 16-line block ×4, first 2 shown]
	v_add_f64_e32 v[10:11], v[18:19], v[116:117]
	v_add_f64_e32 v[12:13], v[108:109], v[120:121]
	s_wait_loadcnt_dscnt 0x0
	v_mul_f64_e32 v[18:19], v[14:15], v[22:23]
	v_mul_f64_e32 v[22:23], v[16:17], v[22:23]
	v_fmac_f64_e32 v[2:3], v[6:7], v[124:125]
	v_fma_f64 v[4:5], v[4:5], v[124:125], -v[110:111]
	v_add_f64_e32 v[6:7], v[10:11], v[8:9]
	v_add_f64_e32 v[8:9], v[12:13], v[112:113]
	v_fmac_f64_e32 v[18:19], v[16:17], v[20:21]
	v_fma_f64 v[10:11], v[14:15], v[20:21], -v[22:23]
	s_delay_alu instid0(VALU_DEP_4) | instskip(NEXT) | instid1(VALU_DEP_4)
	v_add_f64_e32 v[4:5], v[6:7], v[4:5]
	v_add_f64_e32 v[2:3], v[8:9], v[2:3]
	s_delay_alu instid0(VALU_DEP_2) | instskip(NEXT) | instid1(VALU_DEP_2)
	v_add_f64_e32 v[4:5], v[4:5], v[10:11]
	v_add_f64_e32 v[6:7], v[2:3], v[18:19]
	s_delay_alu instid0(VALU_DEP_2) | instskip(NEXT) | instid1(VALU_DEP_2)
	v_add_f64_e64 v[2:3], v[140:141], -v[4:5]
	v_add_f64_e64 v[4:5], v[142:143], -v[6:7]
	scratch_store_b128 off, v[2:5], off offset:128
	s_wait_xcnt 0x0
	v_cmpx_lt_u32_e32 7, v1
	s_cbranch_execz .LBB104_245
; %bb.244:
	scratch_load_b128 v[2:5], off, s50
	v_mov_b32_e32 v6, 0
	s_delay_alu instid0(VALU_DEP_1)
	v_dual_mov_b32 v7, v6 :: v_dual_mov_b32 v8, v6
	v_mov_b32_e32 v9, v6
	scratch_store_b128 off, v[6:9], off offset:112
	s_wait_loadcnt 0x0
	ds_store_b128 v106, v[2:5]
.LBB104_245:
	s_wait_xcnt 0x0
	s_or_b32 exec_lo, exec_lo, s2
	s_wait_storecnt_dscnt 0x0
	s_barrier_signal -1
	s_barrier_wait -1
	s_clause 0x9
	scratch_load_b128 v[4:7], off, off offset:128
	scratch_load_b128 v[8:11], off, off offset:144
	;; [unrolled: 1-line block ×10, first 2 shown]
	v_mov_b32_e32 v2, 0
	s_mov_b32 s2, exec_lo
	ds_load_b128 v[128:131], v2 offset:784
	s_clause 0x2
	scratch_load_b128 v[132:135], off, off offset:288
	scratch_load_b128 v[136:139], off, off offset:112
	;; [unrolled: 1-line block ×3, first 2 shown]
	s_wait_loadcnt_dscnt 0xc00
	v_mul_f64_e32 v[148:149], v[130:131], v[6:7]
	v_mul_f64_e32 v[152:153], v[128:129], v[6:7]
	ds_load_b128 v[140:143], v2 offset:800
	v_fma_f64 v[156:157], v[128:129], v[4:5], -v[148:149]
	v_fmac_f64_e32 v[152:153], v[130:131], v[4:5]
	ds_load_b128 v[4:7], v2 offset:816
	s_wait_loadcnt_dscnt 0xb01
	v_mul_f64_e32 v[154:155], v[140:141], v[10:11]
	v_mul_f64_e32 v[10:11], v[142:143], v[10:11]
	scratch_load_b128 v[128:131], off, off offset:320
	ds_load_b128 v[148:151], v2 offset:832
	s_wait_loadcnt_dscnt 0xb01
	v_mul_f64_e32 v[158:159], v[4:5], v[14:15]
	v_mul_f64_e32 v[14:15], v[6:7], v[14:15]
	v_add_f64_e32 v[152:153], 0, v[152:153]
	v_fmac_f64_e32 v[154:155], v[142:143], v[8:9]
	v_fma_f64 v[140:141], v[140:141], v[8:9], -v[10:11]
	v_add_f64_e32 v[142:143], 0, v[156:157]
	scratch_load_b128 v[8:11], off, off offset:336
	v_fmac_f64_e32 v[158:159], v[6:7], v[12:13]
	v_fma_f64 v[160:161], v[4:5], v[12:13], -v[14:15]
	ds_load_b128 v[4:7], v2 offset:848
	s_wait_loadcnt_dscnt 0xb01
	v_mul_f64_e32 v[156:157], v[148:149], v[18:19]
	v_mul_f64_e32 v[18:19], v[150:151], v[18:19]
	scratch_load_b128 v[12:15], off, off offset:352
	v_add_f64_e32 v[152:153], v[152:153], v[154:155]
	v_add_f64_e32 v[162:163], v[142:143], v[140:141]
	ds_load_b128 v[140:143], v2 offset:864
	s_wait_loadcnt_dscnt 0xb01
	v_mul_f64_e32 v[154:155], v[4:5], v[22:23]
	v_mul_f64_e32 v[22:23], v[6:7], v[22:23]
	v_fmac_f64_e32 v[156:157], v[150:151], v[16:17]
	v_fma_f64 v[148:149], v[148:149], v[16:17], -v[18:19]
	scratch_load_b128 v[16:19], off, off offset:368
	v_add_f64_e32 v[152:153], v[152:153], v[158:159]
	v_add_f64_e32 v[150:151], v[162:163], v[160:161]
	v_fmac_f64_e32 v[154:155], v[6:7], v[20:21]
	v_fma_f64 v[160:161], v[4:5], v[20:21], -v[22:23]
	ds_load_b128 v[4:7], v2 offset:880
	s_wait_loadcnt_dscnt 0xb01
	v_mul_f64_e32 v[158:159], v[140:141], v[110:111]
	v_mul_f64_e32 v[110:111], v[142:143], v[110:111]
	scratch_load_b128 v[20:23], off, off offset:384
	v_add_f64_e32 v[152:153], v[152:153], v[156:157]
	s_wait_loadcnt_dscnt 0xb00
	v_mul_f64_e32 v[156:157], v[4:5], v[114:115]
	v_add_f64_e32 v[162:163], v[150:151], v[148:149]
	v_mul_f64_e32 v[114:115], v[6:7], v[114:115]
	ds_load_b128 v[148:151], v2 offset:896
	v_fmac_f64_e32 v[158:159], v[142:143], v[108:109]
	v_fma_f64 v[140:141], v[140:141], v[108:109], -v[110:111]
	scratch_load_b128 v[108:111], off, off offset:400
	v_add_f64_e32 v[152:153], v[152:153], v[154:155]
	v_fmac_f64_e32 v[156:157], v[6:7], v[112:113]
	v_add_f64_e32 v[142:143], v[162:163], v[160:161]
	v_fma_f64 v[160:161], v[4:5], v[112:113], -v[114:115]
	ds_load_b128 v[4:7], v2 offset:912
	s_wait_loadcnt_dscnt 0xb01
	v_mul_f64_e32 v[154:155], v[148:149], v[118:119]
	v_mul_f64_e32 v[118:119], v[150:151], v[118:119]
	scratch_load_b128 v[112:115], off, off offset:416
	v_add_f64_e32 v[152:153], v[152:153], v[158:159]
	s_wait_loadcnt_dscnt 0xb00
	v_mul_f64_e32 v[158:159], v[4:5], v[122:123]
	v_add_f64_e32 v[162:163], v[142:143], v[140:141]
	v_mul_f64_e32 v[122:123], v[6:7], v[122:123]
	ds_load_b128 v[140:143], v2 offset:928
	v_fmac_f64_e32 v[154:155], v[150:151], v[116:117]
	v_fma_f64 v[148:149], v[148:149], v[116:117], -v[118:119]
	scratch_load_b128 v[116:119], off, off offset:432
	v_add_f64_e32 v[152:153], v[152:153], v[156:157]
	v_fmac_f64_e32 v[158:159], v[6:7], v[120:121]
	v_add_f64_e32 v[150:151], v[162:163], v[160:161]
	;; [unrolled: 18-line block ×3, first 2 shown]
	v_fma_f64 v[160:161], v[4:5], v[132:133], -v[134:135]
	ds_load_b128 v[4:7], v2 offset:976
	s_wait_loadcnt_dscnt 0xa01
	v_mul_f64_e32 v[158:159], v[148:149], v[146:147]
	v_mul_f64_e32 v[146:147], v[150:151], v[146:147]
	scratch_load_b128 v[132:135], off, off offset:480
	v_add_f64_e32 v[152:153], v[152:153], v[156:157]
	v_add_f64_e32 v[162:163], v[142:143], v[140:141]
	s_wait_loadcnt_dscnt 0xa00
	v_mul_f64_e32 v[156:157], v[4:5], v[130:131]
	v_mul_f64_e32 v[130:131], v[6:7], v[130:131]
	v_fmac_f64_e32 v[158:159], v[150:151], v[144:145]
	v_fma_f64 v[148:149], v[148:149], v[144:145], -v[146:147]
	ds_load_b128 v[140:143], v2 offset:992
	scratch_load_b128 v[144:147], off, off offset:496
	v_add_f64_e32 v[152:153], v[152:153], v[154:155]
	v_add_f64_e32 v[150:151], v[162:163], v[160:161]
	v_fmac_f64_e32 v[156:157], v[6:7], v[128:129]
	v_fma_f64 v[160:161], v[4:5], v[128:129], -v[130:131]
	ds_load_b128 v[4:7], v2 offset:1008
	s_wait_loadcnt_dscnt 0xa01
	v_mul_f64_e32 v[154:155], v[140:141], v[10:11]
	v_mul_f64_e32 v[10:11], v[142:143], v[10:11]
	scratch_load_b128 v[128:131], off, off offset:512
	v_add_f64_e32 v[152:153], v[152:153], v[158:159]
	s_wait_loadcnt_dscnt 0xa00
	v_mul_f64_e32 v[158:159], v[4:5], v[14:15]
	v_add_f64_e32 v[162:163], v[150:151], v[148:149]
	v_mul_f64_e32 v[14:15], v[6:7], v[14:15]
	ds_load_b128 v[148:151], v2 offset:1024
	v_fmac_f64_e32 v[154:155], v[142:143], v[8:9]
	v_fma_f64 v[140:141], v[140:141], v[8:9], -v[10:11]
	scratch_load_b128 v[8:11], off, off offset:528
	v_add_f64_e32 v[152:153], v[152:153], v[156:157]
	v_fmac_f64_e32 v[158:159], v[6:7], v[12:13]
	v_add_f64_e32 v[142:143], v[162:163], v[160:161]
	v_fma_f64 v[160:161], v[4:5], v[12:13], -v[14:15]
	ds_load_b128 v[4:7], v2 offset:1040
	s_wait_loadcnt_dscnt 0xa01
	v_mul_f64_e32 v[156:157], v[148:149], v[18:19]
	v_mul_f64_e32 v[18:19], v[150:151], v[18:19]
	scratch_load_b128 v[12:15], off, off offset:544
	v_add_f64_e32 v[152:153], v[152:153], v[154:155]
	s_wait_loadcnt_dscnt 0xa00
	v_mul_f64_e32 v[154:155], v[4:5], v[22:23]
	v_add_f64_e32 v[162:163], v[142:143], v[140:141]
	v_mul_f64_e32 v[22:23], v[6:7], v[22:23]
	ds_load_b128 v[140:143], v2 offset:1056
	v_fmac_f64_e32 v[156:157], v[150:151], v[16:17]
	v_fma_f64 v[148:149], v[148:149], v[16:17], -v[18:19]
	scratch_load_b128 v[16:19], off, off offset:560
	v_add_f64_e32 v[152:153], v[152:153], v[158:159]
	v_fmac_f64_e32 v[154:155], v[6:7], v[20:21]
	v_add_f64_e32 v[150:151], v[162:163], v[160:161]
	;; [unrolled: 18-line block ×4, first 2 shown]
	v_fma_f64 v[160:161], v[4:5], v[120:121], -v[122:123]
	ds_load_b128 v[4:7], v2 offset:1136
	s_wait_loadcnt_dscnt 0xa01
	v_mul_f64_e32 v[156:157], v[140:141], v[126:127]
	v_mul_f64_e32 v[126:127], v[142:143], v[126:127]
	scratch_load_b128 v[120:123], off, off offset:640
	v_add_f64_e32 v[152:153], v[152:153], v[154:155]
	s_wait_loadcnt_dscnt 0xa00
	v_mul_f64_e32 v[154:155], v[4:5], v[134:135]
	v_add_f64_e32 v[162:163], v[150:151], v[148:149]
	v_mul_f64_e32 v[134:135], v[6:7], v[134:135]
	ds_load_b128 v[148:151], v2 offset:1152
	v_fmac_f64_e32 v[156:157], v[142:143], v[124:125]
	v_fma_f64 v[124:125], v[140:141], v[124:125], -v[126:127]
	s_wait_loadcnt_dscnt 0x900
	v_mul_f64_e32 v[142:143], v[148:149], v[146:147]
	v_mul_f64_e32 v[146:147], v[150:151], v[146:147]
	v_add_f64_e32 v[140:141], v[152:153], v[158:159]
	v_fmac_f64_e32 v[154:155], v[6:7], v[132:133]
	v_add_f64_e32 v[126:127], v[162:163], v[160:161]
	v_fma_f64 v[132:133], v[4:5], v[132:133], -v[134:135]
	v_fmac_f64_e32 v[142:143], v[150:151], v[144:145]
	v_fma_f64 v[144:145], v[148:149], v[144:145], -v[146:147]
	v_add_f64_e32 v[140:141], v[140:141], v[156:157]
	v_add_f64_e32 v[134:135], v[126:127], v[124:125]
	ds_load_b128 v[4:7], v2 offset:1168
	ds_load_b128 v[124:127], v2 offset:1184
	s_wait_loadcnt_dscnt 0x801
	v_mul_f64_e32 v[152:153], v[4:5], v[130:131]
	v_mul_f64_e32 v[130:131], v[6:7], v[130:131]
	v_add_f64_e32 v[132:133], v[134:135], v[132:133]
	v_add_f64_e32 v[134:135], v[140:141], v[154:155]
	s_wait_loadcnt_dscnt 0x700
	v_mul_f64_e32 v[140:141], v[124:125], v[10:11]
	v_mul_f64_e32 v[10:11], v[126:127], v[10:11]
	v_fmac_f64_e32 v[152:153], v[6:7], v[128:129]
	v_fma_f64 v[146:147], v[4:5], v[128:129], -v[130:131]
	ds_load_b128 v[4:7], v2 offset:1200
	ds_load_b128 v[128:131], v2 offset:1216
	v_add_f64_e32 v[132:133], v[132:133], v[144:145]
	v_add_f64_e32 v[134:135], v[134:135], v[142:143]
	v_fmac_f64_e32 v[140:141], v[126:127], v[8:9]
	v_fma_f64 v[8:9], v[124:125], v[8:9], -v[10:11]
	s_wait_loadcnt_dscnt 0x601
	v_mul_f64_e32 v[142:143], v[4:5], v[14:15]
	v_mul_f64_e32 v[14:15], v[6:7], v[14:15]
	s_wait_loadcnt_dscnt 0x500
	v_mul_f64_e32 v[126:127], v[128:129], v[18:19]
	v_mul_f64_e32 v[18:19], v[130:131], v[18:19]
	v_add_f64_e32 v[10:11], v[132:133], v[146:147]
	v_add_f64_e32 v[124:125], v[134:135], v[152:153]
	v_fmac_f64_e32 v[142:143], v[6:7], v[12:13]
	v_fma_f64 v[12:13], v[4:5], v[12:13], -v[14:15]
	v_fmac_f64_e32 v[126:127], v[130:131], v[16:17]
	v_fma_f64 v[16:17], v[128:129], v[16:17], -v[18:19]
	v_add_f64_e32 v[14:15], v[10:11], v[8:9]
	v_add_f64_e32 v[124:125], v[124:125], v[140:141]
	ds_load_b128 v[4:7], v2 offset:1232
	ds_load_b128 v[8:11], v2 offset:1248
	s_wait_loadcnt_dscnt 0x401
	v_mul_f64_e32 v[132:133], v[4:5], v[22:23]
	v_mul_f64_e32 v[22:23], v[6:7], v[22:23]
	s_wait_loadcnt_dscnt 0x300
	v_mul_f64_e32 v[18:19], v[8:9], v[110:111]
	v_mul_f64_e32 v[110:111], v[10:11], v[110:111]
	v_add_f64_e32 v[12:13], v[14:15], v[12:13]
	v_add_f64_e32 v[14:15], v[124:125], v[142:143]
	v_fmac_f64_e32 v[132:133], v[6:7], v[20:21]
	v_fma_f64 v[20:21], v[4:5], v[20:21], -v[22:23]
	v_fmac_f64_e32 v[18:19], v[10:11], v[108:109]
	v_fma_f64 v[8:9], v[8:9], v[108:109], -v[110:111]
	v_add_f64_e32 v[16:17], v[12:13], v[16:17]
	v_add_f64_e32 v[22:23], v[14:15], v[126:127]
	ds_load_b128 v[4:7], v2 offset:1264
	ds_load_b128 v[12:15], v2 offset:1280
	s_wait_loadcnt_dscnt 0x201
	v_mul_f64_e32 v[124:125], v[4:5], v[114:115]
	v_mul_f64_e32 v[114:115], v[6:7], v[114:115]
	v_add_f64_e32 v[10:11], v[16:17], v[20:21]
	v_add_f64_e32 v[16:17], v[22:23], v[132:133]
	s_wait_loadcnt_dscnt 0x100
	v_mul_f64_e32 v[20:21], v[12:13], v[118:119]
	v_mul_f64_e32 v[22:23], v[14:15], v[118:119]
	v_fmac_f64_e32 v[124:125], v[6:7], v[112:113]
	v_fma_f64 v[108:109], v[4:5], v[112:113], -v[114:115]
	ds_load_b128 v[4:7], v2 offset:1296
	v_add_f64_e32 v[8:9], v[10:11], v[8:9]
	v_add_f64_e32 v[10:11], v[16:17], v[18:19]
	v_fmac_f64_e32 v[20:21], v[14:15], v[116:117]
	v_fma_f64 v[12:13], v[12:13], v[116:117], -v[22:23]
	s_wait_loadcnt_dscnt 0x0
	v_mul_f64_e32 v[16:17], v[4:5], v[122:123]
	v_mul_f64_e32 v[18:19], v[6:7], v[122:123]
	v_add_f64_e32 v[8:9], v[8:9], v[108:109]
	v_add_f64_e32 v[10:11], v[10:11], v[124:125]
	s_delay_alu instid0(VALU_DEP_4) | instskip(NEXT) | instid1(VALU_DEP_4)
	v_fmac_f64_e32 v[16:17], v[6:7], v[120:121]
	v_fma_f64 v[4:5], v[4:5], v[120:121], -v[18:19]
	s_delay_alu instid0(VALU_DEP_4) | instskip(NEXT) | instid1(VALU_DEP_4)
	v_add_f64_e32 v[6:7], v[8:9], v[12:13]
	v_add_f64_e32 v[8:9], v[10:11], v[20:21]
	s_delay_alu instid0(VALU_DEP_2) | instskip(NEXT) | instid1(VALU_DEP_2)
	v_add_f64_e32 v[4:5], v[6:7], v[4:5]
	v_add_f64_e32 v[6:7], v[8:9], v[16:17]
	s_delay_alu instid0(VALU_DEP_2) | instskip(NEXT) | instid1(VALU_DEP_2)
	v_add_f64_e64 v[4:5], v[136:137], -v[4:5]
	v_add_f64_e64 v[6:7], v[138:139], -v[6:7]
	scratch_store_b128 off, v[4:7], off offset:112
	s_wait_xcnt 0x0
	v_cmpx_lt_u32_e32 6, v1
	s_cbranch_execz .LBB104_247
; %bb.246:
	scratch_load_b128 v[6:9], off, s51
	v_dual_mov_b32 v3, v2 :: v_dual_mov_b32 v4, v2
	v_mov_b32_e32 v5, v2
	scratch_store_b128 off, v[2:5], off offset:96
	s_wait_loadcnt 0x0
	ds_store_b128 v106, v[6:9]
.LBB104_247:
	s_wait_xcnt 0x0
	s_or_b32 exec_lo, exec_lo, s2
	s_wait_storecnt_dscnt 0x0
	s_barrier_signal -1
	s_barrier_wait -1
	s_clause 0x9
	scratch_load_b128 v[4:7], off, off offset:112
	scratch_load_b128 v[8:11], off, off offset:128
	;; [unrolled: 1-line block ×10, first 2 shown]
	ds_load_b128 v[128:131], v2 offset:768
	ds_load_b128 v[136:139], v2 offset:784
	s_clause 0x2
	scratch_load_b128 v[132:135], off, off offset:272
	scratch_load_b128 v[140:143], off, off offset:96
	;; [unrolled: 1-line block ×3, first 2 shown]
	s_mov_b32 s2, exec_lo
	s_wait_loadcnt_dscnt 0xc01
	v_mul_f64_e32 v[148:149], v[130:131], v[6:7]
	v_mul_f64_e32 v[152:153], v[128:129], v[6:7]
	s_wait_loadcnt_dscnt 0xb00
	v_mul_f64_e32 v[154:155], v[136:137], v[10:11]
	v_mul_f64_e32 v[10:11], v[138:139], v[10:11]
	s_delay_alu instid0(VALU_DEP_4) | instskip(NEXT) | instid1(VALU_DEP_4)
	v_fma_f64 v[156:157], v[128:129], v[4:5], -v[148:149]
	v_fmac_f64_e32 v[152:153], v[130:131], v[4:5]
	ds_load_b128 v[4:7], v2 offset:800
	ds_load_b128 v[128:131], v2 offset:816
	scratch_load_b128 v[148:151], off, off offset:304
	v_fmac_f64_e32 v[154:155], v[138:139], v[8:9]
	v_fma_f64 v[136:137], v[136:137], v[8:9], -v[10:11]
	scratch_load_b128 v[8:11], off, off offset:320
	s_wait_loadcnt_dscnt 0xc01
	v_mul_f64_e32 v[158:159], v[4:5], v[14:15]
	v_mul_f64_e32 v[14:15], v[6:7], v[14:15]
	v_add_f64_e32 v[138:139], 0, v[156:157]
	v_add_f64_e32 v[152:153], 0, v[152:153]
	s_wait_loadcnt_dscnt 0xb00
	v_mul_f64_e32 v[156:157], v[128:129], v[18:19]
	v_mul_f64_e32 v[18:19], v[130:131], v[18:19]
	v_fmac_f64_e32 v[158:159], v[6:7], v[12:13]
	v_fma_f64 v[160:161], v[4:5], v[12:13], -v[14:15]
	ds_load_b128 v[4:7], v2 offset:832
	ds_load_b128 v[12:15], v2 offset:848
	v_add_f64_e32 v[162:163], v[138:139], v[136:137]
	v_add_f64_e32 v[152:153], v[152:153], v[154:155]
	scratch_load_b128 v[136:139], off, off offset:336
	v_fmac_f64_e32 v[156:157], v[130:131], v[16:17]
	v_fma_f64 v[128:129], v[128:129], v[16:17], -v[18:19]
	scratch_load_b128 v[16:19], off, off offset:352
	s_wait_loadcnt_dscnt 0xc01
	v_mul_f64_e32 v[154:155], v[4:5], v[22:23]
	v_mul_f64_e32 v[22:23], v[6:7], v[22:23]
	v_add_f64_e32 v[130:131], v[162:163], v[160:161]
	v_add_f64_e32 v[152:153], v[152:153], v[158:159]
	s_wait_loadcnt_dscnt 0xb00
	v_mul_f64_e32 v[158:159], v[12:13], v[110:111]
	v_mul_f64_e32 v[110:111], v[14:15], v[110:111]
	v_fmac_f64_e32 v[154:155], v[6:7], v[20:21]
	v_fma_f64 v[160:161], v[4:5], v[20:21], -v[22:23]
	ds_load_b128 v[4:7], v2 offset:864
	ds_load_b128 v[20:23], v2 offset:880
	v_add_f64_e32 v[162:163], v[130:131], v[128:129]
	v_add_f64_e32 v[152:153], v[152:153], v[156:157]
	scratch_load_b128 v[128:131], off, off offset:368
	s_wait_loadcnt_dscnt 0xb01
	v_mul_f64_e32 v[156:157], v[4:5], v[114:115]
	v_mul_f64_e32 v[114:115], v[6:7], v[114:115]
	v_fmac_f64_e32 v[158:159], v[14:15], v[108:109]
	v_fma_f64 v[108:109], v[12:13], v[108:109], -v[110:111]
	scratch_load_b128 v[12:15], off, off offset:384
	v_add_f64_e32 v[110:111], v[162:163], v[160:161]
	v_add_f64_e32 v[152:153], v[152:153], v[154:155]
	s_wait_loadcnt_dscnt 0xb00
	v_mul_f64_e32 v[154:155], v[20:21], v[118:119]
	v_mul_f64_e32 v[118:119], v[22:23], v[118:119]
	v_fmac_f64_e32 v[156:157], v[6:7], v[112:113]
	v_fma_f64 v[160:161], v[4:5], v[112:113], -v[114:115]
	v_add_f64_e32 v[162:163], v[110:111], v[108:109]
	v_add_f64_e32 v[152:153], v[152:153], v[158:159]
	ds_load_b128 v[4:7], v2 offset:896
	ds_load_b128 v[108:111], v2 offset:912
	scratch_load_b128 v[112:115], off, off offset:400
	v_fmac_f64_e32 v[154:155], v[22:23], v[116:117]
	v_fma_f64 v[116:117], v[20:21], v[116:117], -v[118:119]
	scratch_load_b128 v[20:23], off, off offset:416
	s_wait_loadcnt_dscnt 0xc01
	v_mul_f64_e32 v[158:159], v[4:5], v[122:123]
	v_mul_f64_e32 v[122:123], v[6:7], v[122:123]
	v_add_f64_e32 v[118:119], v[162:163], v[160:161]
	v_add_f64_e32 v[152:153], v[152:153], v[156:157]
	s_wait_loadcnt_dscnt 0xb00
	v_mul_f64_e32 v[156:157], v[108:109], v[126:127]
	v_mul_f64_e32 v[126:127], v[110:111], v[126:127]
	v_fmac_f64_e32 v[158:159], v[6:7], v[120:121]
	v_fma_f64 v[160:161], v[4:5], v[120:121], -v[122:123]
	v_add_f64_e32 v[162:163], v[118:119], v[116:117]
	v_add_f64_e32 v[152:153], v[152:153], v[154:155]
	ds_load_b128 v[4:7], v2 offset:928
	ds_load_b128 v[116:119], v2 offset:944
	scratch_load_b128 v[120:123], off, off offset:432
	v_fmac_f64_e32 v[156:157], v[110:111], v[124:125]
	v_fma_f64 v[124:125], v[108:109], v[124:125], -v[126:127]
	scratch_load_b128 v[108:111], off, off offset:448
	s_wait_loadcnt_dscnt 0xc01
	v_mul_f64_e32 v[154:155], v[4:5], v[134:135]
	v_mul_f64_e32 v[134:135], v[6:7], v[134:135]
	;; [unrolled: 18-line block ×5, first 2 shown]
	v_add_f64_e32 v[146:147], v[162:163], v[160:161]
	v_add_f64_e32 v[152:153], v[152:153], v[158:159]
	s_wait_loadcnt_dscnt 0xa00
	v_mul_f64_e32 v[158:159], v[124:125], v[14:15]
	v_mul_f64_e32 v[14:15], v[126:127], v[14:15]
	v_fmac_f64_e32 v[154:155], v[6:7], v[128:129]
	v_fma_f64 v[160:161], v[4:5], v[128:129], -v[130:131]
	ds_load_b128 v[4:7], v2 offset:1056
	ds_load_b128 v[128:131], v2 offset:1072
	v_add_f64_e32 v[162:163], v[146:147], v[144:145]
	v_add_f64_e32 v[152:153], v[152:153], v[156:157]
	scratch_load_b128 v[144:147], off, off offset:560
	v_fmac_f64_e32 v[158:159], v[126:127], v[12:13]
	v_fma_f64 v[124:125], v[124:125], v[12:13], -v[14:15]
	scratch_load_b128 v[12:15], off, off offset:576
	s_wait_loadcnt_dscnt 0xb01
	v_mul_f64_e32 v[156:157], v[4:5], v[114:115]
	v_mul_f64_e32 v[114:115], v[6:7], v[114:115]
	v_add_f64_e32 v[126:127], v[162:163], v[160:161]
	v_add_f64_e32 v[152:153], v[152:153], v[154:155]
	s_wait_loadcnt_dscnt 0xa00
	v_mul_f64_e32 v[154:155], v[128:129], v[22:23]
	v_mul_f64_e32 v[22:23], v[130:131], v[22:23]
	v_fmac_f64_e32 v[156:157], v[6:7], v[112:113]
	v_fma_f64 v[160:161], v[4:5], v[112:113], -v[114:115]
	ds_load_b128 v[4:7], v2 offset:1088
	ds_load_b128 v[112:115], v2 offset:1104
	v_add_f64_e32 v[162:163], v[126:127], v[124:125]
	v_add_f64_e32 v[152:153], v[152:153], v[158:159]
	scratch_load_b128 v[124:127], off, off offset:592
	s_wait_loadcnt_dscnt 0xa01
	v_mul_f64_e32 v[158:159], v[4:5], v[122:123]
	v_mul_f64_e32 v[122:123], v[6:7], v[122:123]
	v_fmac_f64_e32 v[154:155], v[130:131], v[20:21]
	v_fma_f64 v[128:129], v[128:129], v[20:21], -v[22:23]
	scratch_load_b128 v[20:23], off, off offset:608
	v_add_f64_e32 v[130:131], v[162:163], v[160:161]
	v_add_f64_e32 v[152:153], v[152:153], v[156:157]
	s_wait_loadcnt_dscnt 0xa00
	v_mul_f64_e32 v[156:157], v[112:113], v[110:111]
	v_mul_f64_e32 v[110:111], v[114:115], v[110:111]
	v_fmac_f64_e32 v[158:159], v[6:7], v[120:121]
	v_fma_f64 v[160:161], v[4:5], v[120:121], -v[122:123]
	ds_load_b128 v[4:7], v2 offset:1120
	ds_load_b128 v[120:123], v2 offset:1136
	v_add_f64_e32 v[162:163], v[130:131], v[128:129]
	v_add_f64_e32 v[152:153], v[152:153], v[154:155]
	scratch_load_b128 v[128:131], off, off offset:624
	s_wait_loadcnt_dscnt 0xa01
	v_mul_f64_e32 v[154:155], v[4:5], v[134:135]
	v_mul_f64_e32 v[134:135], v[6:7], v[134:135]
	v_fmac_f64_e32 v[156:157], v[114:115], v[108:109]
	v_fma_f64 v[112:113], v[112:113], v[108:109], -v[110:111]
	scratch_load_b128 v[108:111], off, off offset:640
	v_add_f64_e32 v[114:115], v[162:163], v[160:161]
	v_add_f64_e32 v[152:153], v[152:153], v[158:159]
	s_wait_loadcnt_dscnt 0xa00
	v_mul_f64_e32 v[158:159], v[120:121], v[118:119]
	v_mul_f64_e32 v[118:119], v[122:123], v[118:119]
	v_fmac_f64_e32 v[154:155], v[6:7], v[132:133]
	v_fma_f64 v[132:133], v[4:5], v[132:133], -v[134:135]
	v_add_f64_e32 v[134:135], v[114:115], v[112:113]
	v_add_f64_e32 v[152:153], v[152:153], v[156:157]
	ds_load_b128 v[4:7], v2 offset:1152
	ds_load_b128 v[112:115], v2 offset:1168
	v_fmac_f64_e32 v[158:159], v[122:123], v[116:117]
	v_fma_f64 v[116:117], v[120:121], v[116:117], -v[118:119]
	s_wait_loadcnt_dscnt 0x901
	v_mul_f64_e32 v[156:157], v[4:5], v[150:151]
	v_mul_f64_e32 v[150:151], v[6:7], v[150:151]
	s_wait_loadcnt_dscnt 0x800
	v_mul_f64_e32 v[122:123], v[112:113], v[10:11]
	v_mul_f64_e32 v[10:11], v[114:115], v[10:11]
	v_add_f64_e32 v[118:119], v[134:135], v[132:133]
	v_add_f64_e32 v[120:121], v[152:153], v[154:155]
	v_fmac_f64_e32 v[156:157], v[6:7], v[148:149]
	v_fma_f64 v[132:133], v[4:5], v[148:149], -v[150:151]
	v_fmac_f64_e32 v[122:123], v[114:115], v[8:9]
	v_fma_f64 v[8:9], v[112:113], v[8:9], -v[10:11]
	v_add_f64_e32 v[134:135], v[118:119], v[116:117]
	v_add_f64_e32 v[120:121], v[120:121], v[158:159]
	ds_load_b128 v[4:7], v2 offset:1184
	ds_load_b128 v[116:119], v2 offset:1200
	s_wait_loadcnt_dscnt 0x701
	v_mul_f64_e32 v[148:149], v[4:5], v[138:139]
	v_mul_f64_e32 v[138:139], v[6:7], v[138:139]
	s_wait_loadcnt_dscnt 0x600
	v_mul_f64_e32 v[114:115], v[116:117], v[18:19]
	v_mul_f64_e32 v[18:19], v[118:119], v[18:19]
	v_add_f64_e32 v[10:11], v[134:135], v[132:133]
	v_add_f64_e32 v[112:113], v[120:121], v[156:157]
	v_fmac_f64_e32 v[148:149], v[6:7], v[136:137]
	v_fma_f64 v[120:121], v[4:5], v[136:137], -v[138:139]
	v_fmac_f64_e32 v[114:115], v[118:119], v[16:17]
	v_fma_f64 v[16:17], v[116:117], v[16:17], -v[18:19]
	v_add_f64_e32 v[132:133], v[10:11], v[8:9]
	v_add_f64_e32 v[112:113], v[112:113], v[122:123]
	ds_load_b128 v[4:7], v2 offset:1216
	ds_load_b128 v[8:11], v2 offset:1232
	;; [unrolled: 16-line block ×3, first 2 shown]
	s_wait_loadcnt_dscnt 0x301
	v_mul_f64_e32 v[114:115], v[4:5], v[126:127]
	v_mul_f64_e32 v[126:127], v[6:7], v[126:127]
	v_add_f64_e32 v[10:11], v[18:19], v[120:121]
	v_add_f64_e32 v[12:13], v[112:113], v[122:123]
	s_wait_loadcnt_dscnt 0x200
	v_mul_f64_e32 v[18:19], v[14:15], v[22:23]
	v_mul_f64_e32 v[22:23], v[16:17], v[22:23]
	v_fmac_f64_e32 v[114:115], v[6:7], v[124:125]
	v_fma_f64 v[112:113], v[4:5], v[124:125], -v[126:127]
	v_add_f64_e32 v[118:119], v[10:11], v[8:9]
	v_add_f64_e32 v[12:13], v[12:13], v[116:117]
	ds_load_b128 v[4:7], v2 offset:1280
	ds_load_b128 v[8:11], v2 offset:1296
	v_fmac_f64_e32 v[18:19], v[16:17], v[20:21]
	v_fma_f64 v[14:15], v[14:15], v[20:21], -v[22:23]
	s_wait_loadcnt_dscnt 0x101
	v_mul_f64_e32 v[2:3], v[4:5], v[130:131]
	v_mul_f64_e32 v[116:117], v[6:7], v[130:131]
	s_wait_loadcnt_dscnt 0x0
	v_mul_f64_e32 v[20:21], v[8:9], v[110:111]
	v_mul_f64_e32 v[22:23], v[10:11], v[110:111]
	v_add_f64_e32 v[16:17], v[118:119], v[112:113]
	v_add_f64_e32 v[12:13], v[12:13], v[114:115]
	v_fmac_f64_e32 v[2:3], v[6:7], v[128:129]
	v_fma_f64 v[4:5], v[4:5], v[128:129], -v[116:117]
	v_fmac_f64_e32 v[20:21], v[10:11], v[108:109]
	v_fma_f64 v[8:9], v[8:9], v[108:109], -v[22:23]
	v_add_f64_e32 v[6:7], v[16:17], v[14:15]
	v_add_f64_e32 v[12:13], v[12:13], v[18:19]
	s_delay_alu instid0(VALU_DEP_2) | instskip(NEXT) | instid1(VALU_DEP_2)
	v_add_f64_e32 v[4:5], v[6:7], v[4:5]
	v_add_f64_e32 v[2:3], v[12:13], v[2:3]
	s_delay_alu instid0(VALU_DEP_2) | instskip(NEXT) | instid1(VALU_DEP_2)
	;; [unrolled: 3-line block ×3, first 2 shown]
	v_add_f64_e64 v[2:3], v[140:141], -v[4:5]
	v_add_f64_e64 v[4:5], v[142:143], -v[6:7]
	scratch_store_b128 off, v[2:5], off offset:96
	s_wait_xcnt 0x0
	v_cmpx_lt_u32_e32 5, v1
	s_cbranch_execz .LBB104_249
; %bb.248:
	scratch_load_b128 v[2:5], off, s52
	v_mov_b32_e32 v6, 0
	s_delay_alu instid0(VALU_DEP_1)
	v_dual_mov_b32 v7, v6 :: v_dual_mov_b32 v8, v6
	v_mov_b32_e32 v9, v6
	scratch_store_b128 off, v[6:9], off offset:80
	s_wait_loadcnt 0x0
	ds_store_b128 v106, v[2:5]
.LBB104_249:
	s_wait_xcnt 0x0
	s_or_b32 exec_lo, exec_lo, s2
	s_wait_storecnt_dscnt 0x0
	s_barrier_signal -1
	s_barrier_wait -1
	s_clause 0x9
	scratch_load_b128 v[4:7], off, off offset:96
	scratch_load_b128 v[8:11], off, off offset:112
	;; [unrolled: 1-line block ×10, first 2 shown]
	v_mov_b32_e32 v2, 0
	s_mov_b32 s2, exec_lo
	ds_load_b128 v[128:131], v2 offset:752
	s_clause 0x2
	scratch_load_b128 v[132:135], off, off offset:256
	scratch_load_b128 v[136:139], off, off offset:80
	;; [unrolled: 1-line block ×3, first 2 shown]
	s_wait_loadcnt_dscnt 0xc00
	v_mul_f64_e32 v[148:149], v[130:131], v[6:7]
	v_mul_f64_e32 v[152:153], v[128:129], v[6:7]
	ds_load_b128 v[140:143], v2 offset:768
	v_fma_f64 v[156:157], v[128:129], v[4:5], -v[148:149]
	v_fmac_f64_e32 v[152:153], v[130:131], v[4:5]
	ds_load_b128 v[4:7], v2 offset:784
	s_wait_loadcnt_dscnt 0xb01
	v_mul_f64_e32 v[154:155], v[140:141], v[10:11]
	v_mul_f64_e32 v[10:11], v[142:143], v[10:11]
	scratch_load_b128 v[128:131], off, off offset:288
	ds_load_b128 v[148:151], v2 offset:800
	s_wait_loadcnt_dscnt 0xb01
	v_mul_f64_e32 v[158:159], v[4:5], v[14:15]
	v_mul_f64_e32 v[14:15], v[6:7], v[14:15]
	v_add_f64_e32 v[152:153], 0, v[152:153]
	v_fmac_f64_e32 v[154:155], v[142:143], v[8:9]
	v_fma_f64 v[140:141], v[140:141], v[8:9], -v[10:11]
	v_add_f64_e32 v[142:143], 0, v[156:157]
	scratch_load_b128 v[8:11], off, off offset:304
	v_fmac_f64_e32 v[158:159], v[6:7], v[12:13]
	v_fma_f64 v[160:161], v[4:5], v[12:13], -v[14:15]
	ds_load_b128 v[4:7], v2 offset:816
	s_wait_loadcnt_dscnt 0xb01
	v_mul_f64_e32 v[156:157], v[148:149], v[18:19]
	v_mul_f64_e32 v[18:19], v[150:151], v[18:19]
	scratch_load_b128 v[12:15], off, off offset:320
	v_add_f64_e32 v[152:153], v[152:153], v[154:155]
	v_add_f64_e32 v[162:163], v[142:143], v[140:141]
	ds_load_b128 v[140:143], v2 offset:832
	s_wait_loadcnt_dscnt 0xb01
	v_mul_f64_e32 v[154:155], v[4:5], v[22:23]
	v_mul_f64_e32 v[22:23], v[6:7], v[22:23]
	v_fmac_f64_e32 v[156:157], v[150:151], v[16:17]
	v_fma_f64 v[148:149], v[148:149], v[16:17], -v[18:19]
	scratch_load_b128 v[16:19], off, off offset:336
	v_add_f64_e32 v[152:153], v[152:153], v[158:159]
	v_add_f64_e32 v[150:151], v[162:163], v[160:161]
	v_fmac_f64_e32 v[154:155], v[6:7], v[20:21]
	v_fma_f64 v[160:161], v[4:5], v[20:21], -v[22:23]
	ds_load_b128 v[4:7], v2 offset:848
	s_wait_loadcnt_dscnt 0xb01
	v_mul_f64_e32 v[158:159], v[140:141], v[110:111]
	v_mul_f64_e32 v[110:111], v[142:143], v[110:111]
	scratch_load_b128 v[20:23], off, off offset:352
	v_add_f64_e32 v[152:153], v[152:153], v[156:157]
	s_wait_loadcnt_dscnt 0xb00
	v_mul_f64_e32 v[156:157], v[4:5], v[114:115]
	v_add_f64_e32 v[162:163], v[150:151], v[148:149]
	v_mul_f64_e32 v[114:115], v[6:7], v[114:115]
	ds_load_b128 v[148:151], v2 offset:864
	v_fmac_f64_e32 v[158:159], v[142:143], v[108:109]
	v_fma_f64 v[140:141], v[140:141], v[108:109], -v[110:111]
	scratch_load_b128 v[108:111], off, off offset:368
	v_add_f64_e32 v[152:153], v[152:153], v[154:155]
	v_fmac_f64_e32 v[156:157], v[6:7], v[112:113]
	v_add_f64_e32 v[142:143], v[162:163], v[160:161]
	v_fma_f64 v[160:161], v[4:5], v[112:113], -v[114:115]
	ds_load_b128 v[4:7], v2 offset:880
	s_wait_loadcnt_dscnt 0xb01
	v_mul_f64_e32 v[154:155], v[148:149], v[118:119]
	v_mul_f64_e32 v[118:119], v[150:151], v[118:119]
	scratch_load_b128 v[112:115], off, off offset:384
	v_add_f64_e32 v[152:153], v[152:153], v[158:159]
	s_wait_loadcnt_dscnt 0xb00
	v_mul_f64_e32 v[158:159], v[4:5], v[122:123]
	v_add_f64_e32 v[162:163], v[142:143], v[140:141]
	v_mul_f64_e32 v[122:123], v[6:7], v[122:123]
	ds_load_b128 v[140:143], v2 offset:896
	v_fmac_f64_e32 v[154:155], v[150:151], v[116:117]
	v_fma_f64 v[148:149], v[148:149], v[116:117], -v[118:119]
	scratch_load_b128 v[116:119], off, off offset:400
	v_add_f64_e32 v[152:153], v[152:153], v[156:157]
	v_fmac_f64_e32 v[158:159], v[6:7], v[120:121]
	v_add_f64_e32 v[150:151], v[162:163], v[160:161]
	;; [unrolled: 18-line block ×3, first 2 shown]
	v_fma_f64 v[160:161], v[4:5], v[132:133], -v[134:135]
	ds_load_b128 v[4:7], v2 offset:944
	s_wait_loadcnt_dscnt 0xa01
	v_mul_f64_e32 v[158:159], v[148:149], v[146:147]
	v_mul_f64_e32 v[146:147], v[150:151], v[146:147]
	scratch_load_b128 v[132:135], off, off offset:448
	v_add_f64_e32 v[152:153], v[152:153], v[156:157]
	v_add_f64_e32 v[162:163], v[142:143], v[140:141]
	s_wait_loadcnt_dscnt 0xa00
	v_mul_f64_e32 v[156:157], v[4:5], v[130:131]
	v_mul_f64_e32 v[130:131], v[6:7], v[130:131]
	v_fmac_f64_e32 v[158:159], v[150:151], v[144:145]
	v_fma_f64 v[148:149], v[148:149], v[144:145], -v[146:147]
	ds_load_b128 v[140:143], v2 offset:960
	scratch_load_b128 v[144:147], off, off offset:464
	v_add_f64_e32 v[152:153], v[152:153], v[154:155]
	v_add_f64_e32 v[150:151], v[162:163], v[160:161]
	v_fmac_f64_e32 v[156:157], v[6:7], v[128:129]
	v_fma_f64 v[160:161], v[4:5], v[128:129], -v[130:131]
	ds_load_b128 v[4:7], v2 offset:976
	s_wait_loadcnt_dscnt 0xa01
	v_mul_f64_e32 v[154:155], v[140:141], v[10:11]
	v_mul_f64_e32 v[10:11], v[142:143], v[10:11]
	scratch_load_b128 v[128:131], off, off offset:480
	v_add_f64_e32 v[152:153], v[152:153], v[158:159]
	s_wait_loadcnt_dscnt 0xa00
	v_mul_f64_e32 v[158:159], v[4:5], v[14:15]
	v_add_f64_e32 v[162:163], v[150:151], v[148:149]
	v_mul_f64_e32 v[14:15], v[6:7], v[14:15]
	ds_load_b128 v[148:151], v2 offset:992
	v_fmac_f64_e32 v[154:155], v[142:143], v[8:9]
	v_fma_f64 v[140:141], v[140:141], v[8:9], -v[10:11]
	scratch_load_b128 v[8:11], off, off offset:496
	v_add_f64_e32 v[152:153], v[152:153], v[156:157]
	v_fmac_f64_e32 v[158:159], v[6:7], v[12:13]
	v_add_f64_e32 v[142:143], v[162:163], v[160:161]
	v_fma_f64 v[160:161], v[4:5], v[12:13], -v[14:15]
	ds_load_b128 v[4:7], v2 offset:1008
	s_wait_loadcnt_dscnt 0xa01
	v_mul_f64_e32 v[156:157], v[148:149], v[18:19]
	v_mul_f64_e32 v[18:19], v[150:151], v[18:19]
	scratch_load_b128 v[12:15], off, off offset:512
	v_add_f64_e32 v[152:153], v[152:153], v[154:155]
	s_wait_loadcnt_dscnt 0xa00
	v_mul_f64_e32 v[154:155], v[4:5], v[22:23]
	v_add_f64_e32 v[162:163], v[142:143], v[140:141]
	v_mul_f64_e32 v[22:23], v[6:7], v[22:23]
	ds_load_b128 v[140:143], v2 offset:1024
	v_fmac_f64_e32 v[156:157], v[150:151], v[16:17]
	v_fma_f64 v[148:149], v[148:149], v[16:17], -v[18:19]
	scratch_load_b128 v[16:19], off, off offset:528
	v_add_f64_e32 v[152:153], v[152:153], v[158:159]
	v_fmac_f64_e32 v[154:155], v[6:7], v[20:21]
	v_add_f64_e32 v[150:151], v[162:163], v[160:161]
	;; [unrolled: 18-line block ×5, first 2 shown]
	v_fma_f64 v[160:161], v[4:5], v[132:133], -v[134:135]
	ds_load_b128 v[4:7], v2 offset:1136
	s_wait_loadcnt_dscnt 0xa01
	v_mul_f64_e32 v[158:159], v[148:149], v[146:147]
	v_mul_f64_e32 v[146:147], v[150:151], v[146:147]
	scratch_load_b128 v[132:135], off, off offset:640
	v_add_f64_e32 v[152:153], v[152:153], v[156:157]
	s_wait_loadcnt_dscnt 0xa00
	v_mul_f64_e32 v[156:157], v[4:5], v[130:131]
	v_add_f64_e32 v[162:163], v[142:143], v[140:141]
	v_mul_f64_e32 v[130:131], v[6:7], v[130:131]
	ds_load_b128 v[140:143], v2 offset:1152
	v_fmac_f64_e32 v[158:159], v[150:151], v[144:145]
	v_fma_f64 v[144:145], v[148:149], v[144:145], -v[146:147]
	s_wait_loadcnt_dscnt 0x900
	v_mul_f64_e32 v[150:151], v[140:141], v[10:11]
	v_mul_f64_e32 v[10:11], v[142:143], v[10:11]
	v_add_f64_e32 v[148:149], v[152:153], v[154:155]
	v_fmac_f64_e32 v[156:157], v[6:7], v[128:129]
	v_add_f64_e32 v[146:147], v[162:163], v[160:161]
	v_fma_f64 v[152:153], v[4:5], v[128:129], -v[130:131]
	ds_load_b128 v[4:7], v2 offset:1168
	ds_load_b128 v[128:131], v2 offset:1184
	v_fmac_f64_e32 v[150:151], v[142:143], v[8:9]
	v_fma_f64 v[8:9], v[140:141], v[8:9], -v[10:11]
	v_add_f64_e32 v[144:145], v[146:147], v[144:145]
	v_add_f64_e32 v[146:147], v[148:149], v[158:159]
	s_wait_loadcnt_dscnt 0x801
	v_mul_f64_e32 v[148:149], v[4:5], v[14:15]
	v_mul_f64_e32 v[14:15], v[6:7], v[14:15]
	s_wait_loadcnt_dscnt 0x700
	v_mul_f64_e32 v[142:143], v[128:129], v[18:19]
	v_mul_f64_e32 v[18:19], v[130:131], v[18:19]
	v_add_f64_e32 v[10:11], v[144:145], v[152:153]
	v_add_f64_e32 v[140:141], v[146:147], v[156:157]
	v_fmac_f64_e32 v[148:149], v[6:7], v[12:13]
	v_fma_f64 v[12:13], v[4:5], v[12:13], -v[14:15]
	v_fmac_f64_e32 v[142:143], v[130:131], v[16:17]
	v_fma_f64 v[16:17], v[128:129], v[16:17], -v[18:19]
	v_add_f64_e32 v[14:15], v[10:11], v[8:9]
	v_add_f64_e32 v[140:141], v[140:141], v[150:151]
	ds_load_b128 v[4:7], v2 offset:1200
	ds_load_b128 v[8:11], v2 offset:1216
	s_wait_loadcnt_dscnt 0x601
	v_mul_f64_e32 v[144:145], v[4:5], v[22:23]
	v_mul_f64_e32 v[22:23], v[6:7], v[22:23]
	s_wait_loadcnt_dscnt 0x500
	v_mul_f64_e32 v[18:19], v[8:9], v[110:111]
	v_mul_f64_e32 v[110:111], v[10:11], v[110:111]
	v_add_f64_e32 v[12:13], v[14:15], v[12:13]
	v_add_f64_e32 v[14:15], v[140:141], v[148:149]
	v_fmac_f64_e32 v[144:145], v[6:7], v[20:21]
	v_fma_f64 v[20:21], v[4:5], v[20:21], -v[22:23]
	v_fmac_f64_e32 v[18:19], v[10:11], v[108:109]
	v_fma_f64 v[8:9], v[8:9], v[108:109], -v[110:111]
	v_add_f64_e32 v[16:17], v[12:13], v[16:17]
	v_add_f64_e32 v[22:23], v[14:15], v[142:143]
	ds_load_b128 v[4:7], v2 offset:1232
	ds_load_b128 v[12:15], v2 offset:1248
	s_wait_loadcnt_dscnt 0x401
	v_mul_f64_e32 v[128:129], v[4:5], v[114:115]
	v_mul_f64_e32 v[114:115], v[6:7], v[114:115]
	v_add_f64_e32 v[10:11], v[16:17], v[20:21]
	v_add_f64_e32 v[16:17], v[22:23], v[144:145]
	s_wait_loadcnt_dscnt 0x300
	v_mul_f64_e32 v[20:21], v[12:13], v[118:119]
	v_mul_f64_e32 v[22:23], v[14:15], v[118:119]
	v_fmac_f64_e32 v[128:129], v[6:7], v[112:113]
	v_fma_f64 v[108:109], v[4:5], v[112:113], -v[114:115]
	v_add_f64_e32 v[110:111], v[10:11], v[8:9]
	v_add_f64_e32 v[16:17], v[16:17], v[18:19]
	ds_load_b128 v[4:7], v2 offset:1264
	ds_load_b128 v[8:11], v2 offset:1280
	v_fmac_f64_e32 v[20:21], v[14:15], v[116:117]
	v_fma_f64 v[12:13], v[12:13], v[116:117], -v[22:23]
	s_wait_loadcnt_dscnt 0x201
	v_mul_f64_e32 v[18:19], v[4:5], v[122:123]
	v_mul_f64_e32 v[112:113], v[6:7], v[122:123]
	s_wait_loadcnt_dscnt 0x100
	v_mul_f64_e32 v[22:23], v[8:9], v[126:127]
	v_add_f64_e32 v[14:15], v[110:111], v[108:109]
	v_add_f64_e32 v[16:17], v[16:17], v[128:129]
	v_mul_f64_e32 v[108:109], v[10:11], v[126:127]
	v_fmac_f64_e32 v[18:19], v[6:7], v[120:121]
	v_fma_f64 v[110:111], v[4:5], v[120:121], -v[112:113]
	ds_load_b128 v[4:7], v2 offset:1296
	v_fmac_f64_e32 v[22:23], v[10:11], v[124:125]
	v_add_f64_e32 v[12:13], v[14:15], v[12:13]
	v_add_f64_e32 v[14:15], v[16:17], v[20:21]
	v_fma_f64 v[8:9], v[8:9], v[124:125], -v[108:109]
	s_wait_loadcnt_dscnt 0x0
	v_mul_f64_e32 v[16:17], v[4:5], v[134:135]
	v_mul_f64_e32 v[20:21], v[6:7], v[134:135]
	v_add_f64_e32 v[10:11], v[12:13], v[110:111]
	v_add_f64_e32 v[12:13], v[14:15], v[18:19]
	s_delay_alu instid0(VALU_DEP_4) | instskip(NEXT) | instid1(VALU_DEP_4)
	v_fmac_f64_e32 v[16:17], v[6:7], v[132:133]
	v_fma_f64 v[4:5], v[4:5], v[132:133], -v[20:21]
	s_delay_alu instid0(VALU_DEP_4) | instskip(NEXT) | instid1(VALU_DEP_4)
	v_add_f64_e32 v[6:7], v[10:11], v[8:9]
	v_add_f64_e32 v[8:9], v[12:13], v[22:23]
	s_delay_alu instid0(VALU_DEP_2) | instskip(NEXT) | instid1(VALU_DEP_2)
	v_add_f64_e32 v[4:5], v[6:7], v[4:5]
	v_add_f64_e32 v[6:7], v[8:9], v[16:17]
	s_delay_alu instid0(VALU_DEP_2) | instskip(NEXT) | instid1(VALU_DEP_2)
	v_add_f64_e64 v[4:5], v[136:137], -v[4:5]
	v_add_f64_e64 v[6:7], v[138:139], -v[6:7]
	scratch_store_b128 off, v[4:7], off offset:80
	s_wait_xcnt 0x0
	v_cmpx_lt_u32_e32 4, v1
	s_cbranch_execz .LBB104_251
; %bb.250:
	scratch_load_b128 v[6:9], off, s12
	v_dual_mov_b32 v3, v2 :: v_dual_mov_b32 v4, v2
	v_mov_b32_e32 v5, v2
	scratch_store_b128 off, v[2:5], off offset:64
	s_wait_loadcnt 0x0
	ds_store_b128 v106, v[6:9]
.LBB104_251:
	s_wait_xcnt 0x0
	s_or_b32 exec_lo, exec_lo, s2
	s_wait_storecnt_dscnt 0x0
	s_barrier_signal -1
	s_barrier_wait -1
	s_clause 0x9
	scratch_load_b128 v[4:7], off, off offset:80
	scratch_load_b128 v[8:11], off, off offset:96
	;; [unrolled: 1-line block ×10, first 2 shown]
	ds_load_b128 v[128:131], v2 offset:736
	ds_load_b128 v[136:139], v2 offset:752
	s_clause 0x2
	scratch_load_b128 v[132:135], off, off offset:240
	scratch_load_b128 v[140:143], off, off offset:64
	;; [unrolled: 1-line block ×3, first 2 shown]
	s_mov_b32 s2, exec_lo
	s_wait_loadcnt_dscnt 0xc01
	v_mul_f64_e32 v[148:149], v[130:131], v[6:7]
	v_mul_f64_e32 v[152:153], v[128:129], v[6:7]
	s_wait_loadcnt_dscnt 0xb00
	v_mul_f64_e32 v[154:155], v[136:137], v[10:11]
	v_mul_f64_e32 v[10:11], v[138:139], v[10:11]
	s_delay_alu instid0(VALU_DEP_4) | instskip(NEXT) | instid1(VALU_DEP_4)
	v_fma_f64 v[156:157], v[128:129], v[4:5], -v[148:149]
	v_fmac_f64_e32 v[152:153], v[130:131], v[4:5]
	ds_load_b128 v[4:7], v2 offset:768
	ds_load_b128 v[128:131], v2 offset:784
	scratch_load_b128 v[148:151], off, off offset:272
	v_fmac_f64_e32 v[154:155], v[138:139], v[8:9]
	v_fma_f64 v[136:137], v[136:137], v[8:9], -v[10:11]
	scratch_load_b128 v[8:11], off, off offset:288
	s_wait_loadcnt_dscnt 0xc01
	v_mul_f64_e32 v[158:159], v[4:5], v[14:15]
	v_mul_f64_e32 v[14:15], v[6:7], v[14:15]
	v_add_f64_e32 v[138:139], 0, v[156:157]
	v_add_f64_e32 v[152:153], 0, v[152:153]
	s_wait_loadcnt_dscnt 0xb00
	v_mul_f64_e32 v[156:157], v[128:129], v[18:19]
	v_mul_f64_e32 v[18:19], v[130:131], v[18:19]
	v_fmac_f64_e32 v[158:159], v[6:7], v[12:13]
	v_fma_f64 v[160:161], v[4:5], v[12:13], -v[14:15]
	ds_load_b128 v[4:7], v2 offset:800
	ds_load_b128 v[12:15], v2 offset:816
	v_add_f64_e32 v[162:163], v[138:139], v[136:137]
	v_add_f64_e32 v[152:153], v[152:153], v[154:155]
	scratch_load_b128 v[136:139], off, off offset:304
	v_fmac_f64_e32 v[156:157], v[130:131], v[16:17]
	v_fma_f64 v[128:129], v[128:129], v[16:17], -v[18:19]
	scratch_load_b128 v[16:19], off, off offset:320
	s_wait_loadcnt_dscnt 0xc01
	v_mul_f64_e32 v[154:155], v[4:5], v[22:23]
	v_mul_f64_e32 v[22:23], v[6:7], v[22:23]
	v_add_f64_e32 v[130:131], v[162:163], v[160:161]
	v_add_f64_e32 v[152:153], v[152:153], v[158:159]
	s_wait_loadcnt_dscnt 0xb00
	v_mul_f64_e32 v[158:159], v[12:13], v[110:111]
	v_mul_f64_e32 v[110:111], v[14:15], v[110:111]
	v_fmac_f64_e32 v[154:155], v[6:7], v[20:21]
	v_fma_f64 v[160:161], v[4:5], v[20:21], -v[22:23]
	ds_load_b128 v[4:7], v2 offset:832
	ds_load_b128 v[20:23], v2 offset:848
	v_add_f64_e32 v[162:163], v[130:131], v[128:129]
	v_add_f64_e32 v[152:153], v[152:153], v[156:157]
	scratch_load_b128 v[128:131], off, off offset:336
	s_wait_loadcnt_dscnt 0xb01
	v_mul_f64_e32 v[156:157], v[4:5], v[114:115]
	v_mul_f64_e32 v[114:115], v[6:7], v[114:115]
	v_fmac_f64_e32 v[158:159], v[14:15], v[108:109]
	v_fma_f64 v[108:109], v[12:13], v[108:109], -v[110:111]
	scratch_load_b128 v[12:15], off, off offset:352
	v_add_f64_e32 v[110:111], v[162:163], v[160:161]
	v_add_f64_e32 v[152:153], v[152:153], v[154:155]
	s_wait_loadcnt_dscnt 0xb00
	v_mul_f64_e32 v[154:155], v[20:21], v[118:119]
	v_mul_f64_e32 v[118:119], v[22:23], v[118:119]
	v_fmac_f64_e32 v[156:157], v[6:7], v[112:113]
	v_fma_f64 v[160:161], v[4:5], v[112:113], -v[114:115]
	v_add_f64_e32 v[162:163], v[110:111], v[108:109]
	v_add_f64_e32 v[152:153], v[152:153], v[158:159]
	ds_load_b128 v[4:7], v2 offset:864
	ds_load_b128 v[108:111], v2 offset:880
	scratch_load_b128 v[112:115], off, off offset:368
	v_fmac_f64_e32 v[154:155], v[22:23], v[116:117]
	v_fma_f64 v[116:117], v[20:21], v[116:117], -v[118:119]
	scratch_load_b128 v[20:23], off, off offset:384
	s_wait_loadcnt_dscnt 0xc01
	v_mul_f64_e32 v[158:159], v[4:5], v[122:123]
	v_mul_f64_e32 v[122:123], v[6:7], v[122:123]
	v_add_f64_e32 v[118:119], v[162:163], v[160:161]
	v_add_f64_e32 v[152:153], v[152:153], v[156:157]
	s_wait_loadcnt_dscnt 0xb00
	v_mul_f64_e32 v[156:157], v[108:109], v[126:127]
	v_mul_f64_e32 v[126:127], v[110:111], v[126:127]
	v_fmac_f64_e32 v[158:159], v[6:7], v[120:121]
	v_fma_f64 v[160:161], v[4:5], v[120:121], -v[122:123]
	v_add_f64_e32 v[162:163], v[118:119], v[116:117]
	v_add_f64_e32 v[152:153], v[152:153], v[154:155]
	ds_load_b128 v[4:7], v2 offset:896
	ds_load_b128 v[116:119], v2 offset:912
	scratch_load_b128 v[120:123], off, off offset:400
	v_fmac_f64_e32 v[156:157], v[110:111], v[124:125]
	v_fma_f64 v[124:125], v[108:109], v[124:125], -v[126:127]
	scratch_load_b128 v[108:111], off, off offset:416
	s_wait_loadcnt_dscnt 0xc01
	v_mul_f64_e32 v[154:155], v[4:5], v[134:135]
	v_mul_f64_e32 v[134:135], v[6:7], v[134:135]
	;; [unrolled: 18-line block ×5, first 2 shown]
	v_add_f64_e32 v[146:147], v[162:163], v[160:161]
	v_add_f64_e32 v[152:153], v[152:153], v[158:159]
	s_wait_loadcnt_dscnt 0xa00
	v_mul_f64_e32 v[158:159], v[124:125], v[14:15]
	v_mul_f64_e32 v[14:15], v[126:127], v[14:15]
	v_fmac_f64_e32 v[154:155], v[6:7], v[128:129]
	v_fma_f64 v[160:161], v[4:5], v[128:129], -v[130:131]
	ds_load_b128 v[4:7], v2 offset:1024
	ds_load_b128 v[128:131], v2 offset:1040
	v_add_f64_e32 v[162:163], v[146:147], v[144:145]
	v_add_f64_e32 v[152:153], v[152:153], v[156:157]
	scratch_load_b128 v[144:147], off, off offset:528
	v_fmac_f64_e32 v[158:159], v[126:127], v[12:13]
	v_fma_f64 v[124:125], v[124:125], v[12:13], -v[14:15]
	scratch_load_b128 v[12:15], off, off offset:544
	s_wait_loadcnt_dscnt 0xb01
	v_mul_f64_e32 v[156:157], v[4:5], v[114:115]
	v_mul_f64_e32 v[114:115], v[6:7], v[114:115]
	v_add_f64_e32 v[126:127], v[162:163], v[160:161]
	v_add_f64_e32 v[152:153], v[152:153], v[154:155]
	s_wait_loadcnt_dscnt 0xa00
	v_mul_f64_e32 v[154:155], v[128:129], v[22:23]
	v_mul_f64_e32 v[22:23], v[130:131], v[22:23]
	v_fmac_f64_e32 v[156:157], v[6:7], v[112:113]
	v_fma_f64 v[160:161], v[4:5], v[112:113], -v[114:115]
	ds_load_b128 v[4:7], v2 offset:1056
	ds_load_b128 v[112:115], v2 offset:1072
	v_add_f64_e32 v[162:163], v[126:127], v[124:125]
	v_add_f64_e32 v[152:153], v[152:153], v[158:159]
	scratch_load_b128 v[124:127], off, off offset:560
	s_wait_loadcnt_dscnt 0xa01
	v_mul_f64_e32 v[158:159], v[4:5], v[122:123]
	v_mul_f64_e32 v[122:123], v[6:7], v[122:123]
	v_fmac_f64_e32 v[154:155], v[130:131], v[20:21]
	v_fma_f64 v[128:129], v[128:129], v[20:21], -v[22:23]
	scratch_load_b128 v[20:23], off, off offset:576
	v_add_f64_e32 v[130:131], v[162:163], v[160:161]
	v_add_f64_e32 v[152:153], v[152:153], v[156:157]
	s_wait_loadcnt_dscnt 0xa00
	v_mul_f64_e32 v[156:157], v[112:113], v[110:111]
	v_mul_f64_e32 v[110:111], v[114:115], v[110:111]
	v_fmac_f64_e32 v[158:159], v[6:7], v[120:121]
	v_fma_f64 v[160:161], v[4:5], v[120:121], -v[122:123]
	ds_load_b128 v[4:7], v2 offset:1088
	ds_load_b128 v[120:123], v2 offset:1104
	v_add_f64_e32 v[162:163], v[130:131], v[128:129]
	v_add_f64_e32 v[152:153], v[152:153], v[154:155]
	scratch_load_b128 v[128:131], off, off offset:592
	s_wait_loadcnt_dscnt 0xa01
	v_mul_f64_e32 v[154:155], v[4:5], v[134:135]
	v_mul_f64_e32 v[134:135], v[6:7], v[134:135]
	v_fmac_f64_e32 v[156:157], v[114:115], v[108:109]
	v_fma_f64 v[112:113], v[112:113], v[108:109], -v[110:111]
	scratch_load_b128 v[108:111], off, off offset:608
	v_add_f64_e32 v[114:115], v[162:163], v[160:161]
	v_add_f64_e32 v[152:153], v[152:153], v[158:159]
	s_wait_loadcnt_dscnt 0xa00
	v_mul_f64_e32 v[158:159], v[120:121], v[118:119]
	v_mul_f64_e32 v[118:119], v[122:123], v[118:119]
	v_fmac_f64_e32 v[154:155], v[6:7], v[132:133]
	v_fma_f64 v[160:161], v[4:5], v[132:133], -v[134:135]
	v_add_f64_e32 v[162:163], v[114:115], v[112:113]
	v_add_f64_e32 v[152:153], v[152:153], v[156:157]
	ds_load_b128 v[4:7], v2 offset:1120
	ds_load_b128 v[112:115], v2 offset:1136
	scratch_load_b128 v[132:135], off, off offset:624
	v_fmac_f64_e32 v[158:159], v[122:123], v[116:117]
	v_fma_f64 v[120:121], v[120:121], v[116:117], -v[118:119]
	scratch_load_b128 v[116:119], off, off offset:640
	s_wait_loadcnt_dscnt 0xb01
	v_mul_f64_e32 v[156:157], v[4:5], v[150:151]
	v_mul_f64_e32 v[150:151], v[6:7], v[150:151]
	v_add_f64_e32 v[122:123], v[162:163], v[160:161]
	v_add_f64_e32 v[152:153], v[152:153], v[154:155]
	s_wait_loadcnt_dscnt 0xa00
	v_mul_f64_e32 v[154:155], v[112:113], v[10:11]
	v_mul_f64_e32 v[10:11], v[114:115], v[10:11]
	v_fmac_f64_e32 v[156:157], v[6:7], v[148:149]
	v_fma_f64 v[148:149], v[4:5], v[148:149], -v[150:151]
	v_add_f64_e32 v[150:151], v[122:123], v[120:121]
	v_add_f64_e32 v[152:153], v[152:153], v[158:159]
	ds_load_b128 v[4:7], v2 offset:1152
	ds_load_b128 v[120:123], v2 offset:1168
	v_fmac_f64_e32 v[154:155], v[114:115], v[8:9]
	v_fma_f64 v[8:9], v[112:113], v[8:9], -v[10:11]
	s_wait_loadcnt_dscnt 0x901
	v_mul_f64_e32 v[158:159], v[4:5], v[138:139]
	v_mul_f64_e32 v[138:139], v[6:7], v[138:139]
	s_wait_loadcnt_dscnt 0x800
	v_mul_f64_e32 v[114:115], v[120:121], v[18:19]
	v_mul_f64_e32 v[18:19], v[122:123], v[18:19]
	v_add_f64_e32 v[10:11], v[150:151], v[148:149]
	v_add_f64_e32 v[112:113], v[152:153], v[156:157]
	v_fmac_f64_e32 v[158:159], v[6:7], v[136:137]
	v_fma_f64 v[136:137], v[4:5], v[136:137], -v[138:139]
	v_fmac_f64_e32 v[114:115], v[122:123], v[16:17]
	v_fma_f64 v[16:17], v[120:121], v[16:17], -v[18:19]
	v_add_f64_e32 v[138:139], v[10:11], v[8:9]
	v_add_f64_e32 v[112:113], v[112:113], v[154:155]
	ds_load_b128 v[4:7], v2 offset:1184
	ds_load_b128 v[8:11], v2 offset:1200
	s_wait_loadcnt_dscnt 0x701
	v_mul_f64_e32 v[148:149], v[4:5], v[146:147]
	v_mul_f64_e32 v[146:147], v[6:7], v[146:147]
	s_wait_loadcnt_dscnt 0x600
	v_mul_f64_e32 v[120:121], v[8:9], v[14:15]
	v_mul_f64_e32 v[122:123], v[10:11], v[14:15]
	v_add_f64_e32 v[18:19], v[138:139], v[136:137]
	v_add_f64_e32 v[112:113], v[112:113], v[158:159]
	v_fmac_f64_e32 v[148:149], v[6:7], v[144:145]
	v_fma_f64 v[136:137], v[4:5], v[144:145], -v[146:147]
	v_fmac_f64_e32 v[120:121], v[10:11], v[12:13]
	v_fma_f64 v[8:9], v[8:9], v[12:13], -v[122:123]
	v_add_f64_e32 v[18:19], v[18:19], v[16:17]
	v_add_f64_e32 v[112:113], v[112:113], v[114:115]
	ds_load_b128 v[4:7], v2 offset:1216
	ds_load_b128 v[14:17], v2 offset:1232
	s_wait_loadcnt_dscnt 0x501
	v_mul_f64_e32 v[114:115], v[4:5], v[126:127]
	v_mul_f64_e32 v[126:127], v[6:7], v[126:127]
	v_add_f64_e32 v[10:11], v[18:19], v[136:137]
	v_add_f64_e32 v[12:13], v[112:113], v[148:149]
	s_wait_loadcnt_dscnt 0x400
	v_mul_f64_e32 v[18:19], v[14:15], v[22:23]
	v_mul_f64_e32 v[22:23], v[16:17], v[22:23]
	v_fmac_f64_e32 v[114:115], v[6:7], v[124:125]
	v_fma_f64 v[112:113], v[4:5], v[124:125], -v[126:127]
	v_add_f64_e32 v[122:123], v[10:11], v[8:9]
	v_add_f64_e32 v[12:13], v[12:13], v[120:121]
	ds_load_b128 v[4:7], v2 offset:1248
	ds_load_b128 v[8:11], v2 offset:1264
	v_fmac_f64_e32 v[18:19], v[16:17], v[20:21]
	v_fma_f64 v[14:15], v[14:15], v[20:21], -v[22:23]
	s_wait_loadcnt_dscnt 0x301
	v_mul_f64_e32 v[120:121], v[4:5], v[130:131]
	v_mul_f64_e32 v[124:125], v[6:7], v[130:131]
	s_wait_loadcnt_dscnt 0x200
	v_mul_f64_e32 v[20:21], v[8:9], v[110:111]
	v_mul_f64_e32 v[22:23], v[10:11], v[110:111]
	v_add_f64_e32 v[16:17], v[122:123], v[112:113]
	v_add_f64_e32 v[12:13], v[12:13], v[114:115]
	v_fmac_f64_e32 v[120:121], v[6:7], v[128:129]
	v_fma_f64 v[110:111], v[4:5], v[128:129], -v[124:125]
	v_fmac_f64_e32 v[20:21], v[10:11], v[108:109]
	v_fma_f64 v[8:9], v[8:9], v[108:109], -v[22:23]
	v_add_f64_e32 v[16:17], v[16:17], v[14:15]
	v_add_f64_e32 v[18:19], v[12:13], v[18:19]
	ds_load_b128 v[4:7], v2 offset:1280
	ds_load_b128 v[12:15], v2 offset:1296
	s_wait_loadcnt_dscnt 0x101
	v_mul_f64_e32 v[2:3], v[4:5], v[134:135]
	v_mul_f64_e32 v[112:113], v[6:7], v[134:135]
	s_wait_loadcnt_dscnt 0x0
	v_mul_f64_e32 v[22:23], v[14:15], v[118:119]
	v_add_f64_e32 v[10:11], v[16:17], v[110:111]
	v_add_f64_e32 v[16:17], v[18:19], v[120:121]
	v_mul_f64_e32 v[18:19], v[12:13], v[118:119]
	v_fmac_f64_e32 v[2:3], v[6:7], v[132:133]
	v_fma_f64 v[4:5], v[4:5], v[132:133], -v[112:113]
	v_add_f64_e32 v[6:7], v[10:11], v[8:9]
	v_add_f64_e32 v[8:9], v[16:17], v[20:21]
	v_fmac_f64_e32 v[18:19], v[14:15], v[116:117]
	v_fma_f64 v[10:11], v[12:13], v[116:117], -v[22:23]
	s_delay_alu instid0(VALU_DEP_4) | instskip(NEXT) | instid1(VALU_DEP_4)
	v_add_f64_e32 v[4:5], v[6:7], v[4:5]
	v_add_f64_e32 v[2:3], v[8:9], v[2:3]
	s_delay_alu instid0(VALU_DEP_2) | instskip(NEXT) | instid1(VALU_DEP_2)
	v_add_f64_e32 v[4:5], v[4:5], v[10:11]
	v_add_f64_e32 v[6:7], v[2:3], v[18:19]
	s_delay_alu instid0(VALU_DEP_2) | instskip(NEXT) | instid1(VALU_DEP_2)
	v_add_f64_e64 v[2:3], v[140:141], -v[4:5]
	v_add_f64_e64 v[4:5], v[142:143], -v[6:7]
	scratch_store_b128 off, v[2:5], off offset:64
	s_wait_xcnt 0x0
	v_cmpx_lt_u32_e32 3, v1
	s_cbranch_execz .LBB104_253
; %bb.252:
	scratch_load_b128 v[2:5], off, s14
	v_mov_b32_e32 v6, 0
	s_delay_alu instid0(VALU_DEP_1)
	v_dual_mov_b32 v7, v6 :: v_dual_mov_b32 v8, v6
	v_mov_b32_e32 v9, v6
	scratch_store_b128 off, v[6:9], off offset:48
	s_wait_loadcnt 0x0
	ds_store_b128 v106, v[2:5]
.LBB104_253:
	s_wait_xcnt 0x0
	s_or_b32 exec_lo, exec_lo, s2
	s_wait_storecnt_dscnt 0x0
	s_barrier_signal -1
	s_barrier_wait -1
	s_clause 0x9
	scratch_load_b128 v[4:7], off, off offset:64
	scratch_load_b128 v[8:11], off, off offset:80
	;; [unrolled: 1-line block ×10, first 2 shown]
	v_mov_b32_e32 v2, 0
	s_mov_b32 s2, exec_lo
	ds_load_b128 v[128:131], v2 offset:720
	s_clause 0x2
	scratch_load_b128 v[132:135], off, off offset:224
	scratch_load_b128 v[136:139], off, off offset:48
	;; [unrolled: 1-line block ×3, first 2 shown]
	s_wait_loadcnt_dscnt 0xc00
	v_mul_f64_e32 v[148:149], v[130:131], v[6:7]
	v_mul_f64_e32 v[152:153], v[128:129], v[6:7]
	ds_load_b128 v[140:143], v2 offset:736
	v_fma_f64 v[156:157], v[128:129], v[4:5], -v[148:149]
	v_fmac_f64_e32 v[152:153], v[130:131], v[4:5]
	ds_load_b128 v[4:7], v2 offset:752
	s_wait_loadcnt_dscnt 0xb01
	v_mul_f64_e32 v[154:155], v[140:141], v[10:11]
	v_mul_f64_e32 v[10:11], v[142:143], v[10:11]
	scratch_load_b128 v[128:131], off, off offset:256
	ds_load_b128 v[148:151], v2 offset:768
	s_wait_loadcnt_dscnt 0xb01
	v_mul_f64_e32 v[158:159], v[4:5], v[14:15]
	v_mul_f64_e32 v[14:15], v[6:7], v[14:15]
	v_add_f64_e32 v[152:153], 0, v[152:153]
	v_fmac_f64_e32 v[154:155], v[142:143], v[8:9]
	v_fma_f64 v[140:141], v[140:141], v[8:9], -v[10:11]
	v_add_f64_e32 v[142:143], 0, v[156:157]
	scratch_load_b128 v[8:11], off, off offset:272
	v_fmac_f64_e32 v[158:159], v[6:7], v[12:13]
	v_fma_f64 v[160:161], v[4:5], v[12:13], -v[14:15]
	ds_load_b128 v[4:7], v2 offset:784
	s_wait_loadcnt_dscnt 0xb01
	v_mul_f64_e32 v[156:157], v[148:149], v[18:19]
	v_mul_f64_e32 v[18:19], v[150:151], v[18:19]
	scratch_load_b128 v[12:15], off, off offset:288
	v_add_f64_e32 v[152:153], v[152:153], v[154:155]
	v_add_f64_e32 v[162:163], v[142:143], v[140:141]
	ds_load_b128 v[140:143], v2 offset:800
	s_wait_loadcnt_dscnt 0xb01
	v_mul_f64_e32 v[154:155], v[4:5], v[22:23]
	v_mul_f64_e32 v[22:23], v[6:7], v[22:23]
	v_fmac_f64_e32 v[156:157], v[150:151], v[16:17]
	v_fma_f64 v[148:149], v[148:149], v[16:17], -v[18:19]
	scratch_load_b128 v[16:19], off, off offset:304
	v_add_f64_e32 v[152:153], v[152:153], v[158:159]
	v_add_f64_e32 v[150:151], v[162:163], v[160:161]
	v_fmac_f64_e32 v[154:155], v[6:7], v[20:21]
	v_fma_f64 v[160:161], v[4:5], v[20:21], -v[22:23]
	ds_load_b128 v[4:7], v2 offset:816
	s_wait_loadcnt_dscnt 0xb01
	v_mul_f64_e32 v[158:159], v[140:141], v[110:111]
	v_mul_f64_e32 v[110:111], v[142:143], v[110:111]
	scratch_load_b128 v[20:23], off, off offset:320
	v_add_f64_e32 v[152:153], v[152:153], v[156:157]
	s_wait_loadcnt_dscnt 0xb00
	v_mul_f64_e32 v[156:157], v[4:5], v[114:115]
	v_add_f64_e32 v[162:163], v[150:151], v[148:149]
	v_mul_f64_e32 v[114:115], v[6:7], v[114:115]
	ds_load_b128 v[148:151], v2 offset:832
	v_fmac_f64_e32 v[158:159], v[142:143], v[108:109]
	v_fma_f64 v[140:141], v[140:141], v[108:109], -v[110:111]
	scratch_load_b128 v[108:111], off, off offset:336
	v_add_f64_e32 v[152:153], v[152:153], v[154:155]
	v_fmac_f64_e32 v[156:157], v[6:7], v[112:113]
	v_add_f64_e32 v[142:143], v[162:163], v[160:161]
	v_fma_f64 v[160:161], v[4:5], v[112:113], -v[114:115]
	ds_load_b128 v[4:7], v2 offset:848
	s_wait_loadcnt_dscnt 0xb01
	v_mul_f64_e32 v[154:155], v[148:149], v[118:119]
	v_mul_f64_e32 v[118:119], v[150:151], v[118:119]
	scratch_load_b128 v[112:115], off, off offset:352
	v_add_f64_e32 v[152:153], v[152:153], v[158:159]
	s_wait_loadcnt_dscnt 0xb00
	v_mul_f64_e32 v[158:159], v[4:5], v[122:123]
	v_add_f64_e32 v[162:163], v[142:143], v[140:141]
	v_mul_f64_e32 v[122:123], v[6:7], v[122:123]
	ds_load_b128 v[140:143], v2 offset:864
	v_fmac_f64_e32 v[154:155], v[150:151], v[116:117]
	v_fma_f64 v[148:149], v[148:149], v[116:117], -v[118:119]
	scratch_load_b128 v[116:119], off, off offset:368
	v_add_f64_e32 v[152:153], v[152:153], v[156:157]
	v_fmac_f64_e32 v[158:159], v[6:7], v[120:121]
	v_add_f64_e32 v[150:151], v[162:163], v[160:161]
	;; [unrolled: 18-line block ×3, first 2 shown]
	v_fma_f64 v[160:161], v[4:5], v[132:133], -v[134:135]
	ds_load_b128 v[4:7], v2 offset:912
	s_wait_loadcnt_dscnt 0xa01
	v_mul_f64_e32 v[158:159], v[148:149], v[146:147]
	v_mul_f64_e32 v[146:147], v[150:151], v[146:147]
	scratch_load_b128 v[132:135], off, off offset:416
	v_add_f64_e32 v[152:153], v[152:153], v[156:157]
	v_add_f64_e32 v[162:163], v[142:143], v[140:141]
	s_wait_loadcnt_dscnt 0xa00
	v_mul_f64_e32 v[156:157], v[4:5], v[130:131]
	v_mul_f64_e32 v[130:131], v[6:7], v[130:131]
	v_fmac_f64_e32 v[158:159], v[150:151], v[144:145]
	v_fma_f64 v[148:149], v[148:149], v[144:145], -v[146:147]
	ds_load_b128 v[140:143], v2 offset:928
	scratch_load_b128 v[144:147], off, off offset:432
	v_add_f64_e32 v[152:153], v[152:153], v[154:155]
	v_add_f64_e32 v[150:151], v[162:163], v[160:161]
	v_fmac_f64_e32 v[156:157], v[6:7], v[128:129]
	v_fma_f64 v[160:161], v[4:5], v[128:129], -v[130:131]
	ds_load_b128 v[4:7], v2 offset:944
	s_wait_loadcnt_dscnt 0xa01
	v_mul_f64_e32 v[154:155], v[140:141], v[10:11]
	v_mul_f64_e32 v[10:11], v[142:143], v[10:11]
	scratch_load_b128 v[128:131], off, off offset:448
	v_add_f64_e32 v[152:153], v[152:153], v[158:159]
	s_wait_loadcnt_dscnt 0xa00
	v_mul_f64_e32 v[158:159], v[4:5], v[14:15]
	v_add_f64_e32 v[162:163], v[150:151], v[148:149]
	v_mul_f64_e32 v[14:15], v[6:7], v[14:15]
	ds_load_b128 v[148:151], v2 offset:960
	v_fmac_f64_e32 v[154:155], v[142:143], v[8:9]
	v_fma_f64 v[140:141], v[140:141], v[8:9], -v[10:11]
	scratch_load_b128 v[8:11], off, off offset:464
	v_add_f64_e32 v[152:153], v[152:153], v[156:157]
	v_fmac_f64_e32 v[158:159], v[6:7], v[12:13]
	v_add_f64_e32 v[142:143], v[162:163], v[160:161]
	v_fma_f64 v[160:161], v[4:5], v[12:13], -v[14:15]
	ds_load_b128 v[4:7], v2 offset:976
	s_wait_loadcnt_dscnt 0xa01
	v_mul_f64_e32 v[156:157], v[148:149], v[18:19]
	v_mul_f64_e32 v[18:19], v[150:151], v[18:19]
	scratch_load_b128 v[12:15], off, off offset:480
	v_add_f64_e32 v[152:153], v[152:153], v[154:155]
	s_wait_loadcnt_dscnt 0xa00
	v_mul_f64_e32 v[154:155], v[4:5], v[22:23]
	v_add_f64_e32 v[162:163], v[142:143], v[140:141]
	v_mul_f64_e32 v[22:23], v[6:7], v[22:23]
	ds_load_b128 v[140:143], v2 offset:992
	v_fmac_f64_e32 v[156:157], v[150:151], v[16:17]
	v_fma_f64 v[148:149], v[148:149], v[16:17], -v[18:19]
	scratch_load_b128 v[16:19], off, off offset:496
	v_add_f64_e32 v[152:153], v[152:153], v[158:159]
	v_fmac_f64_e32 v[154:155], v[6:7], v[20:21]
	v_add_f64_e32 v[150:151], v[162:163], v[160:161]
	;; [unrolled: 18-line block ×6, first 2 shown]
	v_fma_f64 v[160:161], v[4:5], v[128:129], -v[130:131]
	ds_load_b128 v[4:7], v2 offset:1136
	s_wait_loadcnt_dscnt 0xa01
	v_mul_f64_e32 v[154:155], v[140:141], v[10:11]
	v_mul_f64_e32 v[10:11], v[142:143], v[10:11]
	scratch_load_b128 v[128:131], off, off offset:640
	v_add_f64_e32 v[152:153], v[152:153], v[158:159]
	s_wait_loadcnt_dscnt 0xa00
	v_mul_f64_e32 v[158:159], v[4:5], v[14:15]
	v_add_f64_e32 v[162:163], v[150:151], v[148:149]
	v_mul_f64_e32 v[14:15], v[6:7], v[14:15]
	ds_load_b128 v[148:151], v2 offset:1152
	v_fmac_f64_e32 v[154:155], v[142:143], v[8:9]
	v_fma_f64 v[8:9], v[140:141], v[8:9], -v[10:11]
	s_wait_loadcnt_dscnt 0x900
	v_mul_f64_e32 v[142:143], v[148:149], v[18:19]
	v_mul_f64_e32 v[18:19], v[150:151], v[18:19]
	v_add_f64_e32 v[140:141], v[152:153], v[156:157]
	v_fmac_f64_e32 v[158:159], v[6:7], v[12:13]
	v_add_f64_e32 v[10:11], v[162:163], v[160:161]
	v_fma_f64 v[12:13], v[4:5], v[12:13], -v[14:15]
	v_fmac_f64_e32 v[142:143], v[150:151], v[16:17]
	v_fma_f64 v[16:17], v[148:149], v[16:17], -v[18:19]
	v_add_f64_e32 v[140:141], v[140:141], v[154:155]
	v_add_f64_e32 v[14:15], v[10:11], v[8:9]
	ds_load_b128 v[4:7], v2 offset:1168
	ds_load_b128 v[8:11], v2 offset:1184
	s_wait_loadcnt_dscnt 0x801
	v_mul_f64_e32 v[152:153], v[4:5], v[22:23]
	v_mul_f64_e32 v[22:23], v[6:7], v[22:23]
	s_wait_loadcnt_dscnt 0x700
	v_mul_f64_e32 v[18:19], v[8:9], v[110:111]
	v_mul_f64_e32 v[110:111], v[10:11], v[110:111]
	v_add_f64_e32 v[12:13], v[14:15], v[12:13]
	v_add_f64_e32 v[14:15], v[140:141], v[158:159]
	v_fmac_f64_e32 v[152:153], v[6:7], v[20:21]
	v_fma_f64 v[20:21], v[4:5], v[20:21], -v[22:23]
	v_fmac_f64_e32 v[18:19], v[10:11], v[108:109]
	v_fma_f64 v[8:9], v[8:9], v[108:109], -v[110:111]
	v_add_f64_e32 v[16:17], v[12:13], v[16:17]
	v_add_f64_e32 v[22:23], v[14:15], v[142:143]
	ds_load_b128 v[4:7], v2 offset:1200
	ds_load_b128 v[12:15], v2 offset:1216
	s_wait_loadcnt_dscnt 0x601
	v_mul_f64_e32 v[140:141], v[4:5], v[114:115]
	v_mul_f64_e32 v[114:115], v[6:7], v[114:115]
	v_add_f64_e32 v[10:11], v[16:17], v[20:21]
	v_add_f64_e32 v[16:17], v[22:23], v[152:153]
	s_wait_loadcnt_dscnt 0x500
	v_mul_f64_e32 v[20:21], v[12:13], v[118:119]
	v_mul_f64_e32 v[22:23], v[14:15], v[118:119]
	v_fmac_f64_e32 v[140:141], v[6:7], v[112:113]
	v_fma_f64 v[108:109], v[4:5], v[112:113], -v[114:115]
	v_add_f64_e32 v[110:111], v[10:11], v[8:9]
	v_add_f64_e32 v[16:17], v[16:17], v[18:19]
	ds_load_b128 v[4:7], v2 offset:1232
	ds_load_b128 v[8:11], v2 offset:1248
	v_fmac_f64_e32 v[20:21], v[14:15], v[116:117]
	v_fma_f64 v[12:13], v[12:13], v[116:117], -v[22:23]
	s_wait_loadcnt_dscnt 0x401
	v_mul_f64_e32 v[18:19], v[4:5], v[122:123]
	v_mul_f64_e32 v[112:113], v[6:7], v[122:123]
	s_wait_loadcnt_dscnt 0x300
	v_mul_f64_e32 v[22:23], v[8:9], v[126:127]
	v_add_f64_e32 v[14:15], v[110:111], v[108:109]
	v_add_f64_e32 v[16:17], v[16:17], v[140:141]
	v_mul_f64_e32 v[108:109], v[10:11], v[126:127]
	v_fmac_f64_e32 v[18:19], v[6:7], v[120:121]
	v_fma_f64 v[110:111], v[4:5], v[120:121], -v[112:113]
	v_fmac_f64_e32 v[22:23], v[10:11], v[124:125]
	v_add_f64_e32 v[112:113], v[14:15], v[12:13]
	v_add_f64_e32 v[16:17], v[16:17], v[20:21]
	ds_load_b128 v[4:7], v2 offset:1264
	ds_load_b128 v[12:15], v2 offset:1280
	v_fma_f64 v[8:9], v[8:9], v[124:125], -v[108:109]
	s_wait_loadcnt_dscnt 0x201
	v_mul_f64_e32 v[20:21], v[4:5], v[134:135]
	v_mul_f64_e32 v[114:115], v[6:7], v[134:135]
	s_wait_loadcnt_dscnt 0x100
	v_mul_f64_e32 v[108:109], v[14:15], v[146:147]
	v_add_f64_e32 v[10:11], v[112:113], v[110:111]
	v_add_f64_e32 v[16:17], v[16:17], v[18:19]
	v_mul_f64_e32 v[18:19], v[12:13], v[146:147]
	v_fmac_f64_e32 v[20:21], v[6:7], v[132:133]
	v_fma_f64 v[110:111], v[4:5], v[132:133], -v[114:115]
	ds_load_b128 v[4:7], v2 offset:1296
	v_fma_f64 v[12:13], v[12:13], v[144:145], -v[108:109]
	v_add_f64_e32 v[8:9], v[10:11], v[8:9]
	v_add_f64_e32 v[10:11], v[16:17], v[22:23]
	v_fmac_f64_e32 v[18:19], v[14:15], v[144:145]
	s_wait_loadcnt_dscnt 0x0
	v_mul_f64_e32 v[16:17], v[4:5], v[130:131]
	v_mul_f64_e32 v[22:23], v[6:7], v[130:131]
	v_add_f64_e32 v[8:9], v[8:9], v[110:111]
	v_add_f64_e32 v[10:11], v[10:11], v[20:21]
	s_delay_alu instid0(VALU_DEP_4) | instskip(NEXT) | instid1(VALU_DEP_4)
	v_fmac_f64_e32 v[16:17], v[6:7], v[128:129]
	v_fma_f64 v[4:5], v[4:5], v[128:129], -v[22:23]
	s_delay_alu instid0(VALU_DEP_4) | instskip(NEXT) | instid1(VALU_DEP_4)
	v_add_f64_e32 v[6:7], v[8:9], v[12:13]
	v_add_f64_e32 v[8:9], v[10:11], v[18:19]
	s_delay_alu instid0(VALU_DEP_2) | instskip(NEXT) | instid1(VALU_DEP_2)
	v_add_f64_e32 v[4:5], v[6:7], v[4:5]
	v_add_f64_e32 v[6:7], v[8:9], v[16:17]
	s_delay_alu instid0(VALU_DEP_2) | instskip(NEXT) | instid1(VALU_DEP_2)
	v_add_f64_e64 v[4:5], v[136:137], -v[4:5]
	v_add_f64_e64 v[6:7], v[138:139], -v[6:7]
	scratch_store_b128 off, v[4:7], off offset:48
	s_wait_xcnt 0x0
	v_cmpx_lt_u32_e32 2, v1
	s_cbranch_execz .LBB104_255
; %bb.254:
	scratch_load_b128 v[6:9], off, s16
	v_dual_mov_b32 v3, v2 :: v_dual_mov_b32 v4, v2
	v_mov_b32_e32 v5, v2
	scratch_store_b128 off, v[2:5], off offset:32
	s_wait_loadcnt 0x0
	ds_store_b128 v106, v[6:9]
.LBB104_255:
	s_wait_xcnt 0x0
	s_or_b32 exec_lo, exec_lo, s2
	s_wait_storecnt_dscnt 0x0
	s_barrier_signal -1
	s_barrier_wait -1
	s_clause 0x9
	scratch_load_b128 v[4:7], off, off offset:48
	scratch_load_b128 v[8:11], off, off offset:64
	;; [unrolled: 1-line block ×10, first 2 shown]
	ds_load_b128 v[128:131], v2 offset:704
	ds_load_b128 v[136:139], v2 offset:720
	s_clause 0x2
	scratch_load_b128 v[132:135], off, off offset:208
	scratch_load_b128 v[140:143], off, off offset:32
	;; [unrolled: 1-line block ×3, first 2 shown]
	s_mov_b32 s2, exec_lo
	v_ashrrev_i32_e32 v29, 31, v28
	v_ashrrev_i32_e32 v33, 31, v32
	v_ashrrev_i32_e32 v37, 31, v36
	v_dual_ashrrev_i32 v41, 31, v40 :: v_dual_ashrrev_i32 v31, 31, v30
	v_dual_ashrrev_i32 v35, 31, v34 :: v_dual_ashrrev_i32 v45, 31, v44
	v_dual_ashrrev_i32 v49, 31, v48 :: v_dual_ashrrev_i32 v39, 31, v38
	v_dual_ashrrev_i32 v43, 31, v42 :: v_dual_ashrrev_i32 v53, 31, v52
	v_dual_ashrrev_i32 v57, 31, v56 :: v_dual_ashrrev_i32 v47, 31, v46
	v_dual_ashrrev_i32 v51, 31, v50 :: v_dual_ashrrev_i32 v61, 31, v60
	v_dual_ashrrev_i32 v55, 31, v54 :: v_dual_ashrrev_i32 v65, 31, v64
	v_dual_ashrrev_i32 v69, 31, v68 :: v_dual_ashrrev_i32 v59, 31, v58
	v_ashrrev_i32_e32 v73, 31, v72
	v_ashrrev_i32_e32 v77, 31, v76
	v_dual_ashrrev_i32 v81, 31, v80 :: v_dual_ashrrev_i32 v63, 31, v62
	v_ashrrev_i32_e32 v67, 31, v66
	v_ashrrev_i32_e32 v71, 31, v70
	v_dual_ashrrev_i32 v75, 31, v74 :: v_dual_ashrrev_i32 v85, 31, v84
	v_dual_ashrrev_i32 v89, 31, v88 :: v_dual_ashrrev_i32 v79, 31, v78
	;; [unrolled: 1-line block ×3, first 2 shown]
	v_ashrrev_i32_e32 v97, 31, v96
	v_dual_ashrrev_i32 v101, 31, v100 :: v_dual_ashrrev_i32 v87, 31, v86
	v_dual_ashrrev_i32 v105, 31, v104 :: v_dual_ashrrev_i32 v91, 31, v90
	v_ashrrev_i32_e32 v95, 31, v94
	v_ashrrev_i32_e32 v99, 31, v98
	;; [unrolled: 1-line block ×3, first 2 shown]
	s_wait_loadcnt_dscnt 0xc01
	v_mul_f64_e32 v[148:149], v[130:131], v[6:7]
	v_mul_f64_e32 v[152:153], v[128:129], v[6:7]
	s_wait_loadcnt_dscnt 0xb00
	v_mul_f64_e32 v[154:155], v[136:137], v[10:11]
	v_mul_f64_e32 v[10:11], v[138:139], v[10:11]
	s_delay_alu instid0(VALU_DEP_4) | instskip(NEXT) | instid1(VALU_DEP_4)
	v_fma_f64 v[156:157], v[128:129], v[4:5], -v[148:149]
	v_fmac_f64_e32 v[152:153], v[130:131], v[4:5]
	ds_load_b128 v[4:7], v2 offset:736
	ds_load_b128 v[148:151], v2 offset:752
	scratch_load_b128 v[128:131], off, off offset:240
	v_fmac_f64_e32 v[154:155], v[138:139], v[8:9]
	v_fma_f64 v[136:137], v[136:137], v[8:9], -v[10:11]
	scratch_load_b128 v[8:11], off, off offset:256
	s_wait_loadcnt_dscnt 0xc01
	v_mul_f64_e32 v[158:159], v[4:5], v[14:15]
	v_mul_f64_e32 v[14:15], v[6:7], v[14:15]
	v_add_f64_e32 v[138:139], 0, v[156:157]
	v_add_f64_e32 v[152:153], 0, v[152:153]
	s_wait_loadcnt_dscnt 0xb00
	v_mul_f64_e32 v[156:157], v[148:149], v[18:19]
	v_mul_f64_e32 v[18:19], v[150:151], v[18:19]
	v_fmac_f64_e32 v[158:159], v[6:7], v[12:13]
	v_fma_f64 v[160:161], v[4:5], v[12:13], -v[14:15]
	ds_load_b128 v[4:7], v2 offset:768
	scratch_load_b128 v[12:15], off, off offset:272
	v_add_f64_e32 v[162:163], v[138:139], v[136:137]
	v_add_f64_e32 v[152:153], v[152:153], v[154:155]
	ds_load_b128 v[136:139], v2 offset:784
	v_fmac_f64_e32 v[156:157], v[150:151], v[16:17]
	v_fma_f64 v[148:149], v[148:149], v[16:17], -v[18:19]
	scratch_load_b128 v[16:19], off, off offset:288
	s_wait_loadcnt_dscnt 0xc01
	v_mul_f64_e32 v[154:155], v[4:5], v[22:23]
	v_mul_f64_e32 v[22:23], v[6:7], v[22:23]
	v_add_f64_e32 v[150:151], v[162:163], v[160:161]
	v_add_f64_e32 v[152:153], v[152:153], v[158:159]
	s_wait_loadcnt_dscnt 0xb00
	v_mul_f64_e32 v[158:159], v[136:137], v[110:111]
	v_mul_f64_e32 v[110:111], v[138:139], v[110:111]
	v_fmac_f64_e32 v[154:155], v[6:7], v[20:21]
	v_fma_f64 v[160:161], v[4:5], v[20:21], -v[22:23]
	ds_load_b128 v[4:7], v2 offset:800
	scratch_load_b128 v[20:23], off, off offset:304
	v_add_f64_e32 v[162:163], v[150:151], v[148:149]
	v_add_f64_e32 v[152:153], v[152:153], v[156:157]
	ds_load_b128 v[148:151], v2 offset:816
	s_wait_loadcnt_dscnt 0xb01
	v_mul_f64_e32 v[156:157], v[4:5], v[114:115]
	v_mul_f64_e32 v[114:115], v[6:7], v[114:115]
	v_fmac_f64_e32 v[158:159], v[138:139], v[108:109]
	v_fma_f64 v[136:137], v[136:137], v[108:109], -v[110:111]
	scratch_load_b128 v[108:111], off, off offset:320
	v_add_f64_e32 v[138:139], v[162:163], v[160:161]
	v_add_f64_e32 v[152:153], v[152:153], v[154:155]
	s_wait_loadcnt_dscnt 0xb00
	v_mul_f64_e32 v[154:155], v[148:149], v[118:119]
	v_mul_f64_e32 v[118:119], v[150:151], v[118:119]
	v_fmac_f64_e32 v[156:157], v[6:7], v[112:113]
	v_fma_f64 v[160:161], v[4:5], v[112:113], -v[114:115]
	ds_load_b128 v[4:7], v2 offset:832
	scratch_load_b128 v[112:115], off, off offset:336
	v_add_f64_e32 v[162:163], v[138:139], v[136:137]
	v_add_f64_e32 v[152:153], v[152:153], v[158:159]
	ds_load_b128 v[136:139], v2 offset:848
	s_wait_loadcnt_dscnt 0xb01
	v_mul_f64_e32 v[158:159], v[4:5], v[122:123]
	v_mul_f64_e32 v[122:123], v[6:7], v[122:123]
	v_fmac_f64_e32 v[154:155], v[150:151], v[116:117]
	v_fma_f64 v[148:149], v[148:149], v[116:117], -v[118:119]
	scratch_load_b128 v[116:119], off, off offset:352
	;; [unrolled: 18-line block ×3, first 2 shown]
	v_add_f64_e32 v[138:139], v[162:163], v[160:161]
	v_add_f64_e32 v[152:153], v[152:153], v[158:159]
	s_wait_loadcnt_dscnt 0xa00
	v_mul_f64_e32 v[158:159], v[148:149], v[146:147]
	v_mul_f64_e32 v[146:147], v[150:151], v[146:147]
	v_fmac_f64_e32 v[154:155], v[6:7], v[132:133]
	v_fma_f64 v[160:161], v[4:5], v[132:133], -v[134:135]
	ds_load_b128 v[4:7], v2 offset:896
	scratch_load_b128 v[132:135], off, off offset:400
	v_add_f64_e32 v[162:163], v[138:139], v[136:137]
	v_add_f64_e32 v[152:153], v[152:153], v[156:157]
	ds_load_b128 v[136:139], v2 offset:912
	v_fmac_f64_e32 v[158:159], v[150:151], v[144:145]
	s_wait_loadcnt_dscnt 0xa01
	v_mul_f64_e32 v[156:157], v[4:5], v[130:131]
	v_mul_f64_e32 v[130:131], v[6:7], v[130:131]
	v_fma_f64 v[148:149], v[148:149], v[144:145], -v[146:147]
	scratch_load_b128 v[144:147], off, off offset:416
	v_add_f64_e32 v[150:151], v[162:163], v[160:161]
	v_add_f64_e32 v[152:153], v[152:153], v[154:155]
	s_wait_loadcnt_dscnt 0xa00
	v_mul_f64_e32 v[154:155], v[136:137], v[10:11]
	v_mul_f64_e32 v[10:11], v[138:139], v[10:11]
	v_fmac_f64_e32 v[156:157], v[6:7], v[128:129]
	v_fma_f64 v[160:161], v[4:5], v[128:129], -v[130:131]
	ds_load_b128 v[4:7], v2 offset:928
	scratch_load_b128 v[128:131], off, off offset:432
	v_add_f64_e32 v[162:163], v[150:151], v[148:149]
	v_add_f64_e32 v[152:153], v[152:153], v[158:159]
	ds_load_b128 v[148:151], v2 offset:944
	s_wait_loadcnt_dscnt 0xa01
	v_mul_f64_e32 v[158:159], v[4:5], v[14:15]
	v_mul_f64_e32 v[14:15], v[6:7], v[14:15]
	v_fmac_f64_e32 v[154:155], v[138:139], v[8:9]
	v_fma_f64 v[136:137], v[136:137], v[8:9], -v[10:11]
	scratch_load_b128 v[8:11], off, off offset:448
	v_add_f64_e32 v[138:139], v[162:163], v[160:161]
	v_add_f64_e32 v[152:153], v[152:153], v[156:157]
	s_wait_loadcnt_dscnt 0xa00
	v_mul_f64_e32 v[156:157], v[148:149], v[18:19]
	v_mul_f64_e32 v[18:19], v[150:151], v[18:19]
	v_fmac_f64_e32 v[158:159], v[6:7], v[12:13]
	v_fma_f64 v[160:161], v[4:5], v[12:13], -v[14:15]
	ds_load_b128 v[4:7], v2 offset:960
	scratch_load_b128 v[12:15], off, off offset:464
	v_add_f64_e32 v[162:163], v[138:139], v[136:137]
	v_add_f64_e32 v[152:153], v[152:153], v[154:155]
	ds_load_b128 v[136:139], v2 offset:976
	s_wait_loadcnt_dscnt 0xa01
	v_mul_f64_e32 v[154:155], v[4:5], v[22:23]
	v_mul_f64_e32 v[22:23], v[6:7], v[22:23]
	v_fmac_f64_e32 v[156:157], v[150:151], v[16:17]
	v_fma_f64 v[148:149], v[148:149], v[16:17], -v[18:19]
	scratch_load_b128 v[16:19], off, off offset:480
	v_add_f64_e32 v[150:151], v[162:163], v[160:161]
	v_add_f64_e32 v[152:153], v[152:153], v[158:159]
	s_wait_loadcnt_dscnt 0xa00
	v_mul_f64_e32 v[158:159], v[136:137], v[110:111]
	v_mul_f64_e32 v[110:111], v[138:139], v[110:111]
	v_fmac_f64_e32 v[154:155], v[6:7], v[20:21]
	v_fma_f64 v[160:161], v[4:5], v[20:21], -v[22:23]
	ds_load_b128 v[4:7], v2 offset:992
	scratch_load_b128 v[20:23], off, off offset:496
	v_add_f64_e32 v[162:163], v[150:151], v[148:149]
	v_add_f64_e32 v[152:153], v[152:153], v[156:157]
	ds_load_b128 v[148:151], v2 offset:1008
	s_wait_loadcnt_dscnt 0xa01
	v_mul_f64_e32 v[156:157], v[4:5], v[114:115]
	v_mul_f64_e32 v[114:115], v[6:7], v[114:115]
	v_fmac_f64_e32 v[158:159], v[138:139], v[108:109]
	v_fma_f64 v[136:137], v[136:137], v[108:109], -v[110:111]
	scratch_load_b128 v[108:111], off, off offset:512
	v_add_f64_e32 v[138:139], v[162:163], v[160:161]
	v_add_f64_e32 v[152:153], v[152:153], v[154:155]
	s_wait_loadcnt_dscnt 0xa00
	v_mul_f64_e32 v[154:155], v[148:149], v[118:119]
	v_mul_f64_e32 v[118:119], v[150:151], v[118:119]
	v_fmac_f64_e32 v[156:157], v[6:7], v[112:113]
	v_fma_f64 v[160:161], v[4:5], v[112:113], -v[114:115]
	ds_load_b128 v[4:7], v2 offset:1024
	scratch_load_b128 v[112:115], off, off offset:528
	v_add_f64_e32 v[162:163], v[138:139], v[136:137]
	v_add_f64_e32 v[152:153], v[152:153], v[158:159]
	ds_load_b128 v[136:139], v2 offset:1040
	s_wait_loadcnt_dscnt 0xa01
	v_mul_f64_e32 v[158:159], v[4:5], v[122:123]
	v_mul_f64_e32 v[122:123], v[6:7], v[122:123]
	v_fmac_f64_e32 v[154:155], v[150:151], v[116:117]
	v_fma_f64 v[148:149], v[148:149], v[116:117], -v[118:119]
	scratch_load_b128 v[116:119], off, off offset:544
	v_add_f64_e32 v[150:151], v[162:163], v[160:161]
	v_add_f64_e32 v[152:153], v[152:153], v[156:157]
	s_wait_loadcnt_dscnt 0xa00
	v_mul_f64_e32 v[156:157], v[136:137], v[126:127]
	v_mul_f64_e32 v[126:127], v[138:139], v[126:127]
	v_fmac_f64_e32 v[158:159], v[6:7], v[120:121]
	v_fma_f64 v[160:161], v[4:5], v[120:121], -v[122:123]
	ds_load_b128 v[4:7], v2 offset:1056
	scratch_load_b128 v[120:123], off, off offset:560
	v_add_f64_e32 v[162:163], v[150:151], v[148:149]
	v_add_f64_e32 v[152:153], v[152:153], v[154:155]
	ds_load_b128 v[148:151], v2 offset:1072
	s_wait_loadcnt_dscnt 0xa01
	v_mul_f64_e32 v[154:155], v[4:5], v[134:135]
	v_mul_f64_e32 v[134:135], v[6:7], v[134:135]
	v_fmac_f64_e32 v[156:157], v[138:139], v[124:125]
	v_fma_f64 v[136:137], v[136:137], v[124:125], -v[126:127]
	scratch_load_b128 v[124:127], off, off offset:576
	v_add_f64_e32 v[138:139], v[162:163], v[160:161]
	v_add_f64_e32 v[152:153], v[152:153], v[158:159]
	s_wait_loadcnt_dscnt 0xa00
	v_mul_f64_e32 v[158:159], v[148:149], v[146:147]
	v_mul_f64_e32 v[146:147], v[150:151], v[146:147]
	v_fmac_f64_e32 v[154:155], v[6:7], v[132:133]
	v_fma_f64 v[160:161], v[4:5], v[132:133], -v[134:135]
	ds_load_b128 v[4:7], v2 offset:1088
	scratch_load_b128 v[132:135], off, off offset:592
	v_add_f64_e32 v[162:163], v[138:139], v[136:137]
	v_add_f64_e32 v[152:153], v[152:153], v[156:157]
	ds_load_b128 v[136:139], v2 offset:1104
	s_wait_loadcnt_dscnt 0xa01
	v_mul_f64_e32 v[156:157], v[4:5], v[130:131]
	v_mul_f64_e32 v[130:131], v[6:7], v[130:131]
	v_fmac_f64_e32 v[158:159], v[150:151], v[144:145]
	v_fma_f64 v[148:149], v[148:149], v[144:145], -v[146:147]
	scratch_load_b128 v[144:147], off, off offset:608
	v_add_f64_e32 v[150:151], v[162:163], v[160:161]
	v_add_f64_e32 v[152:153], v[152:153], v[154:155]
	s_wait_loadcnt_dscnt 0xa00
	v_mul_f64_e32 v[154:155], v[136:137], v[10:11]
	v_mul_f64_e32 v[10:11], v[138:139], v[10:11]
	v_fmac_f64_e32 v[156:157], v[6:7], v[128:129]
	v_fma_f64 v[160:161], v[4:5], v[128:129], -v[130:131]
	ds_load_b128 v[4:7], v2 offset:1120
	scratch_load_b128 v[128:131], off, off offset:624
	v_add_f64_e32 v[162:163], v[150:151], v[148:149]
	v_add_f64_e32 v[152:153], v[152:153], v[158:159]
	ds_load_b128 v[148:151], v2 offset:1136
	s_wait_loadcnt_dscnt 0xa01
	v_mul_f64_e32 v[158:159], v[4:5], v[14:15]
	v_mul_f64_e32 v[14:15], v[6:7], v[14:15]
	v_fmac_f64_e32 v[154:155], v[138:139], v[8:9]
	v_fma_f64 v[136:137], v[136:137], v[8:9], -v[10:11]
	scratch_load_b128 v[8:11], off, off offset:640
	v_add_f64_e32 v[138:139], v[162:163], v[160:161]
	v_add_f64_e32 v[152:153], v[152:153], v[156:157]
	s_wait_loadcnt_dscnt 0xa00
	v_mul_f64_e32 v[156:157], v[148:149], v[18:19]
	v_mul_f64_e32 v[18:19], v[150:151], v[18:19]
	v_fmac_f64_e32 v[158:159], v[6:7], v[12:13]
	v_fma_f64 v[160:161], v[4:5], v[12:13], -v[14:15]
	ds_load_b128 v[4:7], v2 offset:1152
	ds_load_b128 v[12:15], v2 offset:1168
	v_add_f64_e32 v[136:137], v[138:139], v[136:137]
	v_add_f64_e32 v[138:139], v[152:153], v[154:155]
	s_wait_loadcnt_dscnt 0x901
	v_mul_f64_e32 v[152:153], v[4:5], v[22:23]
	v_mul_f64_e32 v[22:23], v[6:7], v[22:23]
	v_fmac_f64_e32 v[156:157], v[150:151], v[16:17]
	v_fma_f64 v[16:17], v[148:149], v[16:17], -v[18:19]
	v_add_f64_e32 v[18:19], v[136:137], v[160:161]
	v_add_f64_e32 v[136:137], v[138:139], v[158:159]
	s_wait_loadcnt_dscnt 0x800
	v_mul_f64_e32 v[138:139], v[12:13], v[110:111]
	v_mul_f64_e32 v[110:111], v[14:15], v[110:111]
	v_fmac_f64_e32 v[152:153], v[6:7], v[20:21]
	v_fma_f64 v[20:21], v[4:5], v[20:21], -v[22:23]
	v_add_f64_e32 v[22:23], v[18:19], v[16:17]
	v_add_f64_e32 v[136:137], v[136:137], v[156:157]
	ds_load_b128 v[4:7], v2 offset:1184
	ds_load_b128 v[16:19], v2 offset:1200
	v_fmac_f64_e32 v[138:139], v[14:15], v[108:109]
	v_fma_f64 v[12:13], v[12:13], v[108:109], -v[110:111]
	s_wait_loadcnt_dscnt 0x701
	v_mul_f64_e32 v[148:149], v[4:5], v[114:115]
	v_mul_f64_e32 v[114:115], v[6:7], v[114:115]
	s_wait_loadcnt_dscnt 0x600
	v_mul_f64_e32 v[108:109], v[18:19], v[118:119]
	v_add_f64_e32 v[14:15], v[22:23], v[20:21]
	v_add_f64_e32 v[20:21], v[136:137], v[152:153]
	v_mul_f64_e32 v[22:23], v[16:17], v[118:119]
	v_fmac_f64_e32 v[148:149], v[6:7], v[112:113]
	v_fma_f64 v[110:111], v[4:5], v[112:113], -v[114:115]
	v_fma_f64 v[16:17], v[16:17], v[116:117], -v[108:109]
	v_add_f64_e32 v[112:113], v[14:15], v[12:13]
	v_add_f64_e32 v[20:21], v[20:21], v[138:139]
	ds_load_b128 v[4:7], v2 offset:1216
	ds_load_b128 v[12:15], v2 offset:1232
	v_fmac_f64_e32 v[22:23], v[18:19], v[116:117]
	s_wait_loadcnt_dscnt 0x501
	v_mul_f64_e32 v[114:115], v[4:5], v[122:123]
	v_mul_f64_e32 v[118:119], v[6:7], v[122:123]
	s_wait_loadcnt_dscnt 0x400
	v_mul_f64_e32 v[108:109], v[12:13], v[126:127]
	v_add_f64_e32 v[18:19], v[112:113], v[110:111]
	v_add_f64_e32 v[20:21], v[20:21], v[148:149]
	v_mul_f64_e32 v[110:111], v[14:15], v[126:127]
	v_fmac_f64_e32 v[114:115], v[6:7], v[120:121]
	v_fma_f64 v[112:113], v[4:5], v[120:121], -v[118:119]
	v_fmac_f64_e32 v[108:109], v[14:15], v[124:125]
	v_add_f64_e32 v[116:117], v[18:19], v[16:17]
	v_add_f64_e32 v[20:21], v[20:21], v[22:23]
	ds_load_b128 v[4:7], v2 offset:1248
	ds_load_b128 v[16:19], v2 offset:1264
	v_fma_f64 v[12:13], v[12:13], v[124:125], -v[110:111]
	s_wait_loadcnt_dscnt 0x301
	v_mul_f64_e32 v[22:23], v[4:5], v[134:135]
	v_mul_f64_e32 v[118:119], v[6:7], v[134:135]
	s_wait_loadcnt_dscnt 0x200
	v_mul_f64_e32 v[110:111], v[16:17], v[146:147]
	v_add_f64_e32 v[14:15], v[116:117], v[112:113]
	v_add_f64_e32 v[20:21], v[20:21], v[114:115]
	v_mul_f64_e32 v[112:113], v[18:19], v[146:147]
	v_fmac_f64_e32 v[22:23], v[6:7], v[132:133]
	v_fma_f64 v[114:115], v[4:5], v[132:133], -v[118:119]
	v_fmac_f64_e32 v[110:111], v[18:19], v[144:145]
	v_add_f64_e32 v[116:117], v[14:15], v[12:13]
	v_add_f64_e32 v[20:21], v[20:21], v[108:109]
	ds_load_b128 v[4:7], v2 offset:1280
	ds_load_b128 v[12:15], v2 offset:1296
	v_fma_f64 v[16:17], v[16:17], v[144:145], -v[112:113]
	s_wait_loadcnt_dscnt 0x101
	v_mul_f64_e32 v[2:3], v[4:5], v[130:131]
	v_mul_f64_e32 v[108:109], v[6:7], v[130:131]
	v_add_f64_e32 v[18:19], v[116:117], v[114:115]
	v_add_f64_e32 v[20:21], v[20:21], v[22:23]
	s_wait_loadcnt_dscnt 0x0
	v_mul_f64_e32 v[22:23], v[12:13], v[10:11]
	v_mul_f64_e32 v[10:11], v[14:15], v[10:11]
	v_fmac_f64_e32 v[2:3], v[6:7], v[128:129]
	v_fma_f64 v[4:5], v[4:5], v[128:129], -v[108:109]
	v_add_f64_e32 v[6:7], v[18:19], v[16:17]
	v_add_f64_e32 v[16:17], v[20:21], v[110:111]
	v_fmac_f64_e32 v[22:23], v[14:15], v[8:9]
	v_fma_f64 v[8:9], v[12:13], v[8:9], -v[10:11]
	s_delay_alu instid0(VALU_DEP_4) | instskip(NEXT) | instid1(VALU_DEP_4)
	v_add_f64_e32 v[4:5], v[6:7], v[4:5]
	v_add_f64_e32 v[2:3], v[16:17], v[2:3]
	s_delay_alu instid0(VALU_DEP_2) | instskip(NEXT) | instid1(VALU_DEP_2)
	v_add_f64_e32 v[4:5], v[4:5], v[8:9]
	v_add_f64_e32 v[6:7], v[2:3], v[22:23]
	s_delay_alu instid0(VALU_DEP_2) | instskip(NEXT) | instid1(VALU_DEP_2)
	v_add_f64_e64 v[2:3], v[140:141], -v[4:5]
	v_add_f64_e64 v[4:5], v[142:143], -v[6:7]
	scratch_store_b128 off, v[2:5], off offset:32
	s_wait_xcnt 0x0
	v_cmpx_lt_u32_e32 1, v1
	s_cbranch_execz .LBB104_257
; %bb.256:
	scratch_load_b128 v[2:5], off, s18
	v_mov_b32_e32 v6, 0
	s_delay_alu instid0(VALU_DEP_1)
	v_dual_mov_b32 v7, v6 :: v_dual_mov_b32 v8, v6
	v_mov_b32_e32 v9, v6
	scratch_store_b128 off, v[6:9], off offset:16
	s_wait_loadcnt 0x0
	ds_store_b128 v106, v[2:5]
.LBB104_257:
	s_wait_xcnt 0x0
	s_or_b32 exec_lo, exec_lo, s2
	s_wait_storecnt_dscnt 0x0
	s_barrier_signal -1
	s_barrier_wait -1
	s_clause 0x9
	scratch_load_b128 v[4:7], off, off offset:32
	scratch_load_b128 v[8:11], off, off offset:48
	;; [unrolled: 1-line block ×10, first 2 shown]
	v_mov_b32_e32 v2, 0
	s_mov_b32 s2, exec_lo
	ds_load_b128 v[128:131], v2 offset:688
	s_clause 0x2
	scratch_load_b128 v[132:135], off, off offset:192
	scratch_load_b128 v[136:139], off, off offset:16
	;; [unrolled: 1-line block ×3, first 2 shown]
	s_wait_loadcnt_dscnt 0xc00
	v_mul_f64_e32 v[148:149], v[130:131], v[6:7]
	v_mul_f64_e32 v[152:153], v[128:129], v[6:7]
	ds_load_b128 v[140:143], v2 offset:704
	v_fma_f64 v[156:157], v[128:129], v[4:5], -v[148:149]
	v_fmac_f64_e32 v[152:153], v[130:131], v[4:5]
	ds_load_b128 v[4:7], v2 offset:720
	s_wait_loadcnt_dscnt 0xb01
	v_mul_f64_e32 v[154:155], v[140:141], v[10:11]
	v_mul_f64_e32 v[10:11], v[142:143], v[10:11]
	scratch_load_b128 v[128:131], off, off offset:224
	ds_load_b128 v[148:151], v2 offset:736
	s_wait_loadcnt_dscnt 0xb01
	v_mul_f64_e32 v[158:159], v[4:5], v[14:15]
	v_mul_f64_e32 v[14:15], v[6:7], v[14:15]
	v_add_f64_e32 v[152:153], 0, v[152:153]
	v_fmac_f64_e32 v[154:155], v[142:143], v[8:9]
	v_fma_f64 v[140:141], v[140:141], v[8:9], -v[10:11]
	v_add_f64_e32 v[142:143], 0, v[156:157]
	scratch_load_b128 v[8:11], off, off offset:240
	v_fmac_f64_e32 v[158:159], v[6:7], v[12:13]
	v_fma_f64 v[160:161], v[4:5], v[12:13], -v[14:15]
	ds_load_b128 v[4:7], v2 offset:752
	s_wait_loadcnt_dscnt 0xb01
	v_mul_f64_e32 v[156:157], v[148:149], v[18:19]
	v_mul_f64_e32 v[18:19], v[150:151], v[18:19]
	scratch_load_b128 v[12:15], off, off offset:256
	v_add_f64_e32 v[152:153], v[152:153], v[154:155]
	v_add_f64_e32 v[162:163], v[142:143], v[140:141]
	ds_load_b128 v[140:143], v2 offset:768
	s_wait_loadcnt_dscnt 0xb01
	v_mul_f64_e32 v[154:155], v[4:5], v[22:23]
	v_mul_f64_e32 v[22:23], v[6:7], v[22:23]
	v_fmac_f64_e32 v[156:157], v[150:151], v[16:17]
	v_fma_f64 v[148:149], v[148:149], v[16:17], -v[18:19]
	scratch_load_b128 v[16:19], off, off offset:272
	v_add_f64_e32 v[152:153], v[152:153], v[158:159]
	v_add_f64_e32 v[150:151], v[162:163], v[160:161]
	v_fmac_f64_e32 v[154:155], v[6:7], v[20:21]
	v_fma_f64 v[160:161], v[4:5], v[20:21], -v[22:23]
	ds_load_b128 v[4:7], v2 offset:784
	s_wait_loadcnt_dscnt 0xb01
	v_mul_f64_e32 v[158:159], v[140:141], v[110:111]
	v_mul_f64_e32 v[110:111], v[142:143], v[110:111]
	scratch_load_b128 v[20:23], off, off offset:288
	v_add_f64_e32 v[152:153], v[152:153], v[156:157]
	s_wait_loadcnt_dscnt 0xb00
	v_mul_f64_e32 v[156:157], v[4:5], v[114:115]
	v_add_f64_e32 v[162:163], v[150:151], v[148:149]
	v_mul_f64_e32 v[114:115], v[6:7], v[114:115]
	ds_load_b128 v[148:151], v2 offset:800
	v_fmac_f64_e32 v[158:159], v[142:143], v[108:109]
	v_fma_f64 v[140:141], v[140:141], v[108:109], -v[110:111]
	scratch_load_b128 v[108:111], off, off offset:304
	v_add_f64_e32 v[152:153], v[152:153], v[154:155]
	v_fmac_f64_e32 v[156:157], v[6:7], v[112:113]
	v_add_f64_e32 v[142:143], v[162:163], v[160:161]
	v_fma_f64 v[160:161], v[4:5], v[112:113], -v[114:115]
	ds_load_b128 v[4:7], v2 offset:816
	s_wait_loadcnt_dscnt 0xb01
	v_mul_f64_e32 v[154:155], v[148:149], v[118:119]
	v_mul_f64_e32 v[118:119], v[150:151], v[118:119]
	scratch_load_b128 v[112:115], off, off offset:320
	v_add_f64_e32 v[152:153], v[152:153], v[158:159]
	s_wait_loadcnt_dscnt 0xb00
	v_mul_f64_e32 v[158:159], v[4:5], v[122:123]
	v_add_f64_e32 v[162:163], v[142:143], v[140:141]
	v_mul_f64_e32 v[122:123], v[6:7], v[122:123]
	ds_load_b128 v[140:143], v2 offset:832
	v_fmac_f64_e32 v[154:155], v[150:151], v[116:117]
	v_fma_f64 v[148:149], v[148:149], v[116:117], -v[118:119]
	scratch_load_b128 v[116:119], off, off offset:336
	v_add_f64_e32 v[152:153], v[152:153], v[156:157]
	v_fmac_f64_e32 v[158:159], v[6:7], v[120:121]
	v_add_f64_e32 v[150:151], v[162:163], v[160:161]
	;; [unrolled: 18-line block ×3, first 2 shown]
	v_fma_f64 v[160:161], v[4:5], v[132:133], -v[134:135]
	ds_load_b128 v[4:7], v2 offset:880
	s_wait_loadcnt_dscnt 0xa01
	v_mul_f64_e32 v[158:159], v[148:149], v[146:147]
	v_mul_f64_e32 v[146:147], v[150:151], v[146:147]
	scratch_load_b128 v[132:135], off, off offset:384
	v_add_f64_e32 v[152:153], v[152:153], v[156:157]
	v_add_f64_e32 v[162:163], v[142:143], v[140:141]
	s_wait_loadcnt_dscnt 0xa00
	v_mul_f64_e32 v[156:157], v[4:5], v[130:131]
	v_mul_f64_e32 v[130:131], v[6:7], v[130:131]
	v_fmac_f64_e32 v[158:159], v[150:151], v[144:145]
	v_fma_f64 v[148:149], v[148:149], v[144:145], -v[146:147]
	ds_load_b128 v[140:143], v2 offset:896
	scratch_load_b128 v[144:147], off, off offset:400
	v_add_f64_e32 v[152:153], v[152:153], v[154:155]
	v_add_f64_e32 v[150:151], v[162:163], v[160:161]
	v_fmac_f64_e32 v[156:157], v[6:7], v[128:129]
	v_fma_f64 v[160:161], v[4:5], v[128:129], -v[130:131]
	ds_load_b128 v[4:7], v2 offset:912
	s_wait_loadcnt_dscnt 0xa01
	v_mul_f64_e32 v[154:155], v[140:141], v[10:11]
	v_mul_f64_e32 v[10:11], v[142:143], v[10:11]
	scratch_load_b128 v[128:131], off, off offset:416
	v_add_f64_e32 v[152:153], v[152:153], v[158:159]
	s_wait_loadcnt_dscnt 0xa00
	v_mul_f64_e32 v[158:159], v[4:5], v[14:15]
	v_add_f64_e32 v[162:163], v[150:151], v[148:149]
	v_mul_f64_e32 v[14:15], v[6:7], v[14:15]
	ds_load_b128 v[148:151], v2 offset:928
	v_fmac_f64_e32 v[154:155], v[142:143], v[8:9]
	v_fma_f64 v[140:141], v[140:141], v[8:9], -v[10:11]
	scratch_load_b128 v[8:11], off, off offset:432
	v_add_f64_e32 v[152:153], v[152:153], v[156:157]
	v_fmac_f64_e32 v[158:159], v[6:7], v[12:13]
	v_add_f64_e32 v[142:143], v[162:163], v[160:161]
	v_fma_f64 v[160:161], v[4:5], v[12:13], -v[14:15]
	ds_load_b128 v[4:7], v2 offset:944
	s_wait_loadcnt_dscnt 0xa01
	v_mul_f64_e32 v[156:157], v[148:149], v[18:19]
	v_mul_f64_e32 v[18:19], v[150:151], v[18:19]
	scratch_load_b128 v[12:15], off, off offset:448
	v_add_f64_e32 v[152:153], v[152:153], v[154:155]
	s_wait_loadcnt_dscnt 0xa00
	v_mul_f64_e32 v[154:155], v[4:5], v[22:23]
	v_add_f64_e32 v[162:163], v[142:143], v[140:141]
	v_mul_f64_e32 v[22:23], v[6:7], v[22:23]
	ds_load_b128 v[140:143], v2 offset:960
	v_fmac_f64_e32 v[156:157], v[150:151], v[16:17]
	v_fma_f64 v[148:149], v[148:149], v[16:17], -v[18:19]
	scratch_load_b128 v[16:19], off, off offset:464
	v_add_f64_e32 v[152:153], v[152:153], v[158:159]
	v_fmac_f64_e32 v[154:155], v[6:7], v[20:21]
	v_add_f64_e32 v[150:151], v[162:163], v[160:161]
	;; [unrolled: 18-line block ×7, first 2 shown]
	v_fma_f64 v[160:161], v[4:5], v[12:13], -v[14:15]
	ds_load_b128 v[4:7], v2 offset:1136
	s_wait_loadcnt_dscnt 0xa01
	v_mul_f64_e32 v[156:157], v[148:149], v[18:19]
	v_mul_f64_e32 v[18:19], v[150:151], v[18:19]
	scratch_load_b128 v[12:15], off, off offset:640
	v_add_f64_e32 v[152:153], v[152:153], v[154:155]
	s_wait_loadcnt_dscnt 0xa00
	v_mul_f64_e32 v[154:155], v[4:5], v[22:23]
	v_add_f64_e32 v[162:163], v[142:143], v[140:141]
	v_mul_f64_e32 v[22:23], v[6:7], v[22:23]
	ds_load_b128 v[140:143], v2 offset:1152
	v_fmac_f64_e32 v[156:157], v[150:151], v[16:17]
	v_fma_f64 v[16:17], v[148:149], v[16:17], -v[18:19]
	s_wait_loadcnt_dscnt 0x900
	v_mul_f64_e32 v[150:151], v[140:141], v[110:111]
	v_mul_f64_e32 v[110:111], v[142:143], v[110:111]
	v_add_f64_e32 v[148:149], v[152:153], v[158:159]
	v_fmac_f64_e32 v[154:155], v[6:7], v[20:21]
	v_add_f64_e32 v[18:19], v[162:163], v[160:161]
	v_fma_f64 v[20:21], v[4:5], v[20:21], -v[22:23]
	v_fmac_f64_e32 v[150:151], v[142:143], v[108:109]
	v_fma_f64 v[108:109], v[140:141], v[108:109], -v[110:111]
	v_add_f64_e32 v[148:149], v[148:149], v[156:157]
	v_add_f64_e32 v[22:23], v[18:19], v[16:17]
	ds_load_b128 v[4:7], v2 offset:1168
	ds_load_b128 v[16:19], v2 offset:1184
	s_wait_loadcnt_dscnt 0x801
	v_mul_f64_e32 v[152:153], v[4:5], v[114:115]
	v_mul_f64_e32 v[114:115], v[6:7], v[114:115]
	s_wait_loadcnt_dscnt 0x700
	v_mul_f64_e32 v[110:111], v[16:17], v[118:119]
	v_mul_f64_e32 v[118:119], v[18:19], v[118:119]
	v_add_f64_e32 v[20:21], v[22:23], v[20:21]
	v_add_f64_e32 v[22:23], v[148:149], v[154:155]
	v_fmac_f64_e32 v[152:153], v[6:7], v[112:113]
	v_fma_f64 v[112:113], v[4:5], v[112:113], -v[114:115]
	v_fmac_f64_e32 v[110:111], v[18:19], v[116:117]
	v_fma_f64 v[16:17], v[16:17], v[116:117], -v[118:119]
	v_add_f64_e32 v[108:109], v[20:21], v[108:109]
	v_add_f64_e32 v[114:115], v[22:23], v[150:151]
	ds_load_b128 v[4:7], v2 offset:1200
	ds_load_b128 v[20:23], v2 offset:1216
	s_wait_loadcnt_dscnt 0x601
	v_mul_f64_e32 v[140:141], v[4:5], v[122:123]
	v_mul_f64_e32 v[122:123], v[6:7], v[122:123]
	v_add_f64_e32 v[18:19], v[108:109], v[112:113]
	v_add_f64_e32 v[108:109], v[114:115], v[152:153]
	s_wait_loadcnt_dscnt 0x500
	v_mul_f64_e32 v[112:113], v[20:21], v[126:127]
	v_mul_f64_e32 v[114:115], v[22:23], v[126:127]
	v_fmac_f64_e32 v[140:141], v[6:7], v[120:121]
	v_fma_f64 v[116:117], v[4:5], v[120:121], -v[122:123]
	v_add_f64_e32 v[118:119], v[18:19], v[16:17]
	v_add_f64_e32 v[108:109], v[108:109], v[110:111]
	ds_load_b128 v[4:7], v2 offset:1232
	ds_load_b128 v[16:19], v2 offset:1248
	v_fmac_f64_e32 v[112:113], v[22:23], v[124:125]
	v_fma_f64 v[20:21], v[20:21], v[124:125], -v[114:115]
	s_wait_loadcnt_dscnt 0x401
	v_mul_f64_e32 v[110:111], v[4:5], v[134:135]
	v_mul_f64_e32 v[120:121], v[6:7], v[134:135]
	s_wait_loadcnt_dscnt 0x300
	v_mul_f64_e32 v[114:115], v[16:17], v[146:147]
	v_add_f64_e32 v[22:23], v[118:119], v[116:117]
	v_add_f64_e32 v[108:109], v[108:109], v[140:141]
	v_mul_f64_e32 v[116:117], v[18:19], v[146:147]
	v_fmac_f64_e32 v[110:111], v[6:7], v[132:133]
	v_fma_f64 v[118:119], v[4:5], v[132:133], -v[120:121]
	v_fmac_f64_e32 v[114:115], v[18:19], v[144:145]
	v_add_f64_e32 v[120:121], v[22:23], v[20:21]
	v_add_f64_e32 v[108:109], v[108:109], v[112:113]
	ds_load_b128 v[4:7], v2 offset:1264
	ds_load_b128 v[20:23], v2 offset:1280
	v_fma_f64 v[16:17], v[16:17], v[144:145], -v[116:117]
	s_wait_loadcnt_dscnt 0x201
	v_mul_f64_e32 v[112:113], v[4:5], v[130:131]
	v_mul_f64_e32 v[122:123], v[6:7], v[130:131]
	v_add_f64_e32 v[18:19], v[120:121], v[118:119]
	v_add_f64_e32 v[108:109], v[108:109], v[110:111]
	s_wait_loadcnt_dscnt 0x100
	v_mul_f64_e32 v[110:111], v[20:21], v[10:11]
	v_mul_f64_e32 v[10:11], v[22:23], v[10:11]
	v_fmac_f64_e32 v[112:113], v[6:7], v[128:129]
	v_fma_f64 v[116:117], v[4:5], v[128:129], -v[122:123]
	ds_load_b128 v[4:7], v2 offset:1296
	v_add_f64_e32 v[16:17], v[18:19], v[16:17]
	v_add_f64_e32 v[18:19], v[108:109], v[114:115]
	v_fmac_f64_e32 v[110:111], v[22:23], v[8:9]
	v_fma_f64 v[8:9], v[20:21], v[8:9], -v[10:11]
	s_wait_loadcnt_dscnt 0x0
	v_mul_f64_e32 v[108:109], v[4:5], v[14:15]
	v_mul_f64_e32 v[14:15], v[6:7], v[14:15]
	v_add_f64_e32 v[10:11], v[16:17], v[116:117]
	v_add_f64_e32 v[16:17], v[18:19], v[112:113]
	s_delay_alu instid0(VALU_DEP_4) | instskip(NEXT) | instid1(VALU_DEP_4)
	v_fmac_f64_e32 v[108:109], v[6:7], v[12:13]
	v_fma_f64 v[4:5], v[4:5], v[12:13], -v[14:15]
	s_delay_alu instid0(VALU_DEP_4) | instskip(NEXT) | instid1(VALU_DEP_4)
	v_add_f64_e32 v[6:7], v[10:11], v[8:9]
	v_add_f64_e32 v[8:9], v[16:17], v[110:111]
	s_delay_alu instid0(VALU_DEP_2) | instskip(NEXT) | instid1(VALU_DEP_2)
	v_add_f64_e32 v[4:5], v[6:7], v[4:5]
	v_add_f64_e32 v[6:7], v[8:9], v[108:109]
	s_delay_alu instid0(VALU_DEP_2) | instskip(NEXT) | instid1(VALU_DEP_2)
	v_add_f64_e64 v[4:5], v[136:137], -v[4:5]
	v_add_f64_e64 v[6:7], v[138:139], -v[6:7]
	scratch_store_b128 off, v[4:7], off offset:16
	s_wait_xcnt 0x0
	v_cmpx_ne_u32_e32 0, v1
	s_cbranch_execz .LBB104_259
; %bb.258:
	scratch_load_b128 v[6:9], off, off
	v_dual_mov_b32 v3, v2 :: v_dual_mov_b32 v4, v2
	v_mov_b32_e32 v5, v2
	scratch_store_b128 off, v[2:5], off
	s_wait_loadcnt 0x0
	ds_store_b128 v106, v[6:9]
.LBB104_259:
	s_wait_xcnt 0x0
	s_or_b32 exec_lo, exec_lo, s2
	s_wait_storecnt_dscnt 0x0
	s_barrier_signal -1
	s_barrier_wait -1
	s_clause 0x9
	scratch_load_b128 v[4:7], off, off offset:16
	scratch_load_b128 v[8:11], off, off offset:32
	;; [unrolled: 1-line block ×10, first 2 shown]
	ds_load_b128 v[126:129], v2 offset:672
	ds_load_b128 v[134:137], v2 offset:688
	s_clause 0x2
	scratch_load_b128 v[130:133], off, off offset:176
	scratch_load_b128 v[138:141], off, off
	scratch_load_b128 v[142:145], off, off offset:192
	s_and_b32 vcc_lo, exec_lo, s53
	s_wait_loadcnt_dscnt 0xc01
	v_mul_f64_e32 v[146:147], v[128:129], v[6:7]
	v_mul_f64_e32 v[150:151], v[126:127], v[6:7]
	s_wait_loadcnt_dscnt 0xb00
	v_mul_f64_e32 v[152:153], v[134:135], v[10:11]
	v_mul_f64_e32 v[10:11], v[136:137], v[10:11]
	s_delay_alu instid0(VALU_DEP_4) | instskip(NEXT) | instid1(VALU_DEP_4)
	v_fma_f64 v[154:155], v[126:127], v[4:5], -v[146:147]
	v_fmac_f64_e32 v[150:151], v[128:129], v[4:5]
	ds_load_b128 v[4:7], v2 offset:704
	ds_load_b128 v[126:129], v2 offset:720
	scratch_load_b128 v[146:149], off, off offset:208
	v_fmac_f64_e32 v[152:153], v[136:137], v[8:9]
	v_fma_f64 v[134:135], v[134:135], v[8:9], -v[10:11]
	scratch_load_b128 v[8:11], off, off offset:224
	s_wait_loadcnt_dscnt 0xc01
	v_mul_f64_e32 v[156:157], v[4:5], v[14:15]
	v_mul_f64_e32 v[14:15], v[6:7], v[14:15]
	v_add_f64_e32 v[136:137], 0, v[154:155]
	v_add_f64_e32 v[150:151], 0, v[150:151]
	s_wait_loadcnt_dscnt 0xb00
	v_mul_f64_e32 v[154:155], v[126:127], v[18:19]
	v_mul_f64_e32 v[18:19], v[128:129], v[18:19]
	v_fmac_f64_e32 v[156:157], v[6:7], v[12:13]
	v_fma_f64 v[158:159], v[4:5], v[12:13], -v[14:15]
	ds_load_b128 v[4:7], v2 offset:736
	ds_load_b128 v[12:15], v2 offset:752
	v_add_f64_e32 v[160:161], v[136:137], v[134:135]
	v_add_f64_e32 v[150:151], v[150:151], v[152:153]
	scratch_load_b128 v[134:137], off, off offset:240
	v_fmac_f64_e32 v[154:155], v[128:129], v[16:17]
	v_fma_f64 v[126:127], v[126:127], v[16:17], -v[18:19]
	scratch_load_b128 v[16:19], off, off offset:256
	s_wait_loadcnt_dscnt 0xc01
	v_mul_f64_e32 v[152:153], v[4:5], v[22:23]
	v_mul_f64_e32 v[22:23], v[6:7], v[22:23]
	v_add_f64_e32 v[128:129], v[160:161], v[158:159]
	v_add_f64_e32 v[150:151], v[150:151], v[156:157]
	s_wait_loadcnt_dscnt 0xb00
	v_mul_f64_e32 v[156:157], v[12:13], v[108:109]
	v_mul_f64_e32 v[108:109], v[14:15], v[108:109]
	v_fmac_f64_e32 v[152:153], v[6:7], v[20:21]
	v_fma_f64 v[158:159], v[4:5], v[20:21], -v[22:23]
	ds_load_b128 v[4:7], v2 offset:768
	ds_load_b128 v[20:23], v2 offset:784
	v_add_f64_e32 v[160:161], v[128:129], v[126:127]
	v_add_f64_e32 v[150:151], v[150:151], v[154:155]
	scratch_load_b128 v[126:129], off, off offset:272
	s_wait_loadcnt_dscnt 0xb01
	v_mul_f64_e32 v[154:155], v[4:5], v[112:113]
	v_mul_f64_e32 v[112:113], v[6:7], v[112:113]
	v_fmac_f64_e32 v[156:157], v[14:15], v[106:107]
	v_fma_f64 v[106:107], v[12:13], v[106:107], -v[108:109]
	scratch_load_b128 v[12:15], off, off offset:288
	v_add_f64_e32 v[108:109], v[160:161], v[158:159]
	v_add_f64_e32 v[150:151], v[150:151], v[152:153]
	s_wait_loadcnt_dscnt 0xb00
	v_mul_f64_e32 v[152:153], v[20:21], v[116:117]
	v_mul_f64_e32 v[116:117], v[22:23], v[116:117]
	v_fmac_f64_e32 v[154:155], v[6:7], v[110:111]
	v_fma_f64 v[158:159], v[4:5], v[110:111], -v[112:113]
	v_add_f64_e32 v[160:161], v[108:109], v[106:107]
	v_add_f64_e32 v[150:151], v[150:151], v[156:157]
	ds_load_b128 v[4:7], v2 offset:800
	ds_load_b128 v[106:109], v2 offset:816
	scratch_load_b128 v[110:113], off, off offset:304
	v_fmac_f64_e32 v[152:153], v[22:23], v[114:115]
	v_fma_f64 v[114:115], v[20:21], v[114:115], -v[116:117]
	scratch_load_b128 v[20:23], off, off offset:320
	s_wait_loadcnt_dscnt 0xc01
	v_mul_f64_e32 v[156:157], v[4:5], v[120:121]
	v_mul_f64_e32 v[120:121], v[6:7], v[120:121]
	v_add_f64_e32 v[116:117], v[160:161], v[158:159]
	v_add_f64_e32 v[150:151], v[150:151], v[154:155]
	s_wait_loadcnt_dscnt 0xb00
	v_mul_f64_e32 v[154:155], v[106:107], v[124:125]
	v_mul_f64_e32 v[124:125], v[108:109], v[124:125]
	v_fmac_f64_e32 v[156:157], v[6:7], v[118:119]
	v_fma_f64 v[158:159], v[4:5], v[118:119], -v[120:121]
	v_add_f64_e32 v[160:161], v[116:117], v[114:115]
	v_add_f64_e32 v[150:151], v[150:151], v[152:153]
	ds_load_b128 v[4:7], v2 offset:832
	ds_load_b128 v[114:117], v2 offset:848
	scratch_load_b128 v[118:121], off, off offset:336
	v_fmac_f64_e32 v[154:155], v[108:109], v[122:123]
	v_fma_f64 v[122:123], v[106:107], v[122:123], -v[124:125]
	scratch_load_b128 v[106:109], off, off offset:352
	s_wait_loadcnt_dscnt 0xc01
	v_mul_f64_e32 v[152:153], v[4:5], v[132:133]
	v_mul_f64_e32 v[132:133], v[6:7], v[132:133]
	;; [unrolled: 18-line block ×5, first 2 shown]
	v_add_f64_e32 v[144:145], v[160:161], v[158:159]
	v_add_f64_e32 v[150:151], v[150:151], v[156:157]
	s_wait_loadcnt_dscnt 0xa00
	v_mul_f64_e32 v[156:157], v[122:123], v[14:15]
	v_mul_f64_e32 v[14:15], v[124:125], v[14:15]
	v_fmac_f64_e32 v[152:153], v[6:7], v[126:127]
	v_fma_f64 v[158:159], v[4:5], v[126:127], -v[128:129]
	ds_load_b128 v[4:7], v2 offset:960
	ds_load_b128 v[126:129], v2 offset:976
	v_add_f64_e32 v[160:161], v[144:145], v[142:143]
	v_add_f64_e32 v[150:151], v[150:151], v[154:155]
	scratch_load_b128 v[142:145], off, off offset:464
	v_fmac_f64_e32 v[156:157], v[124:125], v[12:13]
	v_fma_f64 v[122:123], v[122:123], v[12:13], -v[14:15]
	scratch_load_b128 v[12:15], off, off offset:480
	s_wait_loadcnt_dscnt 0xb01
	v_mul_f64_e32 v[154:155], v[4:5], v[112:113]
	v_mul_f64_e32 v[112:113], v[6:7], v[112:113]
	v_add_f64_e32 v[124:125], v[160:161], v[158:159]
	v_add_f64_e32 v[150:151], v[150:151], v[152:153]
	s_wait_loadcnt_dscnt 0xa00
	v_mul_f64_e32 v[152:153], v[126:127], v[22:23]
	v_mul_f64_e32 v[22:23], v[128:129], v[22:23]
	v_fmac_f64_e32 v[154:155], v[6:7], v[110:111]
	v_fma_f64 v[158:159], v[4:5], v[110:111], -v[112:113]
	ds_load_b128 v[4:7], v2 offset:992
	ds_load_b128 v[110:113], v2 offset:1008
	v_add_f64_e32 v[160:161], v[124:125], v[122:123]
	v_add_f64_e32 v[150:151], v[150:151], v[156:157]
	scratch_load_b128 v[122:125], off, off offset:496
	s_wait_loadcnt_dscnt 0xa01
	v_mul_f64_e32 v[156:157], v[4:5], v[120:121]
	v_mul_f64_e32 v[120:121], v[6:7], v[120:121]
	v_fmac_f64_e32 v[152:153], v[128:129], v[20:21]
	v_fma_f64 v[126:127], v[126:127], v[20:21], -v[22:23]
	scratch_load_b128 v[20:23], off, off offset:512
	v_add_f64_e32 v[128:129], v[160:161], v[158:159]
	v_add_f64_e32 v[150:151], v[150:151], v[154:155]
	s_wait_loadcnt_dscnt 0xa00
	v_mul_f64_e32 v[154:155], v[110:111], v[108:109]
	v_mul_f64_e32 v[108:109], v[112:113], v[108:109]
	v_fmac_f64_e32 v[156:157], v[6:7], v[118:119]
	v_fma_f64 v[158:159], v[4:5], v[118:119], -v[120:121]
	ds_load_b128 v[4:7], v2 offset:1024
	ds_load_b128 v[118:121], v2 offset:1040
	v_add_f64_e32 v[160:161], v[128:129], v[126:127]
	v_add_f64_e32 v[150:151], v[150:151], v[152:153]
	scratch_load_b128 v[126:129], off, off offset:528
	s_wait_loadcnt_dscnt 0xa01
	v_mul_f64_e32 v[152:153], v[4:5], v[132:133]
	v_mul_f64_e32 v[132:133], v[6:7], v[132:133]
	v_fmac_f64_e32 v[154:155], v[112:113], v[106:107]
	v_fma_f64 v[110:111], v[110:111], v[106:107], -v[108:109]
	scratch_load_b128 v[106:109], off, off offset:544
	v_add_f64_e32 v[112:113], v[160:161], v[158:159]
	v_add_f64_e32 v[150:151], v[150:151], v[156:157]
	s_wait_loadcnt_dscnt 0xa00
	v_mul_f64_e32 v[156:157], v[118:119], v[116:117]
	v_mul_f64_e32 v[116:117], v[120:121], v[116:117]
	v_fmac_f64_e32 v[152:153], v[6:7], v[130:131]
	v_fma_f64 v[158:159], v[4:5], v[130:131], -v[132:133]
	v_add_f64_e32 v[160:161], v[112:113], v[110:111]
	v_add_f64_e32 v[150:151], v[150:151], v[154:155]
	ds_load_b128 v[4:7], v2 offset:1056
	ds_load_b128 v[110:113], v2 offset:1072
	scratch_load_b128 v[130:133], off, off offset:560
	v_fmac_f64_e32 v[156:157], v[120:121], v[114:115]
	v_fma_f64 v[118:119], v[118:119], v[114:115], -v[116:117]
	scratch_load_b128 v[114:117], off, off offset:576
	s_wait_loadcnt_dscnt 0xb01
	v_mul_f64_e32 v[154:155], v[4:5], v[148:149]
	v_mul_f64_e32 v[148:149], v[6:7], v[148:149]
	v_add_f64_e32 v[120:121], v[160:161], v[158:159]
	v_add_f64_e32 v[150:151], v[150:151], v[152:153]
	s_wait_loadcnt_dscnt 0xa00
	v_mul_f64_e32 v[152:153], v[110:111], v[10:11]
	v_mul_f64_e32 v[10:11], v[112:113], v[10:11]
	v_fmac_f64_e32 v[154:155], v[6:7], v[146:147]
	v_fma_f64 v[158:159], v[4:5], v[146:147], -v[148:149]
	v_add_f64_e32 v[160:161], v[120:121], v[118:119]
	v_add_f64_e32 v[150:151], v[150:151], v[156:157]
	ds_load_b128 v[4:7], v2 offset:1088
	ds_load_b128 v[118:121], v2 offset:1104
	scratch_load_b128 v[146:149], off, off offset:592
	v_fmac_f64_e32 v[152:153], v[112:113], v[8:9]
	v_fma_f64 v[110:111], v[110:111], v[8:9], -v[10:11]
	scratch_load_b128 v[8:11], off, off offset:608
	s_wait_loadcnt_dscnt 0xb01
	v_mul_f64_e32 v[156:157], v[4:5], v[136:137]
	v_mul_f64_e32 v[136:137], v[6:7], v[136:137]
	;; [unrolled: 18-line block ×3, first 2 shown]
	v_add_f64_e32 v[120:121], v[160:161], v[158:159]
	v_add_f64_e32 v[150:151], v[150:151], v[156:157]
	s_wait_loadcnt_dscnt 0xa00
	v_mul_f64_e32 v[156:157], v[110:111], v[14:15]
	v_mul_f64_e32 v[14:15], v[112:113], v[14:15]
	v_fmac_f64_e32 v[152:153], v[6:7], v[142:143]
	v_fma_f64 v[142:143], v[4:5], v[142:143], -v[144:145]
	v_add_f64_e32 v[144:145], v[120:121], v[118:119]
	v_add_f64_e32 v[150:151], v[150:151], v[154:155]
	ds_load_b128 v[4:7], v2 offset:1152
	ds_load_b128 v[118:121], v2 offset:1168
	v_fmac_f64_e32 v[156:157], v[112:113], v[12:13]
	v_fma_f64 v[12:13], v[110:111], v[12:13], -v[14:15]
	s_wait_loadcnt_dscnt 0x901
	v_mul_f64_e32 v[154:155], v[4:5], v[124:125]
	v_mul_f64_e32 v[124:125], v[6:7], v[124:125]
	s_wait_loadcnt_dscnt 0x800
	v_mul_f64_e32 v[112:113], v[118:119], v[22:23]
	v_mul_f64_e32 v[22:23], v[120:121], v[22:23]
	v_add_f64_e32 v[14:15], v[144:145], v[142:143]
	v_add_f64_e32 v[110:111], v[150:151], v[152:153]
	v_fmac_f64_e32 v[154:155], v[6:7], v[122:123]
	v_fma_f64 v[122:123], v[4:5], v[122:123], -v[124:125]
	v_fmac_f64_e32 v[112:113], v[120:121], v[20:21]
	v_fma_f64 v[20:21], v[118:119], v[20:21], -v[22:23]
	v_add_f64_e32 v[124:125], v[14:15], v[12:13]
	v_add_f64_e32 v[110:111], v[110:111], v[156:157]
	ds_load_b128 v[4:7], v2 offset:1184
	ds_load_b128 v[12:15], v2 offset:1200
	s_wait_loadcnt_dscnt 0x701
	v_mul_f64_e32 v[142:143], v[4:5], v[128:129]
	v_mul_f64_e32 v[128:129], v[6:7], v[128:129]
	s_wait_loadcnt_dscnt 0x600
	v_mul_f64_e32 v[118:119], v[12:13], v[108:109]
	v_mul_f64_e32 v[108:109], v[14:15], v[108:109]
	v_add_f64_e32 v[22:23], v[124:125], v[122:123]
	v_add_f64_e32 v[110:111], v[110:111], v[154:155]
	v_fmac_f64_e32 v[142:143], v[6:7], v[126:127]
	v_fma_f64 v[120:121], v[4:5], v[126:127], -v[128:129]
	v_fmac_f64_e32 v[118:119], v[14:15], v[106:107]
	v_fma_f64 v[12:13], v[12:13], v[106:107], -v[108:109]
	v_lshl_add_u64 v[128:129], v[32:33], 4, s[4:5]
	v_lshl_add_u64 v[126:127], v[44:45], 4, s[4:5]
	;; [unrolled: 1-line block ×4, first 2 shown]
	v_add_f64_e32 v[122:123], v[22:23], v[20:21]
	v_add_f64_e32 v[110:111], v[110:111], v[112:113]
	ds_load_b128 v[4:7], v2 offset:1216
	ds_load_b128 v[20:23], v2 offset:1232
	s_wait_loadcnt_dscnt 0x501
	v_mul_f64_e32 v[112:113], v[4:5], v[132:133]
	v_mul_f64_e32 v[124:125], v[6:7], v[132:133]
	s_wait_loadcnt_dscnt 0x400
	v_mul_f64_e32 v[108:109], v[20:21], v[116:117]
	v_lshl_add_u64 v[132:133], v[28:29], 4, s[4:5]
	v_lshl_add_u64 v[28:29], v[82:83], 4, s[4:5]
	v_add_f64_e32 v[14:15], v[122:123], v[120:121]
	v_add_f64_e32 v[106:107], v[110:111], v[142:143]
	v_mul_f64_e32 v[110:111], v[22:23], v[116:117]
	v_fmac_f64_e32 v[112:113], v[6:7], v[130:131]
	v_fma_f64 v[116:117], v[4:5], v[130:131], -v[124:125]
	v_fmac_f64_e32 v[108:109], v[22:23], v[114:115]
	v_lshl_add_u64 v[130:131], v[30:31], 4, s[4:5]
	v_lshl_add_u64 v[124:125], v[34:35], 4, s[4:5]
	;; [unrolled: 1-line block ×4, first 2 shown]
	v_add_f64_e32 v[120:121], v[14:15], v[12:13]
	v_add_f64_e32 v[106:107], v[106:107], v[118:119]
	ds_load_b128 v[4:7], v2 offset:1248
	ds_load_b128 v[12:15], v2 offset:1264
	v_fma_f64 v[20:21], v[20:21], v[114:115], -v[110:111]
	s_wait_loadcnt_dscnt 0x301
	v_mul_f64_e32 v[118:119], v[4:5], v[148:149]
	v_mul_f64_e32 v[122:123], v[6:7], v[148:149]
	s_wait_loadcnt_dscnt 0x200
	v_mul_f64_e32 v[110:111], v[12:13], v[10:11]
	v_mul_f64_e32 v[10:11], v[14:15], v[10:11]
	v_add_f64_e32 v[22:23], v[120:121], v[116:117]
	v_add_f64_e32 v[106:107], v[106:107], v[112:113]
	v_lshl_add_u64 v[120:121], v[36:37], 4, s[4:5]
	v_lshl_add_u64 v[116:117], v[38:39], 4, s[4:5]
	;; [unrolled: 1-line block ×4, first 2 shown]
	v_fmac_f64_e32 v[118:119], v[6:7], v[146:147]
	v_fma_f64 v[112:113], v[4:5], v[146:147], -v[122:123]
	v_fmac_f64_e32 v[110:111], v[14:15], v[8:9]
	v_fma_f64 v[8:9], v[12:13], v[8:9], -v[10:11]
	v_lshl_add_u64 v[122:123], v[48:49], 4, s[4:5]
	v_lshl_add_u64 v[48:49], v[62:63], 4, s[4:5]
	v_add_f64_e32 v[114:115], v[22:23], v[20:21]
	v_add_f64_e32 v[106:107], v[106:107], v[108:109]
	ds_load_b128 v[4:7], v2 offset:1280
	ds_load_b128 v[20:23], v2 offset:1296
	s_wait_loadcnt_dscnt 0x101
	v_mul_f64_e32 v[2:3], v[4:5], v[136:137]
	v_mul_f64_e32 v[108:109], v[6:7], v[136:137]
	s_wait_loadcnt_dscnt 0x0
	v_mul_f64_e32 v[14:15], v[20:21], v[18:19]
	v_mul_f64_e32 v[18:19], v[22:23], v[18:19]
	v_add_f64_e32 v[10:11], v[114:115], v[112:113]
	v_add_f64_e32 v[12:13], v[106:107], v[118:119]
	v_lshl_add_u64 v[112:113], v[40:41], 4, s[4:5]
	v_lshl_add_u64 v[106:107], v[46:47], 4, s[4:5]
	;; [unrolled: 1-line block ×8, first 2 shown]
	v_fmac_f64_e32 v[2:3], v[6:7], v[134:135]
	v_fma_f64 v[4:5], v[4:5], v[134:135], -v[108:109]
	v_fmac_f64_e32 v[14:15], v[22:23], v[16:17]
	v_lshl_add_u64 v[108:109], v[42:43], 4, s[4:5]
	v_lshl_add_u64 v[42:43], v[68:69], 4, s[4:5]
	;; [unrolled: 1-line block ×3, first 2 shown]
	v_add_f64_e32 v[6:7], v[10:11], v[8:9]
	v_add_f64_e32 v[8:9], v[12:13], v[110:111]
	v_fma_f64 v[10:11], v[20:21], v[16:17], -v[18:19]
	v_lshl_add_u64 v[110:111], v[54:55], 4, s[4:5]
	v_lshl_add_u64 v[54:55], v[56:57], 4, s[4:5]
	;; [unrolled: 1-line block ×6, first 2 shown]
	v_add_f64_e32 v[4:5], v[6:7], v[4:5]
	v_add_f64_e32 v[2:3], v[8:9], v[2:3]
	v_lshl_add_u64 v[8:9], v[98:99], 4, s[4:5]
	v_lshl_add_u64 v[6:7], v[100:101], 4, s[4:5]
	s_delay_alu instid0(VALU_DEP_4) | instskip(NEXT) | instid1(VALU_DEP_4)
	v_add_f64_e32 v[4:5], v[4:5], v[10:11]
	v_add_f64_e32 v[2:3], v[2:3], v[14:15]
	v_lshl_add_u64 v[14:15], v[92:93], 4, s[4:5]
	v_lshl_add_u64 v[10:11], v[96:97], 4, s[4:5]
	s_delay_alu instid0(VALU_DEP_4) | instskip(NEXT) | instid1(VALU_DEP_4)
	v_add_f64_e64 v[134:135], v[138:139], -v[4:5]
	v_add_f64_e64 v[136:137], v[140:141], -v[2:3]
	v_lshl_add_u64 v[4:5], v[102:103], 4, s[4:5]
	v_lshl_add_u64 v[2:3], v[104:105], 4, s[4:5]
	scratch_store_b128 off, v[134:137], off
	s_cbranch_vccz .LBB104_340
; %bb.260:
	v_mov_b32_e32 v56, 0
	s_load_b64 s[2:3], s[0:1], 0x4
	v_bfe_u32 v58, v0, 10, 10
	v_bfe_u32 v0, v0, 20, 10
	global_load_b32 v57, v56, s[8:9] offset:156
	s_wait_kmcnt 0x0
	s_lshr_b32 s0, s2, 16
	v_mul_u32_u24_e32 v58, s3, v58
	s_mul_i32 s0, s0, s3
	s_delay_alu instid0(SALU_CYCLE_1) | instskip(NEXT) | instid1(VALU_DEP_1)
	v_mul_u32_u24_e32 v1, s0, v1
	v_add3_u32 v0, v1, v58, v0
	s_delay_alu instid0(VALU_DEP_1)
	v_lshl_add_u32 v0, v0, 4, 0x528
	s_wait_loadcnt 0x0
	v_cmp_ne_u32_e32 vcc_lo, 40, v57
	s_cbranch_vccz .LBB104_262
; %bb.261:
	v_lshlrev_b32_e32 v1, 4, v57
	s_clause 0x1
	scratch_load_b128 v[58:61], off, s15
	scratch_load_b128 v[62:65], v1, off offset:-16
	s_wait_loadcnt 0x1
	ds_store_2addr_b64 v0, v[58:59], v[60:61] offset1:1
	s_wait_loadcnt 0x0
	s_clause 0x1
	scratch_store_b128 off, v[62:65], s15
	scratch_store_b128 v1, v[58:61], off offset:-16
.LBB104_262:
	global_load_b32 v1, v56, s[8:9] offset:152
	s_wait_loadcnt 0x0
	v_cmp_eq_u32_e32 vcc_lo, 39, v1
	s_cbranch_vccnz .LBB104_264
; %bb.263:
	v_lshlrev_b32_e32 v1, 4, v1
	s_clause 0x1
	scratch_load_b128 v[56:59], off, s17
	scratch_load_b128 v[60:63], v1, off offset:-16
	s_wait_loadcnt 0x1
	ds_store_2addr_b64 v0, v[56:57], v[58:59] offset1:1
	s_wait_loadcnt 0x0
	s_clause 0x1
	scratch_store_b128 off, v[60:63], s17
	scratch_store_b128 v1, v[56:59], off offset:-16
.LBB104_264:
	s_wait_xcnt 0x0
	v_mov_b32_e32 v1, 0
	global_load_b32 v56, v1, s[8:9] offset:148
	s_wait_loadcnt 0x0
	v_cmp_eq_u32_e32 vcc_lo, 38, v56
	s_cbranch_vccnz .LBB104_266
; %bb.265:
	v_lshlrev_b32_e32 v56, 4, v56
	s_delay_alu instid0(VALU_DEP_1)
	v_mov_b32_e32 v64, v56
	s_clause 0x1
	scratch_load_b128 v[56:59], off, s19
	scratch_load_b128 v[60:63], v64, off offset:-16
	s_wait_loadcnt 0x1
	ds_store_2addr_b64 v0, v[56:57], v[58:59] offset1:1
	s_wait_loadcnt 0x0
	s_clause 0x1
	scratch_store_b128 off, v[60:63], s19
	scratch_store_b128 v64, v[56:59], off offset:-16
.LBB104_266:
	global_load_b32 v1, v1, s[8:9] offset:144
	s_wait_loadcnt 0x0
	v_cmp_eq_u32_e32 vcc_lo, 37, v1
	s_cbranch_vccnz .LBB104_268
; %bb.267:
	s_wait_xcnt 0x0
	v_lshlrev_b32_e32 v1, 4, v1
	s_clause 0x1
	scratch_load_b128 v[56:59], off, s20
	scratch_load_b128 v[60:63], v1, off offset:-16
	s_wait_loadcnt 0x1
	ds_store_2addr_b64 v0, v[56:57], v[58:59] offset1:1
	s_wait_loadcnt 0x0
	s_clause 0x1
	scratch_store_b128 off, v[60:63], s20
	scratch_store_b128 v1, v[56:59], off offset:-16
.LBB104_268:
	s_wait_xcnt 0x0
	v_mov_b32_e32 v1, 0
	global_load_b32 v56, v1, s[8:9] offset:140
	s_wait_loadcnt 0x0
	v_cmp_eq_u32_e32 vcc_lo, 36, v56
	s_cbranch_vccnz .LBB104_270
; %bb.269:
	v_lshlrev_b32_e32 v56, 4, v56
	s_delay_alu instid0(VALU_DEP_1)
	v_mov_b32_e32 v64, v56
	s_clause 0x1
	scratch_load_b128 v[56:59], off, s21
	scratch_load_b128 v[60:63], v64, off offset:-16
	s_wait_loadcnt 0x1
	ds_store_2addr_b64 v0, v[56:57], v[58:59] offset1:1
	s_wait_loadcnt 0x0
	s_clause 0x1
	scratch_store_b128 off, v[60:63], s21
	scratch_store_b128 v64, v[56:59], off offset:-16
.LBB104_270:
	global_load_b32 v1, v1, s[8:9] offset:136
	s_wait_loadcnt 0x0
	v_cmp_eq_u32_e32 vcc_lo, 35, v1
	s_cbranch_vccnz .LBB104_272
; %bb.271:
	s_wait_xcnt 0x0
	v_lshlrev_b32_e32 v1, 4, v1
	s_clause 0x1
	scratch_load_b128 v[56:59], off, s22
	scratch_load_b128 v[60:63], v1, off offset:-16
	s_wait_loadcnt 0x1
	ds_store_2addr_b64 v0, v[56:57], v[58:59] offset1:1
	s_wait_loadcnt 0x0
	s_clause 0x1
	scratch_store_b128 off, v[60:63], s22
	scratch_store_b128 v1, v[56:59], off offset:-16
.LBB104_272:
	;; [unrolled: 37-line block ×18, first 2 shown]
	s_wait_xcnt 0x0
	v_mov_b32_e32 v1, 0
	global_load_b32 v56, v1, s[8:9] offset:4
	s_wait_loadcnt 0x0
	v_cmp_eq_u32_e32 vcc_lo, 2, v56
	s_cbranch_vccnz .LBB104_338
; %bb.337:
	v_lshlrev_b32_e32 v56, 4, v56
	s_delay_alu instid0(VALU_DEP_1)
	v_mov_b32_e32 v64, v56
	s_clause 0x1
	scratch_load_b128 v[56:59], off, s18
	scratch_load_b128 v[60:63], v64, off offset:-16
	s_wait_loadcnt 0x1
	ds_store_2addr_b64 v0, v[56:57], v[58:59] offset1:1
	s_wait_loadcnt 0x0
	s_clause 0x1
	scratch_store_b128 off, v[60:63], s18
	scratch_store_b128 v64, v[56:59], off offset:-16
.LBB104_338:
	global_load_b32 v1, v1, s[8:9]
	s_wait_loadcnt 0x0
	v_cmp_eq_u32_e32 vcc_lo, 1, v1
	s_cbranch_vccnz .LBB104_340
; %bb.339:
	s_wait_xcnt 0x0
	v_lshlrev_b32_e32 v1, 4, v1
	scratch_load_b128 v[56:59], off, off
	scratch_load_b128 v[60:63], v1, off offset:-16
	s_wait_loadcnt 0x1
	ds_store_2addr_b64 v0, v[56:57], v[58:59] offset1:1
	s_wait_loadcnt 0x0
	scratch_store_b128 off, v[60:63], off
	scratch_store_b128 v1, v[56:59], off offset:-16
.LBB104_340:
	scratch_load_b128 v[56:59], off, off
	s_wait_loadcnt 0x0
	flat_store_b128 v[24:25], v[56:59]
	scratch_load_b128 v[56:59], off, s18
	s_wait_loadcnt 0x0
	flat_store_b128 v[26:27], v[56:59]
	scratch_load_b128 v[24:27], off, s16
	;; [unrolled: 3-line block ×40, first 2 shown]
	s_wait_loadcnt 0x0
	flat_store_b128 v[2:3], v[4:7]
	s_sendmsg sendmsg(MSG_DEALLOC_VGPRS)
	s_endpgm
	.section	.rodata,"a",@progbits
	.p2align	6, 0x0
	.amdhsa_kernel _ZN9rocsolver6v33100L18getri_kernel_smallILi41E19rocblas_complex_numIdEPKPS3_EEvT1_iilPiilS8_bb
		.amdhsa_group_segment_fixed_size 2344
		.amdhsa_private_segment_fixed_size 672
		.amdhsa_kernarg_size 60
		.amdhsa_user_sgpr_count 4
		.amdhsa_user_sgpr_dispatch_ptr 1
		.amdhsa_user_sgpr_queue_ptr 0
		.amdhsa_user_sgpr_kernarg_segment_ptr 1
		.amdhsa_user_sgpr_dispatch_id 0
		.amdhsa_user_sgpr_kernarg_preload_length 0
		.amdhsa_user_sgpr_kernarg_preload_offset 0
		.amdhsa_user_sgpr_private_segment_size 0
		.amdhsa_wavefront_size32 1
		.amdhsa_uses_dynamic_stack 0
		.amdhsa_enable_private_segment 1
		.amdhsa_system_sgpr_workgroup_id_x 1
		.amdhsa_system_sgpr_workgroup_id_y 0
		.amdhsa_system_sgpr_workgroup_id_z 0
		.amdhsa_system_sgpr_workgroup_info 0
		.amdhsa_system_vgpr_workitem_id 2
		.amdhsa_next_free_vgpr 164
		.amdhsa_next_free_sgpr 72
		.amdhsa_named_barrier_count 0
		.amdhsa_reserve_vcc 1
		.amdhsa_float_round_mode_32 0
		.amdhsa_float_round_mode_16_64 0
		.amdhsa_float_denorm_mode_32 3
		.amdhsa_float_denorm_mode_16_64 3
		.amdhsa_fp16_overflow 0
		.amdhsa_memory_ordered 1
		.amdhsa_forward_progress 1
		.amdhsa_inst_pref_size 255
		.amdhsa_round_robin_scheduling 0
		.amdhsa_exception_fp_ieee_invalid_op 0
		.amdhsa_exception_fp_denorm_src 0
		.amdhsa_exception_fp_ieee_div_zero 0
		.amdhsa_exception_fp_ieee_overflow 0
		.amdhsa_exception_fp_ieee_underflow 0
		.amdhsa_exception_fp_ieee_inexact 0
		.amdhsa_exception_int_div_zero 0
	.end_amdhsa_kernel
	.section	.text._ZN9rocsolver6v33100L18getri_kernel_smallILi41E19rocblas_complex_numIdEPKPS3_EEvT1_iilPiilS8_bb,"axG",@progbits,_ZN9rocsolver6v33100L18getri_kernel_smallILi41E19rocblas_complex_numIdEPKPS3_EEvT1_iilPiilS8_bb,comdat
.Lfunc_end104:
	.size	_ZN9rocsolver6v33100L18getri_kernel_smallILi41E19rocblas_complex_numIdEPKPS3_EEvT1_iilPiilS8_bb, .Lfunc_end104-_ZN9rocsolver6v33100L18getri_kernel_smallILi41E19rocblas_complex_numIdEPKPS3_EEvT1_iilPiilS8_bb
                                        ; -- End function
	.set _ZN9rocsolver6v33100L18getri_kernel_smallILi41E19rocblas_complex_numIdEPKPS3_EEvT1_iilPiilS8_bb.num_vgpr, 164
	.set _ZN9rocsolver6v33100L18getri_kernel_smallILi41E19rocblas_complex_numIdEPKPS3_EEvT1_iilPiilS8_bb.num_agpr, 0
	.set _ZN9rocsolver6v33100L18getri_kernel_smallILi41E19rocblas_complex_numIdEPKPS3_EEvT1_iilPiilS8_bb.numbered_sgpr, 72
	.set _ZN9rocsolver6v33100L18getri_kernel_smallILi41E19rocblas_complex_numIdEPKPS3_EEvT1_iilPiilS8_bb.num_named_barrier, 0
	.set _ZN9rocsolver6v33100L18getri_kernel_smallILi41E19rocblas_complex_numIdEPKPS3_EEvT1_iilPiilS8_bb.private_seg_size, 672
	.set _ZN9rocsolver6v33100L18getri_kernel_smallILi41E19rocblas_complex_numIdEPKPS3_EEvT1_iilPiilS8_bb.uses_vcc, 1
	.set _ZN9rocsolver6v33100L18getri_kernel_smallILi41E19rocblas_complex_numIdEPKPS3_EEvT1_iilPiilS8_bb.uses_flat_scratch, 1
	.set _ZN9rocsolver6v33100L18getri_kernel_smallILi41E19rocblas_complex_numIdEPKPS3_EEvT1_iilPiilS8_bb.has_dyn_sized_stack, 0
	.set _ZN9rocsolver6v33100L18getri_kernel_smallILi41E19rocblas_complex_numIdEPKPS3_EEvT1_iilPiilS8_bb.has_recursion, 0
	.set _ZN9rocsolver6v33100L18getri_kernel_smallILi41E19rocblas_complex_numIdEPKPS3_EEvT1_iilPiilS8_bb.has_indirect_call, 0
	.section	.AMDGPU.csdata,"",@progbits
; Kernel info:
; codeLenInByte = 68228
; TotalNumSgprs: 74
; NumVgprs: 164
; ScratchSize: 672
; MemoryBound: 0
; FloatMode: 240
; IeeeMode: 1
; LDSByteSize: 2344 bytes/workgroup (compile time only)
; SGPRBlocks: 0
; VGPRBlocks: 10
; NumSGPRsForWavesPerEU: 74
; NumVGPRsForWavesPerEU: 164
; NamedBarCnt: 0
; Occupancy: 5
; WaveLimiterHint : 1
; COMPUTE_PGM_RSRC2:SCRATCH_EN: 1
; COMPUTE_PGM_RSRC2:USER_SGPR: 4
; COMPUTE_PGM_RSRC2:TRAP_HANDLER: 0
; COMPUTE_PGM_RSRC2:TGID_X_EN: 1
; COMPUTE_PGM_RSRC2:TGID_Y_EN: 0
; COMPUTE_PGM_RSRC2:TGID_Z_EN: 0
; COMPUTE_PGM_RSRC2:TIDIG_COMP_CNT: 2
	.section	.text._ZN9rocsolver6v33100L18getri_kernel_smallILi42E19rocblas_complex_numIdEPKPS3_EEvT1_iilPiilS8_bb,"axG",@progbits,_ZN9rocsolver6v33100L18getri_kernel_smallILi42E19rocblas_complex_numIdEPKPS3_EEvT1_iilPiilS8_bb,comdat
	.globl	_ZN9rocsolver6v33100L18getri_kernel_smallILi42E19rocblas_complex_numIdEPKPS3_EEvT1_iilPiilS8_bb ; -- Begin function _ZN9rocsolver6v33100L18getri_kernel_smallILi42E19rocblas_complex_numIdEPKPS3_EEvT1_iilPiilS8_bb
	.p2align	8
	.type	_ZN9rocsolver6v33100L18getri_kernel_smallILi42E19rocblas_complex_numIdEPKPS3_EEvT1_iilPiilS8_bb,@function
_ZN9rocsolver6v33100L18getri_kernel_smallILi42E19rocblas_complex_numIdEPKPS3_EEvT1_iilPiilS8_bb: ; @_ZN9rocsolver6v33100L18getri_kernel_smallILi42E19rocblas_complex_numIdEPKPS3_EEvT1_iilPiilS8_bb
; %bb.0:
	v_and_b32_e32 v1, 0x3ff, v0
	s_mov_b32 s4, exec_lo
	s_delay_alu instid0(VALU_DEP_1)
	v_cmpx_gt_u32_e32 42, v1
	s_cbranch_execz .LBB105_182
; %bb.1:
	s_clause 0x1
	s_load_b32 s16, s[2:3], 0x38
	s_load_b64 s[8:9], s[2:3], 0x0
	s_getreg_b32 s6, hwreg(HW_REG_IB_STS2, 6, 4)
	s_wait_kmcnt 0x0
	s_bitcmp1_b32 s16, 8
	s_cselect_b32 s54, -1, 0
	s_bfe_u32 s4, ttmp6, 0x4000c
	s_and_b32 s5, ttmp6, 15
	s_add_co_i32 s4, s4, 1
	s_delay_alu instid0(SALU_CYCLE_1) | instskip(NEXT) | instid1(SALU_CYCLE_1)
	s_mul_i32 s4, ttmp9, s4
	s_add_co_i32 s5, s5, s4
	s_cmp_eq_u32 s6, 0
	s_cselect_b32 s10, ttmp9, s5
	s_load_b128 s[4:7], s[2:3], 0x28
	s_ashr_i32 s11, s10, 31
	s_delay_alu instid0(SALU_CYCLE_1) | instskip(NEXT) | instid1(SALU_CYCLE_1)
	s_lshl_b64 s[12:13], s[10:11], 3
	s_add_nc_u64 s[8:9], s[8:9], s[12:13]
	s_load_b64 s[14:15], s[8:9], 0x0
	s_wait_xcnt 0x0
	s_bfe_u32 s8, s16, 0x10008
	s_delay_alu instid0(SALU_CYCLE_1)
	s_cmp_eq_u32 s8, 0
                                        ; implicit-def: $sgpr8_sgpr9
	s_cbranch_scc1 .LBB105_3
; %bb.2:
	s_load_b96 s[16:18], s[2:3], 0x18
	s_wait_kmcnt 0x0
	s_mul_u64 s[4:5], s[4:5], s[10:11]
	s_delay_alu instid0(SALU_CYCLE_1) | instskip(SKIP_4) | instid1(SALU_CYCLE_1)
	s_lshl_b64 s[4:5], s[4:5], 2
	s_ashr_i32 s9, s18, 31
	s_mov_b32 s8, s18
	s_add_nc_u64 s[4:5], s[16:17], s[4:5]
	s_lshl_b64 s[8:9], s[8:9], 2
	s_add_nc_u64 s[8:9], s[4:5], s[8:9]
.LBB105_3:
	s_clause 0x1
	s_load_b64 s[12:13], s[2:3], 0x8
	s_load_b32 s55, s[2:3], 0x38
	v_dual_mov_b32 v15, 0 :: v_dual_lshlrev_b32 v14, 4, v1
	s_movk_i32 s56, 0x190
	s_movk_i32 s57, 0x1a0
	;; [unrolled: 1-line block ×16, first 2 shown]
	s_wait_kmcnt 0x0
	s_ashr_i32 s3, s12, 31
	s_mov_b32 s2, s12
	v_add3_u32 v28, s13, s13, v1
	s_lshl_b64 s[2:3], s[2:3], 4
	s_movk_i32 s72, 0x290
	s_add_nc_u64 s[4:5], s[14:15], s[2:3]
	s_ashr_i32 s3, s13, 31
	flat_load_b128 v[2:5], v1, s[4:5] scale_offset
	v_add_nc_u64_e32 v[24:25], s[4:5], v[14:15]
	s_mov_b32 s2, s13
	v_add_nc_u32_e32 v30, s13, v28
	s_mov_b32 s18, 16
	s_mov_b32 s16, 32
	;; [unrolled: 1-line block ×4, first 2 shown]
	v_lshl_add_u64 v[26:27], s[2:3], 4, v[24:25]
	v_add_nc_u32_e32 v32, s13, v30
	s_movk_i32 s53, 0x50
	s_movk_i32 s52, 0x60
	s_movk_i32 s51, 0x70
	s_movk_i32 s50, 0x80
	v_add_nc_u32_e32 v34, s13, v32
	s_movk_i32 s49, 0x90
	s_movk_i32 s48, 0xa0
	s_movk_i32 s47, 0xb0
	s_movk_i32 s46, 0xc0
	;; [unrolled: 5-line block ×5, first 2 shown]
	v_add_nc_u32_e32 v42, s13, v40
	s_mov_b32 s33, s56
	s_mov_b32 s31, s57
	s_mov_b32 s30, s58
	s_mov_b32 s29, s59
	v_add_nc_u32_e32 v44, s13, v42
	s_mov_b32 s28, s60
	s_mov_b32 s27, s61
	s_mov_b32 s26, s62
	s_mov_b32 s25, s63
	;; [unrolled: 5-line block ×4, first 2 shown]
	v_add_nc_u32_e32 v50, s13, v46
	s_bitcmp0_b32 s55, 0
	s_mov_b32 s3, -1
	s_delay_alu instid0(VALU_DEP_1) | instskip(NEXT) | instid1(VALU_DEP_1)
	v_add_nc_u32_e32 v52, s13, v50
	v_add_nc_u32_e32 v54, s13, v52
	s_delay_alu instid0(VALU_DEP_1) | instskip(NEXT) | instid1(VALU_DEP_1)
	v_add_nc_u32_e32 v56, s13, v54
	v_add_nc_u32_e32 v58, s13, v56
	;; [unrolled: 3-line block ×14, first 2 shown]
	s_mov_b32 s13, s72
	s_wait_loadcnt_dscnt 0x0
	scratch_store_b128 off, v[2:5], off
	flat_load_b128 v[2:5], v[26:27]
	s_wait_loadcnt_dscnt 0x0
	scratch_store_b128 off, v[2:5], off offset:16
	flat_load_b128 v[2:5], v28, s[4:5] scale_offset
	s_wait_loadcnt_dscnt 0x0
	scratch_store_b128 off, v[2:5], off offset:32
	flat_load_b128 v[2:5], v30, s[4:5] scale_offset
	s_wait_loadcnt_dscnt 0x0
	scratch_store_b128 off, v[2:5], off offset:48
	flat_load_b128 v[2:5], v32, s[4:5] scale_offset
	s_wait_loadcnt_dscnt 0x0
	scratch_store_b128 off, v[2:5], off offset:64
	flat_load_b128 v[2:5], v34, s[4:5] scale_offset
	s_wait_loadcnt_dscnt 0x0
	scratch_store_b128 off, v[2:5], off offset:80
	flat_load_b128 v[2:5], v36, s[4:5] scale_offset
	s_wait_loadcnt_dscnt 0x0
	scratch_store_b128 off, v[2:5], off offset:96
	flat_load_b128 v[2:5], v38, s[4:5] scale_offset
	s_wait_loadcnt_dscnt 0x0
	scratch_store_b128 off, v[2:5], off offset:112
	flat_load_b128 v[2:5], v40, s[4:5] scale_offset
	s_wait_loadcnt_dscnt 0x0
	scratch_store_b128 off, v[2:5], off offset:128
	flat_load_b128 v[2:5], v42, s[4:5] scale_offset
	s_wait_loadcnt_dscnt 0x0
	scratch_store_b128 off, v[2:5], off offset:144
	flat_load_b128 v[2:5], v44, s[4:5] scale_offset
	s_wait_loadcnt_dscnt 0x0
	scratch_store_b128 off, v[2:5], off offset:160
	flat_load_b128 v[2:5], v48, s[4:5] scale_offset
	s_wait_loadcnt_dscnt 0x0
	scratch_store_b128 off, v[2:5], off offset:176
	flat_load_b128 v[2:5], v46, s[4:5] scale_offset
	s_wait_loadcnt_dscnt 0x0
	scratch_store_b128 off, v[2:5], off offset:192
	flat_load_b128 v[2:5], v50, s[4:5] scale_offset
	s_wait_loadcnt_dscnt 0x0
	scratch_store_b128 off, v[2:5], off offset:208
	flat_load_b128 v[2:5], v52, s[4:5] scale_offset
	s_wait_loadcnt_dscnt 0x0
	scratch_store_b128 off, v[2:5], off offset:224
	flat_load_b128 v[2:5], v54, s[4:5] scale_offset
	s_wait_loadcnt_dscnt 0x0
	scratch_store_b128 off, v[2:5], off offset:240
	flat_load_b128 v[2:5], v56, s[4:5] scale_offset
	s_wait_loadcnt_dscnt 0x0
	scratch_store_b128 off, v[2:5], off offset:256
	flat_load_b128 v[2:5], v58, s[4:5] scale_offset
	s_wait_loadcnt_dscnt 0x0
	scratch_store_b128 off, v[2:5], off offset:272
	flat_load_b128 v[2:5], v60, s[4:5] scale_offset
	s_wait_loadcnt_dscnt 0x0
	scratch_store_b128 off, v[2:5], off offset:288
	flat_load_b128 v[2:5], v62, s[4:5] scale_offset
	s_wait_loadcnt_dscnt 0x0
	scratch_store_b128 off, v[2:5], off offset:304
	flat_load_b128 v[2:5], v64, s[4:5] scale_offset
	s_wait_loadcnt_dscnt 0x0
	scratch_store_b128 off, v[2:5], off offset:320
	flat_load_b128 v[2:5], v66, s[4:5] scale_offset
	s_wait_loadcnt_dscnt 0x0
	scratch_store_b128 off, v[2:5], off offset:336
	flat_load_b128 v[2:5], v68, s[4:5] scale_offset
	s_wait_loadcnt_dscnt 0x0
	scratch_store_b128 off, v[2:5], off offset:352
	flat_load_b128 v[2:5], v70, s[4:5] scale_offset
	s_wait_loadcnt_dscnt 0x0
	scratch_store_b128 off, v[2:5], off offset:368
	flat_load_b128 v[2:5], v72, s[4:5] scale_offset
	s_wait_loadcnt_dscnt 0x0
	scratch_store_b128 off, v[2:5], off offset:384
	flat_load_b128 v[2:5], v74, s[4:5] scale_offset
	s_wait_loadcnt_dscnt 0x0
	scratch_store_b128 off, v[2:5], off offset:400
	flat_load_b128 v[2:5], v76, s[4:5] scale_offset
	s_wait_loadcnt_dscnt 0x0
	scratch_store_b128 off, v[2:5], off offset:416
	flat_load_b128 v[2:5], v78, s[4:5] scale_offset
	s_wait_loadcnt_dscnt 0x0
	scratch_store_b128 off, v[2:5], off offset:432
	flat_load_b128 v[2:5], v80, s[4:5] scale_offset
	s_wait_loadcnt_dscnt 0x0
	scratch_store_b128 off, v[2:5], off offset:448
	flat_load_b128 v[2:5], v82, s[4:5] scale_offset
	s_wait_loadcnt_dscnt 0x0
	scratch_store_b128 off, v[2:5], off offset:464
	flat_load_b128 v[2:5], v84, s[4:5] scale_offset
	s_wait_loadcnt_dscnt 0x0
	scratch_store_b128 off, v[2:5], off offset:480
	flat_load_b128 v[2:5], v86, s[4:5] scale_offset
	s_wait_loadcnt_dscnt 0x0
	scratch_store_b128 off, v[2:5], off offset:496
	flat_load_b128 v[2:5], v88, s[4:5] scale_offset
	s_wait_loadcnt_dscnt 0x0
	scratch_store_b128 off, v[2:5], off offset:512
	flat_load_b128 v[2:5], v90, s[4:5] scale_offset
	s_wait_loadcnt_dscnt 0x0
	scratch_store_b128 off, v[2:5], off offset:528
	flat_load_b128 v[2:5], v92, s[4:5] scale_offset
	s_wait_loadcnt_dscnt 0x0
	scratch_store_b128 off, v[2:5], off offset:544
	flat_load_b128 v[2:5], v94, s[4:5] scale_offset
	s_wait_loadcnt_dscnt 0x0
	scratch_store_b128 off, v[2:5], off offset:560
	flat_load_b128 v[2:5], v96, s[4:5] scale_offset
	s_wait_loadcnt_dscnt 0x0
	scratch_store_b128 off, v[2:5], off offset:576
	flat_load_b128 v[2:5], v98, s[4:5] scale_offset
	s_wait_loadcnt_dscnt 0x0
	scratch_store_b128 off, v[2:5], off offset:592
	flat_load_b128 v[2:5], v100, s[4:5] scale_offset
	s_wait_loadcnt_dscnt 0x0
	scratch_store_b128 off, v[2:5], off offset:608
	flat_load_b128 v[2:5], v102, s[4:5] scale_offset
	s_wait_loadcnt_dscnt 0x0
	scratch_store_b128 off, v[2:5], off offset:624
	flat_load_b128 v[2:5], v104, s[4:5] scale_offset
	s_wait_loadcnt_dscnt 0x0
	scratch_store_b128 off, v[2:5], off offset:640
	flat_load_b128 v[2:5], v106, s[4:5] scale_offset
	s_wait_loadcnt_dscnt 0x0
	scratch_store_b128 off, v[2:5], off offset:656
	s_cbranch_scc1 .LBB105_180
; %bb.4:
	v_cmp_eq_u32_e64 s2, 0, v1
	s_wait_xcnt 0x0
	s_and_saveexec_b32 s3, s2
; %bb.5:
	v_mov_b32_e32 v2, 0
	ds_store_b32 v2, v2 offset:1344
; %bb.6:
	s_or_b32 exec_lo, exec_lo, s3
	s_wait_storecnt_dscnt 0x0
	s_barrier_signal -1
	s_barrier_wait -1
	scratch_load_b128 v[2:5], v1, off scale_offset
	s_wait_loadcnt 0x0
	v_cmp_eq_f64_e32 vcc_lo, 0, v[2:3]
	v_cmp_eq_f64_e64 s3, 0, v[4:5]
	s_and_b32 s3, vcc_lo, s3
	s_delay_alu instid0(SALU_CYCLE_1)
	s_and_saveexec_b32 s55, s3
	s_cbranch_execz .LBB105_10
; %bb.7:
	v_mov_b32_e32 v2, 0
	s_mov_b32 s56, 0
	ds_load_b32 v3, v2 offset:1344
	s_wait_dscnt 0x0
	v_readfirstlane_b32 s3, v3
	v_add_nc_u32_e32 v3, 1, v1
	s_cmp_eq_u32 s3, 0
	s_delay_alu instid0(VALU_DEP_1) | instskip(SKIP_1) | instid1(SALU_CYCLE_1)
	v_cmp_gt_i32_e32 vcc_lo, s3, v3
	s_cselect_b32 s57, -1, 0
	s_or_b32 s57, s57, vcc_lo
	s_delay_alu instid0(SALU_CYCLE_1)
	s_and_b32 exec_lo, exec_lo, s57
	s_cbranch_execz .LBB105_10
; %bb.8:
	v_mov_b32_e32 v4, s3
.LBB105_9:                              ; =>This Inner Loop Header: Depth=1
	ds_cmpstore_rtn_b32 v4, v2, v3, v4 offset:1344
	s_wait_dscnt 0x0
	v_cmp_ne_u32_e32 vcc_lo, 0, v4
	v_cmp_le_i32_e64 s3, v4, v3
	s_and_b32 s3, vcc_lo, s3
	s_delay_alu instid0(SALU_CYCLE_1) | instskip(NEXT) | instid1(SALU_CYCLE_1)
	s_and_b32 s3, exec_lo, s3
	s_or_b32 s56, s3, s56
	s_delay_alu instid0(SALU_CYCLE_1)
	s_and_not1_b32 exec_lo, exec_lo, s56
	s_cbranch_execnz .LBB105_9
.LBB105_10:
	s_or_b32 exec_lo, exec_lo, s55
	v_mov_b32_e32 v2, 0
	s_barrier_signal -1
	s_barrier_wait -1
	ds_load_b32 v3, v2 offset:1344
	s_and_saveexec_b32 s3, s2
	s_cbranch_execz .LBB105_12
; %bb.11:
	s_lshl_b64 s[56:57], s[10:11], 2
	s_delay_alu instid0(SALU_CYCLE_1)
	s_add_nc_u64 s[56:57], s[6:7], s[56:57]
	s_wait_dscnt 0x0
	global_store_b32 v2, v3, s[56:57]
.LBB105_12:
	s_wait_xcnt 0x0
	s_or_b32 exec_lo, exec_lo, s3
	s_wait_dscnt 0x0
	v_cmp_ne_u32_e32 vcc_lo, 0, v3
	s_mov_b32 s3, 0
	s_cbranch_vccnz .LBB105_180
; %bb.13:
	v_lshl_add_u32 v15, v1, 4, 0
                                        ; implicit-def: $vgpr6_vgpr7
                                        ; implicit-def: $vgpr10_vgpr11
	scratch_load_b128 v[2:5], v15, off
	s_wait_loadcnt 0x0
	v_cmp_ngt_f64_e64 s3, |v[2:3]|, |v[4:5]|
	s_wait_xcnt 0x0
	s_and_saveexec_b32 s55, s3
	s_delay_alu instid0(SALU_CYCLE_1)
	s_xor_b32 s3, exec_lo, s55
	s_cbranch_execz .LBB105_15
; %bb.14:
	v_div_scale_f64 v[6:7], null, v[4:5], v[4:5], v[2:3]
	v_div_scale_f64 v[12:13], vcc_lo, v[2:3], v[4:5], v[2:3]
	s_delay_alu instid0(VALU_DEP_2) | instskip(SKIP_1) | instid1(TRANS32_DEP_1)
	v_rcp_f64_e32 v[8:9], v[6:7]
	v_nop
	v_fma_f64 v[10:11], -v[6:7], v[8:9], 1.0
	s_delay_alu instid0(VALU_DEP_1) | instskip(NEXT) | instid1(VALU_DEP_1)
	v_fmac_f64_e32 v[8:9], v[8:9], v[10:11]
	v_fma_f64 v[10:11], -v[6:7], v[8:9], 1.0
	s_delay_alu instid0(VALU_DEP_1) | instskip(NEXT) | instid1(VALU_DEP_1)
	v_fmac_f64_e32 v[8:9], v[8:9], v[10:11]
	v_mul_f64_e32 v[10:11], v[12:13], v[8:9]
	s_delay_alu instid0(VALU_DEP_1) | instskip(NEXT) | instid1(VALU_DEP_1)
	v_fma_f64 v[6:7], -v[6:7], v[10:11], v[12:13]
	v_div_fmas_f64 v[6:7], v[6:7], v[8:9], v[10:11]
	s_delay_alu instid0(VALU_DEP_1) | instskip(NEXT) | instid1(VALU_DEP_1)
	v_div_fixup_f64 v[6:7], v[6:7], v[4:5], v[2:3]
	v_fmac_f64_e32 v[4:5], v[2:3], v[6:7]
	s_delay_alu instid0(VALU_DEP_1) | instskip(SKIP_1) | instid1(VALU_DEP_2)
	v_div_scale_f64 v[2:3], null, v[4:5], v[4:5], 1.0
	v_div_scale_f64 v[12:13], vcc_lo, 1.0, v[4:5], 1.0
	v_rcp_f64_e32 v[8:9], v[2:3]
	v_nop
	s_delay_alu instid0(TRANS32_DEP_1) | instskip(NEXT) | instid1(VALU_DEP_1)
	v_fma_f64 v[10:11], -v[2:3], v[8:9], 1.0
	v_fmac_f64_e32 v[8:9], v[8:9], v[10:11]
	s_delay_alu instid0(VALU_DEP_1) | instskip(NEXT) | instid1(VALU_DEP_1)
	v_fma_f64 v[10:11], -v[2:3], v[8:9], 1.0
	v_fmac_f64_e32 v[8:9], v[8:9], v[10:11]
	s_delay_alu instid0(VALU_DEP_1) | instskip(NEXT) | instid1(VALU_DEP_1)
	v_mul_f64_e32 v[10:11], v[12:13], v[8:9]
	v_fma_f64 v[2:3], -v[2:3], v[10:11], v[12:13]
	s_delay_alu instid0(VALU_DEP_1) | instskip(NEXT) | instid1(VALU_DEP_1)
	v_div_fmas_f64 v[2:3], v[2:3], v[8:9], v[10:11]
	v_div_fixup_f64 v[8:9], v[2:3], v[4:5], 1.0
                                        ; implicit-def: $vgpr2_vgpr3
	s_delay_alu instid0(VALU_DEP_1) | instskip(SKIP_1) | instid1(VALU_DEP_2)
	v_mul_f64_e32 v[6:7], v[6:7], v[8:9]
	v_xor_b32_e32 v9, 0x80000000, v9
	v_xor_b32_e32 v11, 0x80000000, v7
	s_delay_alu instid0(VALU_DEP_3)
	v_mov_b32_e32 v10, v6
.LBB105_15:
	s_and_not1_saveexec_b32 s3, s3
	s_cbranch_execz .LBB105_17
; %bb.16:
	v_div_scale_f64 v[6:7], null, v[2:3], v[2:3], v[4:5]
	v_div_scale_f64 v[12:13], vcc_lo, v[4:5], v[2:3], v[4:5]
	s_delay_alu instid0(VALU_DEP_2) | instskip(SKIP_1) | instid1(TRANS32_DEP_1)
	v_rcp_f64_e32 v[8:9], v[6:7]
	v_nop
	v_fma_f64 v[10:11], -v[6:7], v[8:9], 1.0
	s_delay_alu instid0(VALU_DEP_1) | instskip(NEXT) | instid1(VALU_DEP_1)
	v_fmac_f64_e32 v[8:9], v[8:9], v[10:11]
	v_fma_f64 v[10:11], -v[6:7], v[8:9], 1.0
	s_delay_alu instid0(VALU_DEP_1) | instskip(NEXT) | instid1(VALU_DEP_1)
	v_fmac_f64_e32 v[8:9], v[8:9], v[10:11]
	v_mul_f64_e32 v[10:11], v[12:13], v[8:9]
	s_delay_alu instid0(VALU_DEP_1) | instskip(NEXT) | instid1(VALU_DEP_1)
	v_fma_f64 v[6:7], -v[6:7], v[10:11], v[12:13]
	v_div_fmas_f64 v[6:7], v[6:7], v[8:9], v[10:11]
	s_delay_alu instid0(VALU_DEP_1) | instskip(NEXT) | instid1(VALU_DEP_1)
	v_div_fixup_f64 v[8:9], v[6:7], v[2:3], v[4:5]
	v_fmac_f64_e32 v[2:3], v[4:5], v[8:9]
	s_delay_alu instid0(VALU_DEP_1) | instskip(NEXT) | instid1(VALU_DEP_1)
	v_div_scale_f64 v[4:5], null, v[2:3], v[2:3], 1.0
	v_rcp_f64_e32 v[6:7], v[4:5]
	v_nop
	s_delay_alu instid0(TRANS32_DEP_1) | instskip(NEXT) | instid1(VALU_DEP_1)
	v_fma_f64 v[10:11], -v[4:5], v[6:7], 1.0
	v_fmac_f64_e32 v[6:7], v[6:7], v[10:11]
	s_delay_alu instid0(VALU_DEP_1) | instskip(NEXT) | instid1(VALU_DEP_1)
	v_fma_f64 v[10:11], -v[4:5], v[6:7], 1.0
	v_fmac_f64_e32 v[6:7], v[6:7], v[10:11]
	v_div_scale_f64 v[10:11], vcc_lo, 1.0, v[2:3], 1.0
	s_delay_alu instid0(VALU_DEP_1) | instskip(NEXT) | instid1(VALU_DEP_1)
	v_mul_f64_e32 v[12:13], v[10:11], v[6:7]
	v_fma_f64 v[4:5], -v[4:5], v[12:13], v[10:11]
	s_delay_alu instid0(VALU_DEP_1) | instskip(NEXT) | instid1(VALU_DEP_1)
	v_div_fmas_f64 v[4:5], v[4:5], v[6:7], v[12:13]
	v_div_fixup_f64 v[6:7], v[4:5], v[2:3], 1.0
	s_delay_alu instid0(VALU_DEP_1)
	v_mul_f64_e64 v[8:9], v[8:9], -v[6:7]
	v_xor_b32_e32 v11, 0x80000000, v7
	v_mov_b32_e32 v10, v6
.LBB105_17:
	s_or_b32 exec_lo, exec_lo, s3
	s_clause 0x1
	scratch_store_b128 v15, v[6:9], off
	scratch_load_b128 v[2:5], off, s18
	v_xor_b32_e32 v13, 0x80000000, v9
	v_mov_b32_e32 v12, v8
	s_wait_xcnt 0x1
	v_add_nc_u32_e32 v6, 0x2a0, v14
	ds_store_b128 v14, v[10:13]
	s_wait_loadcnt 0x0
	ds_store_b128 v14, v[2:5] offset:672
	s_wait_storecnt_dscnt 0x0
	s_barrier_signal -1
	s_barrier_wait -1
	s_wait_xcnt 0x0
	s_and_saveexec_b32 s3, s2
	s_cbranch_execz .LBB105_19
; %bb.18:
	scratch_load_b128 v[2:5], v15, off
	ds_load_b128 v[8:11], v6
	v_mov_b32_e32 v7, 0
	ds_load_b128 v[16:19], v7 offset:16
	s_wait_loadcnt_dscnt 0x1
	v_mul_f64_e32 v[12:13], v[8:9], v[4:5]
	v_mul_f64_e32 v[4:5], v[10:11], v[4:5]
	s_delay_alu instid0(VALU_DEP_2) | instskip(NEXT) | instid1(VALU_DEP_2)
	v_fmac_f64_e32 v[12:13], v[10:11], v[2:3]
	v_fma_f64 v[2:3], v[8:9], v[2:3], -v[4:5]
	s_delay_alu instid0(VALU_DEP_2) | instskip(NEXT) | instid1(VALU_DEP_2)
	v_add_f64_e32 v[8:9], 0, v[12:13]
	v_add_f64_e32 v[2:3], 0, v[2:3]
	s_wait_dscnt 0x0
	s_delay_alu instid0(VALU_DEP_2) | instskip(NEXT) | instid1(VALU_DEP_2)
	v_mul_f64_e32 v[10:11], v[8:9], v[18:19]
	v_mul_f64_e32 v[4:5], v[2:3], v[18:19]
	s_delay_alu instid0(VALU_DEP_2) | instskip(NEXT) | instid1(VALU_DEP_2)
	v_fma_f64 v[2:3], v[2:3], v[16:17], -v[10:11]
	v_fmac_f64_e32 v[4:5], v[8:9], v[16:17]
	scratch_store_b128 off, v[2:5], off offset:16
.LBB105_19:
	s_wait_xcnt 0x0
	s_or_b32 exec_lo, exec_lo, s3
	s_wait_storecnt 0x0
	s_barrier_signal -1
	s_barrier_wait -1
	scratch_load_b128 v[2:5], off, s16
	s_mov_b32 s3, exec_lo
	s_wait_loadcnt 0x0
	ds_store_b128 v6, v[2:5]
	s_wait_dscnt 0x0
	s_barrier_signal -1
	s_barrier_wait -1
	v_cmpx_gt_u32_e32 2, v1
	s_cbranch_execz .LBB105_23
; %bb.20:
	scratch_load_b128 v[2:5], v15, off
	ds_load_b128 v[8:11], v6
	s_wait_loadcnt_dscnt 0x0
	v_mul_f64_e32 v[12:13], v[10:11], v[4:5]
	v_mul_f64_e32 v[16:17], v[8:9], v[4:5]
	s_delay_alu instid0(VALU_DEP_2) | instskip(NEXT) | instid1(VALU_DEP_2)
	v_fma_f64 v[4:5], v[8:9], v[2:3], -v[12:13]
	v_fmac_f64_e32 v[16:17], v[10:11], v[2:3]
	s_delay_alu instid0(VALU_DEP_2) | instskip(NEXT) | instid1(VALU_DEP_2)
	v_add_f64_e32 v[4:5], 0, v[4:5]
	v_add_f64_e32 v[2:3], 0, v[16:17]
	s_and_saveexec_b32 s55, s2
	s_cbranch_execz .LBB105_22
; %bb.21:
	scratch_load_b128 v[8:11], off, off offset:16
	v_mov_b32_e32 v7, 0
	ds_load_b128 v[16:19], v7 offset:688
	s_wait_loadcnt_dscnt 0x0
	v_mul_f64_e32 v[12:13], v[16:17], v[10:11]
	v_mul_f64_e32 v[10:11], v[18:19], v[10:11]
	s_delay_alu instid0(VALU_DEP_2) | instskip(NEXT) | instid1(VALU_DEP_2)
	v_fmac_f64_e32 v[12:13], v[18:19], v[8:9]
	v_fma_f64 v[8:9], v[16:17], v[8:9], -v[10:11]
	s_delay_alu instid0(VALU_DEP_2) | instskip(NEXT) | instid1(VALU_DEP_2)
	v_add_f64_e32 v[2:3], v[2:3], v[12:13]
	v_add_f64_e32 v[4:5], v[4:5], v[8:9]
.LBB105_22:
	s_or_b32 exec_lo, exec_lo, s55
	v_mov_b32_e32 v7, 0
	ds_load_b128 v[8:11], v7 offset:32
	s_wait_dscnt 0x0
	v_mul_f64_e32 v[16:17], v[2:3], v[10:11]
	v_mul_f64_e32 v[12:13], v[4:5], v[10:11]
	s_delay_alu instid0(VALU_DEP_2) | instskip(NEXT) | instid1(VALU_DEP_2)
	v_fma_f64 v[10:11], v[4:5], v[8:9], -v[16:17]
	v_fmac_f64_e32 v[12:13], v[2:3], v[8:9]
	scratch_store_b128 off, v[10:13], off offset:32
.LBB105_23:
	s_wait_xcnt 0x0
	s_or_b32 exec_lo, exec_lo, s3
	s_wait_storecnt 0x0
	s_barrier_signal -1
	s_barrier_wait -1
	scratch_load_b128 v[2:5], off, s14
	v_add_nc_u32_e32 v7, -1, v1
	s_mov_b32 s2, exec_lo
	s_wait_loadcnt 0x0
	ds_store_b128 v6, v[2:5]
	s_wait_dscnt 0x0
	s_barrier_signal -1
	s_barrier_wait -1
	v_cmpx_gt_u32_e32 3, v1
	s_cbranch_execz .LBB105_27
; %bb.24:
	v_dual_mov_b32 v10, v14 :: v_dual_add_nc_u32 v8, -1, v1
	v_mov_b64_e32 v[2:3], 0
	v_mov_b64_e32 v[4:5], 0
	v_add_nc_u32_e32 v9, 0x2a0, v14
	s_delay_alu instid0(VALU_DEP_4)
	v_or_b32_e32 v10, 8, v10
	s_mov_b32 s3, 0
.LBB105_25:                             ; =>This Inner Loop Header: Depth=1
	scratch_load_b128 v[16:19], v10, off offset:-8
	ds_load_b128 v[20:23], v9
	v_dual_add_nc_u32 v8, 1, v8 :: v_dual_add_nc_u32 v9, 16, v9
	s_wait_xcnt 0x0
	v_add_nc_u32_e32 v10, 16, v10
	s_delay_alu instid0(VALU_DEP_2) | instskip(SKIP_4) | instid1(VALU_DEP_2)
	v_cmp_lt_u32_e32 vcc_lo, 1, v8
	s_or_b32 s3, vcc_lo, s3
	s_wait_loadcnt_dscnt 0x0
	v_mul_f64_e32 v[12:13], v[22:23], v[18:19]
	v_mul_f64_e32 v[18:19], v[20:21], v[18:19]
	v_fma_f64 v[12:13], v[20:21], v[16:17], -v[12:13]
	s_delay_alu instid0(VALU_DEP_2) | instskip(NEXT) | instid1(VALU_DEP_2)
	v_fmac_f64_e32 v[18:19], v[22:23], v[16:17]
	v_add_f64_e32 v[4:5], v[4:5], v[12:13]
	s_delay_alu instid0(VALU_DEP_2)
	v_add_f64_e32 v[2:3], v[2:3], v[18:19]
	s_and_not1_b32 exec_lo, exec_lo, s3
	s_cbranch_execnz .LBB105_25
; %bb.26:
	s_or_b32 exec_lo, exec_lo, s3
	v_mov_b32_e32 v8, 0
	ds_load_b128 v[8:11], v8 offset:48
	s_wait_dscnt 0x0
	v_mul_f64_e32 v[16:17], v[2:3], v[10:11]
	v_mul_f64_e32 v[12:13], v[4:5], v[10:11]
	s_delay_alu instid0(VALU_DEP_2) | instskip(NEXT) | instid1(VALU_DEP_2)
	v_fma_f64 v[10:11], v[4:5], v[8:9], -v[16:17]
	v_fmac_f64_e32 v[12:13], v[2:3], v[8:9]
	scratch_store_b128 off, v[10:13], off offset:48
.LBB105_27:
	s_wait_xcnt 0x0
	s_or_b32 exec_lo, exec_lo, s2
	s_wait_storecnt 0x0
	s_barrier_signal -1
	s_barrier_wait -1
	scratch_load_b128 v[2:5], off, s12
	s_mov_b32 s2, exec_lo
	s_wait_loadcnt 0x0
	ds_store_b128 v6, v[2:5]
	s_wait_dscnt 0x0
	s_barrier_signal -1
	s_barrier_wait -1
	v_cmpx_gt_u32_e32 4, v1
	s_cbranch_execz .LBB105_31
; %bb.28:
	v_dual_mov_b32 v10, v14 :: v_dual_add_nc_u32 v8, -1, v1
	v_mov_b64_e32 v[2:3], 0
	v_mov_b64_e32 v[4:5], 0
	v_add_nc_u32_e32 v9, 0x2a0, v14
	s_delay_alu instid0(VALU_DEP_4)
	v_or_b32_e32 v10, 8, v10
	s_mov_b32 s3, 0
.LBB105_29:                             ; =>This Inner Loop Header: Depth=1
	scratch_load_b128 v[16:19], v10, off offset:-8
	ds_load_b128 v[20:23], v9
	v_dual_add_nc_u32 v8, 1, v8 :: v_dual_add_nc_u32 v9, 16, v9
	s_wait_xcnt 0x0
	v_add_nc_u32_e32 v10, 16, v10
	s_delay_alu instid0(VALU_DEP_2) | instskip(SKIP_4) | instid1(VALU_DEP_2)
	v_cmp_lt_u32_e32 vcc_lo, 2, v8
	s_or_b32 s3, vcc_lo, s3
	s_wait_loadcnt_dscnt 0x0
	v_mul_f64_e32 v[12:13], v[22:23], v[18:19]
	v_mul_f64_e32 v[18:19], v[20:21], v[18:19]
	v_fma_f64 v[12:13], v[20:21], v[16:17], -v[12:13]
	s_delay_alu instid0(VALU_DEP_2) | instskip(NEXT) | instid1(VALU_DEP_2)
	v_fmac_f64_e32 v[18:19], v[22:23], v[16:17]
	v_add_f64_e32 v[4:5], v[4:5], v[12:13]
	s_delay_alu instid0(VALU_DEP_2)
	v_add_f64_e32 v[2:3], v[2:3], v[18:19]
	s_and_not1_b32 exec_lo, exec_lo, s3
	s_cbranch_execnz .LBB105_29
; %bb.30:
	s_or_b32 exec_lo, exec_lo, s3
	v_mov_b32_e32 v8, 0
	ds_load_b128 v[8:11], v8 offset:64
	s_wait_dscnt 0x0
	v_mul_f64_e32 v[16:17], v[2:3], v[10:11]
	v_mul_f64_e32 v[12:13], v[4:5], v[10:11]
	s_delay_alu instid0(VALU_DEP_2) | instskip(NEXT) | instid1(VALU_DEP_2)
	v_fma_f64 v[10:11], v[4:5], v[8:9], -v[16:17]
	v_fmac_f64_e32 v[12:13], v[2:3], v[8:9]
	scratch_store_b128 off, v[10:13], off offset:64
.LBB105_31:
	s_wait_xcnt 0x0
	s_or_b32 exec_lo, exec_lo, s2
	s_wait_storecnt 0x0
	s_barrier_signal -1
	s_barrier_wait -1
	scratch_load_b128 v[2:5], off, s53
	;; [unrolled: 54-line block ×19, first 2 shown]
	s_mov_b32 s2, exec_lo
	s_wait_loadcnt 0x0
	ds_store_b128 v6, v[2:5]
	s_wait_dscnt 0x0
	s_barrier_signal -1
	s_barrier_wait -1
	v_cmpx_gt_u32_e32 22, v1
	s_cbranch_execz .LBB105_103
; %bb.100:
	v_dual_mov_b32 v10, v14 :: v_dual_add_nc_u32 v8, -1, v1
	v_mov_b64_e32 v[2:3], 0
	v_mov_b64_e32 v[4:5], 0
	v_add_nc_u32_e32 v9, 0x2a0, v14
	s_delay_alu instid0(VALU_DEP_4)
	v_or_b32_e32 v10, 8, v10
	s_mov_b32 s3, 0
.LBB105_101:                            ; =>This Inner Loop Header: Depth=1
	scratch_load_b128 v[16:19], v10, off offset:-8
	ds_load_b128 v[20:23], v9
	v_dual_add_nc_u32 v8, 1, v8 :: v_dual_add_nc_u32 v9, 16, v9
	s_wait_xcnt 0x0
	v_add_nc_u32_e32 v10, 16, v10
	s_delay_alu instid0(VALU_DEP_2) | instskip(SKIP_4) | instid1(VALU_DEP_2)
	v_cmp_lt_u32_e32 vcc_lo, 20, v8
	s_or_b32 s3, vcc_lo, s3
	s_wait_loadcnt_dscnt 0x0
	v_mul_f64_e32 v[12:13], v[22:23], v[18:19]
	v_mul_f64_e32 v[18:19], v[20:21], v[18:19]
	v_fma_f64 v[12:13], v[20:21], v[16:17], -v[12:13]
	s_delay_alu instid0(VALU_DEP_2) | instskip(NEXT) | instid1(VALU_DEP_2)
	v_fmac_f64_e32 v[18:19], v[22:23], v[16:17]
	v_add_f64_e32 v[4:5], v[4:5], v[12:13]
	s_delay_alu instid0(VALU_DEP_2)
	v_add_f64_e32 v[2:3], v[2:3], v[18:19]
	s_and_not1_b32 exec_lo, exec_lo, s3
	s_cbranch_execnz .LBB105_101
; %bb.102:
	s_or_b32 exec_lo, exec_lo, s3
	v_mov_b32_e32 v8, 0
	ds_load_b128 v[8:11], v8 offset:352
	s_wait_dscnt 0x0
	v_mul_f64_e32 v[16:17], v[2:3], v[10:11]
	v_mul_f64_e32 v[12:13], v[4:5], v[10:11]
	s_delay_alu instid0(VALU_DEP_2) | instskip(NEXT) | instid1(VALU_DEP_2)
	v_fma_f64 v[10:11], v[4:5], v[8:9], -v[16:17]
	v_fmac_f64_e32 v[12:13], v[2:3], v[8:9]
	scratch_store_b128 off, v[10:13], off offset:352
.LBB105_103:
	s_wait_xcnt 0x0
	s_or_b32 exec_lo, exec_lo, s2
	s_wait_storecnt 0x0
	s_barrier_signal -1
	s_barrier_wait -1
	scratch_load_b128 v[2:5], off, s35
	s_mov_b32 s2, exec_lo
	s_wait_loadcnt 0x0
	ds_store_b128 v6, v[2:5]
	s_wait_dscnt 0x0
	s_barrier_signal -1
	s_barrier_wait -1
	v_cmpx_gt_u32_e32 23, v1
	s_cbranch_execz .LBB105_107
; %bb.104:
	v_dual_mov_b32 v10, v14 :: v_dual_add_nc_u32 v8, -1, v1
	v_mov_b64_e32 v[2:3], 0
	v_mov_b64_e32 v[4:5], 0
	v_add_nc_u32_e32 v9, 0x2a0, v14
	s_delay_alu instid0(VALU_DEP_4)
	v_or_b32_e32 v10, 8, v10
	s_mov_b32 s3, 0
.LBB105_105:                            ; =>This Inner Loop Header: Depth=1
	scratch_load_b128 v[16:19], v10, off offset:-8
	ds_load_b128 v[20:23], v9
	v_dual_add_nc_u32 v8, 1, v8 :: v_dual_add_nc_u32 v9, 16, v9
	s_wait_xcnt 0x0
	v_add_nc_u32_e32 v10, 16, v10
	s_delay_alu instid0(VALU_DEP_2) | instskip(SKIP_4) | instid1(VALU_DEP_2)
	v_cmp_lt_u32_e32 vcc_lo, 21, v8
	s_or_b32 s3, vcc_lo, s3
	s_wait_loadcnt_dscnt 0x0
	v_mul_f64_e32 v[12:13], v[22:23], v[18:19]
	v_mul_f64_e32 v[18:19], v[20:21], v[18:19]
	v_fma_f64 v[12:13], v[20:21], v[16:17], -v[12:13]
	s_delay_alu instid0(VALU_DEP_2) | instskip(NEXT) | instid1(VALU_DEP_2)
	v_fmac_f64_e32 v[18:19], v[22:23], v[16:17]
	v_add_f64_e32 v[4:5], v[4:5], v[12:13]
	s_delay_alu instid0(VALU_DEP_2)
	v_add_f64_e32 v[2:3], v[2:3], v[18:19]
	s_and_not1_b32 exec_lo, exec_lo, s3
	s_cbranch_execnz .LBB105_105
; %bb.106:
	s_or_b32 exec_lo, exec_lo, s3
	v_mov_b32_e32 v8, 0
	ds_load_b128 v[8:11], v8 offset:368
	s_wait_dscnt 0x0
	v_mul_f64_e32 v[16:17], v[2:3], v[10:11]
	v_mul_f64_e32 v[12:13], v[4:5], v[10:11]
	s_delay_alu instid0(VALU_DEP_2) | instskip(NEXT) | instid1(VALU_DEP_2)
	v_fma_f64 v[10:11], v[4:5], v[8:9], -v[16:17]
	v_fmac_f64_e32 v[12:13], v[2:3], v[8:9]
	scratch_store_b128 off, v[10:13], off offset:368
.LBB105_107:
	s_wait_xcnt 0x0
	s_or_b32 exec_lo, exec_lo, s2
	s_wait_storecnt 0x0
	s_barrier_signal -1
	s_barrier_wait -1
	scratch_load_b128 v[2:5], off, s34
	;; [unrolled: 54-line block ×19, first 2 shown]
	s_mov_b32 s2, exec_lo
	s_wait_loadcnt 0x0
	ds_store_b128 v6, v[2:5]
	s_wait_dscnt 0x0
	s_barrier_signal -1
	s_barrier_wait -1
	v_cmpx_ne_u32_e32 41, v1
	s_cbranch_execz .LBB105_179
; %bb.176:
	v_mov_b32_e32 v8, v14
	v_mov_b64_e32 v[2:3], 0
	v_mov_b64_e32 v[4:5], 0
	s_mov_b32 s3, 0
	s_delay_alu instid0(VALU_DEP_3)
	v_or_b32_e32 v8, 8, v8
.LBB105_177:                            ; =>This Inner Loop Header: Depth=1
	scratch_load_b128 v[10:13], v8, off offset:-8
	ds_load_b128 v[14:17], v6
	v_dual_add_nc_u32 v7, 1, v7 :: v_dual_add_nc_u32 v6, 16, v6
	s_wait_xcnt 0x0
	v_add_nc_u32_e32 v8, 16, v8
	s_delay_alu instid0(VALU_DEP_2) | instskip(SKIP_4) | instid1(VALU_DEP_2)
	v_cmp_lt_u32_e32 vcc_lo, 39, v7
	s_or_b32 s3, vcc_lo, s3
	s_wait_loadcnt_dscnt 0x0
	v_mul_f64_e32 v[18:19], v[16:17], v[12:13]
	v_mul_f64_e32 v[12:13], v[14:15], v[12:13]
	v_fma_f64 v[14:15], v[14:15], v[10:11], -v[18:19]
	s_delay_alu instid0(VALU_DEP_2) | instskip(NEXT) | instid1(VALU_DEP_2)
	v_fmac_f64_e32 v[12:13], v[16:17], v[10:11]
	v_add_f64_e32 v[4:5], v[4:5], v[14:15]
	s_delay_alu instid0(VALU_DEP_2)
	v_add_f64_e32 v[2:3], v[2:3], v[12:13]
	s_and_not1_b32 exec_lo, exec_lo, s3
	s_cbranch_execnz .LBB105_177
; %bb.178:
	s_or_b32 exec_lo, exec_lo, s3
	v_mov_b32_e32 v6, 0
	ds_load_b128 v[6:9], v6 offset:656
	s_wait_dscnt 0x0
	v_mul_f64_e32 v[12:13], v[2:3], v[8:9]
	v_mul_f64_e32 v[10:11], v[4:5], v[8:9]
	s_delay_alu instid0(VALU_DEP_2) | instskip(NEXT) | instid1(VALU_DEP_2)
	v_fma_f64 v[8:9], v[4:5], v[6:7], -v[12:13]
	v_fmac_f64_e32 v[10:11], v[2:3], v[6:7]
	scratch_store_b128 off, v[8:11], off offset:656
.LBB105_179:
	s_wait_xcnt 0x0
	s_or_b32 exec_lo, exec_lo, s2
	s_mov_b32 s3, -1
	s_wait_storecnt 0x0
	s_barrier_signal -1
	s_barrier_wait -1
.LBB105_180:
	s_and_b32 vcc_lo, exec_lo, s3
	s_cbranch_vccz .LBB105_182
; %bb.181:
	s_wait_xcnt 0x0
	v_mov_b32_e32 v2, 0
	s_lshl_b64 s[2:3], s[10:11], 2
	s_delay_alu instid0(SALU_CYCLE_1)
	s_add_nc_u64 s[2:3], s[6:7], s[2:3]
	global_load_b32 v2, v2, s[2:3]
	s_wait_loadcnt 0x0
	v_cmp_ne_u32_e32 vcc_lo, 0, v2
	s_cbranch_vccz .LBB105_183
.LBB105_182:
	s_sendmsg sendmsg(MSG_DEALLOC_VGPRS)
	s_endpgm
.LBB105_183:
	v_lshl_add_u32 v108, v1, 4, 0x2a0
	s_wait_xcnt 0x0
	s_mov_b32 s2, exec_lo
	v_cmpx_eq_u32_e32 41, v1
	s_cbranch_execz .LBB105_185
; %bb.184:
	scratch_load_b128 v[2:5], off, s15
	v_mov_b32_e32 v6, 0
	s_delay_alu instid0(VALU_DEP_1)
	v_dual_mov_b32 v7, v6 :: v_dual_mov_b32 v8, v6
	v_mov_b32_e32 v9, v6
	scratch_store_b128 off, v[6:9], off offset:640
	s_wait_loadcnt 0x0
	ds_store_b128 v108, v[2:5]
.LBB105_185:
	s_wait_xcnt 0x0
	s_or_b32 exec_lo, exec_lo, s2
	s_wait_storecnt_dscnt 0x0
	s_barrier_signal -1
	s_barrier_wait -1
	s_clause 0x1
	scratch_load_b128 v[4:7], off, off offset:656
	scratch_load_b128 v[8:11], off, off offset:640
	v_mov_b32_e32 v2, 0
	s_mov_b32 s2, exec_lo
	ds_load_b128 v[12:15], v2 offset:1328
	s_wait_loadcnt_dscnt 0x100
	v_mul_f64_e32 v[16:17], v[14:15], v[6:7]
	v_mul_f64_e32 v[6:7], v[12:13], v[6:7]
	s_delay_alu instid0(VALU_DEP_2) | instskip(NEXT) | instid1(VALU_DEP_2)
	v_fma_f64 v[12:13], v[12:13], v[4:5], -v[16:17]
	v_fmac_f64_e32 v[6:7], v[14:15], v[4:5]
	s_delay_alu instid0(VALU_DEP_2) | instskip(NEXT) | instid1(VALU_DEP_2)
	v_add_f64_e32 v[4:5], 0, v[12:13]
	v_add_f64_e32 v[6:7], 0, v[6:7]
	s_wait_loadcnt 0x0
	s_delay_alu instid0(VALU_DEP_2) | instskip(NEXT) | instid1(VALU_DEP_2)
	v_add_f64_e64 v[4:5], v[8:9], -v[4:5]
	v_add_f64_e64 v[6:7], v[10:11], -v[6:7]
	scratch_store_b128 off, v[4:7], off offset:640
	s_wait_xcnt 0x0
	v_cmpx_lt_u32_e32 39, v1
	s_cbranch_execz .LBB105_187
; %bb.186:
	scratch_load_b128 v[6:9], off, s17
	v_dual_mov_b32 v3, v2 :: v_dual_mov_b32 v4, v2
	v_mov_b32_e32 v5, v2
	scratch_store_b128 off, v[2:5], off offset:624
	s_wait_loadcnt 0x0
	ds_store_b128 v108, v[6:9]
.LBB105_187:
	s_wait_xcnt 0x0
	s_or_b32 exec_lo, exec_lo, s2
	s_wait_storecnt_dscnt 0x0
	s_barrier_signal -1
	s_barrier_wait -1
	s_clause 0x2
	scratch_load_b128 v[4:7], off, off offset:640
	scratch_load_b128 v[8:11], off, off offset:656
	;; [unrolled: 1-line block ×3, first 2 shown]
	ds_load_b128 v[16:19], v2 offset:1312
	ds_load_b128 v[20:23], v2 offset:1328
	s_mov_b32 s2, exec_lo
	s_wait_loadcnt_dscnt 0x201
	v_mul_f64_e32 v[2:3], v[18:19], v[6:7]
	v_mul_f64_e32 v[6:7], v[16:17], v[6:7]
	s_wait_loadcnt_dscnt 0x100
	v_mul_f64_e32 v[110:111], v[20:21], v[10:11]
	v_mul_f64_e32 v[10:11], v[22:23], v[10:11]
	s_delay_alu instid0(VALU_DEP_4) | instskip(NEXT) | instid1(VALU_DEP_4)
	v_fma_f64 v[2:3], v[16:17], v[4:5], -v[2:3]
	v_fmac_f64_e32 v[6:7], v[18:19], v[4:5]
	s_delay_alu instid0(VALU_DEP_4) | instskip(NEXT) | instid1(VALU_DEP_4)
	v_fmac_f64_e32 v[110:111], v[22:23], v[8:9]
	v_fma_f64 v[4:5], v[20:21], v[8:9], -v[10:11]
	s_delay_alu instid0(VALU_DEP_4) | instskip(NEXT) | instid1(VALU_DEP_4)
	v_add_f64_e32 v[2:3], 0, v[2:3]
	v_add_f64_e32 v[6:7], 0, v[6:7]
	s_delay_alu instid0(VALU_DEP_2) | instskip(NEXT) | instid1(VALU_DEP_2)
	v_add_f64_e32 v[2:3], v[2:3], v[4:5]
	v_add_f64_e32 v[4:5], v[6:7], v[110:111]
	s_wait_loadcnt 0x0
	s_delay_alu instid0(VALU_DEP_2) | instskip(NEXT) | instid1(VALU_DEP_2)
	v_add_f64_e64 v[2:3], v[12:13], -v[2:3]
	v_add_f64_e64 v[4:5], v[14:15], -v[4:5]
	scratch_store_b128 off, v[2:5], off offset:624
	s_wait_xcnt 0x0
	v_cmpx_lt_u32_e32 38, v1
	s_cbranch_execz .LBB105_189
; %bb.188:
	scratch_load_b128 v[2:5], off, s19
	v_mov_b32_e32 v6, 0
	s_delay_alu instid0(VALU_DEP_1)
	v_dual_mov_b32 v7, v6 :: v_dual_mov_b32 v8, v6
	v_mov_b32_e32 v9, v6
	scratch_store_b128 off, v[6:9], off offset:608
	s_wait_loadcnt 0x0
	ds_store_b128 v108, v[2:5]
.LBB105_189:
	s_wait_xcnt 0x0
	s_or_b32 exec_lo, exec_lo, s2
	s_wait_storecnt_dscnt 0x0
	s_barrier_signal -1
	s_barrier_wait -1
	s_clause 0x3
	scratch_load_b128 v[4:7], off, off offset:624
	scratch_load_b128 v[8:11], off, off offset:640
	scratch_load_b128 v[12:15], off, off offset:656
	scratch_load_b128 v[16:19], off, off offset:608
	v_mov_b32_e32 v2, 0
	ds_load_b128 v[20:23], v2 offset:1296
	ds_load_b128 v[110:113], v2 offset:1312
	s_mov_b32 s2, exec_lo
	s_wait_loadcnt_dscnt 0x301
	v_mul_f64_e32 v[114:115], v[22:23], v[6:7]
	v_mul_f64_e32 v[116:117], v[20:21], v[6:7]
	s_wait_loadcnt_dscnt 0x200
	v_mul_f64_e32 v[118:119], v[110:111], v[10:11]
	v_mul_f64_e32 v[10:11], v[112:113], v[10:11]
	s_delay_alu instid0(VALU_DEP_4) | instskip(NEXT) | instid1(VALU_DEP_4)
	v_fma_f64 v[20:21], v[20:21], v[4:5], -v[114:115]
	v_fmac_f64_e32 v[116:117], v[22:23], v[4:5]
	ds_load_b128 v[4:7], v2 offset:1328
	v_fmac_f64_e32 v[118:119], v[112:113], v[8:9]
	v_fma_f64 v[8:9], v[110:111], v[8:9], -v[10:11]
	s_wait_loadcnt_dscnt 0x100
	v_mul_f64_e32 v[22:23], v[4:5], v[14:15]
	v_mul_f64_e32 v[14:15], v[6:7], v[14:15]
	v_add_f64_e32 v[10:11], 0, v[20:21]
	v_add_f64_e32 v[20:21], 0, v[116:117]
	s_delay_alu instid0(VALU_DEP_4) | instskip(NEXT) | instid1(VALU_DEP_4)
	v_fmac_f64_e32 v[22:23], v[6:7], v[12:13]
	v_fma_f64 v[4:5], v[4:5], v[12:13], -v[14:15]
	s_delay_alu instid0(VALU_DEP_4) | instskip(NEXT) | instid1(VALU_DEP_4)
	v_add_f64_e32 v[6:7], v[10:11], v[8:9]
	v_add_f64_e32 v[8:9], v[20:21], v[118:119]
	s_delay_alu instid0(VALU_DEP_2) | instskip(NEXT) | instid1(VALU_DEP_2)
	v_add_f64_e32 v[4:5], v[6:7], v[4:5]
	v_add_f64_e32 v[6:7], v[8:9], v[22:23]
	s_wait_loadcnt 0x0
	s_delay_alu instid0(VALU_DEP_2) | instskip(NEXT) | instid1(VALU_DEP_2)
	v_add_f64_e64 v[4:5], v[16:17], -v[4:5]
	v_add_f64_e64 v[6:7], v[18:19], -v[6:7]
	scratch_store_b128 off, v[4:7], off offset:608
	s_wait_xcnt 0x0
	v_cmpx_lt_u32_e32 37, v1
	s_cbranch_execz .LBB105_191
; %bb.190:
	scratch_load_b128 v[6:9], off, s20
	v_dual_mov_b32 v3, v2 :: v_dual_mov_b32 v4, v2
	v_mov_b32_e32 v5, v2
	scratch_store_b128 off, v[2:5], off offset:592
	s_wait_loadcnt 0x0
	ds_store_b128 v108, v[6:9]
.LBB105_191:
	s_wait_xcnt 0x0
	s_or_b32 exec_lo, exec_lo, s2
	s_wait_storecnt_dscnt 0x0
	s_barrier_signal -1
	s_barrier_wait -1
	s_clause 0x4
	scratch_load_b128 v[4:7], off, off offset:608
	scratch_load_b128 v[8:11], off, off offset:624
	;; [unrolled: 1-line block ×5, first 2 shown]
	ds_load_b128 v[110:113], v2 offset:1280
	ds_load_b128 v[114:117], v2 offset:1296
	s_mov_b32 s2, exec_lo
	s_wait_loadcnt_dscnt 0x401
	v_mul_f64_e32 v[118:119], v[112:113], v[6:7]
	v_mul_f64_e32 v[120:121], v[110:111], v[6:7]
	s_wait_loadcnt_dscnt 0x300
	v_mul_f64_e32 v[122:123], v[114:115], v[10:11]
	v_mul_f64_e32 v[10:11], v[116:117], v[10:11]
	s_delay_alu instid0(VALU_DEP_4) | instskip(NEXT) | instid1(VALU_DEP_4)
	v_fma_f64 v[118:119], v[110:111], v[4:5], -v[118:119]
	v_fmac_f64_e32 v[120:121], v[112:113], v[4:5]
	ds_load_b128 v[4:7], v2 offset:1312
	ds_load_b128 v[110:113], v2 offset:1328
	v_fmac_f64_e32 v[122:123], v[116:117], v[8:9]
	v_fma_f64 v[8:9], v[114:115], v[8:9], -v[10:11]
	s_wait_loadcnt_dscnt 0x201
	v_mul_f64_e32 v[2:3], v[4:5], v[14:15]
	v_mul_f64_e32 v[14:15], v[6:7], v[14:15]
	s_wait_loadcnt_dscnt 0x100
	v_mul_f64_e32 v[116:117], v[110:111], v[18:19]
	v_mul_f64_e32 v[18:19], v[112:113], v[18:19]
	v_add_f64_e32 v[10:11], 0, v[118:119]
	v_add_f64_e32 v[114:115], 0, v[120:121]
	v_fmac_f64_e32 v[2:3], v[6:7], v[12:13]
	v_fma_f64 v[4:5], v[4:5], v[12:13], -v[14:15]
	v_fmac_f64_e32 v[116:117], v[112:113], v[16:17]
	v_add_f64_e32 v[6:7], v[10:11], v[8:9]
	v_add_f64_e32 v[8:9], v[114:115], v[122:123]
	v_fma_f64 v[10:11], v[110:111], v[16:17], -v[18:19]
	s_delay_alu instid0(VALU_DEP_3) | instskip(NEXT) | instid1(VALU_DEP_3)
	v_add_f64_e32 v[4:5], v[6:7], v[4:5]
	v_add_f64_e32 v[2:3], v[8:9], v[2:3]
	s_delay_alu instid0(VALU_DEP_2) | instskip(NEXT) | instid1(VALU_DEP_2)
	v_add_f64_e32 v[4:5], v[4:5], v[10:11]
	v_add_f64_e32 v[6:7], v[2:3], v[116:117]
	s_wait_loadcnt 0x0
	s_delay_alu instid0(VALU_DEP_2) | instskip(NEXT) | instid1(VALU_DEP_2)
	v_add_f64_e64 v[2:3], v[20:21], -v[4:5]
	v_add_f64_e64 v[4:5], v[22:23], -v[6:7]
	scratch_store_b128 off, v[2:5], off offset:592
	s_wait_xcnt 0x0
	v_cmpx_lt_u32_e32 36, v1
	s_cbranch_execz .LBB105_193
; %bb.192:
	scratch_load_b128 v[2:5], off, s21
	v_mov_b32_e32 v6, 0
	s_delay_alu instid0(VALU_DEP_1)
	v_dual_mov_b32 v7, v6 :: v_dual_mov_b32 v8, v6
	v_mov_b32_e32 v9, v6
	scratch_store_b128 off, v[6:9], off offset:576
	s_wait_loadcnt 0x0
	ds_store_b128 v108, v[2:5]
.LBB105_193:
	s_wait_xcnt 0x0
	s_or_b32 exec_lo, exec_lo, s2
	s_wait_storecnt_dscnt 0x0
	s_barrier_signal -1
	s_barrier_wait -1
	s_clause 0x5
	scratch_load_b128 v[4:7], off, off offset:592
	scratch_load_b128 v[8:11], off, off offset:608
	scratch_load_b128 v[12:15], off, off offset:624
	scratch_load_b128 v[16:19], off, off offset:640
	scratch_load_b128 v[20:23], off, off offset:656
	scratch_load_b128 v[110:113], off, off offset:576
	v_mov_b32_e32 v2, 0
	ds_load_b128 v[114:117], v2 offset:1264
	ds_load_b128 v[118:121], v2 offset:1280
	s_mov_b32 s2, exec_lo
	s_wait_loadcnt_dscnt 0x501
	v_mul_f64_e32 v[122:123], v[116:117], v[6:7]
	v_mul_f64_e32 v[124:125], v[114:115], v[6:7]
	s_wait_loadcnt_dscnt 0x400
	v_mul_f64_e32 v[126:127], v[118:119], v[10:11]
	v_mul_f64_e32 v[10:11], v[120:121], v[10:11]
	s_delay_alu instid0(VALU_DEP_4) | instskip(NEXT) | instid1(VALU_DEP_4)
	v_fma_f64 v[122:123], v[114:115], v[4:5], -v[122:123]
	v_fmac_f64_e32 v[124:125], v[116:117], v[4:5]
	ds_load_b128 v[4:7], v2 offset:1296
	ds_load_b128 v[114:117], v2 offset:1312
	v_fmac_f64_e32 v[126:127], v[120:121], v[8:9]
	v_fma_f64 v[8:9], v[118:119], v[8:9], -v[10:11]
	s_wait_loadcnt_dscnt 0x301
	v_mul_f64_e32 v[128:129], v[4:5], v[14:15]
	v_mul_f64_e32 v[14:15], v[6:7], v[14:15]
	s_wait_loadcnt_dscnt 0x200
	v_mul_f64_e32 v[120:121], v[114:115], v[18:19]
	v_mul_f64_e32 v[18:19], v[116:117], v[18:19]
	v_add_f64_e32 v[10:11], 0, v[122:123]
	v_add_f64_e32 v[118:119], 0, v[124:125]
	v_fmac_f64_e32 v[128:129], v[6:7], v[12:13]
	v_fma_f64 v[12:13], v[4:5], v[12:13], -v[14:15]
	ds_load_b128 v[4:7], v2 offset:1328
	v_fmac_f64_e32 v[120:121], v[116:117], v[16:17]
	v_fma_f64 v[16:17], v[114:115], v[16:17], -v[18:19]
	v_add_f64_e32 v[8:9], v[10:11], v[8:9]
	v_add_f64_e32 v[10:11], v[118:119], v[126:127]
	s_wait_loadcnt_dscnt 0x100
	v_mul_f64_e32 v[14:15], v[4:5], v[22:23]
	v_mul_f64_e32 v[22:23], v[6:7], v[22:23]
	s_delay_alu instid0(VALU_DEP_4) | instskip(NEXT) | instid1(VALU_DEP_4)
	v_add_f64_e32 v[8:9], v[8:9], v[12:13]
	v_add_f64_e32 v[10:11], v[10:11], v[128:129]
	s_delay_alu instid0(VALU_DEP_4) | instskip(NEXT) | instid1(VALU_DEP_4)
	v_fmac_f64_e32 v[14:15], v[6:7], v[20:21]
	v_fma_f64 v[4:5], v[4:5], v[20:21], -v[22:23]
	s_delay_alu instid0(VALU_DEP_4) | instskip(NEXT) | instid1(VALU_DEP_4)
	v_add_f64_e32 v[6:7], v[8:9], v[16:17]
	v_add_f64_e32 v[8:9], v[10:11], v[120:121]
	s_delay_alu instid0(VALU_DEP_2) | instskip(NEXT) | instid1(VALU_DEP_2)
	v_add_f64_e32 v[4:5], v[6:7], v[4:5]
	v_add_f64_e32 v[6:7], v[8:9], v[14:15]
	s_wait_loadcnt 0x0
	s_delay_alu instid0(VALU_DEP_2) | instskip(NEXT) | instid1(VALU_DEP_2)
	v_add_f64_e64 v[4:5], v[110:111], -v[4:5]
	v_add_f64_e64 v[6:7], v[112:113], -v[6:7]
	scratch_store_b128 off, v[4:7], off offset:576
	s_wait_xcnt 0x0
	v_cmpx_lt_u32_e32 35, v1
	s_cbranch_execz .LBB105_195
; %bb.194:
	scratch_load_b128 v[6:9], off, s22
	v_dual_mov_b32 v3, v2 :: v_dual_mov_b32 v4, v2
	v_mov_b32_e32 v5, v2
	scratch_store_b128 off, v[2:5], off offset:560
	s_wait_loadcnt 0x0
	ds_store_b128 v108, v[6:9]
.LBB105_195:
	s_wait_xcnt 0x0
	s_or_b32 exec_lo, exec_lo, s2
	s_wait_storecnt_dscnt 0x0
	s_barrier_signal -1
	s_barrier_wait -1
	s_clause 0x6
	scratch_load_b128 v[4:7], off, off offset:576
	scratch_load_b128 v[8:11], off, off offset:592
	;; [unrolled: 1-line block ×7, first 2 shown]
	ds_load_b128 v[118:121], v2 offset:1248
	ds_load_b128 v[122:125], v2 offset:1264
	s_mov_b32 s2, exec_lo
	s_wait_loadcnt_dscnt 0x601
	v_mul_f64_e32 v[126:127], v[120:121], v[6:7]
	v_mul_f64_e32 v[128:129], v[118:119], v[6:7]
	s_wait_loadcnt_dscnt 0x500
	v_mul_f64_e32 v[130:131], v[122:123], v[10:11]
	v_mul_f64_e32 v[10:11], v[124:125], v[10:11]
	s_delay_alu instid0(VALU_DEP_4) | instskip(NEXT) | instid1(VALU_DEP_4)
	v_fma_f64 v[126:127], v[118:119], v[4:5], -v[126:127]
	v_fmac_f64_e32 v[128:129], v[120:121], v[4:5]
	ds_load_b128 v[4:7], v2 offset:1280
	ds_load_b128 v[118:121], v2 offset:1296
	v_fmac_f64_e32 v[130:131], v[124:125], v[8:9]
	v_fma_f64 v[8:9], v[122:123], v[8:9], -v[10:11]
	s_wait_loadcnt_dscnt 0x401
	v_mul_f64_e32 v[132:133], v[4:5], v[14:15]
	v_mul_f64_e32 v[14:15], v[6:7], v[14:15]
	s_wait_loadcnt_dscnt 0x300
	v_mul_f64_e32 v[124:125], v[118:119], v[18:19]
	v_mul_f64_e32 v[18:19], v[120:121], v[18:19]
	v_add_f64_e32 v[10:11], 0, v[126:127]
	v_add_f64_e32 v[122:123], 0, v[128:129]
	v_fmac_f64_e32 v[132:133], v[6:7], v[12:13]
	v_fma_f64 v[12:13], v[4:5], v[12:13], -v[14:15]
	v_fmac_f64_e32 v[124:125], v[120:121], v[16:17]
	v_fma_f64 v[16:17], v[118:119], v[16:17], -v[18:19]
	v_add_f64_e32 v[14:15], v[10:11], v[8:9]
	v_add_f64_e32 v[122:123], v[122:123], v[130:131]
	ds_load_b128 v[4:7], v2 offset:1312
	ds_load_b128 v[8:11], v2 offset:1328
	s_wait_loadcnt_dscnt 0x201
	v_mul_f64_e32 v[2:3], v[4:5], v[22:23]
	v_mul_f64_e32 v[22:23], v[6:7], v[22:23]
	s_wait_loadcnt_dscnt 0x100
	v_mul_f64_e32 v[18:19], v[8:9], v[112:113]
	v_mul_f64_e32 v[112:113], v[10:11], v[112:113]
	v_add_f64_e32 v[12:13], v[14:15], v[12:13]
	v_add_f64_e32 v[14:15], v[122:123], v[132:133]
	v_fmac_f64_e32 v[2:3], v[6:7], v[20:21]
	v_fma_f64 v[4:5], v[4:5], v[20:21], -v[22:23]
	v_fmac_f64_e32 v[18:19], v[10:11], v[110:111]
	v_fma_f64 v[8:9], v[8:9], v[110:111], -v[112:113]
	v_add_f64_e32 v[6:7], v[12:13], v[16:17]
	v_add_f64_e32 v[12:13], v[14:15], v[124:125]
	s_delay_alu instid0(VALU_DEP_2) | instskip(NEXT) | instid1(VALU_DEP_2)
	v_add_f64_e32 v[4:5], v[6:7], v[4:5]
	v_add_f64_e32 v[2:3], v[12:13], v[2:3]
	s_delay_alu instid0(VALU_DEP_2) | instskip(NEXT) | instid1(VALU_DEP_2)
	v_add_f64_e32 v[4:5], v[4:5], v[8:9]
	v_add_f64_e32 v[6:7], v[2:3], v[18:19]
	s_wait_loadcnt 0x0
	s_delay_alu instid0(VALU_DEP_2) | instskip(NEXT) | instid1(VALU_DEP_2)
	v_add_f64_e64 v[2:3], v[114:115], -v[4:5]
	v_add_f64_e64 v[4:5], v[116:117], -v[6:7]
	scratch_store_b128 off, v[2:5], off offset:560
	s_wait_xcnt 0x0
	v_cmpx_lt_u32_e32 34, v1
	s_cbranch_execz .LBB105_197
; %bb.196:
	scratch_load_b128 v[2:5], off, s23
	v_mov_b32_e32 v6, 0
	s_delay_alu instid0(VALU_DEP_1)
	v_dual_mov_b32 v7, v6 :: v_dual_mov_b32 v8, v6
	v_mov_b32_e32 v9, v6
	scratch_store_b128 off, v[6:9], off offset:544
	s_wait_loadcnt 0x0
	ds_store_b128 v108, v[2:5]
.LBB105_197:
	s_wait_xcnt 0x0
	s_or_b32 exec_lo, exec_lo, s2
	s_wait_storecnt_dscnt 0x0
	s_barrier_signal -1
	s_barrier_wait -1
	s_clause 0x7
	scratch_load_b128 v[4:7], off, off offset:560
	scratch_load_b128 v[8:11], off, off offset:576
	;; [unrolled: 1-line block ×8, first 2 shown]
	v_mov_b32_e32 v2, 0
	ds_load_b128 v[122:125], v2 offset:1232
	ds_load_b128 v[126:129], v2 offset:1248
	s_mov_b32 s2, exec_lo
	s_wait_loadcnt_dscnt 0x701
	v_mul_f64_e32 v[130:131], v[124:125], v[6:7]
	v_mul_f64_e32 v[132:133], v[122:123], v[6:7]
	s_wait_loadcnt_dscnt 0x600
	v_mul_f64_e32 v[134:135], v[126:127], v[10:11]
	v_mul_f64_e32 v[10:11], v[128:129], v[10:11]
	s_delay_alu instid0(VALU_DEP_4) | instskip(NEXT) | instid1(VALU_DEP_4)
	v_fma_f64 v[130:131], v[122:123], v[4:5], -v[130:131]
	v_fmac_f64_e32 v[132:133], v[124:125], v[4:5]
	ds_load_b128 v[4:7], v2 offset:1264
	ds_load_b128 v[122:125], v2 offset:1280
	v_fmac_f64_e32 v[134:135], v[128:129], v[8:9]
	v_fma_f64 v[8:9], v[126:127], v[8:9], -v[10:11]
	s_wait_loadcnt_dscnt 0x501
	v_mul_f64_e32 v[136:137], v[4:5], v[14:15]
	v_mul_f64_e32 v[14:15], v[6:7], v[14:15]
	s_wait_loadcnt_dscnt 0x400
	v_mul_f64_e32 v[128:129], v[122:123], v[18:19]
	v_mul_f64_e32 v[18:19], v[124:125], v[18:19]
	v_add_f64_e32 v[10:11], 0, v[130:131]
	v_add_f64_e32 v[126:127], 0, v[132:133]
	v_fmac_f64_e32 v[136:137], v[6:7], v[12:13]
	v_fma_f64 v[12:13], v[4:5], v[12:13], -v[14:15]
	v_fmac_f64_e32 v[128:129], v[124:125], v[16:17]
	v_fma_f64 v[16:17], v[122:123], v[16:17], -v[18:19]
	v_add_f64_e32 v[14:15], v[10:11], v[8:9]
	v_add_f64_e32 v[126:127], v[126:127], v[134:135]
	ds_load_b128 v[4:7], v2 offset:1296
	ds_load_b128 v[8:11], v2 offset:1312
	s_wait_loadcnt_dscnt 0x301
	v_mul_f64_e32 v[130:131], v[4:5], v[22:23]
	v_mul_f64_e32 v[22:23], v[6:7], v[22:23]
	s_wait_loadcnt_dscnt 0x200
	v_mul_f64_e32 v[18:19], v[8:9], v[112:113]
	v_mul_f64_e32 v[112:113], v[10:11], v[112:113]
	v_add_f64_e32 v[12:13], v[14:15], v[12:13]
	v_add_f64_e32 v[14:15], v[126:127], v[136:137]
	v_fmac_f64_e32 v[130:131], v[6:7], v[20:21]
	v_fma_f64 v[20:21], v[4:5], v[20:21], -v[22:23]
	ds_load_b128 v[4:7], v2 offset:1328
	v_fmac_f64_e32 v[18:19], v[10:11], v[110:111]
	v_fma_f64 v[8:9], v[8:9], v[110:111], -v[112:113]
	v_add_f64_e32 v[12:13], v[12:13], v[16:17]
	v_add_f64_e32 v[14:15], v[14:15], v[128:129]
	s_wait_loadcnt_dscnt 0x100
	v_mul_f64_e32 v[16:17], v[4:5], v[116:117]
	v_mul_f64_e32 v[22:23], v[6:7], v[116:117]
	s_delay_alu instid0(VALU_DEP_4) | instskip(NEXT) | instid1(VALU_DEP_4)
	v_add_f64_e32 v[10:11], v[12:13], v[20:21]
	v_add_f64_e32 v[12:13], v[14:15], v[130:131]
	s_delay_alu instid0(VALU_DEP_4) | instskip(NEXT) | instid1(VALU_DEP_4)
	v_fmac_f64_e32 v[16:17], v[6:7], v[114:115]
	v_fma_f64 v[4:5], v[4:5], v[114:115], -v[22:23]
	s_delay_alu instid0(VALU_DEP_4) | instskip(NEXT) | instid1(VALU_DEP_4)
	v_add_f64_e32 v[6:7], v[10:11], v[8:9]
	v_add_f64_e32 v[8:9], v[12:13], v[18:19]
	s_delay_alu instid0(VALU_DEP_2) | instskip(NEXT) | instid1(VALU_DEP_2)
	v_add_f64_e32 v[4:5], v[6:7], v[4:5]
	v_add_f64_e32 v[6:7], v[8:9], v[16:17]
	s_wait_loadcnt 0x0
	s_delay_alu instid0(VALU_DEP_2) | instskip(NEXT) | instid1(VALU_DEP_2)
	v_add_f64_e64 v[4:5], v[118:119], -v[4:5]
	v_add_f64_e64 v[6:7], v[120:121], -v[6:7]
	scratch_store_b128 off, v[4:7], off offset:544
	s_wait_xcnt 0x0
	v_cmpx_lt_u32_e32 33, v1
	s_cbranch_execz .LBB105_199
; %bb.198:
	scratch_load_b128 v[6:9], off, s24
	v_dual_mov_b32 v3, v2 :: v_dual_mov_b32 v4, v2
	v_mov_b32_e32 v5, v2
	scratch_store_b128 off, v[2:5], off offset:528
	s_wait_loadcnt 0x0
	ds_store_b128 v108, v[6:9]
.LBB105_199:
	s_wait_xcnt 0x0
	s_or_b32 exec_lo, exec_lo, s2
	s_wait_storecnt_dscnt 0x0
	s_barrier_signal -1
	s_barrier_wait -1
	s_clause 0x7
	scratch_load_b128 v[4:7], off, off offset:544
	scratch_load_b128 v[8:11], off, off offset:560
	;; [unrolled: 1-line block ×8, first 2 shown]
	ds_load_b128 v[122:125], v2 offset:1216
	ds_load_b128 v[126:129], v2 offset:1232
	scratch_load_b128 v[130:133], off, off offset:528
	s_mov_b32 s2, exec_lo
	s_wait_loadcnt_dscnt 0x801
	v_mul_f64_e32 v[134:135], v[124:125], v[6:7]
	v_mul_f64_e32 v[136:137], v[122:123], v[6:7]
	s_wait_loadcnt_dscnt 0x700
	v_mul_f64_e32 v[138:139], v[126:127], v[10:11]
	v_mul_f64_e32 v[10:11], v[128:129], v[10:11]
	s_delay_alu instid0(VALU_DEP_4) | instskip(NEXT) | instid1(VALU_DEP_4)
	v_fma_f64 v[134:135], v[122:123], v[4:5], -v[134:135]
	v_fmac_f64_e32 v[136:137], v[124:125], v[4:5]
	ds_load_b128 v[4:7], v2 offset:1248
	ds_load_b128 v[122:125], v2 offset:1264
	v_fmac_f64_e32 v[138:139], v[128:129], v[8:9]
	v_fma_f64 v[8:9], v[126:127], v[8:9], -v[10:11]
	s_wait_loadcnt_dscnt 0x601
	v_mul_f64_e32 v[140:141], v[4:5], v[14:15]
	v_mul_f64_e32 v[14:15], v[6:7], v[14:15]
	s_wait_loadcnt_dscnt 0x500
	v_mul_f64_e32 v[128:129], v[122:123], v[18:19]
	v_mul_f64_e32 v[18:19], v[124:125], v[18:19]
	v_add_f64_e32 v[10:11], 0, v[134:135]
	v_add_f64_e32 v[126:127], 0, v[136:137]
	v_fmac_f64_e32 v[140:141], v[6:7], v[12:13]
	v_fma_f64 v[12:13], v[4:5], v[12:13], -v[14:15]
	v_fmac_f64_e32 v[128:129], v[124:125], v[16:17]
	v_fma_f64 v[16:17], v[122:123], v[16:17], -v[18:19]
	v_add_f64_e32 v[14:15], v[10:11], v[8:9]
	v_add_f64_e32 v[126:127], v[126:127], v[138:139]
	ds_load_b128 v[4:7], v2 offset:1280
	ds_load_b128 v[8:11], v2 offset:1296
	s_wait_loadcnt_dscnt 0x401
	v_mul_f64_e32 v[134:135], v[4:5], v[22:23]
	v_mul_f64_e32 v[22:23], v[6:7], v[22:23]
	s_wait_loadcnt_dscnt 0x300
	v_mul_f64_e32 v[18:19], v[8:9], v[112:113]
	v_mul_f64_e32 v[112:113], v[10:11], v[112:113]
	v_add_f64_e32 v[12:13], v[14:15], v[12:13]
	v_add_f64_e32 v[14:15], v[126:127], v[140:141]
	v_fmac_f64_e32 v[134:135], v[6:7], v[20:21]
	v_fma_f64 v[20:21], v[4:5], v[20:21], -v[22:23]
	v_fmac_f64_e32 v[18:19], v[10:11], v[110:111]
	v_fma_f64 v[8:9], v[8:9], v[110:111], -v[112:113]
	v_add_f64_e32 v[16:17], v[12:13], v[16:17]
	v_add_f64_e32 v[22:23], v[14:15], v[128:129]
	ds_load_b128 v[4:7], v2 offset:1312
	ds_load_b128 v[12:15], v2 offset:1328
	s_wait_loadcnt_dscnt 0x201
	v_mul_f64_e32 v[2:3], v[4:5], v[116:117]
	v_mul_f64_e32 v[116:117], v[6:7], v[116:117]
	v_add_f64_e32 v[10:11], v[16:17], v[20:21]
	v_add_f64_e32 v[16:17], v[22:23], v[134:135]
	s_wait_loadcnt_dscnt 0x100
	v_mul_f64_e32 v[20:21], v[12:13], v[120:121]
	v_mul_f64_e32 v[22:23], v[14:15], v[120:121]
	v_fmac_f64_e32 v[2:3], v[6:7], v[114:115]
	v_fma_f64 v[4:5], v[4:5], v[114:115], -v[116:117]
	v_add_f64_e32 v[6:7], v[10:11], v[8:9]
	v_add_f64_e32 v[8:9], v[16:17], v[18:19]
	v_fmac_f64_e32 v[20:21], v[14:15], v[118:119]
	v_fma_f64 v[10:11], v[12:13], v[118:119], -v[22:23]
	s_delay_alu instid0(VALU_DEP_4) | instskip(NEXT) | instid1(VALU_DEP_4)
	v_add_f64_e32 v[4:5], v[6:7], v[4:5]
	v_add_f64_e32 v[2:3], v[8:9], v[2:3]
	s_delay_alu instid0(VALU_DEP_2) | instskip(NEXT) | instid1(VALU_DEP_2)
	v_add_f64_e32 v[4:5], v[4:5], v[10:11]
	v_add_f64_e32 v[6:7], v[2:3], v[20:21]
	s_wait_loadcnt 0x0
	s_delay_alu instid0(VALU_DEP_2) | instskip(NEXT) | instid1(VALU_DEP_2)
	v_add_f64_e64 v[2:3], v[130:131], -v[4:5]
	v_add_f64_e64 v[4:5], v[132:133], -v[6:7]
	scratch_store_b128 off, v[2:5], off offset:528
	s_wait_xcnt 0x0
	v_cmpx_lt_u32_e32 32, v1
	s_cbranch_execz .LBB105_201
; %bb.200:
	scratch_load_b128 v[2:5], off, s25
	v_mov_b32_e32 v6, 0
	s_delay_alu instid0(VALU_DEP_1)
	v_dual_mov_b32 v7, v6 :: v_dual_mov_b32 v8, v6
	v_mov_b32_e32 v9, v6
	scratch_store_b128 off, v[6:9], off offset:512
	s_wait_loadcnt 0x0
	ds_store_b128 v108, v[2:5]
.LBB105_201:
	s_wait_xcnt 0x0
	s_or_b32 exec_lo, exec_lo, s2
	s_wait_storecnt_dscnt 0x0
	s_barrier_signal -1
	s_barrier_wait -1
	s_clause 0x8
	scratch_load_b128 v[4:7], off, off offset:528
	scratch_load_b128 v[8:11], off, off offset:544
	;; [unrolled: 1-line block ×9, first 2 shown]
	v_mov_b32_e32 v2, 0
	scratch_load_b128 v[130:133], off, off offset:512
	s_mov_b32 s2, exec_lo
	ds_load_b128 v[126:129], v2 offset:1200
	ds_load_b128 v[134:137], v2 offset:1216
	s_wait_loadcnt_dscnt 0x901
	v_mul_f64_e32 v[138:139], v[128:129], v[6:7]
	v_mul_f64_e32 v[140:141], v[126:127], v[6:7]
	s_wait_loadcnt_dscnt 0x800
	v_mul_f64_e32 v[142:143], v[134:135], v[10:11]
	v_mul_f64_e32 v[10:11], v[136:137], v[10:11]
	s_delay_alu instid0(VALU_DEP_4) | instskip(NEXT) | instid1(VALU_DEP_4)
	v_fma_f64 v[138:139], v[126:127], v[4:5], -v[138:139]
	v_fmac_f64_e32 v[140:141], v[128:129], v[4:5]
	ds_load_b128 v[4:7], v2 offset:1232
	ds_load_b128 v[126:129], v2 offset:1248
	v_fmac_f64_e32 v[142:143], v[136:137], v[8:9]
	v_fma_f64 v[8:9], v[134:135], v[8:9], -v[10:11]
	s_wait_loadcnt_dscnt 0x701
	v_mul_f64_e32 v[144:145], v[4:5], v[14:15]
	v_mul_f64_e32 v[14:15], v[6:7], v[14:15]
	s_wait_loadcnt_dscnt 0x600
	v_mul_f64_e32 v[136:137], v[126:127], v[18:19]
	v_mul_f64_e32 v[18:19], v[128:129], v[18:19]
	v_add_f64_e32 v[10:11], 0, v[138:139]
	v_add_f64_e32 v[134:135], 0, v[140:141]
	v_fmac_f64_e32 v[144:145], v[6:7], v[12:13]
	v_fma_f64 v[12:13], v[4:5], v[12:13], -v[14:15]
	v_fmac_f64_e32 v[136:137], v[128:129], v[16:17]
	v_fma_f64 v[16:17], v[126:127], v[16:17], -v[18:19]
	v_add_f64_e32 v[14:15], v[10:11], v[8:9]
	v_add_f64_e32 v[134:135], v[134:135], v[142:143]
	ds_load_b128 v[4:7], v2 offset:1264
	ds_load_b128 v[8:11], v2 offset:1280
	s_wait_loadcnt_dscnt 0x501
	v_mul_f64_e32 v[138:139], v[4:5], v[22:23]
	v_mul_f64_e32 v[22:23], v[6:7], v[22:23]
	s_wait_loadcnt_dscnt 0x400
	v_mul_f64_e32 v[18:19], v[8:9], v[112:113]
	v_mul_f64_e32 v[112:113], v[10:11], v[112:113]
	v_add_f64_e32 v[12:13], v[14:15], v[12:13]
	v_add_f64_e32 v[14:15], v[134:135], v[144:145]
	v_fmac_f64_e32 v[138:139], v[6:7], v[20:21]
	v_fma_f64 v[20:21], v[4:5], v[20:21], -v[22:23]
	v_fmac_f64_e32 v[18:19], v[10:11], v[110:111]
	v_fma_f64 v[8:9], v[8:9], v[110:111], -v[112:113]
	v_add_f64_e32 v[16:17], v[12:13], v[16:17]
	v_add_f64_e32 v[22:23], v[14:15], v[136:137]
	ds_load_b128 v[4:7], v2 offset:1296
	ds_load_b128 v[12:15], v2 offset:1312
	s_wait_loadcnt_dscnt 0x301
	v_mul_f64_e32 v[126:127], v[4:5], v[116:117]
	v_mul_f64_e32 v[116:117], v[6:7], v[116:117]
	v_add_f64_e32 v[10:11], v[16:17], v[20:21]
	v_add_f64_e32 v[16:17], v[22:23], v[138:139]
	s_wait_loadcnt_dscnt 0x200
	v_mul_f64_e32 v[20:21], v[12:13], v[120:121]
	v_mul_f64_e32 v[22:23], v[14:15], v[120:121]
	v_fmac_f64_e32 v[126:127], v[6:7], v[114:115]
	v_fma_f64 v[110:111], v[4:5], v[114:115], -v[116:117]
	ds_load_b128 v[4:7], v2 offset:1328
	v_add_f64_e32 v[8:9], v[10:11], v[8:9]
	v_add_f64_e32 v[10:11], v[16:17], v[18:19]
	v_fmac_f64_e32 v[20:21], v[14:15], v[118:119]
	v_fma_f64 v[12:13], v[12:13], v[118:119], -v[22:23]
	s_wait_loadcnt_dscnt 0x100
	v_mul_f64_e32 v[16:17], v[4:5], v[124:125]
	v_mul_f64_e32 v[18:19], v[6:7], v[124:125]
	v_add_f64_e32 v[8:9], v[8:9], v[110:111]
	v_add_f64_e32 v[10:11], v[10:11], v[126:127]
	s_delay_alu instid0(VALU_DEP_4) | instskip(NEXT) | instid1(VALU_DEP_4)
	v_fmac_f64_e32 v[16:17], v[6:7], v[122:123]
	v_fma_f64 v[4:5], v[4:5], v[122:123], -v[18:19]
	s_delay_alu instid0(VALU_DEP_4) | instskip(NEXT) | instid1(VALU_DEP_4)
	v_add_f64_e32 v[6:7], v[8:9], v[12:13]
	v_add_f64_e32 v[8:9], v[10:11], v[20:21]
	s_delay_alu instid0(VALU_DEP_2) | instskip(NEXT) | instid1(VALU_DEP_2)
	v_add_f64_e32 v[4:5], v[6:7], v[4:5]
	v_add_f64_e32 v[6:7], v[8:9], v[16:17]
	s_wait_loadcnt 0x0
	s_delay_alu instid0(VALU_DEP_2) | instskip(NEXT) | instid1(VALU_DEP_2)
	v_add_f64_e64 v[4:5], v[130:131], -v[4:5]
	v_add_f64_e64 v[6:7], v[132:133], -v[6:7]
	scratch_store_b128 off, v[4:7], off offset:512
	s_wait_xcnt 0x0
	v_cmpx_lt_u32_e32 31, v1
	s_cbranch_execz .LBB105_203
; %bb.202:
	scratch_load_b128 v[6:9], off, s26
	v_dual_mov_b32 v3, v2 :: v_dual_mov_b32 v4, v2
	v_mov_b32_e32 v5, v2
	scratch_store_b128 off, v[2:5], off offset:496
	s_wait_loadcnt 0x0
	ds_store_b128 v108, v[6:9]
.LBB105_203:
	s_wait_xcnt 0x0
	s_or_b32 exec_lo, exec_lo, s2
	s_wait_storecnt_dscnt 0x0
	s_barrier_signal -1
	s_barrier_wait -1
	s_clause 0x9
	scratch_load_b128 v[4:7], off, off offset:512
	scratch_load_b128 v[8:11], off, off offset:528
	;; [unrolled: 1-line block ×10, first 2 shown]
	ds_load_b128 v[130:133], v2 offset:1184
	ds_load_b128 v[134:137], v2 offset:1200
	scratch_load_b128 v[138:141], off, off offset:496
	s_mov_b32 s2, exec_lo
	s_wait_loadcnt_dscnt 0xa01
	v_mul_f64_e32 v[142:143], v[132:133], v[6:7]
	v_mul_f64_e32 v[144:145], v[130:131], v[6:7]
	s_wait_loadcnt_dscnt 0x900
	v_mul_f64_e32 v[146:147], v[134:135], v[10:11]
	v_mul_f64_e32 v[10:11], v[136:137], v[10:11]
	s_delay_alu instid0(VALU_DEP_4) | instskip(NEXT) | instid1(VALU_DEP_4)
	v_fma_f64 v[142:143], v[130:131], v[4:5], -v[142:143]
	v_fmac_f64_e32 v[144:145], v[132:133], v[4:5]
	ds_load_b128 v[4:7], v2 offset:1216
	ds_load_b128 v[130:133], v2 offset:1232
	v_fmac_f64_e32 v[146:147], v[136:137], v[8:9]
	v_fma_f64 v[8:9], v[134:135], v[8:9], -v[10:11]
	s_wait_loadcnt_dscnt 0x801
	v_mul_f64_e32 v[148:149], v[4:5], v[14:15]
	v_mul_f64_e32 v[14:15], v[6:7], v[14:15]
	s_wait_loadcnt_dscnt 0x700
	v_mul_f64_e32 v[136:137], v[130:131], v[18:19]
	v_mul_f64_e32 v[18:19], v[132:133], v[18:19]
	v_add_f64_e32 v[10:11], 0, v[142:143]
	v_add_f64_e32 v[134:135], 0, v[144:145]
	v_fmac_f64_e32 v[148:149], v[6:7], v[12:13]
	v_fma_f64 v[12:13], v[4:5], v[12:13], -v[14:15]
	v_fmac_f64_e32 v[136:137], v[132:133], v[16:17]
	v_fma_f64 v[16:17], v[130:131], v[16:17], -v[18:19]
	v_add_f64_e32 v[14:15], v[10:11], v[8:9]
	v_add_f64_e32 v[134:135], v[134:135], v[146:147]
	ds_load_b128 v[4:7], v2 offset:1248
	ds_load_b128 v[8:11], v2 offset:1264
	s_wait_loadcnt_dscnt 0x601
	v_mul_f64_e32 v[142:143], v[4:5], v[22:23]
	v_mul_f64_e32 v[22:23], v[6:7], v[22:23]
	s_wait_loadcnt_dscnt 0x500
	v_mul_f64_e32 v[18:19], v[8:9], v[112:113]
	v_mul_f64_e32 v[112:113], v[10:11], v[112:113]
	v_add_f64_e32 v[12:13], v[14:15], v[12:13]
	v_add_f64_e32 v[14:15], v[134:135], v[148:149]
	v_fmac_f64_e32 v[142:143], v[6:7], v[20:21]
	v_fma_f64 v[20:21], v[4:5], v[20:21], -v[22:23]
	v_fmac_f64_e32 v[18:19], v[10:11], v[110:111]
	v_fma_f64 v[8:9], v[8:9], v[110:111], -v[112:113]
	v_add_f64_e32 v[16:17], v[12:13], v[16:17]
	v_add_f64_e32 v[22:23], v[14:15], v[136:137]
	ds_load_b128 v[4:7], v2 offset:1280
	ds_load_b128 v[12:15], v2 offset:1296
	s_wait_loadcnt_dscnt 0x401
	v_mul_f64_e32 v[130:131], v[4:5], v[116:117]
	v_mul_f64_e32 v[116:117], v[6:7], v[116:117]
	v_add_f64_e32 v[10:11], v[16:17], v[20:21]
	v_add_f64_e32 v[16:17], v[22:23], v[142:143]
	s_wait_loadcnt_dscnt 0x300
	v_mul_f64_e32 v[20:21], v[12:13], v[120:121]
	v_mul_f64_e32 v[22:23], v[14:15], v[120:121]
	v_fmac_f64_e32 v[130:131], v[6:7], v[114:115]
	v_fma_f64 v[110:111], v[4:5], v[114:115], -v[116:117]
	v_add_f64_e32 v[112:113], v[10:11], v[8:9]
	v_add_f64_e32 v[16:17], v[16:17], v[18:19]
	ds_load_b128 v[4:7], v2 offset:1312
	ds_load_b128 v[8:11], v2 offset:1328
	v_fmac_f64_e32 v[20:21], v[14:15], v[118:119]
	v_fma_f64 v[12:13], v[12:13], v[118:119], -v[22:23]
	s_wait_loadcnt_dscnt 0x201
	v_mul_f64_e32 v[2:3], v[4:5], v[124:125]
	v_mul_f64_e32 v[18:19], v[6:7], v[124:125]
	s_wait_loadcnt_dscnt 0x100
	v_mul_f64_e32 v[22:23], v[8:9], v[128:129]
	v_add_f64_e32 v[14:15], v[112:113], v[110:111]
	v_add_f64_e32 v[16:17], v[16:17], v[130:131]
	v_mul_f64_e32 v[110:111], v[10:11], v[128:129]
	v_fmac_f64_e32 v[2:3], v[6:7], v[122:123]
	v_fma_f64 v[4:5], v[4:5], v[122:123], -v[18:19]
	v_fmac_f64_e32 v[22:23], v[10:11], v[126:127]
	v_add_f64_e32 v[6:7], v[14:15], v[12:13]
	v_add_f64_e32 v[12:13], v[16:17], v[20:21]
	v_fma_f64 v[8:9], v[8:9], v[126:127], -v[110:111]
	s_delay_alu instid0(VALU_DEP_3) | instskip(NEXT) | instid1(VALU_DEP_3)
	v_add_f64_e32 v[4:5], v[6:7], v[4:5]
	v_add_f64_e32 v[2:3], v[12:13], v[2:3]
	s_delay_alu instid0(VALU_DEP_2) | instskip(NEXT) | instid1(VALU_DEP_2)
	v_add_f64_e32 v[4:5], v[4:5], v[8:9]
	v_add_f64_e32 v[6:7], v[2:3], v[22:23]
	s_wait_loadcnt 0x0
	s_delay_alu instid0(VALU_DEP_2) | instskip(NEXT) | instid1(VALU_DEP_2)
	v_add_f64_e64 v[2:3], v[138:139], -v[4:5]
	v_add_f64_e64 v[4:5], v[140:141], -v[6:7]
	scratch_store_b128 off, v[2:5], off offset:496
	s_wait_xcnt 0x0
	v_cmpx_lt_u32_e32 30, v1
	s_cbranch_execz .LBB105_205
; %bb.204:
	scratch_load_b128 v[2:5], off, s27
	v_mov_b32_e32 v6, 0
	s_delay_alu instid0(VALU_DEP_1)
	v_dual_mov_b32 v7, v6 :: v_dual_mov_b32 v8, v6
	v_mov_b32_e32 v9, v6
	scratch_store_b128 off, v[6:9], off offset:480
	s_wait_loadcnt 0x0
	ds_store_b128 v108, v[2:5]
.LBB105_205:
	s_wait_xcnt 0x0
	s_or_b32 exec_lo, exec_lo, s2
	s_wait_storecnt_dscnt 0x0
	s_barrier_signal -1
	s_barrier_wait -1
	s_clause 0x9
	scratch_load_b128 v[4:7], off, off offset:496
	scratch_load_b128 v[8:11], off, off offset:512
	;; [unrolled: 1-line block ×10, first 2 shown]
	v_mov_b32_e32 v2, 0
	s_mov_b32 s2, exec_lo
	ds_load_b128 v[130:133], v2 offset:1168
	s_clause 0x1
	scratch_load_b128 v[134:137], off, off offset:656
	scratch_load_b128 v[138:141], off, off offset:480
	s_wait_loadcnt_dscnt 0xb00
	v_mul_f64_e32 v[146:147], v[132:133], v[6:7]
	v_mul_f64_e32 v[148:149], v[130:131], v[6:7]
	ds_load_b128 v[142:145], v2 offset:1184
	s_wait_loadcnt_dscnt 0xa00
	v_mul_f64_e32 v[150:151], v[142:143], v[10:11]
	v_mul_f64_e32 v[10:11], v[144:145], v[10:11]
	v_fma_f64 v[146:147], v[130:131], v[4:5], -v[146:147]
	v_fmac_f64_e32 v[148:149], v[132:133], v[4:5]
	ds_load_b128 v[4:7], v2 offset:1200
	ds_load_b128 v[130:133], v2 offset:1216
	s_wait_loadcnt_dscnt 0x901
	v_mul_f64_e32 v[152:153], v[4:5], v[14:15]
	v_mul_f64_e32 v[14:15], v[6:7], v[14:15]
	v_fmac_f64_e32 v[150:151], v[144:145], v[8:9]
	v_fma_f64 v[8:9], v[142:143], v[8:9], -v[10:11]
	s_wait_loadcnt_dscnt 0x800
	v_mul_f64_e32 v[144:145], v[130:131], v[18:19]
	v_mul_f64_e32 v[18:19], v[132:133], v[18:19]
	v_add_f64_e32 v[10:11], 0, v[146:147]
	v_add_f64_e32 v[142:143], 0, v[148:149]
	v_fmac_f64_e32 v[152:153], v[6:7], v[12:13]
	v_fma_f64 v[12:13], v[4:5], v[12:13], -v[14:15]
	v_fmac_f64_e32 v[144:145], v[132:133], v[16:17]
	v_fma_f64 v[16:17], v[130:131], v[16:17], -v[18:19]
	v_add_f64_e32 v[14:15], v[10:11], v[8:9]
	v_add_f64_e32 v[142:143], v[142:143], v[150:151]
	ds_load_b128 v[4:7], v2 offset:1232
	ds_load_b128 v[8:11], v2 offset:1248
	s_wait_loadcnt_dscnt 0x701
	v_mul_f64_e32 v[146:147], v[4:5], v[22:23]
	v_mul_f64_e32 v[22:23], v[6:7], v[22:23]
	s_wait_loadcnt_dscnt 0x600
	v_mul_f64_e32 v[18:19], v[8:9], v[112:113]
	v_mul_f64_e32 v[112:113], v[10:11], v[112:113]
	v_add_f64_e32 v[12:13], v[14:15], v[12:13]
	v_add_f64_e32 v[14:15], v[142:143], v[152:153]
	v_fmac_f64_e32 v[146:147], v[6:7], v[20:21]
	v_fma_f64 v[20:21], v[4:5], v[20:21], -v[22:23]
	v_fmac_f64_e32 v[18:19], v[10:11], v[110:111]
	v_fma_f64 v[8:9], v[8:9], v[110:111], -v[112:113]
	v_add_f64_e32 v[16:17], v[12:13], v[16:17]
	v_add_f64_e32 v[22:23], v[14:15], v[144:145]
	ds_load_b128 v[4:7], v2 offset:1264
	ds_load_b128 v[12:15], v2 offset:1280
	s_wait_loadcnt_dscnt 0x501
	v_mul_f64_e32 v[130:131], v[4:5], v[116:117]
	v_mul_f64_e32 v[116:117], v[6:7], v[116:117]
	v_add_f64_e32 v[10:11], v[16:17], v[20:21]
	v_add_f64_e32 v[16:17], v[22:23], v[146:147]
	s_wait_loadcnt_dscnt 0x400
	v_mul_f64_e32 v[20:21], v[12:13], v[120:121]
	v_mul_f64_e32 v[22:23], v[14:15], v[120:121]
	v_fmac_f64_e32 v[130:131], v[6:7], v[114:115]
	v_fma_f64 v[110:111], v[4:5], v[114:115], -v[116:117]
	v_add_f64_e32 v[112:113], v[10:11], v[8:9]
	v_add_f64_e32 v[16:17], v[16:17], v[18:19]
	ds_load_b128 v[4:7], v2 offset:1296
	ds_load_b128 v[8:11], v2 offset:1312
	v_fmac_f64_e32 v[20:21], v[14:15], v[118:119]
	v_fma_f64 v[12:13], v[12:13], v[118:119], -v[22:23]
	s_wait_loadcnt_dscnt 0x301
	v_mul_f64_e32 v[18:19], v[4:5], v[124:125]
	v_mul_f64_e32 v[114:115], v[6:7], v[124:125]
	s_wait_loadcnt_dscnt 0x200
	v_mul_f64_e32 v[22:23], v[8:9], v[128:129]
	v_add_f64_e32 v[14:15], v[112:113], v[110:111]
	v_add_f64_e32 v[16:17], v[16:17], v[130:131]
	v_mul_f64_e32 v[110:111], v[10:11], v[128:129]
	v_fmac_f64_e32 v[18:19], v[6:7], v[122:123]
	v_fma_f64 v[112:113], v[4:5], v[122:123], -v[114:115]
	ds_load_b128 v[4:7], v2 offset:1328
	v_fmac_f64_e32 v[22:23], v[10:11], v[126:127]
	v_add_f64_e32 v[12:13], v[14:15], v[12:13]
	v_add_f64_e32 v[14:15], v[16:17], v[20:21]
	v_fma_f64 v[8:9], v[8:9], v[126:127], -v[110:111]
	s_wait_loadcnt_dscnt 0x100
	v_mul_f64_e32 v[16:17], v[4:5], v[136:137]
	v_mul_f64_e32 v[20:21], v[6:7], v[136:137]
	v_add_f64_e32 v[10:11], v[12:13], v[112:113]
	v_add_f64_e32 v[12:13], v[14:15], v[18:19]
	s_delay_alu instid0(VALU_DEP_4) | instskip(NEXT) | instid1(VALU_DEP_4)
	v_fmac_f64_e32 v[16:17], v[6:7], v[134:135]
	v_fma_f64 v[4:5], v[4:5], v[134:135], -v[20:21]
	s_delay_alu instid0(VALU_DEP_4) | instskip(NEXT) | instid1(VALU_DEP_4)
	v_add_f64_e32 v[6:7], v[10:11], v[8:9]
	v_add_f64_e32 v[8:9], v[12:13], v[22:23]
	s_delay_alu instid0(VALU_DEP_2) | instskip(NEXT) | instid1(VALU_DEP_2)
	v_add_f64_e32 v[4:5], v[6:7], v[4:5]
	v_add_f64_e32 v[6:7], v[8:9], v[16:17]
	s_wait_loadcnt 0x0
	s_delay_alu instid0(VALU_DEP_2) | instskip(NEXT) | instid1(VALU_DEP_2)
	v_add_f64_e64 v[4:5], v[138:139], -v[4:5]
	v_add_f64_e64 v[6:7], v[140:141], -v[6:7]
	scratch_store_b128 off, v[4:7], off offset:480
	s_wait_xcnt 0x0
	v_cmpx_lt_u32_e32 29, v1
	s_cbranch_execz .LBB105_207
; %bb.206:
	scratch_load_b128 v[6:9], off, s28
	v_dual_mov_b32 v3, v2 :: v_dual_mov_b32 v4, v2
	v_mov_b32_e32 v5, v2
	scratch_store_b128 off, v[2:5], off offset:464
	s_wait_loadcnt 0x0
	ds_store_b128 v108, v[6:9]
.LBB105_207:
	s_wait_xcnt 0x0
	s_or_b32 exec_lo, exec_lo, s2
	s_wait_storecnt_dscnt 0x0
	s_barrier_signal -1
	s_barrier_wait -1
	s_clause 0x9
	scratch_load_b128 v[4:7], off, off offset:480
	scratch_load_b128 v[8:11], off, off offset:496
	;; [unrolled: 1-line block ×10, first 2 shown]
	ds_load_b128 v[130:133], v2 offset:1152
	ds_load_b128 v[138:141], v2 offset:1168
	s_clause 0x2
	scratch_load_b128 v[134:137], off, off offset:640
	scratch_load_b128 v[142:145], off, off offset:464
	scratch_load_b128 v[146:149], off, off offset:656
	s_mov_b32 s2, exec_lo
	s_wait_loadcnt_dscnt 0xc01
	v_mul_f64_e32 v[150:151], v[132:133], v[6:7]
	v_mul_f64_e32 v[152:153], v[130:131], v[6:7]
	s_wait_loadcnt_dscnt 0xb00
	v_mul_f64_e32 v[154:155], v[138:139], v[10:11]
	v_mul_f64_e32 v[10:11], v[140:141], v[10:11]
	s_delay_alu instid0(VALU_DEP_4) | instskip(NEXT) | instid1(VALU_DEP_4)
	v_fma_f64 v[150:151], v[130:131], v[4:5], -v[150:151]
	v_fmac_f64_e32 v[152:153], v[132:133], v[4:5]
	ds_load_b128 v[4:7], v2 offset:1184
	ds_load_b128 v[130:133], v2 offset:1200
	v_fmac_f64_e32 v[154:155], v[140:141], v[8:9]
	v_fma_f64 v[8:9], v[138:139], v[8:9], -v[10:11]
	s_wait_loadcnt_dscnt 0xa01
	v_mul_f64_e32 v[156:157], v[4:5], v[14:15]
	v_mul_f64_e32 v[14:15], v[6:7], v[14:15]
	s_wait_loadcnt_dscnt 0x900
	v_mul_f64_e32 v[140:141], v[130:131], v[18:19]
	v_mul_f64_e32 v[18:19], v[132:133], v[18:19]
	v_add_f64_e32 v[10:11], 0, v[150:151]
	v_add_f64_e32 v[138:139], 0, v[152:153]
	v_fmac_f64_e32 v[156:157], v[6:7], v[12:13]
	v_fma_f64 v[12:13], v[4:5], v[12:13], -v[14:15]
	v_fmac_f64_e32 v[140:141], v[132:133], v[16:17]
	v_fma_f64 v[16:17], v[130:131], v[16:17], -v[18:19]
	v_add_f64_e32 v[14:15], v[10:11], v[8:9]
	v_add_f64_e32 v[138:139], v[138:139], v[154:155]
	ds_load_b128 v[4:7], v2 offset:1216
	ds_load_b128 v[8:11], v2 offset:1232
	s_wait_loadcnt_dscnt 0x801
	v_mul_f64_e32 v[150:151], v[4:5], v[22:23]
	v_mul_f64_e32 v[22:23], v[6:7], v[22:23]
	s_wait_loadcnt_dscnt 0x700
	v_mul_f64_e32 v[18:19], v[8:9], v[112:113]
	v_mul_f64_e32 v[112:113], v[10:11], v[112:113]
	v_add_f64_e32 v[12:13], v[14:15], v[12:13]
	v_add_f64_e32 v[14:15], v[138:139], v[156:157]
	v_fmac_f64_e32 v[150:151], v[6:7], v[20:21]
	v_fma_f64 v[20:21], v[4:5], v[20:21], -v[22:23]
	v_fmac_f64_e32 v[18:19], v[10:11], v[110:111]
	v_fma_f64 v[8:9], v[8:9], v[110:111], -v[112:113]
	v_add_f64_e32 v[16:17], v[12:13], v[16:17]
	v_add_f64_e32 v[22:23], v[14:15], v[140:141]
	ds_load_b128 v[4:7], v2 offset:1248
	ds_load_b128 v[12:15], v2 offset:1264
	s_wait_loadcnt_dscnt 0x601
	v_mul_f64_e32 v[130:131], v[4:5], v[116:117]
	v_mul_f64_e32 v[116:117], v[6:7], v[116:117]
	v_add_f64_e32 v[10:11], v[16:17], v[20:21]
	v_add_f64_e32 v[16:17], v[22:23], v[150:151]
	s_wait_loadcnt_dscnt 0x500
	v_mul_f64_e32 v[20:21], v[12:13], v[120:121]
	v_mul_f64_e32 v[22:23], v[14:15], v[120:121]
	v_fmac_f64_e32 v[130:131], v[6:7], v[114:115]
	v_fma_f64 v[110:111], v[4:5], v[114:115], -v[116:117]
	v_add_f64_e32 v[112:113], v[10:11], v[8:9]
	v_add_f64_e32 v[16:17], v[16:17], v[18:19]
	ds_load_b128 v[4:7], v2 offset:1280
	ds_load_b128 v[8:11], v2 offset:1296
	v_fmac_f64_e32 v[20:21], v[14:15], v[118:119]
	v_fma_f64 v[12:13], v[12:13], v[118:119], -v[22:23]
	s_wait_loadcnt_dscnt 0x401
	v_mul_f64_e32 v[18:19], v[4:5], v[124:125]
	v_mul_f64_e32 v[114:115], v[6:7], v[124:125]
	s_wait_loadcnt_dscnt 0x300
	v_mul_f64_e32 v[22:23], v[8:9], v[128:129]
	v_add_f64_e32 v[14:15], v[112:113], v[110:111]
	v_add_f64_e32 v[16:17], v[16:17], v[130:131]
	v_mul_f64_e32 v[110:111], v[10:11], v[128:129]
	v_fmac_f64_e32 v[18:19], v[6:7], v[122:123]
	v_fma_f64 v[112:113], v[4:5], v[122:123], -v[114:115]
	v_fmac_f64_e32 v[22:23], v[10:11], v[126:127]
	v_add_f64_e32 v[114:115], v[14:15], v[12:13]
	v_add_f64_e32 v[16:17], v[16:17], v[20:21]
	ds_load_b128 v[4:7], v2 offset:1312
	ds_load_b128 v[12:15], v2 offset:1328
	v_fma_f64 v[8:9], v[8:9], v[126:127], -v[110:111]
	s_wait_loadcnt_dscnt 0x201
	v_mul_f64_e32 v[2:3], v[4:5], v[136:137]
	v_mul_f64_e32 v[20:21], v[6:7], v[136:137]
	s_wait_loadcnt_dscnt 0x0
	v_mul_f64_e32 v[110:111], v[14:15], v[148:149]
	v_add_f64_e32 v[10:11], v[114:115], v[112:113]
	v_add_f64_e32 v[16:17], v[16:17], v[18:19]
	v_mul_f64_e32 v[18:19], v[12:13], v[148:149]
	v_fmac_f64_e32 v[2:3], v[6:7], v[134:135]
	v_fma_f64 v[4:5], v[4:5], v[134:135], -v[20:21]
	v_add_f64_e32 v[6:7], v[10:11], v[8:9]
	v_add_f64_e32 v[8:9], v[16:17], v[22:23]
	v_fmac_f64_e32 v[18:19], v[14:15], v[146:147]
	v_fma_f64 v[10:11], v[12:13], v[146:147], -v[110:111]
	s_delay_alu instid0(VALU_DEP_4) | instskip(NEXT) | instid1(VALU_DEP_4)
	v_add_f64_e32 v[4:5], v[6:7], v[4:5]
	v_add_f64_e32 v[2:3], v[8:9], v[2:3]
	s_delay_alu instid0(VALU_DEP_2) | instskip(NEXT) | instid1(VALU_DEP_2)
	v_add_f64_e32 v[4:5], v[4:5], v[10:11]
	v_add_f64_e32 v[6:7], v[2:3], v[18:19]
	s_delay_alu instid0(VALU_DEP_2) | instskip(NEXT) | instid1(VALU_DEP_2)
	v_add_f64_e64 v[2:3], v[142:143], -v[4:5]
	v_add_f64_e64 v[4:5], v[144:145], -v[6:7]
	scratch_store_b128 off, v[2:5], off offset:464
	s_wait_xcnt 0x0
	v_cmpx_lt_u32_e32 28, v1
	s_cbranch_execz .LBB105_209
; %bb.208:
	scratch_load_b128 v[2:5], off, s29
	v_mov_b32_e32 v6, 0
	s_delay_alu instid0(VALU_DEP_1)
	v_dual_mov_b32 v7, v6 :: v_dual_mov_b32 v8, v6
	v_mov_b32_e32 v9, v6
	scratch_store_b128 off, v[6:9], off offset:448
	s_wait_loadcnt 0x0
	ds_store_b128 v108, v[2:5]
.LBB105_209:
	s_wait_xcnt 0x0
	s_or_b32 exec_lo, exec_lo, s2
	s_wait_storecnt_dscnt 0x0
	s_barrier_signal -1
	s_barrier_wait -1
	s_clause 0x9
	scratch_load_b128 v[4:7], off, off offset:464
	scratch_load_b128 v[8:11], off, off offset:480
	scratch_load_b128 v[12:15], off, off offset:496
	scratch_load_b128 v[16:19], off, off offset:512
	scratch_load_b128 v[20:23], off, off offset:528
	scratch_load_b128 v[110:113], off, off offset:544
	scratch_load_b128 v[114:117], off, off offset:560
	scratch_load_b128 v[118:121], off, off offset:576
	scratch_load_b128 v[122:125], off, off offset:592
	scratch_load_b128 v[126:129], off, off offset:608
	v_mov_b32_e32 v2, 0
	s_mov_b32 s2, exec_lo
	ds_load_b128 v[130:133], v2 offset:1136
	s_clause 0x2
	scratch_load_b128 v[134:137], off, off offset:624
	scratch_load_b128 v[138:141], off, off offset:448
	;; [unrolled: 1-line block ×3, first 2 shown]
	s_wait_loadcnt_dscnt 0xc00
	v_mul_f64_e32 v[150:151], v[132:133], v[6:7]
	v_mul_f64_e32 v[154:155], v[130:131], v[6:7]
	ds_load_b128 v[142:145], v2 offset:1152
	v_fma_f64 v[158:159], v[130:131], v[4:5], -v[150:151]
	v_fmac_f64_e32 v[154:155], v[132:133], v[4:5]
	ds_load_b128 v[4:7], v2 offset:1168
	s_wait_loadcnt_dscnt 0xb01
	v_mul_f64_e32 v[156:157], v[142:143], v[10:11]
	v_mul_f64_e32 v[10:11], v[144:145], v[10:11]
	scratch_load_b128 v[130:133], off, off offset:656
	ds_load_b128 v[150:153], v2 offset:1184
	s_wait_loadcnt_dscnt 0xb01
	v_mul_f64_e32 v[160:161], v[4:5], v[14:15]
	v_mul_f64_e32 v[14:15], v[6:7], v[14:15]
	v_fmac_f64_e32 v[156:157], v[144:145], v[8:9]
	v_fma_f64 v[8:9], v[142:143], v[8:9], -v[10:11]
	v_add_f64_e32 v[10:11], 0, v[158:159]
	v_add_f64_e32 v[142:143], 0, v[154:155]
	s_wait_loadcnt_dscnt 0xa00
	v_mul_f64_e32 v[144:145], v[150:151], v[18:19]
	v_mul_f64_e32 v[18:19], v[152:153], v[18:19]
	v_fmac_f64_e32 v[160:161], v[6:7], v[12:13]
	v_fma_f64 v[12:13], v[4:5], v[12:13], -v[14:15]
	v_add_f64_e32 v[14:15], v[10:11], v[8:9]
	v_add_f64_e32 v[142:143], v[142:143], v[156:157]
	ds_load_b128 v[4:7], v2 offset:1200
	ds_load_b128 v[8:11], v2 offset:1216
	v_fmac_f64_e32 v[144:145], v[152:153], v[16:17]
	v_fma_f64 v[16:17], v[150:151], v[16:17], -v[18:19]
	s_wait_loadcnt_dscnt 0x901
	v_mul_f64_e32 v[154:155], v[4:5], v[22:23]
	v_mul_f64_e32 v[22:23], v[6:7], v[22:23]
	s_wait_loadcnt_dscnt 0x800
	v_mul_f64_e32 v[18:19], v[8:9], v[112:113]
	v_mul_f64_e32 v[112:113], v[10:11], v[112:113]
	v_add_f64_e32 v[12:13], v[14:15], v[12:13]
	v_add_f64_e32 v[14:15], v[142:143], v[160:161]
	v_fmac_f64_e32 v[154:155], v[6:7], v[20:21]
	v_fma_f64 v[20:21], v[4:5], v[20:21], -v[22:23]
	v_fmac_f64_e32 v[18:19], v[10:11], v[110:111]
	v_fma_f64 v[8:9], v[8:9], v[110:111], -v[112:113]
	v_add_f64_e32 v[16:17], v[12:13], v[16:17]
	v_add_f64_e32 v[22:23], v[14:15], v[144:145]
	ds_load_b128 v[4:7], v2 offset:1232
	ds_load_b128 v[12:15], v2 offset:1248
	s_wait_loadcnt_dscnt 0x701
	v_mul_f64_e32 v[142:143], v[4:5], v[116:117]
	v_mul_f64_e32 v[116:117], v[6:7], v[116:117]
	v_add_f64_e32 v[10:11], v[16:17], v[20:21]
	v_add_f64_e32 v[16:17], v[22:23], v[154:155]
	s_wait_loadcnt_dscnt 0x600
	v_mul_f64_e32 v[20:21], v[12:13], v[120:121]
	v_mul_f64_e32 v[22:23], v[14:15], v[120:121]
	v_fmac_f64_e32 v[142:143], v[6:7], v[114:115]
	v_fma_f64 v[110:111], v[4:5], v[114:115], -v[116:117]
	v_add_f64_e32 v[112:113], v[10:11], v[8:9]
	v_add_f64_e32 v[16:17], v[16:17], v[18:19]
	ds_load_b128 v[4:7], v2 offset:1264
	ds_load_b128 v[8:11], v2 offset:1280
	v_fmac_f64_e32 v[20:21], v[14:15], v[118:119]
	v_fma_f64 v[12:13], v[12:13], v[118:119], -v[22:23]
	s_wait_loadcnt_dscnt 0x501
	v_mul_f64_e32 v[18:19], v[4:5], v[124:125]
	v_mul_f64_e32 v[114:115], v[6:7], v[124:125]
	s_wait_loadcnt_dscnt 0x400
	v_mul_f64_e32 v[22:23], v[8:9], v[128:129]
	v_add_f64_e32 v[14:15], v[112:113], v[110:111]
	v_add_f64_e32 v[16:17], v[16:17], v[142:143]
	v_mul_f64_e32 v[110:111], v[10:11], v[128:129]
	v_fmac_f64_e32 v[18:19], v[6:7], v[122:123]
	v_fma_f64 v[112:113], v[4:5], v[122:123], -v[114:115]
	v_fmac_f64_e32 v[22:23], v[10:11], v[126:127]
	v_add_f64_e32 v[114:115], v[14:15], v[12:13]
	v_add_f64_e32 v[16:17], v[16:17], v[20:21]
	ds_load_b128 v[4:7], v2 offset:1296
	ds_load_b128 v[12:15], v2 offset:1312
	v_fma_f64 v[8:9], v[8:9], v[126:127], -v[110:111]
	s_wait_loadcnt_dscnt 0x301
	v_mul_f64_e32 v[20:21], v[4:5], v[136:137]
	v_mul_f64_e32 v[116:117], v[6:7], v[136:137]
	s_wait_loadcnt_dscnt 0x100
	v_mul_f64_e32 v[110:111], v[14:15], v[148:149]
	v_add_f64_e32 v[10:11], v[114:115], v[112:113]
	v_add_f64_e32 v[16:17], v[16:17], v[18:19]
	v_mul_f64_e32 v[18:19], v[12:13], v[148:149]
	v_fmac_f64_e32 v[20:21], v[6:7], v[134:135]
	v_fma_f64 v[112:113], v[4:5], v[134:135], -v[116:117]
	ds_load_b128 v[4:7], v2 offset:1328
	v_fma_f64 v[12:13], v[12:13], v[146:147], -v[110:111]
	v_add_f64_e32 v[8:9], v[10:11], v[8:9]
	v_add_f64_e32 v[10:11], v[16:17], v[22:23]
	v_fmac_f64_e32 v[18:19], v[14:15], v[146:147]
	s_wait_loadcnt_dscnt 0x0
	v_mul_f64_e32 v[16:17], v[4:5], v[132:133]
	v_mul_f64_e32 v[22:23], v[6:7], v[132:133]
	v_add_f64_e32 v[8:9], v[8:9], v[112:113]
	v_add_f64_e32 v[10:11], v[10:11], v[20:21]
	s_delay_alu instid0(VALU_DEP_4) | instskip(NEXT) | instid1(VALU_DEP_4)
	v_fmac_f64_e32 v[16:17], v[6:7], v[130:131]
	v_fma_f64 v[4:5], v[4:5], v[130:131], -v[22:23]
	s_delay_alu instid0(VALU_DEP_4) | instskip(NEXT) | instid1(VALU_DEP_4)
	v_add_f64_e32 v[6:7], v[8:9], v[12:13]
	v_add_f64_e32 v[8:9], v[10:11], v[18:19]
	s_delay_alu instid0(VALU_DEP_2) | instskip(NEXT) | instid1(VALU_DEP_2)
	v_add_f64_e32 v[4:5], v[6:7], v[4:5]
	v_add_f64_e32 v[6:7], v[8:9], v[16:17]
	s_delay_alu instid0(VALU_DEP_2) | instskip(NEXT) | instid1(VALU_DEP_2)
	v_add_f64_e64 v[4:5], v[138:139], -v[4:5]
	v_add_f64_e64 v[6:7], v[140:141], -v[6:7]
	scratch_store_b128 off, v[4:7], off offset:448
	s_wait_xcnt 0x0
	v_cmpx_lt_u32_e32 27, v1
	s_cbranch_execz .LBB105_211
; %bb.210:
	scratch_load_b128 v[6:9], off, s30
	v_dual_mov_b32 v3, v2 :: v_dual_mov_b32 v4, v2
	v_mov_b32_e32 v5, v2
	scratch_store_b128 off, v[2:5], off offset:432
	s_wait_loadcnt 0x0
	ds_store_b128 v108, v[6:9]
.LBB105_211:
	s_wait_xcnt 0x0
	s_or_b32 exec_lo, exec_lo, s2
	s_wait_storecnt_dscnt 0x0
	s_barrier_signal -1
	s_barrier_wait -1
	s_clause 0x9
	scratch_load_b128 v[4:7], off, off offset:448
	scratch_load_b128 v[8:11], off, off offset:464
	;; [unrolled: 1-line block ×10, first 2 shown]
	ds_load_b128 v[130:133], v2 offset:1120
	ds_load_b128 v[138:141], v2 offset:1136
	s_clause 0x2
	scratch_load_b128 v[134:137], off, off offset:608
	scratch_load_b128 v[142:145], off, off offset:432
	;; [unrolled: 1-line block ×3, first 2 shown]
	s_mov_b32 s2, exec_lo
	s_wait_loadcnt_dscnt 0xc01
	v_mul_f64_e32 v[150:151], v[132:133], v[6:7]
	v_mul_f64_e32 v[154:155], v[130:131], v[6:7]
	s_wait_loadcnt_dscnt 0xb00
	v_mul_f64_e32 v[156:157], v[138:139], v[10:11]
	v_mul_f64_e32 v[10:11], v[140:141], v[10:11]
	s_delay_alu instid0(VALU_DEP_4) | instskip(NEXT) | instid1(VALU_DEP_4)
	v_fma_f64 v[158:159], v[130:131], v[4:5], -v[150:151]
	v_fmac_f64_e32 v[154:155], v[132:133], v[4:5]
	ds_load_b128 v[4:7], v2 offset:1152
	ds_load_b128 v[130:133], v2 offset:1168
	scratch_load_b128 v[150:153], off, off offset:640
	v_fmac_f64_e32 v[156:157], v[140:141], v[8:9]
	v_fma_f64 v[138:139], v[138:139], v[8:9], -v[10:11]
	scratch_load_b128 v[8:11], off, off offset:656
	s_wait_loadcnt_dscnt 0xc01
	v_mul_f64_e32 v[160:161], v[4:5], v[14:15]
	v_mul_f64_e32 v[14:15], v[6:7], v[14:15]
	v_add_f64_e32 v[140:141], 0, v[158:159]
	v_add_f64_e32 v[154:155], 0, v[154:155]
	s_wait_loadcnt_dscnt 0xb00
	v_mul_f64_e32 v[158:159], v[130:131], v[18:19]
	v_mul_f64_e32 v[18:19], v[132:133], v[18:19]
	v_fmac_f64_e32 v[160:161], v[6:7], v[12:13]
	v_fma_f64 v[162:163], v[4:5], v[12:13], -v[14:15]
	ds_load_b128 v[4:7], v2 offset:1184
	ds_load_b128 v[12:15], v2 offset:1200
	v_add_f64_e32 v[138:139], v[140:141], v[138:139]
	v_add_f64_e32 v[140:141], v[154:155], v[156:157]
	v_fmac_f64_e32 v[158:159], v[132:133], v[16:17]
	v_fma_f64 v[16:17], v[130:131], v[16:17], -v[18:19]
	s_wait_loadcnt_dscnt 0xa01
	v_mul_f64_e32 v[154:155], v[4:5], v[22:23]
	v_mul_f64_e32 v[22:23], v[6:7], v[22:23]
	s_wait_loadcnt_dscnt 0x900
	v_mul_f64_e32 v[132:133], v[12:13], v[112:113]
	v_mul_f64_e32 v[112:113], v[14:15], v[112:113]
	v_add_f64_e32 v[18:19], v[138:139], v[162:163]
	v_add_f64_e32 v[130:131], v[140:141], v[160:161]
	v_fmac_f64_e32 v[154:155], v[6:7], v[20:21]
	v_fma_f64 v[20:21], v[4:5], v[20:21], -v[22:23]
	v_fmac_f64_e32 v[132:133], v[14:15], v[110:111]
	v_fma_f64 v[12:13], v[12:13], v[110:111], -v[112:113]
	v_add_f64_e32 v[22:23], v[18:19], v[16:17]
	v_add_f64_e32 v[130:131], v[130:131], v[158:159]
	ds_load_b128 v[4:7], v2 offset:1216
	ds_load_b128 v[16:19], v2 offset:1232
	s_wait_loadcnt_dscnt 0x801
	v_mul_f64_e32 v[138:139], v[4:5], v[116:117]
	v_mul_f64_e32 v[116:117], v[6:7], v[116:117]
	s_wait_loadcnt_dscnt 0x700
	v_mul_f64_e32 v[110:111], v[18:19], v[120:121]
	v_add_f64_e32 v[14:15], v[22:23], v[20:21]
	v_add_f64_e32 v[20:21], v[130:131], v[154:155]
	v_mul_f64_e32 v[22:23], v[16:17], v[120:121]
	v_fmac_f64_e32 v[138:139], v[6:7], v[114:115]
	v_fma_f64 v[112:113], v[4:5], v[114:115], -v[116:117]
	v_fma_f64 v[16:17], v[16:17], v[118:119], -v[110:111]
	v_add_f64_e32 v[114:115], v[14:15], v[12:13]
	v_add_f64_e32 v[20:21], v[20:21], v[132:133]
	ds_load_b128 v[4:7], v2 offset:1248
	ds_load_b128 v[12:15], v2 offset:1264
	v_fmac_f64_e32 v[22:23], v[18:19], v[118:119]
	s_wait_loadcnt_dscnt 0x601
	v_mul_f64_e32 v[116:117], v[4:5], v[124:125]
	v_mul_f64_e32 v[120:121], v[6:7], v[124:125]
	s_wait_loadcnt_dscnt 0x500
	v_mul_f64_e32 v[110:111], v[12:13], v[128:129]
	v_add_f64_e32 v[18:19], v[114:115], v[112:113]
	v_add_f64_e32 v[20:21], v[20:21], v[138:139]
	v_mul_f64_e32 v[112:113], v[14:15], v[128:129]
	v_fmac_f64_e32 v[116:117], v[6:7], v[122:123]
	v_fma_f64 v[114:115], v[4:5], v[122:123], -v[120:121]
	v_fmac_f64_e32 v[110:111], v[14:15], v[126:127]
	v_add_f64_e32 v[118:119], v[18:19], v[16:17]
	v_add_f64_e32 v[20:21], v[20:21], v[22:23]
	ds_load_b128 v[4:7], v2 offset:1280
	ds_load_b128 v[16:19], v2 offset:1296
	v_fma_f64 v[12:13], v[12:13], v[126:127], -v[112:113]
	s_wait_loadcnt_dscnt 0x401
	v_mul_f64_e32 v[22:23], v[4:5], v[136:137]
	v_mul_f64_e32 v[120:121], v[6:7], v[136:137]
	s_wait_loadcnt_dscnt 0x200
	v_mul_f64_e32 v[112:113], v[16:17], v[148:149]
	v_add_f64_e32 v[14:15], v[118:119], v[114:115]
	v_add_f64_e32 v[20:21], v[20:21], v[116:117]
	v_mul_f64_e32 v[114:115], v[18:19], v[148:149]
	v_fmac_f64_e32 v[22:23], v[6:7], v[134:135]
	v_fma_f64 v[116:117], v[4:5], v[134:135], -v[120:121]
	v_fmac_f64_e32 v[112:113], v[18:19], v[146:147]
	v_add_f64_e32 v[118:119], v[14:15], v[12:13]
	v_add_f64_e32 v[20:21], v[20:21], v[110:111]
	ds_load_b128 v[4:7], v2 offset:1312
	ds_load_b128 v[12:15], v2 offset:1328
	v_fma_f64 v[16:17], v[16:17], v[146:147], -v[114:115]
	s_wait_loadcnt_dscnt 0x101
	v_mul_f64_e32 v[2:3], v[4:5], v[152:153]
	v_mul_f64_e32 v[110:111], v[6:7], v[152:153]
	v_add_f64_e32 v[18:19], v[118:119], v[116:117]
	v_add_f64_e32 v[20:21], v[20:21], v[22:23]
	s_wait_loadcnt_dscnt 0x0
	v_mul_f64_e32 v[22:23], v[12:13], v[10:11]
	v_mul_f64_e32 v[10:11], v[14:15], v[10:11]
	v_fmac_f64_e32 v[2:3], v[6:7], v[150:151]
	v_fma_f64 v[4:5], v[4:5], v[150:151], -v[110:111]
	v_add_f64_e32 v[6:7], v[18:19], v[16:17]
	v_add_f64_e32 v[16:17], v[20:21], v[112:113]
	v_fmac_f64_e32 v[22:23], v[14:15], v[8:9]
	v_fma_f64 v[8:9], v[12:13], v[8:9], -v[10:11]
	s_delay_alu instid0(VALU_DEP_4) | instskip(NEXT) | instid1(VALU_DEP_4)
	v_add_f64_e32 v[4:5], v[6:7], v[4:5]
	v_add_f64_e32 v[2:3], v[16:17], v[2:3]
	s_delay_alu instid0(VALU_DEP_2) | instskip(NEXT) | instid1(VALU_DEP_2)
	v_add_f64_e32 v[4:5], v[4:5], v[8:9]
	v_add_f64_e32 v[6:7], v[2:3], v[22:23]
	s_delay_alu instid0(VALU_DEP_2) | instskip(NEXT) | instid1(VALU_DEP_2)
	v_add_f64_e64 v[2:3], v[142:143], -v[4:5]
	v_add_f64_e64 v[4:5], v[144:145], -v[6:7]
	scratch_store_b128 off, v[2:5], off offset:432
	s_wait_xcnt 0x0
	v_cmpx_lt_u32_e32 26, v1
	s_cbranch_execz .LBB105_213
; %bb.212:
	scratch_load_b128 v[2:5], off, s31
	v_mov_b32_e32 v6, 0
	s_delay_alu instid0(VALU_DEP_1)
	v_dual_mov_b32 v7, v6 :: v_dual_mov_b32 v8, v6
	v_mov_b32_e32 v9, v6
	scratch_store_b128 off, v[6:9], off offset:416
	s_wait_loadcnt 0x0
	ds_store_b128 v108, v[2:5]
.LBB105_213:
	s_wait_xcnt 0x0
	s_or_b32 exec_lo, exec_lo, s2
	s_wait_storecnt_dscnt 0x0
	s_barrier_signal -1
	s_barrier_wait -1
	s_clause 0x9
	scratch_load_b128 v[4:7], off, off offset:432
	scratch_load_b128 v[8:11], off, off offset:448
	;; [unrolled: 1-line block ×10, first 2 shown]
	v_mov_b32_e32 v2, 0
	s_mov_b32 s2, exec_lo
	ds_load_b128 v[130:133], v2 offset:1104
	s_clause 0x2
	scratch_load_b128 v[134:137], off, off offset:592
	scratch_load_b128 v[138:141], off, off offset:416
	;; [unrolled: 1-line block ×3, first 2 shown]
	s_wait_loadcnt_dscnt 0xc00
	v_mul_f64_e32 v[150:151], v[132:133], v[6:7]
	v_mul_f64_e32 v[154:155], v[130:131], v[6:7]
	ds_load_b128 v[142:145], v2 offset:1120
	v_fma_f64 v[158:159], v[130:131], v[4:5], -v[150:151]
	v_fmac_f64_e32 v[154:155], v[132:133], v[4:5]
	ds_load_b128 v[4:7], v2 offset:1136
	s_wait_loadcnt_dscnt 0xb01
	v_mul_f64_e32 v[156:157], v[142:143], v[10:11]
	v_mul_f64_e32 v[10:11], v[144:145], v[10:11]
	scratch_load_b128 v[130:133], off, off offset:624
	ds_load_b128 v[150:153], v2 offset:1152
	s_wait_loadcnt_dscnt 0xb01
	v_mul_f64_e32 v[160:161], v[4:5], v[14:15]
	v_mul_f64_e32 v[14:15], v[6:7], v[14:15]
	v_add_f64_e32 v[154:155], 0, v[154:155]
	v_fmac_f64_e32 v[156:157], v[144:145], v[8:9]
	v_fma_f64 v[142:143], v[142:143], v[8:9], -v[10:11]
	v_add_f64_e32 v[144:145], 0, v[158:159]
	scratch_load_b128 v[8:11], off, off offset:640
	v_fmac_f64_e32 v[160:161], v[6:7], v[12:13]
	v_fma_f64 v[162:163], v[4:5], v[12:13], -v[14:15]
	ds_load_b128 v[4:7], v2 offset:1168
	s_wait_loadcnt_dscnt 0xb01
	v_mul_f64_e32 v[158:159], v[150:151], v[18:19]
	v_mul_f64_e32 v[18:19], v[152:153], v[18:19]
	scratch_load_b128 v[12:15], off, off offset:656
	v_add_f64_e32 v[154:155], v[154:155], v[156:157]
	v_add_f64_e32 v[164:165], v[144:145], v[142:143]
	ds_load_b128 v[142:145], v2 offset:1184
	s_wait_loadcnt_dscnt 0xb01
	v_mul_f64_e32 v[156:157], v[4:5], v[22:23]
	v_mul_f64_e32 v[22:23], v[6:7], v[22:23]
	v_fmac_f64_e32 v[158:159], v[152:153], v[16:17]
	v_fma_f64 v[16:17], v[150:151], v[16:17], -v[18:19]
	s_wait_loadcnt_dscnt 0xa00
	v_mul_f64_e32 v[152:153], v[142:143], v[112:113]
	v_mul_f64_e32 v[112:113], v[144:145], v[112:113]
	v_add_f64_e32 v[150:151], v[154:155], v[160:161]
	v_add_f64_e32 v[18:19], v[164:165], v[162:163]
	v_fmac_f64_e32 v[156:157], v[6:7], v[20:21]
	v_fma_f64 v[20:21], v[4:5], v[20:21], -v[22:23]
	v_fmac_f64_e32 v[152:153], v[144:145], v[110:111]
	v_fma_f64 v[110:111], v[142:143], v[110:111], -v[112:113]
	v_add_f64_e32 v[150:151], v[150:151], v[158:159]
	v_add_f64_e32 v[22:23], v[18:19], v[16:17]
	ds_load_b128 v[4:7], v2 offset:1200
	ds_load_b128 v[16:19], v2 offset:1216
	s_wait_loadcnt_dscnt 0x901
	v_mul_f64_e32 v[154:155], v[4:5], v[116:117]
	v_mul_f64_e32 v[116:117], v[6:7], v[116:117]
	s_wait_loadcnt_dscnt 0x800
	v_mul_f64_e32 v[112:113], v[16:17], v[120:121]
	v_mul_f64_e32 v[120:121], v[18:19], v[120:121]
	v_add_f64_e32 v[20:21], v[22:23], v[20:21]
	v_add_f64_e32 v[22:23], v[150:151], v[156:157]
	v_fmac_f64_e32 v[154:155], v[6:7], v[114:115]
	v_fma_f64 v[114:115], v[4:5], v[114:115], -v[116:117]
	v_fmac_f64_e32 v[112:113], v[18:19], v[118:119]
	v_fma_f64 v[16:17], v[16:17], v[118:119], -v[120:121]
	v_add_f64_e32 v[110:111], v[20:21], v[110:111]
	v_add_f64_e32 v[116:117], v[22:23], v[152:153]
	ds_load_b128 v[4:7], v2 offset:1232
	ds_load_b128 v[20:23], v2 offset:1248
	s_wait_loadcnt_dscnt 0x701
	v_mul_f64_e32 v[142:143], v[4:5], v[124:125]
	v_mul_f64_e32 v[124:125], v[6:7], v[124:125]
	v_add_f64_e32 v[18:19], v[110:111], v[114:115]
	v_add_f64_e32 v[110:111], v[116:117], v[154:155]
	s_wait_loadcnt_dscnt 0x600
	v_mul_f64_e32 v[114:115], v[20:21], v[128:129]
	v_mul_f64_e32 v[116:117], v[22:23], v[128:129]
	v_fmac_f64_e32 v[142:143], v[6:7], v[122:123]
	v_fma_f64 v[118:119], v[4:5], v[122:123], -v[124:125]
	v_add_f64_e32 v[120:121], v[18:19], v[16:17]
	v_add_f64_e32 v[110:111], v[110:111], v[112:113]
	ds_load_b128 v[4:7], v2 offset:1264
	ds_load_b128 v[16:19], v2 offset:1280
	v_fmac_f64_e32 v[114:115], v[22:23], v[126:127]
	v_fma_f64 v[20:21], v[20:21], v[126:127], -v[116:117]
	s_wait_loadcnt_dscnt 0x501
	v_mul_f64_e32 v[112:113], v[4:5], v[136:137]
	v_mul_f64_e32 v[122:123], v[6:7], v[136:137]
	s_wait_loadcnt_dscnt 0x300
	v_mul_f64_e32 v[116:117], v[16:17], v[148:149]
	v_add_f64_e32 v[22:23], v[120:121], v[118:119]
	v_add_f64_e32 v[110:111], v[110:111], v[142:143]
	v_mul_f64_e32 v[118:119], v[18:19], v[148:149]
	v_fmac_f64_e32 v[112:113], v[6:7], v[134:135]
	v_fma_f64 v[120:121], v[4:5], v[134:135], -v[122:123]
	v_fmac_f64_e32 v[116:117], v[18:19], v[146:147]
	v_add_f64_e32 v[122:123], v[22:23], v[20:21]
	v_add_f64_e32 v[110:111], v[110:111], v[114:115]
	ds_load_b128 v[4:7], v2 offset:1296
	ds_load_b128 v[20:23], v2 offset:1312
	v_fma_f64 v[16:17], v[16:17], v[146:147], -v[118:119]
	s_wait_loadcnt_dscnt 0x201
	v_mul_f64_e32 v[114:115], v[4:5], v[132:133]
	v_mul_f64_e32 v[124:125], v[6:7], v[132:133]
	v_add_f64_e32 v[18:19], v[122:123], v[120:121]
	v_add_f64_e32 v[110:111], v[110:111], v[112:113]
	s_wait_loadcnt_dscnt 0x100
	v_mul_f64_e32 v[112:113], v[20:21], v[10:11]
	v_mul_f64_e32 v[10:11], v[22:23], v[10:11]
	v_fmac_f64_e32 v[114:115], v[6:7], v[130:131]
	v_fma_f64 v[118:119], v[4:5], v[130:131], -v[124:125]
	ds_load_b128 v[4:7], v2 offset:1328
	v_add_f64_e32 v[16:17], v[18:19], v[16:17]
	v_add_f64_e32 v[18:19], v[110:111], v[116:117]
	v_fmac_f64_e32 v[112:113], v[22:23], v[8:9]
	v_fma_f64 v[8:9], v[20:21], v[8:9], -v[10:11]
	s_wait_loadcnt_dscnt 0x0
	v_mul_f64_e32 v[110:111], v[4:5], v[14:15]
	v_mul_f64_e32 v[14:15], v[6:7], v[14:15]
	v_add_f64_e32 v[10:11], v[16:17], v[118:119]
	v_add_f64_e32 v[16:17], v[18:19], v[114:115]
	s_delay_alu instid0(VALU_DEP_4) | instskip(NEXT) | instid1(VALU_DEP_4)
	v_fmac_f64_e32 v[110:111], v[6:7], v[12:13]
	v_fma_f64 v[4:5], v[4:5], v[12:13], -v[14:15]
	s_delay_alu instid0(VALU_DEP_4) | instskip(NEXT) | instid1(VALU_DEP_4)
	v_add_f64_e32 v[6:7], v[10:11], v[8:9]
	v_add_f64_e32 v[8:9], v[16:17], v[112:113]
	s_delay_alu instid0(VALU_DEP_2) | instskip(NEXT) | instid1(VALU_DEP_2)
	v_add_f64_e32 v[4:5], v[6:7], v[4:5]
	v_add_f64_e32 v[6:7], v[8:9], v[110:111]
	s_delay_alu instid0(VALU_DEP_2) | instskip(NEXT) | instid1(VALU_DEP_2)
	v_add_f64_e64 v[4:5], v[138:139], -v[4:5]
	v_add_f64_e64 v[6:7], v[140:141], -v[6:7]
	scratch_store_b128 off, v[4:7], off offset:416
	s_wait_xcnt 0x0
	v_cmpx_lt_u32_e32 25, v1
	s_cbranch_execz .LBB105_215
; %bb.214:
	scratch_load_b128 v[6:9], off, s33
	v_dual_mov_b32 v3, v2 :: v_dual_mov_b32 v4, v2
	v_mov_b32_e32 v5, v2
	scratch_store_b128 off, v[2:5], off offset:400
	s_wait_loadcnt 0x0
	ds_store_b128 v108, v[6:9]
.LBB105_215:
	s_wait_xcnt 0x0
	s_or_b32 exec_lo, exec_lo, s2
	s_wait_storecnt_dscnt 0x0
	s_barrier_signal -1
	s_barrier_wait -1
	s_clause 0x9
	scratch_load_b128 v[4:7], off, off offset:416
	scratch_load_b128 v[8:11], off, off offset:432
	;; [unrolled: 1-line block ×10, first 2 shown]
	ds_load_b128 v[130:133], v2 offset:1088
	ds_load_b128 v[138:141], v2 offset:1104
	s_clause 0x2
	scratch_load_b128 v[134:137], off, off offset:576
	scratch_load_b128 v[142:145], off, off offset:400
	;; [unrolled: 1-line block ×3, first 2 shown]
	s_mov_b32 s2, exec_lo
	s_wait_loadcnt_dscnt 0xc01
	v_mul_f64_e32 v[150:151], v[132:133], v[6:7]
	v_mul_f64_e32 v[154:155], v[130:131], v[6:7]
	s_wait_loadcnt_dscnt 0xb00
	v_mul_f64_e32 v[156:157], v[138:139], v[10:11]
	v_mul_f64_e32 v[10:11], v[140:141], v[10:11]
	s_delay_alu instid0(VALU_DEP_4) | instskip(NEXT) | instid1(VALU_DEP_4)
	v_fma_f64 v[158:159], v[130:131], v[4:5], -v[150:151]
	v_fmac_f64_e32 v[154:155], v[132:133], v[4:5]
	ds_load_b128 v[4:7], v2 offset:1120
	ds_load_b128 v[130:133], v2 offset:1136
	scratch_load_b128 v[150:153], off, off offset:608
	v_fmac_f64_e32 v[156:157], v[140:141], v[8:9]
	v_fma_f64 v[138:139], v[138:139], v[8:9], -v[10:11]
	scratch_load_b128 v[8:11], off, off offset:624
	s_wait_loadcnt_dscnt 0xc01
	v_mul_f64_e32 v[160:161], v[4:5], v[14:15]
	v_mul_f64_e32 v[14:15], v[6:7], v[14:15]
	v_add_f64_e32 v[140:141], 0, v[158:159]
	v_add_f64_e32 v[154:155], 0, v[154:155]
	s_wait_loadcnt_dscnt 0xb00
	v_mul_f64_e32 v[158:159], v[130:131], v[18:19]
	v_mul_f64_e32 v[18:19], v[132:133], v[18:19]
	v_fmac_f64_e32 v[160:161], v[6:7], v[12:13]
	v_fma_f64 v[162:163], v[4:5], v[12:13], -v[14:15]
	ds_load_b128 v[4:7], v2 offset:1152
	ds_load_b128 v[12:15], v2 offset:1168
	v_add_f64_e32 v[164:165], v[140:141], v[138:139]
	v_add_f64_e32 v[154:155], v[154:155], v[156:157]
	scratch_load_b128 v[138:141], off, off offset:640
	v_fmac_f64_e32 v[158:159], v[132:133], v[16:17]
	v_fma_f64 v[130:131], v[130:131], v[16:17], -v[18:19]
	scratch_load_b128 v[16:19], off, off offset:656
	s_wait_loadcnt_dscnt 0xc01
	v_mul_f64_e32 v[156:157], v[4:5], v[22:23]
	v_mul_f64_e32 v[22:23], v[6:7], v[22:23]
	v_add_f64_e32 v[132:133], v[164:165], v[162:163]
	v_add_f64_e32 v[154:155], v[154:155], v[160:161]
	s_wait_loadcnt_dscnt 0xb00
	v_mul_f64_e32 v[160:161], v[12:13], v[112:113]
	v_mul_f64_e32 v[112:113], v[14:15], v[112:113]
	v_fmac_f64_e32 v[156:157], v[6:7], v[20:21]
	v_fma_f64 v[162:163], v[4:5], v[20:21], -v[22:23]
	ds_load_b128 v[4:7], v2 offset:1184
	ds_load_b128 v[20:23], v2 offset:1200
	v_add_f64_e32 v[130:131], v[132:133], v[130:131]
	v_add_f64_e32 v[132:133], v[154:155], v[158:159]
	s_wait_loadcnt_dscnt 0xa01
	v_mul_f64_e32 v[154:155], v[4:5], v[116:117]
	v_mul_f64_e32 v[116:117], v[6:7], v[116:117]
	v_fmac_f64_e32 v[160:161], v[14:15], v[110:111]
	v_fma_f64 v[12:13], v[12:13], v[110:111], -v[112:113]
	s_wait_loadcnt_dscnt 0x900
	v_mul_f64_e32 v[112:113], v[20:21], v[120:121]
	v_mul_f64_e32 v[120:121], v[22:23], v[120:121]
	v_add_f64_e32 v[14:15], v[130:131], v[162:163]
	v_add_f64_e32 v[110:111], v[132:133], v[156:157]
	v_fmac_f64_e32 v[154:155], v[6:7], v[114:115]
	v_fma_f64 v[114:115], v[4:5], v[114:115], -v[116:117]
	v_fmac_f64_e32 v[112:113], v[22:23], v[118:119]
	v_fma_f64 v[20:21], v[20:21], v[118:119], -v[120:121]
	v_add_f64_e32 v[116:117], v[14:15], v[12:13]
	v_add_f64_e32 v[110:111], v[110:111], v[160:161]
	ds_load_b128 v[4:7], v2 offset:1216
	ds_load_b128 v[12:15], v2 offset:1232
	s_wait_loadcnt_dscnt 0x801
	v_mul_f64_e32 v[130:131], v[4:5], v[124:125]
	v_mul_f64_e32 v[124:125], v[6:7], v[124:125]
	v_add_f64_e32 v[22:23], v[116:117], v[114:115]
	v_add_f64_e32 v[110:111], v[110:111], v[154:155]
	s_wait_loadcnt_dscnt 0x700
	v_mul_f64_e32 v[114:115], v[12:13], v[128:129]
	v_mul_f64_e32 v[116:117], v[14:15], v[128:129]
	v_fmac_f64_e32 v[130:131], v[6:7], v[122:123]
	v_fma_f64 v[118:119], v[4:5], v[122:123], -v[124:125]
	v_add_f64_e32 v[120:121], v[22:23], v[20:21]
	v_add_f64_e32 v[110:111], v[110:111], v[112:113]
	ds_load_b128 v[4:7], v2 offset:1248
	ds_load_b128 v[20:23], v2 offset:1264
	v_fmac_f64_e32 v[114:115], v[14:15], v[126:127]
	v_fma_f64 v[12:13], v[12:13], v[126:127], -v[116:117]
	s_wait_loadcnt_dscnt 0x601
	v_mul_f64_e32 v[112:113], v[4:5], v[136:137]
	v_mul_f64_e32 v[122:123], v[6:7], v[136:137]
	s_wait_loadcnt_dscnt 0x400
	v_mul_f64_e32 v[116:117], v[20:21], v[148:149]
	v_add_f64_e32 v[14:15], v[120:121], v[118:119]
	v_add_f64_e32 v[110:111], v[110:111], v[130:131]
	v_mul_f64_e32 v[118:119], v[22:23], v[148:149]
	v_fmac_f64_e32 v[112:113], v[6:7], v[134:135]
	v_fma_f64 v[120:121], v[4:5], v[134:135], -v[122:123]
	v_fmac_f64_e32 v[116:117], v[22:23], v[146:147]
	v_add_f64_e32 v[122:123], v[14:15], v[12:13]
	v_add_f64_e32 v[110:111], v[110:111], v[114:115]
	ds_load_b128 v[4:7], v2 offset:1280
	ds_load_b128 v[12:15], v2 offset:1296
	v_fma_f64 v[20:21], v[20:21], v[146:147], -v[118:119]
	s_wait_loadcnt_dscnt 0x301
	v_mul_f64_e32 v[114:115], v[4:5], v[152:153]
	v_mul_f64_e32 v[124:125], v[6:7], v[152:153]
	v_add_f64_e32 v[22:23], v[122:123], v[120:121]
	v_add_f64_e32 v[110:111], v[110:111], v[112:113]
	s_wait_loadcnt_dscnt 0x200
	v_mul_f64_e32 v[112:113], v[12:13], v[10:11]
	v_mul_f64_e32 v[10:11], v[14:15], v[10:11]
	v_fmac_f64_e32 v[114:115], v[6:7], v[150:151]
	v_fma_f64 v[118:119], v[4:5], v[150:151], -v[124:125]
	v_add_f64_e32 v[120:121], v[22:23], v[20:21]
	v_add_f64_e32 v[110:111], v[110:111], v[116:117]
	ds_load_b128 v[4:7], v2 offset:1312
	ds_load_b128 v[20:23], v2 offset:1328
	v_fmac_f64_e32 v[112:113], v[14:15], v[8:9]
	v_fma_f64 v[8:9], v[12:13], v[8:9], -v[10:11]
	s_wait_loadcnt_dscnt 0x101
	v_mul_f64_e32 v[2:3], v[4:5], v[140:141]
	v_mul_f64_e32 v[116:117], v[6:7], v[140:141]
	s_wait_loadcnt_dscnt 0x0
	v_mul_f64_e32 v[14:15], v[20:21], v[18:19]
	v_mul_f64_e32 v[18:19], v[22:23], v[18:19]
	v_add_f64_e32 v[10:11], v[120:121], v[118:119]
	v_add_f64_e32 v[12:13], v[110:111], v[114:115]
	v_fmac_f64_e32 v[2:3], v[6:7], v[138:139]
	v_fma_f64 v[4:5], v[4:5], v[138:139], -v[116:117]
	v_fmac_f64_e32 v[14:15], v[22:23], v[16:17]
	v_add_f64_e32 v[6:7], v[10:11], v[8:9]
	v_add_f64_e32 v[8:9], v[12:13], v[112:113]
	v_fma_f64 v[10:11], v[20:21], v[16:17], -v[18:19]
	s_delay_alu instid0(VALU_DEP_3) | instskip(NEXT) | instid1(VALU_DEP_3)
	v_add_f64_e32 v[4:5], v[6:7], v[4:5]
	v_add_f64_e32 v[2:3], v[8:9], v[2:3]
	s_delay_alu instid0(VALU_DEP_2) | instskip(NEXT) | instid1(VALU_DEP_2)
	v_add_f64_e32 v[4:5], v[4:5], v[10:11]
	v_add_f64_e32 v[6:7], v[2:3], v[14:15]
	s_delay_alu instid0(VALU_DEP_2) | instskip(NEXT) | instid1(VALU_DEP_2)
	v_add_f64_e64 v[2:3], v[142:143], -v[4:5]
	v_add_f64_e64 v[4:5], v[144:145], -v[6:7]
	scratch_store_b128 off, v[2:5], off offset:400
	s_wait_xcnt 0x0
	v_cmpx_lt_u32_e32 24, v1
	s_cbranch_execz .LBB105_217
; %bb.216:
	scratch_load_b128 v[2:5], off, s34
	v_mov_b32_e32 v6, 0
	s_delay_alu instid0(VALU_DEP_1)
	v_dual_mov_b32 v7, v6 :: v_dual_mov_b32 v8, v6
	v_mov_b32_e32 v9, v6
	scratch_store_b128 off, v[6:9], off offset:384
	s_wait_loadcnt 0x0
	ds_store_b128 v108, v[2:5]
.LBB105_217:
	s_wait_xcnt 0x0
	s_or_b32 exec_lo, exec_lo, s2
	s_wait_storecnt_dscnt 0x0
	s_barrier_signal -1
	s_barrier_wait -1
	s_clause 0x9
	scratch_load_b128 v[4:7], off, off offset:400
	scratch_load_b128 v[8:11], off, off offset:416
	;; [unrolled: 1-line block ×10, first 2 shown]
	v_mov_b32_e32 v2, 0
	s_mov_b32 s2, exec_lo
	ds_load_b128 v[130:133], v2 offset:1072
	s_clause 0x2
	scratch_load_b128 v[134:137], off, off offset:560
	scratch_load_b128 v[138:141], off, off offset:384
	;; [unrolled: 1-line block ×3, first 2 shown]
	s_wait_loadcnt_dscnt 0xc00
	v_mul_f64_e32 v[150:151], v[132:133], v[6:7]
	v_mul_f64_e32 v[154:155], v[130:131], v[6:7]
	ds_load_b128 v[142:145], v2 offset:1088
	v_fma_f64 v[158:159], v[130:131], v[4:5], -v[150:151]
	v_fmac_f64_e32 v[154:155], v[132:133], v[4:5]
	ds_load_b128 v[4:7], v2 offset:1104
	s_wait_loadcnt_dscnt 0xb01
	v_mul_f64_e32 v[156:157], v[142:143], v[10:11]
	v_mul_f64_e32 v[10:11], v[144:145], v[10:11]
	scratch_load_b128 v[130:133], off, off offset:592
	ds_load_b128 v[150:153], v2 offset:1120
	s_wait_loadcnt_dscnt 0xb01
	v_mul_f64_e32 v[160:161], v[4:5], v[14:15]
	v_mul_f64_e32 v[14:15], v[6:7], v[14:15]
	v_add_f64_e32 v[154:155], 0, v[154:155]
	v_fmac_f64_e32 v[156:157], v[144:145], v[8:9]
	v_fma_f64 v[142:143], v[142:143], v[8:9], -v[10:11]
	v_add_f64_e32 v[144:145], 0, v[158:159]
	scratch_load_b128 v[8:11], off, off offset:608
	v_fmac_f64_e32 v[160:161], v[6:7], v[12:13]
	v_fma_f64 v[162:163], v[4:5], v[12:13], -v[14:15]
	ds_load_b128 v[4:7], v2 offset:1136
	s_wait_loadcnt_dscnt 0xb01
	v_mul_f64_e32 v[158:159], v[150:151], v[18:19]
	v_mul_f64_e32 v[18:19], v[152:153], v[18:19]
	scratch_load_b128 v[12:15], off, off offset:624
	v_add_f64_e32 v[154:155], v[154:155], v[156:157]
	v_add_f64_e32 v[164:165], v[144:145], v[142:143]
	ds_load_b128 v[142:145], v2 offset:1152
	s_wait_loadcnt_dscnt 0xb01
	v_mul_f64_e32 v[156:157], v[4:5], v[22:23]
	v_mul_f64_e32 v[22:23], v[6:7], v[22:23]
	v_fmac_f64_e32 v[158:159], v[152:153], v[16:17]
	v_fma_f64 v[150:151], v[150:151], v[16:17], -v[18:19]
	scratch_load_b128 v[16:19], off, off offset:640
	v_add_f64_e32 v[154:155], v[154:155], v[160:161]
	v_add_f64_e32 v[152:153], v[164:165], v[162:163]
	v_fmac_f64_e32 v[156:157], v[6:7], v[20:21]
	v_fma_f64 v[162:163], v[4:5], v[20:21], -v[22:23]
	ds_load_b128 v[4:7], v2 offset:1168
	s_wait_loadcnt_dscnt 0xb01
	v_mul_f64_e32 v[160:161], v[142:143], v[112:113]
	v_mul_f64_e32 v[112:113], v[144:145], v[112:113]
	scratch_load_b128 v[20:23], off, off offset:656
	v_add_f64_e32 v[154:155], v[154:155], v[158:159]
	s_wait_loadcnt_dscnt 0xb00
	v_mul_f64_e32 v[158:159], v[4:5], v[116:117]
	v_add_f64_e32 v[164:165], v[152:153], v[150:151]
	v_mul_f64_e32 v[116:117], v[6:7], v[116:117]
	ds_load_b128 v[150:153], v2 offset:1184
	v_fmac_f64_e32 v[160:161], v[144:145], v[110:111]
	v_fma_f64 v[110:111], v[142:143], v[110:111], -v[112:113]
	s_wait_loadcnt_dscnt 0xa00
	v_mul_f64_e32 v[144:145], v[150:151], v[120:121]
	v_mul_f64_e32 v[120:121], v[152:153], v[120:121]
	v_add_f64_e32 v[142:143], v[154:155], v[156:157]
	v_fmac_f64_e32 v[158:159], v[6:7], v[114:115]
	v_add_f64_e32 v[112:113], v[164:165], v[162:163]
	v_fma_f64 v[114:115], v[4:5], v[114:115], -v[116:117]
	v_fmac_f64_e32 v[144:145], v[152:153], v[118:119]
	v_fma_f64 v[118:119], v[150:151], v[118:119], -v[120:121]
	v_add_f64_e32 v[142:143], v[142:143], v[160:161]
	v_add_f64_e32 v[116:117], v[112:113], v[110:111]
	ds_load_b128 v[4:7], v2 offset:1200
	ds_load_b128 v[110:113], v2 offset:1216
	s_wait_loadcnt_dscnt 0x901
	v_mul_f64_e32 v[154:155], v[4:5], v[124:125]
	v_mul_f64_e32 v[124:125], v[6:7], v[124:125]
	s_wait_loadcnt_dscnt 0x800
	v_mul_f64_e32 v[120:121], v[110:111], v[128:129]
	v_mul_f64_e32 v[128:129], v[112:113], v[128:129]
	v_add_f64_e32 v[114:115], v[116:117], v[114:115]
	v_add_f64_e32 v[116:117], v[142:143], v[158:159]
	v_fmac_f64_e32 v[154:155], v[6:7], v[122:123]
	v_fma_f64 v[122:123], v[4:5], v[122:123], -v[124:125]
	v_fmac_f64_e32 v[120:121], v[112:113], v[126:127]
	v_fma_f64 v[110:111], v[110:111], v[126:127], -v[128:129]
	v_add_f64_e32 v[118:119], v[114:115], v[118:119]
	v_add_f64_e32 v[124:125], v[116:117], v[144:145]
	ds_load_b128 v[4:7], v2 offset:1232
	ds_load_b128 v[114:117], v2 offset:1248
	s_wait_loadcnt_dscnt 0x701
	v_mul_f64_e32 v[142:143], v[4:5], v[136:137]
	v_mul_f64_e32 v[136:137], v[6:7], v[136:137]
	v_add_f64_e32 v[112:113], v[118:119], v[122:123]
	v_add_f64_e32 v[118:119], v[124:125], v[154:155]
	s_wait_loadcnt_dscnt 0x500
	v_mul_f64_e32 v[122:123], v[114:115], v[148:149]
	v_mul_f64_e32 v[124:125], v[116:117], v[148:149]
	v_fmac_f64_e32 v[142:143], v[6:7], v[134:135]
	v_fma_f64 v[126:127], v[4:5], v[134:135], -v[136:137]
	v_add_f64_e32 v[128:129], v[112:113], v[110:111]
	v_add_f64_e32 v[118:119], v[118:119], v[120:121]
	ds_load_b128 v[4:7], v2 offset:1264
	ds_load_b128 v[110:113], v2 offset:1280
	v_fmac_f64_e32 v[122:123], v[116:117], v[146:147]
	v_fma_f64 v[114:115], v[114:115], v[146:147], -v[124:125]
	s_wait_loadcnt_dscnt 0x401
	v_mul_f64_e32 v[120:121], v[4:5], v[132:133]
	v_mul_f64_e32 v[132:133], v[6:7], v[132:133]
	v_add_f64_e32 v[116:117], v[128:129], v[126:127]
	v_add_f64_e32 v[118:119], v[118:119], v[142:143]
	s_wait_loadcnt_dscnt 0x300
	v_mul_f64_e32 v[124:125], v[110:111], v[10:11]
	v_mul_f64_e32 v[10:11], v[112:113], v[10:11]
	v_fmac_f64_e32 v[120:121], v[6:7], v[130:131]
	v_fma_f64 v[126:127], v[4:5], v[130:131], -v[132:133]
	v_add_f64_e32 v[128:129], v[116:117], v[114:115]
	v_add_f64_e32 v[118:119], v[118:119], v[122:123]
	ds_load_b128 v[4:7], v2 offset:1296
	ds_load_b128 v[114:117], v2 offset:1312
	v_fmac_f64_e32 v[124:125], v[112:113], v[8:9]
	v_fma_f64 v[8:9], v[110:111], v[8:9], -v[10:11]
	s_wait_loadcnt_dscnt 0x201
	v_mul_f64_e32 v[122:123], v[4:5], v[14:15]
	v_mul_f64_e32 v[14:15], v[6:7], v[14:15]
	s_wait_loadcnt_dscnt 0x100
	v_mul_f64_e32 v[112:113], v[114:115], v[18:19]
	v_mul_f64_e32 v[18:19], v[116:117], v[18:19]
	v_add_f64_e32 v[10:11], v[128:129], v[126:127]
	v_add_f64_e32 v[110:111], v[118:119], v[120:121]
	v_fmac_f64_e32 v[122:123], v[6:7], v[12:13]
	v_fma_f64 v[12:13], v[4:5], v[12:13], -v[14:15]
	ds_load_b128 v[4:7], v2 offset:1328
	v_fmac_f64_e32 v[112:113], v[116:117], v[16:17]
	v_fma_f64 v[16:17], v[114:115], v[16:17], -v[18:19]
	v_add_f64_e32 v[8:9], v[10:11], v[8:9]
	v_add_f64_e32 v[10:11], v[110:111], v[124:125]
	s_wait_loadcnt_dscnt 0x0
	v_mul_f64_e32 v[14:15], v[4:5], v[22:23]
	v_mul_f64_e32 v[22:23], v[6:7], v[22:23]
	s_delay_alu instid0(VALU_DEP_4) | instskip(NEXT) | instid1(VALU_DEP_4)
	v_add_f64_e32 v[8:9], v[8:9], v[12:13]
	v_add_f64_e32 v[10:11], v[10:11], v[122:123]
	s_delay_alu instid0(VALU_DEP_4) | instskip(NEXT) | instid1(VALU_DEP_4)
	v_fmac_f64_e32 v[14:15], v[6:7], v[20:21]
	v_fma_f64 v[4:5], v[4:5], v[20:21], -v[22:23]
	s_delay_alu instid0(VALU_DEP_4) | instskip(NEXT) | instid1(VALU_DEP_4)
	v_add_f64_e32 v[6:7], v[8:9], v[16:17]
	v_add_f64_e32 v[8:9], v[10:11], v[112:113]
	s_delay_alu instid0(VALU_DEP_2) | instskip(NEXT) | instid1(VALU_DEP_2)
	v_add_f64_e32 v[4:5], v[6:7], v[4:5]
	v_add_f64_e32 v[6:7], v[8:9], v[14:15]
	s_delay_alu instid0(VALU_DEP_2) | instskip(NEXT) | instid1(VALU_DEP_2)
	v_add_f64_e64 v[4:5], v[138:139], -v[4:5]
	v_add_f64_e64 v[6:7], v[140:141], -v[6:7]
	scratch_store_b128 off, v[4:7], off offset:384
	s_wait_xcnt 0x0
	v_cmpx_lt_u32_e32 23, v1
	s_cbranch_execz .LBB105_219
; %bb.218:
	scratch_load_b128 v[6:9], off, s35
	v_dual_mov_b32 v3, v2 :: v_dual_mov_b32 v4, v2
	v_mov_b32_e32 v5, v2
	scratch_store_b128 off, v[2:5], off offset:368
	s_wait_loadcnt 0x0
	ds_store_b128 v108, v[6:9]
.LBB105_219:
	s_wait_xcnt 0x0
	s_or_b32 exec_lo, exec_lo, s2
	s_wait_storecnt_dscnt 0x0
	s_barrier_signal -1
	s_barrier_wait -1
	s_clause 0x9
	scratch_load_b128 v[4:7], off, off offset:384
	scratch_load_b128 v[8:11], off, off offset:400
	;; [unrolled: 1-line block ×10, first 2 shown]
	ds_load_b128 v[130:133], v2 offset:1056
	ds_load_b128 v[138:141], v2 offset:1072
	s_clause 0x2
	scratch_load_b128 v[134:137], off, off offset:544
	scratch_load_b128 v[142:145], off, off offset:368
	;; [unrolled: 1-line block ×3, first 2 shown]
	s_mov_b32 s2, exec_lo
	s_wait_loadcnt_dscnt 0xc01
	v_mul_f64_e32 v[150:151], v[132:133], v[6:7]
	v_mul_f64_e32 v[154:155], v[130:131], v[6:7]
	s_wait_loadcnt_dscnt 0xb00
	v_mul_f64_e32 v[156:157], v[138:139], v[10:11]
	v_mul_f64_e32 v[10:11], v[140:141], v[10:11]
	s_delay_alu instid0(VALU_DEP_4) | instskip(NEXT) | instid1(VALU_DEP_4)
	v_fma_f64 v[158:159], v[130:131], v[4:5], -v[150:151]
	v_fmac_f64_e32 v[154:155], v[132:133], v[4:5]
	ds_load_b128 v[4:7], v2 offset:1088
	ds_load_b128 v[130:133], v2 offset:1104
	scratch_load_b128 v[150:153], off, off offset:576
	v_fmac_f64_e32 v[156:157], v[140:141], v[8:9]
	v_fma_f64 v[138:139], v[138:139], v[8:9], -v[10:11]
	scratch_load_b128 v[8:11], off, off offset:592
	s_wait_loadcnt_dscnt 0xc01
	v_mul_f64_e32 v[160:161], v[4:5], v[14:15]
	v_mul_f64_e32 v[14:15], v[6:7], v[14:15]
	v_add_f64_e32 v[140:141], 0, v[158:159]
	v_add_f64_e32 v[154:155], 0, v[154:155]
	s_wait_loadcnt_dscnt 0xb00
	v_mul_f64_e32 v[158:159], v[130:131], v[18:19]
	v_mul_f64_e32 v[18:19], v[132:133], v[18:19]
	v_fmac_f64_e32 v[160:161], v[6:7], v[12:13]
	v_fma_f64 v[162:163], v[4:5], v[12:13], -v[14:15]
	ds_load_b128 v[4:7], v2 offset:1120
	ds_load_b128 v[12:15], v2 offset:1136
	v_add_f64_e32 v[164:165], v[140:141], v[138:139]
	v_add_f64_e32 v[154:155], v[154:155], v[156:157]
	scratch_load_b128 v[138:141], off, off offset:608
	v_fmac_f64_e32 v[158:159], v[132:133], v[16:17]
	v_fma_f64 v[130:131], v[130:131], v[16:17], -v[18:19]
	scratch_load_b128 v[16:19], off, off offset:624
	s_wait_loadcnt_dscnt 0xc01
	v_mul_f64_e32 v[156:157], v[4:5], v[22:23]
	v_mul_f64_e32 v[22:23], v[6:7], v[22:23]
	v_add_f64_e32 v[132:133], v[164:165], v[162:163]
	v_add_f64_e32 v[154:155], v[154:155], v[160:161]
	s_wait_loadcnt_dscnt 0xb00
	v_mul_f64_e32 v[160:161], v[12:13], v[112:113]
	v_mul_f64_e32 v[112:113], v[14:15], v[112:113]
	v_fmac_f64_e32 v[156:157], v[6:7], v[20:21]
	v_fma_f64 v[162:163], v[4:5], v[20:21], -v[22:23]
	ds_load_b128 v[4:7], v2 offset:1152
	ds_load_b128 v[20:23], v2 offset:1168
	v_add_f64_e32 v[164:165], v[132:133], v[130:131]
	v_add_f64_e32 v[154:155], v[154:155], v[158:159]
	scratch_load_b128 v[130:133], off, off offset:640
	s_wait_loadcnt_dscnt 0xb01
	v_mul_f64_e32 v[158:159], v[4:5], v[116:117]
	v_mul_f64_e32 v[116:117], v[6:7], v[116:117]
	v_fmac_f64_e32 v[160:161], v[14:15], v[110:111]
	v_fma_f64 v[110:111], v[12:13], v[110:111], -v[112:113]
	scratch_load_b128 v[12:15], off, off offset:656
	v_add_f64_e32 v[112:113], v[164:165], v[162:163]
	v_add_f64_e32 v[154:155], v[154:155], v[156:157]
	s_wait_loadcnt_dscnt 0xb00
	v_mul_f64_e32 v[156:157], v[20:21], v[120:121]
	v_mul_f64_e32 v[120:121], v[22:23], v[120:121]
	v_fmac_f64_e32 v[158:159], v[6:7], v[114:115]
	v_fma_f64 v[114:115], v[4:5], v[114:115], -v[116:117]
	v_add_f64_e32 v[116:117], v[112:113], v[110:111]
	v_add_f64_e32 v[154:155], v[154:155], v[160:161]
	ds_load_b128 v[4:7], v2 offset:1184
	ds_load_b128 v[110:113], v2 offset:1200
	v_fmac_f64_e32 v[156:157], v[22:23], v[118:119]
	v_fma_f64 v[20:21], v[20:21], v[118:119], -v[120:121]
	s_wait_loadcnt_dscnt 0xa01
	v_mul_f64_e32 v[160:161], v[4:5], v[124:125]
	v_mul_f64_e32 v[124:125], v[6:7], v[124:125]
	s_wait_loadcnt_dscnt 0x900
	v_mul_f64_e32 v[118:119], v[112:113], v[128:129]
	v_add_f64_e32 v[22:23], v[116:117], v[114:115]
	v_add_f64_e32 v[114:115], v[154:155], v[158:159]
	v_mul_f64_e32 v[116:117], v[110:111], v[128:129]
	v_fmac_f64_e32 v[160:161], v[6:7], v[122:123]
	v_fma_f64 v[120:121], v[4:5], v[122:123], -v[124:125]
	v_fma_f64 v[110:111], v[110:111], v[126:127], -v[118:119]
	v_add_f64_e32 v[122:123], v[22:23], v[20:21]
	v_add_f64_e32 v[114:115], v[114:115], v[156:157]
	ds_load_b128 v[4:7], v2 offset:1216
	ds_load_b128 v[20:23], v2 offset:1232
	v_fmac_f64_e32 v[116:117], v[112:113], v[126:127]
	s_wait_loadcnt_dscnt 0x801
	v_mul_f64_e32 v[124:125], v[4:5], v[136:137]
	v_mul_f64_e32 v[128:129], v[6:7], v[136:137]
	s_wait_loadcnt_dscnt 0x600
	v_mul_f64_e32 v[118:119], v[20:21], v[148:149]
	v_add_f64_e32 v[112:113], v[122:123], v[120:121]
	v_add_f64_e32 v[114:115], v[114:115], v[160:161]
	v_mul_f64_e32 v[120:121], v[22:23], v[148:149]
	v_fmac_f64_e32 v[124:125], v[6:7], v[134:135]
	v_fma_f64 v[122:123], v[4:5], v[134:135], -v[128:129]
	v_fmac_f64_e32 v[118:119], v[22:23], v[146:147]
	v_add_f64_e32 v[126:127], v[112:113], v[110:111]
	v_add_f64_e32 v[114:115], v[114:115], v[116:117]
	ds_load_b128 v[4:7], v2 offset:1248
	ds_load_b128 v[110:113], v2 offset:1264
	v_fma_f64 v[20:21], v[20:21], v[146:147], -v[120:121]
	s_wait_loadcnt_dscnt 0x501
	v_mul_f64_e32 v[116:117], v[4:5], v[152:153]
	v_mul_f64_e32 v[128:129], v[6:7], v[152:153]
	s_wait_loadcnt_dscnt 0x400
	v_mul_f64_e32 v[120:121], v[110:111], v[10:11]
	v_mul_f64_e32 v[10:11], v[112:113], v[10:11]
	v_add_f64_e32 v[22:23], v[126:127], v[122:123]
	v_add_f64_e32 v[114:115], v[114:115], v[124:125]
	v_fmac_f64_e32 v[116:117], v[6:7], v[150:151]
	v_fma_f64 v[122:123], v[4:5], v[150:151], -v[128:129]
	v_fmac_f64_e32 v[120:121], v[112:113], v[8:9]
	v_fma_f64 v[8:9], v[110:111], v[8:9], -v[10:11]
	v_add_f64_e32 v[124:125], v[22:23], v[20:21]
	v_add_f64_e32 v[114:115], v[114:115], v[118:119]
	ds_load_b128 v[4:7], v2 offset:1280
	ds_load_b128 v[20:23], v2 offset:1296
	s_wait_loadcnt_dscnt 0x301
	v_mul_f64_e32 v[118:119], v[4:5], v[140:141]
	v_mul_f64_e32 v[126:127], v[6:7], v[140:141]
	s_wait_loadcnt_dscnt 0x200
	v_mul_f64_e32 v[112:113], v[20:21], v[18:19]
	v_mul_f64_e32 v[18:19], v[22:23], v[18:19]
	v_add_f64_e32 v[10:11], v[124:125], v[122:123]
	v_add_f64_e32 v[110:111], v[114:115], v[116:117]
	v_fmac_f64_e32 v[118:119], v[6:7], v[138:139]
	v_fma_f64 v[114:115], v[4:5], v[138:139], -v[126:127]
	v_fmac_f64_e32 v[112:113], v[22:23], v[16:17]
	v_fma_f64 v[16:17], v[20:21], v[16:17], -v[18:19]
	v_add_f64_e32 v[116:117], v[10:11], v[8:9]
	v_add_f64_e32 v[110:111], v[110:111], v[120:121]
	ds_load_b128 v[4:7], v2 offset:1312
	ds_load_b128 v[8:11], v2 offset:1328
	s_wait_loadcnt_dscnt 0x101
	v_mul_f64_e32 v[2:3], v[4:5], v[132:133]
	v_mul_f64_e32 v[120:121], v[6:7], v[132:133]
	s_wait_loadcnt_dscnt 0x0
	v_mul_f64_e32 v[22:23], v[8:9], v[14:15]
	v_mul_f64_e32 v[14:15], v[10:11], v[14:15]
	v_add_f64_e32 v[18:19], v[116:117], v[114:115]
	v_add_f64_e32 v[20:21], v[110:111], v[118:119]
	v_fmac_f64_e32 v[2:3], v[6:7], v[130:131]
	v_fma_f64 v[4:5], v[4:5], v[130:131], -v[120:121]
	v_fmac_f64_e32 v[22:23], v[10:11], v[12:13]
	v_fma_f64 v[8:9], v[8:9], v[12:13], -v[14:15]
	v_add_f64_e32 v[6:7], v[18:19], v[16:17]
	v_add_f64_e32 v[16:17], v[20:21], v[112:113]
	s_delay_alu instid0(VALU_DEP_2) | instskip(NEXT) | instid1(VALU_DEP_2)
	v_add_f64_e32 v[4:5], v[6:7], v[4:5]
	v_add_f64_e32 v[2:3], v[16:17], v[2:3]
	s_delay_alu instid0(VALU_DEP_2) | instskip(NEXT) | instid1(VALU_DEP_2)
	;; [unrolled: 3-line block ×3, first 2 shown]
	v_add_f64_e64 v[2:3], v[142:143], -v[4:5]
	v_add_f64_e64 v[4:5], v[144:145], -v[6:7]
	scratch_store_b128 off, v[2:5], off offset:368
	s_wait_xcnt 0x0
	v_cmpx_lt_u32_e32 22, v1
	s_cbranch_execz .LBB105_221
; %bb.220:
	scratch_load_b128 v[2:5], off, s36
	v_mov_b32_e32 v6, 0
	s_delay_alu instid0(VALU_DEP_1)
	v_dual_mov_b32 v7, v6 :: v_dual_mov_b32 v8, v6
	v_mov_b32_e32 v9, v6
	scratch_store_b128 off, v[6:9], off offset:352
	s_wait_loadcnt 0x0
	ds_store_b128 v108, v[2:5]
.LBB105_221:
	s_wait_xcnt 0x0
	s_or_b32 exec_lo, exec_lo, s2
	s_wait_storecnt_dscnt 0x0
	s_barrier_signal -1
	s_barrier_wait -1
	s_clause 0x9
	scratch_load_b128 v[4:7], off, off offset:368
	scratch_load_b128 v[8:11], off, off offset:384
	;; [unrolled: 1-line block ×10, first 2 shown]
	v_mov_b32_e32 v2, 0
	s_mov_b32 s2, exec_lo
	ds_load_b128 v[130:133], v2 offset:1040
	s_clause 0x2
	scratch_load_b128 v[134:137], off, off offset:528
	scratch_load_b128 v[138:141], off, off offset:352
	;; [unrolled: 1-line block ×3, first 2 shown]
	s_wait_loadcnt_dscnt 0xc00
	v_mul_f64_e32 v[150:151], v[132:133], v[6:7]
	v_mul_f64_e32 v[154:155], v[130:131], v[6:7]
	ds_load_b128 v[142:145], v2 offset:1056
	v_fma_f64 v[158:159], v[130:131], v[4:5], -v[150:151]
	v_fmac_f64_e32 v[154:155], v[132:133], v[4:5]
	ds_load_b128 v[4:7], v2 offset:1072
	s_wait_loadcnt_dscnt 0xb01
	v_mul_f64_e32 v[156:157], v[142:143], v[10:11]
	v_mul_f64_e32 v[10:11], v[144:145], v[10:11]
	scratch_load_b128 v[130:133], off, off offset:560
	ds_load_b128 v[150:153], v2 offset:1088
	s_wait_loadcnt_dscnt 0xb01
	v_mul_f64_e32 v[160:161], v[4:5], v[14:15]
	v_mul_f64_e32 v[14:15], v[6:7], v[14:15]
	v_add_f64_e32 v[154:155], 0, v[154:155]
	v_fmac_f64_e32 v[156:157], v[144:145], v[8:9]
	v_fma_f64 v[142:143], v[142:143], v[8:9], -v[10:11]
	v_add_f64_e32 v[144:145], 0, v[158:159]
	scratch_load_b128 v[8:11], off, off offset:576
	v_fmac_f64_e32 v[160:161], v[6:7], v[12:13]
	v_fma_f64 v[162:163], v[4:5], v[12:13], -v[14:15]
	ds_load_b128 v[4:7], v2 offset:1104
	s_wait_loadcnt_dscnt 0xb01
	v_mul_f64_e32 v[158:159], v[150:151], v[18:19]
	v_mul_f64_e32 v[18:19], v[152:153], v[18:19]
	scratch_load_b128 v[12:15], off, off offset:592
	v_add_f64_e32 v[154:155], v[154:155], v[156:157]
	v_add_f64_e32 v[164:165], v[144:145], v[142:143]
	ds_load_b128 v[142:145], v2 offset:1120
	s_wait_loadcnt_dscnt 0xb01
	v_mul_f64_e32 v[156:157], v[4:5], v[22:23]
	v_mul_f64_e32 v[22:23], v[6:7], v[22:23]
	v_fmac_f64_e32 v[158:159], v[152:153], v[16:17]
	v_fma_f64 v[150:151], v[150:151], v[16:17], -v[18:19]
	scratch_load_b128 v[16:19], off, off offset:608
	v_add_f64_e32 v[154:155], v[154:155], v[160:161]
	v_add_f64_e32 v[152:153], v[164:165], v[162:163]
	v_fmac_f64_e32 v[156:157], v[6:7], v[20:21]
	v_fma_f64 v[162:163], v[4:5], v[20:21], -v[22:23]
	ds_load_b128 v[4:7], v2 offset:1136
	s_wait_loadcnt_dscnt 0xb01
	v_mul_f64_e32 v[160:161], v[142:143], v[112:113]
	v_mul_f64_e32 v[112:113], v[144:145], v[112:113]
	scratch_load_b128 v[20:23], off, off offset:624
	v_add_f64_e32 v[154:155], v[154:155], v[158:159]
	s_wait_loadcnt_dscnt 0xb00
	v_mul_f64_e32 v[158:159], v[4:5], v[116:117]
	v_add_f64_e32 v[164:165], v[152:153], v[150:151]
	v_mul_f64_e32 v[116:117], v[6:7], v[116:117]
	ds_load_b128 v[150:153], v2 offset:1152
	v_fmac_f64_e32 v[160:161], v[144:145], v[110:111]
	v_fma_f64 v[142:143], v[142:143], v[110:111], -v[112:113]
	scratch_load_b128 v[110:113], off, off offset:640
	v_add_f64_e32 v[154:155], v[154:155], v[156:157]
	v_fmac_f64_e32 v[158:159], v[6:7], v[114:115]
	v_add_f64_e32 v[144:145], v[164:165], v[162:163]
	v_fma_f64 v[162:163], v[4:5], v[114:115], -v[116:117]
	ds_load_b128 v[4:7], v2 offset:1168
	s_wait_loadcnt_dscnt 0xb01
	v_mul_f64_e32 v[156:157], v[150:151], v[120:121]
	v_mul_f64_e32 v[120:121], v[152:153], v[120:121]
	scratch_load_b128 v[114:117], off, off offset:656
	v_add_f64_e32 v[154:155], v[154:155], v[160:161]
	s_wait_loadcnt_dscnt 0xb00
	v_mul_f64_e32 v[160:161], v[4:5], v[124:125]
	v_add_f64_e32 v[164:165], v[144:145], v[142:143]
	v_mul_f64_e32 v[124:125], v[6:7], v[124:125]
	ds_load_b128 v[142:145], v2 offset:1184
	v_fmac_f64_e32 v[156:157], v[152:153], v[118:119]
	v_fma_f64 v[118:119], v[150:151], v[118:119], -v[120:121]
	s_wait_loadcnt_dscnt 0xa00
	v_mul_f64_e32 v[152:153], v[142:143], v[128:129]
	v_mul_f64_e32 v[128:129], v[144:145], v[128:129]
	v_add_f64_e32 v[150:151], v[154:155], v[158:159]
	v_fmac_f64_e32 v[160:161], v[6:7], v[122:123]
	v_add_f64_e32 v[120:121], v[164:165], v[162:163]
	v_fma_f64 v[122:123], v[4:5], v[122:123], -v[124:125]
	v_fmac_f64_e32 v[152:153], v[144:145], v[126:127]
	v_fma_f64 v[126:127], v[142:143], v[126:127], -v[128:129]
	v_add_f64_e32 v[150:151], v[150:151], v[156:157]
	v_add_f64_e32 v[124:125], v[120:121], v[118:119]
	ds_load_b128 v[4:7], v2 offset:1200
	ds_load_b128 v[118:121], v2 offset:1216
	s_wait_loadcnt_dscnt 0x901
	v_mul_f64_e32 v[154:155], v[4:5], v[136:137]
	v_mul_f64_e32 v[136:137], v[6:7], v[136:137]
	s_wait_loadcnt_dscnt 0x700
	v_mul_f64_e32 v[128:129], v[118:119], v[148:149]
	v_mul_f64_e32 v[142:143], v[120:121], v[148:149]
	v_add_f64_e32 v[122:123], v[124:125], v[122:123]
	v_add_f64_e32 v[124:125], v[150:151], v[160:161]
	v_fmac_f64_e32 v[154:155], v[6:7], v[134:135]
	v_fma_f64 v[134:135], v[4:5], v[134:135], -v[136:137]
	v_fmac_f64_e32 v[128:129], v[120:121], v[146:147]
	v_fma_f64 v[118:119], v[118:119], v[146:147], -v[142:143]
	v_add_f64_e32 v[126:127], v[122:123], v[126:127]
	v_add_f64_e32 v[136:137], v[124:125], v[152:153]
	ds_load_b128 v[4:7], v2 offset:1232
	ds_load_b128 v[122:125], v2 offset:1248
	s_wait_loadcnt_dscnt 0x601
	v_mul_f64_e32 v[144:145], v[4:5], v[132:133]
	v_mul_f64_e32 v[132:133], v[6:7], v[132:133]
	v_add_f64_e32 v[120:121], v[126:127], v[134:135]
	v_add_f64_e32 v[126:127], v[136:137], v[154:155]
	s_wait_loadcnt_dscnt 0x500
	v_mul_f64_e32 v[134:135], v[122:123], v[10:11]
	v_mul_f64_e32 v[10:11], v[124:125], v[10:11]
	v_fmac_f64_e32 v[144:145], v[6:7], v[130:131]
	v_fma_f64 v[130:131], v[4:5], v[130:131], -v[132:133]
	v_add_f64_e32 v[132:133], v[120:121], v[118:119]
	v_add_f64_e32 v[126:127], v[126:127], v[128:129]
	ds_load_b128 v[4:7], v2 offset:1264
	ds_load_b128 v[118:121], v2 offset:1280
	v_fmac_f64_e32 v[134:135], v[124:125], v[8:9]
	v_fma_f64 v[8:9], v[122:123], v[8:9], -v[10:11]
	s_wait_loadcnt_dscnt 0x401
	v_mul_f64_e32 v[128:129], v[4:5], v[14:15]
	v_mul_f64_e32 v[14:15], v[6:7], v[14:15]
	s_wait_loadcnt_dscnt 0x300
	v_mul_f64_e32 v[124:125], v[118:119], v[18:19]
	v_mul_f64_e32 v[18:19], v[120:121], v[18:19]
	v_add_f64_e32 v[10:11], v[132:133], v[130:131]
	v_add_f64_e32 v[122:123], v[126:127], v[144:145]
	v_fmac_f64_e32 v[128:129], v[6:7], v[12:13]
	v_fma_f64 v[12:13], v[4:5], v[12:13], -v[14:15]
	v_fmac_f64_e32 v[124:125], v[120:121], v[16:17]
	v_fma_f64 v[16:17], v[118:119], v[16:17], -v[18:19]
	v_add_f64_e32 v[14:15], v[10:11], v[8:9]
	v_add_f64_e32 v[122:123], v[122:123], v[134:135]
	ds_load_b128 v[4:7], v2 offset:1296
	ds_load_b128 v[8:11], v2 offset:1312
	s_wait_loadcnt_dscnt 0x201
	v_mul_f64_e32 v[126:127], v[4:5], v[22:23]
	v_mul_f64_e32 v[22:23], v[6:7], v[22:23]
	s_wait_loadcnt_dscnt 0x100
	v_mul_f64_e32 v[18:19], v[8:9], v[112:113]
	v_mul_f64_e32 v[112:113], v[10:11], v[112:113]
	v_add_f64_e32 v[12:13], v[14:15], v[12:13]
	v_add_f64_e32 v[14:15], v[122:123], v[128:129]
	v_fmac_f64_e32 v[126:127], v[6:7], v[20:21]
	v_fma_f64 v[20:21], v[4:5], v[20:21], -v[22:23]
	ds_load_b128 v[4:7], v2 offset:1328
	v_fmac_f64_e32 v[18:19], v[10:11], v[110:111]
	v_fma_f64 v[8:9], v[8:9], v[110:111], -v[112:113]
	v_add_f64_e32 v[12:13], v[12:13], v[16:17]
	v_add_f64_e32 v[14:15], v[14:15], v[124:125]
	s_wait_loadcnt_dscnt 0x0
	v_mul_f64_e32 v[16:17], v[4:5], v[116:117]
	v_mul_f64_e32 v[22:23], v[6:7], v[116:117]
	s_delay_alu instid0(VALU_DEP_4) | instskip(NEXT) | instid1(VALU_DEP_4)
	v_add_f64_e32 v[10:11], v[12:13], v[20:21]
	v_add_f64_e32 v[12:13], v[14:15], v[126:127]
	s_delay_alu instid0(VALU_DEP_4) | instskip(NEXT) | instid1(VALU_DEP_4)
	v_fmac_f64_e32 v[16:17], v[6:7], v[114:115]
	v_fma_f64 v[4:5], v[4:5], v[114:115], -v[22:23]
	s_delay_alu instid0(VALU_DEP_4) | instskip(NEXT) | instid1(VALU_DEP_4)
	v_add_f64_e32 v[6:7], v[10:11], v[8:9]
	v_add_f64_e32 v[8:9], v[12:13], v[18:19]
	s_delay_alu instid0(VALU_DEP_2) | instskip(NEXT) | instid1(VALU_DEP_2)
	v_add_f64_e32 v[4:5], v[6:7], v[4:5]
	v_add_f64_e32 v[6:7], v[8:9], v[16:17]
	s_delay_alu instid0(VALU_DEP_2) | instskip(NEXT) | instid1(VALU_DEP_2)
	v_add_f64_e64 v[4:5], v[138:139], -v[4:5]
	v_add_f64_e64 v[6:7], v[140:141], -v[6:7]
	scratch_store_b128 off, v[4:7], off offset:352
	s_wait_xcnt 0x0
	v_cmpx_lt_u32_e32 21, v1
	s_cbranch_execz .LBB105_223
; %bb.222:
	scratch_load_b128 v[6:9], off, s37
	v_dual_mov_b32 v3, v2 :: v_dual_mov_b32 v4, v2
	v_mov_b32_e32 v5, v2
	scratch_store_b128 off, v[2:5], off offset:336
	s_wait_loadcnt 0x0
	ds_store_b128 v108, v[6:9]
.LBB105_223:
	s_wait_xcnt 0x0
	s_or_b32 exec_lo, exec_lo, s2
	s_wait_storecnt_dscnt 0x0
	s_barrier_signal -1
	s_barrier_wait -1
	s_clause 0x9
	scratch_load_b128 v[4:7], off, off offset:352
	scratch_load_b128 v[8:11], off, off offset:368
	scratch_load_b128 v[12:15], off, off offset:384
	scratch_load_b128 v[16:19], off, off offset:400
	scratch_load_b128 v[20:23], off, off offset:416
	scratch_load_b128 v[110:113], off, off offset:432
	scratch_load_b128 v[114:117], off, off offset:448
	scratch_load_b128 v[118:121], off, off offset:464
	scratch_load_b128 v[122:125], off, off offset:480
	scratch_load_b128 v[126:129], off, off offset:496
	ds_load_b128 v[130:133], v2 offset:1024
	ds_load_b128 v[138:141], v2 offset:1040
	s_clause 0x2
	scratch_load_b128 v[134:137], off, off offset:512
	scratch_load_b128 v[142:145], off, off offset:336
	scratch_load_b128 v[146:149], off, off offset:528
	s_mov_b32 s2, exec_lo
	s_wait_loadcnt_dscnt 0xc01
	v_mul_f64_e32 v[150:151], v[132:133], v[6:7]
	v_mul_f64_e32 v[154:155], v[130:131], v[6:7]
	s_wait_loadcnt_dscnt 0xb00
	v_mul_f64_e32 v[156:157], v[138:139], v[10:11]
	v_mul_f64_e32 v[10:11], v[140:141], v[10:11]
	s_delay_alu instid0(VALU_DEP_4) | instskip(NEXT) | instid1(VALU_DEP_4)
	v_fma_f64 v[158:159], v[130:131], v[4:5], -v[150:151]
	v_fmac_f64_e32 v[154:155], v[132:133], v[4:5]
	ds_load_b128 v[4:7], v2 offset:1056
	ds_load_b128 v[130:133], v2 offset:1072
	scratch_load_b128 v[150:153], off, off offset:544
	v_fmac_f64_e32 v[156:157], v[140:141], v[8:9]
	v_fma_f64 v[138:139], v[138:139], v[8:9], -v[10:11]
	scratch_load_b128 v[8:11], off, off offset:560
	s_wait_loadcnt_dscnt 0xc01
	v_mul_f64_e32 v[160:161], v[4:5], v[14:15]
	v_mul_f64_e32 v[14:15], v[6:7], v[14:15]
	v_add_f64_e32 v[140:141], 0, v[158:159]
	v_add_f64_e32 v[154:155], 0, v[154:155]
	s_wait_loadcnt_dscnt 0xb00
	v_mul_f64_e32 v[158:159], v[130:131], v[18:19]
	v_mul_f64_e32 v[18:19], v[132:133], v[18:19]
	v_fmac_f64_e32 v[160:161], v[6:7], v[12:13]
	v_fma_f64 v[162:163], v[4:5], v[12:13], -v[14:15]
	ds_load_b128 v[4:7], v2 offset:1088
	ds_load_b128 v[12:15], v2 offset:1104
	v_add_f64_e32 v[164:165], v[140:141], v[138:139]
	v_add_f64_e32 v[154:155], v[154:155], v[156:157]
	scratch_load_b128 v[138:141], off, off offset:576
	v_fmac_f64_e32 v[158:159], v[132:133], v[16:17]
	v_fma_f64 v[130:131], v[130:131], v[16:17], -v[18:19]
	scratch_load_b128 v[16:19], off, off offset:592
	s_wait_loadcnt_dscnt 0xc01
	v_mul_f64_e32 v[156:157], v[4:5], v[22:23]
	v_mul_f64_e32 v[22:23], v[6:7], v[22:23]
	v_add_f64_e32 v[132:133], v[164:165], v[162:163]
	v_add_f64_e32 v[154:155], v[154:155], v[160:161]
	s_wait_loadcnt_dscnt 0xb00
	v_mul_f64_e32 v[160:161], v[12:13], v[112:113]
	v_mul_f64_e32 v[112:113], v[14:15], v[112:113]
	v_fmac_f64_e32 v[156:157], v[6:7], v[20:21]
	v_fma_f64 v[162:163], v[4:5], v[20:21], -v[22:23]
	ds_load_b128 v[4:7], v2 offset:1120
	ds_load_b128 v[20:23], v2 offset:1136
	v_add_f64_e32 v[164:165], v[132:133], v[130:131]
	v_add_f64_e32 v[154:155], v[154:155], v[158:159]
	scratch_load_b128 v[130:133], off, off offset:608
	s_wait_loadcnt_dscnt 0xb01
	v_mul_f64_e32 v[158:159], v[4:5], v[116:117]
	v_mul_f64_e32 v[116:117], v[6:7], v[116:117]
	v_fmac_f64_e32 v[160:161], v[14:15], v[110:111]
	v_fma_f64 v[110:111], v[12:13], v[110:111], -v[112:113]
	scratch_load_b128 v[12:15], off, off offset:624
	v_add_f64_e32 v[112:113], v[164:165], v[162:163]
	v_add_f64_e32 v[154:155], v[154:155], v[156:157]
	s_wait_loadcnt_dscnt 0xb00
	v_mul_f64_e32 v[156:157], v[20:21], v[120:121]
	v_mul_f64_e32 v[120:121], v[22:23], v[120:121]
	v_fmac_f64_e32 v[158:159], v[6:7], v[114:115]
	v_fma_f64 v[162:163], v[4:5], v[114:115], -v[116:117]
	v_add_f64_e32 v[164:165], v[112:113], v[110:111]
	v_add_f64_e32 v[154:155], v[154:155], v[160:161]
	ds_load_b128 v[4:7], v2 offset:1152
	ds_load_b128 v[110:113], v2 offset:1168
	scratch_load_b128 v[114:117], off, off offset:640
	v_fmac_f64_e32 v[156:157], v[22:23], v[118:119]
	v_fma_f64 v[118:119], v[20:21], v[118:119], -v[120:121]
	scratch_load_b128 v[20:23], off, off offset:656
	s_wait_loadcnt_dscnt 0xc01
	v_mul_f64_e32 v[160:161], v[4:5], v[124:125]
	v_mul_f64_e32 v[124:125], v[6:7], v[124:125]
	v_add_f64_e32 v[120:121], v[164:165], v[162:163]
	v_add_f64_e32 v[154:155], v[154:155], v[158:159]
	s_wait_loadcnt_dscnt 0xb00
	v_mul_f64_e32 v[158:159], v[110:111], v[128:129]
	v_mul_f64_e32 v[128:129], v[112:113], v[128:129]
	v_fmac_f64_e32 v[160:161], v[6:7], v[122:123]
	v_fma_f64 v[122:123], v[4:5], v[122:123], -v[124:125]
	v_add_f64_e32 v[124:125], v[120:121], v[118:119]
	v_add_f64_e32 v[154:155], v[154:155], v[156:157]
	ds_load_b128 v[4:7], v2 offset:1184
	ds_load_b128 v[118:121], v2 offset:1200
	v_fmac_f64_e32 v[158:159], v[112:113], v[126:127]
	v_fma_f64 v[110:111], v[110:111], v[126:127], -v[128:129]
	s_wait_loadcnt_dscnt 0xa01
	v_mul_f64_e32 v[156:157], v[4:5], v[136:137]
	v_mul_f64_e32 v[136:137], v[6:7], v[136:137]
	s_wait_loadcnt_dscnt 0x800
	v_mul_f64_e32 v[126:127], v[120:121], v[148:149]
	v_add_f64_e32 v[112:113], v[124:125], v[122:123]
	v_add_f64_e32 v[122:123], v[154:155], v[160:161]
	v_mul_f64_e32 v[124:125], v[118:119], v[148:149]
	v_fmac_f64_e32 v[156:157], v[6:7], v[134:135]
	v_fma_f64 v[128:129], v[4:5], v[134:135], -v[136:137]
	v_fma_f64 v[118:119], v[118:119], v[146:147], -v[126:127]
	v_add_f64_e32 v[134:135], v[112:113], v[110:111]
	v_add_f64_e32 v[122:123], v[122:123], v[158:159]
	ds_load_b128 v[4:7], v2 offset:1216
	ds_load_b128 v[110:113], v2 offset:1232
	v_fmac_f64_e32 v[124:125], v[120:121], v[146:147]
	s_wait_loadcnt_dscnt 0x701
	v_mul_f64_e32 v[136:137], v[4:5], v[152:153]
	v_mul_f64_e32 v[148:149], v[6:7], v[152:153]
	s_wait_loadcnt_dscnt 0x600
	v_mul_f64_e32 v[126:127], v[110:111], v[10:11]
	v_mul_f64_e32 v[10:11], v[112:113], v[10:11]
	v_add_f64_e32 v[120:121], v[134:135], v[128:129]
	v_add_f64_e32 v[122:123], v[122:123], v[156:157]
	v_fmac_f64_e32 v[136:137], v[6:7], v[150:151]
	v_fma_f64 v[128:129], v[4:5], v[150:151], -v[148:149]
	v_fmac_f64_e32 v[126:127], v[112:113], v[8:9]
	v_fma_f64 v[8:9], v[110:111], v[8:9], -v[10:11]
	v_add_f64_e32 v[134:135], v[120:121], v[118:119]
	v_add_f64_e32 v[122:123], v[122:123], v[124:125]
	ds_load_b128 v[4:7], v2 offset:1248
	ds_load_b128 v[118:121], v2 offset:1264
	s_wait_loadcnt_dscnt 0x501
	v_mul_f64_e32 v[124:125], v[4:5], v[140:141]
	v_mul_f64_e32 v[140:141], v[6:7], v[140:141]
	s_wait_loadcnt_dscnt 0x400
	v_mul_f64_e32 v[112:113], v[118:119], v[18:19]
	v_mul_f64_e32 v[18:19], v[120:121], v[18:19]
	v_add_f64_e32 v[10:11], v[134:135], v[128:129]
	v_add_f64_e32 v[110:111], v[122:123], v[136:137]
	v_fmac_f64_e32 v[124:125], v[6:7], v[138:139]
	v_fma_f64 v[122:123], v[4:5], v[138:139], -v[140:141]
	v_fmac_f64_e32 v[112:113], v[120:121], v[16:17]
	v_fma_f64 v[16:17], v[118:119], v[16:17], -v[18:19]
	v_add_f64_e32 v[128:129], v[10:11], v[8:9]
	v_add_f64_e32 v[110:111], v[110:111], v[126:127]
	ds_load_b128 v[4:7], v2 offset:1280
	ds_load_b128 v[8:11], v2 offset:1296
	;; [unrolled: 16-line block ×3, first 2 shown]
	s_wait_loadcnt_dscnt 0x101
	v_mul_f64_e32 v[2:3], v[4:5], v[116:117]
	v_mul_f64_e32 v[112:113], v[6:7], v[116:117]
	v_add_f64_e32 v[10:11], v[18:19], v[122:123]
	v_add_f64_e32 v[12:13], v[110:111], v[126:127]
	s_wait_loadcnt_dscnt 0x0
	v_mul_f64_e32 v[18:19], v[14:15], v[22:23]
	v_mul_f64_e32 v[22:23], v[16:17], v[22:23]
	v_fmac_f64_e32 v[2:3], v[6:7], v[114:115]
	v_fma_f64 v[4:5], v[4:5], v[114:115], -v[112:113]
	v_add_f64_e32 v[6:7], v[10:11], v[8:9]
	v_add_f64_e32 v[8:9], v[12:13], v[118:119]
	v_fmac_f64_e32 v[18:19], v[16:17], v[20:21]
	v_fma_f64 v[10:11], v[14:15], v[20:21], -v[22:23]
	s_delay_alu instid0(VALU_DEP_4) | instskip(NEXT) | instid1(VALU_DEP_4)
	v_add_f64_e32 v[4:5], v[6:7], v[4:5]
	v_add_f64_e32 v[2:3], v[8:9], v[2:3]
	s_delay_alu instid0(VALU_DEP_2) | instskip(NEXT) | instid1(VALU_DEP_2)
	v_add_f64_e32 v[4:5], v[4:5], v[10:11]
	v_add_f64_e32 v[6:7], v[2:3], v[18:19]
	s_delay_alu instid0(VALU_DEP_2) | instskip(NEXT) | instid1(VALU_DEP_2)
	v_add_f64_e64 v[2:3], v[142:143], -v[4:5]
	v_add_f64_e64 v[4:5], v[144:145], -v[6:7]
	scratch_store_b128 off, v[2:5], off offset:336
	s_wait_xcnt 0x0
	v_cmpx_lt_u32_e32 20, v1
	s_cbranch_execz .LBB105_225
; %bb.224:
	scratch_load_b128 v[2:5], off, s38
	v_mov_b32_e32 v6, 0
	s_delay_alu instid0(VALU_DEP_1)
	v_dual_mov_b32 v7, v6 :: v_dual_mov_b32 v8, v6
	v_mov_b32_e32 v9, v6
	scratch_store_b128 off, v[6:9], off offset:320
	s_wait_loadcnt 0x0
	ds_store_b128 v108, v[2:5]
.LBB105_225:
	s_wait_xcnt 0x0
	s_or_b32 exec_lo, exec_lo, s2
	s_wait_storecnt_dscnt 0x0
	s_barrier_signal -1
	s_barrier_wait -1
	s_clause 0x9
	scratch_load_b128 v[4:7], off, off offset:336
	scratch_load_b128 v[8:11], off, off offset:352
	;; [unrolled: 1-line block ×10, first 2 shown]
	v_mov_b32_e32 v2, 0
	s_mov_b32 s2, exec_lo
	ds_load_b128 v[130:133], v2 offset:1008
	s_clause 0x2
	scratch_load_b128 v[134:137], off, off offset:496
	scratch_load_b128 v[138:141], off, off offset:320
	;; [unrolled: 1-line block ×3, first 2 shown]
	s_wait_loadcnt_dscnt 0xc00
	v_mul_f64_e32 v[150:151], v[132:133], v[6:7]
	v_mul_f64_e32 v[154:155], v[130:131], v[6:7]
	ds_load_b128 v[142:145], v2 offset:1024
	v_fma_f64 v[158:159], v[130:131], v[4:5], -v[150:151]
	v_fmac_f64_e32 v[154:155], v[132:133], v[4:5]
	ds_load_b128 v[4:7], v2 offset:1040
	s_wait_loadcnt_dscnt 0xb01
	v_mul_f64_e32 v[156:157], v[142:143], v[10:11]
	v_mul_f64_e32 v[10:11], v[144:145], v[10:11]
	scratch_load_b128 v[130:133], off, off offset:528
	ds_load_b128 v[150:153], v2 offset:1056
	s_wait_loadcnt_dscnt 0xb01
	v_mul_f64_e32 v[160:161], v[4:5], v[14:15]
	v_mul_f64_e32 v[14:15], v[6:7], v[14:15]
	v_add_f64_e32 v[154:155], 0, v[154:155]
	v_fmac_f64_e32 v[156:157], v[144:145], v[8:9]
	v_fma_f64 v[142:143], v[142:143], v[8:9], -v[10:11]
	v_add_f64_e32 v[144:145], 0, v[158:159]
	scratch_load_b128 v[8:11], off, off offset:544
	v_fmac_f64_e32 v[160:161], v[6:7], v[12:13]
	v_fma_f64 v[162:163], v[4:5], v[12:13], -v[14:15]
	ds_load_b128 v[4:7], v2 offset:1072
	s_wait_loadcnt_dscnt 0xb01
	v_mul_f64_e32 v[158:159], v[150:151], v[18:19]
	v_mul_f64_e32 v[18:19], v[152:153], v[18:19]
	scratch_load_b128 v[12:15], off, off offset:560
	v_add_f64_e32 v[154:155], v[154:155], v[156:157]
	v_add_f64_e32 v[164:165], v[144:145], v[142:143]
	ds_load_b128 v[142:145], v2 offset:1088
	s_wait_loadcnt_dscnt 0xb01
	v_mul_f64_e32 v[156:157], v[4:5], v[22:23]
	v_mul_f64_e32 v[22:23], v[6:7], v[22:23]
	v_fmac_f64_e32 v[158:159], v[152:153], v[16:17]
	v_fma_f64 v[150:151], v[150:151], v[16:17], -v[18:19]
	scratch_load_b128 v[16:19], off, off offset:576
	v_add_f64_e32 v[154:155], v[154:155], v[160:161]
	v_add_f64_e32 v[152:153], v[164:165], v[162:163]
	v_fmac_f64_e32 v[156:157], v[6:7], v[20:21]
	v_fma_f64 v[162:163], v[4:5], v[20:21], -v[22:23]
	ds_load_b128 v[4:7], v2 offset:1104
	s_wait_loadcnt_dscnt 0xb01
	v_mul_f64_e32 v[160:161], v[142:143], v[112:113]
	v_mul_f64_e32 v[112:113], v[144:145], v[112:113]
	scratch_load_b128 v[20:23], off, off offset:592
	v_add_f64_e32 v[154:155], v[154:155], v[158:159]
	s_wait_loadcnt_dscnt 0xb00
	v_mul_f64_e32 v[158:159], v[4:5], v[116:117]
	v_add_f64_e32 v[164:165], v[152:153], v[150:151]
	v_mul_f64_e32 v[116:117], v[6:7], v[116:117]
	ds_load_b128 v[150:153], v2 offset:1120
	v_fmac_f64_e32 v[160:161], v[144:145], v[110:111]
	v_fma_f64 v[142:143], v[142:143], v[110:111], -v[112:113]
	scratch_load_b128 v[110:113], off, off offset:608
	v_add_f64_e32 v[154:155], v[154:155], v[156:157]
	v_fmac_f64_e32 v[158:159], v[6:7], v[114:115]
	v_add_f64_e32 v[144:145], v[164:165], v[162:163]
	v_fma_f64 v[162:163], v[4:5], v[114:115], -v[116:117]
	ds_load_b128 v[4:7], v2 offset:1136
	s_wait_loadcnt_dscnt 0xb01
	v_mul_f64_e32 v[156:157], v[150:151], v[120:121]
	v_mul_f64_e32 v[120:121], v[152:153], v[120:121]
	scratch_load_b128 v[114:117], off, off offset:624
	v_add_f64_e32 v[154:155], v[154:155], v[160:161]
	s_wait_loadcnt_dscnt 0xb00
	v_mul_f64_e32 v[160:161], v[4:5], v[124:125]
	v_add_f64_e32 v[164:165], v[144:145], v[142:143]
	v_mul_f64_e32 v[124:125], v[6:7], v[124:125]
	ds_load_b128 v[142:145], v2 offset:1152
	v_fmac_f64_e32 v[156:157], v[152:153], v[118:119]
	v_fma_f64 v[150:151], v[150:151], v[118:119], -v[120:121]
	scratch_load_b128 v[118:121], off, off offset:640
	v_add_f64_e32 v[154:155], v[154:155], v[158:159]
	v_fmac_f64_e32 v[160:161], v[6:7], v[122:123]
	v_add_f64_e32 v[152:153], v[164:165], v[162:163]
	v_fma_f64 v[162:163], v[4:5], v[122:123], -v[124:125]
	ds_load_b128 v[4:7], v2 offset:1168
	s_wait_loadcnt_dscnt 0xb01
	v_mul_f64_e32 v[158:159], v[142:143], v[128:129]
	v_mul_f64_e32 v[128:129], v[144:145], v[128:129]
	scratch_load_b128 v[122:125], off, off offset:656
	v_add_f64_e32 v[154:155], v[154:155], v[156:157]
	s_wait_loadcnt_dscnt 0xb00
	v_mul_f64_e32 v[156:157], v[4:5], v[136:137]
	v_add_f64_e32 v[164:165], v[152:153], v[150:151]
	v_mul_f64_e32 v[136:137], v[6:7], v[136:137]
	ds_load_b128 v[150:153], v2 offset:1184
	v_fmac_f64_e32 v[158:159], v[144:145], v[126:127]
	v_fma_f64 v[126:127], v[142:143], v[126:127], -v[128:129]
	s_wait_loadcnt_dscnt 0x900
	v_mul_f64_e32 v[144:145], v[150:151], v[148:149]
	v_mul_f64_e32 v[148:149], v[152:153], v[148:149]
	v_add_f64_e32 v[142:143], v[154:155], v[160:161]
	v_fmac_f64_e32 v[156:157], v[6:7], v[134:135]
	v_add_f64_e32 v[128:129], v[164:165], v[162:163]
	v_fma_f64 v[134:135], v[4:5], v[134:135], -v[136:137]
	v_fmac_f64_e32 v[144:145], v[152:153], v[146:147]
	v_fma_f64 v[146:147], v[150:151], v[146:147], -v[148:149]
	v_add_f64_e32 v[142:143], v[142:143], v[158:159]
	v_add_f64_e32 v[136:137], v[128:129], v[126:127]
	ds_load_b128 v[4:7], v2 offset:1200
	ds_load_b128 v[126:129], v2 offset:1216
	s_wait_loadcnt_dscnt 0x801
	v_mul_f64_e32 v[154:155], v[4:5], v[132:133]
	v_mul_f64_e32 v[132:133], v[6:7], v[132:133]
	v_add_f64_e32 v[134:135], v[136:137], v[134:135]
	v_add_f64_e32 v[136:137], v[142:143], v[156:157]
	s_wait_loadcnt_dscnt 0x700
	v_mul_f64_e32 v[142:143], v[126:127], v[10:11]
	v_mul_f64_e32 v[10:11], v[128:129], v[10:11]
	v_fmac_f64_e32 v[154:155], v[6:7], v[130:131]
	v_fma_f64 v[148:149], v[4:5], v[130:131], -v[132:133]
	ds_load_b128 v[4:7], v2 offset:1232
	ds_load_b128 v[130:133], v2 offset:1248
	v_add_f64_e32 v[134:135], v[134:135], v[146:147]
	v_add_f64_e32 v[136:137], v[136:137], v[144:145]
	v_fmac_f64_e32 v[142:143], v[128:129], v[8:9]
	v_fma_f64 v[8:9], v[126:127], v[8:9], -v[10:11]
	s_wait_loadcnt_dscnt 0x601
	v_mul_f64_e32 v[144:145], v[4:5], v[14:15]
	v_mul_f64_e32 v[14:15], v[6:7], v[14:15]
	s_wait_loadcnt_dscnt 0x500
	v_mul_f64_e32 v[128:129], v[130:131], v[18:19]
	v_mul_f64_e32 v[18:19], v[132:133], v[18:19]
	v_add_f64_e32 v[10:11], v[134:135], v[148:149]
	v_add_f64_e32 v[126:127], v[136:137], v[154:155]
	v_fmac_f64_e32 v[144:145], v[6:7], v[12:13]
	v_fma_f64 v[12:13], v[4:5], v[12:13], -v[14:15]
	v_fmac_f64_e32 v[128:129], v[132:133], v[16:17]
	v_fma_f64 v[16:17], v[130:131], v[16:17], -v[18:19]
	v_add_f64_e32 v[14:15], v[10:11], v[8:9]
	v_add_f64_e32 v[126:127], v[126:127], v[142:143]
	ds_load_b128 v[4:7], v2 offset:1264
	ds_load_b128 v[8:11], v2 offset:1280
	s_wait_loadcnt_dscnt 0x401
	v_mul_f64_e32 v[134:135], v[4:5], v[22:23]
	v_mul_f64_e32 v[22:23], v[6:7], v[22:23]
	s_wait_loadcnt_dscnt 0x300
	v_mul_f64_e32 v[18:19], v[8:9], v[112:113]
	v_mul_f64_e32 v[112:113], v[10:11], v[112:113]
	v_add_f64_e32 v[12:13], v[14:15], v[12:13]
	v_add_f64_e32 v[14:15], v[126:127], v[144:145]
	v_fmac_f64_e32 v[134:135], v[6:7], v[20:21]
	v_fma_f64 v[20:21], v[4:5], v[20:21], -v[22:23]
	v_fmac_f64_e32 v[18:19], v[10:11], v[110:111]
	v_fma_f64 v[8:9], v[8:9], v[110:111], -v[112:113]
	v_add_f64_e32 v[16:17], v[12:13], v[16:17]
	v_add_f64_e32 v[22:23], v[14:15], v[128:129]
	ds_load_b128 v[4:7], v2 offset:1296
	ds_load_b128 v[12:15], v2 offset:1312
	s_wait_loadcnt_dscnt 0x201
	v_mul_f64_e32 v[126:127], v[4:5], v[116:117]
	v_mul_f64_e32 v[116:117], v[6:7], v[116:117]
	v_add_f64_e32 v[10:11], v[16:17], v[20:21]
	v_add_f64_e32 v[16:17], v[22:23], v[134:135]
	s_wait_loadcnt_dscnt 0x100
	v_mul_f64_e32 v[20:21], v[12:13], v[120:121]
	v_mul_f64_e32 v[22:23], v[14:15], v[120:121]
	v_fmac_f64_e32 v[126:127], v[6:7], v[114:115]
	v_fma_f64 v[110:111], v[4:5], v[114:115], -v[116:117]
	ds_load_b128 v[4:7], v2 offset:1328
	v_add_f64_e32 v[8:9], v[10:11], v[8:9]
	v_add_f64_e32 v[10:11], v[16:17], v[18:19]
	v_fmac_f64_e32 v[20:21], v[14:15], v[118:119]
	v_fma_f64 v[12:13], v[12:13], v[118:119], -v[22:23]
	s_wait_loadcnt_dscnt 0x0
	v_mul_f64_e32 v[16:17], v[4:5], v[124:125]
	v_mul_f64_e32 v[18:19], v[6:7], v[124:125]
	v_add_f64_e32 v[8:9], v[8:9], v[110:111]
	v_add_f64_e32 v[10:11], v[10:11], v[126:127]
	s_delay_alu instid0(VALU_DEP_4) | instskip(NEXT) | instid1(VALU_DEP_4)
	v_fmac_f64_e32 v[16:17], v[6:7], v[122:123]
	v_fma_f64 v[4:5], v[4:5], v[122:123], -v[18:19]
	s_delay_alu instid0(VALU_DEP_4) | instskip(NEXT) | instid1(VALU_DEP_4)
	v_add_f64_e32 v[6:7], v[8:9], v[12:13]
	v_add_f64_e32 v[8:9], v[10:11], v[20:21]
	s_delay_alu instid0(VALU_DEP_2) | instskip(NEXT) | instid1(VALU_DEP_2)
	v_add_f64_e32 v[4:5], v[6:7], v[4:5]
	v_add_f64_e32 v[6:7], v[8:9], v[16:17]
	s_delay_alu instid0(VALU_DEP_2) | instskip(NEXT) | instid1(VALU_DEP_2)
	v_add_f64_e64 v[4:5], v[138:139], -v[4:5]
	v_add_f64_e64 v[6:7], v[140:141], -v[6:7]
	scratch_store_b128 off, v[4:7], off offset:320
	s_wait_xcnt 0x0
	v_cmpx_lt_u32_e32 19, v1
	s_cbranch_execz .LBB105_227
; %bb.226:
	scratch_load_b128 v[6:9], off, s39
	v_dual_mov_b32 v3, v2 :: v_dual_mov_b32 v4, v2
	v_mov_b32_e32 v5, v2
	scratch_store_b128 off, v[2:5], off offset:304
	s_wait_loadcnt 0x0
	ds_store_b128 v108, v[6:9]
.LBB105_227:
	s_wait_xcnt 0x0
	s_or_b32 exec_lo, exec_lo, s2
	s_wait_storecnt_dscnt 0x0
	s_barrier_signal -1
	s_barrier_wait -1
	s_clause 0x9
	scratch_load_b128 v[4:7], off, off offset:320
	scratch_load_b128 v[8:11], off, off offset:336
	;; [unrolled: 1-line block ×10, first 2 shown]
	ds_load_b128 v[130:133], v2 offset:992
	ds_load_b128 v[138:141], v2 offset:1008
	s_clause 0x2
	scratch_load_b128 v[134:137], off, off offset:480
	scratch_load_b128 v[142:145], off, off offset:304
	;; [unrolled: 1-line block ×3, first 2 shown]
	s_mov_b32 s2, exec_lo
	s_wait_loadcnt_dscnt 0xc01
	v_mul_f64_e32 v[150:151], v[132:133], v[6:7]
	v_mul_f64_e32 v[154:155], v[130:131], v[6:7]
	s_wait_loadcnt_dscnt 0xb00
	v_mul_f64_e32 v[156:157], v[138:139], v[10:11]
	v_mul_f64_e32 v[10:11], v[140:141], v[10:11]
	s_delay_alu instid0(VALU_DEP_4) | instskip(NEXT) | instid1(VALU_DEP_4)
	v_fma_f64 v[158:159], v[130:131], v[4:5], -v[150:151]
	v_fmac_f64_e32 v[154:155], v[132:133], v[4:5]
	ds_load_b128 v[4:7], v2 offset:1024
	ds_load_b128 v[130:133], v2 offset:1040
	scratch_load_b128 v[150:153], off, off offset:512
	v_fmac_f64_e32 v[156:157], v[140:141], v[8:9]
	v_fma_f64 v[138:139], v[138:139], v[8:9], -v[10:11]
	scratch_load_b128 v[8:11], off, off offset:528
	s_wait_loadcnt_dscnt 0xc01
	v_mul_f64_e32 v[160:161], v[4:5], v[14:15]
	v_mul_f64_e32 v[14:15], v[6:7], v[14:15]
	v_add_f64_e32 v[140:141], 0, v[158:159]
	v_add_f64_e32 v[154:155], 0, v[154:155]
	s_wait_loadcnt_dscnt 0xb00
	v_mul_f64_e32 v[158:159], v[130:131], v[18:19]
	v_mul_f64_e32 v[18:19], v[132:133], v[18:19]
	v_fmac_f64_e32 v[160:161], v[6:7], v[12:13]
	v_fma_f64 v[162:163], v[4:5], v[12:13], -v[14:15]
	ds_load_b128 v[4:7], v2 offset:1056
	ds_load_b128 v[12:15], v2 offset:1072
	v_add_f64_e32 v[164:165], v[140:141], v[138:139]
	v_add_f64_e32 v[154:155], v[154:155], v[156:157]
	scratch_load_b128 v[138:141], off, off offset:544
	v_fmac_f64_e32 v[158:159], v[132:133], v[16:17]
	v_fma_f64 v[130:131], v[130:131], v[16:17], -v[18:19]
	scratch_load_b128 v[16:19], off, off offset:560
	s_wait_loadcnt_dscnt 0xc01
	v_mul_f64_e32 v[156:157], v[4:5], v[22:23]
	v_mul_f64_e32 v[22:23], v[6:7], v[22:23]
	v_add_f64_e32 v[132:133], v[164:165], v[162:163]
	v_add_f64_e32 v[154:155], v[154:155], v[160:161]
	s_wait_loadcnt_dscnt 0xb00
	v_mul_f64_e32 v[160:161], v[12:13], v[112:113]
	v_mul_f64_e32 v[112:113], v[14:15], v[112:113]
	v_fmac_f64_e32 v[156:157], v[6:7], v[20:21]
	v_fma_f64 v[162:163], v[4:5], v[20:21], -v[22:23]
	ds_load_b128 v[4:7], v2 offset:1088
	ds_load_b128 v[20:23], v2 offset:1104
	v_add_f64_e32 v[164:165], v[132:133], v[130:131]
	v_add_f64_e32 v[154:155], v[154:155], v[158:159]
	scratch_load_b128 v[130:133], off, off offset:576
	s_wait_loadcnt_dscnt 0xb01
	v_mul_f64_e32 v[158:159], v[4:5], v[116:117]
	v_mul_f64_e32 v[116:117], v[6:7], v[116:117]
	v_fmac_f64_e32 v[160:161], v[14:15], v[110:111]
	v_fma_f64 v[110:111], v[12:13], v[110:111], -v[112:113]
	scratch_load_b128 v[12:15], off, off offset:592
	v_add_f64_e32 v[112:113], v[164:165], v[162:163]
	v_add_f64_e32 v[154:155], v[154:155], v[156:157]
	s_wait_loadcnt_dscnt 0xb00
	v_mul_f64_e32 v[156:157], v[20:21], v[120:121]
	v_mul_f64_e32 v[120:121], v[22:23], v[120:121]
	v_fmac_f64_e32 v[158:159], v[6:7], v[114:115]
	v_fma_f64 v[162:163], v[4:5], v[114:115], -v[116:117]
	v_add_f64_e32 v[164:165], v[112:113], v[110:111]
	v_add_f64_e32 v[154:155], v[154:155], v[160:161]
	ds_load_b128 v[4:7], v2 offset:1120
	ds_load_b128 v[110:113], v2 offset:1136
	scratch_load_b128 v[114:117], off, off offset:608
	v_fmac_f64_e32 v[156:157], v[22:23], v[118:119]
	v_fma_f64 v[118:119], v[20:21], v[118:119], -v[120:121]
	scratch_load_b128 v[20:23], off, off offset:624
	s_wait_loadcnt_dscnt 0xc01
	v_mul_f64_e32 v[160:161], v[4:5], v[124:125]
	v_mul_f64_e32 v[124:125], v[6:7], v[124:125]
	v_add_f64_e32 v[120:121], v[164:165], v[162:163]
	v_add_f64_e32 v[154:155], v[154:155], v[158:159]
	s_wait_loadcnt_dscnt 0xb00
	v_mul_f64_e32 v[158:159], v[110:111], v[128:129]
	v_mul_f64_e32 v[128:129], v[112:113], v[128:129]
	v_fmac_f64_e32 v[160:161], v[6:7], v[122:123]
	v_fma_f64 v[162:163], v[4:5], v[122:123], -v[124:125]
	v_add_f64_e32 v[164:165], v[120:121], v[118:119]
	v_add_f64_e32 v[154:155], v[154:155], v[156:157]
	ds_load_b128 v[4:7], v2 offset:1152
	ds_load_b128 v[118:121], v2 offset:1168
	scratch_load_b128 v[122:125], off, off offset:640
	v_fmac_f64_e32 v[158:159], v[112:113], v[126:127]
	v_fma_f64 v[126:127], v[110:111], v[126:127], -v[128:129]
	scratch_load_b128 v[110:113], off, off offset:656
	s_wait_loadcnt_dscnt 0xc01
	v_mul_f64_e32 v[156:157], v[4:5], v[136:137]
	v_mul_f64_e32 v[136:137], v[6:7], v[136:137]
	v_add_f64_e32 v[128:129], v[164:165], v[162:163]
	v_add_f64_e32 v[154:155], v[154:155], v[160:161]
	s_wait_loadcnt_dscnt 0xa00
	v_mul_f64_e32 v[160:161], v[118:119], v[148:149]
	v_mul_f64_e32 v[148:149], v[120:121], v[148:149]
	v_fmac_f64_e32 v[156:157], v[6:7], v[134:135]
	v_fma_f64 v[134:135], v[4:5], v[134:135], -v[136:137]
	v_add_f64_e32 v[136:137], v[128:129], v[126:127]
	v_add_f64_e32 v[154:155], v[154:155], v[158:159]
	ds_load_b128 v[4:7], v2 offset:1184
	ds_load_b128 v[126:129], v2 offset:1200
	v_fmac_f64_e32 v[160:161], v[120:121], v[146:147]
	v_fma_f64 v[118:119], v[118:119], v[146:147], -v[148:149]
	s_wait_loadcnt_dscnt 0x901
	v_mul_f64_e32 v[158:159], v[4:5], v[152:153]
	v_mul_f64_e32 v[152:153], v[6:7], v[152:153]
	v_add_f64_e32 v[120:121], v[136:137], v[134:135]
	v_add_f64_e32 v[134:135], v[154:155], v[156:157]
	s_wait_loadcnt_dscnt 0x800
	v_mul_f64_e32 v[136:137], v[126:127], v[10:11]
	v_mul_f64_e32 v[10:11], v[128:129], v[10:11]
	v_fmac_f64_e32 v[158:159], v[6:7], v[150:151]
	v_fma_f64 v[146:147], v[4:5], v[150:151], -v[152:153]
	v_add_f64_e32 v[148:149], v[120:121], v[118:119]
	v_add_f64_e32 v[134:135], v[134:135], v[160:161]
	ds_load_b128 v[4:7], v2 offset:1216
	ds_load_b128 v[118:121], v2 offset:1232
	v_fmac_f64_e32 v[136:137], v[128:129], v[8:9]
	v_fma_f64 v[8:9], v[126:127], v[8:9], -v[10:11]
	s_wait_loadcnt_dscnt 0x701
	v_mul_f64_e32 v[150:151], v[4:5], v[140:141]
	v_mul_f64_e32 v[140:141], v[6:7], v[140:141]
	s_wait_loadcnt_dscnt 0x600
	v_mul_f64_e32 v[128:129], v[118:119], v[18:19]
	v_mul_f64_e32 v[18:19], v[120:121], v[18:19]
	v_add_f64_e32 v[10:11], v[148:149], v[146:147]
	v_add_f64_e32 v[126:127], v[134:135], v[158:159]
	v_fmac_f64_e32 v[150:151], v[6:7], v[138:139]
	v_fma_f64 v[134:135], v[4:5], v[138:139], -v[140:141]
	v_fmac_f64_e32 v[128:129], v[120:121], v[16:17]
	v_fma_f64 v[16:17], v[118:119], v[16:17], -v[18:19]
	v_add_f64_e32 v[138:139], v[10:11], v[8:9]
	v_add_f64_e32 v[126:127], v[126:127], v[136:137]
	ds_load_b128 v[4:7], v2 offset:1248
	ds_load_b128 v[8:11], v2 offset:1264
	s_wait_loadcnt_dscnt 0x501
	v_mul_f64_e32 v[136:137], v[4:5], v[132:133]
	v_mul_f64_e32 v[132:133], v[6:7], v[132:133]
	s_wait_loadcnt_dscnt 0x400
	v_mul_f64_e32 v[120:121], v[8:9], v[14:15]
	v_add_f64_e32 v[18:19], v[138:139], v[134:135]
	v_add_f64_e32 v[118:119], v[126:127], v[150:151]
	v_mul_f64_e32 v[126:127], v[10:11], v[14:15]
	v_fmac_f64_e32 v[136:137], v[6:7], v[130:131]
	v_fma_f64 v[130:131], v[4:5], v[130:131], -v[132:133]
	v_fmac_f64_e32 v[120:121], v[10:11], v[12:13]
	v_add_f64_e32 v[18:19], v[18:19], v[16:17]
	v_add_f64_e32 v[118:119], v[118:119], v[128:129]
	ds_load_b128 v[4:7], v2 offset:1280
	ds_load_b128 v[14:17], v2 offset:1296
	v_fma_f64 v[8:9], v[8:9], v[12:13], -v[126:127]
	s_wait_loadcnt_dscnt 0x301
	v_mul_f64_e32 v[128:129], v[4:5], v[116:117]
	v_mul_f64_e32 v[116:117], v[6:7], v[116:117]
	v_add_f64_e32 v[10:11], v[18:19], v[130:131]
	v_add_f64_e32 v[12:13], v[118:119], v[136:137]
	s_wait_loadcnt_dscnt 0x200
	v_mul_f64_e32 v[18:19], v[14:15], v[22:23]
	v_mul_f64_e32 v[22:23], v[16:17], v[22:23]
	v_fmac_f64_e32 v[128:129], v[6:7], v[114:115]
	v_fma_f64 v[114:115], v[4:5], v[114:115], -v[116:117]
	v_add_f64_e32 v[116:117], v[10:11], v[8:9]
	v_add_f64_e32 v[12:13], v[12:13], v[120:121]
	ds_load_b128 v[4:7], v2 offset:1312
	ds_load_b128 v[8:11], v2 offset:1328
	v_fmac_f64_e32 v[18:19], v[16:17], v[20:21]
	v_fma_f64 v[14:15], v[14:15], v[20:21], -v[22:23]
	s_wait_loadcnt_dscnt 0x101
	v_mul_f64_e32 v[2:3], v[4:5], v[124:125]
	v_mul_f64_e32 v[118:119], v[6:7], v[124:125]
	s_wait_loadcnt_dscnt 0x0
	v_mul_f64_e32 v[20:21], v[8:9], v[112:113]
	v_mul_f64_e32 v[22:23], v[10:11], v[112:113]
	v_add_f64_e32 v[16:17], v[116:117], v[114:115]
	v_add_f64_e32 v[12:13], v[12:13], v[128:129]
	v_fmac_f64_e32 v[2:3], v[6:7], v[122:123]
	v_fma_f64 v[4:5], v[4:5], v[122:123], -v[118:119]
	v_fmac_f64_e32 v[20:21], v[10:11], v[110:111]
	v_fma_f64 v[8:9], v[8:9], v[110:111], -v[22:23]
	v_add_f64_e32 v[6:7], v[16:17], v[14:15]
	v_add_f64_e32 v[12:13], v[12:13], v[18:19]
	s_delay_alu instid0(VALU_DEP_2) | instskip(NEXT) | instid1(VALU_DEP_2)
	v_add_f64_e32 v[4:5], v[6:7], v[4:5]
	v_add_f64_e32 v[2:3], v[12:13], v[2:3]
	s_delay_alu instid0(VALU_DEP_2) | instskip(NEXT) | instid1(VALU_DEP_2)
	v_add_f64_e32 v[4:5], v[4:5], v[8:9]
	v_add_f64_e32 v[6:7], v[2:3], v[20:21]
	s_delay_alu instid0(VALU_DEP_2) | instskip(NEXT) | instid1(VALU_DEP_2)
	v_add_f64_e64 v[2:3], v[142:143], -v[4:5]
	v_add_f64_e64 v[4:5], v[144:145], -v[6:7]
	scratch_store_b128 off, v[2:5], off offset:304
	s_wait_xcnt 0x0
	v_cmpx_lt_u32_e32 18, v1
	s_cbranch_execz .LBB105_229
; %bb.228:
	scratch_load_b128 v[2:5], off, s40
	v_mov_b32_e32 v6, 0
	s_delay_alu instid0(VALU_DEP_1)
	v_dual_mov_b32 v7, v6 :: v_dual_mov_b32 v8, v6
	v_mov_b32_e32 v9, v6
	scratch_store_b128 off, v[6:9], off offset:288
	s_wait_loadcnt 0x0
	ds_store_b128 v108, v[2:5]
.LBB105_229:
	s_wait_xcnt 0x0
	s_or_b32 exec_lo, exec_lo, s2
	s_wait_storecnt_dscnt 0x0
	s_barrier_signal -1
	s_barrier_wait -1
	s_clause 0x9
	scratch_load_b128 v[4:7], off, off offset:304
	scratch_load_b128 v[8:11], off, off offset:320
	;; [unrolled: 1-line block ×10, first 2 shown]
	v_mov_b32_e32 v2, 0
	s_mov_b32 s2, exec_lo
	ds_load_b128 v[130:133], v2 offset:976
	s_clause 0x2
	scratch_load_b128 v[134:137], off, off offset:464
	scratch_load_b128 v[138:141], off, off offset:288
	;; [unrolled: 1-line block ×3, first 2 shown]
	s_wait_loadcnt_dscnt 0xc00
	v_mul_f64_e32 v[150:151], v[132:133], v[6:7]
	v_mul_f64_e32 v[154:155], v[130:131], v[6:7]
	ds_load_b128 v[142:145], v2 offset:992
	v_fma_f64 v[158:159], v[130:131], v[4:5], -v[150:151]
	v_fmac_f64_e32 v[154:155], v[132:133], v[4:5]
	ds_load_b128 v[4:7], v2 offset:1008
	s_wait_loadcnt_dscnt 0xb01
	v_mul_f64_e32 v[156:157], v[142:143], v[10:11]
	v_mul_f64_e32 v[10:11], v[144:145], v[10:11]
	scratch_load_b128 v[130:133], off, off offset:496
	ds_load_b128 v[150:153], v2 offset:1024
	s_wait_loadcnt_dscnt 0xb01
	v_mul_f64_e32 v[160:161], v[4:5], v[14:15]
	v_mul_f64_e32 v[14:15], v[6:7], v[14:15]
	v_add_f64_e32 v[154:155], 0, v[154:155]
	v_fmac_f64_e32 v[156:157], v[144:145], v[8:9]
	v_fma_f64 v[142:143], v[142:143], v[8:9], -v[10:11]
	v_add_f64_e32 v[144:145], 0, v[158:159]
	scratch_load_b128 v[8:11], off, off offset:512
	v_fmac_f64_e32 v[160:161], v[6:7], v[12:13]
	v_fma_f64 v[162:163], v[4:5], v[12:13], -v[14:15]
	ds_load_b128 v[4:7], v2 offset:1040
	s_wait_loadcnt_dscnt 0xb01
	v_mul_f64_e32 v[158:159], v[150:151], v[18:19]
	v_mul_f64_e32 v[18:19], v[152:153], v[18:19]
	scratch_load_b128 v[12:15], off, off offset:528
	v_add_f64_e32 v[154:155], v[154:155], v[156:157]
	v_add_f64_e32 v[164:165], v[144:145], v[142:143]
	ds_load_b128 v[142:145], v2 offset:1056
	s_wait_loadcnt_dscnt 0xb01
	v_mul_f64_e32 v[156:157], v[4:5], v[22:23]
	v_mul_f64_e32 v[22:23], v[6:7], v[22:23]
	v_fmac_f64_e32 v[158:159], v[152:153], v[16:17]
	v_fma_f64 v[150:151], v[150:151], v[16:17], -v[18:19]
	scratch_load_b128 v[16:19], off, off offset:544
	v_add_f64_e32 v[154:155], v[154:155], v[160:161]
	v_add_f64_e32 v[152:153], v[164:165], v[162:163]
	v_fmac_f64_e32 v[156:157], v[6:7], v[20:21]
	v_fma_f64 v[162:163], v[4:5], v[20:21], -v[22:23]
	ds_load_b128 v[4:7], v2 offset:1072
	s_wait_loadcnt_dscnt 0xb01
	v_mul_f64_e32 v[160:161], v[142:143], v[112:113]
	v_mul_f64_e32 v[112:113], v[144:145], v[112:113]
	scratch_load_b128 v[20:23], off, off offset:560
	v_add_f64_e32 v[154:155], v[154:155], v[158:159]
	s_wait_loadcnt_dscnt 0xb00
	v_mul_f64_e32 v[158:159], v[4:5], v[116:117]
	v_add_f64_e32 v[164:165], v[152:153], v[150:151]
	v_mul_f64_e32 v[116:117], v[6:7], v[116:117]
	ds_load_b128 v[150:153], v2 offset:1088
	v_fmac_f64_e32 v[160:161], v[144:145], v[110:111]
	v_fma_f64 v[142:143], v[142:143], v[110:111], -v[112:113]
	scratch_load_b128 v[110:113], off, off offset:576
	v_add_f64_e32 v[154:155], v[154:155], v[156:157]
	v_fmac_f64_e32 v[158:159], v[6:7], v[114:115]
	v_add_f64_e32 v[144:145], v[164:165], v[162:163]
	v_fma_f64 v[162:163], v[4:5], v[114:115], -v[116:117]
	ds_load_b128 v[4:7], v2 offset:1104
	s_wait_loadcnt_dscnt 0xb01
	v_mul_f64_e32 v[156:157], v[150:151], v[120:121]
	v_mul_f64_e32 v[120:121], v[152:153], v[120:121]
	scratch_load_b128 v[114:117], off, off offset:592
	v_add_f64_e32 v[154:155], v[154:155], v[160:161]
	s_wait_loadcnt_dscnt 0xb00
	v_mul_f64_e32 v[160:161], v[4:5], v[124:125]
	v_add_f64_e32 v[164:165], v[144:145], v[142:143]
	v_mul_f64_e32 v[124:125], v[6:7], v[124:125]
	ds_load_b128 v[142:145], v2 offset:1120
	v_fmac_f64_e32 v[156:157], v[152:153], v[118:119]
	v_fma_f64 v[150:151], v[150:151], v[118:119], -v[120:121]
	scratch_load_b128 v[118:121], off, off offset:608
	v_add_f64_e32 v[154:155], v[154:155], v[158:159]
	v_fmac_f64_e32 v[160:161], v[6:7], v[122:123]
	v_add_f64_e32 v[152:153], v[164:165], v[162:163]
	v_fma_f64 v[162:163], v[4:5], v[122:123], -v[124:125]
	ds_load_b128 v[4:7], v2 offset:1136
	s_wait_loadcnt_dscnt 0xb01
	v_mul_f64_e32 v[158:159], v[142:143], v[128:129]
	v_mul_f64_e32 v[128:129], v[144:145], v[128:129]
	scratch_load_b128 v[122:125], off, off offset:624
	v_add_f64_e32 v[154:155], v[154:155], v[156:157]
	s_wait_loadcnt_dscnt 0xb00
	v_mul_f64_e32 v[156:157], v[4:5], v[136:137]
	v_add_f64_e32 v[164:165], v[152:153], v[150:151]
	v_mul_f64_e32 v[136:137], v[6:7], v[136:137]
	ds_load_b128 v[150:153], v2 offset:1152
	v_fmac_f64_e32 v[158:159], v[144:145], v[126:127]
	v_fma_f64 v[142:143], v[142:143], v[126:127], -v[128:129]
	scratch_load_b128 v[126:129], off, off offset:640
	v_add_f64_e32 v[154:155], v[154:155], v[160:161]
	v_fmac_f64_e32 v[156:157], v[6:7], v[134:135]
	v_add_f64_e32 v[144:145], v[164:165], v[162:163]
	v_fma_f64 v[162:163], v[4:5], v[134:135], -v[136:137]
	ds_load_b128 v[4:7], v2 offset:1168
	s_wait_loadcnt_dscnt 0xa01
	v_mul_f64_e32 v[160:161], v[150:151], v[148:149]
	v_mul_f64_e32 v[148:149], v[152:153], v[148:149]
	scratch_load_b128 v[134:137], off, off offset:656
	v_add_f64_e32 v[154:155], v[154:155], v[158:159]
	v_add_f64_e32 v[164:165], v[144:145], v[142:143]
	s_wait_loadcnt_dscnt 0xa00
	v_mul_f64_e32 v[158:159], v[4:5], v[132:133]
	v_mul_f64_e32 v[132:133], v[6:7], v[132:133]
	v_fmac_f64_e32 v[160:161], v[152:153], v[146:147]
	v_fma_f64 v[146:147], v[150:151], v[146:147], -v[148:149]
	ds_load_b128 v[142:145], v2 offset:1184
	v_add_f64_e32 v[150:151], v[154:155], v[156:157]
	v_add_f64_e32 v[148:149], v[164:165], v[162:163]
	s_wait_loadcnt_dscnt 0x900
	v_mul_f64_e32 v[152:153], v[142:143], v[10:11]
	v_mul_f64_e32 v[10:11], v[144:145], v[10:11]
	v_fmac_f64_e32 v[158:159], v[6:7], v[130:131]
	v_fma_f64 v[154:155], v[4:5], v[130:131], -v[132:133]
	ds_load_b128 v[4:7], v2 offset:1200
	ds_load_b128 v[130:133], v2 offset:1216
	v_add_f64_e32 v[146:147], v[148:149], v[146:147]
	v_add_f64_e32 v[148:149], v[150:151], v[160:161]
	s_wait_loadcnt_dscnt 0x801
	v_mul_f64_e32 v[150:151], v[4:5], v[14:15]
	v_mul_f64_e32 v[14:15], v[6:7], v[14:15]
	v_fmac_f64_e32 v[152:153], v[144:145], v[8:9]
	v_fma_f64 v[8:9], v[142:143], v[8:9], -v[10:11]
	s_wait_loadcnt_dscnt 0x700
	v_mul_f64_e32 v[144:145], v[130:131], v[18:19]
	v_mul_f64_e32 v[18:19], v[132:133], v[18:19]
	v_add_f64_e32 v[10:11], v[146:147], v[154:155]
	v_add_f64_e32 v[142:143], v[148:149], v[158:159]
	v_fmac_f64_e32 v[150:151], v[6:7], v[12:13]
	v_fma_f64 v[12:13], v[4:5], v[12:13], -v[14:15]
	v_fmac_f64_e32 v[144:145], v[132:133], v[16:17]
	v_fma_f64 v[16:17], v[130:131], v[16:17], -v[18:19]
	v_add_f64_e32 v[14:15], v[10:11], v[8:9]
	v_add_f64_e32 v[142:143], v[142:143], v[152:153]
	ds_load_b128 v[4:7], v2 offset:1232
	ds_load_b128 v[8:11], v2 offset:1248
	s_wait_loadcnt_dscnt 0x601
	v_mul_f64_e32 v[146:147], v[4:5], v[22:23]
	v_mul_f64_e32 v[22:23], v[6:7], v[22:23]
	s_wait_loadcnt_dscnt 0x500
	v_mul_f64_e32 v[18:19], v[8:9], v[112:113]
	v_mul_f64_e32 v[112:113], v[10:11], v[112:113]
	v_add_f64_e32 v[12:13], v[14:15], v[12:13]
	v_add_f64_e32 v[14:15], v[142:143], v[150:151]
	v_fmac_f64_e32 v[146:147], v[6:7], v[20:21]
	v_fma_f64 v[20:21], v[4:5], v[20:21], -v[22:23]
	v_fmac_f64_e32 v[18:19], v[10:11], v[110:111]
	v_fma_f64 v[8:9], v[8:9], v[110:111], -v[112:113]
	v_add_f64_e32 v[16:17], v[12:13], v[16:17]
	v_add_f64_e32 v[22:23], v[14:15], v[144:145]
	ds_load_b128 v[4:7], v2 offset:1264
	ds_load_b128 v[12:15], v2 offset:1280
	s_wait_loadcnt_dscnt 0x401
	v_mul_f64_e32 v[130:131], v[4:5], v[116:117]
	v_mul_f64_e32 v[116:117], v[6:7], v[116:117]
	v_add_f64_e32 v[10:11], v[16:17], v[20:21]
	v_add_f64_e32 v[16:17], v[22:23], v[146:147]
	s_wait_loadcnt_dscnt 0x300
	v_mul_f64_e32 v[20:21], v[12:13], v[120:121]
	v_mul_f64_e32 v[22:23], v[14:15], v[120:121]
	v_fmac_f64_e32 v[130:131], v[6:7], v[114:115]
	v_fma_f64 v[110:111], v[4:5], v[114:115], -v[116:117]
	v_add_f64_e32 v[112:113], v[10:11], v[8:9]
	v_add_f64_e32 v[16:17], v[16:17], v[18:19]
	ds_load_b128 v[4:7], v2 offset:1296
	ds_load_b128 v[8:11], v2 offset:1312
	v_fmac_f64_e32 v[20:21], v[14:15], v[118:119]
	v_fma_f64 v[12:13], v[12:13], v[118:119], -v[22:23]
	s_wait_loadcnt_dscnt 0x201
	v_mul_f64_e32 v[18:19], v[4:5], v[124:125]
	v_mul_f64_e32 v[114:115], v[6:7], v[124:125]
	s_wait_loadcnt_dscnt 0x100
	v_mul_f64_e32 v[22:23], v[8:9], v[128:129]
	v_add_f64_e32 v[14:15], v[112:113], v[110:111]
	v_add_f64_e32 v[16:17], v[16:17], v[130:131]
	v_mul_f64_e32 v[110:111], v[10:11], v[128:129]
	v_fmac_f64_e32 v[18:19], v[6:7], v[122:123]
	v_fma_f64 v[112:113], v[4:5], v[122:123], -v[114:115]
	ds_load_b128 v[4:7], v2 offset:1328
	v_fmac_f64_e32 v[22:23], v[10:11], v[126:127]
	v_add_f64_e32 v[12:13], v[14:15], v[12:13]
	v_add_f64_e32 v[14:15], v[16:17], v[20:21]
	v_fma_f64 v[8:9], v[8:9], v[126:127], -v[110:111]
	s_wait_loadcnt_dscnt 0x0
	v_mul_f64_e32 v[16:17], v[4:5], v[136:137]
	v_mul_f64_e32 v[20:21], v[6:7], v[136:137]
	v_add_f64_e32 v[10:11], v[12:13], v[112:113]
	v_add_f64_e32 v[12:13], v[14:15], v[18:19]
	s_delay_alu instid0(VALU_DEP_4) | instskip(NEXT) | instid1(VALU_DEP_4)
	v_fmac_f64_e32 v[16:17], v[6:7], v[134:135]
	v_fma_f64 v[4:5], v[4:5], v[134:135], -v[20:21]
	s_delay_alu instid0(VALU_DEP_4) | instskip(NEXT) | instid1(VALU_DEP_4)
	v_add_f64_e32 v[6:7], v[10:11], v[8:9]
	v_add_f64_e32 v[8:9], v[12:13], v[22:23]
	s_delay_alu instid0(VALU_DEP_2) | instskip(NEXT) | instid1(VALU_DEP_2)
	v_add_f64_e32 v[4:5], v[6:7], v[4:5]
	v_add_f64_e32 v[6:7], v[8:9], v[16:17]
	s_delay_alu instid0(VALU_DEP_2) | instskip(NEXT) | instid1(VALU_DEP_2)
	v_add_f64_e64 v[4:5], v[138:139], -v[4:5]
	v_add_f64_e64 v[6:7], v[140:141], -v[6:7]
	scratch_store_b128 off, v[4:7], off offset:288
	s_wait_xcnt 0x0
	v_cmpx_lt_u32_e32 17, v1
	s_cbranch_execz .LBB105_231
; %bb.230:
	scratch_load_b128 v[6:9], off, s41
	v_dual_mov_b32 v3, v2 :: v_dual_mov_b32 v4, v2
	v_mov_b32_e32 v5, v2
	scratch_store_b128 off, v[2:5], off offset:272
	s_wait_loadcnt 0x0
	ds_store_b128 v108, v[6:9]
.LBB105_231:
	s_wait_xcnt 0x0
	s_or_b32 exec_lo, exec_lo, s2
	s_wait_storecnt_dscnt 0x0
	s_barrier_signal -1
	s_barrier_wait -1
	s_clause 0x9
	scratch_load_b128 v[4:7], off, off offset:288
	scratch_load_b128 v[8:11], off, off offset:304
	;; [unrolled: 1-line block ×10, first 2 shown]
	ds_load_b128 v[130:133], v2 offset:960
	ds_load_b128 v[138:141], v2 offset:976
	s_clause 0x2
	scratch_load_b128 v[134:137], off, off offset:448
	scratch_load_b128 v[142:145], off, off offset:272
	;; [unrolled: 1-line block ×3, first 2 shown]
	s_mov_b32 s2, exec_lo
	s_wait_loadcnt_dscnt 0xc01
	v_mul_f64_e32 v[150:151], v[132:133], v[6:7]
	v_mul_f64_e32 v[154:155], v[130:131], v[6:7]
	s_wait_loadcnt_dscnt 0xb00
	v_mul_f64_e32 v[156:157], v[138:139], v[10:11]
	v_mul_f64_e32 v[10:11], v[140:141], v[10:11]
	s_delay_alu instid0(VALU_DEP_4) | instskip(NEXT) | instid1(VALU_DEP_4)
	v_fma_f64 v[158:159], v[130:131], v[4:5], -v[150:151]
	v_fmac_f64_e32 v[154:155], v[132:133], v[4:5]
	ds_load_b128 v[4:7], v2 offset:992
	ds_load_b128 v[130:133], v2 offset:1008
	scratch_load_b128 v[150:153], off, off offset:480
	v_fmac_f64_e32 v[156:157], v[140:141], v[8:9]
	v_fma_f64 v[138:139], v[138:139], v[8:9], -v[10:11]
	scratch_load_b128 v[8:11], off, off offset:496
	s_wait_loadcnt_dscnt 0xc01
	v_mul_f64_e32 v[160:161], v[4:5], v[14:15]
	v_mul_f64_e32 v[14:15], v[6:7], v[14:15]
	v_add_f64_e32 v[140:141], 0, v[158:159]
	v_add_f64_e32 v[154:155], 0, v[154:155]
	s_wait_loadcnt_dscnt 0xb00
	v_mul_f64_e32 v[158:159], v[130:131], v[18:19]
	v_mul_f64_e32 v[18:19], v[132:133], v[18:19]
	v_fmac_f64_e32 v[160:161], v[6:7], v[12:13]
	v_fma_f64 v[162:163], v[4:5], v[12:13], -v[14:15]
	ds_load_b128 v[4:7], v2 offset:1024
	ds_load_b128 v[12:15], v2 offset:1040
	v_add_f64_e32 v[164:165], v[140:141], v[138:139]
	v_add_f64_e32 v[154:155], v[154:155], v[156:157]
	scratch_load_b128 v[138:141], off, off offset:512
	v_fmac_f64_e32 v[158:159], v[132:133], v[16:17]
	v_fma_f64 v[130:131], v[130:131], v[16:17], -v[18:19]
	scratch_load_b128 v[16:19], off, off offset:528
	s_wait_loadcnt_dscnt 0xc01
	v_mul_f64_e32 v[156:157], v[4:5], v[22:23]
	v_mul_f64_e32 v[22:23], v[6:7], v[22:23]
	v_add_f64_e32 v[132:133], v[164:165], v[162:163]
	v_add_f64_e32 v[154:155], v[154:155], v[160:161]
	s_wait_loadcnt_dscnt 0xb00
	v_mul_f64_e32 v[160:161], v[12:13], v[112:113]
	v_mul_f64_e32 v[112:113], v[14:15], v[112:113]
	v_fmac_f64_e32 v[156:157], v[6:7], v[20:21]
	v_fma_f64 v[162:163], v[4:5], v[20:21], -v[22:23]
	ds_load_b128 v[4:7], v2 offset:1056
	ds_load_b128 v[20:23], v2 offset:1072
	v_add_f64_e32 v[164:165], v[132:133], v[130:131]
	v_add_f64_e32 v[154:155], v[154:155], v[158:159]
	scratch_load_b128 v[130:133], off, off offset:544
	s_wait_loadcnt_dscnt 0xb01
	v_mul_f64_e32 v[158:159], v[4:5], v[116:117]
	v_mul_f64_e32 v[116:117], v[6:7], v[116:117]
	v_fmac_f64_e32 v[160:161], v[14:15], v[110:111]
	v_fma_f64 v[110:111], v[12:13], v[110:111], -v[112:113]
	scratch_load_b128 v[12:15], off, off offset:560
	v_add_f64_e32 v[112:113], v[164:165], v[162:163]
	v_add_f64_e32 v[154:155], v[154:155], v[156:157]
	s_wait_loadcnt_dscnt 0xb00
	v_mul_f64_e32 v[156:157], v[20:21], v[120:121]
	v_mul_f64_e32 v[120:121], v[22:23], v[120:121]
	v_fmac_f64_e32 v[158:159], v[6:7], v[114:115]
	v_fma_f64 v[162:163], v[4:5], v[114:115], -v[116:117]
	v_add_f64_e32 v[164:165], v[112:113], v[110:111]
	v_add_f64_e32 v[154:155], v[154:155], v[160:161]
	ds_load_b128 v[4:7], v2 offset:1088
	ds_load_b128 v[110:113], v2 offset:1104
	scratch_load_b128 v[114:117], off, off offset:576
	v_fmac_f64_e32 v[156:157], v[22:23], v[118:119]
	v_fma_f64 v[118:119], v[20:21], v[118:119], -v[120:121]
	scratch_load_b128 v[20:23], off, off offset:592
	s_wait_loadcnt_dscnt 0xc01
	v_mul_f64_e32 v[160:161], v[4:5], v[124:125]
	v_mul_f64_e32 v[124:125], v[6:7], v[124:125]
	v_add_f64_e32 v[120:121], v[164:165], v[162:163]
	v_add_f64_e32 v[154:155], v[154:155], v[158:159]
	s_wait_loadcnt_dscnt 0xb00
	v_mul_f64_e32 v[158:159], v[110:111], v[128:129]
	v_mul_f64_e32 v[128:129], v[112:113], v[128:129]
	v_fmac_f64_e32 v[160:161], v[6:7], v[122:123]
	v_fma_f64 v[162:163], v[4:5], v[122:123], -v[124:125]
	v_add_f64_e32 v[164:165], v[120:121], v[118:119]
	v_add_f64_e32 v[154:155], v[154:155], v[156:157]
	ds_load_b128 v[4:7], v2 offset:1120
	ds_load_b128 v[118:121], v2 offset:1136
	scratch_load_b128 v[122:125], off, off offset:608
	v_fmac_f64_e32 v[158:159], v[112:113], v[126:127]
	v_fma_f64 v[126:127], v[110:111], v[126:127], -v[128:129]
	scratch_load_b128 v[110:113], off, off offset:624
	s_wait_loadcnt_dscnt 0xc01
	v_mul_f64_e32 v[156:157], v[4:5], v[136:137]
	v_mul_f64_e32 v[136:137], v[6:7], v[136:137]
	;; [unrolled: 18-line block ×3, first 2 shown]
	v_add_f64_e32 v[148:149], v[164:165], v[162:163]
	v_add_f64_e32 v[154:155], v[154:155], v[156:157]
	s_wait_loadcnt_dscnt 0xa00
	v_mul_f64_e32 v[156:157], v[126:127], v[10:11]
	v_mul_f64_e32 v[10:11], v[128:129], v[10:11]
	v_fmac_f64_e32 v[158:159], v[6:7], v[150:151]
	v_fma_f64 v[150:151], v[4:5], v[150:151], -v[152:153]
	v_add_f64_e32 v[152:153], v[148:149], v[146:147]
	v_add_f64_e32 v[154:155], v[154:155], v[160:161]
	ds_load_b128 v[4:7], v2 offset:1184
	ds_load_b128 v[146:149], v2 offset:1200
	v_fmac_f64_e32 v[156:157], v[128:129], v[8:9]
	v_fma_f64 v[8:9], v[126:127], v[8:9], -v[10:11]
	s_wait_loadcnt_dscnt 0x901
	v_mul_f64_e32 v[160:161], v[4:5], v[140:141]
	v_mul_f64_e32 v[140:141], v[6:7], v[140:141]
	s_wait_loadcnt_dscnt 0x800
	v_mul_f64_e32 v[128:129], v[146:147], v[18:19]
	v_mul_f64_e32 v[18:19], v[148:149], v[18:19]
	v_add_f64_e32 v[10:11], v[152:153], v[150:151]
	v_add_f64_e32 v[126:127], v[154:155], v[158:159]
	v_fmac_f64_e32 v[160:161], v[6:7], v[138:139]
	v_fma_f64 v[138:139], v[4:5], v[138:139], -v[140:141]
	v_fmac_f64_e32 v[128:129], v[148:149], v[16:17]
	v_fma_f64 v[16:17], v[146:147], v[16:17], -v[18:19]
	v_add_f64_e32 v[140:141], v[10:11], v[8:9]
	v_add_f64_e32 v[126:127], v[126:127], v[156:157]
	ds_load_b128 v[4:7], v2 offset:1216
	ds_load_b128 v[8:11], v2 offset:1232
	s_wait_loadcnt_dscnt 0x701
	v_mul_f64_e32 v[150:151], v[4:5], v[132:133]
	v_mul_f64_e32 v[132:133], v[6:7], v[132:133]
	v_add_f64_e32 v[18:19], v[140:141], v[138:139]
	v_add_f64_e32 v[126:127], v[126:127], v[160:161]
	s_wait_loadcnt_dscnt 0x600
	v_mul_f64_e32 v[138:139], v[8:9], v[14:15]
	v_mul_f64_e32 v[140:141], v[10:11], v[14:15]
	v_fmac_f64_e32 v[150:151], v[6:7], v[130:131]
	v_fma_f64 v[130:131], v[4:5], v[130:131], -v[132:133]
	v_add_f64_e32 v[18:19], v[18:19], v[16:17]
	v_add_f64_e32 v[126:127], v[126:127], v[128:129]
	ds_load_b128 v[4:7], v2 offset:1248
	ds_load_b128 v[14:17], v2 offset:1264
	v_fmac_f64_e32 v[138:139], v[10:11], v[12:13]
	v_fma_f64 v[8:9], v[8:9], v[12:13], -v[140:141]
	s_wait_loadcnt_dscnt 0x501
	v_mul_f64_e32 v[128:129], v[4:5], v[116:117]
	v_mul_f64_e32 v[116:117], v[6:7], v[116:117]
	v_add_f64_e32 v[10:11], v[18:19], v[130:131]
	v_add_f64_e32 v[12:13], v[126:127], v[150:151]
	s_wait_loadcnt_dscnt 0x400
	v_mul_f64_e32 v[18:19], v[14:15], v[22:23]
	v_mul_f64_e32 v[22:23], v[16:17], v[22:23]
	v_fmac_f64_e32 v[128:129], v[6:7], v[114:115]
	v_fma_f64 v[114:115], v[4:5], v[114:115], -v[116:117]
	v_add_f64_e32 v[116:117], v[10:11], v[8:9]
	v_add_f64_e32 v[12:13], v[12:13], v[138:139]
	ds_load_b128 v[4:7], v2 offset:1280
	ds_load_b128 v[8:11], v2 offset:1296
	v_fmac_f64_e32 v[18:19], v[16:17], v[20:21]
	v_fma_f64 v[14:15], v[14:15], v[20:21], -v[22:23]
	s_wait_loadcnt_dscnt 0x301
	v_mul_f64_e32 v[126:127], v[4:5], v[124:125]
	v_mul_f64_e32 v[124:125], v[6:7], v[124:125]
	s_wait_loadcnt_dscnt 0x200
	v_mul_f64_e32 v[20:21], v[8:9], v[112:113]
	v_mul_f64_e32 v[22:23], v[10:11], v[112:113]
	v_add_f64_e32 v[16:17], v[116:117], v[114:115]
	v_add_f64_e32 v[12:13], v[12:13], v[128:129]
	v_fmac_f64_e32 v[126:127], v[6:7], v[122:123]
	v_fma_f64 v[112:113], v[4:5], v[122:123], -v[124:125]
	v_fmac_f64_e32 v[20:21], v[10:11], v[110:111]
	v_fma_f64 v[8:9], v[8:9], v[110:111], -v[22:23]
	v_add_f64_e32 v[16:17], v[16:17], v[14:15]
	v_add_f64_e32 v[18:19], v[12:13], v[18:19]
	ds_load_b128 v[4:7], v2 offset:1312
	ds_load_b128 v[12:15], v2 offset:1328
	s_wait_loadcnt_dscnt 0x101
	v_mul_f64_e32 v[2:3], v[4:5], v[136:137]
	v_mul_f64_e32 v[114:115], v[6:7], v[136:137]
	s_wait_loadcnt_dscnt 0x0
	v_mul_f64_e32 v[22:23], v[14:15], v[120:121]
	v_add_f64_e32 v[10:11], v[16:17], v[112:113]
	v_add_f64_e32 v[16:17], v[18:19], v[126:127]
	v_mul_f64_e32 v[18:19], v[12:13], v[120:121]
	v_fmac_f64_e32 v[2:3], v[6:7], v[134:135]
	v_fma_f64 v[4:5], v[4:5], v[134:135], -v[114:115]
	v_add_f64_e32 v[6:7], v[10:11], v[8:9]
	v_add_f64_e32 v[8:9], v[16:17], v[20:21]
	v_fmac_f64_e32 v[18:19], v[14:15], v[118:119]
	v_fma_f64 v[10:11], v[12:13], v[118:119], -v[22:23]
	s_delay_alu instid0(VALU_DEP_4) | instskip(NEXT) | instid1(VALU_DEP_4)
	v_add_f64_e32 v[4:5], v[6:7], v[4:5]
	v_add_f64_e32 v[2:3], v[8:9], v[2:3]
	s_delay_alu instid0(VALU_DEP_2) | instskip(NEXT) | instid1(VALU_DEP_2)
	v_add_f64_e32 v[4:5], v[4:5], v[10:11]
	v_add_f64_e32 v[6:7], v[2:3], v[18:19]
	s_delay_alu instid0(VALU_DEP_2) | instskip(NEXT) | instid1(VALU_DEP_2)
	v_add_f64_e64 v[2:3], v[142:143], -v[4:5]
	v_add_f64_e64 v[4:5], v[144:145], -v[6:7]
	scratch_store_b128 off, v[2:5], off offset:272
	s_wait_xcnt 0x0
	v_cmpx_lt_u32_e32 16, v1
	s_cbranch_execz .LBB105_233
; %bb.232:
	scratch_load_b128 v[2:5], off, s42
	v_mov_b32_e32 v6, 0
	s_delay_alu instid0(VALU_DEP_1)
	v_dual_mov_b32 v7, v6 :: v_dual_mov_b32 v8, v6
	v_mov_b32_e32 v9, v6
	scratch_store_b128 off, v[6:9], off offset:256
	s_wait_loadcnt 0x0
	ds_store_b128 v108, v[2:5]
.LBB105_233:
	s_wait_xcnt 0x0
	s_or_b32 exec_lo, exec_lo, s2
	s_wait_storecnt_dscnt 0x0
	s_barrier_signal -1
	s_barrier_wait -1
	s_clause 0x9
	scratch_load_b128 v[4:7], off, off offset:272
	scratch_load_b128 v[8:11], off, off offset:288
	scratch_load_b128 v[12:15], off, off offset:304
	scratch_load_b128 v[16:19], off, off offset:320
	scratch_load_b128 v[20:23], off, off offset:336
	scratch_load_b128 v[110:113], off, off offset:352
	scratch_load_b128 v[114:117], off, off offset:368
	scratch_load_b128 v[118:121], off, off offset:384
	scratch_load_b128 v[122:125], off, off offset:400
	scratch_load_b128 v[126:129], off, off offset:416
	v_mov_b32_e32 v2, 0
	s_mov_b32 s2, exec_lo
	ds_load_b128 v[130:133], v2 offset:944
	s_clause 0x2
	scratch_load_b128 v[134:137], off, off offset:432
	scratch_load_b128 v[138:141], off, off offset:256
	scratch_load_b128 v[146:149], off, off offset:448
	s_wait_loadcnt_dscnt 0xc00
	v_mul_f64_e32 v[150:151], v[132:133], v[6:7]
	v_mul_f64_e32 v[154:155], v[130:131], v[6:7]
	ds_load_b128 v[142:145], v2 offset:960
	v_fma_f64 v[158:159], v[130:131], v[4:5], -v[150:151]
	v_fmac_f64_e32 v[154:155], v[132:133], v[4:5]
	ds_load_b128 v[4:7], v2 offset:976
	s_wait_loadcnt_dscnt 0xb01
	v_mul_f64_e32 v[156:157], v[142:143], v[10:11]
	v_mul_f64_e32 v[10:11], v[144:145], v[10:11]
	scratch_load_b128 v[130:133], off, off offset:464
	ds_load_b128 v[150:153], v2 offset:992
	s_wait_loadcnt_dscnt 0xb01
	v_mul_f64_e32 v[160:161], v[4:5], v[14:15]
	v_mul_f64_e32 v[14:15], v[6:7], v[14:15]
	v_add_f64_e32 v[154:155], 0, v[154:155]
	v_fmac_f64_e32 v[156:157], v[144:145], v[8:9]
	v_fma_f64 v[142:143], v[142:143], v[8:9], -v[10:11]
	v_add_f64_e32 v[144:145], 0, v[158:159]
	scratch_load_b128 v[8:11], off, off offset:480
	v_fmac_f64_e32 v[160:161], v[6:7], v[12:13]
	v_fma_f64 v[162:163], v[4:5], v[12:13], -v[14:15]
	ds_load_b128 v[4:7], v2 offset:1008
	s_wait_loadcnt_dscnt 0xb01
	v_mul_f64_e32 v[158:159], v[150:151], v[18:19]
	v_mul_f64_e32 v[18:19], v[152:153], v[18:19]
	scratch_load_b128 v[12:15], off, off offset:496
	v_add_f64_e32 v[154:155], v[154:155], v[156:157]
	v_add_f64_e32 v[164:165], v[144:145], v[142:143]
	ds_load_b128 v[142:145], v2 offset:1024
	s_wait_loadcnt_dscnt 0xb01
	v_mul_f64_e32 v[156:157], v[4:5], v[22:23]
	v_mul_f64_e32 v[22:23], v[6:7], v[22:23]
	v_fmac_f64_e32 v[158:159], v[152:153], v[16:17]
	v_fma_f64 v[150:151], v[150:151], v[16:17], -v[18:19]
	scratch_load_b128 v[16:19], off, off offset:512
	v_add_f64_e32 v[154:155], v[154:155], v[160:161]
	v_add_f64_e32 v[152:153], v[164:165], v[162:163]
	v_fmac_f64_e32 v[156:157], v[6:7], v[20:21]
	v_fma_f64 v[162:163], v[4:5], v[20:21], -v[22:23]
	ds_load_b128 v[4:7], v2 offset:1040
	s_wait_loadcnt_dscnt 0xb01
	v_mul_f64_e32 v[160:161], v[142:143], v[112:113]
	v_mul_f64_e32 v[112:113], v[144:145], v[112:113]
	scratch_load_b128 v[20:23], off, off offset:528
	v_add_f64_e32 v[154:155], v[154:155], v[158:159]
	s_wait_loadcnt_dscnt 0xb00
	v_mul_f64_e32 v[158:159], v[4:5], v[116:117]
	v_add_f64_e32 v[164:165], v[152:153], v[150:151]
	v_mul_f64_e32 v[116:117], v[6:7], v[116:117]
	ds_load_b128 v[150:153], v2 offset:1056
	v_fmac_f64_e32 v[160:161], v[144:145], v[110:111]
	v_fma_f64 v[142:143], v[142:143], v[110:111], -v[112:113]
	scratch_load_b128 v[110:113], off, off offset:544
	v_add_f64_e32 v[154:155], v[154:155], v[156:157]
	v_fmac_f64_e32 v[158:159], v[6:7], v[114:115]
	v_add_f64_e32 v[144:145], v[164:165], v[162:163]
	v_fma_f64 v[162:163], v[4:5], v[114:115], -v[116:117]
	ds_load_b128 v[4:7], v2 offset:1072
	s_wait_loadcnt_dscnt 0xb01
	v_mul_f64_e32 v[156:157], v[150:151], v[120:121]
	v_mul_f64_e32 v[120:121], v[152:153], v[120:121]
	scratch_load_b128 v[114:117], off, off offset:560
	v_add_f64_e32 v[154:155], v[154:155], v[160:161]
	s_wait_loadcnt_dscnt 0xb00
	v_mul_f64_e32 v[160:161], v[4:5], v[124:125]
	v_add_f64_e32 v[164:165], v[144:145], v[142:143]
	v_mul_f64_e32 v[124:125], v[6:7], v[124:125]
	ds_load_b128 v[142:145], v2 offset:1088
	v_fmac_f64_e32 v[156:157], v[152:153], v[118:119]
	v_fma_f64 v[150:151], v[150:151], v[118:119], -v[120:121]
	scratch_load_b128 v[118:121], off, off offset:576
	v_add_f64_e32 v[154:155], v[154:155], v[158:159]
	v_fmac_f64_e32 v[160:161], v[6:7], v[122:123]
	v_add_f64_e32 v[152:153], v[164:165], v[162:163]
	;; [unrolled: 18-line block ×3, first 2 shown]
	v_fma_f64 v[162:163], v[4:5], v[134:135], -v[136:137]
	ds_load_b128 v[4:7], v2 offset:1136
	s_wait_loadcnt_dscnt 0xa01
	v_mul_f64_e32 v[160:161], v[150:151], v[148:149]
	v_mul_f64_e32 v[148:149], v[152:153], v[148:149]
	scratch_load_b128 v[134:137], off, off offset:624
	v_add_f64_e32 v[154:155], v[154:155], v[158:159]
	v_add_f64_e32 v[164:165], v[144:145], v[142:143]
	s_wait_loadcnt_dscnt 0xa00
	v_mul_f64_e32 v[158:159], v[4:5], v[132:133]
	v_mul_f64_e32 v[132:133], v[6:7], v[132:133]
	v_fmac_f64_e32 v[160:161], v[152:153], v[146:147]
	v_fma_f64 v[150:151], v[150:151], v[146:147], -v[148:149]
	ds_load_b128 v[142:145], v2 offset:1152
	scratch_load_b128 v[146:149], off, off offset:640
	v_add_f64_e32 v[154:155], v[154:155], v[156:157]
	v_add_f64_e32 v[152:153], v[164:165], v[162:163]
	v_fmac_f64_e32 v[158:159], v[6:7], v[130:131]
	v_fma_f64 v[162:163], v[4:5], v[130:131], -v[132:133]
	ds_load_b128 v[4:7], v2 offset:1168
	s_wait_loadcnt_dscnt 0xa01
	v_mul_f64_e32 v[156:157], v[142:143], v[10:11]
	v_mul_f64_e32 v[10:11], v[144:145], v[10:11]
	scratch_load_b128 v[130:133], off, off offset:656
	v_add_f64_e32 v[154:155], v[154:155], v[160:161]
	s_wait_loadcnt_dscnt 0xa00
	v_mul_f64_e32 v[160:161], v[4:5], v[14:15]
	v_add_f64_e32 v[164:165], v[152:153], v[150:151]
	v_mul_f64_e32 v[14:15], v[6:7], v[14:15]
	ds_load_b128 v[150:153], v2 offset:1184
	v_fmac_f64_e32 v[156:157], v[144:145], v[8:9]
	v_fma_f64 v[8:9], v[142:143], v[8:9], -v[10:11]
	s_wait_loadcnt_dscnt 0x900
	v_mul_f64_e32 v[144:145], v[150:151], v[18:19]
	v_mul_f64_e32 v[18:19], v[152:153], v[18:19]
	v_add_f64_e32 v[142:143], v[154:155], v[158:159]
	v_fmac_f64_e32 v[160:161], v[6:7], v[12:13]
	v_add_f64_e32 v[10:11], v[164:165], v[162:163]
	v_fma_f64 v[12:13], v[4:5], v[12:13], -v[14:15]
	v_fmac_f64_e32 v[144:145], v[152:153], v[16:17]
	v_fma_f64 v[16:17], v[150:151], v[16:17], -v[18:19]
	v_add_f64_e32 v[142:143], v[142:143], v[156:157]
	v_add_f64_e32 v[14:15], v[10:11], v[8:9]
	ds_load_b128 v[4:7], v2 offset:1200
	ds_load_b128 v[8:11], v2 offset:1216
	s_wait_loadcnt_dscnt 0x801
	v_mul_f64_e32 v[154:155], v[4:5], v[22:23]
	v_mul_f64_e32 v[22:23], v[6:7], v[22:23]
	s_wait_loadcnt_dscnt 0x700
	v_mul_f64_e32 v[18:19], v[8:9], v[112:113]
	v_mul_f64_e32 v[112:113], v[10:11], v[112:113]
	v_add_f64_e32 v[12:13], v[14:15], v[12:13]
	v_add_f64_e32 v[14:15], v[142:143], v[160:161]
	v_fmac_f64_e32 v[154:155], v[6:7], v[20:21]
	v_fma_f64 v[20:21], v[4:5], v[20:21], -v[22:23]
	v_fmac_f64_e32 v[18:19], v[10:11], v[110:111]
	v_fma_f64 v[8:9], v[8:9], v[110:111], -v[112:113]
	v_add_f64_e32 v[16:17], v[12:13], v[16:17]
	v_add_f64_e32 v[22:23], v[14:15], v[144:145]
	ds_load_b128 v[4:7], v2 offset:1232
	ds_load_b128 v[12:15], v2 offset:1248
	s_wait_loadcnt_dscnt 0x601
	v_mul_f64_e32 v[142:143], v[4:5], v[116:117]
	v_mul_f64_e32 v[116:117], v[6:7], v[116:117]
	v_add_f64_e32 v[10:11], v[16:17], v[20:21]
	v_add_f64_e32 v[16:17], v[22:23], v[154:155]
	s_wait_loadcnt_dscnt 0x500
	v_mul_f64_e32 v[20:21], v[12:13], v[120:121]
	v_mul_f64_e32 v[22:23], v[14:15], v[120:121]
	v_fmac_f64_e32 v[142:143], v[6:7], v[114:115]
	v_fma_f64 v[110:111], v[4:5], v[114:115], -v[116:117]
	v_add_f64_e32 v[112:113], v[10:11], v[8:9]
	v_add_f64_e32 v[16:17], v[16:17], v[18:19]
	ds_load_b128 v[4:7], v2 offset:1264
	ds_load_b128 v[8:11], v2 offset:1280
	v_fmac_f64_e32 v[20:21], v[14:15], v[118:119]
	v_fma_f64 v[12:13], v[12:13], v[118:119], -v[22:23]
	s_wait_loadcnt_dscnt 0x401
	v_mul_f64_e32 v[18:19], v[4:5], v[124:125]
	v_mul_f64_e32 v[114:115], v[6:7], v[124:125]
	s_wait_loadcnt_dscnt 0x300
	v_mul_f64_e32 v[22:23], v[8:9], v[128:129]
	v_add_f64_e32 v[14:15], v[112:113], v[110:111]
	v_add_f64_e32 v[16:17], v[16:17], v[142:143]
	v_mul_f64_e32 v[110:111], v[10:11], v[128:129]
	v_fmac_f64_e32 v[18:19], v[6:7], v[122:123]
	v_fma_f64 v[112:113], v[4:5], v[122:123], -v[114:115]
	v_fmac_f64_e32 v[22:23], v[10:11], v[126:127]
	v_add_f64_e32 v[114:115], v[14:15], v[12:13]
	v_add_f64_e32 v[16:17], v[16:17], v[20:21]
	ds_load_b128 v[4:7], v2 offset:1296
	ds_load_b128 v[12:15], v2 offset:1312
	v_fma_f64 v[8:9], v[8:9], v[126:127], -v[110:111]
	s_wait_loadcnt_dscnt 0x201
	v_mul_f64_e32 v[20:21], v[4:5], v[136:137]
	v_mul_f64_e32 v[116:117], v[6:7], v[136:137]
	s_wait_loadcnt_dscnt 0x100
	v_mul_f64_e32 v[110:111], v[14:15], v[148:149]
	v_add_f64_e32 v[10:11], v[114:115], v[112:113]
	v_add_f64_e32 v[16:17], v[16:17], v[18:19]
	v_mul_f64_e32 v[18:19], v[12:13], v[148:149]
	v_fmac_f64_e32 v[20:21], v[6:7], v[134:135]
	v_fma_f64 v[112:113], v[4:5], v[134:135], -v[116:117]
	ds_load_b128 v[4:7], v2 offset:1328
	v_fma_f64 v[12:13], v[12:13], v[146:147], -v[110:111]
	v_add_f64_e32 v[8:9], v[10:11], v[8:9]
	v_add_f64_e32 v[10:11], v[16:17], v[22:23]
	v_fmac_f64_e32 v[18:19], v[14:15], v[146:147]
	s_wait_loadcnt_dscnt 0x0
	v_mul_f64_e32 v[16:17], v[4:5], v[132:133]
	v_mul_f64_e32 v[22:23], v[6:7], v[132:133]
	v_add_f64_e32 v[8:9], v[8:9], v[112:113]
	v_add_f64_e32 v[10:11], v[10:11], v[20:21]
	s_delay_alu instid0(VALU_DEP_4) | instskip(NEXT) | instid1(VALU_DEP_4)
	v_fmac_f64_e32 v[16:17], v[6:7], v[130:131]
	v_fma_f64 v[4:5], v[4:5], v[130:131], -v[22:23]
	s_delay_alu instid0(VALU_DEP_4) | instskip(NEXT) | instid1(VALU_DEP_4)
	v_add_f64_e32 v[6:7], v[8:9], v[12:13]
	v_add_f64_e32 v[8:9], v[10:11], v[18:19]
	s_delay_alu instid0(VALU_DEP_2) | instskip(NEXT) | instid1(VALU_DEP_2)
	v_add_f64_e32 v[4:5], v[6:7], v[4:5]
	v_add_f64_e32 v[6:7], v[8:9], v[16:17]
	s_delay_alu instid0(VALU_DEP_2) | instskip(NEXT) | instid1(VALU_DEP_2)
	v_add_f64_e64 v[4:5], v[138:139], -v[4:5]
	v_add_f64_e64 v[6:7], v[140:141], -v[6:7]
	scratch_store_b128 off, v[4:7], off offset:256
	s_wait_xcnt 0x0
	v_cmpx_lt_u32_e32 15, v1
	s_cbranch_execz .LBB105_235
; %bb.234:
	scratch_load_b128 v[6:9], off, s43
	v_dual_mov_b32 v3, v2 :: v_dual_mov_b32 v4, v2
	v_mov_b32_e32 v5, v2
	scratch_store_b128 off, v[2:5], off offset:240
	s_wait_loadcnt 0x0
	ds_store_b128 v108, v[6:9]
.LBB105_235:
	s_wait_xcnt 0x0
	s_or_b32 exec_lo, exec_lo, s2
	s_wait_storecnt_dscnt 0x0
	s_barrier_signal -1
	s_barrier_wait -1
	s_clause 0x9
	scratch_load_b128 v[4:7], off, off offset:256
	scratch_load_b128 v[8:11], off, off offset:272
	;; [unrolled: 1-line block ×10, first 2 shown]
	ds_load_b128 v[130:133], v2 offset:928
	ds_load_b128 v[138:141], v2 offset:944
	s_clause 0x2
	scratch_load_b128 v[134:137], off, off offset:416
	scratch_load_b128 v[142:145], off, off offset:240
	;; [unrolled: 1-line block ×3, first 2 shown]
	s_mov_b32 s2, exec_lo
	s_wait_loadcnt_dscnt 0xc01
	v_mul_f64_e32 v[150:151], v[132:133], v[6:7]
	v_mul_f64_e32 v[154:155], v[130:131], v[6:7]
	s_wait_loadcnt_dscnt 0xb00
	v_mul_f64_e32 v[156:157], v[138:139], v[10:11]
	v_mul_f64_e32 v[10:11], v[140:141], v[10:11]
	s_delay_alu instid0(VALU_DEP_4) | instskip(NEXT) | instid1(VALU_DEP_4)
	v_fma_f64 v[158:159], v[130:131], v[4:5], -v[150:151]
	v_fmac_f64_e32 v[154:155], v[132:133], v[4:5]
	ds_load_b128 v[4:7], v2 offset:960
	ds_load_b128 v[130:133], v2 offset:976
	scratch_load_b128 v[150:153], off, off offset:448
	v_fmac_f64_e32 v[156:157], v[140:141], v[8:9]
	v_fma_f64 v[138:139], v[138:139], v[8:9], -v[10:11]
	scratch_load_b128 v[8:11], off, off offset:464
	s_wait_loadcnt_dscnt 0xc01
	v_mul_f64_e32 v[160:161], v[4:5], v[14:15]
	v_mul_f64_e32 v[14:15], v[6:7], v[14:15]
	v_add_f64_e32 v[140:141], 0, v[158:159]
	v_add_f64_e32 v[154:155], 0, v[154:155]
	s_wait_loadcnt_dscnt 0xb00
	v_mul_f64_e32 v[158:159], v[130:131], v[18:19]
	v_mul_f64_e32 v[18:19], v[132:133], v[18:19]
	v_fmac_f64_e32 v[160:161], v[6:7], v[12:13]
	v_fma_f64 v[162:163], v[4:5], v[12:13], -v[14:15]
	ds_load_b128 v[4:7], v2 offset:992
	ds_load_b128 v[12:15], v2 offset:1008
	v_add_f64_e32 v[164:165], v[140:141], v[138:139]
	v_add_f64_e32 v[154:155], v[154:155], v[156:157]
	scratch_load_b128 v[138:141], off, off offset:480
	v_fmac_f64_e32 v[158:159], v[132:133], v[16:17]
	v_fma_f64 v[130:131], v[130:131], v[16:17], -v[18:19]
	scratch_load_b128 v[16:19], off, off offset:496
	s_wait_loadcnt_dscnt 0xc01
	v_mul_f64_e32 v[156:157], v[4:5], v[22:23]
	v_mul_f64_e32 v[22:23], v[6:7], v[22:23]
	v_add_f64_e32 v[132:133], v[164:165], v[162:163]
	v_add_f64_e32 v[154:155], v[154:155], v[160:161]
	s_wait_loadcnt_dscnt 0xb00
	v_mul_f64_e32 v[160:161], v[12:13], v[112:113]
	v_mul_f64_e32 v[112:113], v[14:15], v[112:113]
	v_fmac_f64_e32 v[156:157], v[6:7], v[20:21]
	v_fma_f64 v[162:163], v[4:5], v[20:21], -v[22:23]
	ds_load_b128 v[4:7], v2 offset:1024
	ds_load_b128 v[20:23], v2 offset:1040
	v_add_f64_e32 v[164:165], v[132:133], v[130:131]
	v_add_f64_e32 v[154:155], v[154:155], v[158:159]
	scratch_load_b128 v[130:133], off, off offset:512
	s_wait_loadcnt_dscnt 0xb01
	v_mul_f64_e32 v[158:159], v[4:5], v[116:117]
	v_mul_f64_e32 v[116:117], v[6:7], v[116:117]
	v_fmac_f64_e32 v[160:161], v[14:15], v[110:111]
	v_fma_f64 v[110:111], v[12:13], v[110:111], -v[112:113]
	scratch_load_b128 v[12:15], off, off offset:528
	v_add_f64_e32 v[112:113], v[164:165], v[162:163]
	v_add_f64_e32 v[154:155], v[154:155], v[156:157]
	s_wait_loadcnt_dscnt 0xb00
	v_mul_f64_e32 v[156:157], v[20:21], v[120:121]
	v_mul_f64_e32 v[120:121], v[22:23], v[120:121]
	v_fmac_f64_e32 v[158:159], v[6:7], v[114:115]
	v_fma_f64 v[162:163], v[4:5], v[114:115], -v[116:117]
	v_add_f64_e32 v[164:165], v[112:113], v[110:111]
	v_add_f64_e32 v[154:155], v[154:155], v[160:161]
	ds_load_b128 v[4:7], v2 offset:1056
	ds_load_b128 v[110:113], v2 offset:1072
	scratch_load_b128 v[114:117], off, off offset:544
	v_fmac_f64_e32 v[156:157], v[22:23], v[118:119]
	v_fma_f64 v[118:119], v[20:21], v[118:119], -v[120:121]
	scratch_load_b128 v[20:23], off, off offset:560
	s_wait_loadcnt_dscnt 0xc01
	v_mul_f64_e32 v[160:161], v[4:5], v[124:125]
	v_mul_f64_e32 v[124:125], v[6:7], v[124:125]
	v_add_f64_e32 v[120:121], v[164:165], v[162:163]
	v_add_f64_e32 v[154:155], v[154:155], v[158:159]
	s_wait_loadcnt_dscnt 0xb00
	v_mul_f64_e32 v[158:159], v[110:111], v[128:129]
	v_mul_f64_e32 v[128:129], v[112:113], v[128:129]
	v_fmac_f64_e32 v[160:161], v[6:7], v[122:123]
	v_fma_f64 v[162:163], v[4:5], v[122:123], -v[124:125]
	v_add_f64_e32 v[164:165], v[120:121], v[118:119]
	v_add_f64_e32 v[154:155], v[154:155], v[156:157]
	ds_load_b128 v[4:7], v2 offset:1088
	ds_load_b128 v[118:121], v2 offset:1104
	scratch_load_b128 v[122:125], off, off offset:576
	v_fmac_f64_e32 v[158:159], v[112:113], v[126:127]
	v_fma_f64 v[126:127], v[110:111], v[126:127], -v[128:129]
	scratch_load_b128 v[110:113], off, off offset:592
	s_wait_loadcnt_dscnt 0xc01
	v_mul_f64_e32 v[156:157], v[4:5], v[136:137]
	v_mul_f64_e32 v[136:137], v[6:7], v[136:137]
	;; [unrolled: 18-line block ×4, first 2 shown]
	v_add_f64_e32 v[128:129], v[164:165], v[162:163]
	v_add_f64_e32 v[154:155], v[154:155], v[158:159]
	s_wait_loadcnt_dscnt 0xa00
	v_mul_f64_e32 v[158:159], v[146:147], v[18:19]
	v_mul_f64_e32 v[18:19], v[148:149], v[18:19]
	v_fmac_f64_e32 v[160:161], v[6:7], v[138:139]
	v_fma_f64 v[138:139], v[4:5], v[138:139], -v[140:141]
	v_add_f64_e32 v[140:141], v[128:129], v[126:127]
	v_add_f64_e32 v[154:155], v[154:155], v[156:157]
	ds_load_b128 v[4:7], v2 offset:1184
	ds_load_b128 v[126:129], v2 offset:1200
	v_fmac_f64_e32 v[158:159], v[148:149], v[16:17]
	v_fma_f64 v[16:17], v[146:147], v[16:17], -v[18:19]
	s_wait_loadcnt_dscnt 0x901
	v_mul_f64_e32 v[156:157], v[4:5], v[132:133]
	v_mul_f64_e32 v[132:133], v[6:7], v[132:133]
	s_wait_loadcnt_dscnt 0x800
	v_mul_f64_e32 v[146:147], v[128:129], v[14:15]
	v_add_f64_e32 v[18:19], v[140:141], v[138:139]
	v_add_f64_e32 v[138:139], v[154:155], v[160:161]
	v_mul_f64_e32 v[140:141], v[126:127], v[14:15]
	v_fmac_f64_e32 v[156:157], v[6:7], v[130:131]
	v_fma_f64 v[130:131], v[4:5], v[130:131], -v[132:133]
	v_add_f64_e32 v[18:19], v[18:19], v[16:17]
	v_add_f64_e32 v[132:133], v[138:139], v[158:159]
	ds_load_b128 v[4:7], v2 offset:1216
	ds_load_b128 v[14:17], v2 offset:1232
	v_fmac_f64_e32 v[140:141], v[128:129], v[12:13]
	v_fma_f64 v[12:13], v[126:127], v[12:13], -v[146:147]
	s_wait_loadcnt_dscnt 0x701
	v_mul_f64_e32 v[138:139], v[4:5], v[116:117]
	v_mul_f64_e32 v[116:117], v[6:7], v[116:117]
	s_wait_loadcnt_dscnt 0x600
	v_mul_f64_e32 v[128:129], v[14:15], v[22:23]
	v_mul_f64_e32 v[22:23], v[16:17], v[22:23]
	v_add_f64_e32 v[18:19], v[18:19], v[130:131]
	v_add_f64_e32 v[126:127], v[132:133], v[156:157]
	v_fmac_f64_e32 v[138:139], v[6:7], v[114:115]
	v_fma_f64 v[130:131], v[4:5], v[114:115], -v[116:117]
	ds_load_b128 v[4:7], v2 offset:1248
	ds_load_b128 v[114:117], v2 offset:1264
	v_fmac_f64_e32 v[128:129], v[16:17], v[20:21]
	v_fma_f64 v[14:15], v[14:15], v[20:21], -v[22:23]
	v_add_f64_e32 v[12:13], v[18:19], v[12:13]
	v_add_f64_e32 v[18:19], v[126:127], v[140:141]
	s_wait_loadcnt_dscnt 0x501
	v_mul_f64_e32 v[126:127], v[4:5], v[124:125]
	v_mul_f64_e32 v[124:125], v[6:7], v[124:125]
	s_wait_loadcnt_dscnt 0x400
	v_mul_f64_e32 v[20:21], v[116:117], v[112:113]
	v_add_f64_e32 v[12:13], v[12:13], v[130:131]
	v_add_f64_e32 v[16:17], v[18:19], v[138:139]
	v_mul_f64_e32 v[18:19], v[114:115], v[112:113]
	v_fmac_f64_e32 v[126:127], v[6:7], v[122:123]
	v_fma_f64 v[22:23], v[4:5], v[122:123], -v[124:125]
	v_fma_f64 v[20:21], v[114:115], v[110:111], -v[20:21]
	v_add_f64_e32 v[112:113], v[12:13], v[14:15]
	v_add_f64_e32 v[16:17], v[16:17], v[128:129]
	ds_load_b128 v[4:7], v2 offset:1280
	ds_load_b128 v[12:15], v2 offset:1296
	v_fmac_f64_e32 v[18:19], v[116:117], v[110:111]
	s_wait_loadcnt_dscnt 0x301
	v_mul_f64_e32 v[122:123], v[4:5], v[136:137]
	v_mul_f64_e32 v[124:125], v[6:7], v[136:137]
	s_wait_loadcnt_dscnt 0x200
	v_mul_f64_e32 v[110:111], v[12:13], v[120:121]
	v_add_f64_e32 v[22:23], v[112:113], v[22:23]
	v_add_f64_e32 v[16:17], v[16:17], v[126:127]
	v_mul_f64_e32 v[112:113], v[14:15], v[120:121]
	v_fmac_f64_e32 v[122:123], v[6:7], v[134:135]
	v_fma_f64 v[114:115], v[4:5], v[134:135], -v[124:125]
	v_fmac_f64_e32 v[110:111], v[14:15], v[118:119]
	v_add_f64_e32 v[20:21], v[22:23], v[20:21]
	v_add_f64_e32 v[22:23], v[16:17], v[18:19]
	ds_load_b128 v[4:7], v2 offset:1312
	ds_load_b128 v[16:19], v2 offset:1328
	v_fma_f64 v[12:13], v[12:13], v[118:119], -v[112:113]
	s_wait_loadcnt_dscnt 0x101
	v_mul_f64_e32 v[2:3], v[4:5], v[152:153]
	v_mul_f64_e32 v[116:117], v[6:7], v[152:153]
	v_add_f64_e32 v[14:15], v[20:21], v[114:115]
	v_add_f64_e32 v[20:21], v[22:23], v[122:123]
	s_wait_loadcnt_dscnt 0x0
	v_mul_f64_e32 v[22:23], v[16:17], v[10:11]
	v_mul_f64_e32 v[10:11], v[18:19], v[10:11]
	v_fmac_f64_e32 v[2:3], v[6:7], v[150:151]
	v_fma_f64 v[4:5], v[4:5], v[150:151], -v[116:117]
	v_add_f64_e32 v[6:7], v[14:15], v[12:13]
	v_add_f64_e32 v[12:13], v[20:21], v[110:111]
	v_fmac_f64_e32 v[22:23], v[18:19], v[8:9]
	v_fma_f64 v[8:9], v[16:17], v[8:9], -v[10:11]
	s_delay_alu instid0(VALU_DEP_4) | instskip(NEXT) | instid1(VALU_DEP_4)
	v_add_f64_e32 v[4:5], v[6:7], v[4:5]
	v_add_f64_e32 v[2:3], v[12:13], v[2:3]
	s_delay_alu instid0(VALU_DEP_2) | instskip(NEXT) | instid1(VALU_DEP_2)
	v_add_f64_e32 v[4:5], v[4:5], v[8:9]
	v_add_f64_e32 v[6:7], v[2:3], v[22:23]
	s_delay_alu instid0(VALU_DEP_2) | instskip(NEXT) | instid1(VALU_DEP_2)
	v_add_f64_e64 v[2:3], v[142:143], -v[4:5]
	v_add_f64_e64 v[4:5], v[144:145], -v[6:7]
	scratch_store_b128 off, v[2:5], off offset:240
	s_wait_xcnt 0x0
	v_cmpx_lt_u32_e32 14, v1
	s_cbranch_execz .LBB105_237
; %bb.236:
	scratch_load_b128 v[2:5], off, s44
	v_mov_b32_e32 v6, 0
	s_delay_alu instid0(VALU_DEP_1)
	v_dual_mov_b32 v7, v6 :: v_dual_mov_b32 v8, v6
	v_mov_b32_e32 v9, v6
	scratch_store_b128 off, v[6:9], off offset:224
	s_wait_loadcnt 0x0
	ds_store_b128 v108, v[2:5]
.LBB105_237:
	s_wait_xcnt 0x0
	s_or_b32 exec_lo, exec_lo, s2
	s_wait_storecnt_dscnt 0x0
	s_barrier_signal -1
	s_barrier_wait -1
	s_clause 0x9
	scratch_load_b128 v[4:7], off, off offset:240
	scratch_load_b128 v[8:11], off, off offset:256
	;; [unrolled: 1-line block ×10, first 2 shown]
	v_mov_b32_e32 v2, 0
	s_mov_b32 s2, exec_lo
	ds_load_b128 v[130:133], v2 offset:912
	s_clause 0x2
	scratch_load_b128 v[134:137], off, off offset:400
	scratch_load_b128 v[138:141], off, off offset:224
	scratch_load_b128 v[146:149], off, off offset:416
	s_wait_loadcnt_dscnt 0xc00
	v_mul_f64_e32 v[150:151], v[132:133], v[6:7]
	v_mul_f64_e32 v[154:155], v[130:131], v[6:7]
	ds_load_b128 v[142:145], v2 offset:928
	v_fma_f64 v[158:159], v[130:131], v[4:5], -v[150:151]
	v_fmac_f64_e32 v[154:155], v[132:133], v[4:5]
	ds_load_b128 v[4:7], v2 offset:944
	s_wait_loadcnt_dscnt 0xb01
	v_mul_f64_e32 v[156:157], v[142:143], v[10:11]
	v_mul_f64_e32 v[10:11], v[144:145], v[10:11]
	scratch_load_b128 v[130:133], off, off offset:432
	ds_load_b128 v[150:153], v2 offset:960
	s_wait_loadcnt_dscnt 0xb01
	v_mul_f64_e32 v[160:161], v[4:5], v[14:15]
	v_mul_f64_e32 v[14:15], v[6:7], v[14:15]
	v_add_f64_e32 v[154:155], 0, v[154:155]
	v_fmac_f64_e32 v[156:157], v[144:145], v[8:9]
	v_fma_f64 v[142:143], v[142:143], v[8:9], -v[10:11]
	v_add_f64_e32 v[144:145], 0, v[158:159]
	scratch_load_b128 v[8:11], off, off offset:448
	v_fmac_f64_e32 v[160:161], v[6:7], v[12:13]
	v_fma_f64 v[162:163], v[4:5], v[12:13], -v[14:15]
	ds_load_b128 v[4:7], v2 offset:976
	s_wait_loadcnt_dscnt 0xb01
	v_mul_f64_e32 v[158:159], v[150:151], v[18:19]
	v_mul_f64_e32 v[18:19], v[152:153], v[18:19]
	scratch_load_b128 v[12:15], off, off offset:464
	v_add_f64_e32 v[154:155], v[154:155], v[156:157]
	v_add_f64_e32 v[164:165], v[144:145], v[142:143]
	ds_load_b128 v[142:145], v2 offset:992
	s_wait_loadcnt_dscnt 0xb01
	v_mul_f64_e32 v[156:157], v[4:5], v[22:23]
	v_mul_f64_e32 v[22:23], v[6:7], v[22:23]
	v_fmac_f64_e32 v[158:159], v[152:153], v[16:17]
	v_fma_f64 v[150:151], v[150:151], v[16:17], -v[18:19]
	scratch_load_b128 v[16:19], off, off offset:480
	v_add_f64_e32 v[154:155], v[154:155], v[160:161]
	v_add_f64_e32 v[152:153], v[164:165], v[162:163]
	v_fmac_f64_e32 v[156:157], v[6:7], v[20:21]
	v_fma_f64 v[162:163], v[4:5], v[20:21], -v[22:23]
	ds_load_b128 v[4:7], v2 offset:1008
	s_wait_loadcnt_dscnt 0xb01
	v_mul_f64_e32 v[160:161], v[142:143], v[112:113]
	v_mul_f64_e32 v[112:113], v[144:145], v[112:113]
	scratch_load_b128 v[20:23], off, off offset:496
	v_add_f64_e32 v[154:155], v[154:155], v[158:159]
	s_wait_loadcnt_dscnt 0xb00
	v_mul_f64_e32 v[158:159], v[4:5], v[116:117]
	v_add_f64_e32 v[164:165], v[152:153], v[150:151]
	v_mul_f64_e32 v[116:117], v[6:7], v[116:117]
	ds_load_b128 v[150:153], v2 offset:1024
	v_fmac_f64_e32 v[160:161], v[144:145], v[110:111]
	v_fma_f64 v[142:143], v[142:143], v[110:111], -v[112:113]
	scratch_load_b128 v[110:113], off, off offset:512
	v_add_f64_e32 v[154:155], v[154:155], v[156:157]
	v_fmac_f64_e32 v[158:159], v[6:7], v[114:115]
	v_add_f64_e32 v[144:145], v[164:165], v[162:163]
	v_fma_f64 v[162:163], v[4:5], v[114:115], -v[116:117]
	ds_load_b128 v[4:7], v2 offset:1040
	s_wait_loadcnt_dscnt 0xb01
	v_mul_f64_e32 v[156:157], v[150:151], v[120:121]
	v_mul_f64_e32 v[120:121], v[152:153], v[120:121]
	scratch_load_b128 v[114:117], off, off offset:528
	v_add_f64_e32 v[154:155], v[154:155], v[160:161]
	s_wait_loadcnt_dscnt 0xb00
	v_mul_f64_e32 v[160:161], v[4:5], v[124:125]
	v_add_f64_e32 v[164:165], v[144:145], v[142:143]
	v_mul_f64_e32 v[124:125], v[6:7], v[124:125]
	ds_load_b128 v[142:145], v2 offset:1056
	v_fmac_f64_e32 v[156:157], v[152:153], v[118:119]
	v_fma_f64 v[150:151], v[150:151], v[118:119], -v[120:121]
	scratch_load_b128 v[118:121], off, off offset:544
	v_add_f64_e32 v[154:155], v[154:155], v[158:159]
	v_fmac_f64_e32 v[160:161], v[6:7], v[122:123]
	v_add_f64_e32 v[152:153], v[164:165], v[162:163]
	;; [unrolled: 18-line block ×3, first 2 shown]
	v_fma_f64 v[162:163], v[4:5], v[134:135], -v[136:137]
	ds_load_b128 v[4:7], v2 offset:1104
	s_wait_loadcnt_dscnt 0xa01
	v_mul_f64_e32 v[160:161], v[150:151], v[148:149]
	v_mul_f64_e32 v[148:149], v[152:153], v[148:149]
	scratch_load_b128 v[134:137], off, off offset:592
	v_add_f64_e32 v[154:155], v[154:155], v[158:159]
	v_add_f64_e32 v[164:165], v[144:145], v[142:143]
	s_wait_loadcnt_dscnt 0xa00
	v_mul_f64_e32 v[158:159], v[4:5], v[132:133]
	v_mul_f64_e32 v[132:133], v[6:7], v[132:133]
	v_fmac_f64_e32 v[160:161], v[152:153], v[146:147]
	v_fma_f64 v[150:151], v[150:151], v[146:147], -v[148:149]
	ds_load_b128 v[142:145], v2 offset:1120
	scratch_load_b128 v[146:149], off, off offset:608
	v_add_f64_e32 v[154:155], v[154:155], v[156:157]
	v_add_f64_e32 v[152:153], v[164:165], v[162:163]
	v_fmac_f64_e32 v[158:159], v[6:7], v[130:131]
	v_fma_f64 v[162:163], v[4:5], v[130:131], -v[132:133]
	ds_load_b128 v[4:7], v2 offset:1136
	s_wait_loadcnt_dscnt 0xa01
	v_mul_f64_e32 v[156:157], v[142:143], v[10:11]
	v_mul_f64_e32 v[10:11], v[144:145], v[10:11]
	scratch_load_b128 v[130:133], off, off offset:624
	v_add_f64_e32 v[154:155], v[154:155], v[160:161]
	s_wait_loadcnt_dscnt 0xa00
	v_mul_f64_e32 v[160:161], v[4:5], v[14:15]
	v_add_f64_e32 v[164:165], v[152:153], v[150:151]
	v_mul_f64_e32 v[14:15], v[6:7], v[14:15]
	ds_load_b128 v[150:153], v2 offset:1152
	v_fmac_f64_e32 v[156:157], v[144:145], v[8:9]
	v_fma_f64 v[142:143], v[142:143], v[8:9], -v[10:11]
	scratch_load_b128 v[8:11], off, off offset:640
	v_add_f64_e32 v[154:155], v[154:155], v[158:159]
	v_fmac_f64_e32 v[160:161], v[6:7], v[12:13]
	v_add_f64_e32 v[144:145], v[164:165], v[162:163]
	v_fma_f64 v[162:163], v[4:5], v[12:13], -v[14:15]
	ds_load_b128 v[4:7], v2 offset:1168
	s_wait_loadcnt_dscnt 0xa01
	v_mul_f64_e32 v[158:159], v[150:151], v[18:19]
	v_mul_f64_e32 v[18:19], v[152:153], v[18:19]
	scratch_load_b128 v[12:15], off, off offset:656
	v_add_f64_e32 v[154:155], v[154:155], v[156:157]
	s_wait_loadcnt_dscnt 0xa00
	v_mul_f64_e32 v[156:157], v[4:5], v[22:23]
	v_add_f64_e32 v[164:165], v[144:145], v[142:143]
	v_mul_f64_e32 v[22:23], v[6:7], v[22:23]
	ds_load_b128 v[142:145], v2 offset:1184
	v_fmac_f64_e32 v[158:159], v[152:153], v[16:17]
	v_fma_f64 v[16:17], v[150:151], v[16:17], -v[18:19]
	s_wait_loadcnt_dscnt 0x900
	v_mul_f64_e32 v[152:153], v[142:143], v[112:113]
	v_mul_f64_e32 v[112:113], v[144:145], v[112:113]
	v_add_f64_e32 v[150:151], v[154:155], v[160:161]
	v_fmac_f64_e32 v[156:157], v[6:7], v[20:21]
	v_add_f64_e32 v[18:19], v[164:165], v[162:163]
	v_fma_f64 v[20:21], v[4:5], v[20:21], -v[22:23]
	v_fmac_f64_e32 v[152:153], v[144:145], v[110:111]
	v_fma_f64 v[110:111], v[142:143], v[110:111], -v[112:113]
	v_add_f64_e32 v[150:151], v[150:151], v[158:159]
	v_add_f64_e32 v[22:23], v[18:19], v[16:17]
	ds_load_b128 v[4:7], v2 offset:1200
	ds_load_b128 v[16:19], v2 offset:1216
	s_wait_loadcnt_dscnt 0x801
	v_mul_f64_e32 v[154:155], v[4:5], v[116:117]
	v_mul_f64_e32 v[116:117], v[6:7], v[116:117]
	s_wait_loadcnt_dscnt 0x700
	v_mul_f64_e32 v[112:113], v[16:17], v[120:121]
	v_mul_f64_e32 v[120:121], v[18:19], v[120:121]
	v_add_f64_e32 v[20:21], v[22:23], v[20:21]
	v_add_f64_e32 v[22:23], v[150:151], v[156:157]
	v_fmac_f64_e32 v[154:155], v[6:7], v[114:115]
	v_fma_f64 v[114:115], v[4:5], v[114:115], -v[116:117]
	v_fmac_f64_e32 v[112:113], v[18:19], v[118:119]
	v_fma_f64 v[16:17], v[16:17], v[118:119], -v[120:121]
	v_add_f64_e32 v[110:111], v[20:21], v[110:111]
	v_add_f64_e32 v[116:117], v[22:23], v[152:153]
	ds_load_b128 v[4:7], v2 offset:1232
	ds_load_b128 v[20:23], v2 offset:1248
	s_wait_loadcnt_dscnt 0x601
	v_mul_f64_e32 v[142:143], v[4:5], v[124:125]
	v_mul_f64_e32 v[124:125], v[6:7], v[124:125]
	v_add_f64_e32 v[18:19], v[110:111], v[114:115]
	v_add_f64_e32 v[110:111], v[116:117], v[154:155]
	s_wait_loadcnt_dscnt 0x500
	v_mul_f64_e32 v[114:115], v[20:21], v[128:129]
	v_mul_f64_e32 v[116:117], v[22:23], v[128:129]
	v_fmac_f64_e32 v[142:143], v[6:7], v[122:123]
	v_fma_f64 v[118:119], v[4:5], v[122:123], -v[124:125]
	v_add_f64_e32 v[120:121], v[18:19], v[16:17]
	v_add_f64_e32 v[110:111], v[110:111], v[112:113]
	ds_load_b128 v[4:7], v2 offset:1264
	ds_load_b128 v[16:19], v2 offset:1280
	v_fmac_f64_e32 v[114:115], v[22:23], v[126:127]
	v_fma_f64 v[20:21], v[20:21], v[126:127], -v[116:117]
	s_wait_loadcnt_dscnt 0x401
	v_mul_f64_e32 v[112:113], v[4:5], v[136:137]
	v_mul_f64_e32 v[122:123], v[6:7], v[136:137]
	s_wait_loadcnt_dscnt 0x300
	v_mul_f64_e32 v[116:117], v[16:17], v[148:149]
	v_add_f64_e32 v[22:23], v[120:121], v[118:119]
	v_add_f64_e32 v[110:111], v[110:111], v[142:143]
	v_mul_f64_e32 v[118:119], v[18:19], v[148:149]
	v_fmac_f64_e32 v[112:113], v[6:7], v[134:135]
	v_fma_f64 v[120:121], v[4:5], v[134:135], -v[122:123]
	v_fmac_f64_e32 v[116:117], v[18:19], v[146:147]
	v_add_f64_e32 v[122:123], v[22:23], v[20:21]
	v_add_f64_e32 v[110:111], v[110:111], v[114:115]
	ds_load_b128 v[4:7], v2 offset:1296
	ds_load_b128 v[20:23], v2 offset:1312
	v_fma_f64 v[16:17], v[16:17], v[146:147], -v[118:119]
	s_wait_loadcnt_dscnt 0x201
	v_mul_f64_e32 v[114:115], v[4:5], v[132:133]
	v_mul_f64_e32 v[124:125], v[6:7], v[132:133]
	v_add_f64_e32 v[18:19], v[122:123], v[120:121]
	v_add_f64_e32 v[110:111], v[110:111], v[112:113]
	s_wait_loadcnt_dscnt 0x100
	v_mul_f64_e32 v[112:113], v[20:21], v[10:11]
	v_mul_f64_e32 v[10:11], v[22:23], v[10:11]
	v_fmac_f64_e32 v[114:115], v[6:7], v[130:131]
	v_fma_f64 v[118:119], v[4:5], v[130:131], -v[124:125]
	ds_load_b128 v[4:7], v2 offset:1328
	v_add_f64_e32 v[16:17], v[18:19], v[16:17]
	v_add_f64_e32 v[18:19], v[110:111], v[116:117]
	v_fmac_f64_e32 v[112:113], v[22:23], v[8:9]
	v_fma_f64 v[8:9], v[20:21], v[8:9], -v[10:11]
	s_wait_loadcnt_dscnt 0x0
	v_mul_f64_e32 v[110:111], v[4:5], v[14:15]
	v_mul_f64_e32 v[14:15], v[6:7], v[14:15]
	v_add_f64_e32 v[10:11], v[16:17], v[118:119]
	v_add_f64_e32 v[16:17], v[18:19], v[114:115]
	s_delay_alu instid0(VALU_DEP_4) | instskip(NEXT) | instid1(VALU_DEP_4)
	v_fmac_f64_e32 v[110:111], v[6:7], v[12:13]
	v_fma_f64 v[4:5], v[4:5], v[12:13], -v[14:15]
	s_delay_alu instid0(VALU_DEP_4) | instskip(NEXT) | instid1(VALU_DEP_4)
	v_add_f64_e32 v[6:7], v[10:11], v[8:9]
	v_add_f64_e32 v[8:9], v[16:17], v[112:113]
	s_delay_alu instid0(VALU_DEP_2) | instskip(NEXT) | instid1(VALU_DEP_2)
	v_add_f64_e32 v[4:5], v[6:7], v[4:5]
	v_add_f64_e32 v[6:7], v[8:9], v[110:111]
	s_delay_alu instid0(VALU_DEP_2) | instskip(NEXT) | instid1(VALU_DEP_2)
	v_add_f64_e64 v[4:5], v[138:139], -v[4:5]
	v_add_f64_e64 v[6:7], v[140:141], -v[6:7]
	scratch_store_b128 off, v[4:7], off offset:224
	s_wait_xcnt 0x0
	v_cmpx_lt_u32_e32 13, v1
	s_cbranch_execz .LBB105_239
; %bb.238:
	scratch_load_b128 v[6:9], off, s45
	v_dual_mov_b32 v3, v2 :: v_dual_mov_b32 v4, v2
	v_mov_b32_e32 v5, v2
	scratch_store_b128 off, v[2:5], off offset:208
	s_wait_loadcnt 0x0
	ds_store_b128 v108, v[6:9]
.LBB105_239:
	s_wait_xcnt 0x0
	s_or_b32 exec_lo, exec_lo, s2
	s_wait_storecnt_dscnt 0x0
	s_barrier_signal -1
	s_barrier_wait -1
	s_clause 0x9
	scratch_load_b128 v[4:7], off, off offset:224
	scratch_load_b128 v[8:11], off, off offset:240
	;; [unrolled: 1-line block ×10, first 2 shown]
	ds_load_b128 v[130:133], v2 offset:896
	ds_load_b128 v[138:141], v2 offset:912
	s_clause 0x2
	scratch_load_b128 v[134:137], off, off offset:384
	scratch_load_b128 v[142:145], off, off offset:208
	;; [unrolled: 1-line block ×3, first 2 shown]
	s_mov_b32 s2, exec_lo
	s_wait_loadcnt_dscnt 0xc01
	v_mul_f64_e32 v[150:151], v[132:133], v[6:7]
	v_mul_f64_e32 v[154:155], v[130:131], v[6:7]
	s_wait_loadcnt_dscnt 0xb00
	v_mul_f64_e32 v[156:157], v[138:139], v[10:11]
	v_mul_f64_e32 v[10:11], v[140:141], v[10:11]
	s_delay_alu instid0(VALU_DEP_4) | instskip(NEXT) | instid1(VALU_DEP_4)
	v_fma_f64 v[158:159], v[130:131], v[4:5], -v[150:151]
	v_fmac_f64_e32 v[154:155], v[132:133], v[4:5]
	ds_load_b128 v[4:7], v2 offset:928
	ds_load_b128 v[130:133], v2 offset:944
	scratch_load_b128 v[150:153], off, off offset:416
	v_fmac_f64_e32 v[156:157], v[140:141], v[8:9]
	v_fma_f64 v[138:139], v[138:139], v[8:9], -v[10:11]
	scratch_load_b128 v[8:11], off, off offset:432
	s_wait_loadcnt_dscnt 0xc01
	v_mul_f64_e32 v[160:161], v[4:5], v[14:15]
	v_mul_f64_e32 v[14:15], v[6:7], v[14:15]
	v_add_f64_e32 v[140:141], 0, v[158:159]
	v_add_f64_e32 v[154:155], 0, v[154:155]
	s_wait_loadcnt_dscnt 0xb00
	v_mul_f64_e32 v[158:159], v[130:131], v[18:19]
	v_mul_f64_e32 v[18:19], v[132:133], v[18:19]
	v_fmac_f64_e32 v[160:161], v[6:7], v[12:13]
	v_fma_f64 v[162:163], v[4:5], v[12:13], -v[14:15]
	ds_load_b128 v[4:7], v2 offset:960
	ds_load_b128 v[12:15], v2 offset:976
	v_add_f64_e32 v[164:165], v[140:141], v[138:139]
	v_add_f64_e32 v[154:155], v[154:155], v[156:157]
	scratch_load_b128 v[138:141], off, off offset:448
	v_fmac_f64_e32 v[158:159], v[132:133], v[16:17]
	v_fma_f64 v[130:131], v[130:131], v[16:17], -v[18:19]
	scratch_load_b128 v[16:19], off, off offset:464
	s_wait_loadcnt_dscnt 0xc01
	v_mul_f64_e32 v[156:157], v[4:5], v[22:23]
	v_mul_f64_e32 v[22:23], v[6:7], v[22:23]
	v_add_f64_e32 v[132:133], v[164:165], v[162:163]
	v_add_f64_e32 v[154:155], v[154:155], v[160:161]
	s_wait_loadcnt_dscnt 0xb00
	v_mul_f64_e32 v[160:161], v[12:13], v[112:113]
	v_mul_f64_e32 v[112:113], v[14:15], v[112:113]
	v_fmac_f64_e32 v[156:157], v[6:7], v[20:21]
	v_fma_f64 v[162:163], v[4:5], v[20:21], -v[22:23]
	ds_load_b128 v[4:7], v2 offset:992
	ds_load_b128 v[20:23], v2 offset:1008
	v_add_f64_e32 v[164:165], v[132:133], v[130:131]
	v_add_f64_e32 v[154:155], v[154:155], v[158:159]
	scratch_load_b128 v[130:133], off, off offset:480
	s_wait_loadcnt_dscnt 0xb01
	v_mul_f64_e32 v[158:159], v[4:5], v[116:117]
	v_mul_f64_e32 v[116:117], v[6:7], v[116:117]
	v_fmac_f64_e32 v[160:161], v[14:15], v[110:111]
	v_fma_f64 v[110:111], v[12:13], v[110:111], -v[112:113]
	scratch_load_b128 v[12:15], off, off offset:496
	v_add_f64_e32 v[112:113], v[164:165], v[162:163]
	v_add_f64_e32 v[154:155], v[154:155], v[156:157]
	s_wait_loadcnt_dscnt 0xb00
	v_mul_f64_e32 v[156:157], v[20:21], v[120:121]
	v_mul_f64_e32 v[120:121], v[22:23], v[120:121]
	v_fmac_f64_e32 v[158:159], v[6:7], v[114:115]
	v_fma_f64 v[162:163], v[4:5], v[114:115], -v[116:117]
	v_add_f64_e32 v[164:165], v[112:113], v[110:111]
	v_add_f64_e32 v[154:155], v[154:155], v[160:161]
	ds_load_b128 v[4:7], v2 offset:1024
	ds_load_b128 v[110:113], v2 offset:1040
	scratch_load_b128 v[114:117], off, off offset:512
	v_fmac_f64_e32 v[156:157], v[22:23], v[118:119]
	v_fma_f64 v[118:119], v[20:21], v[118:119], -v[120:121]
	scratch_load_b128 v[20:23], off, off offset:528
	s_wait_loadcnt_dscnt 0xc01
	v_mul_f64_e32 v[160:161], v[4:5], v[124:125]
	v_mul_f64_e32 v[124:125], v[6:7], v[124:125]
	v_add_f64_e32 v[120:121], v[164:165], v[162:163]
	v_add_f64_e32 v[154:155], v[154:155], v[158:159]
	s_wait_loadcnt_dscnt 0xb00
	v_mul_f64_e32 v[158:159], v[110:111], v[128:129]
	v_mul_f64_e32 v[128:129], v[112:113], v[128:129]
	v_fmac_f64_e32 v[160:161], v[6:7], v[122:123]
	v_fma_f64 v[162:163], v[4:5], v[122:123], -v[124:125]
	v_add_f64_e32 v[164:165], v[120:121], v[118:119]
	v_add_f64_e32 v[154:155], v[154:155], v[156:157]
	ds_load_b128 v[4:7], v2 offset:1056
	ds_load_b128 v[118:121], v2 offset:1072
	scratch_load_b128 v[122:125], off, off offset:544
	v_fmac_f64_e32 v[158:159], v[112:113], v[126:127]
	v_fma_f64 v[126:127], v[110:111], v[126:127], -v[128:129]
	scratch_load_b128 v[110:113], off, off offset:560
	s_wait_loadcnt_dscnt 0xc01
	v_mul_f64_e32 v[156:157], v[4:5], v[136:137]
	v_mul_f64_e32 v[136:137], v[6:7], v[136:137]
	;; [unrolled: 18-line block ×5, first 2 shown]
	v_add_f64_e32 v[148:149], v[164:165], v[162:163]
	v_add_f64_e32 v[154:155], v[154:155], v[160:161]
	s_wait_loadcnt_dscnt 0xa00
	v_mul_f64_e32 v[160:161], v[126:127], v[14:15]
	v_mul_f64_e32 v[14:15], v[128:129], v[14:15]
	v_fmac_f64_e32 v[156:157], v[6:7], v[130:131]
	v_fma_f64 v[162:163], v[4:5], v[130:131], -v[132:133]
	ds_load_b128 v[4:7], v2 offset:1184
	ds_load_b128 v[130:133], v2 offset:1200
	v_add_f64_e32 v[146:147], v[148:149], v[146:147]
	v_add_f64_e32 v[148:149], v[154:155], v[158:159]
	v_fmac_f64_e32 v[160:161], v[128:129], v[12:13]
	v_fma_f64 v[12:13], v[126:127], v[12:13], -v[14:15]
	s_wait_loadcnt_dscnt 0x901
	v_mul_f64_e32 v[154:155], v[4:5], v[116:117]
	v_mul_f64_e32 v[116:117], v[6:7], v[116:117]
	s_wait_loadcnt_dscnt 0x800
	v_mul_f64_e32 v[128:129], v[130:131], v[22:23]
	v_mul_f64_e32 v[22:23], v[132:133], v[22:23]
	v_add_f64_e32 v[14:15], v[146:147], v[162:163]
	v_add_f64_e32 v[126:127], v[148:149], v[156:157]
	v_fmac_f64_e32 v[154:155], v[6:7], v[114:115]
	v_fma_f64 v[114:115], v[4:5], v[114:115], -v[116:117]
	v_fmac_f64_e32 v[128:129], v[132:133], v[20:21]
	v_fma_f64 v[20:21], v[130:131], v[20:21], -v[22:23]
	v_add_f64_e32 v[116:117], v[14:15], v[12:13]
	v_add_f64_e32 v[126:127], v[126:127], v[160:161]
	ds_load_b128 v[4:7], v2 offset:1216
	ds_load_b128 v[12:15], v2 offset:1232
	s_wait_loadcnt_dscnt 0x701
	v_mul_f64_e32 v[146:147], v[4:5], v[124:125]
	v_mul_f64_e32 v[124:125], v[6:7], v[124:125]
	v_add_f64_e32 v[22:23], v[116:117], v[114:115]
	v_add_f64_e32 v[114:115], v[126:127], v[154:155]
	s_wait_loadcnt_dscnt 0x600
	v_mul_f64_e32 v[116:117], v[12:13], v[112:113]
	v_mul_f64_e32 v[112:113], v[14:15], v[112:113]
	v_fmac_f64_e32 v[146:147], v[6:7], v[122:123]
	v_fma_f64 v[122:123], v[4:5], v[122:123], -v[124:125]
	v_add_f64_e32 v[124:125], v[22:23], v[20:21]
	v_add_f64_e32 v[114:115], v[114:115], v[128:129]
	ds_load_b128 v[4:7], v2 offset:1248
	ds_load_b128 v[20:23], v2 offset:1264
	v_fmac_f64_e32 v[116:117], v[14:15], v[110:111]
	v_fma_f64 v[12:13], v[12:13], v[110:111], -v[112:113]
	s_wait_loadcnt_dscnt 0x501
	v_mul_f64_e32 v[126:127], v[4:5], v[136:137]
	v_mul_f64_e32 v[128:129], v[6:7], v[136:137]
	s_wait_loadcnt_dscnt 0x400
	v_mul_f64_e32 v[112:113], v[20:21], v[120:121]
	v_add_f64_e32 v[14:15], v[124:125], v[122:123]
	v_add_f64_e32 v[110:111], v[114:115], v[146:147]
	v_mul_f64_e32 v[114:115], v[22:23], v[120:121]
	v_fmac_f64_e32 v[126:127], v[6:7], v[134:135]
	v_fma_f64 v[120:121], v[4:5], v[134:135], -v[128:129]
	v_fmac_f64_e32 v[112:113], v[22:23], v[118:119]
	v_add_f64_e32 v[122:123], v[14:15], v[12:13]
	v_add_f64_e32 v[110:111], v[110:111], v[116:117]
	ds_load_b128 v[4:7], v2 offset:1280
	ds_load_b128 v[12:15], v2 offset:1296
	v_fma_f64 v[20:21], v[20:21], v[118:119], -v[114:115]
	s_wait_loadcnt_dscnt 0x301
	v_mul_f64_e32 v[116:117], v[4:5], v[152:153]
	v_mul_f64_e32 v[124:125], v[6:7], v[152:153]
	s_wait_loadcnt_dscnt 0x200
	v_mul_f64_e32 v[114:115], v[12:13], v[10:11]
	v_mul_f64_e32 v[10:11], v[14:15], v[10:11]
	v_add_f64_e32 v[22:23], v[122:123], v[120:121]
	v_add_f64_e32 v[110:111], v[110:111], v[126:127]
	v_fmac_f64_e32 v[116:117], v[6:7], v[150:151]
	v_fma_f64 v[118:119], v[4:5], v[150:151], -v[124:125]
	v_fmac_f64_e32 v[114:115], v[14:15], v[8:9]
	v_fma_f64 v[8:9], v[12:13], v[8:9], -v[10:11]
	v_add_f64_e32 v[120:121], v[22:23], v[20:21]
	v_add_f64_e32 v[110:111], v[110:111], v[112:113]
	ds_load_b128 v[4:7], v2 offset:1312
	ds_load_b128 v[20:23], v2 offset:1328
	s_wait_loadcnt_dscnt 0x101
	v_mul_f64_e32 v[2:3], v[4:5], v[140:141]
	v_mul_f64_e32 v[112:113], v[6:7], v[140:141]
	s_wait_loadcnt_dscnt 0x0
	v_mul_f64_e32 v[14:15], v[20:21], v[18:19]
	v_mul_f64_e32 v[18:19], v[22:23], v[18:19]
	v_add_f64_e32 v[10:11], v[120:121], v[118:119]
	v_add_f64_e32 v[12:13], v[110:111], v[116:117]
	v_fmac_f64_e32 v[2:3], v[6:7], v[138:139]
	v_fma_f64 v[4:5], v[4:5], v[138:139], -v[112:113]
	v_fmac_f64_e32 v[14:15], v[22:23], v[16:17]
	v_add_f64_e32 v[6:7], v[10:11], v[8:9]
	v_add_f64_e32 v[8:9], v[12:13], v[114:115]
	v_fma_f64 v[10:11], v[20:21], v[16:17], -v[18:19]
	s_delay_alu instid0(VALU_DEP_3) | instskip(NEXT) | instid1(VALU_DEP_3)
	v_add_f64_e32 v[4:5], v[6:7], v[4:5]
	v_add_f64_e32 v[2:3], v[8:9], v[2:3]
	s_delay_alu instid0(VALU_DEP_2) | instskip(NEXT) | instid1(VALU_DEP_2)
	v_add_f64_e32 v[4:5], v[4:5], v[10:11]
	v_add_f64_e32 v[6:7], v[2:3], v[14:15]
	s_delay_alu instid0(VALU_DEP_2) | instskip(NEXT) | instid1(VALU_DEP_2)
	v_add_f64_e64 v[2:3], v[142:143], -v[4:5]
	v_add_f64_e64 v[4:5], v[144:145], -v[6:7]
	scratch_store_b128 off, v[2:5], off offset:208
	s_wait_xcnt 0x0
	v_cmpx_lt_u32_e32 12, v1
	s_cbranch_execz .LBB105_241
; %bb.240:
	scratch_load_b128 v[2:5], off, s46
	v_mov_b32_e32 v6, 0
	s_delay_alu instid0(VALU_DEP_1)
	v_dual_mov_b32 v7, v6 :: v_dual_mov_b32 v8, v6
	v_mov_b32_e32 v9, v6
	scratch_store_b128 off, v[6:9], off offset:192
	s_wait_loadcnt 0x0
	ds_store_b128 v108, v[2:5]
.LBB105_241:
	s_wait_xcnt 0x0
	s_or_b32 exec_lo, exec_lo, s2
	s_wait_storecnt_dscnt 0x0
	s_barrier_signal -1
	s_barrier_wait -1
	s_clause 0x9
	scratch_load_b128 v[4:7], off, off offset:208
	scratch_load_b128 v[8:11], off, off offset:224
	;; [unrolled: 1-line block ×10, first 2 shown]
	v_mov_b32_e32 v2, 0
	s_mov_b32 s2, exec_lo
	ds_load_b128 v[130:133], v2 offset:880
	s_clause 0x2
	scratch_load_b128 v[134:137], off, off offset:368
	scratch_load_b128 v[138:141], off, off offset:192
	scratch_load_b128 v[146:149], off, off offset:384
	s_wait_loadcnt_dscnt 0xc00
	v_mul_f64_e32 v[150:151], v[132:133], v[6:7]
	v_mul_f64_e32 v[154:155], v[130:131], v[6:7]
	ds_load_b128 v[142:145], v2 offset:896
	v_fma_f64 v[158:159], v[130:131], v[4:5], -v[150:151]
	v_fmac_f64_e32 v[154:155], v[132:133], v[4:5]
	ds_load_b128 v[4:7], v2 offset:912
	s_wait_loadcnt_dscnt 0xb01
	v_mul_f64_e32 v[156:157], v[142:143], v[10:11]
	v_mul_f64_e32 v[10:11], v[144:145], v[10:11]
	scratch_load_b128 v[130:133], off, off offset:400
	ds_load_b128 v[150:153], v2 offset:928
	s_wait_loadcnt_dscnt 0xb01
	v_mul_f64_e32 v[160:161], v[4:5], v[14:15]
	v_mul_f64_e32 v[14:15], v[6:7], v[14:15]
	v_add_f64_e32 v[154:155], 0, v[154:155]
	v_fmac_f64_e32 v[156:157], v[144:145], v[8:9]
	v_fma_f64 v[142:143], v[142:143], v[8:9], -v[10:11]
	v_add_f64_e32 v[144:145], 0, v[158:159]
	scratch_load_b128 v[8:11], off, off offset:416
	v_fmac_f64_e32 v[160:161], v[6:7], v[12:13]
	v_fma_f64 v[162:163], v[4:5], v[12:13], -v[14:15]
	ds_load_b128 v[4:7], v2 offset:944
	s_wait_loadcnt_dscnt 0xb01
	v_mul_f64_e32 v[158:159], v[150:151], v[18:19]
	v_mul_f64_e32 v[18:19], v[152:153], v[18:19]
	scratch_load_b128 v[12:15], off, off offset:432
	v_add_f64_e32 v[154:155], v[154:155], v[156:157]
	v_add_f64_e32 v[164:165], v[144:145], v[142:143]
	ds_load_b128 v[142:145], v2 offset:960
	s_wait_loadcnt_dscnt 0xb01
	v_mul_f64_e32 v[156:157], v[4:5], v[22:23]
	v_mul_f64_e32 v[22:23], v[6:7], v[22:23]
	v_fmac_f64_e32 v[158:159], v[152:153], v[16:17]
	v_fma_f64 v[150:151], v[150:151], v[16:17], -v[18:19]
	scratch_load_b128 v[16:19], off, off offset:448
	v_add_f64_e32 v[154:155], v[154:155], v[160:161]
	v_add_f64_e32 v[152:153], v[164:165], v[162:163]
	v_fmac_f64_e32 v[156:157], v[6:7], v[20:21]
	v_fma_f64 v[162:163], v[4:5], v[20:21], -v[22:23]
	ds_load_b128 v[4:7], v2 offset:976
	s_wait_loadcnt_dscnt 0xb01
	v_mul_f64_e32 v[160:161], v[142:143], v[112:113]
	v_mul_f64_e32 v[112:113], v[144:145], v[112:113]
	scratch_load_b128 v[20:23], off, off offset:464
	v_add_f64_e32 v[154:155], v[154:155], v[158:159]
	s_wait_loadcnt_dscnt 0xb00
	v_mul_f64_e32 v[158:159], v[4:5], v[116:117]
	v_add_f64_e32 v[164:165], v[152:153], v[150:151]
	v_mul_f64_e32 v[116:117], v[6:7], v[116:117]
	ds_load_b128 v[150:153], v2 offset:992
	v_fmac_f64_e32 v[160:161], v[144:145], v[110:111]
	v_fma_f64 v[142:143], v[142:143], v[110:111], -v[112:113]
	scratch_load_b128 v[110:113], off, off offset:480
	v_add_f64_e32 v[154:155], v[154:155], v[156:157]
	v_fmac_f64_e32 v[158:159], v[6:7], v[114:115]
	v_add_f64_e32 v[144:145], v[164:165], v[162:163]
	v_fma_f64 v[162:163], v[4:5], v[114:115], -v[116:117]
	ds_load_b128 v[4:7], v2 offset:1008
	s_wait_loadcnt_dscnt 0xb01
	v_mul_f64_e32 v[156:157], v[150:151], v[120:121]
	v_mul_f64_e32 v[120:121], v[152:153], v[120:121]
	scratch_load_b128 v[114:117], off, off offset:496
	v_add_f64_e32 v[154:155], v[154:155], v[160:161]
	s_wait_loadcnt_dscnt 0xb00
	v_mul_f64_e32 v[160:161], v[4:5], v[124:125]
	v_add_f64_e32 v[164:165], v[144:145], v[142:143]
	v_mul_f64_e32 v[124:125], v[6:7], v[124:125]
	ds_load_b128 v[142:145], v2 offset:1024
	v_fmac_f64_e32 v[156:157], v[152:153], v[118:119]
	v_fma_f64 v[150:151], v[150:151], v[118:119], -v[120:121]
	scratch_load_b128 v[118:121], off, off offset:512
	v_add_f64_e32 v[154:155], v[154:155], v[158:159]
	v_fmac_f64_e32 v[160:161], v[6:7], v[122:123]
	v_add_f64_e32 v[152:153], v[164:165], v[162:163]
	;; [unrolled: 18-line block ×3, first 2 shown]
	v_fma_f64 v[162:163], v[4:5], v[134:135], -v[136:137]
	ds_load_b128 v[4:7], v2 offset:1072
	s_wait_loadcnt_dscnt 0xa01
	v_mul_f64_e32 v[160:161], v[150:151], v[148:149]
	v_mul_f64_e32 v[148:149], v[152:153], v[148:149]
	scratch_load_b128 v[134:137], off, off offset:560
	v_add_f64_e32 v[154:155], v[154:155], v[158:159]
	v_add_f64_e32 v[164:165], v[144:145], v[142:143]
	s_wait_loadcnt_dscnt 0xa00
	v_mul_f64_e32 v[158:159], v[4:5], v[132:133]
	v_mul_f64_e32 v[132:133], v[6:7], v[132:133]
	v_fmac_f64_e32 v[160:161], v[152:153], v[146:147]
	v_fma_f64 v[150:151], v[150:151], v[146:147], -v[148:149]
	ds_load_b128 v[142:145], v2 offset:1088
	scratch_load_b128 v[146:149], off, off offset:576
	v_add_f64_e32 v[154:155], v[154:155], v[156:157]
	v_add_f64_e32 v[152:153], v[164:165], v[162:163]
	v_fmac_f64_e32 v[158:159], v[6:7], v[130:131]
	v_fma_f64 v[162:163], v[4:5], v[130:131], -v[132:133]
	ds_load_b128 v[4:7], v2 offset:1104
	s_wait_loadcnt_dscnt 0xa01
	v_mul_f64_e32 v[156:157], v[142:143], v[10:11]
	v_mul_f64_e32 v[10:11], v[144:145], v[10:11]
	scratch_load_b128 v[130:133], off, off offset:592
	v_add_f64_e32 v[154:155], v[154:155], v[160:161]
	s_wait_loadcnt_dscnt 0xa00
	v_mul_f64_e32 v[160:161], v[4:5], v[14:15]
	v_add_f64_e32 v[164:165], v[152:153], v[150:151]
	v_mul_f64_e32 v[14:15], v[6:7], v[14:15]
	ds_load_b128 v[150:153], v2 offset:1120
	v_fmac_f64_e32 v[156:157], v[144:145], v[8:9]
	v_fma_f64 v[142:143], v[142:143], v[8:9], -v[10:11]
	scratch_load_b128 v[8:11], off, off offset:608
	v_add_f64_e32 v[154:155], v[154:155], v[158:159]
	v_fmac_f64_e32 v[160:161], v[6:7], v[12:13]
	v_add_f64_e32 v[144:145], v[164:165], v[162:163]
	v_fma_f64 v[162:163], v[4:5], v[12:13], -v[14:15]
	ds_load_b128 v[4:7], v2 offset:1136
	s_wait_loadcnt_dscnt 0xa01
	v_mul_f64_e32 v[158:159], v[150:151], v[18:19]
	v_mul_f64_e32 v[18:19], v[152:153], v[18:19]
	scratch_load_b128 v[12:15], off, off offset:624
	v_add_f64_e32 v[154:155], v[154:155], v[156:157]
	s_wait_loadcnt_dscnt 0xa00
	v_mul_f64_e32 v[156:157], v[4:5], v[22:23]
	v_add_f64_e32 v[164:165], v[144:145], v[142:143]
	v_mul_f64_e32 v[22:23], v[6:7], v[22:23]
	ds_load_b128 v[142:145], v2 offset:1152
	v_fmac_f64_e32 v[158:159], v[152:153], v[16:17]
	v_fma_f64 v[150:151], v[150:151], v[16:17], -v[18:19]
	scratch_load_b128 v[16:19], off, off offset:640
	v_add_f64_e32 v[154:155], v[154:155], v[160:161]
	v_fmac_f64_e32 v[156:157], v[6:7], v[20:21]
	v_add_f64_e32 v[152:153], v[164:165], v[162:163]
	v_fma_f64 v[162:163], v[4:5], v[20:21], -v[22:23]
	ds_load_b128 v[4:7], v2 offset:1168
	s_wait_loadcnt_dscnt 0xa01
	v_mul_f64_e32 v[160:161], v[142:143], v[112:113]
	v_mul_f64_e32 v[112:113], v[144:145], v[112:113]
	scratch_load_b128 v[20:23], off, off offset:656
	v_add_f64_e32 v[154:155], v[154:155], v[158:159]
	s_wait_loadcnt_dscnt 0xa00
	v_mul_f64_e32 v[158:159], v[4:5], v[116:117]
	v_add_f64_e32 v[164:165], v[152:153], v[150:151]
	v_mul_f64_e32 v[116:117], v[6:7], v[116:117]
	ds_load_b128 v[150:153], v2 offset:1184
	v_fmac_f64_e32 v[160:161], v[144:145], v[110:111]
	v_fma_f64 v[110:111], v[142:143], v[110:111], -v[112:113]
	s_wait_loadcnt_dscnt 0x900
	v_mul_f64_e32 v[144:145], v[150:151], v[120:121]
	v_mul_f64_e32 v[120:121], v[152:153], v[120:121]
	v_add_f64_e32 v[142:143], v[154:155], v[156:157]
	v_fmac_f64_e32 v[158:159], v[6:7], v[114:115]
	v_add_f64_e32 v[112:113], v[164:165], v[162:163]
	v_fma_f64 v[114:115], v[4:5], v[114:115], -v[116:117]
	v_fmac_f64_e32 v[144:145], v[152:153], v[118:119]
	v_fma_f64 v[118:119], v[150:151], v[118:119], -v[120:121]
	v_add_f64_e32 v[142:143], v[142:143], v[160:161]
	v_add_f64_e32 v[116:117], v[112:113], v[110:111]
	ds_load_b128 v[4:7], v2 offset:1200
	ds_load_b128 v[110:113], v2 offset:1216
	s_wait_loadcnt_dscnt 0x801
	v_mul_f64_e32 v[154:155], v[4:5], v[124:125]
	v_mul_f64_e32 v[124:125], v[6:7], v[124:125]
	s_wait_loadcnt_dscnt 0x700
	v_mul_f64_e32 v[120:121], v[110:111], v[128:129]
	v_mul_f64_e32 v[128:129], v[112:113], v[128:129]
	v_add_f64_e32 v[114:115], v[116:117], v[114:115]
	v_add_f64_e32 v[116:117], v[142:143], v[158:159]
	v_fmac_f64_e32 v[154:155], v[6:7], v[122:123]
	v_fma_f64 v[122:123], v[4:5], v[122:123], -v[124:125]
	v_fmac_f64_e32 v[120:121], v[112:113], v[126:127]
	v_fma_f64 v[110:111], v[110:111], v[126:127], -v[128:129]
	v_add_f64_e32 v[118:119], v[114:115], v[118:119]
	v_add_f64_e32 v[124:125], v[116:117], v[144:145]
	ds_load_b128 v[4:7], v2 offset:1232
	ds_load_b128 v[114:117], v2 offset:1248
	s_wait_loadcnt_dscnt 0x601
	v_mul_f64_e32 v[142:143], v[4:5], v[136:137]
	v_mul_f64_e32 v[136:137], v[6:7], v[136:137]
	v_add_f64_e32 v[112:113], v[118:119], v[122:123]
	v_add_f64_e32 v[118:119], v[124:125], v[154:155]
	s_wait_loadcnt_dscnt 0x500
	v_mul_f64_e32 v[122:123], v[114:115], v[148:149]
	v_mul_f64_e32 v[124:125], v[116:117], v[148:149]
	v_fmac_f64_e32 v[142:143], v[6:7], v[134:135]
	v_fma_f64 v[126:127], v[4:5], v[134:135], -v[136:137]
	v_add_f64_e32 v[128:129], v[112:113], v[110:111]
	v_add_f64_e32 v[118:119], v[118:119], v[120:121]
	ds_load_b128 v[4:7], v2 offset:1264
	ds_load_b128 v[110:113], v2 offset:1280
	v_fmac_f64_e32 v[122:123], v[116:117], v[146:147]
	v_fma_f64 v[114:115], v[114:115], v[146:147], -v[124:125]
	s_wait_loadcnt_dscnt 0x401
	v_mul_f64_e32 v[120:121], v[4:5], v[132:133]
	v_mul_f64_e32 v[132:133], v[6:7], v[132:133]
	s_wait_loadcnt_dscnt 0x300
	v_mul_f64_e32 v[124:125], v[110:111], v[10:11]
	v_mul_f64_e32 v[10:11], v[112:113], v[10:11]
	v_add_f64_e32 v[116:117], v[128:129], v[126:127]
	v_add_f64_e32 v[118:119], v[118:119], v[142:143]
	v_fmac_f64_e32 v[120:121], v[6:7], v[130:131]
	v_fma_f64 v[126:127], v[4:5], v[130:131], -v[132:133]
	v_fmac_f64_e32 v[124:125], v[112:113], v[8:9]
	v_fma_f64 v[8:9], v[110:111], v[8:9], -v[10:11]
	v_add_f64_e32 v[128:129], v[116:117], v[114:115]
	v_add_f64_e32 v[118:119], v[118:119], v[122:123]
	ds_load_b128 v[4:7], v2 offset:1296
	ds_load_b128 v[114:117], v2 offset:1312
	s_wait_loadcnt_dscnt 0x201
	v_mul_f64_e32 v[122:123], v[4:5], v[14:15]
	v_mul_f64_e32 v[14:15], v[6:7], v[14:15]
	s_wait_loadcnt_dscnt 0x100
	v_mul_f64_e32 v[112:113], v[114:115], v[18:19]
	v_mul_f64_e32 v[18:19], v[116:117], v[18:19]
	v_add_f64_e32 v[10:11], v[128:129], v[126:127]
	v_add_f64_e32 v[110:111], v[118:119], v[120:121]
	v_fmac_f64_e32 v[122:123], v[6:7], v[12:13]
	v_fma_f64 v[12:13], v[4:5], v[12:13], -v[14:15]
	ds_load_b128 v[4:7], v2 offset:1328
	v_fmac_f64_e32 v[112:113], v[116:117], v[16:17]
	v_fma_f64 v[16:17], v[114:115], v[16:17], -v[18:19]
	v_add_f64_e32 v[8:9], v[10:11], v[8:9]
	v_add_f64_e32 v[10:11], v[110:111], v[124:125]
	s_wait_loadcnt_dscnt 0x0
	v_mul_f64_e32 v[14:15], v[4:5], v[22:23]
	v_mul_f64_e32 v[22:23], v[6:7], v[22:23]
	s_delay_alu instid0(VALU_DEP_4) | instskip(NEXT) | instid1(VALU_DEP_4)
	v_add_f64_e32 v[8:9], v[8:9], v[12:13]
	v_add_f64_e32 v[10:11], v[10:11], v[122:123]
	s_delay_alu instid0(VALU_DEP_4) | instskip(NEXT) | instid1(VALU_DEP_4)
	v_fmac_f64_e32 v[14:15], v[6:7], v[20:21]
	v_fma_f64 v[4:5], v[4:5], v[20:21], -v[22:23]
	s_delay_alu instid0(VALU_DEP_4) | instskip(NEXT) | instid1(VALU_DEP_4)
	v_add_f64_e32 v[6:7], v[8:9], v[16:17]
	v_add_f64_e32 v[8:9], v[10:11], v[112:113]
	s_delay_alu instid0(VALU_DEP_2) | instskip(NEXT) | instid1(VALU_DEP_2)
	v_add_f64_e32 v[4:5], v[6:7], v[4:5]
	v_add_f64_e32 v[6:7], v[8:9], v[14:15]
	s_delay_alu instid0(VALU_DEP_2) | instskip(NEXT) | instid1(VALU_DEP_2)
	v_add_f64_e64 v[4:5], v[138:139], -v[4:5]
	v_add_f64_e64 v[6:7], v[140:141], -v[6:7]
	scratch_store_b128 off, v[4:7], off offset:192
	s_wait_xcnt 0x0
	v_cmpx_lt_u32_e32 11, v1
	s_cbranch_execz .LBB105_243
; %bb.242:
	scratch_load_b128 v[6:9], off, s47
	v_dual_mov_b32 v3, v2 :: v_dual_mov_b32 v4, v2
	v_mov_b32_e32 v5, v2
	scratch_store_b128 off, v[2:5], off offset:176
	s_wait_loadcnt 0x0
	ds_store_b128 v108, v[6:9]
.LBB105_243:
	s_wait_xcnt 0x0
	s_or_b32 exec_lo, exec_lo, s2
	s_wait_storecnt_dscnt 0x0
	s_barrier_signal -1
	s_barrier_wait -1
	s_clause 0x9
	scratch_load_b128 v[4:7], off, off offset:192
	scratch_load_b128 v[8:11], off, off offset:208
	;; [unrolled: 1-line block ×10, first 2 shown]
	ds_load_b128 v[130:133], v2 offset:864
	ds_load_b128 v[138:141], v2 offset:880
	s_clause 0x2
	scratch_load_b128 v[134:137], off, off offset:352
	scratch_load_b128 v[142:145], off, off offset:176
	;; [unrolled: 1-line block ×3, first 2 shown]
	s_mov_b32 s2, exec_lo
	s_wait_loadcnt_dscnt 0xc01
	v_mul_f64_e32 v[150:151], v[132:133], v[6:7]
	v_mul_f64_e32 v[154:155], v[130:131], v[6:7]
	s_wait_loadcnt_dscnt 0xb00
	v_mul_f64_e32 v[156:157], v[138:139], v[10:11]
	v_mul_f64_e32 v[10:11], v[140:141], v[10:11]
	s_delay_alu instid0(VALU_DEP_4) | instskip(NEXT) | instid1(VALU_DEP_4)
	v_fma_f64 v[158:159], v[130:131], v[4:5], -v[150:151]
	v_fmac_f64_e32 v[154:155], v[132:133], v[4:5]
	ds_load_b128 v[4:7], v2 offset:896
	ds_load_b128 v[130:133], v2 offset:912
	scratch_load_b128 v[150:153], off, off offset:384
	v_fmac_f64_e32 v[156:157], v[140:141], v[8:9]
	v_fma_f64 v[138:139], v[138:139], v[8:9], -v[10:11]
	scratch_load_b128 v[8:11], off, off offset:400
	s_wait_loadcnt_dscnt 0xc01
	v_mul_f64_e32 v[160:161], v[4:5], v[14:15]
	v_mul_f64_e32 v[14:15], v[6:7], v[14:15]
	v_add_f64_e32 v[140:141], 0, v[158:159]
	v_add_f64_e32 v[154:155], 0, v[154:155]
	s_wait_loadcnt_dscnt 0xb00
	v_mul_f64_e32 v[158:159], v[130:131], v[18:19]
	v_mul_f64_e32 v[18:19], v[132:133], v[18:19]
	v_fmac_f64_e32 v[160:161], v[6:7], v[12:13]
	v_fma_f64 v[162:163], v[4:5], v[12:13], -v[14:15]
	ds_load_b128 v[4:7], v2 offset:928
	ds_load_b128 v[12:15], v2 offset:944
	v_add_f64_e32 v[164:165], v[140:141], v[138:139]
	v_add_f64_e32 v[154:155], v[154:155], v[156:157]
	scratch_load_b128 v[138:141], off, off offset:416
	v_fmac_f64_e32 v[158:159], v[132:133], v[16:17]
	v_fma_f64 v[130:131], v[130:131], v[16:17], -v[18:19]
	scratch_load_b128 v[16:19], off, off offset:432
	s_wait_loadcnt_dscnt 0xc01
	v_mul_f64_e32 v[156:157], v[4:5], v[22:23]
	v_mul_f64_e32 v[22:23], v[6:7], v[22:23]
	v_add_f64_e32 v[132:133], v[164:165], v[162:163]
	v_add_f64_e32 v[154:155], v[154:155], v[160:161]
	s_wait_loadcnt_dscnt 0xb00
	v_mul_f64_e32 v[160:161], v[12:13], v[112:113]
	v_mul_f64_e32 v[112:113], v[14:15], v[112:113]
	v_fmac_f64_e32 v[156:157], v[6:7], v[20:21]
	v_fma_f64 v[162:163], v[4:5], v[20:21], -v[22:23]
	ds_load_b128 v[4:7], v2 offset:960
	ds_load_b128 v[20:23], v2 offset:976
	v_add_f64_e32 v[164:165], v[132:133], v[130:131]
	v_add_f64_e32 v[154:155], v[154:155], v[158:159]
	scratch_load_b128 v[130:133], off, off offset:448
	s_wait_loadcnt_dscnt 0xb01
	v_mul_f64_e32 v[158:159], v[4:5], v[116:117]
	v_mul_f64_e32 v[116:117], v[6:7], v[116:117]
	v_fmac_f64_e32 v[160:161], v[14:15], v[110:111]
	v_fma_f64 v[110:111], v[12:13], v[110:111], -v[112:113]
	scratch_load_b128 v[12:15], off, off offset:464
	v_add_f64_e32 v[112:113], v[164:165], v[162:163]
	v_add_f64_e32 v[154:155], v[154:155], v[156:157]
	s_wait_loadcnt_dscnt 0xb00
	v_mul_f64_e32 v[156:157], v[20:21], v[120:121]
	v_mul_f64_e32 v[120:121], v[22:23], v[120:121]
	v_fmac_f64_e32 v[158:159], v[6:7], v[114:115]
	v_fma_f64 v[162:163], v[4:5], v[114:115], -v[116:117]
	v_add_f64_e32 v[164:165], v[112:113], v[110:111]
	v_add_f64_e32 v[154:155], v[154:155], v[160:161]
	ds_load_b128 v[4:7], v2 offset:992
	ds_load_b128 v[110:113], v2 offset:1008
	scratch_load_b128 v[114:117], off, off offset:480
	v_fmac_f64_e32 v[156:157], v[22:23], v[118:119]
	v_fma_f64 v[118:119], v[20:21], v[118:119], -v[120:121]
	scratch_load_b128 v[20:23], off, off offset:496
	s_wait_loadcnt_dscnt 0xc01
	v_mul_f64_e32 v[160:161], v[4:5], v[124:125]
	v_mul_f64_e32 v[124:125], v[6:7], v[124:125]
	v_add_f64_e32 v[120:121], v[164:165], v[162:163]
	v_add_f64_e32 v[154:155], v[154:155], v[158:159]
	s_wait_loadcnt_dscnt 0xb00
	v_mul_f64_e32 v[158:159], v[110:111], v[128:129]
	v_mul_f64_e32 v[128:129], v[112:113], v[128:129]
	v_fmac_f64_e32 v[160:161], v[6:7], v[122:123]
	v_fma_f64 v[162:163], v[4:5], v[122:123], -v[124:125]
	v_add_f64_e32 v[164:165], v[120:121], v[118:119]
	v_add_f64_e32 v[154:155], v[154:155], v[156:157]
	ds_load_b128 v[4:7], v2 offset:1024
	ds_load_b128 v[118:121], v2 offset:1040
	scratch_load_b128 v[122:125], off, off offset:512
	v_fmac_f64_e32 v[158:159], v[112:113], v[126:127]
	v_fma_f64 v[126:127], v[110:111], v[126:127], -v[128:129]
	scratch_load_b128 v[110:113], off, off offset:528
	s_wait_loadcnt_dscnt 0xc01
	v_mul_f64_e32 v[156:157], v[4:5], v[136:137]
	v_mul_f64_e32 v[136:137], v[6:7], v[136:137]
	;; [unrolled: 18-line block ×5, first 2 shown]
	v_add_f64_e32 v[148:149], v[164:165], v[162:163]
	v_add_f64_e32 v[154:155], v[154:155], v[160:161]
	s_wait_loadcnt_dscnt 0xa00
	v_mul_f64_e32 v[160:161], v[126:127], v[14:15]
	v_mul_f64_e32 v[14:15], v[128:129], v[14:15]
	v_fmac_f64_e32 v[156:157], v[6:7], v[130:131]
	v_fma_f64 v[162:163], v[4:5], v[130:131], -v[132:133]
	ds_load_b128 v[4:7], v2 offset:1152
	ds_load_b128 v[130:133], v2 offset:1168
	v_add_f64_e32 v[164:165], v[148:149], v[146:147]
	v_add_f64_e32 v[154:155], v[154:155], v[158:159]
	scratch_load_b128 v[146:149], off, off offset:640
	v_fmac_f64_e32 v[160:161], v[128:129], v[12:13]
	v_fma_f64 v[126:127], v[126:127], v[12:13], -v[14:15]
	scratch_load_b128 v[12:15], off, off offset:656
	s_wait_loadcnt_dscnt 0xb01
	v_mul_f64_e32 v[158:159], v[4:5], v[116:117]
	v_mul_f64_e32 v[116:117], v[6:7], v[116:117]
	v_add_f64_e32 v[128:129], v[164:165], v[162:163]
	v_add_f64_e32 v[154:155], v[154:155], v[156:157]
	s_wait_loadcnt_dscnt 0xa00
	v_mul_f64_e32 v[156:157], v[130:131], v[22:23]
	v_mul_f64_e32 v[22:23], v[132:133], v[22:23]
	v_fmac_f64_e32 v[158:159], v[6:7], v[114:115]
	v_fma_f64 v[162:163], v[4:5], v[114:115], -v[116:117]
	ds_load_b128 v[4:7], v2 offset:1184
	ds_load_b128 v[114:117], v2 offset:1200
	v_add_f64_e32 v[126:127], v[128:129], v[126:127]
	v_add_f64_e32 v[128:129], v[154:155], v[160:161]
	v_fmac_f64_e32 v[156:157], v[132:133], v[20:21]
	s_wait_loadcnt_dscnt 0x901
	v_mul_f64_e32 v[154:155], v[4:5], v[124:125]
	v_mul_f64_e32 v[124:125], v[6:7], v[124:125]
	v_fma_f64 v[20:21], v[130:131], v[20:21], -v[22:23]
	v_add_f64_e32 v[22:23], v[126:127], v[162:163]
	v_add_f64_e32 v[126:127], v[128:129], v[158:159]
	s_wait_loadcnt_dscnt 0x800
	v_mul_f64_e32 v[128:129], v[114:115], v[112:113]
	v_mul_f64_e32 v[112:113], v[116:117], v[112:113]
	v_fmac_f64_e32 v[154:155], v[6:7], v[122:123]
	v_fma_f64 v[122:123], v[4:5], v[122:123], -v[124:125]
	v_add_f64_e32 v[124:125], v[22:23], v[20:21]
	v_add_f64_e32 v[126:127], v[126:127], v[156:157]
	ds_load_b128 v[4:7], v2 offset:1216
	ds_load_b128 v[20:23], v2 offset:1232
	v_fmac_f64_e32 v[128:129], v[116:117], v[110:111]
	v_fma_f64 v[110:111], v[114:115], v[110:111], -v[112:113]
	s_wait_loadcnt_dscnt 0x701
	v_mul_f64_e32 v[130:131], v[4:5], v[136:137]
	v_mul_f64_e32 v[132:133], v[6:7], v[136:137]
	s_wait_loadcnt_dscnt 0x600
	v_mul_f64_e32 v[116:117], v[20:21], v[120:121]
	v_mul_f64_e32 v[120:121], v[22:23], v[120:121]
	v_add_f64_e32 v[112:113], v[124:125], v[122:123]
	v_add_f64_e32 v[114:115], v[126:127], v[154:155]
	v_fmac_f64_e32 v[130:131], v[6:7], v[134:135]
	v_fma_f64 v[122:123], v[4:5], v[134:135], -v[132:133]
	v_fmac_f64_e32 v[116:117], v[22:23], v[118:119]
	v_fma_f64 v[20:21], v[20:21], v[118:119], -v[120:121]
	v_add_f64_e32 v[124:125], v[112:113], v[110:111]
	v_add_f64_e32 v[114:115], v[114:115], v[128:129]
	ds_load_b128 v[4:7], v2 offset:1248
	ds_load_b128 v[110:113], v2 offset:1264
	s_wait_loadcnt_dscnt 0x501
	v_mul_f64_e32 v[126:127], v[4:5], v[152:153]
	v_mul_f64_e32 v[128:129], v[6:7], v[152:153]
	s_wait_loadcnt_dscnt 0x400
	v_mul_f64_e32 v[118:119], v[110:111], v[10:11]
	v_mul_f64_e32 v[10:11], v[112:113], v[10:11]
	v_add_f64_e32 v[22:23], v[124:125], v[122:123]
	v_add_f64_e32 v[114:115], v[114:115], v[130:131]
	v_fmac_f64_e32 v[126:127], v[6:7], v[150:151]
	v_fma_f64 v[120:121], v[4:5], v[150:151], -v[128:129]
	v_fmac_f64_e32 v[118:119], v[112:113], v[8:9]
	v_fma_f64 v[8:9], v[110:111], v[8:9], -v[10:11]
	v_add_f64_e32 v[122:123], v[22:23], v[20:21]
	v_add_f64_e32 v[114:115], v[114:115], v[116:117]
	ds_load_b128 v[4:7], v2 offset:1280
	ds_load_b128 v[20:23], v2 offset:1296
	;; [unrolled: 16-line block ×3, first 2 shown]
	s_wait_loadcnt_dscnt 0x101
	v_mul_f64_e32 v[2:3], v[4:5], v[148:149]
	v_mul_f64_e32 v[118:119], v[6:7], v[148:149]
	s_wait_loadcnt_dscnt 0x0
	v_mul_f64_e32 v[22:23], v[8:9], v[14:15]
	v_mul_f64_e32 v[14:15], v[10:11], v[14:15]
	v_add_f64_e32 v[18:19], v[120:121], v[114:115]
	v_add_f64_e32 v[20:21], v[110:111], v[116:117]
	v_fmac_f64_e32 v[2:3], v[6:7], v[146:147]
	v_fma_f64 v[4:5], v[4:5], v[146:147], -v[118:119]
	v_fmac_f64_e32 v[22:23], v[10:11], v[12:13]
	v_fma_f64 v[8:9], v[8:9], v[12:13], -v[14:15]
	v_add_f64_e32 v[6:7], v[18:19], v[16:17]
	v_add_f64_e32 v[16:17], v[20:21], v[112:113]
	s_delay_alu instid0(VALU_DEP_2) | instskip(NEXT) | instid1(VALU_DEP_2)
	v_add_f64_e32 v[4:5], v[6:7], v[4:5]
	v_add_f64_e32 v[2:3], v[16:17], v[2:3]
	s_delay_alu instid0(VALU_DEP_2) | instskip(NEXT) | instid1(VALU_DEP_2)
	;; [unrolled: 3-line block ×3, first 2 shown]
	v_add_f64_e64 v[2:3], v[142:143], -v[4:5]
	v_add_f64_e64 v[4:5], v[144:145], -v[6:7]
	scratch_store_b128 off, v[2:5], off offset:176
	s_wait_xcnt 0x0
	v_cmpx_lt_u32_e32 10, v1
	s_cbranch_execz .LBB105_245
; %bb.244:
	scratch_load_b128 v[2:5], off, s48
	v_mov_b32_e32 v6, 0
	s_delay_alu instid0(VALU_DEP_1)
	v_dual_mov_b32 v7, v6 :: v_dual_mov_b32 v8, v6
	v_mov_b32_e32 v9, v6
	scratch_store_b128 off, v[6:9], off offset:160
	s_wait_loadcnt 0x0
	ds_store_b128 v108, v[2:5]
.LBB105_245:
	s_wait_xcnt 0x0
	s_or_b32 exec_lo, exec_lo, s2
	s_wait_storecnt_dscnt 0x0
	s_barrier_signal -1
	s_barrier_wait -1
	s_clause 0x9
	scratch_load_b128 v[4:7], off, off offset:176
	scratch_load_b128 v[8:11], off, off offset:192
	;; [unrolled: 1-line block ×10, first 2 shown]
	v_mov_b32_e32 v2, 0
	s_mov_b32 s2, exec_lo
	ds_load_b128 v[130:133], v2 offset:848
	s_clause 0x2
	scratch_load_b128 v[134:137], off, off offset:336
	scratch_load_b128 v[138:141], off, off offset:160
	scratch_load_b128 v[146:149], off, off offset:352
	s_wait_loadcnt_dscnt 0xc00
	v_mul_f64_e32 v[150:151], v[132:133], v[6:7]
	v_mul_f64_e32 v[154:155], v[130:131], v[6:7]
	ds_load_b128 v[142:145], v2 offset:864
	v_fma_f64 v[158:159], v[130:131], v[4:5], -v[150:151]
	v_fmac_f64_e32 v[154:155], v[132:133], v[4:5]
	ds_load_b128 v[4:7], v2 offset:880
	s_wait_loadcnt_dscnt 0xb01
	v_mul_f64_e32 v[156:157], v[142:143], v[10:11]
	v_mul_f64_e32 v[10:11], v[144:145], v[10:11]
	scratch_load_b128 v[130:133], off, off offset:368
	ds_load_b128 v[150:153], v2 offset:896
	s_wait_loadcnt_dscnt 0xb01
	v_mul_f64_e32 v[160:161], v[4:5], v[14:15]
	v_mul_f64_e32 v[14:15], v[6:7], v[14:15]
	v_add_f64_e32 v[154:155], 0, v[154:155]
	v_fmac_f64_e32 v[156:157], v[144:145], v[8:9]
	v_fma_f64 v[142:143], v[142:143], v[8:9], -v[10:11]
	v_add_f64_e32 v[144:145], 0, v[158:159]
	scratch_load_b128 v[8:11], off, off offset:384
	v_fmac_f64_e32 v[160:161], v[6:7], v[12:13]
	v_fma_f64 v[162:163], v[4:5], v[12:13], -v[14:15]
	ds_load_b128 v[4:7], v2 offset:912
	s_wait_loadcnt_dscnt 0xb01
	v_mul_f64_e32 v[158:159], v[150:151], v[18:19]
	v_mul_f64_e32 v[18:19], v[152:153], v[18:19]
	scratch_load_b128 v[12:15], off, off offset:400
	v_add_f64_e32 v[154:155], v[154:155], v[156:157]
	v_add_f64_e32 v[164:165], v[144:145], v[142:143]
	ds_load_b128 v[142:145], v2 offset:928
	s_wait_loadcnt_dscnt 0xb01
	v_mul_f64_e32 v[156:157], v[4:5], v[22:23]
	v_mul_f64_e32 v[22:23], v[6:7], v[22:23]
	v_fmac_f64_e32 v[158:159], v[152:153], v[16:17]
	v_fma_f64 v[150:151], v[150:151], v[16:17], -v[18:19]
	scratch_load_b128 v[16:19], off, off offset:416
	v_add_f64_e32 v[154:155], v[154:155], v[160:161]
	v_add_f64_e32 v[152:153], v[164:165], v[162:163]
	v_fmac_f64_e32 v[156:157], v[6:7], v[20:21]
	v_fma_f64 v[162:163], v[4:5], v[20:21], -v[22:23]
	ds_load_b128 v[4:7], v2 offset:944
	s_wait_loadcnt_dscnt 0xb01
	v_mul_f64_e32 v[160:161], v[142:143], v[112:113]
	v_mul_f64_e32 v[112:113], v[144:145], v[112:113]
	scratch_load_b128 v[20:23], off, off offset:432
	v_add_f64_e32 v[154:155], v[154:155], v[158:159]
	s_wait_loadcnt_dscnt 0xb00
	v_mul_f64_e32 v[158:159], v[4:5], v[116:117]
	v_add_f64_e32 v[164:165], v[152:153], v[150:151]
	v_mul_f64_e32 v[116:117], v[6:7], v[116:117]
	ds_load_b128 v[150:153], v2 offset:960
	v_fmac_f64_e32 v[160:161], v[144:145], v[110:111]
	v_fma_f64 v[142:143], v[142:143], v[110:111], -v[112:113]
	scratch_load_b128 v[110:113], off, off offset:448
	v_add_f64_e32 v[154:155], v[154:155], v[156:157]
	v_fmac_f64_e32 v[158:159], v[6:7], v[114:115]
	v_add_f64_e32 v[144:145], v[164:165], v[162:163]
	v_fma_f64 v[162:163], v[4:5], v[114:115], -v[116:117]
	ds_load_b128 v[4:7], v2 offset:976
	s_wait_loadcnt_dscnt 0xb01
	v_mul_f64_e32 v[156:157], v[150:151], v[120:121]
	v_mul_f64_e32 v[120:121], v[152:153], v[120:121]
	scratch_load_b128 v[114:117], off, off offset:464
	v_add_f64_e32 v[154:155], v[154:155], v[160:161]
	s_wait_loadcnt_dscnt 0xb00
	v_mul_f64_e32 v[160:161], v[4:5], v[124:125]
	v_add_f64_e32 v[164:165], v[144:145], v[142:143]
	v_mul_f64_e32 v[124:125], v[6:7], v[124:125]
	ds_load_b128 v[142:145], v2 offset:992
	v_fmac_f64_e32 v[156:157], v[152:153], v[118:119]
	v_fma_f64 v[150:151], v[150:151], v[118:119], -v[120:121]
	scratch_load_b128 v[118:121], off, off offset:480
	v_add_f64_e32 v[154:155], v[154:155], v[158:159]
	v_fmac_f64_e32 v[160:161], v[6:7], v[122:123]
	v_add_f64_e32 v[152:153], v[164:165], v[162:163]
	;; [unrolled: 18-line block ×3, first 2 shown]
	v_fma_f64 v[162:163], v[4:5], v[134:135], -v[136:137]
	ds_load_b128 v[4:7], v2 offset:1040
	s_wait_loadcnt_dscnt 0xa01
	v_mul_f64_e32 v[160:161], v[150:151], v[148:149]
	v_mul_f64_e32 v[148:149], v[152:153], v[148:149]
	scratch_load_b128 v[134:137], off, off offset:528
	v_add_f64_e32 v[154:155], v[154:155], v[158:159]
	v_add_f64_e32 v[164:165], v[144:145], v[142:143]
	s_wait_loadcnt_dscnt 0xa00
	v_mul_f64_e32 v[158:159], v[4:5], v[132:133]
	v_mul_f64_e32 v[132:133], v[6:7], v[132:133]
	v_fmac_f64_e32 v[160:161], v[152:153], v[146:147]
	v_fma_f64 v[150:151], v[150:151], v[146:147], -v[148:149]
	ds_load_b128 v[142:145], v2 offset:1056
	scratch_load_b128 v[146:149], off, off offset:544
	v_add_f64_e32 v[154:155], v[154:155], v[156:157]
	v_add_f64_e32 v[152:153], v[164:165], v[162:163]
	v_fmac_f64_e32 v[158:159], v[6:7], v[130:131]
	v_fma_f64 v[162:163], v[4:5], v[130:131], -v[132:133]
	ds_load_b128 v[4:7], v2 offset:1072
	s_wait_loadcnt_dscnt 0xa01
	v_mul_f64_e32 v[156:157], v[142:143], v[10:11]
	v_mul_f64_e32 v[10:11], v[144:145], v[10:11]
	scratch_load_b128 v[130:133], off, off offset:560
	v_add_f64_e32 v[154:155], v[154:155], v[160:161]
	s_wait_loadcnt_dscnt 0xa00
	v_mul_f64_e32 v[160:161], v[4:5], v[14:15]
	v_add_f64_e32 v[164:165], v[152:153], v[150:151]
	v_mul_f64_e32 v[14:15], v[6:7], v[14:15]
	ds_load_b128 v[150:153], v2 offset:1088
	v_fmac_f64_e32 v[156:157], v[144:145], v[8:9]
	v_fma_f64 v[142:143], v[142:143], v[8:9], -v[10:11]
	scratch_load_b128 v[8:11], off, off offset:576
	v_add_f64_e32 v[154:155], v[154:155], v[158:159]
	v_fmac_f64_e32 v[160:161], v[6:7], v[12:13]
	v_add_f64_e32 v[144:145], v[164:165], v[162:163]
	v_fma_f64 v[162:163], v[4:5], v[12:13], -v[14:15]
	ds_load_b128 v[4:7], v2 offset:1104
	s_wait_loadcnt_dscnt 0xa01
	v_mul_f64_e32 v[158:159], v[150:151], v[18:19]
	v_mul_f64_e32 v[18:19], v[152:153], v[18:19]
	scratch_load_b128 v[12:15], off, off offset:592
	v_add_f64_e32 v[154:155], v[154:155], v[156:157]
	s_wait_loadcnt_dscnt 0xa00
	v_mul_f64_e32 v[156:157], v[4:5], v[22:23]
	v_add_f64_e32 v[164:165], v[144:145], v[142:143]
	v_mul_f64_e32 v[22:23], v[6:7], v[22:23]
	ds_load_b128 v[142:145], v2 offset:1120
	v_fmac_f64_e32 v[158:159], v[152:153], v[16:17]
	v_fma_f64 v[150:151], v[150:151], v[16:17], -v[18:19]
	scratch_load_b128 v[16:19], off, off offset:608
	v_add_f64_e32 v[154:155], v[154:155], v[160:161]
	v_fmac_f64_e32 v[156:157], v[6:7], v[20:21]
	v_add_f64_e32 v[152:153], v[164:165], v[162:163]
	;; [unrolled: 18-line block ×3, first 2 shown]
	v_fma_f64 v[162:163], v[4:5], v[114:115], -v[116:117]
	ds_load_b128 v[4:7], v2 offset:1168
	s_wait_loadcnt_dscnt 0xa01
	v_mul_f64_e32 v[156:157], v[150:151], v[120:121]
	v_mul_f64_e32 v[120:121], v[152:153], v[120:121]
	scratch_load_b128 v[114:117], off, off offset:656
	v_add_f64_e32 v[154:155], v[154:155], v[160:161]
	s_wait_loadcnt_dscnt 0xa00
	v_mul_f64_e32 v[160:161], v[4:5], v[124:125]
	v_add_f64_e32 v[164:165], v[144:145], v[142:143]
	v_mul_f64_e32 v[124:125], v[6:7], v[124:125]
	ds_load_b128 v[142:145], v2 offset:1184
	v_fmac_f64_e32 v[156:157], v[152:153], v[118:119]
	v_fma_f64 v[118:119], v[150:151], v[118:119], -v[120:121]
	s_wait_loadcnt_dscnt 0x900
	v_mul_f64_e32 v[152:153], v[142:143], v[128:129]
	v_mul_f64_e32 v[128:129], v[144:145], v[128:129]
	v_add_f64_e32 v[150:151], v[154:155], v[158:159]
	v_fmac_f64_e32 v[160:161], v[6:7], v[122:123]
	v_add_f64_e32 v[120:121], v[164:165], v[162:163]
	v_fma_f64 v[122:123], v[4:5], v[122:123], -v[124:125]
	v_fmac_f64_e32 v[152:153], v[144:145], v[126:127]
	v_fma_f64 v[126:127], v[142:143], v[126:127], -v[128:129]
	v_add_f64_e32 v[150:151], v[150:151], v[156:157]
	v_add_f64_e32 v[124:125], v[120:121], v[118:119]
	ds_load_b128 v[4:7], v2 offset:1200
	ds_load_b128 v[118:121], v2 offset:1216
	s_wait_loadcnt_dscnt 0x801
	v_mul_f64_e32 v[154:155], v[4:5], v[136:137]
	v_mul_f64_e32 v[136:137], v[6:7], v[136:137]
	s_wait_loadcnt_dscnt 0x700
	v_mul_f64_e32 v[128:129], v[118:119], v[148:149]
	v_mul_f64_e32 v[142:143], v[120:121], v[148:149]
	v_add_f64_e32 v[122:123], v[124:125], v[122:123]
	v_add_f64_e32 v[124:125], v[150:151], v[160:161]
	v_fmac_f64_e32 v[154:155], v[6:7], v[134:135]
	v_fma_f64 v[134:135], v[4:5], v[134:135], -v[136:137]
	v_fmac_f64_e32 v[128:129], v[120:121], v[146:147]
	v_fma_f64 v[118:119], v[118:119], v[146:147], -v[142:143]
	v_add_f64_e32 v[126:127], v[122:123], v[126:127]
	v_add_f64_e32 v[136:137], v[124:125], v[152:153]
	ds_load_b128 v[4:7], v2 offset:1232
	ds_load_b128 v[122:125], v2 offset:1248
	s_wait_loadcnt_dscnt 0x601
	v_mul_f64_e32 v[144:145], v[4:5], v[132:133]
	v_mul_f64_e32 v[132:133], v[6:7], v[132:133]
	v_add_f64_e32 v[120:121], v[126:127], v[134:135]
	v_add_f64_e32 v[126:127], v[136:137], v[154:155]
	s_wait_loadcnt_dscnt 0x500
	v_mul_f64_e32 v[134:135], v[122:123], v[10:11]
	v_mul_f64_e32 v[10:11], v[124:125], v[10:11]
	v_fmac_f64_e32 v[144:145], v[6:7], v[130:131]
	v_fma_f64 v[130:131], v[4:5], v[130:131], -v[132:133]
	v_add_f64_e32 v[132:133], v[120:121], v[118:119]
	v_add_f64_e32 v[126:127], v[126:127], v[128:129]
	ds_load_b128 v[4:7], v2 offset:1264
	ds_load_b128 v[118:121], v2 offset:1280
	v_fmac_f64_e32 v[134:135], v[124:125], v[8:9]
	v_fma_f64 v[8:9], v[122:123], v[8:9], -v[10:11]
	s_wait_loadcnt_dscnt 0x401
	v_mul_f64_e32 v[128:129], v[4:5], v[14:15]
	v_mul_f64_e32 v[14:15], v[6:7], v[14:15]
	s_wait_loadcnt_dscnt 0x300
	v_mul_f64_e32 v[124:125], v[118:119], v[18:19]
	v_mul_f64_e32 v[18:19], v[120:121], v[18:19]
	v_add_f64_e32 v[10:11], v[132:133], v[130:131]
	v_add_f64_e32 v[122:123], v[126:127], v[144:145]
	v_fmac_f64_e32 v[128:129], v[6:7], v[12:13]
	v_fma_f64 v[12:13], v[4:5], v[12:13], -v[14:15]
	v_fmac_f64_e32 v[124:125], v[120:121], v[16:17]
	v_fma_f64 v[16:17], v[118:119], v[16:17], -v[18:19]
	v_add_f64_e32 v[14:15], v[10:11], v[8:9]
	v_add_f64_e32 v[122:123], v[122:123], v[134:135]
	ds_load_b128 v[4:7], v2 offset:1296
	ds_load_b128 v[8:11], v2 offset:1312
	s_wait_loadcnt_dscnt 0x201
	v_mul_f64_e32 v[126:127], v[4:5], v[22:23]
	v_mul_f64_e32 v[22:23], v[6:7], v[22:23]
	s_wait_loadcnt_dscnt 0x100
	v_mul_f64_e32 v[18:19], v[8:9], v[112:113]
	v_mul_f64_e32 v[112:113], v[10:11], v[112:113]
	v_add_f64_e32 v[12:13], v[14:15], v[12:13]
	v_add_f64_e32 v[14:15], v[122:123], v[128:129]
	v_fmac_f64_e32 v[126:127], v[6:7], v[20:21]
	v_fma_f64 v[20:21], v[4:5], v[20:21], -v[22:23]
	ds_load_b128 v[4:7], v2 offset:1328
	v_fmac_f64_e32 v[18:19], v[10:11], v[110:111]
	v_fma_f64 v[8:9], v[8:9], v[110:111], -v[112:113]
	v_add_f64_e32 v[12:13], v[12:13], v[16:17]
	v_add_f64_e32 v[14:15], v[14:15], v[124:125]
	s_wait_loadcnt_dscnt 0x0
	v_mul_f64_e32 v[16:17], v[4:5], v[116:117]
	v_mul_f64_e32 v[22:23], v[6:7], v[116:117]
	s_delay_alu instid0(VALU_DEP_4) | instskip(NEXT) | instid1(VALU_DEP_4)
	v_add_f64_e32 v[10:11], v[12:13], v[20:21]
	v_add_f64_e32 v[12:13], v[14:15], v[126:127]
	s_delay_alu instid0(VALU_DEP_4) | instskip(NEXT) | instid1(VALU_DEP_4)
	v_fmac_f64_e32 v[16:17], v[6:7], v[114:115]
	v_fma_f64 v[4:5], v[4:5], v[114:115], -v[22:23]
	s_delay_alu instid0(VALU_DEP_4) | instskip(NEXT) | instid1(VALU_DEP_4)
	v_add_f64_e32 v[6:7], v[10:11], v[8:9]
	v_add_f64_e32 v[8:9], v[12:13], v[18:19]
	s_delay_alu instid0(VALU_DEP_2) | instskip(NEXT) | instid1(VALU_DEP_2)
	v_add_f64_e32 v[4:5], v[6:7], v[4:5]
	v_add_f64_e32 v[6:7], v[8:9], v[16:17]
	s_delay_alu instid0(VALU_DEP_2) | instskip(NEXT) | instid1(VALU_DEP_2)
	v_add_f64_e64 v[4:5], v[138:139], -v[4:5]
	v_add_f64_e64 v[6:7], v[140:141], -v[6:7]
	scratch_store_b128 off, v[4:7], off offset:160
	s_wait_xcnt 0x0
	v_cmpx_lt_u32_e32 9, v1
	s_cbranch_execz .LBB105_247
; %bb.246:
	scratch_load_b128 v[6:9], off, s49
	v_dual_mov_b32 v3, v2 :: v_dual_mov_b32 v4, v2
	v_mov_b32_e32 v5, v2
	scratch_store_b128 off, v[2:5], off offset:144
	s_wait_loadcnt 0x0
	ds_store_b128 v108, v[6:9]
.LBB105_247:
	s_wait_xcnt 0x0
	s_or_b32 exec_lo, exec_lo, s2
	s_wait_storecnt_dscnt 0x0
	s_barrier_signal -1
	s_barrier_wait -1
	s_clause 0x9
	scratch_load_b128 v[4:7], off, off offset:160
	scratch_load_b128 v[8:11], off, off offset:176
	;; [unrolled: 1-line block ×10, first 2 shown]
	ds_load_b128 v[130:133], v2 offset:832
	ds_load_b128 v[138:141], v2 offset:848
	s_clause 0x2
	scratch_load_b128 v[134:137], off, off offset:320
	scratch_load_b128 v[142:145], off, off offset:144
	scratch_load_b128 v[146:149], off, off offset:336
	s_mov_b32 s2, exec_lo
	s_wait_loadcnt_dscnt 0xc01
	v_mul_f64_e32 v[150:151], v[132:133], v[6:7]
	v_mul_f64_e32 v[154:155], v[130:131], v[6:7]
	s_wait_loadcnt_dscnt 0xb00
	v_mul_f64_e32 v[156:157], v[138:139], v[10:11]
	v_mul_f64_e32 v[10:11], v[140:141], v[10:11]
	s_delay_alu instid0(VALU_DEP_4) | instskip(NEXT) | instid1(VALU_DEP_4)
	v_fma_f64 v[158:159], v[130:131], v[4:5], -v[150:151]
	v_fmac_f64_e32 v[154:155], v[132:133], v[4:5]
	ds_load_b128 v[4:7], v2 offset:864
	ds_load_b128 v[130:133], v2 offset:880
	scratch_load_b128 v[150:153], off, off offset:352
	v_fmac_f64_e32 v[156:157], v[140:141], v[8:9]
	v_fma_f64 v[138:139], v[138:139], v[8:9], -v[10:11]
	scratch_load_b128 v[8:11], off, off offset:368
	s_wait_loadcnt_dscnt 0xc01
	v_mul_f64_e32 v[160:161], v[4:5], v[14:15]
	v_mul_f64_e32 v[14:15], v[6:7], v[14:15]
	v_add_f64_e32 v[140:141], 0, v[158:159]
	v_add_f64_e32 v[154:155], 0, v[154:155]
	s_wait_loadcnt_dscnt 0xb00
	v_mul_f64_e32 v[158:159], v[130:131], v[18:19]
	v_mul_f64_e32 v[18:19], v[132:133], v[18:19]
	v_fmac_f64_e32 v[160:161], v[6:7], v[12:13]
	v_fma_f64 v[162:163], v[4:5], v[12:13], -v[14:15]
	ds_load_b128 v[4:7], v2 offset:896
	ds_load_b128 v[12:15], v2 offset:912
	v_add_f64_e32 v[164:165], v[140:141], v[138:139]
	v_add_f64_e32 v[154:155], v[154:155], v[156:157]
	scratch_load_b128 v[138:141], off, off offset:384
	v_fmac_f64_e32 v[158:159], v[132:133], v[16:17]
	v_fma_f64 v[130:131], v[130:131], v[16:17], -v[18:19]
	scratch_load_b128 v[16:19], off, off offset:400
	s_wait_loadcnt_dscnt 0xc01
	v_mul_f64_e32 v[156:157], v[4:5], v[22:23]
	v_mul_f64_e32 v[22:23], v[6:7], v[22:23]
	v_add_f64_e32 v[132:133], v[164:165], v[162:163]
	v_add_f64_e32 v[154:155], v[154:155], v[160:161]
	s_wait_loadcnt_dscnt 0xb00
	v_mul_f64_e32 v[160:161], v[12:13], v[112:113]
	v_mul_f64_e32 v[112:113], v[14:15], v[112:113]
	v_fmac_f64_e32 v[156:157], v[6:7], v[20:21]
	v_fma_f64 v[162:163], v[4:5], v[20:21], -v[22:23]
	ds_load_b128 v[4:7], v2 offset:928
	ds_load_b128 v[20:23], v2 offset:944
	v_add_f64_e32 v[164:165], v[132:133], v[130:131]
	v_add_f64_e32 v[154:155], v[154:155], v[158:159]
	scratch_load_b128 v[130:133], off, off offset:416
	s_wait_loadcnt_dscnt 0xb01
	v_mul_f64_e32 v[158:159], v[4:5], v[116:117]
	v_mul_f64_e32 v[116:117], v[6:7], v[116:117]
	v_fmac_f64_e32 v[160:161], v[14:15], v[110:111]
	v_fma_f64 v[110:111], v[12:13], v[110:111], -v[112:113]
	scratch_load_b128 v[12:15], off, off offset:432
	v_add_f64_e32 v[112:113], v[164:165], v[162:163]
	v_add_f64_e32 v[154:155], v[154:155], v[156:157]
	s_wait_loadcnt_dscnt 0xb00
	v_mul_f64_e32 v[156:157], v[20:21], v[120:121]
	v_mul_f64_e32 v[120:121], v[22:23], v[120:121]
	v_fmac_f64_e32 v[158:159], v[6:7], v[114:115]
	v_fma_f64 v[162:163], v[4:5], v[114:115], -v[116:117]
	v_add_f64_e32 v[164:165], v[112:113], v[110:111]
	v_add_f64_e32 v[154:155], v[154:155], v[160:161]
	ds_load_b128 v[4:7], v2 offset:960
	ds_load_b128 v[110:113], v2 offset:976
	scratch_load_b128 v[114:117], off, off offset:448
	v_fmac_f64_e32 v[156:157], v[22:23], v[118:119]
	v_fma_f64 v[118:119], v[20:21], v[118:119], -v[120:121]
	scratch_load_b128 v[20:23], off, off offset:464
	s_wait_loadcnt_dscnt 0xc01
	v_mul_f64_e32 v[160:161], v[4:5], v[124:125]
	v_mul_f64_e32 v[124:125], v[6:7], v[124:125]
	v_add_f64_e32 v[120:121], v[164:165], v[162:163]
	v_add_f64_e32 v[154:155], v[154:155], v[158:159]
	s_wait_loadcnt_dscnt 0xb00
	v_mul_f64_e32 v[158:159], v[110:111], v[128:129]
	v_mul_f64_e32 v[128:129], v[112:113], v[128:129]
	v_fmac_f64_e32 v[160:161], v[6:7], v[122:123]
	v_fma_f64 v[162:163], v[4:5], v[122:123], -v[124:125]
	v_add_f64_e32 v[164:165], v[120:121], v[118:119]
	v_add_f64_e32 v[154:155], v[154:155], v[156:157]
	ds_load_b128 v[4:7], v2 offset:992
	ds_load_b128 v[118:121], v2 offset:1008
	scratch_load_b128 v[122:125], off, off offset:480
	v_fmac_f64_e32 v[158:159], v[112:113], v[126:127]
	v_fma_f64 v[126:127], v[110:111], v[126:127], -v[128:129]
	scratch_load_b128 v[110:113], off, off offset:496
	s_wait_loadcnt_dscnt 0xc01
	v_mul_f64_e32 v[156:157], v[4:5], v[136:137]
	v_mul_f64_e32 v[136:137], v[6:7], v[136:137]
	;; [unrolled: 18-line block ×5, first 2 shown]
	v_add_f64_e32 v[148:149], v[164:165], v[162:163]
	v_add_f64_e32 v[154:155], v[154:155], v[160:161]
	s_wait_loadcnt_dscnt 0xa00
	v_mul_f64_e32 v[160:161], v[126:127], v[14:15]
	v_mul_f64_e32 v[14:15], v[128:129], v[14:15]
	v_fmac_f64_e32 v[156:157], v[6:7], v[130:131]
	v_fma_f64 v[162:163], v[4:5], v[130:131], -v[132:133]
	ds_load_b128 v[4:7], v2 offset:1120
	ds_load_b128 v[130:133], v2 offset:1136
	v_add_f64_e32 v[164:165], v[148:149], v[146:147]
	v_add_f64_e32 v[154:155], v[154:155], v[158:159]
	scratch_load_b128 v[146:149], off, off offset:608
	v_fmac_f64_e32 v[160:161], v[128:129], v[12:13]
	v_fma_f64 v[126:127], v[126:127], v[12:13], -v[14:15]
	scratch_load_b128 v[12:15], off, off offset:624
	s_wait_loadcnt_dscnt 0xb01
	v_mul_f64_e32 v[158:159], v[4:5], v[116:117]
	v_mul_f64_e32 v[116:117], v[6:7], v[116:117]
	v_add_f64_e32 v[128:129], v[164:165], v[162:163]
	v_add_f64_e32 v[154:155], v[154:155], v[156:157]
	s_wait_loadcnt_dscnt 0xa00
	v_mul_f64_e32 v[156:157], v[130:131], v[22:23]
	v_mul_f64_e32 v[22:23], v[132:133], v[22:23]
	v_fmac_f64_e32 v[158:159], v[6:7], v[114:115]
	v_fma_f64 v[162:163], v[4:5], v[114:115], -v[116:117]
	ds_load_b128 v[4:7], v2 offset:1152
	ds_load_b128 v[114:117], v2 offset:1168
	v_add_f64_e32 v[164:165], v[128:129], v[126:127]
	v_add_f64_e32 v[154:155], v[154:155], v[160:161]
	scratch_load_b128 v[126:129], off, off offset:640
	s_wait_loadcnt_dscnt 0xa01
	v_mul_f64_e32 v[160:161], v[4:5], v[124:125]
	v_mul_f64_e32 v[124:125], v[6:7], v[124:125]
	v_fmac_f64_e32 v[156:157], v[132:133], v[20:21]
	v_fma_f64 v[130:131], v[130:131], v[20:21], -v[22:23]
	scratch_load_b128 v[20:23], off, off offset:656
	v_add_f64_e32 v[132:133], v[164:165], v[162:163]
	v_add_f64_e32 v[154:155], v[154:155], v[158:159]
	s_wait_loadcnt_dscnt 0xa00
	v_mul_f64_e32 v[158:159], v[114:115], v[112:113]
	v_mul_f64_e32 v[112:113], v[116:117], v[112:113]
	v_fmac_f64_e32 v[160:161], v[6:7], v[122:123]
	v_fma_f64 v[162:163], v[4:5], v[122:123], -v[124:125]
	ds_load_b128 v[4:7], v2 offset:1184
	ds_load_b128 v[122:125], v2 offset:1200
	v_add_f64_e32 v[130:131], v[132:133], v[130:131]
	v_add_f64_e32 v[132:133], v[154:155], v[156:157]
	v_fmac_f64_e32 v[158:159], v[116:117], v[110:111]
	s_wait_loadcnt_dscnt 0x901
	v_mul_f64_e32 v[154:155], v[4:5], v[136:137]
	v_mul_f64_e32 v[136:137], v[6:7], v[136:137]
	v_fma_f64 v[110:111], v[114:115], v[110:111], -v[112:113]
	s_wait_loadcnt_dscnt 0x800
	v_mul_f64_e32 v[116:117], v[122:123], v[120:121]
	v_mul_f64_e32 v[120:121], v[124:125], v[120:121]
	v_add_f64_e32 v[112:113], v[130:131], v[162:163]
	v_add_f64_e32 v[114:115], v[132:133], v[160:161]
	v_fmac_f64_e32 v[154:155], v[6:7], v[134:135]
	v_fma_f64 v[130:131], v[4:5], v[134:135], -v[136:137]
	v_fmac_f64_e32 v[116:117], v[124:125], v[118:119]
	v_fma_f64 v[118:119], v[122:123], v[118:119], -v[120:121]
	v_add_f64_e32 v[132:133], v[112:113], v[110:111]
	v_add_f64_e32 v[114:115], v[114:115], v[158:159]
	ds_load_b128 v[4:7], v2 offset:1216
	ds_load_b128 v[110:113], v2 offset:1232
	s_wait_loadcnt_dscnt 0x701
	v_mul_f64_e32 v[134:135], v[4:5], v[152:153]
	v_mul_f64_e32 v[136:137], v[6:7], v[152:153]
	s_wait_loadcnt_dscnt 0x600
	v_mul_f64_e32 v[122:123], v[110:111], v[10:11]
	v_mul_f64_e32 v[10:11], v[112:113], v[10:11]
	v_add_f64_e32 v[120:121], v[132:133], v[130:131]
	v_add_f64_e32 v[114:115], v[114:115], v[154:155]
	v_fmac_f64_e32 v[134:135], v[6:7], v[150:151]
	v_fma_f64 v[124:125], v[4:5], v[150:151], -v[136:137]
	v_fmac_f64_e32 v[122:123], v[112:113], v[8:9]
	v_fma_f64 v[8:9], v[110:111], v[8:9], -v[10:11]
	v_add_f64_e32 v[118:119], v[120:121], v[118:119]
	v_add_f64_e32 v[120:121], v[114:115], v[116:117]
	ds_load_b128 v[4:7], v2 offset:1248
	ds_load_b128 v[114:117], v2 offset:1264
	s_wait_loadcnt_dscnt 0x501
	v_mul_f64_e32 v[130:131], v[4:5], v[140:141]
	v_mul_f64_e32 v[132:133], v[6:7], v[140:141]
	;; [unrolled: 16-line block ×4, first 2 shown]
	v_add_f64_e32 v[10:11], v[18:19], v[118:119]
	v_add_f64_e32 v[12:13], v[110:111], v[122:123]
	s_wait_loadcnt_dscnt 0x0
	v_mul_f64_e32 v[18:19], v[14:15], v[22:23]
	v_mul_f64_e32 v[22:23], v[16:17], v[22:23]
	v_fmac_f64_e32 v[2:3], v[6:7], v[126:127]
	v_fma_f64 v[4:5], v[4:5], v[126:127], -v[112:113]
	v_add_f64_e32 v[6:7], v[10:11], v[8:9]
	v_add_f64_e32 v[8:9], v[12:13], v[114:115]
	v_fmac_f64_e32 v[18:19], v[16:17], v[20:21]
	v_fma_f64 v[10:11], v[14:15], v[20:21], -v[22:23]
	s_delay_alu instid0(VALU_DEP_4) | instskip(NEXT) | instid1(VALU_DEP_4)
	v_add_f64_e32 v[4:5], v[6:7], v[4:5]
	v_add_f64_e32 v[2:3], v[8:9], v[2:3]
	s_delay_alu instid0(VALU_DEP_2) | instskip(NEXT) | instid1(VALU_DEP_2)
	v_add_f64_e32 v[4:5], v[4:5], v[10:11]
	v_add_f64_e32 v[6:7], v[2:3], v[18:19]
	s_delay_alu instid0(VALU_DEP_2) | instskip(NEXT) | instid1(VALU_DEP_2)
	v_add_f64_e64 v[2:3], v[142:143], -v[4:5]
	v_add_f64_e64 v[4:5], v[144:145], -v[6:7]
	scratch_store_b128 off, v[2:5], off offset:144
	s_wait_xcnt 0x0
	v_cmpx_lt_u32_e32 8, v1
	s_cbranch_execz .LBB105_249
; %bb.248:
	scratch_load_b128 v[2:5], off, s50
	v_mov_b32_e32 v6, 0
	s_delay_alu instid0(VALU_DEP_1)
	v_dual_mov_b32 v7, v6 :: v_dual_mov_b32 v8, v6
	v_mov_b32_e32 v9, v6
	scratch_store_b128 off, v[6:9], off offset:128
	s_wait_loadcnt 0x0
	ds_store_b128 v108, v[2:5]
.LBB105_249:
	s_wait_xcnt 0x0
	s_or_b32 exec_lo, exec_lo, s2
	s_wait_storecnt_dscnt 0x0
	s_barrier_signal -1
	s_barrier_wait -1
	s_clause 0x9
	scratch_load_b128 v[4:7], off, off offset:144
	scratch_load_b128 v[8:11], off, off offset:160
	;; [unrolled: 1-line block ×10, first 2 shown]
	v_mov_b32_e32 v2, 0
	s_mov_b32 s2, exec_lo
	ds_load_b128 v[130:133], v2 offset:816
	s_clause 0x2
	scratch_load_b128 v[134:137], off, off offset:304
	scratch_load_b128 v[138:141], off, off offset:128
	;; [unrolled: 1-line block ×3, first 2 shown]
	s_wait_loadcnt_dscnt 0xc00
	v_mul_f64_e32 v[150:151], v[132:133], v[6:7]
	v_mul_f64_e32 v[154:155], v[130:131], v[6:7]
	ds_load_b128 v[142:145], v2 offset:832
	v_fma_f64 v[158:159], v[130:131], v[4:5], -v[150:151]
	v_fmac_f64_e32 v[154:155], v[132:133], v[4:5]
	ds_load_b128 v[4:7], v2 offset:848
	s_wait_loadcnt_dscnt 0xb01
	v_mul_f64_e32 v[156:157], v[142:143], v[10:11]
	v_mul_f64_e32 v[10:11], v[144:145], v[10:11]
	scratch_load_b128 v[130:133], off, off offset:336
	ds_load_b128 v[150:153], v2 offset:864
	s_wait_loadcnt_dscnt 0xb01
	v_mul_f64_e32 v[160:161], v[4:5], v[14:15]
	v_mul_f64_e32 v[14:15], v[6:7], v[14:15]
	v_add_f64_e32 v[154:155], 0, v[154:155]
	v_fmac_f64_e32 v[156:157], v[144:145], v[8:9]
	v_fma_f64 v[142:143], v[142:143], v[8:9], -v[10:11]
	v_add_f64_e32 v[144:145], 0, v[158:159]
	scratch_load_b128 v[8:11], off, off offset:352
	v_fmac_f64_e32 v[160:161], v[6:7], v[12:13]
	v_fma_f64 v[162:163], v[4:5], v[12:13], -v[14:15]
	ds_load_b128 v[4:7], v2 offset:880
	s_wait_loadcnt_dscnt 0xb01
	v_mul_f64_e32 v[158:159], v[150:151], v[18:19]
	v_mul_f64_e32 v[18:19], v[152:153], v[18:19]
	scratch_load_b128 v[12:15], off, off offset:368
	v_add_f64_e32 v[154:155], v[154:155], v[156:157]
	v_add_f64_e32 v[164:165], v[144:145], v[142:143]
	ds_load_b128 v[142:145], v2 offset:896
	s_wait_loadcnt_dscnt 0xb01
	v_mul_f64_e32 v[156:157], v[4:5], v[22:23]
	v_mul_f64_e32 v[22:23], v[6:7], v[22:23]
	v_fmac_f64_e32 v[158:159], v[152:153], v[16:17]
	v_fma_f64 v[150:151], v[150:151], v[16:17], -v[18:19]
	scratch_load_b128 v[16:19], off, off offset:384
	v_add_f64_e32 v[154:155], v[154:155], v[160:161]
	v_add_f64_e32 v[152:153], v[164:165], v[162:163]
	v_fmac_f64_e32 v[156:157], v[6:7], v[20:21]
	v_fma_f64 v[162:163], v[4:5], v[20:21], -v[22:23]
	ds_load_b128 v[4:7], v2 offset:912
	s_wait_loadcnt_dscnt 0xb01
	v_mul_f64_e32 v[160:161], v[142:143], v[112:113]
	v_mul_f64_e32 v[112:113], v[144:145], v[112:113]
	scratch_load_b128 v[20:23], off, off offset:400
	v_add_f64_e32 v[154:155], v[154:155], v[158:159]
	s_wait_loadcnt_dscnt 0xb00
	v_mul_f64_e32 v[158:159], v[4:5], v[116:117]
	v_add_f64_e32 v[164:165], v[152:153], v[150:151]
	v_mul_f64_e32 v[116:117], v[6:7], v[116:117]
	ds_load_b128 v[150:153], v2 offset:928
	v_fmac_f64_e32 v[160:161], v[144:145], v[110:111]
	v_fma_f64 v[142:143], v[142:143], v[110:111], -v[112:113]
	scratch_load_b128 v[110:113], off, off offset:416
	v_add_f64_e32 v[154:155], v[154:155], v[156:157]
	v_fmac_f64_e32 v[158:159], v[6:7], v[114:115]
	v_add_f64_e32 v[144:145], v[164:165], v[162:163]
	v_fma_f64 v[162:163], v[4:5], v[114:115], -v[116:117]
	ds_load_b128 v[4:7], v2 offset:944
	s_wait_loadcnt_dscnt 0xb01
	v_mul_f64_e32 v[156:157], v[150:151], v[120:121]
	v_mul_f64_e32 v[120:121], v[152:153], v[120:121]
	scratch_load_b128 v[114:117], off, off offset:432
	v_add_f64_e32 v[154:155], v[154:155], v[160:161]
	s_wait_loadcnt_dscnt 0xb00
	v_mul_f64_e32 v[160:161], v[4:5], v[124:125]
	v_add_f64_e32 v[164:165], v[144:145], v[142:143]
	v_mul_f64_e32 v[124:125], v[6:7], v[124:125]
	ds_load_b128 v[142:145], v2 offset:960
	v_fmac_f64_e32 v[156:157], v[152:153], v[118:119]
	v_fma_f64 v[150:151], v[150:151], v[118:119], -v[120:121]
	scratch_load_b128 v[118:121], off, off offset:448
	v_add_f64_e32 v[154:155], v[154:155], v[158:159]
	v_fmac_f64_e32 v[160:161], v[6:7], v[122:123]
	v_add_f64_e32 v[152:153], v[164:165], v[162:163]
	;; [unrolled: 18-line block ×3, first 2 shown]
	v_fma_f64 v[162:163], v[4:5], v[134:135], -v[136:137]
	ds_load_b128 v[4:7], v2 offset:1008
	s_wait_loadcnt_dscnt 0xa01
	v_mul_f64_e32 v[160:161], v[150:151], v[148:149]
	v_mul_f64_e32 v[148:149], v[152:153], v[148:149]
	scratch_load_b128 v[134:137], off, off offset:496
	v_add_f64_e32 v[154:155], v[154:155], v[158:159]
	v_add_f64_e32 v[164:165], v[144:145], v[142:143]
	s_wait_loadcnt_dscnt 0xa00
	v_mul_f64_e32 v[158:159], v[4:5], v[132:133]
	v_mul_f64_e32 v[132:133], v[6:7], v[132:133]
	v_fmac_f64_e32 v[160:161], v[152:153], v[146:147]
	v_fma_f64 v[150:151], v[150:151], v[146:147], -v[148:149]
	ds_load_b128 v[142:145], v2 offset:1024
	scratch_load_b128 v[146:149], off, off offset:512
	v_add_f64_e32 v[154:155], v[154:155], v[156:157]
	v_add_f64_e32 v[152:153], v[164:165], v[162:163]
	v_fmac_f64_e32 v[158:159], v[6:7], v[130:131]
	v_fma_f64 v[162:163], v[4:5], v[130:131], -v[132:133]
	ds_load_b128 v[4:7], v2 offset:1040
	s_wait_loadcnt_dscnt 0xa01
	v_mul_f64_e32 v[156:157], v[142:143], v[10:11]
	v_mul_f64_e32 v[10:11], v[144:145], v[10:11]
	scratch_load_b128 v[130:133], off, off offset:528
	v_add_f64_e32 v[154:155], v[154:155], v[160:161]
	s_wait_loadcnt_dscnt 0xa00
	v_mul_f64_e32 v[160:161], v[4:5], v[14:15]
	v_add_f64_e32 v[164:165], v[152:153], v[150:151]
	v_mul_f64_e32 v[14:15], v[6:7], v[14:15]
	ds_load_b128 v[150:153], v2 offset:1056
	v_fmac_f64_e32 v[156:157], v[144:145], v[8:9]
	v_fma_f64 v[142:143], v[142:143], v[8:9], -v[10:11]
	scratch_load_b128 v[8:11], off, off offset:544
	v_add_f64_e32 v[154:155], v[154:155], v[158:159]
	v_fmac_f64_e32 v[160:161], v[6:7], v[12:13]
	v_add_f64_e32 v[144:145], v[164:165], v[162:163]
	v_fma_f64 v[162:163], v[4:5], v[12:13], -v[14:15]
	ds_load_b128 v[4:7], v2 offset:1072
	s_wait_loadcnt_dscnt 0xa01
	v_mul_f64_e32 v[158:159], v[150:151], v[18:19]
	v_mul_f64_e32 v[18:19], v[152:153], v[18:19]
	scratch_load_b128 v[12:15], off, off offset:560
	v_add_f64_e32 v[154:155], v[154:155], v[156:157]
	s_wait_loadcnt_dscnt 0xa00
	v_mul_f64_e32 v[156:157], v[4:5], v[22:23]
	v_add_f64_e32 v[164:165], v[144:145], v[142:143]
	v_mul_f64_e32 v[22:23], v[6:7], v[22:23]
	ds_load_b128 v[142:145], v2 offset:1088
	v_fmac_f64_e32 v[158:159], v[152:153], v[16:17]
	v_fma_f64 v[150:151], v[150:151], v[16:17], -v[18:19]
	scratch_load_b128 v[16:19], off, off offset:576
	v_add_f64_e32 v[154:155], v[154:155], v[160:161]
	v_fmac_f64_e32 v[156:157], v[6:7], v[20:21]
	v_add_f64_e32 v[152:153], v[164:165], v[162:163]
	;; [unrolled: 18-line block ×4, first 2 shown]
	v_fma_f64 v[162:163], v[4:5], v[122:123], -v[124:125]
	ds_load_b128 v[4:7], v2 offset:1168
	s_wait_loadcnt_dscnt 0xa01
	v_mul_f64_e32 v[158:159], v[142:143], v[128:129]
	v_mul_f64_e32 v[128:129], v[144:145], v[128:129]
	scratch_load_b128 v[122:125], off, off offset:656
	v_add_f64_e32 v[154:155], v[154:155], v[156:157]
	s_wait_loadcnt_dscnt 0xa00
	v_mul_f64_e32 v[156:157], v[4:5], v[136:137]
	v_add_f64_e32 v[164:165], v[152:153], v[150:151]
	v_mul_f64_e32 v[136:137], v[6:7], v[136:137]
	ds_load_b128 v[150:153], v2 offset:1184
	v_fmac_f64_e32 v[158:159], v[144:145], v[126:127]
	v_fma_f64 v[126:127], v[142:143], v[126:127], -v[128:129]
	s_wait_loadcnt_dscnt 0x900
	v_mul_f64_e32 v[144:145], v[150:151], v[148:149]
	v_mul_f64_e32 v[148:149], v[152:153], v[148:149]
	v_add_f64_e32 v[142:143], v[154:155], v[160:161]
	v_fmac_f64_e32 v[156:157], v[6:7], v[134:135]
	v_add_f64_e32 v[128:129], v[164:165], v[162:163]
	v_fma_f64 v[134:135], v[4:5], v[134:135], -v[136:137]
	v_fmac_f64_e32 v[144:145], v[152:153], v[146:147]
	v_fma_f64 v[146:147], v[150:151], v[146:147], -v[148:149]
	v_add_f64_e32 v[142:143], v[142:143], v[158:159]
	v_add_f64_e32 v[136:137], v[128:129], v[126:127]
	ds_load_b128 v[4:7], v2 offset:1200
	ds_load_b128 v[126:129], v2 offset:1216
	s_wait_loadcnt_dscnt 0x801
	v_mul_f64_e32 v[154:155], v[4:5], v[132:133]
	v_mul_f64_e32 v[132:133], v[6:7], v[132:133]
	v_add_f64_e32 v[134:135], v[136:137], v[134:135]
	v_add_f64_e32 v[136:137], v[142:143], v[156:157]
	s_wait_loadcnt_dscnt 0x700
	v_mul_f64_e32 v[142:143], v[126:127], v[10:11]
	v_mul_f64_e32 v[10:11], v[128:129], v[10:11]
	v_fmac_f64_e32 v[154:155], v[6:7], v[130:131]
	v_fma_f64 v[148:149], v[4:5], v[130:131], -v[132:133]
	ds_load_b128 v[4:7], v2 offset:1232
	ds_load_b128 v[130:133], v2 offset:1248
	v_add_f64_e32 v[134:135], v[134:135], v[146:147]
	v_add_f64_e32 v[136:137], v[136:137], v[144:145]
	v_fmac_f64_e32 v[142:143], v[128:129], v[8:9]
	v_fma_f64 v[8:9], v[126:127], v[8:9], -v[10:11]
	s_wait_loadcnt_dscnt 0x601
	v_mul_f64_e32 v[144:145], v[4:5], v[14:15]
	v_mul_f64_e32 v[14:15], v[6:7], v[14:15]
	s_wait_loadcnt_dscnt 0x500
	v_mul_f64_e32 v[128:129], v[130:131], v[18:19]
	v_mul_f64_e32 v[18:19], v[132:133], v[18:19]
	v_add_f64_e32 v[10:11], v[134:135], v[148:149]
	v_add_f64_e32 v[126:127], v[136:137], v[154:155]
	v_fmac_f64_e32 v[144:145], v[6:7], v[12:13]
	v_fma_f64 v[12:13], v[4:5], v[12:13], -v[14:15]
	v_fmac_f64_e32 v[128:129], v[132:133], v[16:17]
	v_fma_f64 v[16:17], v[130:131], v[16:17], -v[18:19]
	v_add_f64_e32 v[14:15], v[10:11], v[8:9]
	v_add_f64_e32 v[126:127], v[126:127], v[142:143]
	ds_load_b128 v[4:7], v2 offset:1264
	ds_load_b128 v[8:11], v2 offset:1280
	s_wait_loadcnt_dscnt 0x401
	v_mul_f64_e32 v[134:135], v[4:5], v[22:23]
	v_mul_f64_e32 v[22:23], v[6:7], v[22:23]
	s_wait_loadcnt_dscnt 0x300
	v_mul_f64_e32 v[18:19], v[8:9], v[112:113]
	v_mul_f64_e32 v[112:113], v[10:11], v[112:113]
	v_add_f64_e32 v[12:13], v[14:15], v[12:13]
	v_add_f64_e32 v[14:15], v[126:127], v[144:145]
	v_fmac_f64_e32 v[134:135], v[6:7], v[20:21]
	v_fma_f64 v[20:21], v[4:5], v[20:21], -v[22:23]
	v_fmac_f64_e32 v[18:19], v[10:11], v[110:111]
	v_fma_f64 v[8:9], v[8:9], v[110:111], -v[112:113]
	v_add_f64_e32 v[16:17], v[12:13], v[16:17]
	v_add_f64_e32 v[22:23], v[14:15], v[128:129]
	ds_load_b128 v[4:7], v2 offset:1296
	ds_load_b128 v[12:15], v2 offset:1312
	s_wait_loadcnt_dscnt 0x201
	v_mul_f64_e32 v[126:127], v[4:5], v[116:117]
	v_mul_f64_e32 v[116:117], v[6:7], v[116:117]
	v_add_f64_e32 v[10:11], v[16:17], v[20:21]
	v_add_f64_e32 v[16:17], v[22:23], v[134:135]
	s_wait_loadcnt_dscnt 0x100
	v_mul_f64_e32 v[20:21], v[12:13], v[120:121]
	v_mul_f64_e32 v[22:23], v[14:15], v[120:121]
	v_fmac_f64_e32 v[126:127], v[6:7], v[114:115]
	v_fma_f64 v[110:111], v[4:5], v[114:115], -v[116:117]
	ds_load_b128 v[4:7], v2 offset:1328
	v_add_f64_e32 v[8:9], v[10:11], v[8:9]
	v_add_f64_e32 v[10:11], v[16:17], v[18:19]
	v_fmac_f64_e32 v[20:21], v[14:15], v[118:119]
	v_fma_f64 v[12:13], v[12:13], v[118:119], -v[22:23]
	s_wait_loadcnt_dscnt 0x0
	v_mul_f64_e32 v[16:17], v[4:5], v[124:125]
	v_mul_f64_e32 v[18:19], v[6:7], v[124:125]
	v_add_f64_e32 v[8:9], v[8:9], v[110:111]
	v_add_f64_e32 v[10:11], v[10:11], v[126:127]
	s_delay_alu instid0(VALU_DEP_4) | instskip(NEXT) | instid1(VALU_DEP_4)
	v_fmac_f64_e32 v[16:17], v[6:7], v[122:123]
	v_fma_f64 v[4:5], v[4:5], v[122:123], -v[18:19]
	s_delay_alu instid0(VALU_DEP_4) | instskip(NEXT) | instid1(VALU_DEP_4)
	v_add_f64_e32 v[6:7], v[8:9], v[12:13]
	v_add_f64_e32 v[8:9], v[10:11], v[20:21]
	s_delay_alu instid0(VALU_DEP_2) | instskip(NEXT) | instid1(VALU_DEP_2)
	v_add_f64_e32 v[4:5], v[6:7], v[4:5]
	v_add_f64_e32 v[6:7], v[8:9], v[16:17]
	s_delay_alu instid0(VALU_DEP_2) | instskip(NEXT) | instid1(VALU_DEP_2)
	v_add_f64_e64 v[4:5], v[138:139], -v[4:5]
	v_add_f64_e64 v[6:7], v[140:141], -v[6:7]
	scratch_store_b128 off, v[4:7], off offset:128
	s_wait_xcnt 0x0
	v_cmpx_lt_u32_e32 7, v1
	s_cbranch_execz .LBB105_251
; %bb.250:
	scratch_load_b128 v[6:9], off, s51
	v_dual_mov_b32 v3, v2 :: v_dual_mov_b32 v4, v2
	v_mov_b32_e32 v5, v2
	scratch_store_b128 off, v[2:5], off offset:112
	s_wait_loadcnt 0x0
	ds_store_b128 v108, v[6:9]
.LBB105_251:
	s_wait_xcnt 0x0
	s_or_b32 exec_lo, exec_lo, s2
	s_wait_storecnt_dscnt 0x0
	s_barrier_signal -1
	s_barrier_wait -1
	s_clause 0x9
	scratch_load_b128 v[4:7], off, off offset:128
	scratch_load_b128 v[8:11], off, off offset:144
	;; [unrolled: 1-line block ×10, first 2 shown]
	ds_load_b128 v[130:133], v2 offset:800
	ds_load_b128 v[138:141], v2 offset:816
	s_clause 0x2
	scratch_load_b128 v[134:137], off, off offset:288
	scratch_load_b128 v[142:145], off, off offset:112
	;; [unrolled: 1-line block ×3, first 2 shown]
	s_mov_b32 s2, exec_lo
	s_wait_loadcnt_dscnt 0xc01
	v_mul_f64_e32 v[150:151], v[132:133], v[6:7]
	v_mul_f64_e32 v[154:155], v[130:131], v[6:7]
	s_wait_loadcnt_dscnt 0xb00
	v_mul_f64_e32 v[156:157], v[138:139], v[10:11]
	v_mul_f64_e32 v[10:11], v[140:141], v[10:11]
	s_delay_alu instid0(VALU_DEP_4) | instskip(NEXT) | instid1(VALU_DEP_4)
	v_fma_f64 v[158:159], v[130:131], v[4:5], -v[150:151]
	v_fmac_f64_e32 v[154:155], v[132:133], v[4:5]
	ds_load_b128 v[4:7], v2 offset:832
	ds_load_b128 v[130:133], v2 offset:848
	scratch_load_b128 v[150:153], off, off offset:320
	v_fmac_f64_e32 v[156:157], v[140:141], v[8:9]
	v_fma_f64 v[138:139], v[138:139], v[8:9], -v[10:11]
	scratch_load_b128 v[8:11], off, off offset:336
	s_wait_loadcnt_dscnt 0xc01
	v_mul_f64_e32 v[160:161], v[4:5], v[14:15]
	v_mul_f64_e32 v[14:15], v[6:7], v[14:15]
	v_add_f64_e32 v[140:141], 0, v[158:159]
	v_add_f64_e32 v[154:155], 0, v[154:155]
	s_wait_loadcnt_dscnt 0xb00
	v_mul_f64_e32 v[158:159], v[130:131], v[18:19]
	v_mul_f64_e32 v[18:19], v[132:133], v[18:19]
	v_fmac_f64_e32 v[160:161], v[6:7], v[12:13]
	v_fma_f64 v[162:163], v[4:5], v[12:13], -v[14:15]
	ds_load_b128 v[4:7], v2 offset:864
	ds_load_b128 v[12:15], v2 offset:880
	v_add_f64_e32 v[164:165], v[140:141], v[138:139]
	v_add_f64_e32 v[154:155], v[154:155], v[156:157]
	scratch_load_b128 v[138:141], off, off offset:352
	v_fmac_f64_e32 v[158:159], v[132:133], v[16:17]
	v_fma_f64 v[130:131], v[130:131], v[16:17], -v[18:19]
	scratch_load_b128 v[16:19], off, off offset:368
	s_wait_loadcnt_dscnt 0xc01
	v_mul_f64_e32 v[156:157], v[4:5], v[22:23]
	v_mul_f64_e32 v[22:23], v[6:7], v[22:23]
	v_add_f64_e32 v[132:133], v[164:165], v[162:163]
	v_add_f64_e32 v[154:155], v[154:155], v[160:161]
	s_wait_loadcnt_dscnt 0xb00
	v_mul_f64_e32 v[160:161], v[12:13], v[112:113]
	v_mul_f64_e32 v[112:113], v[14:15], v[112:113]
	v_fmac_f64_e32 v[156:157], v[6:7], v[20:21]
	v_fma_f64 v[162:163], v[4:5], v[20:21], -v[22:23]
	ds_load_b128 v[4:7], v2 offset:896
	ds_load_b128 v[20:23], v2 offset:912
	v_add_f64_e32 v[164:165], v[132:133], v[130:131]
	v_add_f64_e32 v[154:155], v[154:155], v[158:159]
	scratch_load_b128 v[130:133], off, off offset:384
	s_wait_loadcnt_dscnt 0xb01
	v_mul_f64_e32 v[158:159], v[4:5], v[116:117]
	v_mul_f64_e32 v[116:117], v[6:7], v[116:117]
	v_fmac_f64_e32 v[160:161], v[14:15], v[110:111]
	v_fma_f64 v[110:111], v[12:13], v[110:111], -v[112:113]
	scratch_load_b128 v[12:15], off, off offset:400
	v_add_f64_e32 v[112:113], v[164:165], v[162:163]
	v_add_f64_e32 v[154:155], v[154:155], v[156:157]
	s_wait_loadcnt_dscnt 0xb00
	v_mul_f64_e32 v[156:157], v[20:21], v[120:121]
	v_mul_f64_e32 v[120:121], v[22:23], v[120:121]
	v_fmac_f64_e32 v[158:159], v[6:7], v[114:115]
	v_fma_f64 v[162:163], v[4:5], v[114:115], -v[116:117]
	v_add_f64_e32 v[164:165], v[112:113], v[110:111]
	v_add_f64_e32 v[154:155], v[154:155], v[160:161]
	ds_load_b128 v[4:7], v2 offset:928
	ds_load_b128 v[110:113], v2 offset:944
	scratch_load_b128 v[114:117], off, off offset:416
	v_fmac_f64_e32 v[156:157], v[22:23], v[118:119]
	v_fma_f64 v[118:119], v[20:21], v[118:119], -v[120:121]
	scratch_load_b128 v[20:23], off, off offset:432
	s_wait_loadcnt_dscnt 0xc01
	v_mul_f64_e32 v[160:161], v[4:5], v[124:125]
	v_mul_f64_e32 v[124:125], v[6:7], v[124:125]
	v_add_f64_e32 v[120:121], v[164:165], v[162:163]
	v_add_f64_e32 v[154:155], v[154:155], v[158:159]
	s_wait_loadcnt_dscnt 0xb00
	v_mul_f64_e32 v[158:159], v[110:111], v[128:129]
	v_mul_f64_e32 v[128:129], v[112:113], v[128:129]
	v_fmac_f64_e32 v[160:161], v[6:7], v[122:123]
	v_fma_f64 v[162:163], v[4:5], v[122:123], -v[124:125]
	v_add_f64_e32 v[164:165], v[120:121], v[118:119]
	v_add_f64_e32 v[154:155], v[154:155], v[156:157]
	ds_load_b128 v[4:7], v2 offset:960
	ds_load_b128 v[118:121], v2 offset:976
	scratch_load_b128 v[122:125], off, off offset:448
	v_fmac_f64_e32 v[158:159], v[112:113], v[126:127]
	v_fma_f64 v[126:127], v[110:111], v[126:127], -v[128:129]
	scratch_load_b128 v[110:113], off, off offset:464
	s_wait_loadcnt_dscnt 0xc01
	v_mul_f64_e32 v[156:157], v[4:5], v[136:137]
	v_mul_f64_e32 v[136:137], v[6:7], v[136:137]
	;; [unrolled: 18-line block ×5, first 2 shown]
	v_add_f64_e32 v[148:149], v[164:165], v[162:163]
	v_add_f64_e32 v[154:155], v[154:155], v[160:161]
	s_wait_loadcnt_dscnt 0xa00
	v_mul_f64_e32 v[160:161], v[126:127], v[14:15]
	v_mul_f64_e32 v[14:15], v[128:129], v[14:15]
	v_fmac_f64_e32 v[156:157], v[6:7], v[130:131]
	v_fma_f64 v[162:163], v[4:5], v[130:131], -v[132:133]
	ds_load_b128 v[4:7], v2 offset:1088
	ds_load_b128 v[130:133], v2 offset:1104
	v_add_f64_e32 v[164:165], v[148:149], v[146:147]
	v_add_f64_e32 v[154:155], v[154:155], v[158:159]
	scratch_load_b128 v[146:149], off, off offset:576
	v_fmac_f64_e32 v[160:161], v[128:129], v[12:13]
	v_fma_f64 v[126:127], v[126:127], v[12:13], -v[14:15]
	scratch_load_b128 v[12:15], off, off offset:592
	s_wait_loadcnt_dscnt 0xb01
	v_mul_f64_e32 v[158:159], v[4:5], v[116:117]
	v_mul_f64_e32 v[116:117], v[6:7], v[116:117]
	v_add_f64_e32 v[128:129], v[164:165], v[162:163]
	v_add_f64_e32 v[154:155], v[154:155], v[156:157]
	s_wait_loadcnt_dscnt 0xa00
	v_mul_f64_e32 v[156:157], v[130:131], v[22:23]
	v_mul_f64_e32 v[22:23], v[132:133], v[22:23]
	v_fmac_f64_e32 v[158:159], v[6:7], v[114:115]
	v_fma_f64 v[162:163], v[4:5], v[114:115], -v[116:117]
	ds_load_b128 v[4:7], v2 offset:1120
	ds_load_b128 v[114:117], v2 offset:1136
	v_add_f64_e32 v[164:165], v[128:129], v[126:127]
	v_add_f64_e32 v[154:155], v[154:155], v[160:161]
	scratch_load_b128 v[126:129], off, off offset:608
	s_wait_loadcnt_dscnt 0xa01
	v_mul_f64_e32 v[160:161], v[4:5], v[124:125]
	v_mul_f64_e32 v[124:125], v[6:7], v[124:125]
	v_fmac_f64_e32 v[156:157], v[132:133], v[20:21]
	v_fma_f64 v[130:131], v[130:131], v[20:21], -v[22:23]
	scratch_load_b128 v[20:23], off, off offset:624
	v_add_f64_e32 v[132:133], v[164:165], v[162:163]
	v_add_f64_e32 v[154:155], v[154:155], v[158:159]
	s_wait_loadcnt_dscnt 0xa00
	v_mul_f64_e32 v[158:159], v[114:115], v[112:113]
	v_mul_f64_e32 v[112:113], v[116:117], v[112:113]
	v_fmac_f64_e32 v[160:161], v[6:7], v[122:123]
	v_fma_f64 v[162:163], v[4:5], v[122:123], -v[124:125]
	ds_load_b128 v[4:7], v2 offset:1152
	ds_load_b128 v[122:125], v2 offset:1168
	v_add_f64_e32 v[164:165], v[132:133], v[130:131]
	v_add_f64_e32 v[154:155], v[154:155], v[156:157]
	scratch_load_b128 v[130:133], off, off offset:640
	s_wait_loadcnt_dscnt 0xa01
	v_mul_f64_e32 v[156:157], v[4:5], v[136:137]
	v_mul_f64_e32 v[136:137], v[6:7], v[136:137]
	v_fmac_f64_e32 v[158:159], v[116:117], v[110:111]
	v_fma_f64 v[114:115], v[114:115], v[110:111], -v[112:113]
	scratch_load_b128 v[110:113], off, off offset:656
	v_add_f64_e32 v[116:117], v[164:165], v[162:163]
	v_add_f64_e32 v[154:155], v[154:155], v[160:161]
	s_wait_loadcnt_dscnt 0xa00
	v_mul_f64_e32 v[160:161], v[122:123], v[120:121]
	v_mul_f64_e32 v[120:121], v[124:125], v[120:121]
	v_fmac_f64_e32 v[156:157], v[6:7], v[134:135]
	v_fma_f64 v[134:135], v[4:5], v[134:135], -v[136:137]
	v_add_f64_e32 v[136:137], v[116:117], v[114:115]
	v_add_f64_e32 v[154:155], v[154:155], v[158:159]
	ds_load_b128 v[4:7], v2 offset:1184
	ds_load_b128 v[114:117], v2 offset:1200
	v_fmac_f64_e32 v[160:161], v[124:125], v[118:119]
	v_fma_f64 v[118:119], v[122:123], v[118:119], -v[120:121]
	s_wait_loadcnt_dscnt 0x901
	v_mul_f64_e32 v[158:159], v[4:5], v[152:153]
	v_mul_f64_e32 v[152:153], v[6:7], v[152:153]
	s_wait_loadcnt_dscnt 0x800
	v_mul_f64_e32 v[124:125], v[114:115], v[10:11]
	v_mul_f64_e32 v[10:11], v[116:117], v[10:11]
	v_add_f64_e32 v[120:121], v[136:137], v[134:135]
	v_add_f64_e32 v[122:123], v[154:155], v[156:157]
	v_fmac_f64_e32 v[158:159], v[6:7], v[150:151]
	v_fma_f64 v[134:135], v[4:5], v[150:151], -v[152:153]
	v_fmac_f64_e32 v[124:125], v[116:117], v[8:9]
	v_fma_f64 v[8:9], v[114:115], v[8:9], -v[10:11]
	v_add_f64_e32 v[136:137], v[120:121], v[118:119]
	v_add_f64_e32 v[122:123], v[122:123], v[160:161]
	ds_load_b128 v[4:7], v2 offset:1216
	ds_load_b128 v[118:121], v2 offset:1232
	s_wait_loadcnt_dscnt 0x701
	v_mul_f64_e32 v[150:151], v[4:5], v[140:141]
	v_mul_f64_e32 v[140:141], v[6:7], v[140:141]
	s_wait_loadcnt_dscnt 0x600
	v_mul_f64_e32 v[116:117], v[118:119], v[18:19]
	v_mul_f64_e32 v[18:19], v[120:121], v[18:19]
	v_add_f64_e32 v[10:11], v[136:137], v[134:135]
	v_add_f64_e32 v[114:115], v[122:123], v[158:159]
	v_fmac_f64_e32 v[150:151], v[6:7], v[138:139]
	v_fma_f64 v[122:123], v[4:5], v[138:139], -v[140:141]
	v_fmac_f64_e32 v[116:117], v[120:121], v[16:17]
	v_fma_f64 v[16:17], v[118:119], v[16:17], -v[18:19]
	v_add_f64_e32 v[134:135], v[10:11], v[8:9]
	v_add_f64_e32 v[114:115], v[114:115], v[124:125]
	ds_load_b128 v[4:7], v2 offset:1248
	ds_load_b128 v[8:11], v2 offset:1264
	;; [unrolled: 16-line block ×3, first 2 shown]
	s_wait_loadcnt_dscnt 0x301
	v_mul_f64_e32 v[116:117], v[4:5], v[128:129]
	v_mul_f64_e32 v[128:129], v[6:7], v[128:129]
	v_add_f64_e32 v[10:11], v[18:19], v[122:123]
	v_add_f64_e32 v[12:13], v[114:115], v[124:125]
	s_wait_loadcnt_dscnt 0x200
	v_mul_f64_e32 v[18:19], v[14:15], v[22:23]
	v_mul_f64_e32 v[22:23], v[16:17], v[22:23]
	v_fmac_f64_e32 v[116:117], v[6:7], v[126:127]
	v_fma_f64 v[114:115], v[4:5], v[126:127], -v[128:129]
	v_add_f64_e32 v[120:121], v[10:11], v[8:9]
	v_add_f64_e32 v[12:13], v[12:13], v[118:119]
	ds_load_b128 v[4:7], v2 offset:1312
	ds_load_b128 v[8:11], v2 offset:1328
	v_fmac_f64_e32 v[18:19], v[16:17], v[20:21]
	v_fma_f64 v[14:15], v[14:15], v[20:21], -v[22:23]
	s_wait_loadcnt_dscnt 0x101
	v_mul_f64_e32 v[2:3], v[4:5], v[132:133]
	v_mul_f64_e32 v[118:119], v[6:7], v[132:133]
	s_wait_loadcnt_dscnt 0x0
	v_mul_f64_e32 v[20:21], v[8:9], v[112:113]
	v_mul_f64_e32 v[22:23], v[10:11], v[112:113]
	v_add_f64_e32 v[16:17], v[120:121], v[114:115]
	v_add_f64_e32 v[12:13], v[12:13], v[116:117]
	v_fmac_f64_e32 v[2:3], v[6:7], v[130:131]
	v_fma_f64 v[4:5], v[4:5], v[130:131], -v[118:119]
	v_fmac_f64_e32 v[20:21], v[10:11], v[110:111]
	v_fma_f64 v[8:9], v[8:9], v[110:111], -v[22:23]
	v_add_f64_e32 v[6:7], v[16:17], v[14:15]
	v_add_f64_e32 v[12:13], v[12:13], v[18:19]
	s_delay_alu instid0(VALU_DEP_2) | instskip(NEXT) | instid1(VALU_DEP_2)
	v_add_f64_e32 v[4:5], v[6:7], v[4:5]
	v_add_f64_e32 v[2:3], v[12:13], v[2:3]
	s_delay_alu instid0(VALU_DEP_2) | instskip(NEXT) | instid1(VALU_DEP_2)
	;; [unrolled: 3-line block ×3, first 2 shown]
	v_add_f64_e64 v[2:3], v[142:143], -v[4:5]
	v_add_f64_e64 v[4:5], v[144:145], -v[6:7]
	scratch_store_b128 off, v[2:5], off offset:112
	s_wait_xcnt 0x0
	v_cmpx_lt_u32_e32 6, v1
	s_cbranch_execz .LBB105_253
; %bb.252:
	scratch_load_b128 v[2:5], off, s52
	v_mov_b32_e32 v6, 0
	s_delay_alu instid0(VALU_DEP_1)
	v_dual_mov_b32 v7, v6 :: v_dual_mov_b32 v8, v6
	v_mov_b32_e32 v9, v6
	scratch_store_b128 off, v[6:9], off offset:96
	s_wait_loadcnt 0x0
	ds_store_b128 v108, v[2:5]
.LBB105_253:
	s_wait_xcnt 0x0
	s_or_b32 exec_lo, exec_lo, s2
	s_wait_storecnt_dscnt 0x0
	s_barrier_signal -1
	s_barrier_wait -1
	s_clause 0x9
	scratch_load_b128 v[4:7], off, off offset:112
	scratch_load_b128 v[8:11], off, off offset:128
	;; [unrolled: 1-line block ×10, first 2 shown]
	v_mov_b32_e32 v2, 0
	s_mov_b32 s2, exec_lo
	ds_load_b128 v[130:133], v2 offset:784
	s_clause 0x2
	scratch_load_b128 v[134:137], off, off offset:272
	scratch_load_b128 v[138:141], off, off offset:96
	;; [unrolled: 1-line block ×3, first 2 shown]
	s_wait_loadcnt_dscnt 0xc00
	v_mul_f64_e32 v[150:151], v[132:133], v[6:7]
	v_mul_f64_e32 v[154:155], v[130:131], v[6:7]
	ds_load_b128 v[142:145], v2 offset:800
	v_fma_f64 v[158:159], v[130:131], v[4:5], -v[150:151]
	v_fmac_f64_e32 v[154:155], v[132:133], v[4:5]
	ds_load_b128 v[4:7], v2 offset:816
	s_wait_loadcnt_dscnt 0xb01
	v_mul_f64_e32 v[156:157], v[142:143], v[10:11]
	v_mul_f64_e32 v[10:11], v[144:145], v[10:11]
	scratch_load_b128 v[130:133], off, off offset:304
	ds_load_b128 v[150:153], v2 offset:832
	s_wait_loadcnt_dscnt 0xb01
	v_mul_f64_e32 v[160:161], v[4:5], v[14:15]
	v_mul_f64_e32 v[14:15], v[6:7], v[14:15]
	v_add_f64_e32 v[154:155], 0, v[154:155]
	v_fmac_f64_e32 v[156:157], v[144:145], v[8:9]
	v_fma_f64 v[142:143], v[142:143], v[8:9], -v[10:11]
	v_add_f64_e32 v[144:145], 0, v[158:159]
	scratch_load_b128 v[8:11], off, off offset:320
	v_fmac_f64_e32 v[160:161], v[6:7], v[12:13]
	v_fma_f64 v[162:163], v[4:5], v[12:13], -v[14:15]
	ds_load_b128 v[4:7], v2 offset:848
	s_wait_loadcnt_dscnt 0xb01
	v_mul_f64_e32 v[158:159], v[150:151], v[18:19]
	v_mul_f64_e32 v[18:19], v[152:153], v[18:19]
	scratch_load_b128 v[12:15], off, off offset:336
	v_add_f64_e32 v[154:155], v[154:155], v[156:157]
	v_add_f64_e32 v[164:165], v[144:145], v[142:143]
	ds_load_b128 v[142:145], v2 offset:864
	s_wait_loadcnt_dscnt 0xb01
	v_mul_f64_e32 v[156:157], v[4:5], v[22:23]
	v_mul_f64_e32 v[22:23], v[6:7], v[22:23]
	v_fmac_f64_e32 v[158:159], v[152:153], v[16:17]
	v_fma_f64 v[150:151], v[150:151], v[16:17], -v[18:19]
	scratch_load_b128 v[16:19], off, off offset:352
	v_add_f64_e32 v[154:155], v[154:155], v[160:161]
	v_add_f64_e32 v[152:153], v[164:165], v[162:163]
	v_fmac_f64_e32 v[156:157], v[6:7], v[20:21]
	v_fma_f64 v[162:163], v[4:5], v[20:21], -v[22:23]
	ds_load_b128 v[4:7], v2 offset:880
	s_wait_loadcnt_dscnt 0xb01
	v_mul_f64_e32 v[160:161], v[142:143], v[112:113]
	v_mul_f64_e32 v[112:113], v[144:145], v[112:113]
	scratch_load_b128 v[20:23], off, off offset:368
	v_add_f64_e32 v[154:155], v[154:155], v[158:159]
	s_wait_loadcnt_dscnt 0xb00
	v_mul_f64_e32 v[158:159], v[4:5], v[116:117]
	v_add_f64_e32 v[164:165], v[152:153], v[150:151]
	v_mul_f64_e32 v[116:117], v[6:7], v[116:117]
	ds_load_b128 v[150:153], v2 offset:896
	v_fmac_f64_e32 v[160:161], v[144:145], v[110:111]
	v_fma_f64 v[142:143], v[142:143], v[110:111], -v[112:113]
	scratch_load_b128 v[110:113], off, off offset:384
	v_add_f64_e32 v[154:155], v[154:155], v[156:157]
	v_fmac_f64_e32 v[158:159], v[6:7], v[114:115]
	v_add_f64_e32 v[144:145], v[164:165], v[162:163]
	v_fma_f64 v[162:163], v[4:5], v[114:115], -v[116:117]
	ds_load_b128 v[4:7], v2 offset:912
	s_wait_loadcnt_dscnt 0xb01
	v_mul_f64_e32 v[156:157], v[150:151], v[120:121]
	v_mul_f64_e32 v[120:121], v[152:153], v[120:121]
	scratch_load_b128 v[114:117], off, off offset:400
	v_add_f64_e32 v[154:155], v[154:155], v[160:161]
	s_wait_loadcnt_dscnt 0xb00
	v_mul_f64_e32 v[160:161], v[4:5], v[124:125]
	v_add_f64_e32 v[164:165], v[144:145], v[142:143]
	v_mul_f64_e32 v[124:125], v[6:7], v[124:125]
	ds_load_b128 v[142:145], v2 offset:928
	v_fmac_f64_e32 v[156:157], v[152:153], v[118:119]
	v_fma_f64 v[150:151], v[150:151], v[118:119], -v[120:121]
	scratch_load_b128 v[118:121], off, off offset:416
	v_add_f64_e32 v[154:155], v[154:155], v[158:159]
	v_fmac_f64_e32 v[160:161], v[6:7], v[122:123]
	v_add_f64_e32 v[152:153], v[164:165], v[162:163]
	;; [unrolled: 18-line block ×3, first 2 shown]
	v_fma_f64 v[162:163], v[4:5], v[134:135], -v[136:137]
	ds_load_b128 v[4:7], v2 offset:976
	s_wait_loadcnt_dscnt 0xa01
	v_mul_f64_e32 v[160:161], v[150:151], v[148:149]
	v_mul_f64_e32 v[148:149], v[152:153], v[148:149]
	scratch_load_b128 v[134:137], off, off offset:464
	v_add_f64_e32 v[154:155], v[154:155], v[158:159]
	v_add_f64_e32 v[164:165], v[144:145], v[142:143]
	s_wait_loadcnt_dscnt 0xa00
	v_mul_f64_e32 v[158:159], v[4:5], v[132:133]
	v_mul_f64_e32 v[132:133], v[6:7], v[132:133]
	v_fmac_f64_e32 v[160:161], v[152:153], v[146:147]
	v_fma_f64 v[150:151], v[150:151], v[146:147], -v[148:149]
	ds_load_b128 v[142:145], v2 offset:992
	scratch_load_b128 v[146:149], off, off offset:480
	v_add_f64_e32 v[154:155], v[154:155], v[156:157]
	v_add_f64_e32 v[152:153], v[164:165], v[162:163]
	v_fmac_f64_e32 v[158:159], v[6:7], v[130:131]
	v_fma_f64 v[162:163], v[4:5], v[130:131], -v[132:133]
	ds_load_b128 v[4:7], v2 offset:1008
	s_wait_loadcnt_dscnt 0xa01
	v_mul_f64_e32 v[156:157], v[142:143], v[10:11]
	v_mul_f64_e32 v[10:11], v[144:145], v[10:11]
	scratch_load_b128 v[130:133], off, off offset:496
	v_add_f64_e32 v[154:155], v[154:155], v[160:161]
	s_wait_loadcnt_dscnt 0xa00
	v_mul_f64_e32 v[160:161], v[4:5], v[14:15]
	v_add_f64_e32 v[164:165], v[152:153], v[150:151]
	v_mul_f64_e32 v[14:15], v[6:7], v[14:15]
	ds_load_b128 v[150:153], v2 offset:1024
	v_fmac_f64_e32 v[156:157], v[144:145], v[8:9]
	v_fma_f64 v[142:143], v[142:143], v[8:9], -v[10:11]
	scratch_load_b128 v[8:11], off, off offset:512
	v_add_f64_e32 v[154:155], v[154:155], v[158:159]
	v_fmac_f64_e32 v[160:161], v[6:7], v[12:13]
	v_add_f64_e32 v[144:145], v[164:165], v[162:163]
	v_fma_f64 v[162:163], v[4:5], v[12:13], -v[14:15]
	ds_load_b128 v[4:7], v2 offset:1040
	s_wait_loadcnt_dscnt 0xa01
	v_mul_f64_e32 v[158:159], v[150:151], v[18:19]
	v_mul_f64_e32 v[18:19], v[152:153], v[18:19]
	scratch_load_b128 v[12:15], off, off offset:528
	v_add_f64_e32 v[154:155], v[154:155], v[156:157]
	s_wait_loadcnt_dscnt 0xa00
	v_mul_f64_e32 v[156:157], v[4:5], v[22:23]
	v_add_f64_e32 v[164:165], v[144:145], v[142:143]
	v_mul_f64_e32 v[22:23], v[6:7], v[22:23]
	ds_load_b128 v[142:145], v2 offset:1056
	v_fmac_f64_e32 v[158:159], v[152:153], v[16:17]
	v_fma_f64 v[150:151], v[150:151], v[16:17], -v[18:19]
	scratch_load_b128 v[16:19], off, off offset:544
	v_add_f64_e32 v[154:155], v[154:155], v[160:161]
	v_fmac_f64_e32 v[156:157], v[6:7], v[20:21]
	v_add_f64_e32 v[152:153], v[164:165], v[162:163]
	;; [unrolled: 18-line block ×5, first 2 shown]
	v_fma_f64 v[162:163], v[4:5], v[134:135], -v[136:137]
	ds_load_b128 v[4:7], v2 offset:1168
	s_wait_loadcnt_dscnt 0xa01
	v_mul_f64_e32 v[160:161], v[150:151], v[148:149]
	v_mul_f64_e32 v[148:149], v[152:153], v[148:149]
	scratch_load_b128 v[134:137], off, off offset:656
	v_add_f64_e32 v[154:155], v[154:155], v[158:159]
	s_wait_loadcnt_dscnt 0xa00
	v_mul_f64_e32 v[158:159], v[4:5], v[132:133]
	v_add_f64_e32 v[164:165], v[144:145], v[142:143]
	v_mul_f64_e32 v[132:133], v[6:7], v[132:133]
	ds_load_b128 v[142:145], v2 offset:1184
	v_fmac_f64_e32 v[160:161], v[152:153], v[146:147]
	v_fma_f64 v[146:147], v[150:151], v[146:147], -v[148:149]
	s_wait_loadcnt_dscnt 0x900
	v_mul_f64_e32 v[152:153], v[142:143], v[10:11]
	v_mul_f64_e32 v[10:11], v[144:145], v[10:11]
	v_add_f64_e32 v[150:151], v[154:155], v[156:157]
	v_fmac_f64_e32 v[158:159], v[6:7], v[130:131]
	v_add_f64_e32 v[148:149], v[164:165], v[162:163]
	v_fma_f64 v[154:155], v[4:5], v[130:131], -v[132:133]
	ds_load_b128 v[4:7], v2 offset:1200
	ds_load_b128 v[130:133], v2 offset:1216
	v_fmac_f64_e32 v[152:153], v[144:145], v[8:9]
	v_fma_f64 v[8:9], v[142:143], v[8:9], -v[10:11]
	v_add_f64_e32 v[146:147], v[148:149], v[146:147]
	v_add_f64_e32 v[148:149], v[150:151], v[160:161]
	s_wait_loadcnt_dscnt 0x801
	v_mul_f64_e32 v[150:151], v[4:5], v[14:15]
	v_mul_f64_e32 v[14:15], v[6:7], v[14:15]
	s_wait_loadcnt_dscnt 0x700
	v_mul_f64_e32 v[144:145], v[130:131], v[18:19]
	v_mul_f64_e32 v[18:19], v[132:133], v[18:19]
	v_add_f64_e32 v[10:11], v[146:147], v[154:155]
	v_add_f64_e32 v[142:143], v[148:149], v[158:159]
	v_fmac_f64_e32 v[150:151], v[6:7], v[12:13]
	v_fma_f64 v[12:13], v[4:5], v[12:13], -v[14:15]
	v_fmac_f64_e32 v[144:145], v[132:133], v[16:17]
	v_fma_f64 v[16:17], v[130:131], v[16:17], -v[18:19]
	v_add_f64_e32 v[14:15], v[10:11], v[8:9]
	v_add_f64_e32 v[142:143], v[142:143], v[152:153]
	ds_load_b128 v[4:7], v2 offset:1232
	ds_load_b128 v[8:11], v2 offset:1248
	s_wait_loadcnt_dscnt 0x601
	v_mul_f64_e32 v[146:147], v[4:5], v[22:23]
	v_mul_f64_e32 v[22:23], v[6:7], v[22:23]
	s_wait_loadcnt_dscnt 0x500
	v_mul_f64_e32 v[18:19], v[8:9], v[112:113]
	v_mul_f64_e32 v[112:113], v[10:11], v[112:113]
	v_add_f64_e32 v[12:13], v[14:15], v[12:13]
	v_add_f64_e32 v[14:15], v[142:143], v[150:151]
	v_fmac_f64_e32 v[146:147], v[6:7], v[20:21]
	v_fma_f64 v[20:21], v[4:5], v[20:21], -v[22:23]
	v_fmac_f64_e32 v[18:19], v[10:11], v[110:111]
	v_fma_f64 v[8:9], v[8:9], v[110:111], -v[112:113]
	v_add_f64_e32 v[16:17], v[12:13], v[16:17]
	v_add_f64_e32 v[22:23], v[14:15], v[144:145]
	ds_load_b128 v[4:7], v2 offset:1264
	ds_load_b128 v[12:15], v2 offset:1280
	s_wait_loadcnt_dscnt 0x401
	v_mul_f64_e32 v[130:131], v[4:5], v[116:117]
	v_mul_f64_e32 v[116:117], v[6:7], v[116:117]
	v_add_f64_e32 v[10:11], v[16:17], v[20:21]
	v_add_f64_e32 v[16:17], v[22:23], v[146:147]
	s_wait_loadcnt_dscnt 0x300
	v_mul_f64_e32 v[20:21], v[12:13], v[120:121]
	v_mul_f64_e32 v[22:23], v[14:15], v[120:121]
	v_fmac_f64_e32 v[130:131], v[6:7], v[114:115]
	v_fma_f64 v[110:111], v[4:5], v[114:115], -v[116:117]
	v_add_f64_e32 v[112:113], v[10:11], v[8:9]
	v_add_f64_e32 v[16:17], v[16:17], v[18:19]
	ds_load_b128 v[4:7], v2 offset:1296
	ds_load_b128 v[8:11], v2 offset:1312
	v_fmac_f64_e32 v[20:21], v[14:15], v[118:119]
	v_fma_f64 v[12:13], v[12:13], v[118:119], -v[22:23]
	s_wait_loadcnt_dscnt 0x201
	v_mul_f64_e32 v[18:19], v[4:5], v[124:125]
	v_mul_f64_e32 v[114:115], v[6:7], v[124:125]
	s_wait_loadcnt_dscnt 0x100
	v_mul_f64_e32 v[22:23], v[8:9], v[128:129]
	v_add_f64_e32 v[14:15], v[112:113], v[110:111]
	v_add_f64_e32 v[16:17], v[16:17], v[130:131]
	v_mul_f64_e32 v[110:111], v[10:11], v[128:129]
	v_fmac_f64_e32 v[18:19], v[6:7], v[122:123]
	v_fma_f64 v[112:113], v[4:5], v[122:123], -v[114:115]
	ds_load_b128 v[4:7], v2 offset:1328
	v_fmac_f64_e32 v[22:23], v[10:11], v[126:127]
	v_add_f64_e32 v[12:13], v[14:15], v[12:13]
	v_add_f64_e32 v[14:15], v[16:17], v[20:21]
	v_fma_f64 v[8:9], v[8:9], v[126:127], -v[110:111]
	s_wait_loadcnt_dscnt 0x0
	v_mul_f64_e32 v[16:17], v[4:5], v[136:137]
	v_mul_f64_e32 v[20:21], v[6:7], v[136:137]
	v_add_f64_e32 v[10:11], v[12:13], v[112:113]
	v_add_f64_e32 v[12:13], v[14:15], v[18:19]
	s_delay_alu instid0(VALU_DEP_4) | instskip(NEXT) | instid1(VALU_DEP_4)
	v_fmac_f64_e32 v[16:17], v[6:7], v[134:135]
	v_fma_f64 v[4:5], v[4:5], v[134:135], -v[20:21]
	s_delay_alu instid0(VALU_DEP_4) | instskip(NEXT) | instid1(VALU_DEP_4)
	v_add_f64_e32 v[6:7], v[10:11], v[8:9]
	v_add_f64_e32 v[8:9], v[12:13], v[22:23]
	s_delay_alu instid0(VALU_DEP_2) | instskip(NEXT) | instid1(VALU_DEP_2)
	v_add_f64_e32 v[4:5], v[6:7], v[4:5]
	v_add_f64_e32 v[6:7], v[8:9], v[16:17]
	s_delay_alu instid0(VALU_DEP_2) | instskip(NEXT) | instid1(VALU_DEP_2)
	v_add_f64_e64 v[4:5], v[138:139], -v[4:5]
	v_add_f64_e64 v[6:7], v[140:141], -v[6:7]
	scratch_store_b128 off, v[4:7], off offset:96
	s_wait_xcnt 0x0
	v_cmpx_lt_u32_e32 5, v1
	s_cbranch_execz .LBB105_255
; %bb.254:
	scratch_load_b128 v[6:9], off, s53
	v_dual_mov_b32 v3, v2 :: v_dual_mov_b32 v4, v2
	v_mov_b32_e32 v5, v2
	scratch_store_b128 off, v[2:5], off offset:80
	s_wait_loadcnt 0x0
	ds_store_b128 v108, v[6:9]
.LBB105_255:
	s_wait_xcnt 0x0
	s_or_b32 exec_lo, exec_lo, s2
	s_wait_storecnt_dscnt 0x0
	s_barrier_signal -1
	s_barrier_wait -1
	s_clause 0x9
	scratch_load_b128 v[4:7], off, off offset:96
	scratch_load_b128 v[8:11], off, off offset:112
	;; [unrolled: 1-line block ×10, first 2 shown]
	ds_load_b128 v[130:133], v2 offset:768
	ds_load_b128 v[138:141], v2 offset:784
	s_clause 0x2
	scratch_load_b128 v[134:137], off, off offset:256
	scratch_load_b128 v[142:145], off, off offset:80
	;; [unrolled: 1-line block ×3, first 2 shown]
	s_mov_b32 s2, exec_lo
	s_wait_loadcnt_dscnt 0xc01
	v_mul_f64_e32 v[150:151], v[132:133], v[6:7]
	v_mul_f64_e32 v[154:155], v[130:131], v[6:7]
	s_wait_loadcnt_dscnt 0xb00
	v_mul_f64_e32 v[156:157], v[138:139], v[10:11]
	v_mul_f64_e32 v[10:11], v[140:141], v[10:11]
	s_delay_alu instid0(VALU_DEP_4) | instskip(NEXT) | instid1(VALU_DEP_4)
	v_fma_f64 v[158:159], v[130:131], v[4:5], -v[150:151]
	v_fmac_f64_e32 v[154:155], v[132:133], v[4:5]
	ds_load_b128 v[4:7], v2 offset:800
	ds_load_b128 v[130:133], v2 offset:816
	scratch_load_b128 v[150:153], off, off offset:288
	v_fmac_f64_e32 v[156:157], v[140:141], v[8:9]
	v_fma_f64 v[138:139], v[138:139], v[8:9], -v[10:11]
	scratch_load_b128 v[8:11], off, off offset:304
	s_wait_loadcnt_dscnt 0xc01
	v_mul_f64_e32 v[160:161], v[4:5], v[14:15]
	v_mul_f64_e32 v[14:15], v[6:7], v[14:15]
	v_add_f64_e32 v[140:141], 0, v[158:159]
	v_add_f64_e32 v[154:155], 0, v[154:155]
	s_wait_loadcnt_dscnt 0xb00
	v_mul_f64_e32 v[158:159], v[130:131], v[18:19]
	v_mul_f64_e32 v[18:19], v[132:133], v[18:19]
	v_fmac_f64_e32 v[160:161], v[6:7], v[12:13]
	v_fma_f64 v[162:163], v[4:5], v[12:13], -v[14:15]
	ds_load_b128 v[4:7], v2 offset:832
	ds_load_b128 v[12:15], v2 offset:848
	v_add_f64_e32 v[164:165], v[140:141], v[138:139]
	v_add_f64_e32 v[154:155], v[154:155], v[156:157]
	scratch_load_b128 v[138:141], off, off offset:320
	v_fmac_f64_e32 v[158:159], v[132:133], v[16:17]
	v_fma_f64 v[130:131], v[130:131], v[16:17], -v[18:19]
	scratch_load_b128 v[16:19], off, off offset:336
	s_wait_loadcnt_dscnt 0xc01
	v_mul_f64_e32 v[156:157], v[4:5], v[22:23]
	v_mul_f64_e32 v[22:23], v[6:7], v[22:23]
	v_add_f64_e32 v[132:133], v[164:165], v[162:163]
	v_add_f64_e32 v[154:155], v[154:155], v[160:161]
	s_wait_loadcnt_dscnt 0xb00
	v_mul_f64_e32 v[160:161], v[12:13], v[112:113]
	v_mul_f64_e32 v[112:113], v[14:15], v[112:113]
	v_fmac_f64_e32 v[156:157], v[6:7], v[20:21]
	v_fma_f64 v[162:163], v[4:5], v[20:21], -v[22:23]
	ds_load_b128 v[4:7], v2 offset:864
	ds_load_b128 v[20:23], v2 offset:880
	v_add_f64_e32 v[164:165], v[132:133], v[130:131]
	v_add_f64_e32 v[154:155], v[154:155], v[158:159]
	scratch_load_b128 v[130:133], off, off offset:352
	s_wait_loadcnt_dscnt 0xb01
	v_mul_f64_e32 v[158:159], v[4:5], v[116:117]
	v_mul_f64_e32 v[116:117], v[6:7], v[116:117]
	v_fmac_f64_e32 v[160:161], v[14:15], v[110:111]
	v_fma_f64 v[110:111], v[12:13], v[110:111], -v[112:113]
	scratch_load_b128 v[12:15], off, off offset:368
	v_add_f64_e32 v[112:113], v[164:165], v[162:163]
	v_add_f64_e32 v[154:155], v[154:155], v[156:157]
	s_wait_loadcnt_dscnt 0xb00
	v_mul_f64_e32 v[156:157], v[20:21], v[120:121]
	v_mul_f64_e32 v[120:121], v[22:23], v[120:121]
	v_fmac_f64_e32 v[158:159], v[6:7], v[114:115]
	v_fma_f64 v[162:163], v[4:5], v[114:115], -v[116:117]
	v_add_f64_e32 v[164:165], v[112:113], v[110:111]
	v_add_f64_e32 v[154:155], v[154:155], v[160:161]
	ds_load_b128 v[4:7], v2 offset:896
	ds_load_b128 v[110:113], v2 offset:912
	scratch_load_b128 v[114:117], off, off offset:384
	v_fmac_f64_e32 v[156:157], v[22:23], v[118:119]
	v_fma_f64 v[118:119], v[20:21], v[118:119], -v[120:121]
	scratch_load_b128 v[20:23], off, off offset:400
	s_wait_loadcnt_dscnt 0xc01
	v_mul_f64_e32 v[160:161], v[4:5], v[124:125]
	v_mul_f64_e32 v[124:125], v[6:7], v[124:125]
	v_add_f64_e32 v[120:121], v[164:165], v[162:163]
	v_add_f64_e32 v[154:155], v[154:155], v[158:159]
	s_wait_loadcnt_dscnt 0xb00
	v_mul_f64_e32 v[158:159], v[110:111], v[128:129]
	v_mul_f64_e32 v[128:129], v[112:113], v[128:129]
	v_fmac_f64_e32 v[160:161], v[6:7], v[122:123]
	v_fma_f64 v[162:163], v[4:5], v[122:123], -v[124:125]
	v_add_f64_e32 v[164:165], v[120:121], v[118:119]
	v_add_f64_e32 v[154:155], v[154:155], v[156:157]
	ds_load_b128 v[4:7], v2 offset:928
	ds_load_b128 v[118:121], v2 offset:944
	scratch_load_b128 v[122:125], off, off offset:416
	v_fmac_f64_e32 v[158:159], v[112:113], v[126:127]
	v_fma_f64 v[126:127], v[110:111], v[126:127], -v[128:129]
	scratch_load_b128 v[110:113], off, off offset:432
	s_wait_loadcnt_dscnt 0xc01
	v_mul_f64_e32 v[156:157], v[4:5], v[136:137]
	v_mul_f64_e32 v[136:137], v[6:7], v[136:137]
	v_add_f64_e32 v[128:129], v[164:165], v[162:163]
	v_add_f64_e32 v[154:155], v[154:155], v[160:161]
	s_wait_loadcnt_dscnt 0xa00
	v_mul_f64_e32 v[160:161], v[118:119], v[148:149]
	v_mul_f64_e32 v[148:149], v[120:121], v[148:149]
	v_fmac_f64_e32 v[156:157], v[6:7], v[134:135]
	v_fma_f64 v[162:163], v[4:5], v[134:135], -v[136:137]
	v_add_f64_e32 v[164:165], v[128:129], v[126:127]
	v_add_f64_e32 v[154:155], v[154:155], v[158:159]
	ds_load_b128 v[4:7], v2 offset:960
	ds_load_b128 v[126:129], v2 offset:976
	scratch_load_b128 v[134:137], off, off offset:448
	v_fmac_f64_e32 v[160:161], v[120:121], v[146:147]
	v_fma_f64 v[146:147], v[118:119], v[146:147], -v[148:149]
	scratch_load_b128 v[118:121], off, off offset:464
	s_wait_loadcnt_dscnt 0xb01
	v_mul_f64_e32 v[158:159], v[4:5], v[152:153]
	v_mul_f64_e32 v[152:153], v[6:7], v[152:153]
	v_add_f64_e32 v[148:149], v[164:165], v[162:163]
	v_add_f64_e32 v[154:155], v[154:155], v[156:157]
	s_wait_loadcnt_dscnt 0xa00
	v_mul_f64_e32 v[156:157], v[126:127], v[10:11]
	v_mul_f64_e32 v[10:11], v[128:129], v[10:11]
	v_fmac_f64_e32 v[158:159], v[6:7], v[150:151]
	v_fma_f64 v[162:163], v[4:5], v[150:151], -v[152:153]
	v_add_f64_e32 v[164:165], v[148:149], v[146:147]
	v_add_f64_e32 v[154:155], v[154:155], v[160:161]
	ds_load_b128 v[4:7], v2 offset:992
	ds_load_b128 v[146:149], v2 offset:1008
	scratch_load_b128 v[150:153], off, off offset:480
	v_fmac_f64_e32 v[156:157], v[128:129], v[8:9]
	v_fma_f64 v[126:127], v[126:127], v[8:9], -v[10:11]
	scratch_load_b128 v[8:11], off, off offset:496
	s_wait_loadcnt_dscnt 0xb01
	v_mul_f64_e32 v[160:161], v[4:5], v[140:141]
	v_mul_f64_e32 v[140:141], v[6:7], v[140:141]
	v_add_f64_e32 v[128:129], v[164:165], v[162:163]
	v_add_f64_e32 v[154:155], v[154:155], v[158:159]
	s_wait_loadcnt_dscnt 0xa00
	v_mul_f64_e32 v[158:159], v[146:147], v[18:19]
	v_mul_f64_e32 v[18:19], v[148:149], v[18:19]
	v_fmac_f64_e32 v[160:161], v[6:7], v[138:139]
	v_fma_f64 v[162:163], v[4:5], v[138:139], -v[140:141]
	v_add_f64_e32 v[164:165], v[128:129], v[126:127]
	v_add_f64_e32 v[154:155], v[154:155], v[156:157]
	ds_load_b128 v[4:7], v2 offset:1024
	ds_load_b128 v[126:129], v2 offset:1040
	scratch_load_b128 v[138:141], off, off offset:512
	v_fmac_f64_e32 v[158:159], v[148:149], v[16:17]
	v_fma_f64 v[146:147], v[146:147], v[16:17], -v[18:19]
	scratch_load_b128 v[16:19], off, off offset:528
	s_wait_loadcnt_dscnt 0xb01
	v_mul_f64_e32 v[156:157], v[4:5], v[132:133]
	v_mul_f64_e32 v[132:133], v[6:7], v[132:133]
	v_add_f64_e32 v[148:149], v[164:165], v[162:163]
	v_add_f64_e32 v[154:155], v[154:155], v[160:161]
	s_wait_loadcnt_dscnt 0xa00
	v_mul_f64_e32 v[160:161], v[126:127], v[14:15]
	v_mul_f64_e32 v[14:15], v[128:129], v[14:15]
	v_fmac_f64_e32 v[156:157], v[6:7], v[130:131]
	v_fma_f64 v[162:163], v[4:5], v[130:131], -v[132:133]
	ds_load_b128 v[4:7], v2 offset:1056
	ds_load_b128 v[130:133], v2 offset:1072
	v_add_f64_e32 v[164:165], v[148:149], v[146:147]
	v_add_f64_e32 v[154:155], v[154:155], v[158:159]
	scratch_load_b128 v[146:149], off, off offset:544
	v_fmac_f64_e32 v[160:161], v[128:129], v[12:13]
	v_fma_f64 v[126:127], v[126:127], v[12:13], -v[14:15]
	scratch_load_b128 v[12:15], off, off offset:560
	s_wait_loadcnt_dscnt 0xb01
	v_mul_f64_e32 v[158:159], v[4:5], v[116:117]
	v_mul_f64_e32 v[116:117], v[6:7], v[116:117]
	v_add_f64_e32 v[128:129], v[164:165], v[162:163]
	v_add_f64_e32 v[154:155], v[154:155], v[156:157]
	s_wait_loadcnt_dscnt 0xa00
	v_mul_f64_e32 v[156:157], v[130:131], v[22:23]
	v_mul_f64_e32 v[22:23], v[132:133], v[22:23]
	v_fmac_f64_e32 v[158:159], v[6:7], v[114:115]
	v_fma_f64 v[162:163], v[4:5], v[114:115], -v[116:117]
	ds_load_b128 v[4:7], v2 offset:1088
	ds_load_b128 v[114:117], v2 offset:1104
	v_add_f64_e32 v[164:165], v[128:129], v[126:127]
	v_add_f64_e32 v[154:155], v[154:155], v[160:161]
	scratch_load_b128 v[126:129], off, off offset:576
	s_wait_loadcnt_dscnt 0xa01
	v_mul_f64_e32 v[160:161], v[4:5], v[124:125]
	v_mul_f64_e32 v[124:125], v[6:7], v[124:125]
	v_fmac_f64_e32 v[156:157], v[132:133], v[20:21]
	v_fma_f64 v[130:131], v[130:131], v[20:21], -v[22:23]
	scratch_load_b128 v[20:23], off, off offset:592
	v_add_f64_e32 v[132:133], v[164:165], v[162:163]
	v_add_f64_e32 v[154:155], v[154:155], v[158:159]
	s_wait_loadcnt_dscnt 0xa00
	v_mul_f64_e32 v[158:159], v[114:115], v[112:113]
	v_mul_f64_e32 v[112:113], v[116:117], v[112:113]
	v_fmac_f64_e32 v[160:161], v[6:7], v[122:123]
	v_fma_f64 v[162:163], v[4:5], v[122:123], -v[124:125]
	ds_load_b128 v[4:7], v2 offset:1120
	ds_load_b128 v[122:125], v2 offset:1136
	v_add_f64_e32 v[164:165], v[132:133], v[130:131]
	v_add_f64_e32 v[154:155], v[154:155], v[156:157]
	scratch_load_b128 v[130:133], off, off offset:608
	s_wait_loadcnt_dscnt 0xa01
	v_mul_f64_e32 v[156:157], v[4:5], v[136:137]
	v_mul_f64_e32 v[136:137], v[6:7], v[136:137]
	v_fmac_f64_e32 v[158:159], v[116:117], v[110:111]
	v_fma_f64 v[114:115], v[114:115], v[110:111], -v[112:113]
	scratch_load_b128 v[110:113], off, off offset:624
	v_add_f64_e32 v[116:117], v[164:165], v[162:163]
	v_add_f64_e32 v[154:155], v[154:155], v[160:161]
	s_wait_loadcnt_dscnt 0xa00
	v_mul_f64_e32 v[160:161], v[122:123], v[120:121]
	v_mul_f64_e32 v[120:121], v[124:125], v[120:121]
	v_fmac_f64_e32 v[156:157], v[6:7], v[134:135]
	v_fma_f64 v[162:163], v[4:5], v[134:135], -v[136:137]
	v_add_f64_e32 v[164:165], v[116:117], v[114:115]
	v_add_f64_e32 v[154:155], v[154:155], v[158:159]
	ds_load_b128 v[4:7], v2 offset:1152
	ds_load_b128 v[114:117], v2 offset:1168
	scratch_load_b128 v[134:137], off, off offset:640
	v_fmac_f64_e32 v[160:161], v[124:125], v[118:119]
	v_fma_f64 v[122:123], v[122:123], v[118:119], -v[120:121]
	scratch_load_b128 v[118:121], off, off offset:656
	s_wait_loadcnt_dscnt 0xb01
	v_mul_f64_e32 v[158:159], v[4:5], v[152:153]
	v_mul_f64_e32 v[152:153], v[6:7], v[152:153]
	v_add_f64_e32 v[124:125], v[164:165], v[162:163]
	v_add_f64_e32 v[154:155], v[154:155], v[156:157]
	s_wait_loadcnt_dscnt 0xa00
	v_mul_f64_e32 v[156:157], v[114:115], v[10:11]
	v_mul_f64_e32 v[10:11], v[116:117], v[10:11]
	v_fmac_f64_e32 v[158:159], v[6:7], v[150:151]
	v_fma_f64 v[150:151], v[4:5], v[150:151], -v[152:153]
	v_add_f64_e32 v[152:153], v[124:125], v[122:123]
	v_add_f64_e32 v[154:155], v[154:155], v[160:161]
	ds_load_b128 v[4:7], v2 offset:1184
	ds_load_b128 v[122:125], v2 offset:1200
	v_fmac_f64_e32 v[156:157], v[116:117], v[8:9]
	v_fma_f64 v[8:9], v[114:115], v[8:9], -v[10:11]
	s_wait_loadcnt_dscnt 0x901
	v_mul_f64_e32 v[160:161], v[4:5], v[140:141]
	v_mul_f64_e32 v[140:141], v[6:7], v[140:141]
	s_wait_loadcnt_dscnt 0x800
	v_mul_f64_e32 v[116:117], v[122:123], v[18:19]
	v_mul_f64_e32 v[18:19], v[124:125], v[18:19]
	v_add_f64_e32 v[10:11], v[152:153], v[150:151]
	v_add_f64_e32 v[114:115], v[154:155], v[158:159]
	v_fmac_f64_e32 v[160:161], v[6:7], v[138:139]
	v_fma_f64 v[138:139], v[4:5], v[138:139], -v[140:141]
	v_fmac_f64_e32 v[116:117], v[124:125], v[16:17]
	v_fma_f64 v[16:17], v[122:123], v[16:17], -v[18:19]
	v_add_f64_e32 v[140:141], v[10:11], v[8:9]
	v_add_f64_e32 v[114:115], v[114:115], v[156:157]
	ds_load_b128 v[4:7], v2 offset:1216
	ds_load_b128 v[8:11], v2 offset:1232
	s_wait_loadcnt_dscnt 0x701
	v_mul_f64_e32 v[150:151], v[4:5], v[148:149]
	v_mul_f64_e32 v[148:149], v[6:7], v[148:149]
	s_wait_loadcnt_dscnt 0x600
	v_mul_f64_e32 v[122:123], v[8:9], v[14:15]
	v_mul_f64_e32 v[124:125], v[10:11], v[14:15]
	v_add_f64_e32 v[18:19], v[140:141], v[138:139]
	v_add_f64_e32 v[114:115], v[114:115], v[160:161]
	v_fmac_f64_e32 v[150:151], v[6:7], v[146:147]
	v_fma_f64 v[138:139], v[4:5], v[146:147], -v[148:149]
	v_fmac_f64_e32 v[122:123], v[10:11], v[12:13]
	v_fma_f64 v[8:9], v[8:9], v[12:13], -v[124:125]
	v_add_f64_e32 v[18:19], v[18:19], v[16:17]
	v_add_f64_e32 v[114:115], v[114:115], v[116:117]
	ds_load_b128 v[4:7], v2 offset:1248
	ds_load_b128 v[14:17], v2 offset:1264
	s_wait_loadcnt_dscnt 0x501
	v_mul_f64_e32 v[116:117], v[4:5], v[128:129]
	v_mul_f64_e32 v[128:129], v[6:7], v[128:129]
	v_add_f64_e32 v[10:11], v[18:19], v[138:139]
	v_add_f64_e32 v[12:13], v[114:115], v[150:151]
	s_wait_loadcnt_dscnt 0x400
	v_mul_f64_e32 v[18:19], v[14:15], v[22:23]
	v_mul_f64_e32 v[22:23], v[16:17], v[22:23]
	v_fmac_f64_e32 v[116:117], v[6:7], v[126:127]
	v_fma_f64 v[114:115], v[4:5], v[126:127], -v[128:129]
	v_add_f64_e32 v[124:125], v[10:11], v[8:9]
	v_add_f64_e32 v[12:13], v[12:13], v[122:123]
	ds_load_b128 v[4:7], v2 offset:1280
	ds_load_b128 v[8:11], v2 offset:1296
	v_fmac_f64_e32 v[18:19], v[16:17], v[20:21]
	v_fma_f64 v[14:15], v[14:15], v[20:21], -v[22:23]
	s_wait_loadcnt_dscnt 0x301
	v_mul_f64_e32 v[122:123], v[4:5], v[132:133]
	v_mul_f64_e32 v[126:127], v[6:7], v[132:133]
	s_wait_loadcnt_dscnt 0x200
	v_mul_f64_e32 v[20:21], v[8:9], v[112:113]
	v_mul_f64_e32 v[22:23], v[10:11], v[112:113]
	v_add_f64_e32 v[16:17], v[124:125], v[114:115]
	v_add_f64_e32 v[12:13], v[12:13], v[116:117]
	v_fmac_f64_e32 v[122:123], v[6:7], v[130:131]
	v_fma_f64 v[112:113], v[4:5], v[130:131], -v[126:127]
	v_fmac_f64_e32 v[20:21], v[10:11], v[110:111]
	v_fma_f64 v[8:9], v[8:9], v[110:111], -v[22:23]
	v_add_f64_e32 v[16:17], v[16:17], v[14:15]
	v_add_f64_e32 v[18:19], v[12:13], v[18:19]
	ds_load_b128 v[4:7], v2 offset:1312
	ds_load_b128 v[12:15], v2 offset:1328
	s_wait_loadcnt_dscnt 0x101
	v_mul_f64_e32 v[2:3], v[4:5], v[136:137]
	v_mul_f64_e32 v[114:115], v[6:7], v[136:137]
	s_wait_loadcnt_dscnt 0x0
	v_mul_f64_e32 v[22:23], v[14:15], v[120:121]
	v_add_f64_e32 v[10:11], v[16:17], v[112:113]
	v_add_f64_e32 v[16:17], v[18:19], v[122:123]
	v_mul_f64_e32 v[18:19], v[12:13], v[120:121]
	v_fmac_f64_e32 v[2:3], v[6:7], v[134:135]
	v_fma_f64 v[4:5], v[4:5], v[134:135], -v[114:115]
	v_add_f64_e32 v[6:7], v[10:11], v[8:9]
	v_add_f64_e32 v[8:9], v[16:17], v[20:21]
	v_fmac_f64_e32 v[18:19], v[14:15], v[118:119]
	v_fma_f64 v[10:11], v[12:13], v[118:119], -v[22:23]
	s_delay_alu instid0(VALU_DEP_4) | instskip(NEXT) | instid1(VALU_DEP_4)
	v_add_f64_e32 v[4:5], v[6:7], v[4:5]
	v_add_f64_e32 v[2:3], v[8:9], v[2:3]
	s_delay_alu instid0(VALU_DEP_2) | instskip(NEXT) | instid1(VALU_DEP_2)
	v_add_f64_e32 v[4:5], v[4:5], v[10:11]
	v_add_f64_e32 v[6:7], v[2:3], v[18:19]
	s_delay_alu instid0(VALU_DEP_2) | instskip(NEXT) | instid1(VALU_DEP_2)
	v_add_f64_e64 v[2:3], v[142:143], -v[4:5]
	v_add_f64_e64 v[4:5], v[144:145], -v[6:7]
	scratch_store_b128 off, v[2:5], off offset:80
	s_wait_xcnt 0x0
	v_cmpx_lt_u32_e32 4, v1
	s_cbranch_execz .LBB105_257
; %bb.256:
	scratch_load_b128 v[2:5], off, s12
	v_mov_b32_e32 v6, 0
	s_delay_alu instid0(VALU_DEP_1)
	v_dual_mov_b32 v7, v6 :: v_dual_mov_b32 v8, v6
	v_mov_b32_e32 v9, v6
	scratch_store_b128 off, v[6:9], off offset:64
	s_wait_loadcnt 0x0
	ds_store_b128 v108, v[2:5]
.LBB105_257:
	s_wait_xcnt 0x0
	s_or_b32 exec_lo, exec_lo, s2
	s_wait_storecnt_dscnt 0x0
	s_barrier_signal -1
	s_barrier_wait -1
	s_clause 0x9
	scratch_load_b128 v[4:7], off, off offset:80
	scratch_load_b128 v[8:11], off, off offset:96
	;; [unrolled: 1-line block ×10, first 2 shown]
	v_mov_b32_e32 v2, 0
	s_mov_b32 s2, exec_lo
	ds_load_b128 v[130:133], v2 offset:752
	s_clause 0x2
	scratch_load_b128 v[134:137], off, off offset:240
	scratch_load_b128 v[138:141], off, off offset:64
	;; [unrolled: 1-line block ×3, first 2 shown]
	s_wait_loadcnt_dscnt 0xc00
	v_mul_f64_e32 v[150:151], v[132:133], v[6:7]
	v_mul_f64_e32 v[154:155], v[130:131], v[6:7]
	ds_load_b128 v[142:145], v2 offset:768
	v_fma_f64 v[158:159], v[130:131], v[4:5], -v[150:151]
	v_fmac_f64_e32 v[154:155], v[132:133], v[4:5]
	ds_load_b128 v[4:7], v2 offset:784
	s_wait_loadcnt_dscnt 0xb01
	v_mul_f64_e32 v[156:157], v[142:143], v[10:11]
	v_mul_f64_e32 v[10:11], v[144:145], v[10:11]
	scratch_load_b128 v[130:133], off, off offset:272
	ds_load_b128 v[150:153], v2 offset:800
	s_wait_loadcnt_dscnt 0xb01
	v_mul_f64_e32 v[160:161], v[4:5], v[14:15]
	v_mul_f64_e32 v[14:15], v[6:7], v[14:15]
	v_add_f64_e32 v[154:155], 0, v[154:155]
	v_fmac_f64_e32 v[156:157], v[144:145], v[8:9]
	v_fma_f64 v[142:143], v[142:143], v[8:9], -v[10:11]
	v_add_f64_e32 v[144:145], 0, v[158:159]
	scratch_load_b128 v[8:11], off, off offset:288
	v_fmac_f64_e32 v[160:161], v[6:7], v[12:13]
	v_fma_f64 v[162:163], v[4:5], v[12:13], -v[14:15]
	ds_load_b128 v[4:7], v2 offset:816
	s_wait_loadcnt_dscnt 0xb01
	v_mul_f64_e32 v[158:159], v[150:151], v[18:19]
	v_mul_f64_e32 v[18:19], v[152:153], v[18:19]
	scratch_load_b128 v[12:15], off, off offset:304
	v_add_f64_e32 v[154:155], v[154:155], v[156:157]
	v_add_f64_e32 v[164:165], v[144:145], v[142:143]
	ds_load_b128 v[142:145], v2 offset:832
	s_wait_loadcnt_dscnt 0xb01
	v_mul_f64_e32 v[156:157], v[4:5], v[22:23]
	v_mul_f64_e32 v[22:23], v[6:7], v[22:23]
	v_fmac_f64_e32 v[158:159], v[152:153], v[16:17]
	v_fma_f64 v[150:151], v[150:151], v[16:17], -v[18:19]
	scratch_load_b128 v[16:19], off, off offset:320
	v_add_f64_e32 v[154:155], v[154:155], v[160:161]
	v_add_f64_e32 v[152:153], v[164:165], v[162:163]
	v_fmac_f64_e32 v[156:157], v[6:7], v[20:21]
	v_fma_f64 v[162:163], v[4:5], v[20:21], -v[22:23]
	ds_load_b128 v[4:7], v2 offset:848
	s_wait_loadcnt_dscnt 0xb01
	v_mul_f64_e32 v[160:161], v[142:143], v[112:113]
	v_mul_f64_e32 v[112:113], v[144:145], v[112:113]
	scratch_load_b128 v[20:23], off, off offset:336
	v_add_f64_e32 v[154:155], v[154:155], v[158:159]
	s_wait_loadcnt_dscnt 0xb00
	v_mul_f64_e32 v[158:159], v[4:5], v[116:117]
	v_add_f64_e32 v[164:165], v[152:153], v[150:151]
	v_mul_f64_e32 v[116:117], v[6:7], v[116:117]
	ds_load_b128 v[150:153], v2 offset:864
	v_fmac_f64_e32 v[160:161], v[144:145], v[110:111]
	v_fma_f64 v[142:143], v[142:143], v[110:111], -v[112:113]
	scratch_load_b128 v[110:113], off, off offset:352
	v_add_f64_e32 v[154:155], v[154:155], v[156:157]
	v_fmac_f64_e32 v[158:159], v[6:7], v[114:115]
	v_add_f64_e32 v[144:145], v[164:165], v[162:163]
	v_fma_f64 v[162:163], v[4:5], v[114:115], -v[116:117]
	ds_load_b128 v[4:7], v2 offset:880
	s_wait_loadcnt_dscnt 0xb01
	v_mul_f64_e32 v[156:157], v[150:151], v[120:121]
	v_mul_f64_e32 v[120:121], v[152:153], v[120:121]
	scratch_load_b128 v[114:117], off, off offset:368
	v_add_f64_e32 v[154:155], v[154:155], v[160:161]
	s_wait_loadcnt_dscnt 0xb00
	v_mul_f64_e32 v[160:161], v[4:5], v[124:125]
	v_add_f64_e32 v[164:165], v[144:145], v[142:143]
	v_mul_f64_e32 v[124:125], v[6:7], v[124:125]
	ds_load_b128 v[142:145], v2 offset:896
	v_fmac_f64_e32 v[156:157], v[152:153], v[118:119]
	v_fma_f64 v[150:151], v[150:151], v[118:119], -v[120:121]
	scratch_load_b128 v[118:121], off, off offset:384
	v_add_f64_e32 v[154:155], v[154:155], v[158:159]
	v_fmac_f64_e32 v[160:161], v[6:7], v[122:123]
	v_add_f64_e32 v[152:153], v[164:165], v[162:163]
	;; [unrolled: 18-line block ×3, first 2 shown]
	v_fma_f64 v[162:163], v[4:5], v[134:135], -v[136:137]
	ds_load_b128 v[4:7], v2 offset:944
	s_wait_loadcnt_dscnt 0xa01
	v_mul_f64_e32 v[160:161], v[150:151], v[148:149]
	v_mul_f64_e32 v[148:149], v[152:153], v[148:149]
	scratch_load_b128 v[134:137], off, off offset:432
	v_add_f64_e32 v[154:155], v[154:155], v[158:159]
	v_add_f64_e32 v[164:165], v[144:145], v[142:143]
	s_wait_loadcnt_dscnt 0xa00
	v_mul_f64_e32 v[158:159], v[4:5], v[132:133]
	v_mul_f64_e32 v[132:133], v[6:7], v[132:133]
	v_fmac_f64_e32 v[160:161], v[152:153], v[146:147]
	v_fma_f64 v[150:151], v[150:151], v[146:147], -v[148:149]
	ds_load_b128 v[142:145], v2 offset:960
	scratch_load_b128 v[146:149], off, off offset:448
	v_add_f64_e32 v[154:155], v[154:155], v[156:157]
	v_add_f64_e32 v[152:153], v[164:165], v[162:163]
	v_fmac_f64_e32 v[158:159], v[6:7], v[130:131]
	v_fma_f64 v[162:163], v[4:5], v[130:131], -v[132:133]
	ds_load_b128 v[4:7], v2 offset:976
	s_wait_loadcnt_dscnt 0xa01
	v_mul_f64_e32 v[156:157], v[142:143], v[10:11]
	v_mul_f64_e32 v[10:11], v[144:145], v[10:11]
	scratch_load_b128 v[130:133], off, off offset:464
	v_add_f64_e32 v[154:155], v[154:155], v[160:161]
	s_wait_loadcnt_dscnt 0xa00
	v_mul_f64_e32 v[160:161], v[4:5], v[14:15]
	v_add_f64_e32 v[164:165], v[152:153], v[150:151]
	v_mul_f64_e32 v[14:15], v[6:7], v[14:15]
	ds_load_b128 v[150:153], v2 offset:992
	v_fmac_f64_e32 v[156:157], v[144:145], v[8:9]
	v_fma_f64 v[142:143], v[142:143], v[8:9], -v[10:11]
	scratch_load_b128 v[8:11], off, off offset:480
	v_add_f64_e32 v[154:155], v[154:155], v[158:159]
	v_fmac_f64_e32 v[160:161], v[6:7], v[12:13]
	v_add_f64_e32 v[144:145], v[164:165], v[162:163]
	v_fma_f64 v[162:163], v[4:5], v[12:13], -v[14:15]
	ds_load_b128 v[4:7], v2 offset:1008
	s_wait_loadcnt_dscnt 0xa01
	v_mul_f64_e32 v[158:159], v[150:151], v[18:19]
	v_mul_f64_e32 v[18:19], v[152:153], v[18:19]
	scratch_load_b128 v[12:15], off, off offset:496
	v_add_f64_e32 v[154:155], v[154:155], v[156:157]
	s_wait_loadcnt_dscnt 0xa00
	v_mul_f64_e32 v[156:157], v[4:5], v[22:23]
	v_add_f64_e32 v[164:165], v[144:145], v[142:143]
	v_mul_f64_e32 v[22:23], v[6:7], v[22:23]
	ds_load_b128 v[142:145], v2 offset:1024
	v_fmac_f64_e32 v[158:159], v[152:153], v[16:17]
	v_fma_f64 v[150:151], v[150:151], v[16:17], -v[18:19]
	scratch_load_b128 v[16:19], off, off offset:512
	v_add_f64_e32 v[154:155], v[154:155], v[160:161]
	v_fmac_f64_e32 v[156:157], v[6:7], v[20:21]
	v_add_f64_e32 v[152:153], v[164:165], v[162:163]
	;; [unrolled: 18-line block ×6, first 2 shown]
	v_fma_f64 v[162:163], v[4:5], v[130:131], -v[132:133]
	ds_load_b128 v[4:7], v2 offset:1168
	s_wait_loadcnt_dscnt 0xa01
	v_mul_f64_e32 v[156:157], v[142:143], v[10:11]
	v_mul_f64_e32 v[10:11], v[144:145], v[10:11]
	scratch_load_b128 v[130:133], off, off offset:656
	v_add_f64_e32 v[154:155], v[154:155], v[160:161]
	s_wait_loadcnt_dscnt 0xa00
	v_mul_f64_e32 v[160:161], v[4:5], v[14:15]
	v_add_f64_e32 v[164:165], v[152:153], v[150:151]
	v_mul_f64_e32 v[14:15], v[6:7], v[14:15]
	ds_load_b128 v[150:153], v2 offset:1184
	v_fmac_f64_e32 v[156:157], v[144:145], v[8:9]
	v_fma_f64 v[8:9], v[142:143], v[8:9], -v[10:11]
	s_wait_loadcnt_dscnt 0x900
	v_mul_f64_e32 v[144:145], v[150:151], v[18:19]
	v_mul_f64_e32 v[18:19], v[152:153], v[18:19]
	v_add_f64_e32 v[142:143], v[154:155], v[158:159]
	v_fmac_f64_e32 v[160:161], v[6:7], v[12:13]
	v_add_f64_e32 v[10:11], v[164:165], v[162:163]
	v_fma_f64 v[12:13], v[4:5], v[12:13], -v[14:15]
	v_fmac_f64_e32 v[144:145], v[152:153], v[16:17]
	v_fma_f64 v[16:17], v[150:151], v[16:17], -v[18:19]
	v_add_f64_e32 v[142:143], v[142:143], v[156:157]
	v_add_f64_e32 v[14:15], v[10:11], v[8:9]
	ds_load_b128 v[4:7], v2 offset:1200
	ds_load_b128 v[8:11], v2 offset:1216
	s_wait_loadcnt_dscnt 0x801
	v_mul_f64_e32 v[154:155], v[4:5], v[22:23]
	v_mul_f64_e32 v[22:23], v[6:7], v[22:23]
	s_wait_loadcnt_dscnt 0x700
	v_mul_f64_e32 v[18:19], v[8:9], v[112:113]
	v_mul_f64_e32 v[112:113], v[10:11], v[112:113]
	v_add_f64_e32 v[12:13], v[14:15], v[12:13]
	v_add_f64_e32 v[14:15], v[142:143], v[160:161]
	v_fmac_f64_e32 v[154:155], v[6:7], v[20:21]
	v_fma_f64 v[20:21], v[4:5], v[20:21], -v[22:23]
	v_fmac_f64_e32 v[18:19], v[10:11], v[110:111]
	v_fma_f64 v[8:9], v[8:9], v[110:111], -v[112:113]
	v_add_f64_e32 v[16:17], v[12:13], v[16:17]
	v_add_f64_e32 v[22:23], v[14:15], v[144:145]
	ds_load_b128 v[4:7], v2 offset:1232
	ds_load_b128 v[12:15], v2 offset:1248
	s_wait_loadcnt_dscnt 0x601
	v_mul_f64_e32 v[142:143], v[4:5], v[116:117]
	v_mul_f64_e32 v[116:117], v[6:7], v[116:117]
	v_add_f64_e32 v[10:11], v[16:17], v[20:21]
	v_add_f64_e32 v[16:17], v[22:23], v[154:155]
	s_wait_loadcnt_dscnt 0x500
	v_mul_f64_e32 v[20:21], v[12:13], v[120:121]
	v_mul_f64_e32 v[22:23], v[14:15], v[120:121]
	v_fmac_f64_e32 v[142:143], v[6:7], v[114:115]
	v_fma_f64 v[110:111], v[4:5], v[114:115], -v[116:117]
	v_add_f64_e32 v[112:113], v[10:11], v[8:9]
	v_add_f64_e32 v[16:17], v[16:17], v[18:19]
	ds_load_b128 v[4:7], v2 offset:1264
	ds_load_b128 v[8:11], v2 offset:1280
	v_fmac_f64_e32 v[20:21], v[14:15], v[118:119]
	v_fma_f64 v[12:13], v[12:13], v[118:119], -v[22:23]
	s_wait_loadcnt_dscnt 0x401
	v_mul_f64_e32 v[18:19], v[4:5], v[124:125]
	v_mul_f64_e32 v[114:115], v[6:7], v[124:125]
	s_wait_loadcnt_dscnt 0x300
	v_mul_f64_e32 v[22:23], v[8:9], v[128:129]
	v_add_f64_e32 v[14:15], v[112:113], v[110:111]
	v_add_f64_e32 v[16:17], v[16:17], v[142:143]
	v_mul_f64_e32 v[110:111], v[10:11], v[128:129]
	v_fmac_f64_e32 v[18:19], v[6:7], v[122:123]
	v_fma_f64 v[112:113], v[4:5], v[122:123], -v[114:115]
	v_fmac_f64_e32 v[22:23], v[10:11], v[126:127]
	v_add_f64_e32 v[114:115], v[14:15], v[12:13]
	v_add_f64_e32 v[16:17], v[16:17], v[20:21]
	ds_load_b128 v[4:7], v2 offset:1296
	ds_load_b128 v[12:15], v2 offset:1312
	v_fma_f64 v[8:9], v[8:9], v[126:127], -v[110:111]
	s_wait_loadcnt_dscnt 0x201
	v_mul_f64_e32 v[20:21], v[4:5], v[136:137]
	v_mul_f64_e32 v[116:117], v[6:7], v[136:137]
	s_wait_loadcnt_dscnt 0x100
	v_mul_f64_e32 v[110:111], v[14:15], v[148:149]
	v_add_f64_e32 v[10:11], v[114:115], v[112:113]
	v_add_f64_e32 v[16:17], v[16:17], v[18:19]
	v_mul_f64_e32 v[18:19], v[12:13], v[148:149]
	v_fmac_f64_e32 v[20:21], v[6:7], v[134:135]
	v_fma_f64 v[112:113], v[4:5], v[134:135], -v[116:117]
	ds_load_b128 v[4:7], v2 offset:1328
	v_fma_f64 v[12:13], v[12:13], v[146:147], -v[110:111]
	v_add_f64_e32 v[8:9], v[10:11], v[8:9]
	v_add_f64_e32 v[10:11], v[16:17], v[22:23]
	v_fmac_f64_e32 v[18:19], v[14:15], v[146:147]
	s_wait_loadcnt_dscnt 0x0
	v_mul_f64_e32 v[16:17], v[4:5], v[132:133]
	v_mul_f64_e32 v[22:23], v[6:7], v[132:133]
	v_add_f64_e32 v[8:9], v[8:9], v[112:113]
	v_add_f64_e32 v[10:11], v[10:11], v[20:21]
	s_delay_alu instid0(VALU_DEP_4) | instskip(NEXT) | instid1(VALU_DEP_4)
	v_fmac_f64_e32 v[16:17], v[6:7], v[130:131]
	v_fma_f64 v[4:5], v[4:5], v[130:131], -v[22:23]
	s_delay_alu instid0(VALU_DEP_4) | instskip(NEXT) | instid1(VALU_DEP_4)
	v_add_f64_e32 v[6:7], v[8:9], v[12:13]
	v_add_f64_e32 v[8:9], v[10:11], v[18:19]
	s_delay_alu instid0(VALU_DEP_2) | instskip(NEXT) | instid1(VALU_DEP_2)
	v_add_f64_e32 v[4:5], v[6:7], v[4:5]
	v_add_f64_e32 v[6:7], v[8:9], v[16:17]
	s_delay_alu instid0(VALU_DEP_2) | instskip(NEXT) | instid1(VALU_DEP_2)
	v_add_f64_e64 v[4:5], v[138:139], -v[4:5]
	v_add_f64_e64 v[6:7], v[140:141], -v[6:7]
	scratch_store_b128 off, v[4:7], off offset:64
	s_wait_xcnt 0x0
	v_cmpx_lt_u32_e32 3, v1
	s_cbranch_execz .LBB105_259
; %bb.258:
	scratch_load_b128 v[6:9], off, s14
	v_dual_mov_b32 v3, v2 :: v_dual_mov_b32 v4, v2
	v_mov_b32_e32 v5, v2
	scratch_store_b128 off, v[2:5], off offset:48
	s_wait_loadcnt 0x0
	ds_store_b128 v108, v[6:9]
.LBB105_259:
	s_wait_xcnt 0x0
	s_or_b32 exec_lo, exec_lo, s2
	s_wait_storecnt_dscnt 0x0
	s_barrier_signal -1
	s_barrier_wait -1
	s_clause 0x9
	scratch_load_b128 v[4:7], off, off offset:64
	scratch_load_b128 v[8:11], off, off offset:80
	;; [unrolled: 1-line block ×10, first 2 shown]
	ds_load_b128 v[130:133], v2 offset:736
	ds_load_b128 v[138:141], v2 offset:752
	s_clause 0x2
	scratch_load_b128 v[134:137], off, off offset:224
	scratch_load_b128 v[142:145], off, off offset:48
	;; [unrolled: 1-line block ×3, first 2 shown]
	s_mov_b32 s2, exec_lo
	s_wait_loadcnt_dscnt 0xc01
	v_mul_f64_e32 v[150:151], v[132:133], v[6:7]
	v_mul_f64_e32 v[154:155], v[130:131], v[6:7]
	s_wait_loadcnt_dscnt 0xb00
	v_mul_f64_e32 v[156:157], v[138:139], v[10:11]
	v_mul_f64_e32 v[10:11], v[140:141], v[10:11]
	s_delay_alu instid0(VALU_DEP_4) | instskip(NEXT) | instid1(VALU_DEP_4)
	v_fma_f64 v[158:159], v[130:131], v[4:5], -v[150:151]
	v_fmac_f64_e32 v[154:155], v[132:133], v[4:5]
	ds_load_b128 v[4:7], v2 offset:768
	ds_load_b128 v[130:133], v2 offset:784
	scratch_load_b128 v[150:153], off, off offset:256
	v_fmac_f64_e32 v[156:157], v[140:141], v[8:9]
	v_fma_f64 v[138:139], v[138:139], v[8:9], -v[10:11]
	scratch_load_b128 v[8:11], off, off offset:272
	s_wait_loadcnt_dscnt 0xc01
	v_mul_f64_e32 v[160:161], v[4:5], v[14:15]
	v_mul_f64_e32 v[14:15], v[6:7], v[14:15]
	v_add_f64_e32 v[140:141], 0, v[158:159]
	v_add_f64_e32 v[154:155], 0, v[154:155]
	s_wait_loadcnt_dscnt 0xb00
	v_mul_f64_e32 v[158:159], v[130:131], v[18:19]
	v_mul_f64_e32 v[18:19], v[132:133], v[18:19]
	v_fmac_f64_e32 v[160:161], v[6:7], v[12:13]
	v_fma_f64 v[162:163], v[4:5], v[12:13], -v[14:15]
	ds_load_b128 v[4:7], v2 offset:800
	ds_load_b128 v[12:15], v2 offset:816
	v_add_f64_e32 v[164:165], v[140:141], v[138:139]
	v_add_f64_e32 v[154:155], v[154:155], v[156:157]
	scratch_load_b128 v[138:141], off, off offset:288
	v_fmac_f64_e32 v[158:159], v[132:133], v[16:17]
	v_fma_f64 v[130:131], v[130:131], v[16:17], -v[18:19]
	scratch_load_b128 v[16:19], off, off offset:304
	s_wait_loadcnt_dscnt 0xc01
	v_mul_f64_e32 v[156:157], v[4:5], v[22:23]
	v_mul_f64_e32 v[22:23], v[6:7], v[22:23]
	v_add_f64_e32 v[132:133], v[164:165], v[162:163]
	v_add_f64_e32 v[154:155], v[154:155], v[160:161]
	s_wait_loadcnt_dscnt 0xb00
	v_mul_f64_e32 v[160:161], v[12:13], v[112:113]
	v_mul_f64_e32 v[112:113], v[14:15], v[112:113]
	v_fmac_f64_e32 v[156:157], v[6:7], v[20:21]
	v_fma_f64 v[162:163], v[4:5], v[20:21], -v[22:23]
	ds_load_b128 v[4:7], v2 offset:832
	ds_load_b128 v[20:23], v2 offset:848
	v_add_f64_e32 v[164:165], v[132:133], v[130:131]
	v_add_f64_e32 v[154:155], v[154:155], v[158:159]
	scratch_load_b128 v[130:133], off, off offset:320
	s_wait_loadcnt_dscnt 0xb01
	v_mul_f64_e32 v[158:159], v[4:5], v[116:117]
	v_mul_f64_e32 v[116:117], v[6:7], v[116:117]
	v_fmac_f64_e32 v[160:161], v[14:15], v[110:111]
	v_fma_f64 v[110:111], v[12:13], v[110:111], -v[112:113]
	scratch_load_b128 v[12:15], off, off offset:336
	v_add_f64_e32 v[112:113], v[164:165], v[162:163]
	v_add_f64_e32 v[154:155], v[154:155], v[156:157]
	s_wait_loadcnt_dscnt 0xb00
	v_mul_f64_e32 v[156:157], v[20:21], v[120:121]
	v_mul_f64_e32 v[120:121], v[22:23], v[120:121]
	v_fmac_f64_e32 v[158:159], v[6:7], v[114:115]
	v_fma_f64 v[162:163], v[4:5], v[114:115], -v[116:117]
	v_add_f64_e32 v[164:165], v[112:113], v[110:111]
	v_add_f64_e32 v[154:155], v[154:155], v[160:161]
	ds_load_b128 v[4:7], v2 offset:864
	ds_load_b128 v[110:113], v2 offset:880
	scratch_load_b128 v[114:117], off, off offset:352
	v_fmac_f64_e32 v[156:157], v[22:23], v[118:119]
	v_fma_f64 v[118:119], v[20:21], v[118:119], -v[120:121]
	scratch_load_b128 v[20:23], off, off offset:368
	s_wait_loadcnt_dscnt 0xc01
	v_mul_f64_e32 v[160:161], v[4:5], v[124:125]
	v_mul_f64_e32 v[124:125], v[6:7], v[124:125]
	v_add_f64_e32 v[120:121], v[164:165], v[162:163]
	v_add_f64_e32 v[154:155], v[154:155], v[158:159]
	s_wait_loadcnt_dscnt 0xb00
	v_mul_f64_e32 v[158:159], v[110:111], v[128:129]
	v_mul_f64_e32 v[128:129], v[112:113], v[128:129]
	v_fmac_f64_e32 v[160:161], v[6:7], v[122:123]
	v_fma_f64 v[162:163], v[4:5], v[122:123], -v[124:125]
	v_add_f64_e32 v[164:165], v[120:121], v[118:119]
	v_add_f64_e32 v[154:155], v[154:155], v[156:157]
	ds_load_b128 v[4:7], v2 offset:896
	ds_load_b128 v[118:121], v2 offset:912
	scratch_load_b128 v[122:125], off, off offset:384
	v_fmac_f64_e32 v[158:159], v[112:113], v[126:127]
	v_fma_f64 v[126:127], v[110:111], v[126:127], -v[128:129]
	scratch_load_b128 v[110:113], off, off offset:400
	s_wait_loadcnt_dscnt 0xc01
	v_mul_f64_e32 v[156:157], v[4:5], v[136:137]
	v_mul_f64_e32 v[136:137], v[6:7], v[136:137]
	;; [unrolled: 18-line block ×5, first 2 shown]
	v_add_f64_e32 v[148:149], v[164:165], v[162:163]
	v_add_f64_e32 v[154:155], v[154:155], v[160:161]
	s_wait_loadcnt_dscnt 0xa00
	v_mul_f64_e32 v[160:161], v[126:127], v[14:15]
	v_mul_f64_e32 v[14:15], v[128:129], v[14:15]
	v_fmac_f64_e32 v[156:157], v[6:7], v[130:131]
	v_fma_f64 v[162:163], v[4:5], v[130:131], -v[132:133]
	ds_load_b128 v[4:7], v2 offset:1024
	ds_load_b128 v[130:133], v2 offset:1040
	v_add_f64_e32 v[164:165], v[148:149], v[146:147]
	v_add_f64_e32 v[154:155], v[154:155], v[158:159]
	scratch_load_b128 v[146:149], off, off offset:512
	v_fmac_f64_e32 v[160:161], v[128:129], v[12:13]
	v_fma_f64 v[126:127], v[126:127], v[12:13], -v[14:15]
	scratch_load_b128 v[12:15], off, off offset:528
	s_wait_loadcnt_dscnt 0xb01
	v_mul_f64_e32 v[158:159], v[4:5], v[116:117]
	v_mul_f64_e32 v[116:117], v[6:7], v[116:117]
	v_add_f64_e32 v[128:129], v[164:165], v[162:163]
	v_add_f64_e32 v[154:155], v[154:155], v[156:157]
	s_wait_loadcnt_dscnt 0xa00
	v_mul_f64_e32 v[156:157], v[130:131], v[22:23]
	v_mul_f64_e32 v[22:23], v[132:133], v[22:23]
	v_fmac_f64_e32 v[158:159], v[6:7], v[114:115]
	v_fma_f64 v[162:163], v[4:5], v[114:115], -v[116:117]
	ds_load_b128 v[4:7], v2 offset:1056
	ds_load_b128 v[114:117], v2 offset:1072
	v_add_f64_e32 v[164:165], v[128:129], v[126:127]
	v_add_f64_e32 v[154:155], v[154:155], v[160:161]
	scratch_load_b128 v[126:129], off, off offset:544
	s_wait_loadcnt_dscnt 0xa01
	v_mul_f64_e32 v[160:161], v[4:5], v[124:125]
	v_mul_f64_e32 v[124:125], v[6:7], v[124:125]
	v_fmac_f64_e32 v[156:157], v[132:133], v[20:21]
	v_fma_f64 v[130:131], v[130:131], v[20:21], -v[22:23]
	scratch_load_b128 v[20:23], off, off offset:560
	v_add_f64_e32 v[132:133], v[164:165], v[162:163]
	v_add_f64_e32 v[154:155], v[154:155], v[158:159]
	s_wait_loadcnt_dscnt 0xa00
	v_mul_f64_e32 v[158:159], v[114:115], v[112:113]
	v_mul_f64_e32 v[112:113], v[116:117], v[112:113]
	v_fmac_f64_e32 v[160:161], v[6:7], v[122:123]
	v_fma_f64 v[162:163], v[4:5], v[122:123], -v[124:125]
	ds_load_b128 v[4:7], v2 offset:1088
	ds_load_b128 v[122:125], v2 offset:1104
	v_add_f64_e32 v[164:165], v[132:133], v[130:131]
	v_add_f64_e32 v[154:155], v[154:155], v[156:157]
	scratch_load_b128 v[130:133], off, off offset:576
	s_wait_loadcnt_dscnt 0xa01
	v_mul_f64_e32 v[156:157], v[4:5], v[136:137]
	v_mul_f64_e32 v[136:137], v[6:7], v[136:137]
	v_fmac_f64_e32 v[158:159], v[116:117], v[110:111]
	v_fma_f64 v[114:115], v[114:115], v[110:111], -v[112:113]
	scratch_load_b128 v[110:113], off, off offset:592
	v_add_f64_e32 v[116:117], v[164:165], v[162:163]
	v_add_f64_e32 v[154:155], v[154:155], v[160:161]
	s_wait_loadcnt_dscnt 0xa00
	v_mul_f64_e32 v[160:161], v[122:123], v[120:121]
	v_mul_f64_e32 v[120:121], v[124:125], v[120:121]
	v_fmac_f64_e32 v[156:157], v[6:7], v[134:135]
	v_fma_f64 v[162:163], v[4:5], v[134:135], -v[136:137]
	v_add_f64_e32 v[164:165], v[116:117], v[114:115]
	v_add_f64_e32 v[154:155], v[154:155], v[158:159]
	ds_load_b128 v[4:7], v2 offset:1120
	ds_load_b128 v[114:117], v2 offset:1136
	scratch_load_b128 v[134:137], off, off offset:608
	v_fmac_f64_e32 v[160:161], v[124:125], v[118:119]
	v_fma_f64 v[122:123], v[122:123], v[118:119], -v[120:121]
	scratch_load_b128 v[118:121], off, off offset:624
	s_wait_loadcnt_dscnt 0xb01
	v_mul_f64_e32 v[158:159], v[4:5], v[152:153]
	v_mul_f64_e32 v[152:153], v[6:7], v[152:153]
	v_add_f64_e32 v[124:125], v[164:165], v[162:163]
	v_add_f64_e32 v[154:155], v[154:155], v[156:157]
	s_wait_loadcnt_dscnt 0xa00
	v_mul_f64_e32 v[156:157], v[114:115], v[10:11]
	v_mul_f64_e32 v[10:11], v[116:117], v[10:11]
	v_fmac_f64_e32 v[158:159], v[6:7], v[150:151]
	v_fma_f64 v[162:163], v[4:5], v[150:151], -v[152:153]
	v_add_f64_e32 v[164:165], v[124:125], v[122:123]
	v_add_f64_e32 v[154:155], v[154:155], v[160:161]
	ds_load_b128 v[4:7], v2 offset:1152
	ds_load_b128 v[122:125], v2 offset:1168
	scratch_load_b128 v[150:153], off, off offset:640
	v_fmac_f64_e32 v[156:157], v[116:117], v[8:9]
	v_fma_f64 v[114:115], v[114:115], v[8:9], -v[10:11]
	scratch_load_b128 v[8:11], off, off offset:656
	s_wait_loadcnt_dscnt 0xb01
	v_mul_f64_e32 v[160:161], v[4:5], v[140:141]
	v_mul_f64_e32 v[140:141], v[6:7], v[140:141]
	v_add_f64_e32 v[116:117], v[164:165], v[162:163]
	v_add_f64_e32 v[154:155], v[154:155], v[158:159]
	s_wait_loadcnt_dscnt 0xa00
	v_mul_f64_e32 v[158:159], v[122:123], v[18:19]
	v_mul_f64_e32 v[18:19], v[124:125], v[18:19]
	v_fmac_f64_e32 v[160:161], v[6:7], v[138:139]
	v_fma_f64 v[138:139], v[4:5], v[138:139], -v[140:141]
	v_add_f64_e32 v[140:141], v[116:117], v[114:115]
	v_add_f64_e32 v[154:155], v[154:155], v[156:157]
	ds_load_b128 v[4:7], v2 offset:1184
	ds_load_b128 v[114:117], v2 offset:1200
	v_fmac_f64_e32 v[158:159], v[124:125], v[16:17]
	v_fma_f64 v[16:17], v[122:123], v[16:17], -v[18:19]
	s_wait_loadcnt_dscnt 0x901
	v_mul_f64_e32 v[156:157], v[4:5], v[148:149]
	v_mul_f64_e32 v[148:149], v[6:7], v[148:149]
	s_wait_loadcnt_dscnt 0x800
	v_mul_f64_e32 v[124:125], v[114:115], v[14:15]
	v_add_f64_e32 v[18:19], v[140:141], v[138:139]
	v_add_f64_e32 v[122:123], v[154:155], v[160:161]
	v_mul_f64_e32 v[138:139], v[116:117], v[14:15]
	v_fmac_f64_e32 v[156:157], v[6:7], v[146:147]
	v_fma_f64 v[140:141], v[4:5], v[146:147], -v[148:149]
	v_fmac_f64_e32 v[124:125], v[116:117], v[12:13]
	v_add_f64_e32 v[18:19], v[18:19], v[16:17]
	v_add_f64_e32 v[122:123], v[122:123], v[158:159]
	ds_load_b128 v[4:7], v2 offset:1216
	ds_load_b128 v[14:17], v2 offset:1232
	v_fma_f64 v[12:13], v[114:115], v[12:13], -v[138:139]
	s_wait_loadcnt_dscnt 0x701
	v_mul_f64_e32 v[146:147], v[4:5], v[128:129]
	v_mul_f64_e32 v[128:129], v[6:7], v[128:129]
	v_add_f64_e32 v[18:19], v[18:19], v[140:141]
	v_add_f64_e32 v[114:115], v[122:123], v[156:157]
	s_wait_loadcnt_dscnt 0x600
	v_mul_f64_e32 v[122:123], v[14:15], v[22:23]
	v_mul_f64_e32 v[22:23], v[16:17], v[22:23]
	v_fmac_f64_e32 v[146:147], v[6:7], v[126:127]
	v_fma_f64 v[126:127], v[4:5], v[126:127], -v[128:129]
	v_add_f64_e32 v[12:13], v[18:19], v[12:13]
	v_add_f64_e32 v[18:19], v[114:115], v[124:125]
	ds_load_b128 v[4:7], v2 offset:1248
	ds_load_b128 v[114:117], v2 offset:1264
	v_fmac_f64_e32 v[122:123], v[16:17], v[20:21]
	v_fma_f64 v[14:15], v[14:15], v[20:21], -v[22:23]
	s_wait_loadcnt_dscnt 0x501
	v_mul_f64_e32 v[124:125], v[4:5], v[132:133]
	v_mul_f64_e32 v[128:129], v[6:7], v[132:133]
	s_wait_loadcnt_dscnt 0x400
	v_mul_f64_e32 v[20:21], v[116:117], v[112:113]
	v_add_f64_e32 v[12:13], v[12:13], v[126:127]
	v_add_f64_e32 v[16:17], v[18:19], v[146:147]
	v_mul_f64_e32 v[18:19], v[114:115], v[112:113]
	v_fmac_f64_e32 v[124:125], v[6:7], v[130:131]
	v_fma_f64 v[22:23], v[4:5], v[130:131], -v[128:129]
	v_fma_f64 v[20:21], v[114:115], v[110:111], -v[20:21]
	v_add_f64_e32 v[112:113], v[12:13], v[14:15]
	v_add_f64_e32 v[16:17], v[16:17], v[122:123]
	ds_load_b128 v[4:7], v2 offset:1280
	ds_load_b128 v[12:15], v2 offset:1296
	v_fmac_f64_e32 v[18:19], v[116:117], v[110:111]
	s_wait_loadcnt_dscnt 0x301
	v_mul_f64_e32 v[122:123], v[4:5], v[136:137]
	v_mul_f64_e32 v[126:127], v[6:7], v[136:137]
	s_wait_loadcnt_dscnt 0x200
	v_mul_f64_e32 v[110:111], v[12:13], v[120:121]
	v_add_f64_e32 v[22:23], v[112:113], v[22:23]
	v_add_f64_e32 v[16:17], v[16:17], v[124:125]
	v_mul_f64_e32 v[112:113], v[14:15], v[120:121]
	v_fmac_f64_e32 v[122:123], v[6:7], v[134:135]
	v_fma_f64 v[114:115], v[4:5], v[134:135], -v[126:127]
	v_fmac_f64_e32 v[110:111], v[14:15], v[118:119]
	v_add_f64_e32 v[20:21], v[22:23], v[20:21]
	v_add_f64_e32 v[22:23], v[16:17], v[18:19]
	ds_load_b128 v[4:7], v2 offset:1312
	ds_load_b128 v[16:19], v2 offset:1328
	v_fma_f64 v[12:13], v[12:13], v[118:119], -v[112:113]
	s_wait_loadcnt_dscnt 0x101
	v_mul_f64_e32 v[2:3], v[4:5], v[152:153]
	v_mul_f64_e32 v[116:117], v[6:7], v[152:153]
	v_add_f64_e32 v[14:15], v[20:21], v[114:115]
	v_add_f64_e32 v[20:21], v[22:23], v[122:123]
	s_wait_loadcnt_dscnt 0x0
	v_mul_f64_e32 v[22:23], v[16:17], v[10:11]
	v_mul_f64_e32 v[10:11], v[18:19], v[10:11]
	v_fmac_f64_e32 v[2:3], v[6:7], v[150:151]
	v_fma_f64 v[4:5], v[4:5], v[150:151], -v[116:117]
	v_add_f64_e32 v[6:7], v[14:15], v[12:13]
	v_add_f64_e32 v[12:13], v[20:21], v[110:111]
	v_fmac_f64_e32 v[22:23], v[18:19], v[8:9]
	v_fma_f64 v[8:9], v[16:17], v[8:9], -v[10:11]
	s_delay_alu instid0(VALU_DEP_4) | instskip(NEXT) | instid1(VALU_DEP_4)
	v_add_f64_e32 v[4:5], v[6:7], v[4:5]
	v_add_f64_e32 v[2:3], v[12:13], v[2:3]
	s_delay_alu instid0(VALU_DEP_2) | instskip(NEXT) | instid1(VALU_DEP_2)
	v_add_f64_e32 v[4:5], v[4:5], v[8:9]
	v_add_f64_e32 v[6:7], v[2:3], v[22:23]
	s_delay_alu instid0(VALU_DEP_2) | instskip(NEXT) | instid1(VALU_DEP_2)
	v_add_f64_e64 v[2:3], v[142:143], -v[4:5]
	v_add_f64_e64 v[4:5], v[144:145], -v[6:7]
	scratch_store_b128 off, v[2:5], off offset:48
	s_wait_xcnt 0x0
	v_cmpx_lt_u32_e32 2, v1
	s_cbranch_execz .LBB105_261
; %bb.260:
	scratch_load_b128 v[2:5], off, s16
	v_mov_b32_e32 v6, 0
	s_delay_alu instid0(VALU_DEP_1)
	v_dual_mov_b32 v7, v6 :: v_dual_mov_b32 v8, v6
	v_mov_b32_e32 v9, v6
	scratch_store_b128 off, v[6:9], off offset:32
	s_wait_loadcnt 0x0
	ds_store_b128 v108, v[2:5]
.LBB105_261:
	s_wait_xcnt 0x0
	s_or_b32 exec_lo, exec_lo, s2
	s_wait_storecnt_dscnt 0x0
	s_barrier_signal -1
	s_barrier_wait -1
	s_clause 0x9
	scratch_load_b128 v[4:7], off, off offset:48
	scratch_load_b128 v[8:11], off, off offset:64
	scratch_load_b128 v[12:15], off, off offset:80
	scratch_load_b128 v[16:19], off, off offset:96
	scratch_load_b128 v[20:23], off, off offset:112
	scratch_load_b128 v[110:113], off, off offset:128
	scratch_load_b128 v[114:117], off, off offset:144
	scratch_load_b128 v[118:121], off, off offset:160
	scratch_load_b128 v[122:125], off, off offset:176
	scratch_load_b128 v[126:129], off, off offset:192
	v_mov_b32_e32 v2, 0
	s_mov_b32 s2, exec_lo
	v_dual_ashrrev_i32 v29, 31, v28 :: v_dual_ashrrev_i32 v31, 31, v30
	v_ashrrev_i32_e32 v33, 31, v32
	ds_load_b128 v[130:133], v2 offset:720
	s_clause 0x2
	scratch_load_b128 v[134:137], off, off offset:208
	scratch_load_b128 v[138:141], off, off offset:32
	;; [unrolled: 1-line block ×3, first 2 shown]
	v_ashrrev_i32_e32 v37, 31, v36
	v_ashrrev_i32_e32 v41, 31, v40
	v_dual_ashrrev_i32 v45, 31, v44 :: v_dual_ashrrev_i32 v35, 31, v34
	v_ashrrev_i32_e32 v49, 31, v48
	v_dual_ashrrev_i32 v53, 31, v52 :: v_dual_ashrrev_i32 v39, 31, v38
	;; [unrolled: 2-line block ×3, first 2 shown]
	v_ashrrev_i32_e32 v65, 31, v64
	v_ashrrev_i32_e32 v69, 31, v68
	v_dual_ashrrev_i32 v73, 31, v72 :: v_dual_ashrrev_i32 v47, 31, v46
	v_dual_ashrrev_i32 v51, 31, v50 :: v_dual_ashrrev_i32 v77, 31, v76
	v_ashrrev_i32_e32 v55, 31, v54
	v_ashrrev_i32_e32 v59, 31, v58
	v_dual_ashrrev_i32 v63, 31, v62 :: v_dual_ashrrev_i32 v81, 31, v80
	v_dual_ashrrev_i32 v85, 31, v84 :: v_dual_ashrrev_i32 v67, 31, v66
	;; [unrolled: 1-line block ×4, first 2 shown]
	v_ashrrev_i32_e32 v79, 31, v78
	v_dual_ashrrev_i32 v83, 31, v82 :: v_dual_ashrrev_i32 v97, 31, v96
	v_dual_ashrrev_i32 v87, 31, v86 :: v_dual_ashrrev_i32 v101, 31, v100
	v_ashrrev_i32_e32 v91, 31, v90
	v_dual_ashrrev_i32 v95, 31, v94 :: v_dual_ashrrev_i32 v105, 31, v104
	v_ashrrev_i32_e32 v99, 31, v98
	v_ashrrev_i32_e32 v103, 31, v102
	v_ashrrev_i32_e32 v107, 31, v106
	s_wait_loadcnt_dscnt 0xc00
	v_mul_f64_e32 v[150:151], v[132:133], v[6:7]
	v_mul_f64_e32 v[154:155], v[130:131], v[6:7]
	ds_load_b128 v[142:145], v2 offset:736
	v_fma_f64 v[158:159], v[130:131], v[4:5], -v[150:151]
	v_fmac_f64_e32 v[154:155], v[132:133], v[4:5]
	ds_load_b128 v[4:7], v2 offset:752
	s_wait_loadcnt_dscnt 0xb01
	v_mul_f64_e32 v[156:157], v[142:143], v[10:11]
	v_mul_f64_e32 v[10:11], v[144:145], v[10:11]
	scratch_load_b128 v[130:133], off, off offset:240
	ds_load_b128 v[150:153], v2 offset:768
	s_wait_loadcnt_dscnt 0xb01
	v_mul_f64_e32 v[160:161], v[4:5], v[14:15]
	v_mul_f64_e32 v[14:15], v[6:7], v[14:15]
	v_add_f64_e32 v[154:155], 0, v[154:155]
	v_fmac_f64_e32 v[156:157], v[144:145], v[8:9]
	v_fma_f64 v[142:143], v[142:143], v[8:9], -v[10:11]
	v_add_f64_e32 v[144:145], 0, v[158:159]
	scratch_load_b128 v[8:11], off, off offset:256
	v_fmac_f64_e32 v[160:161], v[6:7], v[12:13]
	v_fma_f64 v[162:163], v[4:5], v[12:13], -v[14:15]
	ds_load_b128 v[4:7], v2 offset:784
	s_wait_loadcnt_dscnt 0xb01
	v_mul_f64_e32 v[158:159], v[150:151], v[18:19]
	v_mul_f64_e32 v[18:19], v[152:153], v[18:19]
	scratch_load_b128 v[12:15], off, off offset:272
	v_add_f64_e32 v[154:155], v[154:155], v[156:157]
	v_add_f64_e32 v[164:165], v[144:145], v[142:143]
	ds_load_b128 v[142:145], v2 offset:800
	s_wait_loadcnt_dscnt 0xb01
	v_mul_f64_e32 v[156:157], v[4:5], v[22:23]
	v_mul_f64_e32 v[22:23], v[6:7], v[22:23]
	v_fmac_f64_e32 v[158:159], v[152:153], v[16:17]
	v_fma_f64 v[150:151], v[150:151], v[16:17], -v[18:19]
	scratch_load_b128 v[16:19], off, off offset:288
	v_add_f64_e32 v[154:155], v[154:155], v[160:161]
	v_add_f64_e32 v[152:153], v[164:165], v[162:163]
	v_fmac_f64_e32 v[156:157], v[6:7], v[20:21]
	v_fma_f64 v[162:163], v[4:5], v[20:21], -v[22:23]
	ds_load_b128 v[4:7], v2 offset:816
	s_wait_loadcnt_dscnt 0xb01
	v_mul_f64_e32 v[160:161], v[142:143], v[112:113]
	v_mul_f64_e32 v[112:113], v[144:145], v[112:113]
	scratch_load_b128 v[20:23], off, off offset:304
	v_add_f64_e32 v[154:155], v[154:155], v[158:159]
	s_wait_loadcnt_dscnt 0xb00
	v_mul_f64_e32 v[158:159], v[4:5], v[116:117]
	v_add_f64_e32 v[164:165], v[152:153], v[150:151]
	v_mul_f64_e32 v[116:117], v[6:7], v[116:117]
	ds_load_b128 v[150:153], v2 offset:832
	v_fmac_f64_e32 v[160:161], v[144:145], v[110:111]
	v_fma_f64 v[142:143], v[142:143], v[110:111], -v[112:113]
	scratch_load_b128 v[110:113], off, off offset:320
	v_add_f64_e32 v[154:155], v[154:155], v[156:157]
	v_fmac_f64_e32 v[158:159], v[6:7], v[114:115]
	v_add_f64_e32 v[144:145], v[164:165], v[162:163]
	v_fma_f64 v[162:163], v[4:5], v[114:115], -v[116:117]
	ds_load_b128 v[4:7], v2 offset:848
	s_wait_loadcnt_dscnt 0xb01
	v_mul_f64_e32 v[156:157], v[150:151], v[120:121]
	v_mul_f64_e32 v[120:121], v[152:153], v[120:121]
	scratch_load_b128 v[114:117], off, off offset:336
	v_add_f64_e32 v[154:155], v[154:155], v[160:161]
	s_wait_loadcnt_dscnt 0xb00
	v_mul_f64_e32 v[160:161], v[4:5], v[124:125]
	v_add_f64_e32 v[164:165], v[144:145], v[142:143]
	v_mul_f64_e32 v[124:125], v[6:7], v[124:125]
	ds_load_b128 v[142:145], v2 offset:864
	v_fmac_f64_e32 v[156:157], v[152:153], v[118:119]
	v_fma_f64 v[150:151], v[150:151], v[118:119], -v[120:121]
	scratch_load_b128 v[118:121], off, off offset:352
	v_add_f64_e32 v[154:155], v[154:155], v[158:159]
	v_fmac_f64_e32 v[160:161], v[6:7], v[122:123]
	v_add_f64_e32 v[152:153], v[164:165], v[162:163]
	;; [unrolled: 18-line block ×3, first 2 shown]
	v_fma_f64 v[162:163], v[4:5], v[134:135], -v[136:137]
	ds_load_b128 v[4:7], v2 offset:912
	s_wait_loadcnt_dscnt 0xa01
	v_mul_f64_e32 v[160:161], v[150:151], v[148:149]
	v_mul_f64_e32 v[148:149], v[152:153], v[148:149]
	scratch_load_b128 v[134:137], off, off offset:400
	v_add_f64_e32 v[154:155], v[154:155], v[158:159]
	v_add_f64_e32 v[164:165], v[144:145], v[142:143]
	s_wait_loadcnt_dscnt 0xa00
	v_mul_f64_e32 v[158:159], v[4:5], v[132:133]
	v_mul_f64_e32 v[132:133], v[6:7], v[132:133]
	v_fmac_f64_e32 v[160:161], v[152:153], v[146:147]
	v_fma_f64 v[150:151], v[150:151], v[146:147], -v[148:149]
	ds_load_b128 v[142:145], v2 offset:928
	scratch_load_b128 v[146:149], off, off offset:416
	v_add_f64_e32 v[154:155], v[154:155], v[156:157]
	v_add_f64_e32 v[152:153], v[164:165], v[162:163]
	v_fmac_f64_e32 v[158:159], v[6:7], v[130:131]
	v_fma_f64 v[162:163], v[4:5], v[130:131], -v[132:133]
	ds_load_b128 v[4:7], v2 offset:944
	s_wait_loadcnt_dscnt 0xa01
	v_mul_f64_e32 v[156:157], v[142:143], v[10:11]
	v_mul_f64_e32 v[10:11], v[144:145], v[10:11]
	scratch_load_b128 v[130:133], off, off offset:432
	v_add_f64_e32 v[154:155], v[154:155], v[160:161]
	s_wait_loadcnt_dscnt 0xa00
	v_mul_f64_e32 v[160:161], v[4:5], v[14:15]
	v_add_f64_e32 v[164:165], v[152:153], v[150:151]
	v_mul_f64_e32 v[14:15], v[6:7], v[14:15]
	ds_load_b128 v[150:153], v2 offset:960
	v_fmac_f64_e32 v[156:157], v[144:145], v[8:9]
	v_fma_f64 v[142:143], v[142:143], v[8:9], -v[10:11]
	scratch_load_b128 v[8:11], off, off offset:448
	v_add_f64_e32 v[154:155], v[154:155], v[158:159]
	v_fmac_f64_e32 v[160:161], v[6:7], v[12:13]
	v_add_f64_e32 v[144:145], v[164:165], v[162:163]
	v_fma_f64 v[162:163], v[4:5], v[12:13], -v[14:15]
	ds_load_b128 v[4:7], v2 offset:976
	s_wait_loadcnt_dscnt 0xa01
	v_mul_f64_e32 v[158:159], v[150:151], v[18:19]
	v_mul_f64_e32 v[18:19], v[152:153], v[18:19]
	scratch_load_b128 v[12:15], off, off offset:464
	v_add_f64_e32 v[154:155], v[154:155], v[156:157]
	s_wait_loadcnt_dscnt 0xa00
	v_mul_f64_e32 v[156:157], v[4:5], v[22:23]
	v_add_f64_e32 v[164:165], v[144:145], v[142:143]
	v_mul_f64_e32 v[22:23], v[6:7], v[22:23]
	ds_load_b128 v[142:145], v2 offset:992
	v_fmac_f64_e32 v[158:159], v[152:153], v[16:17]
	v_fma_f64 v[150:151], v[150:151], v[16:17], -v[18:19]
	scratch_load_b128 v[16:19], off, off offset:480
	v_add_f64_e32 v[154:155], v[154:155], v[160:161]
	v_fmac_f64_e32 v[156:157], v[6:7], v[20:21]
	v_add_f64_e32 v[152:153], v[164:165], v[162:163]
	;; [unrolled: 18-line block ×7, first 2 shown]
	v_fma_f64 v[162:163], v[4:5], v[12:13], -v[14:15]
	ds_load_b128 v[4:7], v2 offset:1168
	s_wait_loadcnt_dscnt 0xa01
	v_mul_f64_e32 v[158:159], v[150:151], v[18:19]
	v_mul_f64_e32 v[18:19], v[152:153], v[18:19]
	scratch_load_b128 v[12:15], off, off offset:656
	v_add_f64_e32 v[154:155], v[154:155], v[156:157]
	s_wait_loadcnt_dscnt 0xa00
	v_mul_f64_e32 v[156:157], v[4:5], v[22:23]
	v_add_f64_e32 v[164:165], v[144:145], v[142:143]
	v_mul_f64_e32 v[22:23], v[6:7], v[22:23]
	ds_load_b128 v[142:145], v2 offset:1184
	v_fmac_f64_e32 v[158:159], v[152:153], v[16:17]
	v_fma_f64 v[16:17], v[150:151], v[16:17], -v[18:19]
	s_wait_loadcnt_dscnt 0x900
	v_mul_f64_e32 v[152:153], v[142:143], v[112:113]
	v_mul_f64_e32 v[112:113], v[144:145], v[112:113]
	v_add_f64_e32 v[150:151], v[154:155], v[160:161]
	v_fmac_f64_e32 v[156:157], v[6:7], v[20:21]
	v_add_f64_e32 v[18:19], v[164:165], v[162:163]
	v_fma_f64 v[20:21], v[4:5], v[20:21], -v[22:23]
	v_fmac_f64_e32 v[152:153], v[144:145], v[110:111]
	v_fma_f64 v[110:111], v[142:143], v[110:111], -v[112:113]
	v_add_f64_e32 v[150:151], v[150:151], v[158:159]
	v_add_f64_e32 v[22:23], v[18:19], v[16:17]
	ds_load_b128 v[4:7], v2 offset:1200
	ds_load_b128 v[16:19], v2 offset:1216
	s_wait_loadcnt_dscnt 0x801
	v_mul_f64_e32 v[154:155], v[4:5], v[116:117]
	v_mul_f64_e32 v[116:117], v[6:7], v[116:117]
	s_wait_loadcnt_dscnt 0x700
	v_mul_f64_e32 v[112:113], v[16:17], v[120:121]
	v_mul_f64_e32 v[120:121], v[18:19], v[120:121]
	v_add_f64_e32 v[20:21], v[22:23], v[20:21]
	v_add_f64_e32 v[22:23], v[150:151], v[156:157]
	v_fmac_f64_e32 v[154:155], v[6:7], v[114:115]
	v_fma_f64 v[114:115], v[4:5], v[114:115], -v[116:117]
	v_fmac_f64_e32 v[112:113], v[18:19], v[118:119]
	v_fma_f64 v[16:17], v[16:17], v[118:119], -v[120:121]
	v_add_f64_e32 v[110:111], v[20:21], v[110:111]
	v_add_f64_e32 v[116:117], v[22:23], v[152:153]
	ds_load_b128 v[4:7], v2 offset:1232
	ds_load_b128 v[20:23], v2 offset:1248
	s_wait_loadcnt_dscnt 0x601
	v_mul_f64_e32 v[142:143], v[4:5], v[124:125]
	v_mul_f64_e32 v[124:125], v[6:7], v[124:125]
	v_add_f64_e32 v[18:19], v[110:111], v[114:115]
	v_add_f64_e32 v[110:111], v[116:117], v[154:155]
	s_wait_loadcnt_dscnt 0x500
	v_mul_f64_e32 v[114:115], v[20:21], v[128:129]
	v_mul_f64_e32 v[116:117], v[22:23], v[128:129]
	v_fmac_f64_e32 v[142:143], v[6:7], v[122:123]
	v_fma_f64 v[118:119], v[4:5], v[122:123], -v[124:125]
	v_add_f64_e32 v[120:121], v[18:19], v[16:17]
	v_add_f64_e32 v[110:111], v[110:111], v[112:113]
	ds_load_b128 v[4:7], v2 offset:1264
	ds_load_b128 v[16:19], v2 offset:1280
	v_fmac_f64_e32 v[114:115], v[22:23], v[126:127]
	v_fma_f64 v[20:21], v[20:21], v[126:127], -v[116:117]
	s_wait_loadcnt_dscnt 0x401
	v_mul_f64_e32 v[112:113], v[4:5], v[136:137]
	v_mul_f64_e32 v[122:123], v[6:7], v[136:137]
	s_wait_loadcnt_dscnt 0x300
	v_mul_f64_e32 v[116:117], v[16:17], v[148:149]
	v_add_f64_e32 v[22:23], v[120:121], v[118:119]
	v_add_f64_e32 v[110:111], v[110:111], v[142:143]
	v_mul_f64_e32 v[118:119], v[18:19], v[148:149]
	v_fmac_f64_e32 v[112:113], v[6:7], v[134:135]
	v_fma_f64 v[120:121], v[4:5], v[134:135], -v[122:123]
	v_fmac_f64_e32 v[116:117], v[18:19], v[146:147]
	v_add_f64_e32 v[122:123], v[22:23], v[20:21]
	v_add_f64_e32 v[110:111], v[110:111], v[114:115]
	ds_load_b128 v[4:7], v2 offset:1296
	ds_load_b128 v[20:23], v2 offset:1312
	v_fma_f64 v[16:17], v[16:17], v[146:147], -v[118:119]
	s_wait_loadcnt_dscnt 0x201
	v_mul_f64_e32 v[114:115], v[4:5], v[132:133]
	v_mul_f64_e32 v[124:125], v[6:7], v[132:133]
	v_add_f64_e32 v[18:19], v[122:123], v[120:121]
	v_add_f64_e32 v[110:111], v[110:111], v[112:113]
	s_wait_loadcnt_dscnt 0x100
	v_mul_f64_e32 v[112:113], v[20:21], v[10:11]
	v_mul_f64_e32 v[10:11], v[22:23], v[10:11]
	v_fmac_f64_e32 v[114:115], v[6:7], v[130:131]
	v_fma_f64 v[118:119], v[4:5], v[130:131], -v[124:125]
	ds_load_b128 v[4:7], v2 offset:1328
	v_add_f64_e32 v[16:17], v[18:19], v[16:17]
	v_add_f64_e32 v[18:19], v[110:111], v[116:117]
	v_fmac_f64_e32 v[112:113], v[22:23], v[8:9]
	v_fma_f64 v[8:9], v[20:21], v[8:9], -v[10:11]
	s_wait_loadcnt_dscnt 0x0
	v_mul_f64_e32 v[110:111], v[4:5], v[14:15]
	v_mul_f64_e32 v[14:15], v[6:7], v[14:15]
	v_add_f64_e32 v[10:11], v[16:17], v[118:119]
	v_add_f64_e32 v[16:17], v[18:19], v[114:115]
	s_delay_alu instid0(VALU_DEP_4) | instskip(NEXT) | instid1(VALU_DEP_4)
	v_fmac_f64_e32 v[110:111], v[6:7], v[12:13]
	v_fma_f64 v[4:5], v[4:5], v[12:13], -v[14:15]
	s_delay_alu instid0(VALU_DEP_4) | instskip(NEXT) | instid1(VALU_DEP_4)
	v_add_f64_e32 v[6:7], v[10:11], v[8:9]
	v_add_f64_e32 v[8:9], v[16:17], v[112:113]
	s_delay_alu instid0(VALU_DEP_2) | instskip(NEXT) | instid1(VALU_DEP_2)
	v_add_f64_e32 v[4:5], v[6:7], v[4:5]
	v_add_f64_e32 v[6:7], v[8:9], v[110:111]
	s_delay_alu instid0(VALU_DEP_2) | instskip(NEXT) | instid1(VALU_DEP_2)
	v_add_f64_e64 v[4:5], v[138:139], -v[4:5]
	v_add_f64_e64 v[6:7], v[140:141], -v[6:7]
	scratch_store_b128 off, v[4:7], off offset:32
	s_wait_xcnt 0x0
	v_cmpx_lt_u32_e32 1, v1
	s_cbranch_execz .LBB105_263
; %bb.262:
	scratch_load_b128 v[6:9], off, s18
	v_dual_mov_b32 v3, v2 :: v_dual_mov_b32 v4, v2
	v_mov_b32_e32 v5, v2
	scratch_store_b128 off, v[2:5], off offset:16
	s_wait_loadcnt 0x0
	ds_store_b128 v108, v[6:9]
.LBB105_263:
	s_wait_xcnt 0x0
	s_or_b32 exec_lo, exec_lo, s2
	s_wait_storecnt_dscnt 0x0
	s_barrier_signal -1
	s_barrier_wait -1
	s_clause 0x9
	scratch_load_b128 v[4:7], off, off offset:32
	scratch_load_b128 v[8:11], off, off offset:48
	;; [unrolled: 1-line block ×10, first 2 shown]
	ds_load_b128 v[130:133], v2 offset:704
	ds_load_b128 v[138:141], v2 offset:720
	s_clause 0x2
	scratch_load_b128 v[134:137], off, off offset:192
	scratch_load_b128 v[142:145], off, off offset:16
	;; [unrolled: 1-line block ×3, first 2 shown]
	s_mov_b32 s2, exec_lo
	s_wait_loadcnt_dscnt 0xc01
	v_mul_f64_e32 v[150:151], v[132:133], v[6:7]
	v_mul_f64_e32 v[154:155], v[130:131], v[6:7]
	s_wait_loadcnt_dscnt 0xb00
	v_mul_f64_e32 v[156:157], v[138:139], v[10:11]
	v_mul_f64_e32 v[10:11], v[140:141], v[10:11]
	s_delay_alu instid0(VALU_DEP_4) | instskip(NEXT) | instid1(VALU_DEP_4)
	v_fma_f64 v[158:159], v[130:131], v[4:5], -v[150:151]
	v_fmac_f64_e32 v[154:155], v[132:133], v[4:5]
	ds_load_b128 v[4:7], v2 offset:736
	ds_load_b128 v[130:133], v2 offset:752
	scratch_load_b128 v[150:153], off, off offset:224
	v_fmac_f64_e32 v[156:157], v[140:141], v[8:9]
	v_fma_f64 v[138:139], v[138:139], v[8:9], -v[10:11]
	scratch_load_b128 v[8:11], off, off offset:240
	s_wait_loadcnt_dscnt 0xc01
	v_mul_f64_e32 v[160:161], v[4:5], v[14:15]
	v_mul_f64_e32 v[14:15], v[6:7], v[14:15]
	v_add_f64_e32 v[140:141], 0, v[158:159]
	v_add_f64_e32 v[154:155], 0, v[154:155]
	s_wait_loadcnt_dscnt 0xb00
	v_mul_f64_e32 v[158:159], v[130:131], v[18:19]
	v_mul_f64_e32 v[18:19], v[132:133], v[18:19]
	v_fmac_f64_e32 v[160:161], v[6:7], v[12:13]
	v_fma_f64 v[162:163], v[4:5], v[12:13], -v[14:15]
	ds_load_b128 v[4:7], v2 offset:768
	ds_load_b128 v[12:15], v2 offset:784
	v_add_f64_e32 v[164:165], v[140:141], v[138:139]
	v_add_f64_e32 v[154:155], v[154:155], v[156:157]
	scratch_load_b128 v[138:141], off, off offset:256
	v_fmac_f64_e32 v[158:159], v[132:133], v[16:17]
	v_fma_f64 v[130:131], v[130:131], v[16:17], -v[18:19]
	scratch_load_b128 v[16:19], off, off offset:272
	s_wait_loadcnt_dscnt 0xc01
	v_mul_f64_e32 v[156:157], v[4:5], v[22:23]
	v_mul_f64_e32 v[22:23], v[6:7], v[22:23]
	v_add_f64_e32 v[132:133], v[164:165], v[162:163]
	v_add_f64_e32 v[154:155], v[154:155], v[160:161]
	s_wait_loadcnt_dscnt 0xb00
	v_mul_f64_e32 v[160:161], v[12:13], v[112:113]
	v_mul_f64_e32 v[112:113], v[14:15], v[112:113]
	v_fmac_f64_e32 v[156:157], v[6:7], v[20:21]
	v_fma_f64 v[162:163], v[4:5], v[20:21], -v[22:23]
	ds_load_b128 v[4:7], v2 offset:800
	ds_load_b128 v[20:23], v2 offset:816
	v_add_f64_e32 v[164:165], v[132:133], v[130:131]
	v_add_f64_e32 v[154:155], v[154:155], v[158:159]
	scratch_load_b128 v[130:133], off, off offset:288
	s_wait_loadcnt_dscnt 0xb01
	v_mul_f64_e32 v[158:159], v[4:5], v[116:117]
	v_mul_f64_e32 v[116:117], v[6:7], v[116:117]
	v_fmac_f64_e32 v[160:161], v[14:15], v[110:111]
	v_fma_f64 v[110:111], v[12:13], v[110:111], -v[112:113]
	scratch_load_b128 v[12:15], off, off offset:304
	v_add_f64_e32 v[112:113], v[164:165], v[162:163]
	v_add_f64_e32 v[154:155], v[154:155], v[156:157]
	s_wait_loadcnt_dscnt 0xb00
	v_mul_f64_e32 v[156:157], v[20:21], v[120:121]
	v_mul_f64_e32 v[120:121], v[22:23], v[120:121]
	v_fmac_f64_e32 v[158:159], v[6:7], v[114:115]
	v_fma_f64 v[162:163], v[4:5], v[114:115], -v[116:117]
	v_add_f64_e32 v[164:165], v[112:113], v[110:111]
	v_add_f64_e32 v[154:155], v[154:155], v[160:161]
	ds_load_b128 v[4:7], v2 offset:832
	ds_load_b128 v[110:113], v2 offset:848
	scratch_load_b128 v[114:117], off, off offset:320
	v_fmac_f64_e32 v[156:157], v[22:23], v[118:119]
	v_fma_f64 v[118:119], v[20:21], v[118:119], -v[120:121]
	scratch_load_b128 v[20:23], off, off offset:336
	s_wait_loadcnt_dscnt 0xc01
	v_mul_f64_e32 v[160:161], v[4:5], v[124:125]
	v_mul_f64_e32 v[124:125], v[6:7], v[124:125]
	v_add_f64_e32 v[120:121], v[164:165], v[162:163]
	v_add_f64_e32 v[154:155], v[154:155], v[158:159]
	s_wait_loadcnt_dscnt 0xb00
	v_mul_f64_e32 v[158:159], v[110:111], v[128:129]
	v_mul_f64_e32 v[128:129], v[112:113], v[128:129]
	v_fmac_f64_e32 v[160:161], v[6:7], v[122:123]
	v_fma_f64 v[162:163], v[4:5], v[122:123], -v[124:125]
	v_add_f64_e32 v[164:165], v[120:121], v[118:119]
	v_add_f64_e32 v[154:155], v[154:155], v[156:157]
	ds_load_b128 v[4:7], v2 offset:864
	ds_load_b128 v[118:121], v2 offset:880
	scratch_load_b128 v[122:125], off, off offset:352
	v_fmac_f64_e32 v[158:159], v[112:113], v[126:127]
	v_fma_f64 v[126:127], v[110:111], v[126:127], -v[128:129]
	scratch_load_b128 v[110:113], off, off offset:368
	s_wait_loadcnt_dscnt 0xc01
	v_mul_f64_e32 v[156:157], v[4:5], v[136:137]
	v_mul_f64_e32 v[136:137], v[6:7], v[136:137]
	;; [unrolled: 18-line block ×5, first 2 shown]
	v_add_f64_e32 v[148:149], v[164:165], v[162:163]
	v_add_f64_e32 v[154:155], v[154:155], v[160:161]
	s_wait_loadcnt_dscnt 0xa00
	v_mul_f64_e32 v[160:161], v[126:127], v[14:15]
	v_mul_f64_e32 v[14:15], v[128:129], v[14:15]
	v_fmac_f64_e32 v[156:157], v[6:7], v[130:131]
	v_fma_f64 v[162:163], v[4:5], v[130:131], -v[132:133]
	ds_load_b128 v[4:7], v2 offset:992
	ds_load_b128 v[130:133], v2 offset:1008
	v_add_f64_e32 v[164:165], v[148:149], v[146:147]
	v_add_f64_e32 v[154:155], v[154:155], v[158:159]
	scratch_load_b128 v[146:149], off, off offset:480
	v_fmac_f64_e32 v[160:161], v[128:129], v[12:13]
	v_fma_f64 v[126:127], v[126:127], v[12:13], -v[14:15]
	scratch_load_b128 v[12:15], off, off offset:496
	s_wait_loadcnt_dscnt 0xb01
	v_mul_f64_e32 v[158:159], v[4:5], v[116:117]
	v_mul_f64_e32 v[116:117], v[6:7], v[116:117]
	v_add_f64_e32 v[128:129], v[164:165], v[162:163]
	v_add_f64_e32 v[154:155], v[154:155], v[156:157]
	s_wait_loadcnt_dscnt 0xa00
	v_mul_f64_e32 v[156:157], v[130:131], v[22:23]
	v_mul_f64_e32 v[22:23], v[132:133], v[22:23]
	v_fmac_f64_e32 v[158:159], v[6:7], v[114:115]
	v_fma_f64 v[162:163], v[4:5], v[114:115], -v[116:117]
	ds_load_b128 v[4:7], v2 offset:1024
	ds_load_b128 v[114:117], v2 offset:1040
	v_add_f64_e32 v[164:165], v[128:129], v[126:127]
	v_add_f64_e32 v[154:155], v[154:155], v[160:161]
	scratch_load_b128 v[126:129], off, off offset:512
	s_wait_loadcnt_dscnt 0xa01
	v_mul_f64_e32 v[160:161], v[4:5], v[124:125]
	v_mul_f64_e32 v[124:125], v[6:7], v[124:125]
	v_fmac_f64_e32 v[156:157], v[132:133], v[20:21]
	v_fma_f64 v[130:131], v[130:131], v[20:21], -v[22:23]
	scratch_load_b128 v[20:23], off, off offset:528
	v_add_f64_e32 v[132:133], v[164:165], v[162:163]
	v_add_f64_e32 v[154:155], v[154:155], v[158:159]
	s_wait_loadcnt_dscnt 0xa00
	v_mul_f64_e32 v[158:159], v[114:115], v[112:113]
	v_mul_f64_e32 v[112:113], v[116:117], v[112:113]
	v_fmac_f64_e32 v[160:161], v[6:7], v[122:123]
	v_fma_f64 v[162:163], v[4:5], v[122:123], -v[124:125]
	ds_load_b128 v[4:7], v2 offset:1056
	ds_load_b128 v[122:125], v2 offset:1072
	v_add_f64_e32 v[164:165], v[132:133], v[130:131]
	v_add_f64_e32 v[154:155], v[154:155], v[156:157]
	scratch_load_b128 v[130:133], off, off offset:544
	s_wait_loadcnt_dscnt 0xa01
	v_mul_f64_e32 v[156:157], v[4:5], v[136:137]
	v_mul_f64_e32 v[136:137], v[6:7], v[136:137]
	v_fmac_f64_e32 v[158:159], v[116:117], v[110:111]
	v_fma_f64 v[114:115], v[114:115], v[110:111], -v[112:113]
	scratch_load_b128 v[110:113], off, off offset:560
	v_add_f64_e32 v[116:117], v[164:165], v[162:163]
	v_add_f64_e32 v[154:155], v[154:155], v[160:161]
	s_wait_loadcnt_dscnt 0xa00
	v_mul_f64_e32 v[160:161], v[122:123], v[120:121]
	v_mul_f64_e32 v[120:121], v[124:125], v[120:121]
	v_fmac_f64_e32 v[156:157], v[6:7], v[134:135]
	v_fma_f64 v[162:163], v[4:5], v[134:135], -v[136:137]
	v_add_f64_e32 v[164:165], v[116:117], v[114:115]
	v_add_f64_e32 v[154:155], v[154:155], v[158:159]
	ds_load_b128 v[4:7], v2 offset:1088
	ds_load_b128 v[114:117], v2 offset:1104
	scratch_load_b128 v[134:137], off, off offset:576
	v_fmac_f64_e32 v[160:161], v[124:125], v[118:119]
	v_fma_f64 v[122:123], v[122:123], v[118:119], -v[120:121]
	scratch_load_b128 v[118:121], off, off offset:592
	s_wait_loadcnt_dscnt 0xb01
	v_mul_f64_e32 v[158:159], v[4:5], v[152:153]
	v_mul_f64_e32 v[152:153], v[6:7], v[152:153]
	v_add_f64_e32 v[124:125], v[164:165], v[162:163]
	v_add_f64_e32 v[154:155], v[154:155], v[156:157]
	s_wait_loadcnt_dscnt 0xa00
	v_mul_f64_e32 v[156:157], v[114:115], v[10:11]
	v_mul_f64_e32 v[10:11], v[116:117], v[10:11]
	v_fmac_f64_e32 v[158:159], v[6:7], v[150:151]
	v_fma_f64 v[162:163], v[4:5], v[150:151], -v[152:153]
	v_add_f64_e32 v[164:165], v[124:125], v[122:123]
	v_add_f64_e32 v[154:155], v[154:155], v[160:161]
	ds_load_b128 v[4:7], v2 offset:1120
	ds_load_b128 v[122:125], v2 offset:1136
	scratch_load_b128 v[150:153], off, off offset:608
	v_fmac_f64_e32 v[156:157], v[116:117], v[8:9]
	v_fma_f64 v[114:115], v[114:115], v[8:9], -v[10:11]
	scratch_load_b128 v[8:11], off, off offset:624
	s_wait_loadcnt_dscnt 0xb01
	v_mul_f64_e32 v[160:161], v[4:5], v[140:141]
	v_mul_f64_e32 v[140:141], v[6:7], v[140:141]
	;; [unrolled: 18-line block ×3, first 2 shown]
	v_add_f64_e32 v[124:125], v[164:165], v[162:163]
	v_add_f64_e32 v[154:155], v[154:155], v[160:161]
	s_wait_loadcnt_dscnt 0xa00
	v_mul_f64_e32 v[160:161], v[114:115], v[14:15]
	v_mul_f64_e32 v[14:15], v[116:117], v[14:15]
	v_fmac_f64_e32 v[156:157], v[6:7], v[146:147]
	v_fma_f64 v[146:147], v[4:5], v[146:147], -v[148:149]
	v_add_f64_e32 v[148:149], v[124:125], v[122:123]
	v_add_f64_e32 v[154:155], v[154:155], v[158:159]
	ds_load_b128 v[4:7], v2 offset:1184
	ds_load_b128 v[122:125], v2 offset:1200
	v_fmac_f64_e32 v[160:161], v[116:117], v[12:13]
	v_fma_f64 v[12:13], v[114:115], v[12:13], -v[14:15]
	s_wait_loadcnt_dscnt 0x901
	v_mul_f64_e32 v[158:159], v[4:5], v[128:129]
	v_mul_f64_e32 v[128:129], v[6:7], v[128:129]
	s_wait_loadcnt_dscnt 0x800
	v_mul_f64_e32 v[116:117], v[122:123], v[22:23]
	v_mul_f64_e32 v[22:23], v[124:125], v[22:23]
	v_add_f64_e32 v[14:15], v[148:149], v[146:147]
	v_add_f64_e32 v[114:115], v[154:155], v[156:157]
	v_fmac_f64_e32 v[158:159], v[6:7], v[126:127]
	v_fma_f64 v[126:127], v[4:5], v[126:127], -v[128:129]
	v_fmac_f64_e32 v[116:117], v[124:125], v[20:21]
	v_fma_f64 v[20:21], v[122:123], v[20:21], -v[22:23]
	v_add_f64_e32 v[128:129], v[14:15], v[12:13]
	v_add_f64_e32 v[114:115], v[114:115], v[160:161]
	ds_load_b128 v[4:7], v2 offset:1216
	ds_load_b128 v[12:15], v2 offset:1232
	s_wait_loadcnt_dscnt 0x701
	v_mul_f64_e32 v[146:147], v[4:5], v[132:133]
	v_mul_f64_e32 v[132:133], v[6:7], v[132:133]
	s_wait_loadcnt_dscnt 0x600
	v_mul_f64_e32 v[122:123], v[12:13], v[112:113]
	v_mul_f64_e32 v[112:113], v[14:15], v[112:113]
	v_add_f64_e32 v[22:23], v[128:129], v[126:127]
	v_add_f64_e32 v[114:115], v[114:115], v[158:159]
	v_fmac_f64_e32 v[146:147], v[6:7], v[130:131]
	v_fma_f64 v[124:125], v[4:5], v[130:131], -v[132:133]
	v_fmac_f64_e32 v[122:123], v[14:15], v[110:111]
	v_fma_f64 v[12:13], v[12:13], v[110:111], -v[112:113]
	v_add_f64_e32 v[126:127], v[22:23], v[20:21]
	v_add_f64_e32 v[114:115], v[114:115], v[116:117]
	ds_load_b128 v[4:7], v2 offset:1248
	ds_load_b128 v[20:23], v2 offset:1264
	s_wait_loadcnt_dscnt 0x501
	v_mul_f64_e32 v[116:117], v[4:5], v[136:137]
	v_mul_f64_e32 v[128:129], v[6:7], v[136:137]
	s_wait_loadcnt_dscnt 0x400
	v_mul_f64_e32 v[112:113], v[20:21], v[120:121]
	v_add_f64_e32 v[14:15], v[126:127], v[124:125]
	v_add_f64_e32 v[110:111], v[114:115], v[146:147]
	v_mul_f64_e32 v[114:115], v[22:23], v[120:121]
	v_fmac_f64_e32 v[116:117], v[6:7], v[134:135]
	v_fma_f64 v[120:121], v[4:5], v[134:135], -v[128:129]
	v_fmac_f64_e32 v[112:113], v[22:23], v[118:119]
	v_add_f64_e32 v[124:125], v[14:15], v[12:13]
	v_add_f64_e32 v[110:111], v[110:111], v[122:123]
	ds_load_b128 v[4:7], v2 offset:1280
	ds_load_b128 v[12:15], v2 offset:1296
	v_fma_f64 v[20:21], v[20:21], v[118:119], -v[114:115]
	s_wait_loadcnt_dscnt 0x301
	v_mul_f64_e32 v[122:123], v[4:5], v[152:153]
	v_mul_f64_e32 v[126:127], v[6:7], v[152:153]
	s_wait_loadcnt_dscnt 0x200
	v_mul_f64_e32 v[114:115], v[12:13], v[10:11]
	v_mul_f64_e32 v[10:11], v[14:15], v[10:11]
	v_add_f64_e32 v[22:23], v[124:125], v[120:121]
	v_add_f64_e32 v[110:111], v[110:111], v[116:117]
	v_fmac_f64_e32 v[122:123], v[6:7], v[150:151]
	v_fma_f64 v[116:117], v[4:5], v[150:151], -v[126:127]
	v_fmac_f64_e32 v[114:115], v[14:15], v[8:9]
	v_fma_f64 v[8:9], v[12:13], v[8:9], -v[10:11]
	v_add_f64_e32 v[118:119], v[22:23], v[20:21]
	v_add_f64_e32 v[110:111], v[110:111], v[112:113]
	ds_load_b128 v[4:7], v2 offset:1312
	ds_load_b128 v[20:23], v2 offset:1328
	s_wait_loadcnt_dscnt 0x101
	v_mul_f64_e32 v[2:3], v[4:5], v[140:141]
	v_mul_f64_e32 v[112:113], v[6:7], v[140:141]
	s_wait_loadcnt_dscnt 0x0
	v_mul_f64_e32 v[14:15], v[20:21], v[18:19]
	v_mul_f64_e32 v[18:19], v[22:23], v[18:19]
	v_add_f64_e32 v[10:11], v[118:119], v[116:117]
	v_add_f64_e32 v[12:13], v[110:111], v[122:123]
	v_fmac_f64_e32 v[2:3], v[6:7], v[138:139]
	v_fma_f64 v[4:5], v[4:5], v[138:139], -v[112:113]
	v_fmac_f64_e32 v[14:15], v[22:23], v[16:17]
	v_add_f64_e32 v[6:7], v[10:11], v[8:9]
	v_add_f64_e32 v[8:9], v[12:13], v[114:115]
	v_fma_f64 v[10:11], v[20:21], v[16:17], -v[18:19]
	s_delay_alu instid0(VALU_DEP_3) | instskip(NEXT) | instid1(VALU_DEP_3)
	v_add_f64_e32 v[4:5], v[6:7], v[4:5]
	v_add_f64_e32 v[2:3], v[8:9], v[2:3]
	s_delay_alu instid0(VALU_DEP_2) | instskip(NEXT) | instid1(VALU_DEP_2)
	v_add_f64_e32 v[4:5], v[4:5], v[10:11]
	v_add_f64_e32 v[6:7], v[2:3], v[14:15]
	s_delay_alu instid0(VALU_DEP_2) | instskip(NEXT) | instid1(VALU_DEP_2)
	v_add_f64_e64 v[2:3], v[142:143], -v[4:5]
	v_add_f64_e64 v[4:5], v[144:145], -v[6:7]
	scratch_store_b128 off, v[2:5], off offset:16
	s_wait_xcnt 0x0
	v_cmpx_ne_u32_e32 0, v1
	s_cbranch_execz .LBB105_265
; %bb.264:
	scratch_load_b128 v[2:5], off, off
	v_mov_b32_e32 v6, 0
	s_delay_alu instid0(VALU_DEP_1)
	v_dual_mov_b32 v7, v6 :: v_dual_mov_b32 v8, v6
	v_mov_b32_e32 v9, v6
	scratch_store_b128 off, v[6:9], off
	s_wait_loadcnt 0x0
	ds_store_b128 v108, v[2:5]
.LBB105_265:
	s_wait_xcnt 0x0
	s_or_b32 exec_lo, exec_lo, s2
	s_wait_storecnt_dscnt 0x0
	s_barrier_signal -1
	s_barrier_wait -1
	s_clause 0x9
	scratch_load_b128 v[2:5], off, off offset:16
	scratch_load_b128 v[6:9], off, off offset:32
	;; [unrolled: 1-line block ×10, first 2 shown]
	v_mov_b32_e32 v136, 0
	v_lshl_add_u64 v[56:57], v[56:57], 4, s[4:5]
	s_and_b32 vcc_lo, exec_lo, s54
	ds_load_b128 v[128:131], v136 offset:688
	s_clause 0x2
	scratch_load_b128 v[132:135], off, off offset:176
	scratch_load_b128 v[138:141], off, off
	scratch_load_b128 v[146:149], off, off offset:192
	s_wait_loadcnt_dscnt 0xc00
	v_mul_f64_e32 v[22:23], v[130:131], v[4:5]
	v_mul_f64_e32 v[154:155], v[128:129], v[4:5]
	ds_load_b128 v[142:145], v136 offset:704
	ds_load_b128 v[150:153], v136 offset:736
	v_fma_f64 v[22:23], v[128:129], v[2:3], -v[22:23]
	v_fmac_f64_e32 v[154:155], v[130:131], v[2:3]
	ds_load_b128 v[2:5], v136 offset:720
	s_wait_loadcnt_dscnt 0xb02
	v_mul_f64_e32 v[156:157], v[142:143], v[8:9]
	v_mul_f64_e32 v[8:9], v[144:145], v[8:9]
	scratch_load_b128 v[128:131], off, off offset:208
	s_wait_loadcnt_dscnt 0xb00
	v_mul_f64_e32 v[158:159], v[2:3], v[12:13]
	v_mul_f64_e32 v[12:13], v[4:5], v[12:13]
	v_add_f64_e32 v[22:23], 0, v[22:23]
	v_fmac_f64_e32 v[156:157], v[144:145], v[6:7]
	v_fma_f64 v[142:143], v[142:143], v[6:7], -v[8:9]
	v_add_f64_e32 v[144:145], 0, v[154:155]
	scratch_load_b128 v[6:9], off, off offset:224
	v_fmac_f64_e32 v[158:159], v[4:5], v[10:11]
	v_fma_f64 v[160:161], v[2:3], v[10:11], -v[12:13]
	ds_load_b128 v[2:5], v136 offset:752
	s_wait_loadcnt 0xb
	v_mul_f64_e32 v[154:155], v[150:151], v[16:17]
	v_mul_f64_e32 v[16:17], v[152:153], v[16:17]
	scratch_load_b128 v[10:13], off, off offset:240
	v_add_f64_e32 v[22:23], v[22:23], v[142:143]
	v_add_f64_e32 v[156:157], v[144:145], v[156:157]
	ds_load_b128 v[142:145], v136 offset:768
	s_wait_loadcnt_dscnt 0xb01
	v_mul_f64_e32 v[162:163], v[2:3], v[20:21]
	v_mul_f64_e32 v[20:21], v[4:5], v[20:21]
	v_fmac_f64_e32 v[154:155], v[152:153], v[14:15]
	v_fma_f64 v[150:151], v[150:151], v[14:15], -v[16:17]
	scratch_load_b128 v[14:17], off, off offset:256
	v_add_f64_e32 v[22:23], v[22:23], v[160:161]
	v_add_f64_e32 v[152:153], v[156:157], v[158:159]
	v_fmac_f64_e32 v[162:163], v[4:5], v[18:19]
	v_fma_f64 v[158:159], v[2:3], v[18:19], -v[20:21]
	ds_load_b128 v[2:5], v136 offset:784
	s_wait_loadcnt_dscnt 0xb01
	v_mul_f64_e32 v[156:157], v[142:143], v[110:111]
	v_mul_f64_e32 v[110:111], v[144:145], v[110:111]
	scratch_load_b128 v[18:21], off, off offset:272
	s_wait_loadcnt_dscnt 0xb00
	v_mul_f64_e32 v[160:161], v[2:3], v[114:115]
	v_mul_f64_e32 v[114:115], v[4:5], v[114:115]
	v_add_f64_e32 v[22:23], v[22:23], v[150:151]
	v_add_f64_e32 v[154:155], v[152:153], v[154:155]
	ds_load_b128 v[150:153], v136 offset:800
	v_fmac_f64_e32 v[156:157], v[144:145], v[108:109]
	v_fma_f64 v[142:143], v[142:143], v[108:109], -v[110:111]
	scratch_load_b128 v[108:111], off, off offset:288
	v_fmac_f64_e32 v[160:161], v[4:5], v[112:113]
	v_add_f64_e32 v[22:23], v[22:23], v[158:159]
	v_add_f64_e32 v[144:145], v[154:155], v[162:163]
	v_fma_f64 v[158:159], v[2:3], v[112:113], -v[114:115]
	ds_load_b128 v[2:5], v136 offset:816
	s_wait_loadcnt_dscnt 0xb01
	v_mul_f64_e32 v[154:155], v[150:151], v[118:119]
	v_mul_f64_e32 v[118:119], v[152:153], v[118:119]
	scratch_load_b128 v[112:115], off, off offset:304
	s_wait_loadcnt_dscnt 0xb00
	v_mul_f64_e32 v[162:163], v[2:3], v[122:123]
	v_mul_f64_e32 v[122:123], v[4:5], v[122:123]
	v_add_f64_e32 v[22:23], v[22:23], v[142:143]
	v_add_f64_e32 v[156:157], v[144:145], v[156:157]
	ds_load_b128 v[142:145], v136 offset:832
	v_fmac_f64_e32 v[154:155], v[152:153], v[116:117]
	v_fma_f64 v[150:151], v[150:151], v[116:117], -v[118:119]
	scratch_load_b128 v[116:119], off, off offset:320
	v_fmac_f64_e32 v[162:163], v[4:5], v[120:121]
	v_add_f64_e32 v[22:23], v[22:23], v[158:159]
	v_add_f64_e32 v[152:153], v[156:157], v[160:161]
	;; [unrolled: 18-line block ×3, first 2 shown]
	v_fma_f64 v[158:159], v[2:3], v[132:133], -v[134:135]
	ds_load_b128 v[2:5], v136 offset:880
	s_wait_loadcnt_dscnt 0xa01
	v_mul_f64_e32 v[154:155], v[150:151], v[148:149]
	v_mul_f64_e32 v[148:149], v[152:153], v[148:149]
	scratch_load_b128 v[132:135], off, off offset:368
	v_add_f64_e32 v[22:23], v[22:23], v[142:143]
	v_add_f64_e32 v[156:157], v[144:145], v[156:157]
	s_wait_loadcnt_dscnt 0xa00
	v_mul_f64_e32 v[162:163], v[2:3], v[130:131]
	v_mul_f64_e32 v[130:131], v[4:5], v[130:131]
	v_fmac_f64_e32 v[154:155], v[152:153], v[146:147]
	v_fma_f64 v[150:151], v[150:151], v[146:147], -v[148:149]
	ds_load_b128 v[142:145], v136 offset:896
	scratch_load_b128 v[146:149], off, off offset:384
	v_add_f64_e32 v[22:23], v[22:23], v[158:159]
	v_add_f64_e32 v[152:153], v[156:157], v[160:161]
	v_fmac_f64_e32 v[162:163], v[4:5], v[128:129]
	v_fma_f64 v[158:159], v[2:3], v[128:129], -v[130:131]
	ds_load_b128 v[2:5], v136 offset:912
	s_wait_loadcnt_dscnt 0xa01
	v_mul_f64_e32 v[156:157], v[142:143], v[8:9]
	v_mul_f64_e32 v[8:9], v[144:145], v[8:9]
	scratch_load_b128 v[128:131], off, off offset:400
	s_wait_loadcnt_dscnt 0xa00
	v_mul_f64_e32 v[160:161], v[2:3], v[12:13]
	v_mul_f64_e32 v[12:13], v[4:5], v[12:13]
	v_add_f64_e32 v[22:23], v[22:23], v[150:151]
	v_add_f64_e32 v[154:155], v[152:153], v[154:155]
	ds_load_b128 v[150:153], v136 offset:928
	v_fmac_f64_e32 v[156:157], v[144:145], v[6:7]
	v_fma_f64 v[142:143], v[142:143], v[6:7], -v[8:9]
	scratch_load_b128 v[6:9], off, off offset:416
	v_fmac_f64_e32 v[160:161], v[4:5], v[10:11]
	v_add_f64_e32 v[22:23], v[22:23], v[158:159]
	v_add_f64_e32 v[144:145], v[154:155], v[162:163]
	v_fma_f64 v[158:159], v[2:3], v[10:11], -v[12:13]
	ds_load_b128 v[2:5], v136 offset:944
	s_wait_loadcnt_dscnt 0xa01
	v_mul_f64_e32 v[154:155], v[150:151], v[16:17]
	v_mul_f64_e32 v[16:17], v[152:153], v[16:17]
	scratch_load_b128 v[10:13], off, off offset:432
	s_wait_loadcnt_dscnt 0xa00
	v_mul_f64_e32 v[162:163], v[2:3], v[20:21]
	v_mul_f64_e32 v[20:21], v[4:5], v[20:21]
	v_add_f64_e32 v[22:23], v[22:23], v[142:143]
	v_add_f64_e32 v[156:157], v[144:145], v[156:157]
	ds_load_b128 v[142:145], v136 offset:960
	v_fmac_f64_e32 v[154:155], v[152:153], v[14:15]
	v_fma_f64 v[150:151], v[150:151], v[14:15], -v[16:17]
	scratch_load_b128 v[14:17], off, off offset:448
	v_fmac_f64_e32 v[162:163], v[4:5], v[18:19]
	v_add_f64_e32 v[22:23], v[22:23], v[158:159]
	v_add_f64_e32 v[152:153], v[156:157], v[160:161]
	;; [unrolled: 18-line block ×8, first 2 shown]
	v_fma_f64 v[158:159], v[2:3], v[18:19], -v[20:21]
	ds_load_b128 v[2:5], v136 offset:1168
	s_wait_loadcnt_dscnt 0xa01
	v_mul_f64_e32 v[156:157], v[142:143], v[110:111]
	v_mul_f64_e32 v[110:111], v[144:145], v[110:111]
	scratch_load_b128 v[18:21], off, off offset:656
	s_wait_loadcnt_dscnt 0xa00
	v_mul_f64_e32 v[160:161], v[2:3], v[114:115]
	v_mul_f64_e32 v[114:115], v[4:5], v[114:115]
	v_add_f64_e32 v[22:23], v[22:23], v[150:151]
	v_add_f64_e32 v[154:155], v[152:153], v[154:155]
	ds_load_b128 v[150:153], v136 offset:1184
	v_fmac_f64_e32 v[156:157], v[144:145], v[108:109]
	v_fma_f64 v[108:109], v[142:143], v[108:109], -v[110:111]
	s_wait_loadcnt_dscnt 0x900
	v_mul_f64_e32 v[142:143], v[150:151], v[118:119]
	v_mul_f64_e32 v[118:119], v[152:153], v[118:119]
	v_fmac_f64_e32 v[160:161], v[4:5], v[112:113]
	v_fma_f64 v[112:113], v[2:3], v[112:113], -v[114:115]
	v_add_f64_e32 v[22:23], v[22:23], v[158:159]
	v_add_f64_e32 v[110:111], v[154:155], v[162:163]
	v_fmac_f64_e32 v[142:143], v[152:153], v[116:117]
	v_fma_f64 v[116:117], v[150:151], v[116:117], -v[118:119]
	s_delay_alu instid0(VALU_DEP_4) | instskip(NEXT) | instid1(VALU_DEP_4)
	v_add_f64_e32 v[22:23], v[22:23], v[108:109]
	v_add_f64_e32 v[114:115], v[110:111], v[156:157]
	ds_load_b128 v[2:5], v136 offset:1200
	ds_load_b128 v[108:111], v136 offset:1216
	s_wait_loadcnt_dscnt 0x801
	v_mul_f64_e32 v[144:145], v[2:3], v[122:123]
	v_mul_f64_e32 v[122:123], v[4:5], v[122:123]
	s_wait_loadcnt_dscnt 0x700
	v_mul_f64_e32 v[118:119], v[108:109], v[126:127]
	v_mul_f64_e32 v[126:127], v[110:111], v[126:127]
	v_add_f64_e32 v[22:23], v[22:23], v[112:113]
	v_add_f64_e32 v[112:113], v[114:115], v[160:161]
	v_fmac_f64_e32 v[144:145], v[4:5], v[120:121]
	v_fma_f64 v[120:121], v[2:3], v[120:121], -v[122:123]
	v_fmac_f64_e32 v[118:119], v[110:111], v[124:125]
	v_fma_f64 v[108:109], v[108:109], v[124:125], -v[126:127]
	v_add_f64_e32 v[22:23], v[22:23], v[116:117]
	v_add_f64_e32 v[116:117], v[112:113], v[142:143]
	ds_load_b128 v[2:5], v136 offset:1232
	ds_load_b128 v[112:115], v136 offset:1248
	s_wait_loadcnt_dscnt 0x601
	v_mul_f64_e32 v[122:123], v[2:3], v[134:135]
	v_mul_f64_e32 v[134:135], v[4:5], v[134:135]
	v_add_f64_e32 v[22:23], v[22:23], v[120:121]
	v_add_f64_e32 v[110:111], v[116:117], v[144:145]
	s_wait_loadcnt_dscnt 0x500
	v_mul_f64_e32 v[116:117], v[112:113], v[148:149]
	v_mul_f64_e32 v[120:121], v[114:115], v[148:149]
	v_fmac_f64_e32 v[122:123], v[4:5], v[132:133]
	v_fma_f64 v[124:125], v[2:3], v[132:133], -v[134:135]
	v_lshl_add_u64 v[134:135], v[28:29], 4, s[4:5]
	v_lshl_add_u64 v[132:133], v[30:31], 4, s[4:5]
	;; [unrolled: 1-line block ×4, first 2 shown]
	v_add_f64_e32 v[22:23], v[22:23], v[108:109]
	v_add_f64_e32 v[118:119], v[110:111], v[118:119]
	ds_load_b128 v[2:5], v136 offset:1264
	ds_load_b128 v[108:111], v136 offset:1280
	v_fmac_f64_e32 v[116:117], v[114:115], v[146:147]
	v_fma_f64 v[112:113], v[112:113], v[146:147], -v[120:121]
	s_wait_loadcnt_dscnt 0x401
	v_mul_f64_e32 v[126:127], v[2:3], v[130:131]
	v_mul_f64_e32 v[130:131], v[4:5], v[130:131]
	v_add_f64_e32 v[22:23], v[22:23], v[124:125]
	v_add_f64_e32 v[114:115], v[118:119], v[122:123]
	s_wait_loadcnt_dscnt 0x300
	v_mul_f64_e32 v[118:119], v[108:109], v[8:9]
	v_mul_f64_e32 v[8:9], v[110:111], v[8:9]
	v_lshl_add_u64 v[124:125], v[36:37], 4, s[4:5]
	v_lshl_add_u64 v[36:37], v[76:77], 4, s[4:5]
	v_fmac_f64_e32 v[126:127], v[4:5], v[128:129]
	v_fma_f64 v[120:121], v[2:3], v[128:129], -v[130:131]
	v_lshl_add_u64 v[130:131], v[32:33], 4, s[4:5]
	v_lshl_add_u64 v[128:129], v[34:35], 4, s[4:5]
	;; [unrolled: 1-line block ×4, first 2 shown]
	v_add_f64_e32 v[22:23], v[22:23], v[112:113]
	v_add_f64_e32 v[116:117], v[114:115], v[116:117]
	ds_load_b128 v[2:5], v136 offset:1296
	ds_load_b128 v[112:115], v136 offset:1312
	v_fmac_f64_e32 v[118:119], v[110:111], v[6:7]
	v_fma_f64 v[6:7], v[108:109], v[6:7], -v[8:9]
	v_lshl_add_u64 v[110:111], v[44:45], 4, s[4:5]
	v_lshl_add_u64 v[44:45], v[68:69], 4, s[4:5]
	s_wait_loadcnt_dscnt 0x201
	v_mul_f64_e32 v[122:123], v[2:3], v[12:13]
	v_mul_f64_e32 v[12:13], v[4:5], v[12:13]
	s_wait_loadcnt_dscnt 0x100
	v_mul_f64_e32 v[108:109], v[112:113], v[16:17]
	v_mul_f64_e32 v[16:17], v[114:115], v[16:17]
	v_add_f64_e32 v[8:9], v[22:23], v[120:121]
	v_add_f64_e32 v[22:23], v[116:117], v[126:127]
	v_lshl_add_u64 v[120:121], v[38:39], 4, s[4:5]
	v_lshl_add_u64 v[116:117], v[40:41], 4, s[4:5]
	;; [unrolled: 1-line block ×6, first 2 shown]
	v_fmac_f64_e32 v[122:123], v[4:5], v[10:11]
	v_fma_f64 v[10:11], v[2:3], v[10:11], -v[12:13]
	ds_load_b128 v[2:5], v136 offset:1328
	v_fmac_f64_e32 v[108:109], v[114:115], v[14:15]
	v_fma_f64 v[14:15], v[112:113], v[14:15], -v[16:17]
	v_lshl_add_u64 v[112:113], v[42:43], 4, s[4:5]
	v_lshl_add_u64 v[114:115], v[54:55], 4, s[4:5]
	;; [unrolled: 1-line block ×5, first 2 shown]
	v_add_f64_e32 v[6:7], v[8:9], v[6:7]
	v_add_f64_e32 v[8:9], v[22:23], v[118:119]
	v_lshl_add_u64 v[118:119], v[52:53], 4, s[4:5]
	v_lshl_add_u64 v[52:53], v[60:61], 4, s[4:5]
	;; [unrolled: 1-line block ×3, first 2 shown]
	s_wait_loadcnt_dscnt 0x0
	v_mul_f64_e32 v[12:13], v[2:3], v[20:21]
	v_mul_f64_e32 v[20:21], v[4:5], v[20:21]
	v_add_f64_e32 v[6:7], v[6:7], v[10:11]
	v_add_f64_e32 v[8:9], v[8:9], v[122:123]
	v_lshl_add_u64 v[122:123], v[50:51], 4, s[4:5]
	v_lshl_add_u64 v[50:51], v[62:63], 4, s[4:5]
	;; [unrolled: 1-line block ×3, first 2 shown]
	v_fmac_f64_e32 v[12:13], v[4:5], v[18:19]
	v_fma_f64 v[2:3], v[2:3], v[18:19], -v[20:21]
	v_lshl_add_u64 v[20:21], v[88:89], 4, s[4:5]
	v_lshl_add_u64 v[18:19], v[90:91], 4, s[4:5]
	v_add_f64_e32 v[4:5], v[6:7], v[14:15]
	v_add_f64_e32 v[6:7], v[8:9], v[108:109]
	v_lshl_add_u64 v[108:109], v[48:49], 4, s[4:5]
	v_lshl_add_u64 v[48:49], v[64:65], 4, s[4:5]
	;; [unrolled: 1-line block ×4, first 2 shown]
	v_add_f64_e32 v[2:3], v[4:5], v[2:3]
	v_add_f64_e32 v[4:5], v[6:7], v[12:13]
	v_lshl_add_u64 v[12:13], v[96:97], 4, s[4:5]
	v_lshl_add_u64 v[6:7], v[102:103], 4, s[4:5]
	s_delay_alu instid0(VALU_DEP_4) | instskip(NEXT) | instid1(VALU_DEP_4)
	v_add_f64_e64 v[138:139], v[138:139], -v[2:3]
	v_add_f64_e64 v[140:141], v[140:141], -v[4:5]
	v_lshl_add_u64 v[4:5], v[104:105], 4, s[4:5]
	v_lshl_add_u64 v[2:3], v[106:107], 4, s[4:5]
	scratch_store_b128 off, v[138:141], off
	s_cbranch_vccz .LBB105_348
; %bb.266:
	global_load_b32 v58, v136, s[8:9] offset:160
	s_load_b64 s[2:3], s[0:1], 0x4
	v_bfe_u32 v59, v0, 10, 10
	v_bfe_u32 v0, v0, 20, 10
	s_wait_kmcnt 0x0
	s_lshr_b32 s0, s2, 16
	s_delay_alu instid0(VALU_DEP_2) | instskip(SKIP_1) | instid1(SALU_CYCLE_1)
	v_mul_u32_u24_e32 v59, s3, v59
	s_mul_i32 s0, s0, s3
	v_mul_u32_u24_e32 v1, s0, v1
	s_delay_alu instid0(VALU_DEP_1) | instskip(NEXT) | instid1(VALU_DEP_1)
	v_add3_u32 v0, v1, v59, v0
	v_lshl_add_u32 v0, v0, 4, 0x548
	s_wait_loadcnt 0x0
	v_cmp_ne_u32_e32 vcc_lo, 41, v58
	s_cbranch_vccz .LBB105_268
; %bb.267:
	v_lshlrev_b32_e32 v1, 4, v58
	s_clause 0x1
	scratch_load_b128 v[58:61], off, s15
	scratch_load_b128 v[62:65], v1, off offset:-16
	s_wait_loadcnt 0x1
	ds_store_2addr_b64 v0, v[58:59], v[60:61] offset1:1
	s_wait_loadcnt 0x0
	s_clause 0x1
	scratch_store_b128 off, v[62:65], s15
	scratch_store_b128 v1, v[58:61], off offset:-16
.LBB105_268:
	s_wait_xcnt 0x0
	v_mov_b32_e32 v1, 0
	global_load_b32 v58, v1, s[8:9] offset:156
	s_wait_loadcnt 0x0
	v_cmp_eq_u32_e32 vcc_lo, 40, v58
	s_cbranch_vccnz .LBB105_270
; %bb.269:
	v_lshlrev_b32_e32 v58, 4, v58
	s_delay_alu instid0(VALU_DEP_1)
	v_mov_b32_e32 v66, v58
	s_clause 0x1
	scratch_load_b128 v[58:61], off, s17
	scratch_load_b128 v[62:65], v66, off offset:-16
	s_wait_loadcnt 0x1
	ds_store_2addr_b64 v0, v[58:59], v[60:61] offset1:1
	s_wait_loadcnt 0x0
	s_clause 0x1
	scratch_store_b128 off, v[62:65], s17
	scratch_store_b128 v66, v[58:61], off offset:-16
.LBB105_270:
	global_load_b32 v1, v1, s[8:9] offset:152
	s_wait_loadcnt 0x0
	v_cmp_eq_u32_e32 vcc_lo, 39, v1
	s_cbranch_vccnz .LBB105_272
; %bb.271:
	s_wait_xcnt 0x0
	v_lshlrev_b32_e32 v1, 4, v1
	s_clause 0x1
	scratch_load_b128 v[58:61], off, s19
	scratch_load_b128 v[62:65], v1, off offset:-16
	s_wait_loadcnt 0x1
	ds_store_2addr_b64 v0, v[58:59], v[60:61] offset1:1
	s_wait_loadcnt 0x0
	s_clause 0x1
	scratch_store_b128 off, v[62:65], s19
	scratch_store_b128 v1, v[58:61], off offset:-16
.LBB105_272:
	s_wait_xcnt 0x0
	v_mov_b32_e32 v1, 0
	global_load_b32 v58, v1, s[8:9] offset:148
	s_wait_loadcnt 0x0
	v_cmp_eq_u32_e32 vcc_lo, 38, v58
	s_cbranch_vccnz .LBB105_274
; %bb.273:
	v_lshlrev_b32_e32 v58, 4, v58
	s_delay_alu instid0(VALU_DEP_1)
	v_mov_b32_e32 v66, v58
	s_clause 0x1
	scratch_load_b128 v[58:61], off, s20
	scratch_load_b128 v[62:65], v66, off offset:-16
	s_wait_loadcnt 0x1
	ds_store_2addr_b64 v0, v[58:59], v[60:61] offset1:1
	s_wait_loadcnt 0x0
	s_clause 0x1
	scratch_store_b128 off, v[62:65], s20
	scratch_store_b128 v66, v[58:61], off offset:-16
.LBB105_274:
	global_load_b32 v1, v1, s[8:9] offset:144
	s_wait_loadcnt 0x0
	v_cmp_eq_u32_e32 vcc_lo, 37, v1
	s_cbranch_vccnz .LBB105_276
; %bb.275:
	s_wait_xcnt 0x0
	v_lshlrev_b32_e32 v1, 4, v1
	s_clause 0x1
	scratch_load_b128 v[58:61], off, s21
	scratch_load_b128 v[62:65], v1, off offset:-16
	s_wait_loadcnt 0x1
	ds_store_2addr_b64 v0, v[58:59], v[60:61] offset1:1
	s_wait_loadcnt 0x0
	s_clause 0x1
	scratch_store_b128 off, v[62:65], s21
	scratch_store_b128 v1, v[58:61], off offset:-16
.LBB105_276:
	;; [unrolled: 37-line block ×19, first 2 shown]
	s_wait_xcnt 0x0
	v_mov_b32_e32 v1, 0
	global_load_b32 v58, v1, s[8:9] offset:4
	s_wait_loadcnt 0x0
	v_cmp_eq_u32_e32 vcc_lo, 2, v58
	s_cbranch_vccnz .LBB105_346
; %bb.345:
	v_lshlrev_b32_e32 v58, 4, v58
	s_delay_alu instid0(VALU_DEP_1)
	v_mov_b32_e32 v66, v58
	s_clause 0x1
	scratch_load_b128 v[58:61], off, s18
	scratch_load_b128 v[62:65], v66, off offset:-16
	s_wait_loadcnt 0x1
	ds_store_2addr_b64 v0, v[58:59], v[60:61] offset1:1
	s_wait_loadcnt 0x0
	s_clause 0x1
	scratch_store_b128 off, v[62:65], s18
	scratch_store_b128 v66, v[58:61], off offset:-16
.LBB105_346:
	global_load_b32 v1, v1, s[8:9]
	s_wait_loadcnt 0x0
	v_cmp_eq_u32_e32 vcc_lo, 1, v1
	s_cbranch_vccnz .LBB105_348
; %bb.347:
	s_wait_xcnt 0x0
	v_lshlrev_b32_e32 v1, 4, v1
	scratch_load_b128 v[58:61], off, off
	scratch_load_b128 v[62:65], v1, off offset:-16
	s_wait_loadcnt 0x1
	ds_store_2addr_b64 v0, v[58:59], v[60:61] offset1:1
	s_wait_loadcnt 0x0
	scratch_store_b128 off, v[62:65], off
	scratch_store_b128 v1, v[58:61], off offset:-16
.LBB105_348:
	scratch_load_b128 v[58:61], off, off
	s_wait_loadcnt 0x0
	flat_store_b128 v[24:25], v[58:61]
	scratch_load_b128 v[58:61], off, s18
	s_wait_loadcnt 0x0
	flat_store_b128 v[26:27], v[58:61]
	scratch_load_b128 v[24:27], off, s16
	;; [unrolled: 3-line block ×41, first 2 shown]
	s_wait_loadcnt 0x0
	flat_store_b128 v[2:3], v[4:7]
	s_sendmsg sendmsg(MSG_DEALLOC_VGPRS)
	s_endpgm
	.section	.rodata,"a",@progbits
	.p2align	6, 0x0
	.amdhsa_kernel _ZN9rocsolver6v33100L18getri_kernel_smallILi42E19rocblas_complex_numIdEPKPS3_EEvT1_iilPiilS8_bb
		.amdhsa_group_segment_fixed_size 2376
		.amdhsa_private_segment_fixed_size 688
		.amdhsa_kernarg_size 60
		.amdhsa_user_sgpr_count 4
		.amdhsa_user_sgpr_dispatch_ptr 1
		.amdhsa_user_sgpr_queue_ptr 0
		.amdhsa_user_sgpr_kernarg_segment_ptr 1
		.amdhsa_user_sgpr_dispatch_id 0
		.amdhsa_user_sgpr_kernarg_preload_length 0
		.amdhsa_user_sgpr_kernarg_preload_offset 0
		.amdhsa_user_sgpr_private_segment_size 0
		.amdhsa_wavefront_size32 1
		.amdhsa_uses_dynamic_stack 0
		.amdhsa_enable_private_segment 1
		.amdhsa_system_sgpr_workgroup_id_x 1
		.amdhsa_system_sgpr_workgroup_id_y 0
		.amdhsa_system_sgpr_workgroup_id_z 0
		.amdhsa_system_sgpr_workgroup_info 0
		.amdhsa_system_vgpr_workitem_id 2
		.amdhsa_next_free_vgpr 166
		.amdhsa_next_free_sgpr 73
		.amdhsa_named_barrier_count 0
		.amdhsa_reserve_vcc 1
		.amdhsa_float_round_mode_32 0
		.amdhsa_float_round_mode_16_64 0
		.amdhsa_float_denorm_mode_32 3
		.amdhsa_float_denorm_mode_16_64 3
		.amdhsa_fp16_overflow 0
		.amdhsa_memory_ordered 1
		.amdhsa_forward_progress 1
		.amdhsa_inst_pref_size 255
		.amdhsa_round_robin_scheduling 0
		.amdhsa_exception_fp_ieee_invalid_op 0
		.amdhsa_exception_fp_denorm_src 0
		.amdhsa_exception_fp_ieee_div_zero 0
		.amdhsa_exception_fp_ieee_overflow 0
		.amdhsa_exception_fp_ieee_underflow 0
		.amdhsa_exception_fp_ieee_inexact 0
		.amdhsa_exception_int_div_zero 0
	.end_amdhsa_kernel
	.section	.text._ZN9rocsolver6v33100L18getri_kernel_smallILi42E19rocblas_complex_numIdEPKPS3_EEvT1_iilPiilS8_bb,"axG",@progbits,_ZN9rocsolver6v33100L18getri_kernel_smallILi42E19rocblas_complex_numIdEPKPS3_EEvT1_iilPiilS8_bb,comdat
.Lfunc_end105:
	.size	_ZN9rocsolver6v33100L18getri_kernel_smallILi42E19rocblas_complex_numIdEPKPS3_EEvT1_iilPiilS8_bb, .Lfunc_end105-_ZN9rocsolver6v33100L18getri_kernel_smallILi42E19rocblas_complex_numIdEPKPS3_EEvT1_iilPiilS8_bb
                                        ; -- End function
	.set _ZN9rocsolver6v33100L18getri_kernel_smallILi42E19rocblas_complex_numIdEPKPS3_EEvT1_iilPiilS8_bb.num_vgpr, 166
	.set _ZN9rocsolver6v33100L18getri_kernel_smallILi42E19rocblas_complex_numIdEPKPS3_EEvT1_iilPiilS8_bb.num_agpr, 0
	.set _ZN9rocsolver6v33100L18getri_kernel_smallILi42E19rocblas_complex_numIdEPKPS3_EEvT1_iilPiilS8_bb.numbered_sgpr, 73
	.set _ZN9rocsolver6v33100L18getri_kernel_smallILi42E19rocblas_complex_numIdEPKPS3_EEvT1_iilPiilS8_bb.num_named_barrier, 0
	.set _ZN9rocsolver6v33100L18getri_kernel_smallILi42E19rocblas_complex_numIdEPKPS3_EEvT1_iilPiilS8_bb.private_seg_size, 688
	.set _ZN9rocsolver6v33100L18getri_kernel_smallILi42E19rocblas_complex_numIdEPKPS3_EEvT1_iilPiilS8_bb.uses_vcc, 1
	.set _ZN9rocsolver6v33100L18getri_kernel_smallILi42E19rocblas_complex_numIdEPKPS3_EEvT1_iilPiilS8_bb.uses_flat_scratch, 1
	.set _ZN9rocsolver6v33100L18getri_kernel_smallILi42E19rocblas_complex_numIdEPKPS3_EEvT1_iilPiilS8_bb.has_dyn_sized_stack, 0
	.set _ZN9rocsolver6v33100L18getri_kernel_smallILi42E19rocblas_complex_numIdEPKPS3_EEvT1_iilPiilS8_bb.has_recursion, 0
	.set _ZN9rocsolver6v33100L18getri_kernel_smallILi42E19rocblas_complex_numIdEPKPS3_EEvT1_iilPiilS8_bb.has_indirect_call, 0
	.section	.AMDGPU.csdata,"",@progbits
; Kernel info:
; codeLenInByte = 70968
; TotalNumSgprs: 75
; NumVgprs: 166
; ScratchSize: 688
; MemoryBound: 0
; FloatMode: 240
; IeeeMode: 1
; LDSByteSize: 2376 bytes/workgroup (compile time only)
; SGPRBlocks: 0
; VGPRBlocks: 10
; NumSGPRsForWavesPerEU: 75
; NumVGPRsForWavesPerEU: 166
; NamedBarCnt: 0
; Occupancy: 5
; WaveLimiterHint : 1
; COMPUTE_PGM_RSRC2:SCRATCH_EN: 1
; COMPUTE_PGM_RSRC2:USER_SGPR: 4
; COMPUTE_PGM_RSRC2:TRAP_HANDLER: 0
; COMPUTE_PGM_RSRC2:TGID_X_EN: 1
; COMPUTE_PGM_RSRC2:TGID_Y_EN: 0
; COMPUTE_PGM_RSRC2:TGID_Z_EN: 0
; COMPUTE_PGM_RSRC2:TIDIG_COMP_CNT: 2
	.section	.text._ZN9rocsolver6v33100L18getri_kernel_smallILi43E19rocblas_complex_numIdEPKPS3_EEvT1_iilPiilS8_bb,"axG",@progbits,_ZN9rocsolver6v33100L18getri_kernel_smallILi43E19rocblas_complex_numIdEPKPS3_EEvT1_iilPiilS8_bb,comdat
	.globl	_ZN9rocsolver6v33100L18getri_kernel_smallILi43E19rocblas_complex_numIdEPKPS3_EEvT1_iilPiilS8_bb ; -- Begin function _ZN9rocsolver6v33100L18getri_kernel_smallILi43E19rocblas_complex_numIdEPKPS3_EEvT1_iilPiilS8_bb
	.p2align	8
	.type	_ZN9rocsolver6v33100L18getri_kernel_smallILi43E19rocblas_complex_numIdEPKPS3_EEvT1_iilPiilS8_bb,@function
_ZN9rocsolver6v33100L18getri_kernel_smallILi43E19rocblas_complex_numIdEPKPS3_EEvT1_iilPiilS8_bb: ; @_ZN9rocsolver6v33100L18getri_kernel_smallILi43E19rocblas_complex_numIdEPKPS3_EEvT1_iilPiilS8_bb
; %bb.0:
	v_and_b32_e32 v1, 0x3ff, v0
	s_mov_b32 s4, exec_lo
	s_delay_alu instid0(VALU_DEP_1)
	v_cmpx_gt_u32_e32 43, v1
	s_cbranch_execz .LBB106_186
; %bb.1:
	s_clause 0x1
	s_load_b32 s16, s[2:3], 0x38
	s_load_b64 s[8:9], s[2:3], 0x0
	s_getreg_b32 s6, hwreg(HW_REG_IB_STS2, 6, 4)
	s_wait_kmcnt 0x0
	s_bitcmp1_b32 s16, 8
	s_cselect_b32 s55, -1, 0
	s_bfe_u32 s4, ttmp6, 0x4000c
	s_and_b32 s5, ttmp6, 15
	s_add_co_i32 s4, s4, 1
	s_delay_alu instid0(SALU_CYCLE_1) | instskip(NEXT) | instid1(SALU_CYCLE_1)
	s_mul_i32 s4, ttmp9, s4
	s_add_co_i32 s5, s5, s4
	s_cmp_eq_u32 s6, 0
	s_cselect_b32 s10, ttmp9, s5
	s_load_b128 s[4:7], s[2:3], 0x28
	s_ashr_i32 s11, s10, 31
	s_delay_alu instid0(SALU_CYCLE_1) | instskip(NEXT) | instid1(SALU_CYCLE_1)
	s_lshl_b64 s[12:13], s[10:11], 3
	s_add_nc_u64 s[8:9], s[8:9], s[12:13]
	s_load_b64 s[14:15], s[8:9], 0x0
	s_wait_xcnt 0x0
	s_bfe_u32 s8, s16, 0x10008
	s_delay_alu instid0(SALU_CYCLE_1)
	s_cmp_eq_u32 s8, 0
                                        ; implicit-def: $sgpr8_sgpr9
	s_cbranch_scc1 .LBB106_3
; %bb.2:
	s_load_b96 s[16:18], s[2:3], 0x18
	s_wait_kmcnt 0x0
	s_mul_u64 s[4:5], s[4:5], s[10:11]
	s_delay_alu instid0(SALU_CYCLE_1) | instskip(SKIP_4) | instid1(SALU_CYCLE_1)
	s_lshl_b64 s[4:5], s[4:5], 2
	s_ashr_i32 s9, s18, 31
	s_mov_b32 s8, s18
	s_add_nc_u64 s[4:5], s[16:17], s[4:5]
	s_lshl_b64 s[8:9], s[8:9], 2
	s_add_nc_u64 s[8:9], s[4:5], s[8:9]
.LBB106_3:
	s_clause 0x1
	s_load_b64 s[12:13], s[2:3], 0x8
	s_load_b32 s56, s[2:3], 0x38
	v_dual_mov_b32 v15, 0 :: v_dual_lshlrev_b32 v14, 4, v1
	s_movk_i32 s57, 0x190
	s_movk_i32 s58, 0x1a0
	;; [unrolled: 1-line block ×16, first 2 shown]
	s_wait_kmcnt 0x0
	s_ashr_i32 s3, s12, 31
	s_mov_b32 s2, s12
	v_add3_u32 v28, s13, s13, v1
	s_lshl_b64 s[2:3], s[2:3], 4
	s_movk_i32 s73, 0x290
	s_add_nc_u64 s[4:5], s[14:15], s[2:3]
	s_ashr_i32 s3, s13, 31
	flat_load_b128 v[2:5], v1, s[4:5] scale_offset
	v_add_nc_u64_e32 v[24:25], s[4:5], v[14:15]
	s_mov_b32 s2, s13
	v_add_nc_u32_e32 v30, s13, v28
	s_movk_i32 s74, 0x2a0
	s_mov_b32 s18, 16
	s_mov_b32 s16, 32
	;; [unrolled: 1-line block ×3, first 2 shown]
	v_lshl_add_u64 v[26:27], s[2:3], 4, v[24:25]
	v_add_nc_u32_e32 v32, s13, v30
	s_mov_b32 s12, 64
	s_movk_i32 s54, 0x50
	s_movk_i32 s53, 0x60
	s_movk_i32 s52, 0x70
	v_add_nc_u32_e32 v34, s13, v32
	s_movk_i32 s51, 0x80
	s_movk_i32 s50, 0x90
	s_movk_i32 s49, 0xa0
	s_movk_i32 s48, 0xb0
	v_add_nc_u32_e32 v36, s13, v34
	s_movk_i32 s47, 0xc0
	;; [unrolled: 5-line block ×5, first 2 shown]
	s_mov_b32 s34, s57
	s_mov_b32 s33, s58
	s_mov_b32 s31, s59
	v_add_nc_u32_e32 v44, s13, v42
	s_mov_b32 s30, s60
	s_mov_b32 s29, s61
	s_mov_b32 s28, s62
	s_mov_b32 s27, s63
	v_add_nc_u32_e32 v46, s13, v44
	s_mov_b32 s26, s64
	;; [unrolled: 5-line block ×4, first 2 shown]
	s_mov_b32 s15, s73
	s_bitcmp0_b32 s56, 0
	s_mov_b32 s3, -1
	v_add_nc_u32_e32 v52, s13, v48
	s_delay_alu instid0(VALU_DEP_1) | instskip(NEXT) | instid1(VALU_DEP_1)
	v_add_nc_u32_e32 v54, s13, v52
	v_add_nc_u32_e32 v56, s13, v54
	s_delay_alu instid0(VALU_DEP_1) | instskip(NEXT) | instid1(VALU_DEP_1)
	v_add_nc_u32_e32 v58, s13, v56
	;; [unrolled: 3-line block ×14, first 2 shown]
	v_add_nc_u32_e32 v108, s13, v106
	s_mov_b32 s13, s74
	s_wait_loadcnt_dscnt 0x0
	scratch_store_b128 off, v[2:5], off
	flat_load_b128 v[2:5], v[26:27]
	s_wait_loadcnt_dscnt 0x0
	scratch_store_b128 off, v[2:5], off offset:16
	flat_load_b128 v[2:5], v28, s[4:5] scale_offset
	s_wait_loadcnt_dscnt 0x0
	scratch_store_b128 off, v[2:5], off offset:32
	flat_load_b128 v[2:5], v30, s[4:5] scale_offset
	;; [unrolled: 3-line block ×41, first 2 shown]
	s_wait_loadcnt_dscnt 0x0
	scratch_store_b128 off, v[2:5], off offset:672
	s_cbranch_scc1 .LBB106_184
; %bb.4:
	v_cmp_eq_u32_e64 s2, 0, v1
	s_wait_xcnt 0x0
	s_and_saveexec_b32 s3, s2
; %bb.5:
	v_mov_b32_e32 v2, 0
	ds_store_b32 v2, v2 offset:1376
; %bb.6:
	s_or_b32 exec_lo, exec_lo, s3
	s_wait_storecnt_dscnt 0x0
	s_barrier_signal -1
	s_barrier_wait -1
	scratch_load_b128 v[2:5], v1, off scale_offset
	s_wait_loadcnt 0x0
	v_cmp_eq_f64_e32 vcc_lo, 0, v[2:3]
	v_cmp_eq_f64_e64 s3, 0, v[4:5]
	s_and_b32 s3, vcc_lo, s3
	s_delay_alu instid0(SALU_CYCLE_1)
	s_and_saveexec_b32 s56, s3
	s_cbranch_execz .LBB106_10
; %bb.7:
	v_mov_b32_e32 v2, 0
	s_mov_b32 s57, 0
	ds_load_b32 v3, v2 offset:1376
	s_wait_dscnt 0x0
	v_readfirstlane_b32 s3, v3
	v_add_nc_u32_e32 v3, 1, v1
	s_cmp_eq_u32 s3, 0
	s_delay_alu instid0(VALU_DEP_1) | instskip(SKIP_1) | instid1(SALU_CYCLE_1)
	v_cmp_gt_i32_e32 vcc_lo, s3, v3
	s_cselect_b32 s58, -1, 0
	s_or_b32 s58, s58, vcc_lo
	s_delay_alu instid0(SALU_CYCLE_1)
	s_and_b32 exec_lo, exec_lo, s58
	s_cbranch_execz .LBB106_10
; %bb.8:
	v_mov_b32_e32 v4, s3
.LBB106_9:                              ; =>This Inner Loop Header: Depth=1
	ds_cmpstore_rtn_b32 v4, v2, v3, v4 offset:1376
	s_wait_dscnt 0x0
	v_cmp_ne_u32_e32 vcc_lo, 0, v4
	v_cmp_le_i32_e64 s3, v4, v3
	s_and_b32 s3, vcc_lo, s3
	s_delay_alu instid0(SALU_CYCLE_1) | instskip(NEXT) | instid1(SALU_CYCLE_1)
	s_and_b32 s3, exec_lo, s3
	s_or_b32 s57, s3, s57
	s_delay_alu instid0(SALU_CYCLE_1)
	s_and_not1_b32 exec_lo, exec_lo, s57
	s_cbranch_execnz .LBB106_9
.LBB106_10:
	s_or_b32 exec_lo, exec_lo, s56
	v_mov_b32_e32 v2, 0
	s_barrier_signal -1
	s_barrier_wait -1
	ds_load_b32 v3, v2 offset:1376
	s_and_saveexec_b32 s3, s2
	s_cbranch_execz .LBB106_12
; %bb.11:
	s_lshl_b64 s[56:57], s[10:11], 2
	s_delay_alu instid0(SALU_CYCLE_1)
	s_add_nc_u64 s[56:57], s[6:7], s[56:57]
	s_wait_dscnt 0x0
	global_store_b32 v2, v3, s[56:57]
.LBB106_12:
	s_wait_xcnt 0x0
	s_or_b32 exec_lo, exec_lo, s3
	s_wait_dscnt 0x0
	v_cmp_ne_u32_e32 vcc_lo, 0, v3
	s_mov_b32 s3, 0
	s_cbranch_vccnz .LBB106_184
; %bb.13:
	v_lshl_add_u32 v15, v1, 4, 0
                                        ; implicit-def: $vgpr6_vgpr7
                                        ; implicit-def: $vgpr10_vgpr11
	scratch_load_b128 v[2:5], v15, off
	s_wait_loadcnt 0x0
	v_cmp_ngt_f64_e64 s3, |v[2:3]|, |v[4:5]|
	s_wait_xcnt 0x0
	s_and_saveexec_b32 s56, s3
	s_delay_alu instid0(SALU_CYCLE_1)
	s_xor_b32 s3, exec_lo, s56
	s_cbranch_execz .LBB106_15
; %bb.14:
	v_div_scale_f64 v[6:7], null, v[4:5], v[4:5], v[2:3]
	v_div_scale_f64 v[12:13], vcc_lo, v[2:3], v[4:5], v[2:3]
	s_delay_alu instid0(VALU_DEP_2) | instskip(SKIP_1) | instid1(TRANS32_DEP_1)
	v_rcp_f64_e32 v[8:9], v[6:7]
	v_nop
	v_fma_f64 v[10:11], -v[6:7], v[8:9], 1.0
	s_delay_alu instid0(VALU_DEP_1) | instskip(NEXT) | instid1(VALU_DEP_1)
	v_fmac_f64_e32 v[8:9], v[8:9], v[10:11]
	v_fma_f64 v[10:11], -v[6:7], v[8:9], 1.0
	s_delay_alu instid0(VALU_DEP_1) | instskip(NEXT) | instid1(VALU_DEP_1)
	v_fmac_f64_e32 v[8:9], v[8:9], v[10:11]
	v_mul_f64_e32 v[10:11], v[12:13], v[8:9]
	s_delay_alu instid0(VALU_DEP_1) | instskip(NEXT) | instid1(VALU_DEP_1)
	v_fma_f64 v[6:7], -v[6:7], v[10:11], v[12:13]
	v_div_fmas_f64 v[6:7], v[6:7], v[8:9], v[10:11]
	s_delay_alu instid0(VALU_DEP_1) | instskip(NEXT) | instid1(VALU_DEP_1)
	v_div_fixup_f64 v[6:7], v[6:7], v[4:5], v[2:3]
	v_fmac_f64_e32 v[4:5], v[2:3], v[6:7]
	s_delay_alu instid0(VALU_DEP_1) | instskip(SKIP_1) | instid1(VALU_DEP_2)
	v_div_scale_f64 v[2:3], null, v[4:5], v[4:5], 1.0
	v_div_scale_f64 v[12:13], vcc_lo, 1.0, v[4:5], 1.0
	v_rcp_f64_e32 v[8:9], v[2:3]
	v_nop
	s_delay_alu instid0(TRANS32_DEP_1) | instskip(NEXT) | instid1(VALU_DEP_1)
	v_fma_f64 v[10:11], -v[2:3], v[8:9], 1.0
	v_fmac_f64_e32 v[8:9], v[8:9], v[10:11]
	s_delay_alu instid0(VALU_DEP_1) | instskip(NEXT) | instid1(VALU_DEP_1)
	v_fma_f64 v[10:11], -v[2:3], v[8:9], 1.0
	v_fmac_f64_e32 v[8:9], v[8:9], v[10:11]
	s_delay_alu instid0(VALU_DEP_1) | instskip(NEXT) | instid1(VALU_DEP_1)
	v_mul_f64_e32 v[10:11], v[12:13], v[8:9]
	v_fma_f64 v[2:3], -v[2:3], v[10:11], v[12:13]
	s_delay_alu instid0(VALU_DEP_1) | instskip(NEXT) | instid1(VALU_DEP_1)
	v_div_fmas_f64 v[2:3], v[2:3], v[8:9], v[10:11]
	v_div_fixup_f64 v[8:9], v[2:3], v[4:5], 1.0
                                        ; implicit-def: $vgpr2_vgpr3
	s_delay_alu instid0(VALU_DEP_1) | instskip(SKIP_1) | instid1(VALU_DEP_2)
	v_mul_f64_e32 v[6:7], v[6:7], v[8:9]
	v_xor_b32_e32 v9, 0x80000000, v9
	v_xor_b32_e32 v11, 0x80000000, v7
	s_delay_alu instid0(VALU_DEP_3)
	v_mov_b32_e32 v10, v6
.LBB106_15:
	s_and_not1_saveexec_b32 s3, s3
	s_cbranch_execz .LBB106_17
; %bb.16:
	v_div_scale_f64 v[6:7], null, v[2:3], v[2:3], v[4:5]
	v_div_scale_f64 v[12:13], vcc_lo, v[4:5], v[2:3], v[4:5]
	s_delay_alu instid0(VALU_DEP_2) | instskip(SKIP_1) | instid1(TRANS32_DEP_1)
	v_rcp_f64_e32 v[8:9], v[6:7]
	v_nop
	v_fma_f64 v[10:11], -v[6:7], v[8:9], 1.0
	s_delay_alu instid0(VALU_DEP_1) | instskip(NEXT) | instid1(VALU_DEP_1)
	v_fmac_f64_e32 v[8:9], v[8:9], v[10:11]
	v_fma_f64 v[10:11], -v[6:7], v[8:9], 1.0
	s_delay_alu instid0(VALU_DEP_1) | instskip(NEXT) | instid1(VALU_DEP_1)
	v_fmac_f64_e32 v[8:9], v[8:9], v[10:11]
	v_mul_f64_e32 v[10:11], v[12:13], v[8:9]
	s_delay_alu instid0(VALU_DEP_1) | instskip(NEXT) | instid1(VALU_DEP_1)
	v_fma_f64 v[6:7], -v[6:7], v[10:11], v[12:13]
	v_div_fmas_f64 v[6:7], v[6:7], v[8:9], v[10:11]
	s_delay_alu instid0(VALU_DEP_1) | instskip(NEXT) | instid1(VALU_DEP_1)
	v_div_fixup_f64 v[8:9], v[6:7], v[2:3], v[4:5]
	v_fmac_f64_e32 v[2:3], v[4:5], v[8:9]
	s_delay_alu instid0(VALU_DEP_1) | instskip(NEXT) | instid1(VALU_DEP_1)
	v_div_scale_f64 v[4:5], null, v[2:3], v[2:3], 1.0
	v_rcp_f64_e32 v[6:7], v[4:5]
	v_nop
	s_delay_alu instid0(TRANS32_DEP_1) | instskip(NEXT) | instid1(VALU_DEP_1)
	v_fma_f64 v[10:11], -v[4:5], v[6:7], 1.0
	v_fmac_f64_e32 v[6:7], v[6:7], v[10:11]
	s_delay_alu instid0(VALU_DEP_1) | instskip(NEXT) | instid1(VALU_DEP_1)
	v_fma_f64 v[10:11], -v[4:5], v[6:7], 1.0
	v_fmac_f64_e32 v[6:7], v[6:7], v[10:11]
	v_div_scale_f64 v[10:11], vcc_lo, 1.0, v[2:3], 1.0
	s_delay_alu instid0(VALU_DEP_1) | instskip(NEXT) | instid1(VALU_DEP_1)
	v_mul_f64_e32 v[12:13], v[10:11], v[6:7]
	v_fma_f64 v[4:5], -v[4:5], v[12:13], v[10:11]
	s_delay_alu instid0(VALU_DEP_1) | instskip(NEXT) | instid1(VALU_DEP_1)
	v_div_fmas_f64 v[4:5], v[4:5], v[6:7], v[12:13]
	v_div_fixup_f64 v[6:7], v[4:5], v[2:3], 1.0
	s_delay_alu instid0(VALU_DEP_1)
	v_mul_f64_e64 v[8:9], v[8:9], -v[6:7]
	v_xor_b32_e32 v11, 0x80000000, v7
	v_mov_b32_e32 v10, v6
.LBB106_17:
	s_or_b32 exec_lo, exec_lo, s3
	s_clause 0x1
	scratch_store_b128 v15, v[6:9], off
	scratch_load_b128 v[2:5], off, s18
	v_xor_b32_e32 v13, 0x80000000, v9
	v_mov_b32_e32 v12, v8
	s_wait_xcnt 0x1
	v_add_nc_u32_e32 v6, 0x2b0, v14
	ds_store_b128 v14, v[10:13]
	s_wait_loadcnt 0x0
	ds_store_b128 v14, v[2:5] offset:688
	s_wait_storecnt_dscnt 0x0
	s_barrier_signal -1
	s_barrier_wait -1
	s_wait_xcnt 0x0
	s_and_saveexec_b32 s3, s2
	s_cbranch_execz .LBB106_19
; %bb.18:
	scratch_load_b128 v[2:5], v15, off
	ds_load_b128 v[8:11], v6
	v_mov_b32_e32 v7, 0
	ds_load_b128 v[16:19], v7 offset:16
	s_wait_loadcnt_dscnt 0x1
	v_mul_f64_e32 v[12:13], v[8:9], v[4:5]
	v_mul_f64_e32 v[4:5], v[10:11], v[4:5]
	s_delay_alu instid0(VALU_DEP_2) | instskip(NEXT) | instid1(VALU_DEP_2)
	v_fmac_f64_e32 v[12:13], v[10:11], v[2:3]
	v_fma_f64 v[2:3], v[8:9], v[2:3], -v[4:5]
	s_delay_alu instid0(VALU_DEP_2) | instskip(NEXT) | instid1(VALU_DEP_2)
	v_add_f64_e32 v[8:9], 0, v[12:13]
	v_add_f64_e32 v[2:3], 0, v[2:3]
	s_wait_dscnt 0x0
	s_delay_alu instid0(VALU_DEP_2) | instskip(NEXT) | instid1(VALU_DEP_2)
	v_mul_f64_e32 v[10:11], v[8:9], v[18:19]
	v_mul_f64_e32 v[4:5], v[2:3], v[18:19]
	s_delay_alu instid0(VALU_DEP_2) | instskip(NEXT) | instid1(VALU_DEP_2)
	v_fma_f64 v[2:3], v[2:3], v[16:17], -v[10:11]
	v_fmac_f64_e32 v[4:5], v[8:9], v[16:17]
	scratch_store_b128 off, v[2:5], off offset:16
.LBB106_19:
	s_wait_xcnt 0x0
	s_or_b32 exec_lo, exec_lo, s3
	s_wait_storecnt 0x0
	s_barrier_signal -1
	s_barrier_wait -1
	scratch_load_b128 v[2:5], off, s16
	s_mov_b32 s3, exec_lo
	s_wait_loadcnt 0x0
	ds_store_b128 v6, v[2:5]
	s_wait_dscnt 0x0
	s_barrier_signal -1
	s_barrier_wait -1
	v_cmpx_gt_u32_e32 2, v1
	s_cbranch_execz .LBB106_23
; %bb.20:
	scratch_load_b128 v[2:5], v15, off
	ds_load_b128 v[8:11], v6
	s_wait_loadcnt_dscnt 0x0
	v_mul_f64_e32 v[12:13], v[10:11], v[4:5]
	v_mul_f64_e32 v[16:17], v[8:9], v[4:5]
	s_delay_alu instid0(VALU_DEP_2) | instskip(NEXT) | instid1(VALU_DEP_2)
	v_fma_f64 v[4:5], v[8:9], v[2:3], -v[12:13]
	v_fmac_f64_e32 v[16:17], v[10:11], v[2:3]
	s_delay_alu instid0(VALU_DEP_2) | instskip(NEXT) | instid1(VALU_DEP_2)
	v_add_f64_e32 v[4:5], 0, v[4:5]
	v_add_f64_e32 v[2:3], 0, v[16:17]
	s_and_saveexec_b32 s56, s2
	s_cbranch_execz .LBB106_22
; %bb.21:
	scratch_load_b128 v[8:11], off, off offset:16
	v_mov_b32_e32 v7, 0
	ds_load_b128 v[16:19], v7 offset:704
	s_wait_loadcnt_dscnt 0x0
	v_mul_f64_e32 v[12:13], v[16:17], v[10:11]
	v_mul_f64_e32 v[10:11], v[18:19], v[10:11]
	s_delay_alu instid0(VALU_DEP_2) | instskip(NEXT) | instid1(VALU_DEP_2)
	v_fmac_f64_e32 v[12:13], v[18:19], v[8:9]
	v_fma_f64 v[8:9], v[16:17], v[8:9], -v[10:11]
	s_delay_alu instid0(VALU_DEP_2) | instskip(NEXT) | instid1(VALU_DEP_2)
	v_add_f64_e32 v[2:3], v[2:3], v[12:13]
	v_add_f64_e32 v[4:5], v[4:5], v[8:9]
.LBB106_22:
	s_or_b32 exec_lo, exec_lo, s56
	v_mov_b32_e32 v7, 0
	ds_load_b128 v[8:11], v7 offset:32
	s_wait_dscnt 0x0
	v_mul_f64_e32 v[16:17], v[2:3], v[10:11]
	v_mul_f64_e32 v[12:13], v[4:5], v[10:11]
	s_delay_alu instid0(VALU_DEP_2) | instskip(NEXT) | instid1(VALU_DEP_2)
	v_fma_f64 v[10:11], v[4:5], v[8:9], -v[16:17]
	v_fmac_f64_e32 v[12:13], v[2:3], v[8:9]
	scratch_store_b128 off, v[10:13], off offset:32
.LBB106_23:
	s_wait_xcnt 0x0
	s_or_b32 exec_lo, exec_lo, s3
	s_wait_storecnt 0x0
	s_barrier_signal -1
	s_barrier_wait -1
	scratch_load_b128 v[2:5], off, s14
	v_add_nc_u32_e32 v7, -1, v1
	s_mov_b32 s2, exec_lo
	s_wait_loadcnt 0x0
	ds_store_b128 v6, v[2:5]
	s_wait_dscnt 0x0
	s_barrier_signal -1
	s_barrier_wait -1
	v_cmpx_gt_u32_e32 3, v1
	s_cbranch_execz .LBB106_27
; %bb.24:
	v_dual_mov_b32 v10, v14 :: v_dual_add_nc_u32 v8, -1, v1
	v_mov_b64_e32 v[2:3], 0
	v_mov_b64_e32 v[4:5], 0
	v_add_nc_u32_e32 v9, 0x2b0, v14
	s_delay_alu instid0(VALU_DEP_4)
	v_or_b32_e32 v10, 8, v10
	s_mov_b32 s3, 0
.LBB106_25:                             ; =>This Inner Loop Header: Depth=1
	scratch_load_b128 v[16:19], v10, off offset:-8
	ds_load_b128 v[20:23], v9
	v_dual_add_nc_u32 v8, 1, v8 :: v_dual_add_nc_u32 v9, 16, v9
	s_wait_xcnt 0x0
	v_add_nc_u32_e32 v10, 16, v10
	s_delay_alu instid0(VALU_DEP_2) | instskip(SKIP_4) | instid1(VALU_DEP_2)
	v_cmp_lt_u32_e32 vcc_lo, 1, v8
	s_or_b32 s3, vcc_lo, s3
	s_wait_loadcnt_dscnt 0x0
	v_mul_f64_e32 v[12:13], v[22:23], v[18:19]
	v_mul_f64_e32 v[18:19], v[20:21], v[18:19]
	v_fma_f64 v[12:13], v[20:21], v[16:17], -v[12:13]
	s_delay_alu instid0(VALU_DEP_2) | instskip(NEXT) | instid1(VALU_DEP_2)
	v_fmac_f64_e32 v[18:19], v[22:23], v[16:17]
	v_add_f64_e32 v[4:5], v[4:5], v[12:13]
	s_delay_alu instid0(VALU_DEP_2)
	v_add_f64_e32 v[2:3], v[2:3], v[18:19]
	s_and_not1_b32 exec_lo, exec_lo, s3
	s_cbranch_execnz .LBB106_25
; %bb.26:
	s_or_b32 exec_lo, exec_lo, s3
	v_mov_b32_e32 v8, 0
	ds_load_b128 v[8:11], v8 offset:48
	s_wait_dscnt 0x0
	v_mul_f64_e32 v[16:17], v[2:3], v[10:11]
	v_mul_f64_e32 v[12:13], v[4:5], v[10:11]
	s_delay_alu instid0(VALU_DEP_2) | instskip(NEXT) | instid1(VALU_DEP_2)
	v_fma_f64 v[10:11], v[4:5], v[8:9], -v[16:17]
	v_fmac_f64_e32 v[12:13], v[2:3], v[8:9]
	scratch_store_b128 off, v[10:13], off offset:48
.LBB106_27:
	s_wait_xcnt 0x0
	s_or_b32 exec_lo, exec_lo, s2
	s_wait_storecnt 0x0
	s_barrier_signal -1
	s_barrier_wait -1
	scratch_load_b128 v[2:5], off, s12
	s_mov_b32 s2, exec_lo
	s_wait_loadcnt 0x0
	ds_store_b128 v6, v[2:5]
	s_wait_dscnt 0x0
	s_barrier_signal -1
	s_barrier_wait -1
	v_cmpx_gt_u32_e32 4, v1
	s_cbranch_execz .LBB106_31
; %bb.28:
	v_dual_mov_b32 v10, v14 :: v_dual_add_nc_u32 v8, -1, v1
	v_mov_b64_e32 v[2:3], 0
	v_mov_b64_e32 v[4:5], 0
	v_add_nc_u32_e32 v9, 0x2b0, v14
	s_delay_alu instid0(VALU_DEP_4)
	v_or_b32_e32 v10, 8, v10
	s_mov_b32 s3, 0
.LBB106_29:                             ; =>This Inner Loop Header: Depth=1
	scratch_load_b128 v[16:19], v10, off offset:-8
	ds_load_b128 v[20:23], v9
	v_dual_add_nc_u32 v8, 1, v8 :: v_dual_add_nc_u32 v9, 16, v9
	s_wait_xcnt 0x0
	v_add_nc_u32_e32 v10, 16, v10
	s_delay_alu instid0(VALU_DEP_2) | instskip(SKIP_4) | instid1(VALU_DEP_2)
	v_cmp_lt_u32_e32 vcc_lo, 2, v8
	s_or_b32 s3, vcc_lo, s3
	s_wait_loadcnt_dscnt 0x0
	v_mul_f64_e32 v[12:13], v[22:23], v[18:19]
	v_mul_f64_e32 v[18:19], v[20:21], v[18:19]
	v_fma_f64 v[12:13], v[20:21], v[16:17], -v[12:13]
	s_delay_alu instid0(VALU_DEP_2) | instskip(NEXT) | instid1(VALU_DEP_2)
	v_fmac_f64_e32 v[18:19], v[22:23], v[16:17]
	v_add_f64_e32 v[4:5], v[4:5], v[12:13]
	s_delay_alu instid0(VALU_DEP_2)
	v_add_f64_e32 v[2:3], v[2:3], v[18:19]
	s_and_not1_b32 exec_lo, exec_lo, s3
	s_cbranch_execnz .LBB106_29
; %bb.30:
	s_or_b32 exec_lo, exec_lo, s3
	v_mov_b32_e32 v8, 0
	ds_load_b128 v[8:11], v8 offset:64
	s_wait_dscnt 0x0
	v_mul_f64_e32 v[16:17], v[2:3], v[10:11]
	v_mul_f64_e32 v[12:13], v[4:5], v[10:11]
	s_delay_alu instid0(VALU_DEP_2) | instskip(NEXT) | instid1(VALU_DEP_2)
	v_fma_f64 v[10:11], v[4:5], v[8:9], -v[16:17]
	v_fmac_f64_e32 v[12:13], v[2:3], v[8:9]
	scratch_store_b128 off, v[10:13], off offset:64
.LBB106_31:
	s_wait_xcnt 0x0
	s_or_b32 exec_lo, exec_lo, s2
	s_wait_storecnt 0x0
	s_barrier_signal -1
	s_barrier_wait -1
	scratch_load_b128 v[2:5], off, s54
	;; [unrolled: 54-line block ×19, first 2 shown]
	s_mov_b32 s2, exec_lo
	s_wait_loadcnt 0x0
	ds_store_b128 v6, v[2:5]
	s_wait_dscnt 0x0
	s_barrier_signal -1
	s_barrier_wait -1
	v_cmpx_gt_u32_e32 22, v1
	s_cbranch_execz .LBB106_103
; %bb.100:
	v_dual_mov_b32 v10, v14 :: v_dual_add_nc_u32 v8, -1, v1
	v_mov_b64_e32 v[2:3], 0
	v_mov_b64_e32 v[4:5], 0
	v_add_nc_u32_e32 v9, 0x2b0, v14
	s_delay_alu instid0(VALU_DEP_4)
	v_or_b32_e32 v10, 8, v10
	s_mov_b32 s3, 0
.LBB106_101:                            ; =>This Inner Loop Header: Depth=1
	scratch_load_b128 v[16:19], v10, off offset:-8
	ds_load_b128 v[20:23], v9
	v_dual_add_nc_u32 v8, 1, v8 :: v_dual_add_nc_u32 v9, 16, v9
	s_wait_xcnt 0x0
	v_add_nc_u32_e32 v10, 16, v10
	s_delay_alu instid0(VALU_DEP_2) | instskip(SKIP_4) | instid1(VALU_DEP_2)
	v_cmp_lt_u32_e32 vcc_lo, 20, v8
	s_or_b32 s3, vcc_lo, s3
	s_wait_loadcnt_dscnt 0x0
	v_mul_f64_e32 v[12:13], v[22:23], v[18:19]
	v_mul_f64_e32 v[18:19], v[20:21], v[18:19]
	v_fma_f64 v[12:13], v[20:21], v[16:17], -v[12:13]
	s_delay_alu instid0(VALU_DEP_2) | instskip(NEXT) | instid1(VALU_DEP_2)
	v_fmac_f64_e32 v[18:19], v[22:23], v[16:17]
	v_add_f64_e32 v[4:5], v[4:5], v[12:13]
	s_delay_alu instid0(VALU_DEP_2)
	v_add_f64_e32 v[2:3], v[2:3], v[18:19]
	s_and_not1_b32 exec_lo, exec_lo, s3
	s_cbranch_execnz .LBB106_101
; %bb.102:
	s_or_b32 exec_lo, exec_lo, s3
	v_mov_b32_e32 v8, 0
	ds_load_b128 v[8:11], v8 offset:352
	s_wait_dscnt 0x0
	v_mul_f64_e32 v[16:17], v[2:3], v[10:11]
	v_mul_f64_e32 v[12:13], v[4:5], v[10:11]
	s_delay_alu instid0(VALU_DEP_2) | instskip(NEXT) | instid1(VALU_DEP_2)
	v_fma_f64 v[10:11], v[4:5], v[8:9], -v[16:17]
	v_fmac_f64_e32 v[12:13], v[2:3], v[8:9]
	scratch_store_b128 off, v[10:13], off offset:352
.LBB106_103:
	s_wait_xcnt 0x0
	s_or_b32 exec_lo, exec_lo, s2
	s_wait_storecnt 0x0
	s_barrier_signal -1
	s_barrier_wait -1
	scratch_load_b128 v[2:5], off, s36
	s_mov_b32 s2, exec_lo
	s_wait_loadcnt 0x0
	ds_store_b128 v6, v[2:5]
	s_wait_dscnt 0x0
	s_barrier_signal -1
	s_barrier_wait -1
	v_cmpx_gt_u32_e32 23, v1
	s_cbranch_execz .LBB106_107
; %bb.104:
	v_dual_mov_b32 v10, v14 :: v_dual_add_nc_u32 v8, -1, v1
	v_mov_b64_e32 v[2:3], 0
	v_mov_b64_e32 v[4:5], 0
	v_add_nc_u32_e32 v9, 0x2b0, v14
	s_delay_alu instid0(VALU_DEP_4)
	v_or_b32_e32 v10, 8, v10
	s_mov_b32 s3, 0
.LBB106_105:                            ; =>This Inner Loop Header: Depth=1
	scratch_load_b128 v[16:19], v10, off offset:-8
	ds_load_b128 v[20:23], v9
	v_dual_add_nc_u32 v8, 1, v8 :: v_dual_add_nc_u32 v9, 16, v9
	s_wait_xcnt 0x0
	v_add_nc_u32_e32 v10, 16, v10
	s_delay_alu instid0(VALU_DEP_2) | instskip(SKIP_4) | instid1(VALU_DEP_2)
	v_cmp_lt_u32_e32 vcc_lo, 21, v8
	s_or_b32 s3, vcc_lo, s3
	s_wait_loadcnt_dscnt 0x0
	v_mul_f64_e32 v[12:13], v[22:23], v[18:19]
	v_mul_f64_e32 v[18:19], v[20:21], v[18:19]
	v_fma_f64 v[12:13], v[20:21], v[16:17], -v[12:13]
	s_delay_alu instid0(VALU_DEP_2) | instskip(NEXT) | instid1(VALU_DEP_2)
	v_fmac_f64_e32 v[18:19], v[22:23], v[16:17]
	v_add_f64_e32 v[4:5], v[4:5], v[12:13]
	s_delay_alu instid0(VALU_DEP_2)
	v_add_f64_e32 v[2:3], v[2:3], v[18:19]
	s_and_not1_b32 exec_lo, exec_lo, s3
	s_cbranch_execnz .LBB106_105
; %bb.106:
	s_or_b32 exec_lo, exec_lo, s3
	v_mov_b32_e32 v8, 0
	ds_load_b128 v[8:11], v8 offset:368
	s_wait_dscnt 0x0
	v_mul_f64_e32 v[16:17], v[2:3], v[10:11]
	v_mul_f64_e32 v[12:13], v[4:5], v[10:11]
	s_delay_alu instid0(VALU_DEP_2) | instskip(NEXT) | instid1(VALU_DEP_2)
	v_fma_f64 v[10:11], v[4:5], v[8:9], -v[16:17]
	v_fmac_f64_e32 v[12:13], v[2:3], v[8:9]
	scratch_store_b128 off, v[10:13], off offset:368
.LBB106_107:
	s_wait_xcnt 0x0
	s_or_b32 exec_lo, exec_lo, s2
	s_wait_storecnt 0x0
	s_barrier_signal -1
	s_barrier_wait -1
	scratch_load_b128 v[2:5], off, s35
	;; [unrolled: 54-line block ×20, first 2 shown]
	s_mov_b32 s2, exec_lo
	s_wait_loadcnt 0x0
	ds_store_b128 v6, v[2:5]
	s_wait_dscnt 0x0
	s_barrier_signal -1
	s_barrier_wait -1
	v_cmpx_ne_u32_e32 42, v1
	s_cbranch_execz .LBB106_183
; %bb.180:
	v_mov_b32_e32 v8, v14
	v_mov_b64_e32 v[2:3], 0
	v_mov_b64_e32 v[4:5], 0
	s_mov_b32 s3, 0
	s_delay_alu instid0(VALU_DEP_3)
	v_or_b32_e32 v8, 8, v8
.LBB106_181:                            ; =>This Inner Loop Header: Depth=1
	scratch_load_b128 v[10:13], v8, off offset:-8
	ds_load_b128 v[14:17], v6
	v_dual_add_nc_u32 v7, 1, v7 :: v_dual_add_nc_u32 v6, 16, v6
	s_wait_xcnt 0x0
	v_add_nc_u32_e32 v8, 16, v8
	s_delay_alu instid0(VALU_DEP_2) | instskip(SKIP_4) | instid1(VALU_DEP_2)
	v_cmp_lt_u32_e32 vcc_lo, 40, v7
	s_or_b32 s3, vcc_lo, s3
	s_wait_loadcnt_dscnt 0x0
	v_mul_f64_e32 v[18:19], v[16:17], v[12:13]
	v_mul_f64_e32 v[12:13], v[14:15], v[12:13]
	v_fma_f64 v[14:15], v[14:15], v[10:11], -v[18:19]
	s_delay_alu instid0(VALU_DEP_2) | instskip(NEXT) | instid1(VALU_DEP_2)
	v_fmac_f64_e32 v[12:13], v[16:17], v[10:11]
	v_add_f64_e32 v[4:5], v[4:5], v[14:15]
	s_delay_alu instid0(VALU_DEP_2)
	v_add_f64_e32 v[2:3], v[2:3], v[12:13]
	s_and_not1_b32 exec_lo, exec_lo, s3
	s_cbranch_execnz .LBB106_181
; %bb.182:
	s_or_b32 exec_lo, exec_lo, s3
	v_mov_b32_e32 v6, 0
	ds_load_b128 v[6:9], v6 offset:672
	s_wait_dscnt 0x0
	v_mul_f64_e32 v[12:13], v[2:3], v[8:9]
	v_mul_f64_e32 v[10:11], v[4:5], v[8:9]
	s_delay_alu instid0(VALU_DEP_2) | instskip(NEXT) | instid1(VALU_DEP_2)
	v_fma_f64 v[8:9], v[4:5], v[6:7], -v[12:13]
	v_fmac_f64_e32 v[10:11], v[2:3], v[6:7]
	scratch_store_b128 off, v[8:11], off offset:672
.LBB106_183:
	s_wait_xcnt 0x0
	s_or_b32 exec_lo, exec_lo, s2
	s_mov_b32 s3, -1
	s_wait_storecnt 0x0
	s_barrier_signal -1
	s_barrier_wait -1
.LBB106_184:
	s_and_b32 vcc_lo, exec_lo, s3
	s_cbranch_vccz .LBB106_186
; %bb.185:
	s_wait_xcnt 0x0
	v_mov_b32_e32 v2, 0
	s_lshl_b64 s[2:3], s[10:11], 2
	s_delay_alu instid0(SALU_CYCLE_1)
	s_add_nc_u64 s[2:3], s[6:7], s[2:3]
	global_load_b32 v2, v2, s[2:3]
	s_wait_loadcnt 0x0
	v_cmp_ne_u32_e32 vcc_lo, 0, v2
	s_cbranch_vccz .LBB106_187
.LBB106_186:
	s_sendmsg sendmsg(MSG_DEALLOC_VGPRS)
	s_endpgm
.LBB106_187:
	v_lshl_add_u32 v110, v1, 4, 0x2b0
	s_wait_xcnt 0x0
	s_mov_b32 s2, exec_lo
	v_cmpx_eq_u32_e32 42, v1
	s_cbranch_execz .LBB106_189
; %bb.188:
	scratch_load_b128 v[2:5], off, s15
	v_mov_b32_e32 v6, 0
	s_delay_alu instid0(VALU_DEP_1)
	v_dual_mov_b32 v7, v6 :: v_dual_mov_b32 v8, v6
	v_mov_b32_e32 v9, v6
	scratch_store_b128 off, v[6:9], off offset:656
	s_wait_loadcnt 0x0
	ds_store_b128 v110, v[2:5]
.LBB106_189:
	s_wait_xcnt 0x0
	s_or_b32 exec_lo, exec_lo, s2
	s_wait_storecnt_dscnt 0x0
	s_barrier_signal -1
	s_barrier_wait -1
	s_clause 0x1
	scratch_load_b128 v[4:7], off, off offset:672
	scratch_load_b128 v[8:11], off, off offset:656
	v_mov_b32_e32 v2, 0
	s_mov_b32 s2, exec_lo
	ds_load_b128 v[12:15], v2 offset:1360
	s_wait_loadcnt_dscnt 0x100
	v_mul_f64_e32 v[16:17], v[14:15], v[6:7]
	v_mul_f64_e32 v[6:7], v[12:13], v[6:7]
	s_delay_alu instid0(VALU_DEP_2) | instskip(NEXT) | instid1(VALU_DEP_2)
	v_fma_f64 v[12:13], v[12:13], v[4:5], -v[16:17]
	v_fmac_f64_e32 v[6:7], v[14:15], v[4:5]
	s_delay_alu instid0(VALU_DEP_2) | instskip(NEXT) | instid1(VALU_DEP_2)
	v_add_f64_e32 v[4:5], 0, v[12:13]
	v_add_f64_e32 v[6:7], 0, v[6:7]
	s_wait_loadcnt 0x0
	s_delay_alu instid0(VALU_DEP_2) | instskip(NEXT) | instid1(VALU_DEP_2)
	v_add_f64_e64 v[4:5], v[8:9], -v[4:5]
	v_add_f64_e64 v[6:7], v[10:11], -v[6:7]
	scratch_store_b128 off, v[4:7], off offset:656
	s_wait_xcnt 0x0
	v_cmpx_lt_u32_e32 40, v1
	s_cbranch_execz .LBB106_191
; %bb.190:
	scratch_load_b128 v[6:9], off, s17
	v_dual_mov_b32 v3, v2 :: v_dual_mov_b32 v4, v2
	v_mov_b32_e32 v5, v2
	scratch_store_b128 off, v[2:5], off offset:640
	s_wait_loadcnt 0x0
	ds_store_b128 v110, v[6:9]
.LBB106_191:
	s_wait_xcnt 0x0
	s_or_b32 exec_lo, exec_lo, s2
	s_wait_storecnt_dscnt 0x0
	s_barrier_signal -1
	s_barrier_wait -1
	s_clause 0x2
	scratch_load_b128 v[4:7], off, off offset:656
	scratch_load_b128 v[8:11], off, off offset:672
	;; [unrolled: 1-line block ×3, first 2 shown]
	ds_load_b128 v[16:19], v2 offset:1344
	ds_load_b128 v[20:23], v2 offset:1360
	s_mov_b32 s2, exec_lo
	s_wait_loadcnt_dscnt 0x201
	v_mul_f64_e32 v[2:3], v[18:19], v[6:7]
	v_mul_f64_e32 v[6:7], v[16:17], v[6:7]
	s_wait_loadcnt_dscnt 0x100
	v_mul_f64_e32 v[112:113], v[20:21], v[10:11]
	v_mul_f64_e32 v[10:11], v[22:23], v[10:11]
	s_delay_alu instid0(VALU_DEP_4) | instskip(NEXT) | instid1(VALU_DEP_4)
	v_fma_f64 v[2:3], v[16:17], v[4:5], -v[2:3]
	v_fmac_f64_e32 v[6:7], v[18:19], v[4:5]
	s_delay_alu instid0(VALU_DEP_4) | instskip(NEXT) | instid1(VALU_DEP_4)
	v_fmac_f64_e32 v[112:113], v[22:23], v[8:9]
	v_fma_f64 v[4:5], v[20:21], v[8:9], -v[10:11]
	s_delay_alu instid0(VALU_DEP_4) | instskip(NEXT) | instid1(VALU_DEP_4)
	v_add_f64_e32 v[2:3], 0, v[2:3]
	v_add_f64_e32 v[6:7], 0, v[6:7]
	s_delay_alu instid0(VALU_DEP_2) | instskip(NEXT) | instid1(VALU_DEP_2)
	v_add_f64_e32 v[2:3], v[2:3], v[4:5]
	v_add_f64_e32 v[4:5], v[6:7], v[112:113]
	s_wait_loadcnt 0x0
	s_delay_alu instid0(VALU_DEP_2) | instskip(NEXT) | instid1(VALU_DEP_2)
	v_add_f64_e64 v[2:3], v[12:13], -v[2:3]
	v_add_f64_e64 v[4:5], v[14:15], -v[4:5]
	scratch_store_b128 off, v[2:5], off offset:640
	s_wait_xcnt 0x0
	v_cmpx_lt_u32_e32 39, v1
	s_cbranch_execz .LBB106_193
; %bb.192:
	scratch_load_b128 v[2:5], off, s19
	v_mov_b32_e32 v6, 0
	s_delay_alu instid0(VALU_DEP_1)
	v_dual_mov_b32 v7, v6 :: v_dual_mov_b32 v8, v6
	v_mov_b32_e32 v9, v6
	scratch_store_b128 off, v[6:9], off offset:624
	s_wait_loadcnt 0x0
	ds_store_b128 v110, v[2:5]
.LBB106_193:
	s_wait_xcnt 0x0
	s_or_b32 exec_lo, exec_lo, s2
	s_wait_storecnt_dscnt 0x0
	s_barrier_signal -1
	s_barrier_wait -1
	s_clause 0x3
	scratch_load_b128 v[4:7], off, off offset:640
	scratch_load_b128 v[8:11], off, off offset:656
	;; [unrolled: 1-line block ×4, first 2 shown]
	v_mov_b32_e32 v2, 0
	ds_load_b128 v[20:23], v2 offset:1328
	ds_load_b128 v[112:115], v2 offset:1344
	s_mov_b32 s2, exec_lo
	s_wait_loadcnt_dscnt 0x301
	v_mul_f64_e32 v[116:117], v[22:23], v[6:7]
	v_mul_f64_e32 v[118:119], v[20:21], v[6:7]
	s_wait_loadcnt_dscnt 0x200
	v_mul_f64_e32 v[120:121], v[112:113], v[10:11]
	v_mul_f64_e32 v[10:11], v[114:115], v[10:11]
	s_delay_alu instid0(VALU_DEP_4) | instskip(NEXT) | instid1(VALU_DEP_4)
	v_fma_f64 v[20:21], v[20:21], v[4:5], -v[116:117]
	v_fmac_f64_e32 v[118:119], v[22:23], v[4:5]
	ds_load_b128 v[4:7], v2 offset:1360
	v_fmac_f64_e32 v[120:121], v[114:115], v[8:9]
	v_fma_f64 v[8:9], v[112:113], v[8:9], -v[10:11]
	s_wait_loadcnt_dscnt 0x100
	v_mul_f64_e32 v[22:23], v[4:5], v[14:15]
	v_mul_f64_e32 v[14:15], v[6:7], v[14:15]
	v_add_f64_e32 v[10:11], 0, v[20:21]
	v_add_f64_e32 v[20:21], 0, v[118:119]
	s_delay_alu instid0(VALU_DEP_4) | instskip(NEXT) | instid1(VALU_DEP_4)
	v_fmac_f64_e32 v[22:23], v[6:7], v[12:13]
	v_fma_f64 v[4:5], v[4:5], v[12:13], -v[14:15]
	s_delay_alu instid0(VALU_DEP_4) | instskip(NEXT) | instid1(VALU_DEP_4)
	v_add_f64_e32 v[6:7], v[10:11], v[8:9]
	v_add_f64_e32 v[8:9], v[20:21], v[120:121]
	s_delay_alu instid0(VALU_DEP_2) | instskip(NEXT) | instid1(VALU_DEP_2)
	v_add_f64_e32 v[4:5], v[6:7], v[4:5]
	v_add_f64_e32 v[6:7], v[8:9], v[22:23]
	s_wait_loadcnt 0x0
	s_delay_alu instid0(VALU_DEP_2) | instskip(NEXT) | instid1(VALU_DEP_2)
	v_add_f64_e64 v[4:5], v[16:17], -v[4:5]
	v_add_f64_e64 v[6:7], v[18:19], -v[6:7]
	scratch_store_b128 off, v[4:7], off offset:624
	s_wait_xcnt 0x0
	v_cmpx_lt_u32_e32 38, v1
	s_cbranch_execz .LBB106_195
; %bb.194:
	scratch_load_b128 v[6:9], off, s20
	v_dual_mov_b32 v3, v2 :: v_dual_mov_b32 v4, v2
	v_mov_b32_e32 v5, v2
	scratch_store_b128 off, v[2:5], off offset:608
	s_wait_loadcnt 0x0
	ds_store_b128 v110, v[6:9]
.LBB106_195:
	s_wait_xcnt 0x0
	s_or_b32 exec_lo, exec_lo, s2
	s_wait_storecnt_dscnt 0x0
	s_barrier_signal -1
	s_barrier_wait -1
	s_clause 0x4
	scratch_load_b128 v[4:7], off, off offset:624
	scratch_load_b128 v[8:11], off, off offset:640
	;; [unrolled: 1-line block ×5, first 2 shown]
	ds_load_b128 v[112:115], v2 offset:1312
	ds_load_b128 v[116:119], v2 offset:1328
	s_mov_b32 s2, exec_lo
	s_wait_loadcnt_dscnt 0x401
	v_mul_f64_e32 v[120:121], v[114:115], v[6:7]
	v_mul_f64_e32 v[122:123], v[112:113], v[6:7]
	s_wait_loadcnt_dscnt 0x300
	v_mul_f64_e32 v[124:125], v[116:117], v[10:11]
	v_mul_f64_e32 v[10:11], v[118:119], v[10:11]
	s_delay_alu instid0(VALU_DEP_4) | instskip(NEXT) | instid1(VALU_DEP_4)
	v_fma_f64 v[120:121], v[112:113], v[4:5], -v[120:121]
	v_fmac_f64_e32 v[122:123], v[114:115], v[4:5]
	ds_load_b128 v[4:7], v2 offset:1344
	ds_load_b128 v[112:115], v2 offset:1360
	v_fmac_f64_e32 v[124:125], v[118:119], v[8:9]
	v_fma_f64 v[8:9], v[116:117], v[8:9], -v[10:11]
	s_wait_loadcnt_dscnt 0x201
	v_mul_f64_e32 v[2:3], v[4:5], v[14:15]
	v_mul_f64_e32 v[14:15], v[6:7], v[14:15]
	s_wait_loadcnt_dscnt 0x100
	v_mul_f64_e32 v[118:119], v[112:113], v[18:19]
	v_mul_f64_e32 v[18:19], v[114:115], v[18:19]
	v_add_f64_e32 v[10:11], 0, v[120:121]
	v_add_f64_e32 v[116:117], 0, v[122:123]
	v_fmac_f64_e32 v[2:3], v[6:7], v[12:13]
	v_fma_f64 v[4:5], v[4:5], v[12:13], -v[14:15]
	v_fmac_f64_e32 v[118:119], v[114:115], v[16:17]
	v_add_f64_e32 v[6:7], v[10:11], v[8:9]
	v_add_f64_e32 v[8:9], v[116:117], v[124:125]
	v_fma_f64 v[10:11], v[112:113], v[16:17], -v[18:19]
	s_delay_alu instid0(VALU_DEP_3) | instskip(NEXT) | instid1(VALU_DEP_3)
	v_add_f64_e32 v[4:5], v[6:7], v[4:5]
	v_add_f64_e32 v[2:3], v[8:9], v[2:3]
	s_delay_alu instid0(VALU_DEP_2) | instskip(NEXT) | instid1(VALU_DEP_2)
	v_add_f64_e32 v[4:5], v[4:5], v[10:11]
	v_add_f64_e32 v[6:7], v[2:3], v[118:119]
	s_wait_loadcnt 0x0
	s_delay_alu instid0(VALU_DEP_2) | instskip(NEXT) | instid1(VALU_DEP_2)
	v_add_f64_e64 v[2:3], v[20:21], -v[4:5]
	v_add_f64_e64 v[4:5], v[22:23], -v[6:7]
	scratch_store_b128 off, v[2:5], off offset:608
	s_wait_xcnt 0x0
	v_cmpx_lt_u32_e32 37, v1
	s_cbranch_execz .LBB106_197
; %bb.196:
	scratch_load_b128 v[2:5], off, s21
	v_mov_b32_e32 v6, 0
	s_delay_alu instid0(VALU_DEP_1)
	v_dual_mov_b32 v7, v6 :: v_dual_mov_b32 v8, v6
	v_mov_b32_e32 v9, v6
	scratch_store_b128 off, v[6:9], off offset:592
	s_wait_loadcnt 0x0
	ds_store_b128 v110, v[2:5]
.LBB106_197:
	s_wait_xcnt 0x0
	s_or_b32 exec_lo, exec_lo, s2
	s_wait_storecnt_dscnt 0x0
	s_barrier_signal -1
	s_barrier_wait -1
	s_clause 0x5
	scratch_load_b128 v[4:7], off, off offset:608
	scratch_load_b128 v[8:11], off, off offset:624
	;; [unrolled: 1-line block ×6, first 2 shown]
	v_mov_b32_e32 v2, 0
	ds_load_b128 v[116:119], v2 offset:1296
	ds_load_b128 v[120:123], v2 offset:1312
	s_mov_b32 s2, exec_lo
	s_wait_loadcnt_dscnt 0x501
	v_mul_f64_e32 v[124:125], v[118:119], v[6:7]
	v_mul_f64_e32 v[126:127], v[116:117], v[6:7]
	s_wait_loadcnt_dscnt 0x400
	v_mul_f64_e32 v[128:129], v[120:121], v[10:11]
	v_mul_f64_e32 v[10:11], v[122:123], v[10:11]
	s_delay_alu instid0(VALU_DEP_4) | instskip(NEXT) | instid1(VALU_DEP_4)
	v_fma_f64 v[124:125], v[116:117], v[4:5], -v[124:125]
	v_fmac_f64_e32 v[126:127], v[118:119], v[4:5]
	ds_load_b128 v[4:7], v2 offset:1328
	ds_load_b128 v[116:119], v2 offset:1344
	v_fmac_f64_e32 v[128:129], v[122:123], v[8:9]
	v_fma_f64 v[8:9], v[120:121], v[8:9], -v[10:11]
	s_wait_loadcnt_dscnt 0x301
	v_mul_f64_e32 v[130:131], v[4:5], v[14:15]
	v_mul_f64_e32 v[14:15], v[6:7], v[14:15]
	s_wait_loadcnt_dscnt 0x200
	v_mul_f64_e32 v[122:123], v[116:117], v[18:19]
	v_mul_f64_e32 v[18:19], v[118:119], v[18:19]
	v_add_f64_e32 v[10:11], 0, v[124:125]
	v_add_f64_e32 v[120:121], 0, v[126:127]
	v_fmac_f64_e32 v[130:131], v[6:7], v[12:13]
	v_fma_f64 v[12:13], v[4:5], v[12:13], -v[14:15]
	ds_load_b128 v[4:7], v2 offset:1360
	v_fmac_f64_e32 v[122:123], v[118:119], v[16:17]
	v_fma_f64 v[16:17], v[116:117], v[16:17], -v[18:19]
	v_add_f64_e32 v[8:9], v[10:11], v[8:9]
	v_add_f64_e32 v[10:11], v[120:121], v[128:129]
	s_wait_loadcnt_dscnt 0x100
	v_mul_f64_e32 v[14:15], v[4:5], v[22:23]
	v_mul_f64_e32 v[22:23], v[6:7], v[22:23]
	s_delay_alu instid0(VALU_DEP_4) | instskip(NEXT) | instid1(VALU_DEP_4)
	v_add_f64_e32 v[8:9], v[8:9], v[12:13]
	v_add_f64_e32 v[10:11], v[10:11], v[130:131]
	s_delay_alu instid0(VALU_DEP_4) | instskip(NEXT) | instid1(VALU_DEP_4)
	v_fmac_f64_e32 v[14:15], v[6:7], v[20:21]
	v_fma_f64 v[4:5], v[4:5], v[20:21], -v[22:23]
	s_delay_alu instid0(VALU_DEP_4) | instskip(NEXT) | instid1(VALU_DEP_4)
	v_add_f64_e32 v[6:7], v[8:9], v[16:17]
	v_add_f64_e32 v[8:9], v[10:11], v[122:123]
	s_delay_alu instid0(VALU_DEP_2) | instskip(NEXT) | instid1(VALU_DEP_2)
	v_add_f64_e32 v[4:5], v[6:7], v[4:5]
	v_add_f64_e32 v[6:7], v[8:9], v[14:15]
	s_wait_loadcnt 0x0
	s_delay_alu instid0(VALU_DEP_2) | instskip(NEXT) | instid1(VALU_DEP_2)
	v_add_f64_e64 v[4:5], v[112:113], -v[4:5]
	v_add_f64_e64 v[6:7], v[114:115], -v[6:7]
	scratch_store_b128 off, v[4:7], off offset:592
	s_wait_xcnt 0x0
	v_cmpx_lt_u32_e32 36, v1
	s_cbranch_execz .LBB106_199
; %bb.198:
	scratch_load_b128 v[6:9], off, s22
	v_dual_mov_b32 v3, v2 :: v_dual_mov_b32 v4, v2
	v_mov_b32_e32 v5, v2
	scratch_store_b128 off, v[2:5], off offset:576
	s_wait_loadcnt 0x0
	ds_store_b128 v110, v[6:9]
.LBB106_199:
	s_wait_xcnt 0x0
	s_or_b32 exec_lo, exec_lo, s2
	s_wait_storecnt_dscnt 0x0
	s_barrier_signal -1
	s_barrier_wait -1
	s_clause 0x6
	scratch_load_b128 v[4:7], off, off offset:592
	scratch_load_b128 v[8:11], off, off offset:608
	;; [unrolled: 1-line block ×7, first 2 shown]
	ds_load_b128 v[120:123], v2 offset:1280
	ds_load_b128 v[124:127], v2 offset:1296
	s_mov_b32 s2, exec_lo
	s_wait_loadcnt_dscnt 0x601
	v_mul_f64_e32 v[128:129], v[122:123], v[6:7]
	v_mul_f64_e32 v[130:131], v[120:121], v[6:7]
	s_wait_loadcnt_dscnt 0x500
	v_mul_f64_e32 v[132:133], v[124:125], v[10:11]
	v_mul_f64_e32 v[10:11], v[126:127], v[10:11]
	s_delay_alu instid0(VALU_DEP_4) | instskip(NEXT) | instid1(VALU_DEP_4)
	v_fma_f64 v[128:129], v[120:121], v[4:5], -v[128:129]
	v_fmac_f64_e32 v[130:131], v[122:123], v[4:5]
	ds_load_b128 v[4:7], v2 offset:1312
	ds_load_b128 v[120:123], v2 offset:1328
	v_fmac_f64_e32 v[132:133], v[126:127], v[8:9]
	v_fma_f64 v[8:9], v[124:125], v[8:9], -v[10:11]
	s_wait_loadcnt_dscnt 0x401
	v_mul_f64_e32 v[134:135], v[4:5], v[14:15]
	v_mul_f64_e32 v[14:15], v[6:7], v[14:15]
	s_wait_loadcnt_dscnt 0x300
	v_mul_f64_e32 v[126:127], v[120:121], v[18:19]
	v_mul_f64_e32 v[18:19], v[122:123], v[18:19]
	v_add_f64_e32 v[10:11], 0, v[128:129]
	v_add_f64_e32 v[124:125], 0, v[130:131]
	v_fmac_f64_e32 v[134:135], v[6:7], v[12:13]
	v_fma_f64 v[12:13], v[4:5], v[12:13], -v[14:15]
	v_fmac_f64_e32 v[126:127], v[122:123], v[16:17]
	v_fma_f64 v[16:17], v[120:121], v[16:17], -v[18:19]
	v_add_f64_e32 v[14:15], v[10:11], v[8:9]
	v_add_f64_e32 v[124:125], v[124:125], v[132:133]
	ds_load_b128 v[4:7], v2 offset:1344
	ds_load_b128 v[8:11], v2 offset:1360
	s_wait_loadcnt_dscnt 0x201
	v_mul_f64_e32 v[2:3], v[4:5], v[22:23]
	v_mul_f64_e32 v[22:23], v[6:7], v[22:23]
	s_wait_loadcnt_dscnt 0x100
	v_mul_f64_e32 v[18:19], v[8:9], v[114:115]
	v_mul_f64_e32 v[114:115], v[10:11], v[114:115]
	v_add_f64_e32 v[12:13], v[14:15], v[12:13]
	v_add_f64_e32 v[14:15], v[124:125], v[134:135]
	v_fmac_f64_e32 v[2:3], v[6:7], v[20:21]
	v_fma_f64 v[4:5], v[4:5], v[20:21], -v[22:23]
	v_fmac_f64_e32 v[18:19], v[10:11], v[112:113]
	v_fma_f64 v[8:9], v[8:9], v[112:113], -v[114:115]
	v_add_f64_e32 v[6:7], v[12:13], v[16:17]
	v_add_f64_e32 v[12:13], v[14:15], v[126:127]
	s_delay_alu instid0(VALU_DEP_2) | instskip(NEXT) | instid1(VALU_DEP_2)
	v_add_f64_e32 v[4:5], v[6:7], v[4:5]
	v_add_f64_e32 v[2:3], v[12:13], v[2:3]
	s_delay_alu instid0(VALU_DEP_2) | instskip(NEXT) | instid1(VALU_DEP_2)
	v_add_f64_e32 v[4:5], v[4:5], v[8:9]
	v_add_f64_e32 v[6:7], v[2:3], v[18:19]
	s_wait_loadcnt 0x0
	s_delay_alu instid0(VALU_DEP_2) | instskip(NEXT) | instid1(VALU_DEP_2)
	v_add_f64_e64 v[2:3], v[116:117], -v[4:5]
	v_add_f64_e64 v[4:5], v[118:119], -v[6:7]
	scratch_store_b128 off, v[2:5], off offset:576
	s_wait_xcnt 0x0
	v_cmpx_lt_u32_e32 35, v1
	s_cbranch_execz .LBB106_201
; %bb.200:
	scratch_load_b128 v[2:5], off, s23
	v_mov_b32_e32 v6, 0
	s_delay_alu instid0(VALU_DEP_1)
	v_dual_mov_b32 v7, v6 :: v_dual_mov_b32 v8, v6
	v_mov_b32_e32 v9, v6
	scratch_store_b128 off, v[6:9], off offset:560
	s_wait_loadcnt 0x0
	ds_store_b128 v110, v[2:5]
.LBB106_201:
	s_wait_xcnt 0x0
	s_or_b32 exec_lo, exec_lo, s2
	s_wait_storecnt_dscnt 0x0
	s_barrier_signal -1
	s_barrier_wait -1
	s_clause 0x7
	scratch_load_b128 v[4:7], off, off offset:576
	scratch_load_b128 v[8:11], off, off offset:592
	;; [unrolled: 1-line block ×8, first 2 shown]
	v_mov_b32_e32 v2, 0
	ds_load_b128 v[124:127], v2 offset:1264
	ds_load_b128 v[128:131], v2 offset:1280
	s_mov_b32 s2, exec_lo
	s_wait_loadcnt_dscnt 0x701
	v_mul_f64_e32 v[132:133], v[126:127], v[6:7]
	v_mul_f64_e32 v[134:135], v[124:125], v[6:7]
	s_wait_loadcnt_dscnt 0x600
	v_mul_f64_e32 v[136:137], v[128:129], v[10:11]
	v_mul_f64_e32 v[10:11], v[130:131], v[10:11]
	s_delay_alu instid0(VALU_DEP_4) | instskip(NEXT) | instid1(VALU_DEP_4)
	v_fma_f64 v[132:133], v[124:125], v[4:5], -v[132:133]
	v_fmac_f64_e32 v[134:135], v[126:127], v[4:5]
	ds_load_b128 v[4:7], v2 offset:1296
	ds_load_b128 v[124:127], v2 offset:1312
	v_fmac_f64_e32 v[136:137], v[130:131], v[8:9]
	v_fma_f64 v[8:9], v[128:129], v[8:9], -v[10:11]
	s_wait_loadcnt_dscnt 0x501
	v_mul_f64_e32 v[138:139], v[4:5], v[14:15]
	v_mul_f64_e32 v[14:15], v[6:7], v[14:15]
	s_wait_loadcnt_dscnt 0x400
	v_mul_f64_e32 v[130:131], v[124:125], v[18:19]
	v_mul_f64_e32 v[18:19], v[126:127], v[18:19]
	v_add_f64_e32 v[10:11], 0, v[132:133]
	v_add_f64_e32 v[128:129], 0, v[134:135]
	v_fmac_f64_e32 v[138:139], v[6:7], v[12:13]
	v_fma_f64 v[12:13], v[4:5], v[12:13], -v[14:15]
	v_fmac_f64_e32 v[130:131], v[126:127], v[16:17]
	v_fma_f64 v[16:17], v[124:125], v[16:17], -v[18:19]
	v_add_f64_e32 v[14:15], v[10:11], v[8:9]
	v_add_f64_e32 v[128:129], v[128:129], v[136:137]
	ds_load_b128 v[4:7], v2 offset:1328
	ds_load_b128 v[8:11], v2 offset:1344
	s_wait_loadcnt_dscnt 0x301
	v_mul_f64_e32 v[132:133], v[4:5], v[22:23]
	v_mul_f64_e32 v[22:23], v[6:7], v[22:23]
	s_wait_loadcnt_dscnt 0x200
	v_mul_f64_e32 v[18:19], v[8:9], v[114:115]
	v_mul_f64_e32 v[114:115], v[10:11], v[114:115]
	v_add_f64_e32 v[12:13], v[14:15], v[12:13]
	v_add_f64_e32 v[14:15], v[128:129], v[138:139]
	v_fmac_f64_e32 v[132:133], v[6:7], v[20:21]
	v_fma_f64 v[20:21], v[4:5], v[20:21], -v[22:23]
	ds_load_b128 v[4:7], v2 offset:1360
	v_fmac_f64_e32 v[18:19], v[10:11], v[112:113]
	v_fma_f64 v[8:9], v[8:9], v[112:113], -v[114:115]
	v_add_f64_e32 v[12:13], v[12:13], v[16:17]
	v_add_f64_e32 v[14:15], v[14:15], v[130:131]
	s_wait_loadcnt_dscnt 0x100
	v_mul_f64_e32 v[16:17], v[4:5], v[118:119]
	v_mul_f64_e32 v[22:23], v[6:7], v[118:119]
	s_delay_alu instid0(VALU_DEP_4) | instskip(NEXT) | instid1(VALU_DEP_4)
	v_add_f64_e32 v[10:11], v[12:13], v[20:21]
	v_add_f64_e32 v[12:13], v[14:15], v[132:133]
	s_delay_alu instid0(VALU_DEP_4) | instskip(NEXT) | instid1(VALU_DEP_4)
	v_fmac_f64_e32 v[16:17], v[6:7], v[116:117]
	v_fma_f64 v[4:5], v[4:5], v[116:117], -v[22:23]
	s_delay_alu instid0(VALU_DEP_4) | instskip(NEXT) | instid1(VALU_DEP_4)
	v_add_f64_e32 v[6:7], v[10:11], v[8:9]
	v_add_f64_e32 v[8:9], v[12:13], v[18:19]
	s_delay_alu instid0(VALU_DEP_2) | instskip(NEXT) | instid1(VALU_DEP_2)
	v_add_f64_e32 v[4:5], v[6:7], v[4:5]
	v_add_f64_e32 v[6:7], v[8:9], v[16:17]
	s_wait_loadcnt 0x0
	s_delay_alu instid0(VALU_DEP_2) | instskip(NEXT) | instid1(VALU_DEP_2)
	v_add_f64_e64 v[4:5], v[120:121], -v[4:5]
	v_add_f64_e64 v[6:7], v[122:123], -v[6:7]
	scratch_store_b128 off, v[4:7], off offset:560
	s_wait_xcnt 0x0
	v_cmpx_lt_u32_e32 34, v1
	s_cbranch_execz .LBB106_203
; %bb.202:
	scratch_load_b128 v[6:9], off, s24
	v_dual_mov_b32 v3, v2 :: v_dual_mov_b32 v4, v2
	v_mov_b32_e32 v5, v2
	scratch_store_b128 off, v[2:5], off offset:544
	s_wait_loadcnt 0x0
	ds_store_b128 v110, v[6:9]
.LBB106_203:
	s_wait_xcnt 0x0
	s_or_b32 exec_lo, exec_lo, s2
	s_wait_storecnt_dscnt 0x0
	s_barrier_signal -1
	s_barrier_wait -1
	s_clause 0x7
	scratch_load_b128 v[4:7], off, off offset:560
	scratch_load_b128 v[8:11], off, off offset:576
	;; [unrolled: 1-line block ×8, first 2 shown]
	ds_load_b128 v[124:127], v2 offset:1248
	ds_load_b128 v[128:131], v2 offset:1264
	scratch_load_b128 v[132:135], off, off offset:544
	s_mov_b32 s2, exec_lo
	s_wait_loadcnt_dscnt 0x801
	v_mul_f64_e32 v[136:137], v[126:127], v[6:7]
	v_mul_f64_e32 v[138:139], v[124:125], v[6:7]
	s_wait_loadcnt_dscnt 0x700
	v_mul_f64_e32 v[140:141], v[128:129], v[10:11]
	v_mul_f64_e32 v[10:11], v[130:131], v[10:11]
	s_delay_alu instid0(VALU_DEP_4) | instskip(NEXT) | instid1(VALU_DEP_4)
	v_fma_f64 v[136:137], v[124:125], v[4:5], -v[136:137]
	v_fmac_f64_e32 v[138:139], v[126:127], v[4:5]
	ds_load_b128 v[4:7], v2 offset:1280
	ds_load_b128 v[124:127], v2 offset:1296
	v_fmac_f64_e32 v[140:141], v[130:131], v[8:9]
	v_fma_f64 v[8:9], v[128:129], v[8:9], -v[10:11]
	s_wait_loadcnt_dscnt 0x601
	v_mul_f64_e32 v[142:143], v[4:5], v[14:15]
	v_mul_f64_e32 v[14:15], v[6:7], v[14:15]
	s_wait_loadcnt_dscnt 0x500
	v_mul_f64_e32 v[130:131], v[124:125], v[18:19]
	v_mul_f64_e32 v[18:19], v[126:127], v[18:19]
	v_add_f64_e32 v[10:11], 0, v[136:137]
	v_add_f64_e32 v[128:129], 0, v[138:139]
	v_fmac_f64_e32 v[142:143], v[6:7], v[12:13]
	v_fma_f64 v[12:13], v[4:5], v[12:13], -v[14:15]
	v_fmac_f64_e32 v[130:131], v[126:127], v[16:17]
	v_fma_f64 v[16:17], v[124:125], v[16:17], -v[18:19]
	v_add_f64_e32 v[14:15], v[10:11], v[8:9]
	v_add_f64_e32 v[128:129], v[128:129], v[140:141]
	ds_load_b128 v[4:7], v2 offset:1312
	ds_load_b128 v[8:11], v2 offset:1328
	s_wait_loadcnt_dscnt 0x401
	v_mul_f64_e32 v[136:137], v[4:5], v[22:23]
	v_mul_f64_e32 v[22:23], v[6:7], v[22:23]
	s_wait_loadcnt_dscnt 0x300
	v_mul_f64_e32 v[18:19], v[8:9], v[114:115]
	v_mul_f64_e32 v[114:115], v[10:11], v[114:115]
	v_add_f64_e32 v[12:13], v[14:15], v[12:13]
	v_add_f64_e32 v[14:15], v[128:129], v[142:143]
	v_fmac_f64_e32 v[136:137], v[6:7], v[20:21]
	v_fma_f64 v[20:21], v[4:5], v[20:21], -v[22:23]
	v_fmac_f64_e32 v[18:19], v[10:11], v[112:113]
	v_fma_f64 v[8:9], v[8:9], v[112:113], -v[114:115]
	v_add_f64_e32 v[16:17], v[12:13], v[16:17]
	v_add_f64_e32 v[22:23], v[14:15], v[130:131]
	ds_load_b128 v[4:7], v2 offset:1344
	ds_load_b128 v[12:15], v2 offset:1360
	s_wait_loadcnt_dscnt 0x201
	v_mul_f64_e32 v[2:3], v[4:5], v[118:119]
	v_mul_f64_e32 v[118:119], v[6:7], v[118:119]
	v_add_f64_e32 v[10:11], v[16:17], v[20:21]
	v_add_f64_e32 v[16:17], v[22:23], v[136:137]
	s_wait_loadcnt_dscnt 0x100
	v_mul_f64_e32 v[20:21], v[12:13], v[122:123]
	v_mul_f64_e32 v[22:23], v[14:15], v[122:123]
	v_fmac_f64_e32 v[2:3], v[6:7], v[116:117]
	v_fma_f64 v[4:5], v[4:5], v[116:117], -v[118:119]
	v_add_f64_e32 v[6:7], v[10:11], v[8:9]
	v_add_f64_e32 v[8:9], v[16:17], v[18:19]
	v_fmac_f64_e32 v[20:21], v[14:15], v[120:121]
	v_fma_f64 v[10:11], v[12:13], v[120:121], -v[22:23]
	s_delay_alu instid0(VALU_DEP_4) | instskip(NEXT) | instid1(VALU_DEP_4)
	v_add_f64_e32 v[4:5], v[6:7], v[4:5]
	v_add_f64_e32 v[2:3], v[8:9], v[2:3]
	s_delay_alu instid0(VALU_DEP_2) | instskip(NEXT) | instid1(VALU_DEP_2)
	v_add_f64_e32 v[4:5], v[4:5], v[10:11]
	v_add_f64_e32 v[6:7], v[2:3], v[20:21]
	s_wait_loadcnt 0x0
	s_delay_alu instid0(VALU_DEP_2) | instskip(NEXT) | instid1(VALU_DEP_2)
	v_add_f64_e64 v[2:3], v[132:133], -v[4:5]
	v_add_f64_e64 v[4:5], v[134:135], -v[6:7]
	scratch_store_b128 off, v[2:5], off offset:544
	s_wait_xcnt 0x0
	v_cmpx_lt_u32_e32 33, v1
	s_cbranch_execz .LBB106_205
; %bb.204:
	scratch_load_b128 v[2:5], off, s25
	v_mov_b32_e32 v6, 0
	s_delay_alu instid0(VALU_DEP_1)
	v_dual_mov_b32 v7, v6 :: v_dual_mov_b32 v8, v6
	v_mov_b32_e32 v9, v6
	scratch_store_b128 off, v[6:9], off offset:528
	s_wait_loadcnt 0x0
	ds_store_b128 v110, v[2:5]
.LBB106_205:
	s_wait_xcnt 0x0
	s_or_b32 exec_lo, exec_lo, s2
	s_wait_storecnt_dscnt 0x0
	s_barrier_signal -1
	s_barrier_wait -1
	s_clause 0x8
	scratch_load_b128 v[4:7], off, off offset:544
	scratch_load_b128 v[8:11], off, off offset:560
	;; [unrolled: 1-line block ×9, first 2 shown]
	v_mov_b32_e32 v2, 0
	scratch_load_b128 v[132:135], off, off offset:528
	s_mov_b32 s2, exec_lo
	ds_load_b128 v[128:131], v2 offset:1232
	ds_load_b128 v[136:139], v2 offset:1248
	s_wait_loadcnt_dscnt 0x901
	v_mul_f64_e32 v[140:141], v[130:131], v[6:7]
	v_mul_f64_e32 v[142:143], v[128:129], v[6:7]
	s_wait_loadcnt_dscnt 0x800
	v_mul_f64_e32 v[144:145], v[136:137], v[10:11]
	v_mul_f64_e32 v[10:11], v[138:139], v[10:11]
	s_delay_alu instid0(VALU_DEP_4) | instskip(NEXT) | instid1(VALU_DEP_4)
	v_fma_f64 v[140:141], v[128:129], v[4:5], -v[140:141]
	v_fmac_f64_e32 v[142:143], v[130:131], v[4:5]
	ds_load_b128 v[4:7], v2 offset:1264
	ds_load_b128 v[128:131], v2 offset:1280
	v_fmac_f64_e32 v[144:145], v[138:139], v[8:9]
	v_fma_f64 v[8:9], v[136:137], v[8:9], -v[10:11]
	s_wait_loadcnt_dscnt 0x701
	v_mul_f64_e32 v[146:147], v[4:5], v[14:15]
	v_mul_f64_e32 v[14:15], v[6:7], v[14:15]
	s_wait_loadcnt_dscnt 0x600
	v_mul_f64_e32 v[138:139], v[128:129], v[18:19]
	v_mul_f64_e32 v[18:19], v[130:131], v[18:19]
	v_add_f64_e32 v[10:11], 0, v[140:141]
	v_add_f64_e32 v[136:137], 0, v[142:143]
	v_fmac_f64_e32 v[146:147], v[6:7], v[12:13]
	v_fma_f64 v[12:13], v[4:5], v[12:13], -v[14:15]
	v_fmac_f64_e32 v[138:139], v[130:131], v[16:17]
	v_fma_f64 v[16:17], v[128:129], v[16:17], -v[18:19]
	v_add_f64_e32 v[14:15], v[10:11], v[8:9]
	v_add_f64_e32 v[136:137], v[136:137], v[144:145]
	ds_load_b128 v[4:7], v2 offset:1296
	ds_load_b128 v[8:11], v2 offset:1312
	s_wait_loadcnt_dscnt 0x501
	v_mul_f64_e32 v[140:141], v[4:5], v[22:23]
	v_mul_f64_e32 v[22:23], v[6:7], v[22:23]
	s_wait_loadcnt_dscnt 0x400
	v_mul_f64_e32 v[18:19], v[8:9], v[114:115]
	v_mul_f64_e32 v[114:115], v[10:11], v[114:115]
	v_add_f64_e32 v[12:13], v[14:15], v[12:13]
	v_add_f64_e32 v[14:15], v[136:137], v[146:147]
	v_fmac_f64_e32 v[140:141], v[6:7], v[20:21]
	v_fma_f64 v[20:21], v[4:5], v[20:21], -v[22:23]
	v_fmac_f64_e32 v[18:19], v[10:11], v[112:113]
	v_fma_f64 v[8:9], v[8:9], v[112:113], -v[114:115]
	v_add_f64_e32 v[16:17], v[12:13], v[16:17]
	v_add_f64_e32 v[22:23], v[14:15], v[138:139]
	ds_load_b128 v[4:7], v2 offset:1328
	ds_load_b128 v[12:15], v2 offset:1344
	s_wait_loadcnt_dscnt 0x301
	v_mul_f64_e32 v[128:129], v[4:5], v[118:119]
	v_mul_f64_e32 v[118:119], v[6:7], v[118:119]
	v_add_f64_e32 v[10:11], v[16:17], v[20:21]
	v_add_f64_e32 v[16:17], v[22:23], v[140:141]
	s_wait_loadcnt_dscnt 0x200
	v_mul_f64_e32 v[20:21], v[12:13], v[122:123]
	v_mul_f64_e32 v[22:23], v[14:15], v[122:123]
	v_fmac_f64_e32 v[128:129], v[6:7], v[116:117]
	v_fma_f64 v[112:113], v[4:5], v[116:117], -v[118:119]
	ds_load_b128 v[4:7], v2 offset:1360
	v_add_f64_e32 v[8:9], v[10:11], v[8:9]
	v_add_f64_e32 v[10:11], v[16:17], v[18:19]
	v_fmac_f64_e32 v[20:21], v[14:15], v[120:121]
	v_fma_f64 v[12:13], v[12:13], v[120:121], -v[22:23]
	s_wait_loadcnt_dscnt 0x100
	v_mul_f64_e32 v[16:17], v[4:5], v[126:127]
	v_mul_f64_e32 v[18:19], v[6:7], v[126:127]
	v_add_f64_e32 v[8:9], v[8:9], v[112:113]
	v_add_f64_e32 v[10:11], v[10:11], v[128:129]
	s_delay_alu instid0(VALU_DEP_4) | instskip(NEXT) | instid1(VALU_DEP_4)
	v_fmac_f64_e32 v[16:17], v[6:7], v[124:125]
	v_fma_f64 v[4:5], v[4:5], v[124:125], -v[18:19]
	s_delay_alu instid0(VALU_DEP_4) | instskip(NEXT) | instid1(VALU_DEP_4)
	v_add_f64_e32 v[6:7], v[8:9], v[12:13]
	v_add_f64_e32 v[8:9], v[10:11], v[20:21]
	s_delay_alu instid0(VALU_DEP_2) | instskip(NEXT) | instid1(VALU_DEP_2)
	v_add_f64_e32 v[4:5], v[6:7], v[4:5]
	v_add_f64_e32 v[6:7], v[8:9], v[16:17]
	s_wait_loadcnt 0x0
	s_delay_alu instid0(VALU_DEP_2) | instskip(NEXT) | instid1(VALU_DEP_2)
	v_add_f64_e64 v[4:5], v[132:133], -v[4:5]
	v_add_f64_e64 v[6:7], v[134:135], -v[6:7]
	scratch_store_b128 off, v[4:7], off offset:528
	s_wait_xcnt 0x0
	v_cmpx_lt_u32_e32 32, v1
	s_cbranch_execz .LBB106_207
; %bb.206:
	scratch_load_b128 v[6:9], off, s26
	v_dual_mov_b32 v3, v2 :: v_dual_mov_b32 v4, v2
	v_mov_b32_e32 v5, v2
	scratch_store_b128 off, v[2:5], off offset:512
	s_wait_loadcnt 0x0
	ds_store_b128 v110, v[6:9]
.LBB106_207:
	s_wait_xcnt 0x0
	s_or_b32 exec_lo, exec_lo, s2
	s_wait_storecnt_dscnt 0x0
	s_barrier_signal -1
	s_barrier_wait -1
	s_clause 0x9
	scratch_load_b128 v[4:7], off, off offset:528
	scratch_load_b128 v[8:11], off, off offset:544
	scratch_load_b128 v[12:15], off, off offset:560
	scratch_load_b128 v[16:19], off, off offset:576
	scratch_load_b128 v[20:23], off, off offset:592
	scratch_load_b128 v[112:115], off, off offset:608
	scratch_load_b128 v[116:119], off, off offset:624
	scratch_load_b128 v[120:123], off, off offset:640
	scratch_load_b128 v[124:127], off, off offset:656
	scratch_load_b128 v[128:131], off, off offset:672
	ds_load_b128 v[132:135], v2 offset:1216
	ds_load_b128 v[136:139], v2 offset:1232
	scratch_load_b128 v[140:143], off, off offset:512
	s_mov_b32 s2, exec_lo
	s_wait_loadcnt_dscnt 0xa01
	v_mul_f64_e32 v[144:145], v[134:135], v[6:7]
	v_mul_f64_e32 v[146:147], v[132:133], v[6:7]
	s_wait_loadcnt_dscnt 0x900
	v_mul_f64_e32 v[148:149], v[136:137], v[10:11]
	v_mul_f64_e32 v[10:11], v[138:139], v[10:11]
	s_delay_alu instid0(VALU_DEP_4) | instskip(NEXT) | instid1(VALU_DEP_4)
	v_fma_f64 v[144:145], v[132:133], v[4:5], -v[144:145]
	v_fmac_f64_e32 v[146:147], v[134:135], v[4:5]
	ds_load_b128 v[4:7], v2 offset:1248
	ds_load_b128 v[132:135], v2 offset:1264
	v_fmac_f64_e32 v[148:149], v[138:139], v[8:9]
	v_fma_f64 v[8:9], v[136:137], v[8:9], -v[10:11]
	s_wait_loadcnt_dscnt 0x801
	v_mul_f64_e32 v[150:151], v[4:5], v[14:15]
	v_mul_f64_e32 v[14:15], v[6:7], v[14:15]
	s_wait_loadcnt_dscnt 0x700
	v_mul_f64_e32 v[138:139], v[132:133], v[18:19]
	v_mul_f64_e32 v[18:19], v[134:135], v[18:19]
	v_add_f64_e32 v[10:11], 0, v[144:145]
	v_add_f64_e32 v[136:137], 0, v[146:147]
	v_fmac_f64_e32 v[150:151], v[6:7], v[12:13]
	v_fma_f64 v[12:13], v[4:5], v[12:13], -v[14:15]
	v_fmac_f64_e32 v[138:139], v[134:135], v[16:17]
	v_fma_f64 v[16:17], v[132:133], v[16:17], -v[18:19]
	v_add_f64_e32 v[14:15], v[10:11], v[8:9]
	v_add_f64_e32 v[136:137], v[136:137], v[148:149]
	ds_load_b128 v[4:7], v2 offset:1280
	ds_load_b128 v[8:11], v2 offset:1296
	s_wait_loadcnt_dscnt 0x601
	v_mul_f64_e32 v[144:145], v[4:5], v[22:23]
	v_mul_f64_e32 v[22:23], v[6:7], v[22:23]
	s_wait_loadcnt_dscnt 0x500
	v_mul_f64_e32 v[18:19], v[8:9], v[114:115]
	v_mul_f64_e32 v[114:115], v[10:11], v[114:115]
	v_add_f64_e32 v[12:13], v[14:15], v[12:13]
	v_add_f64_e32 v[14:15], v[136:137], v[150:151]
	v_fmac_f64_e32 v[144:145], v[6:7], v[20:21]
	v_fma_f64 v[20:21], v[4:5], v[20:21], -v[22:23]
	v_fmac_f64_e32 v[18:19], v[10:11], v[112:113]
	v_fma_f64 v[8:9], v[8:9], v[112:113], -v[114:115]
	v_add_f64_e32 v[16:17], v[12:13], v[16:17]
	v_add_f64_e32 v[22:23], v[14:15], v[138:139]
	ds_load_b128 v[4:7], v2 offset:1312
	ds_load_b128 v[12:15], v2 offset:1328
	s_wait_loadcnt_dscnt 0x401
	v_mul_f64_e32 v[132:133], v[4:5], v[118:119]
	v_mul_f64_e32 v[118:119], v[6:7], v[118:119]
	v_add_f64_e32 v[10:11], v[16:17], v[20:21]
	v_add_f64_e32 v[16:17], v[22:23], v[144:145]
	s_wait_loadcnt_dscnt 0x300
	v_mul_f64_e32 v[20:21], v[12:13], v[122:123]
	v_mul_f64_e32 v[22:23], v[14:15], v[122:123]
	v_fmac_f64_e32 v[132:133], v[6:7], v[116:117]
	v_fma_f64 v[112:113], v[4:5], v[116:117], -v[118:119]
	v_add_f64_e32 v[114:115], v[10:11], v[8:9]
	v_add_f64_e32 v[16:17], v[16:17], v[18:19]
	ds_load_b128 v[4:7], v2 offset:1344
	ds_load_b128 v[8:11], v2 offset:1360
	v_fmac_f64_e32 v[20:21], v[14:15], v[120:121]
	v_fma_f64 v[12:13], v[12:13], v[120:121], -v[22:23]
	s_wait_loadcnt_dscnt 0x201
	v_mul_f64_e32 v[2:3], v[4:5], v[126:127]
	v_mul_f64_e32 v[18:19], v[6:7], v[126:127]
	s_wait_loadcnt_dscnt 0x100
	v_mul_f64_e32 v[22:23], v[8:9], v[130:131]
	v_add_f64_e32 v[14:15], v[114:115], v[112:113]
	v_add_f64_e32 v[16:17], v[16:17], v[132:133]
	v_mul_f64_e32 v[112:113], v[10:11], v[130:131]
	v_fmac_f64_e32 v[2:3], v[6:7], v[124:125]
	v_fma_f64 v[4:5], v[4:5], v[124:125], -v[18:19]
	v_fmac_f64_e32 v[22:23], v[10:11], v[128:129]
	v_add_f64_e32 v[6:7], v[14:15], v[12:13]
	v_add_f64_e32 v[12:13], v[16:17], v[20:21]
	v_fma_f64 v[8:9], v[8:9], v[128:129], -v[112:113]
	s_delay_alu instid0(VALU_DEP_3) | instskip(NEXT) | instid1(VALU_DEP_3)
	v_add_f64_e32 v[4:5], v[6:7], v[4:5]
	v_add_f64_e32 v[2:3], v[12:13], v[2:3]
	s_delay_alu instid0(VALU_DEP_2) | instskip(NEXT) | instid1(VALU_DEP_2)
	v_add_f64_e32 v[4:5], v[4:5], v[8:9]
	v_add_f64_e32 v[6:7], v[2:3], v[22:23]
	s_wait_loadcnt 0x0
	s_delay_alu instid0(VALU_DEP_2) | instskip(NEXT) | instid1(VALU_DEP_2)
	v_add_f64_e64 v[2:3], v[140:141], -v[4:5]
	v_add_f64_e64 v[4:5], v[142:143], -v[6:7]
	scratch_store_b128 off, v[2:5], off offset:512
	s_wait_xcnt 0x0
	v_cmpx_lt_u32_e32 31, v1
	s_cbranch_execz .LBB106_209
; %bb.208:
	scratch_load_b128 v[2:5], off, s27
	v_mov_b32_e32 v6, 0
	s_delay_alu instid0(VALU_DEP_1)
	v_dual_mov_b32 v7, v6 :: v_dual_mov_b32 v8, v6
	v_mov_b32_e32 v9, v6
	scratch_store_b128 off, v[6:9], off offset:496
	s_wait_loadcnt 0x0
	ds_store_b128 v110, v[2:5]
.LBB106_209:
	s_wait_xcnt 0x0
	s_or_b32 exec_lo, exec_lo, s2
	s_wait_storecnt_dscnt 0x0
	s_barrier_signal -1
	s_barrier_wait -1
	s_clause 0x9
	scratch_load_b128 v[4:7], off, off offset:512
	scratch_load_b128 v[8:11], off, off offset:528
	;; [unrolled: 1-line block ×10, first 2 shown]
	v_mov_b32_e32 v2, 0
	s_mov_b32 s2, exec_lo
	ds_load_b128 v[132:135], v2 offset:1200
	s_clause 0x1
	scratch_load_b128 v[136:139], off, off offset:672
	scratch_load_b128 v[140:143], off, off offset:496
	s_wait_loadcnt_dscnt 0xb00
	v_mul_f64_e32 v[148:149], v[134:135], v[6:7]
	v_mul_f64_e32 v[150:151], v[132:133], v[6:7]
	ds_load_b128 v[144:147], v2 offset:1216
	s_wait_loadcnt_dscnt 0xa00
	v_mul_f64_e32 v[152:153], v[144:145], v[10:11]
	v_mul_f64_e32 v[10:11], v[146:147], v[10:11]
	v_fma_f64 v[148:149], v[132:133], v[4:5], -v[148:149]
	v_fmac_f64_e32 v[150:151], v[134:135], v[4:5]
	ds_load_b128 v[4:7], v2 offset:1232
	ds_load_b128 v[132:135], v2 offset:1248
	s_wait_loadcnt_dscnt 0x901
	v_mul_f64_e32 v[154:155], v[4:5], v[14:15]
	v_mul_f64_e32 v[14:15], v[6:7], v[14:15]
	v_fmac_f64_e32 v[152:153], v[146:147], v[8:9]
	v_fma_f64 v[8:9], v[144:145], v[8:9], -v[10:11]
	s_wait_loadcnt_dscnt 0x800
	v_mul_f64_e32 v[146:147], v[132:133], v[18:19]
	v_mul_f64_e32 v[18:19], v[134:135], v[18:19]
	v_add_f64_e32 v[10:11], 0, v[148:149]
	v_add_f64_e32 v[144:145], 0, v[150:151]
	v_fmac_f64_e32 v[154:155], v[6:7], v[12:13]
	v_fma_f64 v[12:13], v[4:5], v[12:13], -v[14:15]
	v_fmac_f64_e32 v[146:147], v[134:135], v[16:17]
	v_fma_f64 v[16:17], v[132:133], v[16:17], -v[18:19]
	v_add_f64_e32 v[14:15], v[10:11], v[8:9]
	v_add_f64_e32 v[144:145], v[144:145], v[152:153]
	ds_load_b128 v[4:7], v2 offset:1264
	ds_load_b128 v[8:11], v2 offset:1280
	s_wait_loadcnt_dscnt 0x701
	v_mul_f64_e32 v[148:149], v[4:5], v[22:23]
	v_mul_f64_e32 v[22:23], v[6:7], v[22:23]
	s_wait_loadcnt_dscnt 0x600
	v_mul_f64_e32 v[18:19], v[8:9], v[114:115]
	v_mul_f64_e32 v[114:115], v[10:11], v[114:115]
	v_add_f64_e32 v[12:13], v[14:15], v[12:13]
	v_add_f64_e32 v[14:15], v[144:145], v[154:155]
	v_fmac_f64_e32 v[148:149], v[6:7], v[20:21]
	v_fma_f64 v[20:21], v[4:5], v[20:21], -v[22:23]
	v_fmac_f64_e32 v[18:19], v[10:11], v[112:113]
	v_fma_f64 v[8:9], v[8:9], v[112:113], -v[114:115]
	v_add_f64_e32 v[16:17], v[12:13], v[16:17]
	v_add_f64_e32 v[22:23], v[14:15], v[146:147]
	ds_load_b128 v[4:7], v2 offset:1296
	ds_load_b128 v[12:15], v2 offset:1312
	s_wait_loadcnt_dscnt 0x501
	v_mul_f64_e32 v[132:133], v[4:5], v[118:119]
	v_mul_f64_e32 v[118:119], v[6:7], v[118:119]
	v_add_f64_e32 v[10:11], v[16:17], v[20:21]
	v_add_f64_e32 v[16:17], v[22:23], v[148:149]
	s_wait_loadcnt_dscnt 0x400
	v_mul_f64_e32 v[20:21], v[12:13], v[122:123]
	v_mul_f64_e32 v[22:23], v[14:15], v[122:123]
	v_fmac_f64_e32 v[132:133], v[6:7], v[116:117]
	v_fma_f64 v[112:113], v[4:5], v[116:117], -v[118:119]
	v_add_f64_e32 v[114:115], v[10:11], v[8:9]
	v_add_f64_e32 v[16:17], v[16:17], v[18:19]
	ds_load_b128 v[4:7], v2 offset:1328
	ds_load_b128 v[8:11], v2 offset:1344
	v_fmac_f64_e32 v[20:21], v[14:15], v[120:121]
	v_fma_f64 v[12:13], v[12:13], v[120:121], -v[22:23]
	s_wait_loadcnt_dscnt 0x301
	v_mul_f64_e32 v[18:19], v[4:5], v[126:127]
	v_mul_f64_e32 v[116:117], v[6:7], v[126:127]
	s_wait_loadcnt_dscnt 0x200
	v_mul_f64_e32 v[22:23], v[8:9], v[130:131]
	v_add_f64_e32 v[14:15], v[114:115], v[112:113]
	v_add_f64_e32 v[16:17], v[16:17], v[132:133]
	v_mul_f64_e32 v[112:113], v[10:11], v[130:131]
	v_fmac_f64_e32 v[18:19], v[6:7], v[124:125]
	v_fma_f64 v[114:115], v[4:5], v[124:125], -v[116:117]
	ds_load_b128 v[4:7], v2 offset:1360
	v_fmac_f64_e32 v[22:23], v[10:11], v[128:129]
	v_add_f64_e32 v[12:13], v[14:15], v[12:13]
	v_add_f64_e32 v[14:15], v[16:17], v[20:21]
	v_fma_f64 v[8:9], v[8:9], v[128:129], -v[112:113]
	s_wait_loadcnt_dscnt 0x100
	v_mul_f64_e32 v[16:17], v[4:5], v[138:139]
	v_mul_f64_e32 v[20:21], v[6:7], v[138:139]
	v_add_f64_e32 v[10:11], v[12:13], v[114:115]
	v_add_f64_e32 v[12:13], v[14:15], v[18:19]
	s_delay_alu instid0(VALU_DEP_4) | instskip(NEXT) | instid1(VALU_DEP_4)
	v_fmac_f64_e32 v[16:17], v[6:7], v[136:137]
	v_fma_f64 v[4:5], v[4:5], v[136:137], -v[20:21]
	s_delay_alu instid0(VALU_DEP_4) | instskip(NEXT) | instid1(VALU_DEP_4)
	v_add_f64_e32 v[6:7], v[10:11], v[8:9]
	v_add_f64_e32 v[8:9], v[12:13], v[22:23]
	s_delay_alu instid0(VALU_DEP_2) | instskip(NEXT) | instid1(VALU_DEP_2)
	v_add_f64_e32 v[4:5], v[6:7], v[4:5]
	v_add_f64_e32 v[6:7], v[8:9], v[16:17]
	s_wait_loadcnt 0x0
	s_delay_alu instid0(VALU_DEP_2) | instskip(NEXT) | instid1(VALU_DEP_2)
	v_add_f64_e64 v[4:5], v[140:141], -v[4:5]
	v_add_f64_e64 v[6:7], v[142:143], -v[6:7]
	scratch_store_b128 off, v[4:7], off offset:496
	s_wait_xcnt 0x0
	v_cmpx_lt_u32_e32 30, v1
	s_cbranch_execz .LBB106_211
; %bb.210:
	scratch_load_b128 v[6:9], off, s28
	v_dual_mov_b32 v3, v2 :: v_dual_mov_b32 v4, v2
	v_mov_b32_e32 v5, v2
	scratch_store_b128 off, v[2:5], off offset:480
	s_wait_loadcnt 0x0
	ds_store_b128 v110, v[6:9]
.LBB106_211:
	s_wait_xcnt 0x0
	s_or_b32 exec_lo, exec_lo, s2
	s_wait_storecnt_dscnt 0x0
	s_barrier_signal -1
	s_barrier_wait -1
	s_clause 0x9
	scratch_load_b128 v[4:7], off, off offset:496
	scratch_load_b128 v[8:11], off, off offset:512
	;; [unrolled: 1-line block ×10, first 2 shown]
	ds_load_b128 v[132:135], v2 offset:1184
	ds_load_b128 v[140:143], v2 offset:1200
	s_clause 0x2
	scratch_load_b128 v[136:139], off, off offset:656
	scratch_load_b128 v[144:147], off, off offset:480
	;; [unrolled: 1-line block ×3, first 2 shown]
	s_mov_b32 s2, exec_lo
	s_wait_loadcnt_dscnt 0xc01
	v_mul_f64_e32 v[152:153], v[134:135], v[6:7]
	v_mul_f64_e32 v[154:155], v[132:133], v[6:7]
	s_wait_loadcnt_dscnt 0xb00
	v_mul_f64_e32 v[156:157], v[140:141], v[10:11]
	v_mul_f64_e32 v[10:11], v[142:143], v[10:11]
	s_delay_alu instid0(VALU_DEP_4) | instskip(NEXT) | instid1(VALU_DEP_4)
	v_fma_f64 v[152:153], v[132:133], v[4:5], -v[152:153]
	v_fmac_f64_e32 v[154:155], v[134:135], v[4:5]
	ds_load_b128 v[4:7], v2 offset:1216
	ds_load_b128 v[132:135], v2 offset:1232
	v_fmac_f64_e32 v[156:157], v[142:143], v[8:9]
	v_fma_f64 v[8:9], v[140:141], v[8:9], -v[10:11]
	s_wait_loadcnt_dscnt 0xa01
	v_mul_f64_e32 v[158:159], v[4:5], v[14:15]
	v_mul_f64_e32 v[14:15], v[6:7], v[14:15]
	s_wait_loadcnt_dscnt 0x900
	v_mul_f64_e32 v[142:143], v[132:133], v[18:19]
	v_mul_f64_e32 v[18:19], v[134:135], v[18:19]
	v_add_f64_e32 v[10:11], 0, v[152:153]
	v_add_f64_e32 v[140:141], 0, v[154:155]
	v_fmac_f64_e32 v[158:159], v[6:7], v[12:13]
	v_fma_f64 v[12:13], v[4:5], v[12:13], -v[14:15]
	v_fmac_f64_e32 v[142:143], v[134:135], v[16:17]
	v_fma_f64 v[16:17], v[132:133], v[16:17], -v[18:19]
	v_add_f64_e32 v[14:15], v[10:11], v[8:9]
	v_add_f64_e32 v[140:141], v[140:141], v[156:157]
	ds_load_b128 v[4:7], v2 offset:1248
	ds_load_b128 v[8:11], v2 offset:1264
	s_wait_loadcnt_dscnt 0x801
	v_mul_f64_e32 v[152:153], v[4:5], v[22:23]
	v_mul_f64_e32 v[22:23], v[6:7], v[22:23]
	s_wait_loadcnt_dscnt 0x700
	v_mul_f64_e32 v[18:19], v[8:9], v[114:115]
	v_mul_f64_e32 v[114:115], v[10:11], v[114:115]
	v_add_f64_e32 v[12:13], v[14:15], v[12:13]
	v_add_f64_e32 v[14:15], v[140:141], v[158:159]
	v_fmac_f64_e32 v[152:153], v[6:7], v[20:21]
	v_fma_f64 v[20:21], v[4:5], v[20:21], -v[22:23]
	v_fmac_f64_e32 v[18:19], v[10:11], v[112:113]
	v_fma_f64 v[8:9], v[8:9], v[112:113], -v[114:115]
	v_add_f64_e32 v[16:17], v[12:13], v[16:17]
	v_add_f64_e32 v[22:23], v[14:15], v[142:143]
	ds_load_b128 v[4:7], v2 offset:1280
	ds_load_b128 v[12:15], v2 offset:1296
	s_wait_loadcnt_dscnt 0x601
	v_mul_f64_e32 v[132:133], v[4:5], v[118:119]
	v_mul_f64_e32 v[118:119], v[6:7], v[118:119]
	v_add_f64_e32 v[10:11], v[16:17], v[20:21]
	v_add_f64_e32 v[16:17], v[22:23], v[152:153]
	s_wait_loadcnt_dscnt 0x500
	v_mul_f64_e32 v[20:21], v[12:13], v[122:123]
	v_mul_f64_e32 v[22:23], v[14:15], v[122:123]
	v_fmac_f64_e32 v[132:133], v[6:7], v[116:117]
	v_fma_f64 v[112:113], v[4:5], v[116:117], -v[118:119]
	v_add_f64_e32 v[114:115], v[10:11], v[8:9]
	v_add_f64_e32 v[16:17], v[16:17], v[18:19]
	ds_load_b128 v[4:7], v2 offset:1312
	ds_load_b128 v[8:11], v2 offset:1328
	v_fmac_f64_e32 v[20:21], v[14:15], v[120:121]
	v_fma_f64 v[12:13], v[12:13], v[120:121], -v[22:23]
	s_wait_loadcnt_dscnt 0x401
	v_mul_f64_e32 v[18:19], v[4:5], v[126:127]
	v_mul_f64_e32 v[116:117], v[6:7], v[126:127]
	s_wait_loadcnt_dscnt 0x300
	v_mul_f64_e32 v[22:23], v[8:9], v[130:131]
	v_add_f64_e32 v[14:15], v[114:115], v[112:113]
	v_add_f64_e32 v[16:17], v[16:17], v[132:133]
	v_mul_f64_e32 v[112:113], v[10:11], v[130:131]
	v_fmac_f64_e32 v[18:19], v[6:7], v[124:125]
	v_fma_f64 v[114:115], v[4:5], v[124:125], -v[116:117]
	v_fmac_f64_e32 v[22:23], v[10:11], v[128:129]
	v_add_f64_e32 v[116:117], v[14:15], v[12:13]
	v_add_f64_e32 v[16:17], v[16:17], v[20:21]
	ds_load_b128 v[4:7], v2 offset:1344
	ds_load_b128 v[12:15], v2 offset:1360
	v_fma_f64 v[8:9], v[8:9], v[128:129], -v[112:113]
	s_wait_loadcnt_dscnt 0x201
	v_mul_f64_e32 v[2:3], v[4:5], v[138:139]
	v_mul_f64_e32 v[20:21], v[6:7], v[138:139]
	s_wait_loadcnt_dscnt 0x0
	v_mul_f64_e32 v[112:113], v[14:15], v[150:151]
	v_add_f64_e32 v[10:11], v[116:117], v[114:115]
	v_add_f64_e32 v[16:17], v[16:17], v[18:19]
	v_mul_f64_e32 v[18:19], v[12:13], v[150:151]
	v_fmac_f64_e32 v[2:3], v[6:7], v[136:137]
	v_fma_f64 v[4:5], v[4:5], v[136:137], -v[20:21]
	v_add_f64_e32 v[6:7], v[10:11], v[8:9]
	v_add_f64_e32 v[8:9], v[16:17], v[22:23]
	v_fmac_f64_e32 v[18:19], v[14:15], v[148:149]
	v_fma_f64 v[10:11], v[12:13], v[148:149], -v[112:113]
	s_delay_alu instid0(VALU_DEP_4) | instskip(NEXT) | instid1(VALU_DEP_4)
	v_add_f64_e32 v[4:5], v[6:7], v[4:5]
	v_add_f64_e32 v[2:3], v[8:9], v[2:3]
	s_delay_alu instid0(VALU_DEP_2) | instskip(NEXT) | instid1(VALU_DEP_2)
	v_add_f64_e32 v[4:5], v[4:5], v[10:11]
	v_add_f64_e32 v[6:7], v[2:3], v[18:19]
	s_delay_alu instid0(VALU_DEP_2) | instskip(NEXT) | instid1(VALU_DEP_2)
	v_add_f64_e64 v[2:3], v[144:145], -v[4:5]
	v_add_f64_e64 v[4:5], v[146:147], -v[6:7]
	scratch_store_b128 off, v[2:5], off offset:480
	s_wait_xcnt 0x0
	v_cmpx_lt_u32_e32 29, v1
	s_cbranch_execz .LBB106_213
; %bb.212:
	scratch_load_b128 v[2:5], off, s29
	v_mov_b32_e32 v6, 0
	s_delay_alu instid0(VALU_DEP_1)
	v_dual_mov_b32 v7, v6 :: v_dual_mov_b32 v8, v6
	v_mov_b32_e32 v9, v6
	scratch_store_b128 off, v[6:9], off offset:464
	s_wait_loadcnt 0x0
	ds_store_b128 v110, v[2:5]
.LBB106_213:
	s_wait_xcnt 0x0
	s_or_b32 exec_lo, exec_lo, s2
	s_wait_storecnt_dscnt 0x0
	s_barrier_signal -1
	s_barrier_wait -1
	s_clause 0x9
	scratch_load_b128 v[4:7], off, off offset:480
	scratch_load_b128 v[8:11], off, off offset:496
	;; [unrolled: 1-line block ×10, first 2 shown]
	v_mov_b32_e32 v2, 0
	s_mov_b32 s2, exec_lo
	ds_load_b128 v[132:135], v2 offset:1168
	s_clause 0x2
	scratch_load_b128 v[136:139], off, off offset:640
	scratch_load_b128 v[140:143], off, off offset:464
	;; [unrolled: 1-line block ×3, first 2 shown]
	s_wait_loadcnt_dscnt 0xc00
	v_mul_f64_e32 v[152:153], v[134:135], v[6:7]
	v_mul_f64_e32 v[156:157], v[132:133], v[6:7]
	ds_load_b128 v[144:147], v2 offset:1184
	v_fma_f64 v[160:161], v[132:133], v[4:5], -v[152:153]
	v_fmac_f64_e32 v[156:157], v[134:135], v[4:5]
	ds_load_b128 v[4:7], v2 offset:1200
	s_wait_loadcnt_dscnt 0xb01
	v_mul_f64_e32 v[158:159], v[144:145], v[10:11]
	v_mul_f64_e32 v[10:11], v[146:147], v[10:11]
	scratch_load_b128 v[132:135], off, off offset:672
	ds_load_b128 v[152:155], v2 offset:1216
	s_wait_loadcnt_dscnt 0xb01
	v_mul_f64_e32 v[162:163], v[4:5], v[14:15]
	v_mul_f64_e32 v[14:15], v[6:7], v[14:15]
	v_fmac_f64_e32 v[158:159], v[146:147], v[8:9]
	v_fma_f64 v[8:9], v[144:145], v[8:9], -v[10:11]
	v_add_f64_e32 v[10:11], 0, v[160:161]
	v_add_f64_e32 v[144:145], 0, v[156:157]
	s_wait_loadcnt_dscnt 0xa00
	v_mul_f64_e32 v[146:147], v[152:153], v[18:19]
	v_mul_f64_e32 v[18:19], v[154:155], v[18:19]
	v_fmac_f64_e32 v[162:163], v[6:7], v[12:13]
	v_fma_f64 v[12:13], v[4:5], v[12:13], -v[14:15]
	v_add_f64_e32 v[14:15], v[10:11], v[8:9]
	v_add_f64_e32 v[144:145], v[144:145], v[158:159]
	ds_load_b128 v[4:7], v2 offset:1232
	ds_load_b128 v[8:11], v2 offset:1248
	v_fmac_f64_e32 v[146:147], v[154:155], v[16:17]
	v_fma_f64 v[16:17], v[152:153], v[16:17], -v[18:19]
	s_wait_loadcnt_dscnt 0x901
	v_mul_f64_e32 v[156:157], v[4:5], v[22:23]
	v_mul_f64_e32 v[22:23], v[6:7], v[22:23]
	s_wait_loadcnt_dscnt 0x800
	v_mul_f64_e32 v[18:19], v[8:9], v[114:115]
	v_mul_f64_e32 v[114:115], v[10:11], v[114:115]
	v_add_f64_e32 v[12:13], v[14:15], v[12:13]
	v_add_f64_e32 v[14:15], v[144:145], v[162:163]
	v_fmac_f64_e32 v[156:157], v[6:7], v[20:21]
	v_fma_f64 v[20:21], v[4:5], v[20:21], -v[22:23]
	v_fmac_f64_e32 v[18:19], v[10:11], v[112:113]
	v_fma_f64 v[8:9], v[8:9], v[112:113], -v[114:115]
	v_add_f64_e32 v[16:17], v[12:13], v[16:17]
	v_add_f64_e32 v[22:23], v[14:15], v[146:147]
	ds_load_b128 v[4:7], v2 offset:1264
	ds_load_b128 v[12:15], v2 offset:1280
	s_wait_loadcnt_dscnt 0x701
	v_mul_f64_e32 v[144:145], v[4:5], v[118:119]
	v_mul_f64_e32 v[118:119], v[6:7], v[118:119]
	v_add_f64_e32 v[10:11], v[16:17], v[20:21]
	v_add_f64_e32 v[16:17], v[22:23], v[156:157]
	s_wait_loadcnt_dscnt 0x600
	v_mul_f64_e32 v[20:21], v[12:13], v[122:123]
	v_mul_f64_e32 v[22:23], v[14:15], v[122:123]
	v_fmac_f64_e32 v[144:145], v[6:7], v[116:117]
	v_fma_f64 v[112:113], v[4:5], v[116:117], -v[118:119]
	v_add_f64_e32 v[114:115], v[10:11], v[8:9]
	v_add_f64_e32 v[16:17], v[16:17], v[18:19]
	ds_load_b128 v[4:7], v2 offset:1296
	ds_load_b128 v[8:11], v2 offset:1312
	v_fmac_f64_e32 v[20:21], v[14:15], v[120:121]
	v_fma_f64 v[12:13], v[12:13], v[120:121], -v[22:23]
	s_wait_loadcnt_dscnt 0x501
	v_mul_f64_e32 v[18:19], v[4:5], v[126:127]
	v_mul_f64_e32 v[116:117], v[6:7], v[126:127]
	s_wait_loadcnt_dscnt 0x400
	v_mul_f64_e32 v[22:23], v[8:9], v[130:131]
	v_add_f64_e32 v[14:15], v[114:115], v[112:113]
	v_add_f64_e32 v[16:17], v[16:17], v[144:145]
	v_mul_f64_e32 v[112:113], v[10:11], v[130:131]
	v_fmac_f64_e32 v[18:19], v[6:7], v[124:125]
	v_fma_f64 v[114:115], v[4:5], v[124:125], -v[116:117]
	v_fmac_f64_e32 v[22:23], v[10:11], v[128:129]
	v_add_f64_e32 v[116:117], v[14:15], v[12:13]
	v_add_f64_e32 v[16:17], v[16:17], v[20:21]
	ds_load_b128 v[4:7], v2 offset:1328
	ds_load_b128 v[12:15], v2 offset:1344
	v_fma_f64 v[8:9], v[8:9], v[128:129], -v[112:113]
	s_wait_loadcnt_dscnt 0x301
	v_mul_f64_e32 v[20:21], v[4:5], v[138:139]
	v_mul_f64_e32 v[118:119], v[6:7], v[138:139]
	s_wait_loadcnt_dscnt 0x100
	v_mul_f64_e32 v[112:113], v[14:15], v[150:151]
	v_add_f64_e32 v[10:11], v[116:117], v[114:115]
	v_add_f64_e32 v[16:17], v[16:17], v[18:19]
	v_mul_f64_e32 v[18:19], v[12:13], v[150:151]
	v_fmac_f64_e32 v[20:21], v[6:7], v[136:137]
	v_fma_f64 v[114:115], v[4:5], v[136:137], -v[118:119]
	ds_load_b128 v[4:7], v2 offset:1360
	v_fma_f64 v[12:13], v[12:13], v[148:149], -v[112:113]
	v_add_f64_e32 v[8:9], v[10:11], v[8:9]
	v_add_f64_e32 v[10:11], v[16:17], v[22:23]
	v_fmac_f64_e32 v[18:19], v[14:15], v[148:149]
	s_wait_loadcnt_dscnt 0x0
	v_mul_f64_e32 v[16:17], v[4:5], v[134:135]
	v_mul_f64_e32 v[22:23], v[6:7], v[134:135]
	v_add_f64_e32 v[8:9], v[8:9], v[114:115]
	v_add_f64_e32 v[10:11], v[10:11], v[20:21]
	s_delay_alu instid0(VALU_DEP_4) | instskip(NEXT) | instid1(VALU_DEP_4)
	v_fmac_f64_e32 v[16:17], v[6:7], v[132:133]
	v_fma_f64 v[4:5], v[4:5], v[132:133], -v[22:23]
	s_delay_alu instid0(VALU_DEP_4) | instskip(NEXT) | instid1(VALU_DEP_4)
	v_add_f64_e32 v[6:7], v[8:9], v[12:13]
	v_add_f64_e32 v[8:9], v[10:11], v[18:19]
	s_delay_alu instid0(VALU_DEP_2) | instskip(NEXT) | instid1(VALU_DEP_2)
	v_add_f64_e32 v[4:5], v[6:7], v[4:5]
	v_add_f64_e32 v[6:7], v[8:9], v[16:17]
	s_delay_alu instid0(VALU_DEP_2) | instskip(NEXT) | instid1(VALU_DEP_2)
	v_add_f64_e64 v[4:5], v[140:141], -v[4:5]
	v_add_f64_e64 v[6:7], v[142:143], -v[6:7]
	scratch_store_b128 off, v[4:7], off offset:464
	s_wait_xcnt 0x0
	v_cmpx_lt_u32_e32 28, v1
	s_cbranch_execz .LBB106_215
; %bb.214:
	scratch_load_b128 v[6:9], off, s30
	v_dual_mov_b32 v3, v2 :: v_dual_mov_b32 v4, v2
	v_mov_b32_e32 v5, v2
	scratch_store_b128 off, v[2:5], off offset:448
	s_wait_loadcnt 0x0
	ds_store_b128 v110, v[6:9]
.LBB106_215:
	s_wait_xcnt 0x0
	s_or_b32 exec_lo, exec_lo, s2
	s_wait_storecnt_dscnt 0x0
	s_barrier_signal -1
	s_barrier_wait -1
	s_clause 0x9
	scratch_load_b128 v[4:7], off, off offset:464
	scratch_load_b128 v[8:11], off, off offset:480
	;; [unrolled: 1-line block ×10, first 2 shown]
	ds_load_b128 v[132:135], v2 offset:1152
	ds_load_b128 v[140:143], v2 offset:1168
	s_clause 0x2
	scratch_load_b128 v[136:139], off, off offset:624
	scratch_load_b128 v[144:147], off, off offset:448
	;; [unrolled: 1-line block ×3, first 2 shown]
	s_mov_b32 s2, exec_lo
	s_wait_loadcnt_dscnt 0xc01
	v_mul_f64_e32 v[152:153], v[134:135], v[6:7]
	v_mul_f64_e32 v[156:157], v[132:133], v[6:7]
	s_wait_loadcnt_dscnt 0xb00
	v_mul_f64_e32 v[158:159], v[140:141], v[10:11]
	v_mul_f64_e32 v[10:11], v[142:143], v[10:11]
	s_delay_alu instid0(VALU_DEP_4) | instskip(NEXT) | instid1(VALU_DEP_4)
	v_fma_f64 v[160:161], v[132:133], v[4:5], -v[152:153]
	v_fmac_f64_e32 v[156:157], v[134:135], v[4:5]
	ds_load_b128 v[4:7], v2 offset:1184
	ds_load_b128 v[132:135], v2 offset:1200
	scratch_load_b128 v[152:155], off, off offset:656
	v_fmac_f64_e32 v[158:159], v[142:143], v[8:9]
	v_fma_f64 v[140:141], v[140:141], v[8:9], -v[10:11]
	scratch_load_b128 v[8:11], off, off offset:672
	s_wait_loadcnt_dscnt 0xc01
	v_mul_f64_e32 v[162:163], v[4:5], v[14:15]
	v_mul_f64_e32 v[14:15], v[6:7], v[14:15]
	v_add_f64_e32 v[142:143], 0, v[160:161]
	v_add_f64_e32 v[156:157], 0, v[156:157]
	s_wait_loadcnt_dscnt 0xb00
	v_mul_f64_e32 v[160:161], v[132:133], v[18:19]
	v_mul_f64_e32 v[18:19], v[134:135], v[18:19]
	v_fmac_f64_e32 v[162:163], v[6:7], v[12:13]
	v_fma_f64 v[164:165], v[4:5], v[12:13], -v[14:15]
	ds_load_b128 v[4:7], v2 offset:1216
	ds_load_b128 v[12:15], v2 offset:1232
	v_add_f64_e32 v[140:141], v[142:143], v[140:141]
	v_add_f64_e32 v[142:143], v[156:157], v[158:159]
	v_fmac_f64_e32 v[160:161], v[134:135], v[16:17]
	v_fma_f64 v[16:17], v[132:133], v[16:17], -v[18:19]
	s_wait_loadcnt_dscnt 0xa01
	v_mul_f64_e32 v[156:157], v[4:5], v[22:23]
	v_mul_f64_e32 v[22:23], v[6:7], v[22:23]
	s_wait_loadcnt_dscnt 0x900
	v_mul_f64_e32 v[134:135], v[12:13], v[114:115]
	v_mul_f64_e32 v[114:115], v[14:15], v[114:115]
	v_add_f64_e32 v[18:19], v[140:141], v[164:165]
	v_add_f64_e32 v[132:133], v[142:143], v[162:163]
	v_fmac_f64_e32 v[156:157], v[6:7], v[20:21]
	v_fma_f64 v[20:21], v[4:5], v[20:21], -v[22:23]
	v_fmac_f64_e32 v[134:135], v[14:15], v[112:113]
	v_fma_f64 v[12:13], v[12:13], v[112:113], -v[114:115]
	v_add_f64_e32 v[22:23], v[18:19], v[16:17]
	v_add_f64_e32 v[132:133], v[132:133], v[160:161]
	ds_load_b128 v[4:7], v2 offset:1248
	ds_load_b128 v[16:19], v2 offset:1264
	s_wait_loadcnt_dscnt 0x801
	v_mul_f64_e32 v[140:141], v[4:5], v[118:119]
	v_mul_f64_e32 v[118:119], v[6:7], v[118:119]
	s_wait_loadcnt_dscnt 0x700
	v_mul_f64_e32 v[112:113], v[18:19], v[122:123]
	v_add_f64_e32 v[14:15], v[22:23], v[20:21]
	v_add_f64_e32 v[20:21], v[132:133], v[156:157]
	v_mul_f64_e32 v[22:23], v[16:17], v[122:123]
	v_fmac_f64_e32 v[140:141], v[6:7], v[116:117]
	v_fma_f64 v[114:115], v[4:5], v[116:117], -v[118:119]
	v_fma_f64 v[16:17], v[16:17], v[120:121], -v[112:113]
	v_add_f64_e32 v[116:117], v[14:15], v[12:13]
	v_add_f64_e32 v[20:21], v[20:21], v[134:135]
	ds_load_b128 v[4:7], v2 offset:1280
	ds_load_b128 v[12:15], v2 offset:1296
	v_fmac_f64_e32 v[22:23], v[18:19], v[120:121]
	s_wait_loadcnt_dscnt 0x601
	v_mul_f64_e32 v[118:119], v[4:5], v[126:127]
	v_mul_f64_e32 v[122:123], v[6:7], v[126:127]
	s_wait_loadcnt_dscnt 0x500
	v_mul_f64_e32 v[112:113], v[12:13], v[130:131]
	v_add_f64_e32 v[18:19], v[116:117], v[114:115]
	v_add_f64_e32 v[20:21], v[20:21], v[140:141]
	v_mul_f64_e32 v[114:115], v[14:15], v[130:131]
	v_fmac_f64_e32 v[118:119], v[6:7], v[124:125]
	v_fma_f64 v[116:117], v[4:5], v[124:125], -v[122:123]
	v_fmac_f64_e32 v[112:113], v[14:15], v[128:129]
	v_add_f64_e32 v[120:121], v[18:19], v[16:17]
	v_add_f64_e32 v[20:21], v[20:21], v[22:23]
	ds_load_b128 v[4:7], v2 offset:1312
	ds_load_b128 v[16:19], v2 offset:1328
	v_fma_f64 v[12:13], v[12:13], v[128:129], -v[114:115]
	s_wait_loadcnt_dscnt 0x401
	v_mul_f64_e32 v[22:23], v[4:5], v[138:139]
	v_mul_f64_e32 v[122:123], v[6:7], v[138:139]
	s_wait_loadcnt_dscnt 0x200
	v_mul_f64_e32 v[114:115], v[16:17], v[150:151]
	v_add_f64_e32 v[14:15], v[120:121], v[116:117]
	v_add_f64_e32 v[20:21], v[20:21], v[118:119]
	v_mul_f64_e32 v[116:117], v[18:19], v[150:151]
	v_fmac_f64_e32 v[22:23], v[6:7], v[136:137]
	v_fma_f64 v[118:119], v[4:5], v[136:137], -v[122:123]
	v_fmac_f64_e32 v[114:115], v[18:19], v[148:149]
	v_add_f64_e32 v[120:121], v[14:15], v[12:13]
	v_add_f64_e32 v[20:21], v[20:21], v[112:113]
	ds_load_b128 v[4:7], v2 offset:1344
	ds_load_b128 v[12:15], v2 offset:1360
	v_fma_f64 v[16:17], v[16:17], v[148:149], -v[116:117]
	s_wait_loadcnt_dscnt 0x101
	v_mul_f64_e32 v[2:3], v[4:5], v[154:155]
	v_mul_f64_e32 v[112:113], v[6:7], v[154:155]
	v_add_f64_e32 v[18:19], v[120:121], v[118:119]
	v_add_f64_e32 v[20:21], v[20:21], v[22:23]
	s_wait_loadcnt_dscnt 0x0
	v_mul_f64_e32 v[22:23], v[12:13], v[10:11]
	v_mul_f64_e32 v[10:11], v[14:15], v[10:11]
	v_fmac_f64_e32 v[2:3], v[6:7], v[152:153]
	v_fma_f64 v[4:5], v[4:5], v[152:153], -v[112:113]
	v_add_f64_e32 v[6:7], v[18:19], v[16:17]
	v_add_f64_e32 v[16:17], v[20:21], v[114:115]
	v_fmac_f64_e32 v[22:23], v[14:15], v[8:9]
	v_fma_f64 v[8:9], v[12:13], v[8:9], -v[10:11]
	s_delay_alu instid0(VALU_DEP_4) | instskip(NEXT) | instid1(VALU_DEP_4)
	v_add_f64_e32 v[4:5], v[6:7], v[4:5]
	v_add_f64_e32 v[2:3], v[16:17], v[2:3]
	s_delay_alu instid0(VALU_DEP_2) | instskip(NEXT) | instid1(VALU_DEP_2)
	v_add_f64_e32 v[4:5], v[4:5], v[8:9]
	v_add_f64_e32 v[6:7], v[2:3], v[22:23]
	s_delay_alu instid0(VALU_DEP_2) | instskip(NEXT) | instid1(VALU_DEP_2)
	v_add_f64_e64 v[2:3], v[144:145], -v[4:5]
	v_add_f64_e64 v[4:5], v[146:147], -v[6:7]
	scratch_store_b128 off, v[2:5], off offset:448
	s_wait_xcnt 0x0
	v_cmpx_lt_u32_e32 27, v1
	s_cbranch_execz .LBB106_217
; %bb.216:
	scratch_load_b128 v[2:5], off, s31
	v_mov_b32_e32 v6, 0
	s_delay_alu instid0(VALU_DEP_1)
	v_dual_mov_b32 v7, v6 :: v_dual_mov_b32 v8, v6
	v_mov_b32_e32 v9, v6
	scratch_store_b128 off, v[6:9], off offset:432
	s_wait_loadcnt 0x0
	ds_store_b128 v110, v[2:5]
.LBB106_217:
	s_wait_xcnt 0x0
	s_or_b32 exec_lo, exec_lo, s2
	s_wait_storecnt_dscnt 0x0
	s_barrier_signal -1
	s_barrier_wait -1
	s_clause 0x9
	scratch_load_b128 v[4:7], off, off offset:448
	scratch_load_b128 v[8:11], off, off offset:464
	;; [unrolled: 1-line block ×10, first 2 shown]
	v_mov_b32_e32 v2, 0
	s_mov_b32 s2, exec_lo
	ds_load_b128 v[132:135], v2 offset:1136
	s_clause 0x2
	scratch_load_b128 v[136:139], off, off offset:608
	scratch_load_b128 v[140:143], off, off offset:432
	;; [unrolled: 1-line block ×3, first 2 shown]
	s_wait_loadcnt_dscnt 0xc00
	v_mul_f64_e32 v[152:153], v[134:135], v[6:7]
	v_mul_f64_e32 v[156:157], v[132:133], v[6:7]
	ds_load_b128 v[144:147], v2 offset:1152
	v_fma_f64 v[160:161], v[132:133], v[4:5], -v[152:153]
	v_fmac_f64_e32 v[156:157], v[134:135], v[4:5]
	ds_load_b128 v[4:7], v2 offset:1168
	s_wait_loadcnt_dscnt 0xb01
	v_mul_f64_e32 v[158:159], v[144:145], v[10:11]
	v_mul_f64_e32 v[10:11], v[146:147], v[10:11]
	scratch_load_b128 v[132:135], off, off offset:640
	ds_load_b128 v[152:155], v2 offset:1184
	s_wait_loadcnt_dscnt 0xb01
	v_mul_f64_e32 v[162:163], v[4:5], v[14:15]
	v_mul_f64_e32 v[14:15], v[6:7], v[14:15]
	v_add_f64_e32 v[156:157], 0, v[156:157]
	v_fmac_f64_e32 v[158:159], v[146:147], v[8:9]
	v_fma_f64 v[144:145], v[144:145], v[8:9], -v[10:11]
	v_add_f64_e32 v[146:147], 0, v[160:161]
	scratch_load_b128 v[8:11], off, off offset:656
	v_fmac_f64_e32 v[162:163], v[6:7], v[12:13]
	v_fma_f64 v[164:165], v[4:5], v[12:13], -v[14:15]
	ds_load_b128 v[4:7], v2 offset:1200
	s_wait_loadcnt_dscnt 0xb01
	v_mul_f64_e32 v[160:161], v[152:153], v[18:19]
	v_mul_f64_e32 v[18:19], v[154:155], v[18:19]
	scratch_load_b128 v[12:15], off, off offset:672
	v_add_f64_e32 v[156:157], v[156:157], v[158:159]
	v_add_f64_e32 v[166:167], v[146:147], v[144:145]
	ds_load_b128 v[144:147], v2 offset:1216
	s_wait_loadcnt_dscnt 0xb01
	v_mul_f64_e32 v[158:159], v[4:5], v[22:23]
	v_mul_f64_e32 v[22:23], v[6:7], v[22:23]
	v_fmac_f64_e32 v[160:161], v[154:155], v[16:17]
	v_fma_f64 v[16:17], v[152:153], v[16:17], -v[18:19]
	s_wait_loadcnt_dscnt 0xa00
	v_mul_f64_e32 v[154:155], v[144:145], v[114:115]
	v_mul_f64_e32 v[114:115], v[146:147], v[114:115]
	v_add_f64_e32 v[152:153], v[156:157], v[162:163]
	v_add_f64_e32 v[18:19], v[166:167], v[164:165]
	v_fmac_f64_e32 v[158:159], v[6:7], v[20:21]
	v_fma_f64 v[20:21], v[4:5], v[20:21], -v[22:23]
	v_fmac_f64_e32 v[154:155], v[146:147], v[112:113]
	v_fma_f64 v[112:113], v[144:145], v[112:113], -v[114:115]
	v_add_f64_e32 v[152:153], v[152:153], v[160:161]
	v_add_f64_e32 v[22:23], v[18:19], v[16:17]
	ds_load_b128 v[4:7], v2 offset:1232
	ds_load_b128 v[16:19], v2 offset:1248
	s_wait_loadcnt_dscnt 0x901
	v_mul_f64_e32 v[156:157], v[4:5], v[118:119]
	v_mul_f64_e32 v[118:119], v[6:7], v[118:119]
	s_wait_loadcnt_dscnt 0x800
	v_mul_f64_e32 v[114:115], v[16:17], v[122:123]
	v_mul_f64_e32 v[122:123], v[18:19], v[122:123]
	v_add_f64_e32 v[20:21], v[22:23], v[20:21]
	v_add_f64_e32 v[22:23], v[152:153], v[158:159]
	v_fmac_f64_e32 v[156:157], v[6:7], v[116:117]
	v_fma_f64 v[116:117], v[4:5], v[116:117], -v[118:119]
	v_fmac_f64_e32 v[114:115], v[18:19], v[120:121]
	v_fma_f64 v[16:17], v[16:17], v[120:121], -v[122:123]
	v_add_f64_e32 v[112:113], v[20:21], v[112:113]
	v_add_f64_e32 v[118:119], v[22:23], v[154:155]
	ds_load_b128 v[4:7], v2 offset:1264
	ds_load_b128 v[20:23], v2 offset:1280
	s_wait_loadcnt_dscnt 0x701
	v_mul_f64_e32 v[144:145], v[4:5], v[126:127]
	v_mul_f64_e32 v[126:127], v[6:7], v[126:127]
	v_add_f64_e32 v[18:19], v[112:113], v[116:117]
	v_add_f64_e32 v[112:113], v[118:119], v[156:157]
	s_wait_loadcnt_dscnt 0x600
	v_mul_f64_e32 v[116:117], v[20:21], v[130:131]
	v_mul_f64_e32 v[118:119], v[22:23], v[130:131]
	v_fmac_f64_e32 v[144:145], v[6:7], v[124:125]
	v_fma_f64 v[120:121], v[4:5], v[124:125], -v[126:127]
	v_add_f64_e32 v[122:123], v[18:19], v[16:17]
	v_add_f64_e32 v[112:113], v[112:113], v[114:115]
	ds_load_b128 v[4:7], v2 offset:1296
	ds_load_b128 v[16:19], v2 offset:1312
	v_fmac_f64_e32 v[116:117], v[22:23], v[128:129]
	v_fma_f64 v[20:21], v[20:21], v[128:129], -v[118:119]
	s_wait_loadcnt_dscnt 0x501
	v_mul_f64_e32 v[114:115], v[4:5], v[138:139]
	v_mul_f64_e32 v[124:125], v[6:7], v[138:139]
	s_wait_loadcnt_dscnt 0x300
	v_mul_f64_e32 v[118:119], v[16:17], v[150:151]
	v_add_f64_e32 v[22:23], v[122:123], v[120:121]
	v_add_f64_e32 v[112:113], v[112:113], v[144:145]
	v_mul_f64_e32 v[120:121], v[18:19], v[150:151]
	v_fmac_f64_e32 v[114:115], v[6:7], v[136:137]
	v_fma_f64 v[122:123], v[4:5], v[136:137], -v[124:125]
	v_fmac_f64_e32 v[118:119], v[18:19], v[148:149]
	v_add_f64_e32 v[124:125], v[22:23], v[20:21]
	v_add_f64_e32 v[112:113], v[112:113], v[116:117]
	ds_load_b128 v[4:7], v2 offset:1328
	ds_load_b128 v[20:23], v2 offset:1344
	v_fma_f64 v[16:17], v[16:17], v[148:149], -v[120:121]
	s_wait_loadcnt_dscnt 0x201
	v_mul_f64_e32 v[116:117], v[4:5], v[134:135]
	v_mul_f64_e32 v[126:127], v[6:7], v[134:135]
	v_add_f64_e32 v[18:19], v[124:125], v[122:123]
	v_add_f64_e32 v[112:113], v[112:113], v[114:115]
	s_wait_loadcnt_dscnt 0x100
	v_mul_f64_e32 v[114:115], v[20:21], v[10:11]
	v_mul_f64_e32 v[10:11], v[22:23], v[10:11]
	v_fmac_f64_e32 v[116:117], v[6:7], v[132:133]
	v_fma_f64 v[120:121], v[4:5], v[132:133], -v[126:127]
	ds_load_b128 v[4:7], v2 offset:1360
	v_add_f64_e32 v[16:17], v[18:19], v[16:17]
	v_add_f64_e32 v[18:19], v[112:113], v[118:119]
	v_fmac_f64_e32 v[114:115], v[22:23], v[8:9]
	v_fma_f64 v[8:9], v[20:21], v[8:9], -v[10:11]
	s_wait_loadcnt_dscnt 0x0
	v_mul_f64_e32 v[112:113], v[4:5], v[14:15]
	v_mul_f64_e32 v[14:15], v[6:7], v[14:15]
	v_add_f64_e32 v[10:11], v[16:17], v[120:121]
	v_add_f64_e32 v[16:17], v[18:19], v[116:117]
	s_delay_alu instid0(VALU_DEP_4) | instskip(NEXT) | instid1(VALU_DEP_4)
	v_fmac_f64_e32 v[112:113], v[6:7], v[12:13]
	v_fma_f64 v[4:5], v[4:5], v[12:13], -v[14:15]
	s_delay_alu instid0(VALU_DEP_4) | instskip(NEXT) | instid1(VALU_DEP_4)
	v_add_f64_e32 v[6:7], v[10:11], v[8:9]
	v_add_f64_e32 v[8:9], v[16:17], v[114:115]
	s_delay_alu instid0(VALU_DEP_2) | instskip(NEXT) | instid1(VALU_DEP_2)
	v_add_f64_e32 v[4:5], v[6:7], v[4:5]
	v_add_f64_e32 v[6:7], v[8:9], v[112:113]
	s_delay_alu instid0(VALU_DEP_2) | instskip(NEXT) | instid1(VALU_DEP_2)
	v_add_f64_e64 v[4:5], v[140:141], -v[4:5]
	v_add_f64_e64 v[6:7], v[142:143], -v[6:7]
	scratch_store_b128 off, v[4:7], off offset:432
	s_wait_xcnt 0x0
	v_cmpx_lt_u32_e32 26, v1
	s_cbranch_execz .LBB106_219
; %bb.218:
	scratch_load_b128 v[6:9], off, s33
	v_dual_mov_b32 v3, v2 :: v_dual_mov_b32 v4, v2
	v_mov_b32_e32 v5, v2
	scratch_store_b128 off, v[2:5], off offset:416
	s_wait_loadcnt 0x0
	ds_store_b128 v110, v[6:9]
.LBB106_219:
	s_wait_xcnt 0x0
	s_or_b32 exec_lo, exec_lo, s2
	s_wait_storecnt_dscnt 0x0
	s_barrier_signal -1
	s_barrier_wait -1
	s_clause 0x9
	scratch_load_b128 v[4:7], off, off offset:432
	scratch_load_b128 v[8:11], off, off offset:448
	scratch_load_b128 v[12:15], off, off offset:464
	scratch_load_b128 v[16:19], off, off offset:480
	scratch_load_b128 v[20:23], off, off offset:496
	scratch_load_b128 v[112:115], off, off offset:512
	scratch_load_b128 v[116:119], off, off offset:528
	scratch_load_b128 v[120:123], off, off offset:544
	scratch_load_b128 v[124:127], off, off offset:560
	scratch_load_b128 v[128:131], off, off offset:576
	ds_load_b128 v[132:135], v2 offset:1120
	ds_load_b128 v[140:143], v2 offset:1136
	s_clause 0x2
	scratch_load_b128 v[136:139], off, off offset:592
	scratch_load_b128 v[144:147], off, off offset:416
	;; [unrolled: 1-line block ×3, first 2 shown]
	s_mov_b32 s2, exec_lo
	s_wait_loadcnt_dscnt 0xc01
	v_mul_f64_e32 v[152:153], v[134:135], v[6:7]
	v_mul_f64_e32 v[156:157], v[132:133], v[6:7]
	s_wait_loadcnt_dscnt 0xb00
	v_mul_f64_e32 v[158:159], v[140:141], v[10:11]
	v_mul_f64_e32 v[10:11], v[142:143], v[10:11]
	s_delay_alu instid0(VALU_DEP_4) | instskip(NEXT) | instid1(VALU_DEP_4)
	v_fma_f64 v[160:161], v[132:133], v[4:5], -v[152:153]
	v_fmac_f64_e32 v[156:157], v[134:135], v[4:5]
	ds_load_b128 v[4:7], v2 offset:1152
	ds_load_b128 v[132:135], v2 offset:1168
	scratch_load_b128 v[152:155], off, off offset:624
	v_fmac_f64_e32 v[158:159], v[142:143], v[8:9]
	v_fma_f64 v[140:141], v[140:141], v[8:9], -v[10:11]
	scratch_load_b128 v[8:11], off, off offset:640
	s_wait_loadcnt_dscnt 0xc01
	v_mul_f64_e32 v[162:163], v[4:5], v[14:15]
	v_mul_f64_e32 v[14:15], v[6:7], v[14:15]
	v_add_f64_e32 v[142:143], 0, v[160:161]
	v_add_f64_e32 v[156:157], 0, v[156:157]
	s_wait_loadcnt_dscnt 0xb00
	v_mul_f64_e32 v[160:161], v[132:133], v[18:19]
	v_mul_f64_e32 v[18:19], v[134:135], v[18:19]
	v_fmac_f64_e32 v[162:163], v[6:7], v[12:13]
	v_fma_f64 v[164:165], v[4:5], v[12:13], -v[14:15]
	ds_load_b128 v[4:7], v2 offset:1184
	ds_load_b128 v[12:15], v2 offset:1200
	v_add_f64_e32 v[166:167], v[142:143], v[140:141]
	v_add_f64_e32 v[156:157], v[156:157], v[158:159]
	scratch_load_b128 v[140:143], off, off offset:656
	v_fmac_f64_e32 v[160:161], v[134:135], v[16:17]
	v_fma_f64 v[132:133], v[132:133], v[16:17], -v[18:19]
	scratch_load_b128 v[16:19], off, off offset:672
	s_wait_loadcnt_dscnt 0xc01
	v_mul_f64_e32 v[158:159], v[4:5], v[22:23]
	v_mul_f64_e32 v[22:23], v[6:7], v[22:23]
	v_add_f64_e32 v[134:135], v[166:167], v[164:165]
	v_add_f64_e32 v[156:157], v[156:157], v[162:163]
	s_wait_loadcnt_dscnt 0xb00
	v_mul_f64_e32 v[162:163], v[12:13], v[114:115]
	v_mul_f64_e32 v[114:115], v[14:15], v[114:115]
	v_fmac_f64_e32 v[158:159], v[6:7], v[20:21]
	v_fma_f64 v[164:165], v[4:5], v[20:21], -v[22:23]
	ds_load_b128 v[4:7], v2 offset:1216
	ds_load_b128 v[20:23], v2 offset:1232
	v_add_f64_e32 v[132:133], v[134:135], v[132:133]
	v_add_f64_e32 v[134:135], v[156:157], v[160:161]
	s_wait_loadcnt_dscnt 0xa01
	v_mul_f64_e32 v[156:157], v[4:5], v[118:119]
	v_mul_f64_e32 v[118:119], v[6:7], v[118:119]
	v_fmac_f64_e32 v[162:163], v[14:15], v[112:113]
	v_fma_f64 v[12:13], v[12:13], v[112:113], -v[114:115]
	s_wait_loadcnt_dscnt 0x900
	v_mul_f64_e32 v[114:115], v[20:21], v[122:123]
	v_mul_f64_e32 v[122:123], v[22:23], v[122:123]
	v_add_f64_e32 v[14:15], v[132:133], v[164:165]
	v_add_f64_e32 v[112:113], v[134:135], v[158:159]
	v_fmac_f64_e32 v[156:157], v[6:7], v[116:117]
	v_fma_f64 v[116:117], v[4:5], v[116:117], -v[118:119]
	v_fmac_f64_e32 v[114:115], v[22:23], v[120:121]
	v_fma_f64 v[20:21], v[20:21], v[120:121], -v[122:123]
	v_add_f64_e32 v[118:119], v[14:15], v[12:13]
	v_add_f64_e32 v[112:113], v[112:113], v[162:163]
	ds_load_b128 v[4:7], v2 offset:1248
	ds_load_b128 v[12:15], v2 offset:1264
	s_wait_loadcnt_dscnt 0x801
	v_mul_f64_e32 v[132:133], v[4:5], v[126:127]
	v_mul_f64_e32 v[126:127], v[6:7], v[126:127]
	v_add_f64_e32 v[22:23], v[118:119], v[116:117]
	v_add_f64_e32 v[112:113], v[112:113], v[156:157]
	s_wait_loadcnt_dscnt 0x700
	v_mul_f64_e32 v[116:117], v[12:13], v[130:131]
	v_mul_f64_e32 v[118:119], v[14:15], v[130:131]
	v_fmac_f64_e32 v[132:133], v[6:7], v[124:125]
	v_fma_f64 v[120:121], v[4:5], v[124:125], -v[126:127]
	v_add_f64_e32 v[122:123], v[22:23], v[20:21]
	v_add_f64_e32 v[112:113], v[112:113], v[114:115]
	ds_load_b128 v[4:7], v2 offset:1280
	ds_load_b128 v[20:23], v2 offset:1296
	v_fmac_f64_e32 v[116:117], v[14:15], v[128:129]
	v_fma_f64 v[12:13], v[12:13], v[128:129], -v[118:119]
	s_wait_loadcnt_dscnt 0x601
	v_mul_f64_e32 v[114:115], v[4:5], v[138:139]
	v_mul_f64_e32 v[124:125], v[6:7], v[138:139]
	s_wait_loadcnt_dscnt 0x400
	v_mul_f64_e32 v[118:119], v[20:21], v[150:151]
	v_add_f64_e32 v[14:15], v[122:123], v[120:121]
	v_add_f64_e32 v[112:113], v[112:113], v[132:133]
	v_mul_f64_e32 v[120:121], v[22:23], v[150:151]
	v_fmac_f64_e32 v[114:115], v[6:7], v[136:137]
	v_fma_f64 v[122:123], v[4:5], v[136:137], -v[124:125]
	v_fmac_f64_e32 v[118:119], v[22:23], v[148:149]
	v_add_f64_e32 v[124:125], v[14:15], v[12:13]
	v_add_f64_e32 v[112:113], v[112:113], v[116:117]
	ds_load_b128 v[4:7], v2 offset:1312
	ds_load_b128 v[12:15], v2 offset:1328
	v_fma_f64 v[20:21], v[20:21], v[148:149], -v[120:121]
	s_wait_loadcnt_dscnt 0x301
	v_mul_f64_e32 v[116:117], v[4:5], v[154:155]
	v_mul_f64_e32 v[126:127], v[6:7], v[154:155]
	v_add_f64_e32 v[22:23], v[124:125], v[122:123]
	v_add_f64_e32 v[112:113], v[112:113], v[114:115]
	s_wait_loadcnt_dscnt 0x200
	v_mul_f64_e32 v[114:115], v[12:13], v[10:11]
	v_mul_f64_e32 v[10:11], v[14:15], v[10:11]
	v_fmac_f64_e32 v[116:117], v[6:7], v[152:153]
	v_fma_f64 v[120:121], v[4:5], v[152:153], -v[126:127]
	v_add_f64_e32 v[122:123], v[22:23], v[20:21]
	v_add_f64_e32 v[112:113], v[112:113], v[118:119]
	ds_load_b128 v[4:7], v2 offset:1344
	ds_load_b128 v[20:23], v2 offset:1360
	v_fmac_f64_e32 v[114:115], v[14:15], v[8:9]
	v_fma_f64 v[8:9], v[12:13], v[8:9], -v[10:11]
	s_wait_loadcnt_dscnt 0x101
	v_mul_f64_e32 v[2:3], v[4:5], v[142:143]
	v_mul_f64_e32 v[118:119], v[6:7], v[142:143]
	s_wait_loadcnt_dscnt 0x0
	v_mul_f64_e32 v[14:15], v[20:21], v[18:19]
	v_mul_f64_e32 v[18:19], v[22:23], v[18:19]
	v_add_f64_e32 v[10:11], v[122:123], v[120:121]
	v_add_f64_e32 v[12:13], v[112:113], v[116:117]
	v_fmac_f64_e32 v[2:3], v[6:7], v[140:141]
	v_fma_f64 v[4:5], v[4:5], v[140:141], -v[118:119]
	v_fmac_f64_e32 v[14:15], v[22:23], v[16:17]
	v_add_f64_e32 v[6:7], v[10:11], v[8:9]
	v_add_f64_e32 v[8:9], v[12:13], v[114:115]
	v_fma_f64 v[10:11], v[20:21], v[16:17], -v[18:19]
	s_delay_alu instid0(VALU_DEP_3) | instskip(NEXT) | instid1(VALU_DEP_3)
	v_add_f64_e32 v[4:5], v[6:7], v[4:5]
	v_add_f64_e32 v[2:3], v[8:9], v[2:3]
	s_delay_alu instid0(VALU_DEP_2) | instskip(NEXT) | instid1(VALU_DEP_2)
	v_add_f64_e32 v[4:5], v[4:5], v[10:11]
	v_add_f64_e32 v[6:7], v[2:3], v[14:15]
	s_delay_alu instid0(VALU_DEP_2) | instskip(NEXT) | instid1(VALU_DEP_2)
	v_add_f64_e64 v[2:3], v[144:145], -v[4:5]
	v_add_f64_e64 v[4:5], v[146:147], -v[6:7]
	scratch_store_b128 off, v[2:5], off offset:416
	s_wait_xcnt 0x0
	v_cmpx_lt_u32_e32 25, v1
	s_cbranch_execz .LBB106_221
; %bb.220:
	scratch_load_b128 v[2:5], off, s34
	v_mov_b32_e32 v6, 0
	s_delay_alu instid0(VALU_DEP_1)
	v_dual_mov_b32 v7, v6 :: v_dual_mov_b32 v8, v6
	v_mov_b32_e32 v9, v6
	scratch_store_b128 off, v[6:9], off offset:400
	s_wait_loadcnt 0x0
	ds_store_b128 v110, v[2:5]
.LBB106_221:
	s_wait_xcnt 0x0
	s_or_b32 exec_lo, exec_lo, s2
	s_wait_storecnt_dscnt 0x0
	s_barrier_signal -1
	s_barrier_wait -1
	s_clause 0x9
	scratch_load_b128 v[4:7], off, off offset:416
	scratch_load_b128 v[8:11], off, off offset:432
	;; [unrolled: 1-line block ×10, first 2 shown]
	v_mov_b32_e32 v2, 0
	s_mov_b32 s2, exec_lo
	ds_load_b128 v[132:135], v2 offset:1104
	s_clause 0x2
	scratch_load_b128 v[136:139], off, off offset:576
	scratch_load_b128 v[140:143], off, off offset:400
	;; [unrolled: 1-line block ×3, first 2 shown]
	s_wait_loadcnt_dscnt 0xc00
	v_mul_f64_e32 v[152:153], v[134:135], v[6:7]
	v_mul_f64_e32 v[156:157], v[132:133], v[6:7]
	ds_load_b128 v[144:147], v2 offset:1120
	v_fma_f64 v[160:161], v[132:133], v[4:5], -v[152:153]
	v_fmac_f64_e32 v[156:157], v[134:135], v[4:5]
	ds_load_b128 v[4:7], v2 offset:1136
	s_wait_loadcnt_dscnt 0xb01
	v_mul_f64_e32 v[158:159], v[144:145], v[10:11]
	v_mul_f64_e32 v[10:11], v[146:147], v[10:11]
	scratch_load_b128 v[132:135], off, off offset:608
	ds_load_b128 v[152:155], v2 offset:1152
	s_wait_loadcnt_dscnt 0xb01
	v_mul_f64_e32 v[162:163], v[4:5], v[14:15]
	v_mul_f64_e32 v[14:15], v[6:7], v[14:15]
	v_add_f64_e32 v[156:157], 0, v[156:157]
	v_fmac_f64_e32 v[158:159], v[146:147], v[8:9]
	v_fma_f64 v[144:145], v[144:145], v[8:9], -v[10:11]
	v_add_f64_e32 v[146:147], 0, v[160:161]
	scratch_load_b128 v[8:11], off, off offset:624
	v_fmac_f64_e32 v[162:163], v[6:7], v[12:13]
	v_fma_f64 v[164:165], v[4:5], v[12:13], -v[14:15]
	ds_load_b128 v[4:7], v2 offset:1168
	s_wait_loadcnt_dscnt 0xb01
	v_mul_f64_e32 v[160:161], v[152:153], v[18:19]
	v_mul_f64_e32 v[18:19], v[154:155], v[18:19]
	scratch_load_b128 v[12:15], off, off offset:640
	v_add_f64_e32 v[156:157], v[156:157], v[158:159]
	v_add_f64_e32 v[166:167], v[146:147], v[144:145]
	ds_load_b128 v[144:147], v2 offset:1184
	s_wait_loadcnt_dscnt 0xb01
	v_mul_f64_e32 v[158:159], v[4:5], v[22:23]
	v_mul_f64_e32 v[22:23], v[6:7], v[22:23]
	v_fmac_f64_e32 v[160:161], v[154:155], v[16:17]
	v_fma_f64 v[152:153], v[152:153], v[16:17], -v[18:19]
	scratch_load_b128 v[16:19], off, off offset:656
	v_add_f64_e32 v[156:157], v[156:157], v[162:163]
	v_add_f64_e32 v[154:155], v[166:167], v[164:165]
	v_fmac_f64_e32 v[158:159], v[6:7], v[20:21]
	v_fma_f64 v[164:165], v[4:5], v[20:21], -v[22:23]
	ds_load_b128 v[4:7], v2 offset:1200
	s_wait_loadcnt_dscnt 0xb01
	v_mul_f64_e32 v[162:163], v[144:145], v[114:115]
	v_mul_f64_e32 v[114:115], v[146:147], v[114:115]
	scratch_load_b128 v[20:23], off, off offset:672
	v_add_f64_e32 v[156:157], v[156:157], v[160:161]
	s_wait_loadcnt_dscnt 0xb00
	v_mul_f64_e32 v[160:161], v[4:5], v[118:119]
	v_add_f64_e32 v[166:167], v[154:155], v[152:153]
	v_mul_f64_e32 v[118:119], v[6:7], v[118:119]
	ds_load_b128 v[152:155], v2 offset:1216
	v_fmac_f64_e32 v[162:163], v[146:147], v[112:113]
	v_fma_f64 v[112:113], v[144:145], v[112:113], -v[114:115]
	s_wait_loadcnt_dscnt 0xa00
	v_mul_f64_e32 v[146:147], v[152:153], v[122:123]
	v_mul_f64_e32 v[122:123], v[154:155], v[122:123]
	v_add_f64_e32 v[144:145], v[156:157], v[158:159]
	v_fmac_f64_e32 v[160:161], v[6:7], v[116:117]
	v_add_f64_e32 v[114:115], v[166:167], v[164:165]
	v_fma_f64 v[116:117], v[4:5], v[116:117], -v[118:119]
	v_fmac_f64_e32 v[146:147], v[154:155], v[120:121]
	v_fma_f64 v[120:121], v[152:153], v[120:121], -v[122:123]
	v_add_f64_e32 v[144:145], v[144:145], v[162:163]
	v_add_f64_e32 v[118:119], v[114:115], v[112:113]
	ds_load_b128 v[4:7], v2 offset:1232
	ds_load_b128 v[112:115], v2 offset:1248
	s_wait_loadcnt_dscnt 0x901
	v_mul_f64_e32 v[156:157], v[4:5], v[126:127]
	v_mul_f64_e32 v[126:127], v[6:7], v[126:127]
	s_wait_loadcnt_dscnt 0x800
	v_mul_f64_e32 v[122:123], v[112:113], v[130:131]
	v_mul_f64_e32 v[130:131], v[114:115], v[130:131]
	v_add_f64_e32 v[116:117], v[118:119], v[116:117]
	v_add_f64_e32 v[118:119], v[144:145], v[160:161]
	v_fmac_f64_e32 v[156:157], v[6:7], v[124:125]
	v_fma_f64 v[124:125], v[4:5], v[124:125], -v[126:127]
	v_fmac_f64_e32 v[122:123], v[114:115], v[128:129]
	v_fma_f64 v[112:113], v[112:113], v[128:129], -v[130:131]
	v_add_f64_e32 v[120:121], v[116:117], v[120:121]
	v_add_f64_e32 v[126:127], v[118:119], v[146:147]
	ds_load_b128 v[4:7], v2 offset:1264
	ds_load_b128 v[116:119], v2 offset:1280
	s_wait_loadcnt_dscnt 0x701
	v_mul_f64_e32 v[144:145], v[4:5], v[138:139]
	v_mul_f64_e32 v[138:139], v[6:7], v[138:139]
	v_add_f64_e32 v[114:115], v[120:121], v[124:125]
	v_add_f64_e32 v[120:121], v[126:127], v[156:157]
	s_wait_loadcnt_dscnt 0x500
	v_mul_f64_e32 v[124:125], v[116:117], v[150:151]
	v_mul_f64_e32 v[126:127], v[118:119], v[150:151]
	v_fmac_f64_e32 v[144:145], v[6:7], v[136:137]
	v_fma_f64 v[128:129], v[4:5], v[136:137], -v[138:139]
	v_add_f64_e32 v[130:131], v[114:115], v[112:113]
	v_add_f64_e32 v[120:121], v[120:121], v[122:123]
	ds_load_b128 v[4:7], v2 offset:1296
	ds_load_b128 v[112:115], v2 offset:1312
	v_fmac_f64_e32 v[124:125], v[118:119], v[148:149]
	v_fma_f64 v[116:117], v[116:117], v[148:149], -v[126:127]
	s_wait_loadcnt_dscnt 0x401
	v_mul_f64_e32 v[122:123], v[4:5], v[134:135]
	v_mul_f64_e32 v[134:135], v[6:7], v[134:135]
	v_add_f64_e32 v[118:119], v[130:131], v[128:129]
	v_add_f64_e32 v[120:121], v[120:121], v[144:145]
	s_wait_loadcnt_dscnt 0x300
	v_mul_f64_e32 v[126:127], v[112:113], v[10:11]
	v_mul_f64_e32 v[10:11], v[114:115], v[10:11]
	v_fmac_f64_e32 v[122:123], v[6:7], v[132:133]
	v_fma_f64 v[128:129], v[4:5], v[132:133], -v[134:135]
	v_add_f64_e32 v[130:131], v[118:119], v[116:117]
	v_add_f64_e32 v[120:121], v[120:121], v[124:125]
	ds_load_b128 v[4:7], v2 offset:1328
	ds_load_b128 v[116:119], v2 offset:1344
	v_fmac_f64_e32 v[126:127], v[114:115], v[8:9]
	v_fma_f64 v[8:9], v[112:113], v[8:9], -v[10:11]
	s_wait_loadcnt_dscnt 0x201
	v_mul_f64_e32 v[124:125], v[4:5], v[14:15]
	v_mul_f64_e32 v[14:15], v[6:7], v[14:15]
	s_wait_loadcnt_dscnt 0x100
	v_mul_f64_e32 v[114:115], v[116:117], v[18:19]
	v_mul_f64_e32 v[18:19], v[118:119], v[18:19]
	v_add_f64_e32 v[10:11], v[130:131], v[128:129]
	v_add_f64_e32 v[112:113], v[120:121], v[122:123]
	v_fmac_f64_e32 v[124:125], v[6:7], v[12:13]
	v_fma_f64 v[12:13], v[4:5], v[12:13], -v[14:15]
	ds_load_b128 v[4:7], v2 offset:1360
	v_fmac_f64_e32 v[114:115], v[118:119], v[16:17]
	v_fma_f64 v[16:17], v[116:117], v[16:17], -v[18:19]
	v_add_f64_e32 v[8:9], v[10:11], v[8:9]
	v_add_f64_e32 v[10:11], v[112:113], v[126:127]
	s_wait_loadcnt_dscnt 0x0
	v_mul_f64_e32 v[14:15], v[4:5], v[22:23]
	v_mul_f64_e32 v[22:23], v[6:7], v[22:23]
	s_delay_alu instid0(VALU_DEP_4) | instskip(NEXT) | instid1(VALU_DEP_4)
	v_add_f64_e32 v[8:9], v[8:9], v[12:13]
	v_add_f64_e32 v[10:11], v[10:11], v[124:125]
	s_delay_alu instid0(VALU_DEP_4) | instskip(NEXT) | instid1(VALU_DEP_4)
	v_fmac_f64_e32 v[14:15], v[6:7], v[20:21]
	v_fma_f64 v[4:5], v[4:5], v[20:21], -v[22:23]
	s_delay_alu instid0(VALU_DEP_4) | instskip(NEXT) | instid1(VALU_DEP_4)
	v_add_f64_e32 v[6:7], v[8:9], v[16:17]
	v_add_f64_e32 v[8:9], v[10:11], v[114:115]
	s_delay_alu instid0(VALU_DEP_2) | instskip(NEXT) | instid1(VALU_DEP_2)
	v_add_f64_e32 v[4:5], v[6:7], v[4:5]
	v_add_f64_e32 v[6:7], v[8:9], v[14:15]
	s_delay_alu instid0(VALU_DEP_2) | instskip(NEXT) | instid1(VALU_DEP_2)
	v_add_f64_e64 v[4:5], v[140:141], -v[4:5]
	v_add_f64_e64 v[6:7], v[142:143], -v[6:7]
	scratch_store_b128 off, v[4:7], off offset:400
	s_wait_xcnt 0x0
	v_cmpx_lt_u32_e32 24, v1
	s_cbranch_execz .LBB106_223
; %bb.222:
	scratch_load_b128 v[6:9], off, s35
	v_dual_mov_b32 v3, v2 :: v_dual_mov_b32 v4, v2
	v_mov_b32_e32 v5, v2
	scratch_store_b128 off, v[2:5], off offset:384
	s_wait_loadcnt 0x0
	ds_store_b128 v110, v[6:9]
.LBB106_223:
	s_wait_xcnt 0x0
	s_or_b32 exec_lo, exec_lo, s2
	s_wait_storecnt_dscnt 0x0
	s_barrier_signal -1
	s_barrier_wait -1
	s_clause 0x9
	scratch_load_b128 v[4:7], off, off offset:400
	scratch_load_b128 v[8:11], off, off offset:416
	;; [unrolled: 1-line block ×10, first 2 shown]
	ds_load_b128 v[132:135], v2 offset:1088
	ds_load_b128 v[140:143], v2 offset:1104
	s_clause 0x2
	scratch_load_b128 v[136:139], off, off offset:560
	scratch_load_b128 v[144:147], off, off offset:384
	scratch_load_b128 v[148:151], off, off offset:576
	s_mov_b32 s2, exec_lo
	s_wait_loadcnt_dscnt 0xc01
	v_mul_f64_e32 v[152:153], v[134:135], v[6:7]
	v_mul_f64_e32 v[156:157], v[132:133], v[6:7]
	s_wait_loadcnt_dscnt 0xb00
	v_mul_f64_e32 v[158:159], v[140:141], v[10:11]
	v_mul_f64_e32 v[10:11], v[142:143], v[10:11]
	s_delay_alu instid0(VALU_DEP_4) | instskip(NEXT) | instid1(VALU_DEP_4)
	v_fma_f64 v[160:161], v[132:133], v[4:5], -v[152:153]
	v_fmac_f64_e32 v[156:157], v[134:135], v[4:5]
	ds_load_b128 v[4:7], v2 offset:1120
	ds_load_b128 v[132:135], v2 offset:1136
	scratch_load_b128 v[152:155], off, off offset:592
	v_fmac_f64_e32 v[158:159], v[142:143], v[8:9]
	v_fma_f64 v[140:141], v[140:141], v[8:9], -v[10:11]
	scratch_load_b128 v[8:11], off, off offset:608
	s_wait_loadcnt_dscnt 0xc01
	v_mul_f64_e32 v[162:163], v[4:5], v[14:15]
	v_mul_f64_e32 v[14:15], v[6:7], v[14:15]
	v_add_f64_e32 v[142:143], 0, v[160:161]
	v_add_f64_e32 v[156:157], 0, v[156:157]
	s_wait_loadcnt_dscnt 0xb00
	v_mul_f64_e32 v[160:161], v[132:133], v[18:19]
	v_mul_f64_e32 v[18:19], v[134:135], v[18:19]
	v_fmac_f64_e32 v[162:163], v[6:7], v[12:13]
	v_fma_f64 v[164:165], v[4:5], v[12:13], -v[14:15]
	ds_load_b128 v[4:7], v2 offset:1152
	ds_load_b128 v[12:15], v2 offset:1168
	v_add_f64_e32 v[166:167], v[142:143], v[140:141]
	v_add_f64_e32 v[156:157], v[156:157], v[158:159]
	scratch_load_b128 v[140:143], off, off offset:624
	v_fmac_f64_e32 v[160:161], v[134:135], v[16:17]
	v_fma_f64 v[132:133], v[132:133], v[16:17], -v[18:19]
	scratch_load_b128 v[16:19], off, off offset:640
	s_wait_loadcnt_dscnt 0xc01
	v_mul_f64_e32 v[158:159], v[4:5], v[22:23]
	v_mul_f64_e32 v[22:23], v[6:7], v[22:23]
	v_add_f64_e32 v[134:135], v[166:167], v[164:165]
	v_add_f64_e32 v[156:157], v[156:157], v[162:163]
	s_wait_loadcnt_dscnt 0xb00
	v_mul_f64_e32 v[162:163], v[12:13], v[114:115]
	v_mul_f64_e32 v[114:115], v[14:15], v[114:115]
	v_fmac_f64_e32 v[158:159], v[6:7], v[20:21]
	v_fma_f64 v[164:165], v[4:5], v[20:21], -v[22:23]
	ds_load_b128 v[4:7], v2 offset:1184
	ds_load_b128 v[20:23], v2 offset:1200
	v_add_f64_e32 v[166:167], v[134:135], v[132:133]
	v_add_f64_e32 v[156:157], v[156:157], v[160:161]
	scratch_load_b128 v[132:135], off, off offset:656
	s_wait_loadcnt_dscnt 0xb01
	v_mul_f64_e32 v[160:161], v[4:5], v[118:119]
	v_mul_f64_e32 v[118:119], v[6:7], v[118:119]
	v_fmac_f64_e32 v[162:163], v[14:15], v[112:113]
	v_fma_f64 v[112:113], v[12:13], v[112:113], -v[114:115]
	scratch_load_b128 v[12:15], off, off offset:672
	v_add_f64_e32 v[114:115], v[166:167], v[164:165]
	v_add_f64_e32 v[156:157], v[156:157], v[158:159]
	s_wait_loadcnt_dscnt 0xb00
	v_mul_f64_e32 v[158:159], v[20:21], v[122:123]
	v_mul_f64_e32 v[122:123], v[22:23], v[122:123]
	v_fmac_f64_e32 v[160:161], v[6:7], v[116:117]
	v_fma_f64 v[116:117], v[4:5], v[116:117], -v[118:119]
	v_add_f64_e32 v[118:119], v[114:115], v[112:113]
	v_add_f64_e32 v[156:157], v[156:157], v[162:163]
	ds_load_b128 v[4:7], v2 offset:1216
	ds_load_b128 v[112:115], v2 offset:1232
	v_fmac_f64_e32 v[158:159], v[22:23], v[120:121]
	v_fma_f64 v[20:21], v[20:21], v[120:121], -v[122:123]
	s_wait_loadcnt_dscnt 0xa01
	v_mul_f64_e32 v[162:163], v[4:5], v[126:127]
	v_mul_f64_e32 v[126:127], v[6:7], v[126:127]
	s_wait_loadcnt_dscnt 0x900
	v_mul_f64_e32 v[120:121], v[114:115], v[130:131]
	v_add_f64_e32 v[22:23], v[118:119], v[116:117]
	v_add_f64_e32 v[116:117], v[156:157], v[160:161]
	v_mul_f64_e32 v[118:119], v[112:113], v[130:131]
	v_fmac_f64_e32 v[162:163], v[6:7], v[124:125]
	v_fma_f64 v[122:123], v[4:5], v[124:125], -v[126:127]
	v_fma_f64 v[112:113], v[112:113], v[128:129], -v[120:121]
	v_add_f64_e32 v[124:125], v[22:23], v[20:21]
	v_add_f64_e32 v[116:117], v[116:117], v[158:159]
	ds_load_b128 v[4:7], v2 offset:1248
	ds_load_b128 v[20:23], v2 offset:1264
	v_fmac_f64_e32 v[118:119], v[114:115], v[128:129]
	s_wait_loadcnt_dscnt 0x801
	v_mul_f64_e32 v[126:127], v[4:5], v[138:139]
	v_mul_f64_e32 v[130:131], v[6:7], v[138:139]
	s_wait_loadcnt_dscnt 0x600
	v_mul_f64_e32 v[120:121], v[20:21], v[150:151]
	v_add_f64_e32 v[114:115], v[124:125], v[122:123]
	v_add_f64_e32 v[116:117], v[116:117], v[162:163]
	v_mul_f64_e32 v[122:123], v[22:23], v[150:151]
	v_fmac_f64_e32 v[126:127], v[6:7], v[136:137]
	v_fma_f64 v[124:125], v[4:5], v[136:137], -v[130:131]
	v_fmac_f64_e32 v[120:121], v[22:23], v[148:149]
	v_add_f64_e32 v[128:129], v[114:115], v[112:113]
	v_add_f64_e32 v[116:117], v[116:117], v[118:119]
	ds_load_b128 v[4:7], v2 offset:1280
	ds_load_b128 v[112:115], v2 offset:1296
	v_fma_f64 v[20:21], v[20:21], v[148:149], -v[122:123]
	s_wait_loadcnt_dscnt 0x501
	v_mul_f64_e32 v[118:119], v[4:5], v[154:155]
	v_mul_f64_e32 v[130:131], v[6:7], v[154:155]
	s_wait_loadcnt_dscnt 0x400
	v_mul_f64_e32 v[122:123], v[112:113], v[10:11]
	v_mul_f64_e32 v[10:11], v[114:115], v[10:11]
	v_add_f64_e32 v[22:23], v[128:129], v[124:125]
	v_add_f64_e32 v[116:117], v[116:117], v[126:127]
	v_fmac_f64_e32 v[118:119], v[6:7], v[152:153]
	v_fma_f64 v[124:125], v[4:5], v[152:153], -v[130:131]
	v_fmac_f64_e32 v[122:123], v[114:115], v[8:9]
	v_fma_f64 v[8:9], v[112:113], v[8:9], -v[10:11]
	v_add_f64_e32 v[126:127], v[22:23], v[20:21]
	v_add_f64_e32 v[116:117], v[116:117], v[120:121]
	ds_load_b128 v[4:7], v2 offset:1312
	ds_load_b128 v[20:23], v2 offset:1328
	s_wait_loadcnt_dscnt 0x301
	v_mul_f64_e32 v[120:121], v[4:5], v[142:143]
	v_mul_f64_e32 v[128:129], v[6:7], v[142:143]
	s_wait_loadcnt_dscnt 0x200
	v_mul_f64_e32 v[114:115], v[20:21], v[18:19]
	v_mul_f64_e32 v[18:19], v[22:23], v[18:19]
	v_add_f64_e32 v[10:11], v[126:127], v[124:125]
	v_add_f64_e32 v[112:113], v[116:117], v[118:119]
	v_fmac_f64_e32 v[120:121], v[6:7], v[140:141]
	v_fma_f64 v[116:117], v[4:5], v[140:141], -v[128:129]
	v_fmac_f64_e32 v[114:115], v[22:23], v[16:17]
	v_fma_f64 v[16:17], v[20:21], v[16:17], -v[18:19]
	v_add_f64_e32 v[118:119], v[10:11], v[8:9]
	v_add_f64_e32 v[112:113], v[112:113], v[122:123]
	ds_load_b128 v[4:7], v2 offset:1344
	ds_load_b128 v[8:11], v2 offset:1360
	s_wait_loadcnt_dscnt 0x101
	v_mul_f64_e32 v[2:3], v[4:5], v[134:135]
	v_mul_f64_e32 v[122:123], v[6:7], v[134:135]
	s_wait_loadcnt_dscnt 0x0
	v_mul_f64_e32 v[22:23], v[8:9], v[14:15]
	v_mul_f64_e32 v[14:15], v[10:11], v[14:15]
	v_add_f64_e32 v[18:19], v[118:119], v[116:117]
	v_add_f64_e32 v[20:21], v[112:113], v[120:121]
	v_fmac_f64_e32 v[2:3], v[6:7], v[132:133]
	v_fma_f64 v[4:5], v[4:5], v[132:133], -v[122:123]
	v_fmac_f64_e32 v[22:23], v[10:11], v[12:13]
	v_fma_f64 v[8:9], v[8:9], v[12:13], -v[14:15]
	v_add_f64_e32 v[6:7], v[18:19], v[16:17]
	v_add_f64_e32 v[16:17], v[20:21], v[114:115]
	s_delay_alu instid0(VALU_DEP_2) | instskip(NEXT) | instid1(VALU_DEP_2)
	v_add_f64_e32 v[4:5], v[6:7], v[4:5]
	v_add_f64_e32 v[2:3], v[16:17], v[2:3]
	s_delay_alu instid0(VALU_DEP_2) | instskip(NEXT) | instid1(VALU_DEP_2)
	;; [unrolled: 3-line block ×3, first 2 shown]
	v_add_f64_e64 v[2:3], v[144:145], -v[4:5]
	v_add_f64_e64 v[4:5], v[146:147], -v[6:7]
	scratch_store_b128 off, v[2:5], off offset:384
	s_wait_xcnt 0x0
	v_cmpx_lt_u32_e32 23, v1
	s_cbranch_execz .LBB106_225
; %bb.224:
	scratch_load_b128 v[2:5], off, s36
	v_mov_b32_e32 v6, 0
	s_delay_alu instid0(VALU_DEP_1)
	v_dual_mov_b32 v7, v6 :: v_dual_mov_b32 v8, v6
	v_mov_b32_e32 v9, v6
	scratch_store_b128 off, v[6:9], off offset:368
	s_wait_loadcnt 0x0
	ds_store_b128 v110, v[2:5]
.LBB106_225:
	s_wait_xcnt 0x0
	s_or_b32 exec_lo, exec_lo, s2
	s_wait_storecnt_dscnt 0x0
	s_barrier_signal -1
	s_barrier_wait -1
	s_clause 0x9
	scratch_load_b128 v[4:7], off, off offset:384
	scratch_load_b128 v[8:11], off, off offset:400
	scratch_load_b128 v[12:15], off, off offset:416
	scratch_load_b128 v[16:19], off, off offset:432
	scratch_load_b128 v[20:23], off, off offset:448
	scratch_load_b128 v[112:115], off, off offset:464
	scratch_load_b128 v[116:119], off, off offset:480
	scratch_load_b128 v[120:123], off, off offset:496
	scratch_load_b128 v[124:127], off, off offset:512
	scratch_load_b128 v[128:131], off, off offset:528
	v_mov_b32_e32 v2, 0
	s_mov_b32 s2, exec_lo
	ds_load_b128 v[132:135], v2 offset:1072
	s_clause 0x2
	scratch_load_b128 v[136:139], off, off offset:544
	scratch_load_b128 v[140:143], off, off offset:368
	;; [unrolled: 1-line block ×3, first 2 shown]
	s_wait_loadcnt_dscnt 0xc00
	v_mul_f64_e32 v[152:153], v[134:135], v[6:7]
	v_mul_f64_e32 v[156:157], v[132:133], v[6:7]
	ds_load_b128 v[144:147], v2 offset:1088
	v_fma_f64 v[160:161], v[132:133], v[4:5], -v[152:153]
	v_fmac_f64_e32 v[156:157], v[134:135], v[4:5]
	ds_load_b128 v[4:7], v2 offset:1104
	s_wait_loadcnt_dscnt 0xb01
	v_mul_f64_e32 v[158:159], v[144:145], v[10:11]
	v_mul_f64_e32 v[10:11], v[146:147], v[10:11]
	scratch_load_b128 v[132:135], off, off offset:576
	ds_load_b128 v[152:155], v2 offset:1120
	s_wait_loadcnt_dscnt 0xb01
	v_mul_f64_e32 v[162:163], v[4:5], v[14:15]
	v_mul_f64_e32 v[14:15], v[6:7], v[14:15]
	v_add_f64_e32 v[156:157], 0, v[156:157]
	v_fmac_f64_e32 v[158:159], v[146:147], v[8:9]
	v_fma_f64 v[144:145], v[144:145], v[8:9], -v[10:11]
	v_add_f64_e32 v[146:147], 0, v[160:161]
	scratch_load_b128 v[8:11], off, off offset:592
	v_fmac_f64_e32 v[162:163], v[6:7], v[12:13]
	v_fma_f64 v[164:165], v[4:5], v[12:13], -v[14:15]
	ds_load_b128 v[4:7], v2 offset:1136
	s_wait_loadcnt_dscnt 0xb01
	v_mul_f64_e32 v[160:161], v[152:153], v[18:19]
	v_mul_f64_e32 v[18:19], v[154:155], v[18:19]
	scratch_load_b128 v[12:15], off, off offset:608
	v_add_f64_e32 v[156:157], v[156:157], v[158:159]
	v_add_f64_e32 v[166:167], v[146:147], v[144:145]
	ds_load_b128 v[144:147], v2 offset:1152
	s_wait_loadcnt_dscnt 0xb01
	v_mul_f64_e32 v[158:159], v[4:5], v[22:23]
	v_mul_f64_e32 v[22:23], v[6:7], v[22:23]
	v_fmac_f64_e32 v[160:161], v[154:155], v[16:17]
	v_fma_f64 v[152:153], v[152:153], v[16:17], -v[18:19]
	scratch_load_b128 v[16:19], off, off offset:624
	v_add_f64_e32 v[156:157], v[156:157], v[162:163]
	v_add_f64_e32 v[154:155], v[166:167], v[164:165]
	v_fmac_f64_e32 v[158:159], v[6:7], v[20:21]
	v_fma_f64 v[164:165], v[4:5], v[20:21], -v[22:23]
	ds_load_b128 v[4:7], v2 offset:1168
	s_wait_loadcnt_dscnt 0xb01
	v_mul_f64_e32 v[162:163], v[144:145], v[114:115]
	v_mul_f64_e32 v[114:115], v[146:147], v[114:115]
	scratch_load_b128 v[20:23], off, off offset:640
	v_add_f64_e32 v[156:157], v[156:157], v[160:161]
	s_wait_loadcnt_dscnt 0xb00
	v_mul_f64_e32 v[160:161], v[4:5], v[118:119]
	v_add_f64_e32 v[166:167], v[154:155], v[152:153]
	v_mul_f64_e32 v[118:119], v[6:7], v[118:119]
	ds_load_b128 v[152:155], v2 offset:1184
	v_fmac_f64_e32 v[162:163], v[146:147], v[112:113]
	v_fma_f64 v[144:145], v[144:145], v[112:113], -v[114:115]
	scratch_load_b128 v[112:115], off, off offset:656
	v_add_f64_e32 v[156:157], v[156:157], v[158:159]
	v_fmac_f64_e32 v[160:161], v[6:7], v[116:117]
	v_add_f64_e32 v[146:147], v[166:167], v[164:165]
	v_fma_f64 v[164:165], v[4:5], v[116:117], -v[118:119]
	ds_load_b128 v[4:7], v2 offset:1200
	s_wait_loadcnt_dscnt 0xb01
	v_mul_f64_e32 v[158:159], v[152:153], v[122:123]
	v_mul_f64_e32 v[122:123], v[154:155], v[122:123]
	scratch_load_b128 v[116:119], off, off offset:672
	v_add_f64_e32 v[156:157], v[156:157], v[162:163]
	s_wait_loadcnt_dscnt 0xb00
	v_mul_f64_e32 v[162:163], v[4:5], v[126:127]
	v_add_f64_e32 v[166:167], v[146:147], v[144:145]
	v_mul_f64_e32 v[126:127], v[6:7], v[126:127]
	ds_load_b128 v[144:147], v2 offset:1216
	v_fmac_f64_e32 v[158:159], v[154:155], v[120:121]
	v_fma_f64 v[120:121], v[152:153], v[120:121], -v[122:123]
	s_wait_loadcnt_dscnt 0xa00
	v_mul_f64_e32 v[154:155], v[144:145], v[130:131]
	v_mul_f64_e32 v[130:131], v[146:147], v[130:131]
	v_add_f64_e32 v[152:153], v[156:157], v[160:161]
	v_fmac_f64_e32 v[162:163], v[6:7], v[124:125]
	v_add_f64_e32 v[122:123], v[166:167], v[164:165]
	v_fma_f64 v[124:125], v[4:5], v[124:125], -v[126:127]
	v_fmac_f64_e32 v[154:155], v[146:147], v[128:129]
	v_fma_f64 v[128:129], v[144:145], v[128:129], -v[130:131]
	v_add_f64_e32 v[152:153], v[152:153], v[158:159]
	v_add_f64_e32 v[126:127], v[122:123], v[120:121]
	ds_load_b128 v[4:7], v2 offset:1232
	ds_load_b128 v[120:123], v2 offset:1248
	s_wait_loadcnt_dscnt 0x901
	v_mul_f64_e32 v[156:157], v[4:5], v[138:139]
	v_mul_f64_e32 v[138:139], v[6:7], v[138:139]
	s_wait_loadcnt_dscnt 0x700
	v_mul_f64_e32 v[130:131], v[120:121], v[150:151]
	v_mul_f64_e32 v[144:145], v[122:123], v[150:151]
	v_add_f64_e32 v[124:125], v[126:127], v[124:125]
	v_add_f64_e32 v[126:127], v[152:153], v[162:163]
	v_fmac_f64_e32 v[156:157], v[6:7], v[136:137]
	v_fma_f64 v[136:137], v[4:5], v[136:137], -v[138:139]
	v_fmac_f64_e32 v[130:131], v[122:123], v[148:149]
	v_fma_f64 v[120:121], v[120:121], v[148:149], -v[144:145]
	v_add_f64_e32 v[128:129], v[124:125], v[128:129]
	v_add_f64_e32 v[138:139], v[126:127], v[154:155]
	ds_load_b128 v[4:7], v2 offset:1264
	ds_load_b128 v[124:127], v2 offset:1280
	s_wait_loadcnt_dscnt 0x601
	v_mul_f64_e32 v[146:147], v[4:5], v[134:135]
	v_mul_f64_e32 v[134:135], v[6:7], v[134:135]
	v_add_f64_e32 v[122:123], v[128:129], v[136:137]
	v_add_f64_e32 v[128:129], v[138:139], v[156:157]
	s_wait_loadcnt_dscnt 0x500
	v_mul_f64_e32 v[136:137], v[124:125], v[10:11]
	v_mul_f64_e32 v[10:11], v[126:127], v[10:11]
	v_fmac_f64_e32 v[146:147], v[6:7], v[132:133]
	v_fma_f64 v[132:133], v[4:5], v[132:133], -v[134:135]
	v_add_f64_e32 v[134:135], v[122:123], v[120:121]
	v_add_f64_e32 v[128:129], v[128:129], v[130:131]
	ds_load_b128 v[4:7], v2 offset:1296
	ds_load_b128 v[120:123], v2 offset:1312
	v_fmac_f64_e32 v[136:137], v[126:127], v[8:9]
	v_fma_f64 v[8:9], v[124:125], v[8:9], -v[10:11]
	s_wait_loadcnt_dscnt 0x401
	v_mul_f64_e32 v[130:131], v[4:5], v[14:15]
	v_mul_f64_e32 v[14:15], v[6:7], v[14:15]
	s_wait_loadcnt_dscnt 0x300
	v_mul_f64_e32 v[126:127], v[120:121], v[18:19]
	v_mul_f64_e32 v[18:19], v[122:123], v[18:19]
	v_add_f64_e32 v[10:11], v[134:135], v[132:133]
	v_add_f64_e32 v[124:125], v[128:129], v[146:147]
	v_fmac_f64_e32 v[130:131], v[6:7], v[12:13]
	v_fma_f64 v[12:13], v[4:5], v[12:13], -v[14:15]
	v_fmac_f64_e32 v[126:127], v[122:123], v[16:17]
	v_fma_f64 v[16:17], v[120:121], v[16:17], -v[18:19]
	v_add_f64_e32 v[14:15], v[10:11], v[8:9]
	v_add_f64_e32 v[124:125], v[124:125], v[136:137]
	ds_load_b128 v[4:7], v2 offset:1328
	ds_load_b128 v[8:11], v2 offset:1344
	s_wait_loadcnt_dscnt 0x201
	v_mul_f64_e32 v[128:129], v[4:5], v[22:23]
	v_mul_f64_e32 v[22:23], v[6:7], v[22:23]
	s_wait_loadcnt_dscnt 0x100
	v_mul_f64_e32 v[18:19], v[8:9], v[114:115]
	v_mul_f64_e32 v[114:115], v[10:11], v[114:115]
	v_add_f64_e32 v[12:13], v[14:15], v[12:13]
	v_add_f64_e32 v[14:15], v[124:125], v[130:131]
	v_fmac_f64_e32 v[128:129], v[6:7], v[20:21]
	v_fma_f64 v[20:21], v[4:5], v[20:21], -v[22:23]
	ds_load_b128 v[4:7], v2 offset:1360
	v_fmac_f64_e32 v[18:19], v[10:11], v[112:113]
	v_fma_f64 v[8:9], v[8:9], v[112:113], -v[114:115]
	v_add_f64_e32 v[12:13], v[12:13], v[16:17]
	v_add_f64_e32 v[14:15], v[14:15], v[126:127]
	s_wait_loadcnt_dscnt 0x0
	v_mul_f64_e32 v[16:17], v[4:5], v[118:119]
	v_mul_f64_e32 v[22:23], v[6:7], v[118:119]
	s_delay_alu instid0(VALU_DEP_4) | instskip(NEXT) | instid1(VALU_DEP_4)
	v_add_f64_e32 v[10:11], v[12:13], v[20:21]
	v_add_f64_e32 v[12:13], v[14:15], v[128:129]
	s_delay_alu instid0(VALU_DEP_4) | instskip(NEXT) | instid1(VALU_DEP_4)
	v_fmac_f64_e32 v[16:17], v[6:7], v[116:117]
	v_fma_f64 v[4:5], v[4:5], v[116:117], -v[22:23]
	s_delay_alu instid0(VALU_DEP_4) | instskip(NEXT) | instid1(VALU_DEP_4)
	v_add_f64_e32 v[6:7], v[10:11], v[8:9]
	v_add_f64_e32 v[8:9], v[12:13], v[18:19]
	s_delay_alu instid0(VALU_DEP_2) | instskip(NEXT) | instid1(VALU_DEP_2)
	v_add_f64_e32 v[4:5], v[6:7], v[4:5]
	v_add_f64_e32 v[6:7], v[8:9], v[16:17]
	s_delay_alu instid0(VALU_DEP_2) | instskip(NEXT) | instid1(VALU_DEP_2)
	v_add_f64_e64 v[4:5], v[140:141], -v[4:5]
	v_add_f64_e64 v[6:7], v[142:143], -v[6:7]
	scratch_store_b128 off, v[4:7], off offset:368
	s_wait_xcnt 0x0
	v_cmpx_lt_u32_e32 22, v1
	s_cbranch_execz .LBB106_227
; %bb.226:
	scratch_load_b128 v[6:9], off, s37
	v_dual_mov_b32 v3, v2 :: v_dual_mov_b32 v4, v2
	v_mov_b32_e32 v5, v2
	scratch_store_b128 off, v[2:5], off offset:352
	s_wait_loadcnt 0x0
	ds_store_b128 v110, v[6:9]
.LBB106_227:
	s_wait_xcnt 0x0
	s_or_b32 exec_lo, exec_lo, s2
	s_wait_storecnt_dscnt 0x0
	s_barrier_signal -1
	s_barrier_wait -1
	s_clause 0x9
	scratch_load_b128 v[4:7], off, off offset:368
	scratch_load_b128 v[8:11], off, off offset:384
	;; [unrolled: 1-line block ×10, first 2 shown]
	ds_load_b128 v[132:135], v2 offset:1056
	ds_load_b128 v[140:143], v2 offset:1072
	s_clause 0x2
	scratch_load_b128 v[136:139], off, off offset:528
	scratch_load_b128 v[144:147], off, off offset:352
	;; [unrolled: 1-line block ×3, first 2 shown]
	s_mov_b32 s2, exec_lo
	s_wait_loadcnt_dscnt 0xc01
	v_mul_f64_e32 v[152:153], v[134:135], v[6:7]
	v_mul_f64_e32 v[156:157], v[132:133], v[6:7]
	s_wait_loadcnt_dscnt 0xb00
	v_mul_f64_e32 v[158:159], v[140:141], v[10:11]
	v_mul_f64_e32 v[10:11], v[142:143], v[10:11]
	s_delay_alu instid0(VALU_DEP_4) | instskip(NEXT) | instid1(VALU_DEP_4)
	v_fma_f64 v[160:161], v[132:133], v[4:5], -v[152:153]
	v_fmac_f64_e32 v[156:157], v[134:135], v[4:5]
	ds_load_b128 v[4:7], v2 offset:1088
	ds_load_b128 v[132:135], v2 offset:1104
	scratch_load_b128 v[152:155], off, off offset:560
	v_fmac_f64_e32 v[158:159], v[142:143], v[8:9]
	v_fma_f64 v[140:141], v[140:141], v[8:9], -v[10:11]
	scratch_load_b128 v[8:11], off, off offset:576
	s_wait_loadcnt_dscnt 0xc01
	v_mul_f64_e32 v[162:163], v[4:5], v[14:15]
	v_mul_f64_e32 v[14:15], v[6:7], v[14:15]
	v_add_f64_e32 v[142:143], 0, v[160:161]
	v_add_f64_e32 v[156:157], 0, v[156:157]
	s_wait_loadcnt_dscnt 0xb00
	v_mul_f64_e32 v[160:161], v[132:133], v[18:19]
	v_mul_f64_e32 v[18:19], v[134:135], v[18:19]
	v_fmac_f64_e32 v[162:163], v[6:7], v[12:13]
	v_fma_f64 v[164:165], v[4:5], v[12:13], -v[14:15]
	ds_load_b128 v[4:7], v2 offset:1120
	ds_load_b128 v[12:15], v2 offset:1136
	v_add_f64_e32 v[166:167], v[142:143], v[140:141]
	v_add_f64_e32 v[156:157], v[156:157], v[158:159]
	scratch_load_b128 v[140:143], off, off offset:592
	v_fmac_f64_e32 v[160:161], v[134:135], v[16:17]
	v_fma_f64 v[132:133], v[132:133], v[16:17], -v[18:19]
	scratch_load_b128 v[16:19], off, off offset:608
	s_wait_loadcnt_dscnt 0xc01
	v_mul_f64_e32 v[158:159], v[4:5], v[22:23]
	v_mul_f64_e32 v[22:23], v[6:7], v[22:23]
	v_add_f64_e32 v[134:135], v[166:167], v[164:165]
	v_add_f64_e32 v[156:157], v[156:157], v[162:163]
	s_wait_loadcnt_dscnt 0xb00
	v_mul_f64_e32 v[162:163], v[12:13], v[114:115]
	v_mul_f64_e32 v[114:115], v[14:15], v[114:115]
	v_fmac_f64_e32 v[158:159], v[6:7], v[20:21]
	v_fma_f64 v[164:165], v[4:5], v[20:21], -v[22:23]
	ds_load_b128 v[4:7], v2 offset:1152
	ds_load_b128 v[20:23], v2 offset:1168
	v_add_f64_e32 v[166:167], v[134:135], v[132:133]
	v_add_f64_e32 v[156:157], v[156:157], v[160:161]
	scratch_load_b128 v[132:135], off, off offset:624
	s_wait_loadcnt_dscnt 0xb01
	v_mul_f64_e32 v[160:161], v[4:5], v[118:119]
	v_mul_f64_e32 v[118:119], v[6:7], v[118:119]
	v_fmac_f64_e32 v[162:163], v[14:15], v[112:113]
	v_fma_f64 v[112:113], v[12:13], v[112:113], -v[114:115]
	scratch_load_b128 v[12:15], off, off offset:640
	v_add_f64_e32 v[114:115], v[166:167], v[164:165]
	v_add_f64_e32 v[156:157], v[156:157], v[158:159]
	s_wait_loadcnt_dscnt 0xb00
	v_mul_f64_e32 v[158:159], v[20:21], v[122:123]
	v_mul_f64_e32 v[122:123], v[22:23], v[122:123]
	v_fmac_f64_e32 v[160:161], v[6:7], v[116:117]
	v_fma_f64 v[164:165], v[4:5], v[116:117], -v[118:119]
	v_add_f64_e32 v[166:167], v[114:115], v[112:113]
	v_add_f64_e32 v[156:157], v[156:157], v[162:163]
	ds_load_b128 v[4:7], v2 offset:1184
	ds_load_b128 v[112:115], v2 offset:1200
	scratch_load_b128 v[116:119], off, off offset:656
	v_fmac_f64_e32 v[158:159], v[22:23], v[120:121]
	v_fma_f64 v[120:121], v[20:21], v[120:121], -v[122:123]
	scratch_load_b128 v[20:23], off, off offset:672
	s_wait_loadcnt_dscnt 0xc01
	v_mul_f64_e32 v[162:163], v[4:5], v[126:127]
	v_mul_f64_e32 v[126:127], v[6:7], v[126:127]
	v_add_f64_e32 v[122:123], v[166:167], v[164:165]
	v_add_f64_e32 v[156:157], v[156:157], v[160:161]
	s_wait_loadcnt_dscnt 0xb00
	v_mul_f64_e32 v[160:161], v[112:113], v[130:131]
	v_mul_f64_e32 v[130:131], v[114:115], v[130:131]
	v_fmac_f64_e32 v[162:163], v[6:7], v[124:125]
	v_fma_f64 v[124:125], v[4:5], v[124:125], -v[126:127]
	v_add_f64_e32 v[126:127], v[122:123], v[120:121]
	v_add_f64_e32 v[156:157], v[156:157], v[158:159]
	ds_load_b128 v[4:7], v2 offset:1216
	ds_load_b128 v[120:123], v2 offset:1232
	v_fmac_f64_e32 v[160:161], v[114:115], v[128:129]
	v_fma_f64 v[112:113], v[112:113], v[128:129], -v[130:131]
	s_wait_loadcnt_dscnt 0xa01
	v_mul_f64_e32 v[158:159], v[4:5], v[138:139]
	v_mul_f64_e32 v[138:139], v[6:7], v[138:139]
	s_wait_loadcnt_dscnt 0x800
	v_mul_f64_e32 v[128:129], v[122:123], v[150:151]
	v_add_f64_e32 v[114:115], v[126:127], v[124:125]
	v_add_f64_e32 v[124:125], v[156:157], v[162:163]
	v_mul_f64_e32 v[126:127], v[120:121], v[150:151]
	v_fmac_f64_e32 v[158:159], v[6:7], v[136:137]
	v_fma_f64 v[130:131], v[4:5], v[136:137], -v[138:139]
	v_fma_f64 v[120:121], v[120:121], v[148:149], -v[128:129]
	v_add_f64_e32 v[136:137], v[114:115], v[112:113]
	v_add_f64_e32 v[124:125], v[124:125], v[160:161]
	ds_load_b128 v[4:7], v2 offset:1248
	ds_load_b128 v[112:115], v2 offset:1264
	v_fmac_f64_e32 v[126:127], v[122:123], v[148:149]
	s_wait_loadcnt_dscnt 0x701
	v_mul_f64_e32 v[138:139], v[4:5], v[154:155]
	v_mul_f64_e32 v[150:151], v[6:7], v[154:155]
	s_wait_loadcnt_dscnt 0x600
	v_mul_f64_e32 v[128:129], v[112:113], v[10:11]
	v_mul_f64_e32 v[10:11], v[114:115], v[10:11]
	v_add_f64_e32 v[122:123], v[136:137], v[130:131]
	v_add_f64_e32 v[124:125], v[124:125], v[158:159]
	v_fmac_f64_e32 v[138:139], v[6:7], v[152:153]
	v_fma_f64 v[130:131], v[4:5], v[152:153], -v[150:151]
	v_fmac_f64_e32 v[128:129], v[114:115], v[8:9]
	v_fma_f64 v[8:9], v[112:113], v[8:9], -v[10:11]
	v_add_f64_e32 v[136:137], v[122:123], v[120:121]
	v_add_f64_e32 v[124:125], v[124:125], v[126:127]
	ds_load_b128 v[4:7], v2 offset:1280
	ds_load_b128 v[120:123], v2 offset:1296
	s_wait_loadcnt_dscnt 0x501
	v_mul_f64_e32 v[126:127], v[4:5], v[142:143]
	v_mul_f64_e32 v[142:143], v[6:7], v[142:143]
	s_wait_loadcnt_dscnt 0x400
	v_mul_f64_e32 v[114:115], v[120:121], v[18:19]
	v_mul_f64_e32 v[18:19], v[122:123], v[18:19]
	v_add_f64_e32 v[10:11], v[136:137], v[130:131]
	v_add_f64_e32 v[112:113], v[124:125], v[138:139]
	v_fmac_f64_e32 v[126:127], v[6:7], v[140:141]
	v_fma_f64 v[124:125], v[4:5], v[140:141], -v[142:143]
	v_fmac_f64_e32 v[114:115], v[122:123], v[16:17]
	v_fma_f64 v[16:17], v[120:121], v[16:17], -v[18:19]
	v_add_f64_e32 v[130:131], v[10:11], v[8:9]
	v_add_f64_e32 v[112:113], v[112:113], v[128:129]
	ds_load_b128 v[4:7], v2 offset:1312
	ds_load_b128 v[8:11], v2 offset:1328
	;; [unrolled: 16-line block ×3, first 2 shown]
	s_wait_loadcnt_dscnt 0x101
	v_mul_f64_e32 v[2:3], v[4:5], v[118:119]
	v_mul_f64_e32 v[114:115], v[6:7], v[118:119]
	v_add_f64_e32 v[10:11], v[18:19], v[124:125]
	v_add_f64_e32 v[12:13], v[112:113], v[128:129]
	s_wait_loadcnt_dscnt 0x0
	v_mul_f64_e32 v[18:19], v[14:15], v[22:23]
	v_mul_f64_e32 v[22:23], v[16:17], v[22:23]
	v_fmac_f64_e32 v[2:3], v[6:7], v[116:117]
	v_fma_f64 v[4:5], v[4:5], v[116:117], -v[114:115]
	v_add_f64_e32 v[6:7], v[10:11], v[8:9]
	v_add_f64_e32 v[8:9], v[12:13], v[120:121]
	v_fmac_f64_e32 v[18:19], v[16:17], v[20:21]
	v_fma_f64 v[10:11], v[14:15], v[20:21], -v[22:23]
	s_delay_alu instid0(VALU_DEP_4) | instskip(NEXT) | instid1(VALU_DEP_4)
	v_add_f64_e32 v[4:5], v[6:7], v[4:5]
	v_add_f64_e32 v[2:3], v[8:9], v[2:3]
	s_delay_alu instid0(VALU_DEP_2) | instskip(NEXT) | instid1(VALU_DEP_2)
	v_add_f64_e32 v[4:5], v[4:5], v[10:11]
	v_add_f64_e32 v[6:7], v[2:3], v[18:19]
	s_delay_alu instid0(VALU_DEP_2) | instskip(NEXT) | instid1(VALU_DEP_2)
	v_add_f64_e64 v[2:3], v[144:145], -v[4:5]
	v_add_f64_e64 v[4:5], v[146:147], -v[6:7]
	scratch_store_b128 off, v[2:5], off offset:352
	s_wait_xcnt 0x0
	v_cmpx_lt_u32_e32 21, v1
	s_cbranch_execz .LBB106_229
; %bb.228:
	scratch_load_b128 v[2:5], off, s38
	v_mov_b32_e32 v6, 0
	s_delay_alu instid0(VALU_DEP_1)
	v_dual_mov_b32 v7, v6 :: v_dual_mov_b32 v8, v6
	v_mov_b32_e32 v9, v6
	scratch_store_b128 off, v[6:9], off offset:336
	s_wait_loadcnt 0x0
	ds_store_b128 v110, v[2:5]
.LBB106_229:
	s_wait_xcnt 0x0
	s_or_b32 exec_lo, exec_lo, s2
	s_wait_storecnt_dscnt 0x0
	s_barrier_signal -1
	s_barrier_wait -1
	s_clause 0x9
	scratch_load_b128 v[4:7], off, off offset:352
	scratch_load_b128 v[8:11], off, off offset:368
	;; [unrolled: 1-line block ×10, first 2 shown]
	v_mov_b32_e32 v2, 0
	s_mov_b32 s2, exec_lo
	ds_load_b128 v[132:135], v2 offset:1040
	s_clause 0x2
	scratch_load_b128 v[136:139], off, off offset:512
	scratch_load_b128 v[140:143], off, off offset:336
	;; [unrolled: 1-line block ×3, first 2 shown]
	s_wait_loadcnt_dscnt 0xc00
	v_mul_f64_e32 v[152:153], v[134:135], v[6:7]
	v_mul_f64_e32 v[156:157], v[132:133], v[6:7]
	ds_load_b128 v[144:147], v2 offset:1056
	v_fma_f64 v[160:161], v[132:133], v[4:5], -v[152:153]
	v_fmac_f64_e32 v[156:157], v[134:135], v[4:5]
	ds_load_b128 v[4:7], v2 offset:1072
	s_wait_loadcnt_dscnt 0xb01
	v_mul_f64_e32 v[158:159], v[144:145], v[10:11]
	v_mul_f64_e32 v[10:11], v[146:147], v[10:11]
	scratch_load_b128 v[132:135], off, off offset:544
	ds_load_b128 v[152:155], v2 offset:1088
	s_wait_loadcnt_dscnt 0xb01
	v_mul_f64_e32 v[162:163], v[4:5], v[14:15]
	v_mul_f64_e32 v[14:15], v[6:7], v[14:15]
	v_add_f64_e32 v[156:157], 0, v[156:157]
	v_fmac_f64_e32 v[158:159], v[146:147], v[8:9]
	v_fma_f64 v[144:145], v[144:145], v[8:9], -v[10:11]
	v_add_f64_e32 v[146:147], 0, v[160:161]
	scratch_load_b128 v[8:11], off, off offset:560
	v_fmac_f64_e32 v[162:163], v[6:7], v[12:13]
	v_fma_f64 v[164:165], v[4:5], v[12:13], -v[14:15]
	ds_load_b128 v[4:7], v2 offset:1104
	s_wait_loadcnt_dscnt 0xb01
	v_mul_f64_e32 v[160:161], v[152:153], v[18:19]
	v_mul_f64_e32 v[18:19], v[154:155], v[18:19]
	scratch_load_b128 v[12:15], off, off offset:576
	v_add_f64_e32 v[156:157], v[156:157], v[158:159]
	v_add_f64_e32 v[166:167], v[146:147], v[144:145]
	ds_load_b128 v[144:147], v2 offset:1120
	s_wait_loadcnt_dscnt 0xb01
	v_mul_f64_e32 v[158:159], v[4:5], v[22:23]
	v_mul_f64_e32 v[22:23], v[6:7], v[22:23]
	v_fmac_f64_e32 v[160:161], v[154:155], v[16:17]
	v_fma_f64 v[152:153], v[152:153], v[16:17], -v[18:19]
	scratch_load_b128 v[16:19], off, off offset:592
	v_add_f64_e32 v[156:157], v[156:157], v[162:163]
	v_add_f64_e32 v[154:155], v[166:167], v[164:165]
	v_fmac_f64_e32 v[158:159], v[6:7], v[20:21]
	v_fma_f64 v[164:165], v[4:5], v[20:21], -v[22:23]
	ds_load_b128 v[4:7], v2 offset:1136
	s_wait_loadcnt_dscnt 0xb01
	v_mul_f64_e32 v[162:163], v[144:145], v[114:115]
	v_mul_f64_e32 v[114:115], v[146:147], v[114:115]
	scratch_load_b128 v[20:23], off, off offset:608
	v_add_f64_e32 v[156:157], v[156:157], v[160:161]
	s_wait_loadcnt_dscnt 0xb00
	v_mul_f64_e32 v[160:161], v[4:5], v[118:119]
	v_add_f64_e32 v[166:167], v[154:155], v[152:153]
	v_mul_f64_e32 v[118:119], v[6:7], v[118:119]
	ds_load_b128 v[152:155], v2 offset:1152
	v_fmac_f64_e32 v[162:163], v[146:147], v[112:113]
	v_fma_f64 v[144:145], v[144:145], v[112:113], -v[114:115]
	scratch_load_b128 v[112:115], off, off offset:624
	v_add_f64_e32 v[156:157], v[156:157], v[158:159]
	v_fmac_f64_e32 v[160:161], v[6:7], v[116:117]
	v_add_f64_e32 v[146:147], v[166:167], v[164:165]
	v_fma_f64 v[164:165], v[4:5], v[116:117], -v[118:119]
	ds_load_b128 v[4:7], v2 offset:1168
	s_wait_loadcnt_dscnt 0xb01
	v_mul_f64_e32 v[158:159], v[152:153], v[122:123]
	v_mul_f64_e32 v[122:123], v[154:155], v[122:123]
	scratch_load_b128 v[116:119], off, off offset:640
	v_add_f64_e32 v[156:157], v[156:157], v[162:163]
	s_wait_loadcnt_dscnt 0xb00
	v_mul_f64_e32 v[162:163], v[4:5], v[126:127]
	v_add_f64_e32 v[166:167], v[146:147], v[144:145]
	v_mul_f64_e32 v[126:127], v[6:7], v[126:127]
	ds_load_b128 v[144:147], v2 offset:1184
	v_fmac_f64_e32 v[158:159], v[154:155], v[120:121]
	v_fma_f64 v[152:153], v[152:153], v[120:121], -v[122:123]
	scratch_load_b128 v[120:123], off, off offset:656
	v_add_f64_e32 v[156:157], v[156:157], v[160:161]
	v_fmac_f64_e32 v[162:163], v[6:7], v[124:125]
	v_add_f64_e32 v[154:155], v[166:167], v[164:165]
	v_fma_f64 v[164:165], v[4:5], v[124:125], -v[126:127]
	ds_load_b128 v[4:7], v2 offset:1200
	s_wait_loadcnt_dscnt 0xb01
	v_mul_f64_e32 v[160:161], v[144:145], v[130:131]
	v_mul_f64_e32 v[130:131], v[146:147], v[130:131]
	scratch_load_b128 v[124:127], off, off offset:672
	v_add_f64_e32 v[156:157], v[156:157], v[158:159]
	s_wait_loadcnt_dscnt 0xb00
	v_mul_f64_e32 v[158:159], v[4:5], v[138:139]
	v_add_f64_e32 v[166:167], v[154:155], v[152:153]
	v_mul_f64_e32 v[138:139], v[6:7], v[138:139]
	ds_load_b128 v[152:155], v2 offset:1216
	v_fmac_f64_e32 v[160:161], v[146:147], v[128:129]
	v_fma_f64 v[128:129], v[144:145], v[128:129], -v[130:131]
	s_wait_loadcnt_dscnt 0x900
	v_mul_f64_e32 v[146:147], v[152:153], v[150:151]
	v_mul_f64_e32 v[150:151], v[154:155], v[150:151]
	v_add_f64_e32 v[144:145], v[156:157], v[162:163]
	v_fmac_f64_e32 v[158:159], v[6:7], v[136:137]
	v_add_f64_e32 v[130:131], v[166:167], v[164:165]
	v_fma_f64 v[136:137], v[4:5], v[136:137], -v[138:139]
	v_fmac_f64_e32 v[146:147], v[154:155], v[148:149]
	v_fma_f64 v[148:149], v[152:153], v[148:149], -v[150:151]
	v_add_f64_e32 v[144:145], v[144:145], v[160:161]
	v_add_f64_e32 v[138:139], v[130:131], v[128:129]
	ds_load_b128 v[4:7], v2 offset:1232
	ds_load_b128 v[128:131], v2 offset:1248
	s_wait_loadcnt_dscnt 0x801
	v_mul_f64_e32 v[156:157], v[4:5], v[134:135]
	v_mul_f64_e32 v[134:135], v[6:7], v[134:135]
	v_add_f64_e32 v[136:137], v[138:139], v[136:137]
	v_add_f64_e32 v[138:139], v[144:145], v[158:159]
	s_wait_loadcnt_dscnt 0x700
	v_mul_f64_e32 v[144:145], v[128:129], v[10:11]
	v_mul_f64_e32 v[10:11], v[130:131], v[10:11]
	v_fmac_f64_e32 v[156:157], v[6:7], v[132:133]
	v_fma_f64 v[150:151], v[4:5], v[132:133], -v[134:135]
	ds_load_b128 v[4:7], v2 offset:1264
	ds_load_b128 v[132:135], v2 offset:1280
	v_add_f64_e32 v[136:137], v[136:137], v[148:149]
	v_add_f64_e32 v[138:139], v[138:139], v[146:147]
	v_fmac_f64_e32 v[144:145], v[130:131], v[8:9]
	v_fma_f64 v[8:9], v[128:129], v[8:9], -v[10:11]
	s_wait_loadcnt_dscnt 0x601
	v_mul_f64_e32 v[146:147], v[4:5], v[14:15]
	v_mul_f64_e32 v[14:15], v[6:7], v[14:15]
	s_wait_loadcnt_dscnt 0x500
	v_mul_f64_e32 v[130:131], v[132:133], v[18:19]
	v_mul_f64_e32 v[18:19], v[134:135], v[18:19]
	v_add_f64_e32 v[10:11], v[136:137], v[150:151]
	v_add_f64_e32 v[128:129], v[138:139], v[156:157]
	v_fmac_f64_e32 v[146:147], v[6:7], v[12:13]
	v_fma_f64 v[12:13], v[4:5], v[12:13], -v[14:15]
	v_fmac_f64_e32 v[130:131], v[134:135], v[16:17]
	v_fma_f64 v[16:17], v[132:133], v[16:17], -v[18:19]
	v_add_f64_e32 v[14:15], v[10:11], v[8:9]
	v_add_f64_e32 v[128:129], v[128:129], v[144:145]
	ds_load_b128 v[4:7], v2 offset:1296
	ds_load_b128 v[8:11], v2 offset:1312
	s_wait_loadcnt_dscnt 0x401
	v_mul_f64_e32 v[136:137], v[4:5], v[22:23]
	v_mul_f64_e32 v[22:23], v[6:7], v[22:23]
	s_wait_loadcnt_dscnt 0x300
	v_mul_f64_e32 v[18:19], v[8:9], v[114:115]
	v_mul_f64_e32 v[114:115], v[10:11], v[114:115]
	v_add_f64_e32 v[12:13], v[14:15], v[12:13]
	v_add_f64_e32 v[14:15], v[128:129], v[146:147]
	v_fmac_f64_e32 v[136:137], v[6:7], v[20:21]
	v_fma_f64 v[20:21], v[4:5], v[20:21], -v[22:23]
	v_fmac_f64_e32 v[18:19], v[10:11], v[112:113]
	v_fma_f64 v[8:9], v[8:9], v[112:113], -v[114:115]
	v_add_f64_e32 v[16:17], v[12:13], v[16:17]
	v_add_f64_e32 v[22:23], v[14:15], v[130:131]
	ds_load_b128 v[4:7], v2 offset:1328
	ds_load_b128 v[12:15], v2 offset:1344
	s_wait_loadcnt_dscnt 0x201
	v_mul_f64_e32 v[128:129], v[4:5], v[118:119]
	v_mul_f64_e32 v[118:119], v[6:7], v[118:119]
	v_add_f64_e32 v[10:11], v[16:17], v[20:21]
	v_add_f64_e32 v[16:17], v[22:23], v[136:137]
	s_wait_loadcnt_dscnt 0x100
	v_mul_f64_e32 v[20:21], v[12:13], v[122:123]
	v_mul_f64_e32 v[22:23], v[14:15], v[122:123]
	v_fmac_f64_e32 v[128:129], v[6:7], v[116:117]
	v_fma_f64 v[112:113], v[4:5], v[116:117], -v[118:119]
	ds_load_b128 v[4:7], v2 offset:1360
	v_add_f64_e32 v[8:9], v[10:11], v[8:9]
	v_add_f64_e32 v[10:11], v[16:17], v[18:19]
	v_fmac_f64_e32 v[20:21], v[14:15], v[120:121]
	v_fma_f64 v[12:13], v[12:13], v[120:121], -v[22:23]
	s_wait_loadcnt_dscnt 0x0
	v_mul_f64_e32 v[16:17], v[4:5], v[126:127]
	v_mul_f64_e32 v[18:19], v[6:7], v[126:127]
	v_add_f64_e32 v[8:9], v[8:9], v[112:113]
	v_add_f64_e32 v[10:11], v[10:11], v[128:129]
	s_delay_alu instid0(VALU_DEP_4) | instskip(NEXT) | instid1(VALU_DEP_4)
	v_fmac_f64_e32 v[16:17], v[6:7], v[124:125]
	v_fma_f64 v[4:5], v[4:5], v[124:125], -v[18:19]
	s_delay_alu instid0(VALU_DEP_4) | instskip(NEXT) | instid1(VALU_DEP_4)
	v_add_f64_e32 v[6:7], v[8:9], v[12:13]
	v_add_f64_e32 v[8:9], v[10:11], v[20:21]
	s_delay_alu instid0(VALU_DEP_2) | instskip(NEXT) | instid1(VALU_DEP_2)
	v_add_f64_e32 v[4:5], v[6:7], v[4:5]
	v_add_f64_e32 v[6:7], v[8:9], v[16:17]
	s_delay_alu instid0(VALU_DEP_2) | instskip(NEXT) | instid1(VALU_DEP_2)
	v_add_f64_e64 v[4:5], v[140:141], -v[4:5]
	v_add_f64_e64 v[6:7], v[142:143], -v[6:7]
	scratch_store_b128 off, v[4:7], off offset:336
	s_wait_xcnt 0x0
	v_cmpx_lt_u32_e32 20, v1
	s_cbranch_execz .LBB106_231
; %bb.230:
	scratch_load_b128 v[6:9], off, s39
	v_dual_mov_b32 v3, v2 :: v_dual_mov_b32 v4, v2
	v_mov_b32_e32 v5, v2
	scratch_store_b128 off, v[2:5], off offset:320
	s_wait_loadcnt 0x0
	ds_store_b128 v110, v[6:9]
.LBB106_231:
	s_wait_xcnt 0x0
	s_or_b32 exec_lo, exec_lo, s2
	s_wait_storecnt_dscnt 0x0
	s_barrier_signal -1
	s_barrier_wait -1
	s_clause 0x9
	scratch_load_b128 v[4:7], off, off offset:336
	scratch_load_b128 v[8:11], off, off offset:352
	;; [unrolled: 1-line block ×10, first 2 shown]
	ds_load_b128 v[132:135], v2 offset:1024
	ds_load_b128 v[140:143], v2 offset:1040
	s_clause 0x2
	scratch_load_b128 v[136:139], off, off offset:496
	scratch_load_b128 v[144:147], off, off offset:320
	;; [unrolled: 1-line block ×3, first 2 shown]
	s_mov_b32 s2, exec_lo
	s_wait_loadcnt_dscnt 0xc01
	v_mul_f64_e32 v[152:153], v[134:135], v[6:7]
	v_mul_f64_e32 v[156:157], v[132:133], v[6:7]
	s_wait_loadcnt_dscnt 0xb00
	v_mul_f64_e32 v[158:159], v[140:141], v[10:11]
	v_mul_f64_e32 v[10:11], v[142:143], v[10:11]
	s_delay_alu instid0(VALU_DEP_4) | instskip(NEXT) | instid1(VALU_DEP_4)
	v_fma_f64 v[160:161], v[132:133], v[4:5], -v[152:153]
	v_fmac_f64_e32 v[156:157], v[134:135], v[4:5]
	ds_load_b128 v[4:7], v2 offset:1056
	ds_load_b128 v[132:135], v2 offset:1072
	scratch_load_b128 v[152:155], off, off offset:528
	v_fmac_f64_e32 v[158:159], v[142:143], v[8:9]
	v_fma_f64 v[140:141], v[140:141], v[8:9], -v[10:11]
	scratch_load_b128 v[8:11], off, off offset:544
	s_wait_loadcnt_dscnt 0xc01
	v_mul_f64_e32 v[162:163], v[4:5], v[14:15]
	v_mul_f64_e32 v[14:15], v[6:7], v[14:15]
	v_add_f64_e32 v[142:143], 0, v[160:161]
	v_add_f64_e32 v[156:157], 0, v[156:157]
	s_wait_loadcnt_dscnt 0xb00
	v_mul_f64_e32 v[160:161], v[132:133], v[18:19]
	v_mul_f64_e32 v[18:19], v[134:135], v[18:19]
	v_fmac_f64_e32 v[162:163], v[6:7], v[12:13]
	v_fma_f64 v[164:165], v[4:5], v[12:13], -v[14:15]
	ds_load_b128 v[4:7], v2 offset:1088
	ds_load_b128 v[12:15], v2 offset:1104
	v_add_f64_e32 v[166:167], v[142:143], v[140:141]
	v_add_f64_e32 v[156:157], v[156:157], v[158:159]
	scratch_load_b128 v[140:143], off, off offset:560
	v_fmac_f64_e32 v[160:161], v[134:135], v[16:17]
	v_fma_f64 v[132:133], v[132:133], v[16:17], -v[18:19]
	scratch_load_b128 v[16:19], off, off offset:576
	s_wait_loadcnt_dscnt 0xc01
	v_mul_f64_e32 v[158:159], v[4:5], v[22:23]
	v_mul_f64_e32 v[22:23], v[6:7], v[22:23]
	v_add_f64_e32 v[134:135], v[166:167], v[164:165]
	v_add_f64_e32 v[156:157], v[156:157], v[162:163]
	s_wait_loadcnt_dscnt 0xb00
	v_mul_f64_e32 v[162:163], v[12:13], v[114:115]
	v_mul_f64_e32 v[114:115], v[14:15], v[114:115]
	v_fmac_f64_e32 v[158:159], v[6:7], v[20:21]
	v_fma_f64 v[164:165], v[4:5], v[20:21], -v[22:23]
	ds_load_b128 v[4:7], v2 offset:1120
	ds_load_b128 v[20:23], v2 offset:1136
	v_add_f64_e32 v[166:167], v[134:135], v[132:133]
	v_add_f64_e32 v[156:157], v[156:157], v[160:161]
	scratch_load_b128 v[132:135], off, off offset:592
	s_wait_loadcnt_dscnt 0xb01
	v_mul_f64_e32 v[160:161], v[4:5], v[118:119]
	v_mul_f64_e32 v[118:119], v[6:7], v[118:119]
	v_fmac_f64_e32 v[162:163], v[14:15], v[112:113]
	v_fma_f64 v[112:113], v[12:13], v[112:113], -v[114:115]
	scratch_load_b128 v[12:15], off, off offset:608
	v_add_f64_e32 v[114:115], v[166:167], v[164:165]
	v_add_f64_e32 v[156:157], v[156:157], v[158:159]
	s_wait_loadcnt_dscnt 0xb00
	v_mul_f64_e32 v[158:159], v[20:21], v[122:123]
	v_mul_f64_e32 v[122:123], v[22:23], v[122:123]
	v_fmac_f64_e32 v[160:161], v[6:7], v[116:117]
	v_fma_f64 v[164:165], v[4:5], v[116:117], -v[118:119]
	v_add_f64_e32 v[166:167], v[114:115], v[112:113]
	v_add_f64_e32 v[156:157], v[156:157], v[162:163]
	ds_load_b128 v[4:7], v2 offset:1152
	ds_load_b128 v[112:115], v2 offset:1168
	scratch_load_b128 v[116:119], off, off offset:624
	v_fmac_f64_e32 v[158:159], v[22:23], v[120:121]
	v_fma_f64 v[120:121], v[20:21], v[120:121], -v[122:123]
	scratch_load_b128 v[20:23], off, off offset:640
	s_wait_loadcnt_dscnt 0xc01
	v_mul_f64_e32 v[162:163], v[4:5], v[126:127]
	v_mul_f64_e32 v[126:127], v[6:7], v[126:127]
	v_add_f64_e32 v[122:123], v[166:167], v[164:165]
	v_add_f64_e32 v[156:157], v[156:157], v[160:161]
	s_wait_loadcnt_dscnt 0xb00
	v_mul_f64_e32 v[160:161], v[112:113], v[130:131]
	v_mul_f64_e32 v[130:131], v[114:115], v[130:131]
	v_fmac_f64_e32 v[162:163], v[6:7], v[124:125]
	v_fma_f64 v[164:165], v[4:5], v[124:125], -v[126:127]
	v_add_f64_e32 v[166:167], v[122:123], v[120:121]
	v_add_f64_e32 v[156:157], v[156:157], v[158:159]
	ds_load_b128 v[4:7], v2 offset:1184
	ds_load_b128 v[120:123], v2 offset:1200
	scratch_load_b128 v[124:127], off, off offset:656
	v_fmac_f64_e32 v[160:161], v[114:115], v[128:129]
	v_fma_f64 v[128:129], v[112:113], v[128:129], -v[130:131]
	scratch_load_b128 v[112:115], off, off offset:672
	s_wait_loadcnt_dscnt 0xc01
	v_mul_f64_e32 v[158:159], v[4:5], v[138:139]
	v_mul_f64_e32 v[138:139], v[6:7], v[138:139]
	v_add_f64_e32 v[130:131], v[166:167], v[164:165]
	v_add_f64_e32 v[156:157], v[156:157], v[162:163]
	s_wait_loadcnt_dscnt 0xa00
	v_mul_f64_e32 v[162:163], v[120:121], v[150:151]
	v_mul_f64_e32 v[150:151], v[122:123], v[150:151]
	v_fmac_f64_e32 v[158:159], v[6:7], v[136:137]
	v_fma_f64 v[136:137], v[4:5], v[136:137], -v[138:139]
	v_add_f64_e32 v[138:139], v[130:131], v[128:129]
	v_add_f64_e32 v[156:157], v[156:157], v[160:161]
	ds_load_b128 v[4:7], v2 offset:1216
	ds_load_b128 v[128:131], v2 offset:1232
	v_fmac_f64_e32 v[162:163], v[122:123], v[148:149]
	v_fma_f64 v[120:121], v[120:121], v[148:149], -v[150:151]
	s_wait_loadcnt_dscnt 0x901
	v_mul_f64_e32 v[160:161], v[4:5], v[154:155]
	v_mul_f64_e32 v[154:155], v[6:7], v[154:155]
	v_add_f64_e32 v[122:123], v[138:139], v[136:137]
	v_add_f64_e32 v[136:137], v[156:157], v[158:159]
	s_wait_loadcnt_dscnt 0x800
	v_mul_f64_e32 v[138:139], v[128:129], v[10:11]
	v_mul_f64_e32 v[10:11], v[130:131], v[10:11]
	v_fmac_f64_e32 v[160:161], v[6:7], v[152:153]
	v_fma_f64 v[148:149], v[4:5], v[152:153], -v[154:155]
	v_add_f64_e32 v[150:151], v[122:123], v[120:121]
	v_add_f64_e32 v[136:137], v[136:137], v[162:163]
	ds_load_b128 v[4:7], v2 offset:1248
	ds_load_b128 v[120:123], v2 offset:1264
	v_fmac_f64_e32 v[138:139], v[130:131], v[8:9]
	v_fma_f64 v[8:9], v[128:129], v[8:9], -v[10:11]
	s_wait_loadcnt_dscnt 0x701
	v_mul_f64_e32 v[152:153], v[4:5], v[142:143]
	v_mul_f64_e32 v[142:143], v[6:7], v[142:143]
	s_wait_loadcnt_dscnt 0x600
	v_mul_f64_e32 v[130:131], v[120:121], v[18:19]
	v_mul_f64_e32 v[18:19], v[122:123], v[18:19]
	v_add_f64_e32 v[10:11], v[150:151], v[148:149]
	v_add_f64_e32 v[128:129], v[136:137], v[160:161]
	v_fmac_f64_e32 v[152:153], v[6:7], v[140:141]
	v_fma_f64 v[136:137], v[4:5], v[140:141], -v[142:143]
	v_fmac_f64_e32 v[130:131], v[122:123], v[16:17]
	v_fma_f64 v[16:17], v[120:121], v[16:17], -v[18:19]
	v_add_f64_e32 v[140:141], v[10:11], v[8:9]
	v_add_f64_e32 v[128:129], v[128:129], v[138:139]
	ds_load_b128 v[4:7], v2 offset:1280
	ds_load_b128 v[8:11], v2 offset:1296
	s_wait_loadcnt_dscnt 0x501
	v_mul_f64_e32 v[138:139], v[4:5], v[134:135]
	v_mul_f64_e32 v[134:135], v[6:7], v[134:135]
	s_wait_loadcnt_dscnt 0x400
	v_mul_f64_e32 v[122:123], v[8:9], v[14:15]
	v_add_f64_e32 v[18:19], v[140:141], v[136:137]
	v_add_f64_e32 v[120:121], v[128:129], v[152:153]
	v_mul_f64_e32 v[128:129], v[10:11], v[14:15]
	v_fmac_f64_e32 v[138:139], v[6:7], v[132:133]
	v_fma_f64 v[132:133], v[4:5], v[132:133], -v[134:135]
	v_fmac_f64_e32 v[122:123], v[10:11], v[12:13]
	v_add_f64_e32 v[18:19], v[18:19], v[16:17]
	v_add_f64_e32 v[120:121], v[120:121], v[130:131]
	ds_load_b128 v[4:7], v2 offset:1312
	ds_load_b128 v[14:17], v2 offset:1328
	v_fma_f64 v[8:9], v[8:9], v[12:13], -v[128:129]
	s_wait_loadcnt_dscnt 0x301
	v_mul_f64_e32 v[130:131], v[4:5], v[118:119]
	v_mul_f64_e32 v[118:119], v[6:7], v[118:119]
	v_add_f64_e32 v[10:11], v[18:19], v[132:133]
	v_add_f64_e32 v[12:13], v[120:121], v[138:139]
	s_wait_loadcnt_dscnt 0x200
	v_mul_f64_e32 v[18:19], v[14:15], v[22:23]
	v_mul_f64_e32 v[22:23], v[16:17], v[22:23]
	v_fmac_f64_e32 v[130:131], v[6:7], v[116:117]
	v_fma_f64 v[116:117], v[4:5], v[116:117], -v[118:119]
	v_add_f64_e32 v[118:119], v[10:11], v[8:9]
	v_add_f64_e32 v[12:13], v[12:13], v[122:123]
	ds_load_b128 v[4:7], v2 offset:1344
	ds_load_b128 v[8:11], v2 offset:1360
	v_fmac_f64_e32 v[18:19], v[16:17], v[20:21]
	v_fma_f64 v[14:15], v[14:15], v[20:21], -v[22:23]
	s_wait_loadcnt_dscnt 0x101
	v_mul_f64_e32 v[2:3], v[4:5], v[126:127]
	v_mul_f64_e32 v[120:121], v[6:7], v[126:127]
	s_wait_loadcnt_dscnt 0x0
	v_mul_f64_e32 v[20:21], v[8:9], v[114:115]
	v_mul_f64_e32 v[22:23], v[10:11], v[114:115]
	v_add_f64_e32 v[16:17], v[118:119], v[116:117]
	v_add_f64_e32 v[12:13], v[12:13], v[130:131]
	v_fmac_f64_e32 v[2:3], v[6:7], v[124:125]
	v_fma_f64 v[4:5], v[4:5], v[124:125], -v[120:121]
	v_fmac_f64_e32 v[20:21], v[10:11], v[112:113]
	v_fma_f64 v[8:9], v[8:9], v[112:113], -v[22:23]
	v_add_f64_e32 v[6:7], v[16:17], v[14:15]
	v_add_f64_e32 v[12:13], v[12:13], v[18:19]
	s_delay_alu instid0(VALU_DEP_2) | instskip(NEXT) | instid1(VALU_DEP_2)
	v_add_f64_e32 v[4:5], v[6:7], v[4:5]
	v_add_f64_e32 v[2:3], v[12:13], v[2:3]
	s_delay_alu instid0(VALU_DEP_2) | instskip(NEXT) | instid1(VALU_DEP_2)
	;; [unrolled: 3-line block ×3, first 2 shown]
	v_add_f64_e64 v[2:3], v[144:145], -v[4:5]
	v_add_f64_e64 v[4:5], v[146:147], -v[6:7]
	scratch_store_b128 off, v[2:5], off offset:320
	s_wait_xcnt 0x0
	v_cmpx_lt_u32_e32 19, v1
	s_cbranch_execz .LBB106_233
; %bb.232:
	scratch_load_b128 v[2:5], off, s40
	v_mov_b32_e32 v6, 0
	s_delay_alu instid0(VALU_DEP_1)
	v_dual_mov_b32 v7, v6 :: v_dual_mov_b32 v8, v6
	v_mov_b32_e32 v9, v6
	scratch_store_b128 off, v[6:9], off offset:304
	s_wait_loadcnt 0x0
	ds_store_b128 v110, v[2:5]
.LBB106_233:
	s_wait_xcnt 0x0
	s_or_b32 exec_lo, exec_lo, s2
	s_wait_storecnt_dscnt 0x0
	s_barrier_signal -1
	s_barrier_wait -1
	s_clause 0x9
	scratch_load_b128 v[4:7], off, off offset:320
	scratch_load_b128 v[8:11], off, off offset:336
	;; [unrolled: 1-line block ×10, first 2 shown]
	v_mov_b32_e32 v2, 0
	s_mov_b32 s2, exec_lo
	ds_load_b128 v[132:135], v2 offset:1008
	s_clause 0x2
	scratch_load_b128 v[136:139], off, off offset:480
	scratch_load_b128 v[140:143], off, off offset:304
	scratch_load_b128 v[148:151], off, off offset:496
	s_wait_loadcnt_dscnt 0xc00
	v_mul_f64_e32 v[152:153], v[134:135], v[6:7]
	v_mul_f64_e32 v[156:157], v[132:133], v[6:7]
	ds_load_b128 v[144:147], v2 offset:1024
	v_fma_f64 v[160:161], v[132:133], v[4:5], -v[152:153]
	v_fmac_f64_e32 v[156:157], v[134:135], v[4:5]
	ds_load_b128 v[4:7], v2 offset:1040
	s_wait_loadcnt_dscnt 0xb01
	v_mul_f64_e32 v[158:159], v[144:145], v[10:11]
	v_mul_f64_e32 v[10:11], v[146:147], v[10:11]
	scratch_load_b128 v[132:135], off, off offset:512
	ds_load_b128 v[152:155], v2 offset:1056
	s_wait_loadcnt_dscnt 0xb01
	v_mul_f64_e32 v[162:163], v[4:5], v[14:15]
	v_mul_f64_e32 v[14:15], v[6:7], v[14:15]
	v_add_f64_e32 v[156:157], 0, v[156:157]
	v_fmac_f64_e32 v[158:159], v[146:147], v[8:9]
	v_fma_f64 v[144:145], v[144:145], v[8:9], -v[10:11]
	v_add_f64_e32 v[146:147], 0, v[160:161]
	scratch_load_b128 v[8:11], off, off offset:528
	v_fmac_f64_e32 v[162:163], v[6:7], v[12:13]
	v_fma_f64 v[164:165], v[4:5], v[12:13], -v[14:15]
	ds_load_b128 v[4:7], v2 offset:1072
	s_wait_loadcnt_dscnt 0xb01
	v_mul_f64_e32 v[160:161], v[152:153], v[18:19]
	v_mul_f64_e32 v[18:19], v[154:155], v[18:19]
	scratch_load_b128 v[12:15], off, off offset:544
	v_add_f64_e32 v[156:157], v[156:157], v[158:159]
	v_add_f64_e32 v[166:167], v[146:147], v[144:145]
	ds_load_b128 v[144:147], v2 offset:1088
	s_wait_loadcnt_dscnt 0xb01
	v_mul_f64_e32 v[158:159], v[4:5], v[22:23]
	v_mul_f64_e32 v[22:23], v[6:7], v[22:23]
	v_fmac_f64_e32 v[160:161], v[154:155], v[16:17]
	v_fma_f64 v[152:153], v[152:153], v[16:17], -v[18:19]
	scratch_load_b128 v[16:19], off, off offset:560
	v_add_f64_e32 v[156:157], v[156:157], v[162:163]
	v_add_f64_e32 v[154:155], v[166:167], v[164:165]
	v_fmac_f64_e32 v[158:159], v[6:7], v[20:21]
	v_fma_f64 v[164:165], v[4:5], v[20:21], -v[22:23]
	ds_load_b128 v[4:7], v2 offset:1104
	s_wait_loadcnt_dscnt 0xb01
	v_mul_f64_e32 v[162:163], v[144:145], v[114:115]
	v_mul_f64_e32 v[114:115], v[146:147], v[114:115]
	scratch_load_b128 v[20:23], off, off offset:576
	v_add_f64_e32 v[156:157], v[156:157], v[160:161]
	s_wait_loadcnt_dscnt 0xb00
	v_mul_f64_e32 v[160:161], v[4:5], v[118:119]
	v_add_f64_e32 v[166:167], v[154:155], v[152:153]
	v_mul_f64_e32 v[118:119], v[6:7], v[118:119]
	ds_load_b128 v[152:155], v2 offset:1120
	v_fmac_f64_e32 v[162:163], v[146:147], v[112:113]
	v_fma_f64 v[144:145], v[144:145], v[112:113], -v[114:115]
	scratch_load_b128 v[112:115], off, off offset:592
	v_add_f64_e32 v[156:157], v[156:157], v[158:159]
	v_fmac_f64_e32 v[160:161], v[6:7], v[116:117]
	v_add_f64_e32 v[146:147], v[166:167], v[164:165]
	v_fma_f64 v[164:165], v[4:5], v[116:117], -v[118:119]
	ds_load_b128 v[4:7], v2 offset:1136
	s_wait_loadcnt_dscnt 0xb01
	v_mul_f64_e32 v[158:159], v[152:153], v[122:123]
	v_mul_f64_e32 v[122:123], v[154:155], v[122:123]
	scratch_load_b128 v[116:119], off, off offset:608
	v_add_f64_e32 v[156:157], v[156:157], v[162:163]
	s_wait_loadcnt_dscnt 0xb00
	v_mul_f64_e32 v[162:163], v[4:5], v[126:127]
	v_add_f64_e32 v[166:167], v[146:147], v[144:145]
	v_mul_f64_e32 v[126:127], v[6:7], v[126:127]
	ds_load_b128 v[144:147], v2 offset:1152
	v_fmac_f64_e32 v[158:159], v[154:155], v[120:121]
	v_fma_f64 v[152:153], v[152:153], v[120:121], -v[122:123]
	scratch_load_b128 v[120:123], off, off offset:624
	v_add_f64_e32 v[156:157], v[156:157], v[160:161]
	v_fmac_f64_e32 v[162:163], v[6:7], v[124:125]
	v_add_f64_e32 v[154:155], v[166:167], v[164:165]
	;; [unrolled: 18-line block ×3, first 2 shown]
	v_fma_f64 v[164:165], v[4:5], v[136:137], -v[138:139]
	ds_load_b128 v[4:7], v2 offset:1200
	s_wait_loadcnt_dscnt 0xa01
	v_mul_f64_e32 v[162:163], v[152:153], v[150:151]
	v_mul_f64_e32 v[150:151], v[154:155], v[150:151]
	scratch_load_b128 v[136:139], off, off offset:672
	v_add_f64_e32 v[156:157], v[156:157], v[160:161]
	v_add_f64_e32 v[166:167], v[146:147], v[144:145]
	s_wait_loadcnt_dscnt 0xa00
	v_mul_f64_e32 v[160:161], v[4:5], v[134:135]
	v_mul_f64_e32 v[134:135], v[6:7], v[134:135]
	v_fmac_f64_e32 v[162:163], v[154:155], v[148:149]
	v_fma_f64 v[148:149], v[152:153], v[148:149], -v[150:151]
	ds_load_b128 v[144:147], v2 offset:1216
	v_add_f64_e32 v[152:153], v[156:157], v[158:159]
	v_add_f64_e32 v[150:151], v[166:167], v[164:165]
	s_wait_loadcnt_dscnt 0x900
	v_mul_f64_e32 v[154:155], v[144:145], v[10:11]
	v_mul_f64_e32 v[10:11], v[146:147], v[10:11]
	v_fmac_f64_e32 v[160:161], v[6:7], v[132:133]
	v_fma_f64 v[156:157], v[4:5], v[132:133], -v[134:135]
	ds_load_b128 v[4:7], v2 offset:1232
	ds_load_b128 v[132:135], v2 offset:1248
	v_add_f64_e32 v[148:149], v[150:151], v[148:149]
	v_add_f64_e32 v[150:151], v[152:153], v[162:163]
	s_wait_loadcnt_dscnt 0x801
	v_mul_f64_e32 v[152:153], v[4:5], v[14:15]
	v_mul_f64_e32 v[14:15], v[6:7], v[14:15]
	v_fmac_f64_e32 v[154:155], v[146:147], v[8:9]
	v_fma_f64 v[8:9], v[144:145], v[8:9], -v[10:11]
	s_wait_loadcnt_dscnt 0x700
	v_mul_f64_e32 v[146:147], v[132:133], v[18:19]
	v_mul_f64_e32 v[18:19], v[134:135], v[18:19]
	v_add_f64_e32 v[10:11], v[148:149], v[156:157]
	v_add_f64_e32 v[144:145], v[150:151], v[160:161]
	v_fmac_f64_e32 v[152:153], v[6:7], v[12:13]
	v_fma_f64 v[12:13], v[4:5], v[12:13], -v[14:15]
	v_fmac_f64_e32 v[146:147], v[134:135], v[16:17]
	v_fma_f64 v[16:17], v[132:133], v[16:17], -v[18:19]
	v_add_f64_e32 v[14:15], v[10:11], v[8:9]
	v_add_f64_e32 v[144:145], v[144:145], v[154:155]
	ds_load_b128 v[4:7], v2 offset:1264
	ds_load_b128 v[8:11], v2 offset:1280
	s_wait_loadcnt_dscnt 0x601
	v_mul_f64_e32 v[148:149], v[4:5], v[22:23]
	v_mul_f64_e32 v[22:23], v[6:7], v[22:23]
	s_wait_loadcnt_dscnt 0x500
	v_mul_f64_e32 v[18:19], v[8:9], v[114:115]
	v_mul_f64_e32 v[114:115], v[10:11], v[114:115]
	v_add_f64_e32 v[12:13], v[14:15], v[12:13]
	v_add_f64_e32 v[14:15], v[144:145], v[152:153]
	v_fmac_f64_e32 v[148:149], v[6:7], v[20:21]
	v_fma_f64 v[20:21], v[4:5], v[20:21], -v[22:23]
	v_fmac_f64_e32 v[18:19], v[10:11], v[112:113]
	v_fma_f64 v[8:9], v[8:9], v[112:113], -v[114:115]
	v_add_f64_e32 v[16:17], v[12:13], v[16:17]
	v_add_f64_e32 v[22:23], v[14:15], v[146:147]
	ds_load_b128 v[4:7], v2 offset:1296
	ds_load_b128 v[12:15], v2 offset:1312
	s_wait_loadcnt_dscnt 0x401
	v_mul_f64_e32 v[132:133], v[4:5], v[118:119]
	v_mul_f64_e32 v[118:119], v[6:7], v[118:119]
	v_add_f64_e32 v[10:11], v[16:17], v[20:21]
	v_add_f64_e32 v[16:17], v[22:23], v[148:149]
	s_wait_loadcnt_dscnt 0x300
	v_mul_f64_e32 v[20:21], v[12:13], v[122:123]
	v_mul_f64_e32 v[22:23], v[14:15], v[122:123]
	v_fmac_f64_e32 v[132:133], v[6:7], v[116:117]
	v_fma_f64 v[112:113], v[4:5], v[116:117], -v[118:119]
	v_add_f64_e32 v[114:115], v[10:11], v[8:9]
	v_add_f64_e32 v[16:17], v[16:17], v[18:19]
	ds_load_b128 v[4:7], v2 offset:1328
	ds_load_b128 v[8:11], v2 offset:1344
	v_fmac_f64_e32 v[20:21], v[14:15], v[120:121]
	v_fma_f64 v[12:13], v[12:13], v[120:121], -v[22:23]
	s_wait_loadcnt_dscnt 0x201
	v_mul_f64_e32 v[18:19], v[4:5], v[126:127]
	v_mul_f64_e32 v[116:117], v[6:7], v[126:127]
	s_wait_loadcnt_dscnt 0x100
	v_mul_f64_e32 v[22:23], v[8:9], v[130:131]
	v_add_f64_e32 v[14:15], v[114:115], v[112:113]
	v_add_f64_e32 v[16:17], v[16:17], v[132:133]
	v_mul_f64_e32 v[112:113], v[10:11], v[130:131]
	v_fmac_f64_e32 v[18:19], v[6:7], v[124:125]
	v_fma_f64 v[114:115], v[4:5], v[124:125], -v[116:117]
	ds_load_b128 v[4:7], v2 offset:1360
	v_fmac_f64_e32 v[22:23], v[10:11], v[128:129]
	v_add_f64_e32 v[12:13], v[14:15], v[12:13]
	v_add_f64_e32 v[14:15], v[16:17], v[20:21]
	v_fma_f64 v[8:9], v[8:9], v[128:129], -v[112:113]
	s_wait_loadcnt_dscnt 0x0
	v_mul_f64_e32 v[16:17], v[4:5], v[138:139]
	v_mul_f64_e32 v[20:21], v[6:7], v[138:139]
	v_add_f64_e32 v[10:11], v[12:13], v[114:115]
	v_add_f64_e32 v[12:13], v[14:15], v[18:19]
	s_delay_alu instid0(VALU_DEP_4) | instskip(NEXT) | instid1(VALU_DEP_4)
	v_fmac_f64_e32 v[16:17], v[6:7], v[136:137]
	v_fma_f64 v[4:5], v[4:5], v[136:137], -v[20:21]
	s_delay_alu instid0(VALU_DEP_4) | instskip(NEXT) | instid1(VALU_DEP_4)
	v_add_f64_e32 v[6:7], v[10:11], v[8:9]
	v_add_f64_e32 v[8:9], v[12:13], v[22:23]
	s_delay_alu instid0(VALU_DEP_2) | instskip(NEXT) | instid1(VALU_DEP_2)
	v_add_f64_e32 v[4:5], v[6:7], v[4:5]
	v_add_f64_e32 v[6:7], v[8:9], v[16:17]
	s_delay_alu instid0(VALU_DEP_2) | instskip(NEXT) | instid1(VALU_DEP_2)
	v_add_f64_e64 v[4:5], v[140:141], -v[4:5]
	v_add_f64_e64 v[6:7], v[142:143], -v[6:7]
	scratch_store_b128 off, v[4:7], off offset:304
	s_wait_xcnt 0x0
	v_cmpx_lt_u32_e32 18, v1
	s_cbranch_execz .LBB106_235
; %bb.234:
	scratch_load_b128 v[6:9], off, s41
	v_dual_mov_b32 v3, v2 :: v_dual_mov_b32 v4, v2
	v_mov_b32_e32 v5, v2
	scratch_store_b128 off, v[2:5], off offset:288
	s_wait_loadcnt 0x0
	ds_store_b128 v110, v[6:9]
.LBB106_235:
	s_wait_xcnt 0x0
	s_or_b32 exec_lo, exec_lo, s2
	s_wait_storecnt_dscnt 0x0
	s_barrier_signal -1
	s_barrier_wait -1
	s_clause 0x9
	scratch_load_b128 v[4:7], off, off offset:304
	scratch_load_b128 v[8:11], off, off offset:320
	;; [unrolled: 1-line block ×10, first 2 shown]
	ds_load_b128 v[132:135], v2 offset:992
	ds_load_b128 v[140:143], v2 offset:1008
	s_clause 0x2
	scratch_load_b128 v[136:139], off, off offset:464
	scratch_load_b128 v[144:147], off, off offset:288
	;; [unrolled: 1-line block ×3, first 2 shown]
	s_mov_b32 s2, exec_lo
	s_wait_loadcnt_dscnt 0xc01
	v_mul_f64_e32 v[152:153], v[134:135], v[6:7]
	v_mul_f64_e32 v[156:157], v[132:133], v[6:7]
	s_wait_loadcnt_dscnt 0xb00
	v_mul_f64_e32 v[158:159], v[140:141], v[10:11]
	v_mul_f64_e32 v[10:11], v[142:143], v[10:11]
	s_delay_alu instid0(VALU_DEP_4) | instskip(NEXT) | instid1(VALU_DEP_4)
	v_fma_f64 v[160:161], v[132:133], v[4:5], -v[152:153]
	v_fmac_f64_e32 v[156:157], v[134:135], v[4:5]
	ds_load_b128 v[4:7], v2 offset:1024
	ds_load_b128 v[132:135], v2 offset:1040
	scratch_load_b128 v[152:155], off, off offset:496
	v_fmac_f64_e32 v[158:159], v[142:143], v[8:9]
	v_fma_f64 v[140:141], v[140:141], v[8:9], -v[10:11]
	scratch_load_b128 v[8:11], off, off offset:512
	s_wait_loadcnt_dscnt 0xc01
	v_mul_f64_e32 v[162:163], v[4:5], v[14:15]
	v_mul_f64_e32 v[14:15], v[6:7], v[14:15]
	v_add_f64_e32 v[142:143], 0, v[160:161]
	v_add_f64_e32 v[156:157], 0, v[156:157]
	s_wait_loadcnt_dscnt 0xb00
	v_mul_f64_e32 v[160:161], v[132:133], v[18:19]
	v_mul_f64_e32 v[18:19], v[134:135], v[18:19]
	v_fmac_f64_e32 v[162:163], v[6:7], v[12:13]
	v_fma_f64 v[164:165], v[4:5], v[12:13], -v[14:15]
	ds_load_b128 v[4:7], v2 offset:1056
	ds_load_b128 v[12:15], v2 offset:1072
	v_add_f64_e32 v[166:167], v[142:143], v[140:141]
	v_add_f64_e32 v[156:157], v[156:157], v[158:159]
	scratch_load_b128 v[140:143], off, off offset:528
	v_fmac_f64_e32 v[160:161], v[134:135], v[16:17]
	v_fma_f64 v[132:133], v[132:133], v[16:17], -v[18:19]
	scratch_load_b128 v[16:19], off, off offset:544
	s_wait_loadcnt_dscnt 0xc01
	v_mul_f64_e32 v[158:159], v[4:5], v[22:23]
	v_mul_f64_e32 v[22:23], v[6:7], v[22:23]
	v_add_f64_e32 v[134:135], v[166:167], v[164:165]
	v_add_f64_e32 v[156:157], v[156:157], v[162:163]
	s_wait_loadcnt_dscnt 0xb00
	v_mul_f64_e32 v[162:163], v[12:13], v[114:115]
	v_mul_f64_e32 v[114:115], v[14:15], v[114:115]
	v_fmac_f64_e32 v[158:159], v[6:7], v[20:21]
	v_fma_f64 v[164:165], v[4:5], v[20:21], -v[22:23]
	ds_load_b128 v[4:7], v2 offset:1088
	ds_load_b128 v[20:23], v2 offset:1104
	v_add_f64_e32 v[166:167], v[134:135], v[132:133]
	v_add_f64_e32 v[156:157], v[156:157], v[160:161]
	scratch_load_b128 v[132:135], off, off offset:560
	s_wait_loadcnt_dscnt 0xb01
	v_mul_f64_e32 v[160:161], v[4:5], v[118:119]
	v_mul_f64_e32 v[118:119], v[6:7], v[118:119]
	v_fmac_f64_e32 v[162:163], v[14:15], v[112:113]
	v_fma_f64 v[112:113], v[12:13], v[112:113], -v[114:115]
	scratch_load_b128 v[12:15], off, off offset:576
	v_add_f64_e32 v[114:115], v[166:167], v[164:165]
	v_add_f64_e32 v[156:157], v[156:157], v[158:159]
	s_wait_loadcnt_dscnt 0xb00
	v_mul_f64_e32 v[158:159], v[20:21], v[122:123]
	v_mul_f64_e32 v[122:123], v[22:23], v[122:123]
	v_fmac_f64_e32 v[160:161], v[6:7], v[116:117]
	v_fma_f64 v[164:165], v[4:5], v[116:117], -v[118:119]
	v_add_f64_e32 v[166:167], v[114:115], v[112:113]
	v_add_f64_e32 v[156:157], v[156:157], v[162:163]
	ds_load_b128 v[4:7], v2 offset:1120
	ds_load_b128 v[112:115], v2 offset:1136
	scratch_load_b128 v[116:119], off, off offset:592
	v_fmac_f64_e32 v[158:159], v[22:23], v[120:121]
	v_fma_f64 v[120:121], v[20:21], v[120:121], -v[122:123]
	scratch_load_b128 v[20:23], off, off offset:608
	s_wait_loadcnt_dscnt 0xc01
	v_mul_f64_e32 v[162:163], v[4:5], v[126:127]
	v_mul_f64_e32 v[126:127], v[6:7], v[126:127]
	v_add_f64_e32 v[122:123], v[166:167], v[164:165]
	v_add_f64_e32 v[156:157], v[156:157], v[160:161]
	s_wait_loadcnt_dscnt 0xb00
	v_mul_f64_e32 v[160:161], v[112:113], v[130:131]
	v_mul_f64_e32 v[130:131], v[114:115], v[130:131]
	v_fmac_f64_e32 v[162:163], v[6:7], v[124:125]
	v_fma_f64 v[164:165], v[4:5], v[124:125], -v[126:127]
	v_add_f64_e32 v[166:167], v[122:123], v[120:121]
	v_add_f64_e32 v[156:157], v[156:157], v[158:159]
	ds_load_b128 v[4:7], v2 offset:1152
	ds_load_b128 v[120:123], v2 offset:1168
	scratch_load_b128 v[124:127], off, off offset:624
	v_fmac_f64_e32 v[160:161], v[114:115], v[128:129]
	v_fma_f64 v[128:129], v[112:113], v[128:129], -v[130:131]
	scratch_load_b128 v[112:115], off, off offset:640
	s_wait_loadcnt_dscnt 0xc01
	v_mul_f64_e32 v[158:159], v[4:5], v[138:139]
	v_mul_f64_e32 v[138:139], v[6:7], v[138:139]
	;; [unrolled: 18-line block ×3, first 2 shown]
	v_add_f64_e32 v[150:151], v[166:167], v[164:165]
	v_add_f64_e32 v[156:157], v[156:157], v[158:159]
	s_wait_loadcnt_dscnt 0xa00
	v_mul_f64_e32 v[158:159], v[128:129], v[10:11]
	v_mul_f64_e32 v[10:11], v[130:131], v[10:11]
	v_fmac_f64_e32 v[160:161], v[6:7], v[152:153]
	v_fma_f64 v[152:153], v[4:5], v[152:153], -v[154:155]
	v_add_f64_e32 v[154:155], v[150:151], v[148:149]
	v_add_f64_e32 v[156:157], v[156:157], v[162:163]
	ds_load_b128 v[4:7], v2 offset:1216
	ds_load_b128 v[148:151], v2 offset:1232
	v_fmac_f64_e32 v[158:159], v[130:131], v[8:9]
	v_fma_f64 v[8:9], v[128:129], v[8:9], -v[10:11]
	s_wait_loadcnt_dscnt 0x901
	v_mul_f64_e32 v[162:163], v[4:5], v[142:143]
	v_mul_f64_e32 v[142:143], v[6:7], v[142:143]
	s_wait_loadcnt_dscnt 0x800
	v_mul_f64_e32 v[130:131], v[148:149], v[18:19]
	v_mul_f64_e32 v[18:19], v[150:151], v[18:19]
	v_add_f64_e32 v[10:11], v[154:155], v[152:153]
	v_add_f64_e32 v[128:129], v[156:157], v[160:161]
	v_fmac_f64_e32 v[162:163], v[6:7], v[140:141]
	v_fma_f64 v[140:141], v[4:5], v[140:141], -v[142:143]
	v_fmac_f64_e32 v[130:131], v[150:151], v[16:17]
	v_fma_f64 v[16:17], v[148:149], v[16:17], -v[18:19]
	v_add_f64_e32 v[142:143], v[10:11], v[8:9]
	v_add_f64_e32 v[128:129], v[128:129], v[158:159]
	ds_load_b128 v[4:7], v2 offset:1248
	ds_load_b128 v[8:11], v2 offset:1264
	s_wait_loadcnt_dscnt 0x701
	v_mul_f64_e32 v[152:153], v[4:5], v[134:135]
	v_mul_f64_e32 v[134:135], v[6:7], v[134:135]
	v_add_f64_e32 v[18:19], v[142:143], v[140:141]
	v_add_f64_e32 v[128:129], v[128:129], v[162:163]
	s_wait_loadcnt_dscnt 0x600
	v_mul_f64_e32 v[140:141], v[8:9], v[14:15]
	v_mul_f64_e32 v[142:143], v[10:11], v[14:15]
	v_fmac_f64_e32 v[152:153], v[6:7], v[132:133]
	v_fma_f64 v[132:133], v[4:5], v[132:133], -v[134:135]
	v_add_f64_e32 v[18:19], v[18:19], v[16:17]
	v_add_f64_e32 v[128:129], v[128:129], v[130:131]
	ds_load_b128 v[4:7], v2 offset:1280
	ds_load_b128 v[14:17], v2 offset:1296
	v_fmac_f64_e32 v[140:141], v[10:11], v[12:13]
	v_fma_f64 v[8:9], v[8:9], v[12:13], -v[142:143]
	s_wait_loadcnt_dscnt 0x501
	v_mul_f64_e32 v[130:131], v[4:5], v[118:119]
	v_mul_f64_e32 v[118:119], v[6:7], v[118:119]
	v_add_f64_e32 v[10:11], v[18:19], v[132:133]
	v_add_f64_e32 v[12:13], v[128:129], v[152:153]
	s_wait_loadcnt_dscnt 0x400
	v_mul_f64_e32 v[18:19], v[14:15], v[22:23]
	v_mul_f64_e32 v[22:23], v[16:17], v[22:23]
	v_fmac_f64_e32 v[130:131], v[6:7], v[116:117]
	v_fma_f64 v[116:117], v[4:5], v[116:117], -v[118:119]
	v_add_f64_e32 v[118:119], v[10:11], v[8:9]
	v_add_f64_e32 v[12:13], v[12:13], v[140:141]
	ds_load_b128 v[4:7], v2 offset:1312
	ds_load_b128 v[8:11], v2 offset:1328
	v_fmac_f64_e32 v[18:19], v[16:17], v[20:21]
	v_fma_f64 v[14:15], v[14:15], v[20:21], -v[22:23]
	s_wait_loadcnt_dscnt 0x301
	v_mul_f64_e32 v[128:129], v[4:5], v[126:127]
	v_mul_f64_e32 v[126:127], v[6:7], v[126:127]
	s_wait_loadcnt_dscnt 0x200
	v_mul_f64_e32 v[20:21], v[8:9], v[114:115]
	v_mul_f64_e32 v[22:23], v[10:11], v[114:115]
	v_add_f64_e32 v[16:17], v[118:119], v[116:117]
	v_add_f64_e32 v[12:13], v[12:13], v[130:131]
	v_fmac_f64_e32 v[128:129], v[6:7], v[124:125]
	v_fma_f64 v[114:115], v[4:5], v[124:125], -v[126:127]
	v_fmac_f64_e32 v[20:21], v[10:11], v[112:113]
	v_fma_f64 v[8:9], v[8:9], v[112:113], -v[22:23]
	v_add_f64_e32 v[16:17], v[16:17], v[14:15]
	v_add_f64_e32 v[18:19], v[12:13], v[18:19]
	ds_load_b128 v[4:7], v2 offset:1344
	ds_load_b128 v[12:15], v2 offset:1360
	s_wait_loadcnt_dscnt 0x101
	v_mul_f64_e32 v[2:3], v[4:5], v[138:139]
	v_mul_f64_e32 v[116:117], v[6:7], v[138:139]
	s_wait_loadcnt_dscnt 0x0
	v_mul_f64_e32 v[22:23], v[14:15], v[122:123]
	v_add_f64_e32 v[10:11], v[16:17], v[114:115]
	v_add_f64_e32 v[16:17], v[18:19], v[128:129]
	v_mul_f64_e32 v[18:19], v[12:13], v[122:123]
	v_fmac_f64_e32 v[2:3], v[6:7], v[136:137]
	v_fma_f64 v[4:5], v[4:5], v[136:137], -v[116:117]
	v_add_f64_e32 v[6:7], v[10:11], v[8:9]
	v_add_f64_e32 v[8:9], v[16:17], v[20:21]
	v_fmac_f64_e32 v[18:19], v[14:15], v[120:121]
	v_fma_f64 v[10:11], v[12:13], v[120:121], -v[22:23]
	s_delay_alu instid0(VALU_DEP_4) | instskip(NEXT) | instid1(VALU_DEP_4)
	v_add_f64_e32 v[4:5], v[6:7], v[4:5]
	v_add_f64_e32 v[2:3], v[8:9], v[2:3]
	s_delay_alu instid0(VALU_DEP_2) | instskip(NEXT) | instid1(VALU_DEP_2)
	v_add_f64_e32 v[4:5], v[4:5], v[10:11]
	v_add_f64_e32 v[6:7], v[2:3], v[18:19]
	s_delay_alu instid0(VALU_DEP_2) | instskip(NEXT) | instid1(VALU_DEP_2)
	v_add_f64_e64 v[2:3], v[144:145], -v[4:5]
	v_add_f64_e64 v[4:5], v[146:147], -v[6:7]
	scratch_store_b128 off, v[2:5], off offset:288
	s_wait_xcnt 0x0
	v_cmpx_lt_u32_e32 17, v1
	s_cbranch_execz .LBB106_237
; %bb.236:
	scratch_load_b128 v[2:5], off, s42
	v_mov_b32_e32 v6, 0
	s_delay_alu instid0(VALU_DEP_1)
	v_dual_mov_b32 v7, v6 :: v_dual_mov_b32 v8, v6
	v_mov_b32_e32 v9, v6
	scratch_store_b128 off, v[6:9], off offset:272
	s_wait_loadcnt 0x0
	ds_store_b128 v110, v[2:5]
.LBB106_237:
	s_wait_xcnt 0x0
	s_or_b32 exec_lo, exec_lo, s2
	s_wait_storecnt_dscnt 0x0
	s_barrier_signal -1
	s_barrier_wait -1
	s_clause 0x9
	scratch_load_b128 v[4:7], off, off offset:288
	scratch_load_b128 v[8:11], off, off offset:304
	;; [unrolled: 1-line block ×10, first 2 shown]
	v_mov_b32_e32 v2, 0
	s_mov_b32 s2, exec_lo
	ds_load_b128 v[132:135], v2 offset:976
	s_clause 0x2
	scratch_load_b128 v[136:139], off, off offset:448
	scratch_load_b128 v[140:143], off, off offset:272
	;; [unrolled: 1-line block ×3, first 2 shown]
	s_wait_loadcnt_dscnt 0xc00
	v_mul_f64_e32 v[152:153], v[134:135], v[6:7]
	v_mul_f64_e32 v[156:157], v[132:133], v[6:7]
	ds_load_b128 v[144:147], v2 offset:992
	v_fma_f64 v[160:161], v[132:133], v[4:5], -v[152:153]
	v_fmac_f64_e32 v[156:157], v[134:135], v[4:5]
	ds_load_b128 v[4:7], v2 offset:1008
	s_wait_loadcnt_dscnt 0xb01
	v_mul_f64_e32 v[158:159], v[144:145], v[10:11]
	v_mul_f64_e32 v[10:11], v[146:147], v[10:11]
	scratch_load_b128 v[132:135], off, off offset:480
	ds_load_b128 v[152:155], v2 offset:1024
	s_wait_loadcnt_dscnt 0xb01
	v_mul_f64_e32 v[162:163], v[4:5], v[14:15]
	v_mul_f64_e32 v[14:15], v[6:7], v[14:15]
	v_add_f64_e32 v[156:157], 0, v[156:157]
	v_fmac_f64_e32 v[158:159], v[146:147], v[8:9]
	v_fma_f64 v[144:145], v[144:145], v[8:9], -v[10:11]
	v_add_f64_e32 v[146:147], 0, v[160:161]
	scratch_load_b128 v[8:11], off, off offset:496
	v_fmac_f64_e32 v[162:163], v[6:7], v[12:13]
	v_fma_f64 v[164:165], v[4:5], v[12:13], -v[14:15]
	ds_load_b128 v[4:7], v2 offset:1040
	s_wait_loadcnt_dscnt 0xb01
	v_mul_f64_e32 v[160:161], v[152:153], v[18:19]
	v_mul_f64_e32 v[18:19], v[154:155], v[18:19]
	scratch_load_b128 v[12:15], off, off offset:512
	v_add_f64_e32 v[156:157], v[156:157], v[158:159]
	v_add_f64_e32 v[166:167], v[146:147], v[144:145]
	ds_load_b128 v[144:147], v2 offset:1056
	s_wait_loadcnt_dscnt 0xb01
	v_mul_f64_e32 v[158:159], v[4:5], v[22:23]
	v_mul_f64_e32 v[22:23], v[6:7], v[22:23]
	v_fmac_f64_e32 v[160:161], v[154:155], v[16:17]
	v_fma_f64 v[152:153], v[152:153], v[16:17], -v[18:19]
	scratch_load_b128 v[16:19], off, off offset:528
	v_add_f64_e32 v[156:157], v[156:157], v[162:163]
	v_add_f64_e32 v[154:155], v[166:167], v[164:165]
	v_fmac_f64_e32 v[158:159], v[6:7], v[20:21]
	v_fma_f64 v[164:165], v[4:5], v[20:21], -v[22:23]
	ds_load_b128 v[4:7], v2 offset:1072
	s_wait_loadcnt_dscnt 0xb01
	v_mul_f64_e32 v[162:163], v[144:145], v[114:115]
	v_mul_f64_e32 v[114:115], v[146:147], v[114:115]
	scratch_load_b128 v[20:23], off, off offset:544
	v_add_f64_e32 v[156:157], v[156:157], v[160:161]
	s_wait_loadcnt_dscnt 0xb00
	v_mul_f64_e32 v[160:161], v[4:5], v[118:119]
	v_add_f64_e32 v[166:167], v[154:155], v[152:153]
	v_mul_f64_e32 v[118:119], v[6:7], v[118:119]
	ds_load_b128 v[152:155], v2 offset:1088
	v_fmac_f64_e32 v[162:163], v[146:147], v[112:113]
	v_fma_f64 v[144:145], v[144:145], v[112:113], -v[114:115]
	scratch_load_b128 v[112:115], off, off offset:560
	v_add_f64_e32 v[156:157], v[156:157], v[158:159]
	v_fmac_f64_e32 v[160:161], v[6:7], v[116:117]
	v_add_f64_e32 v[146:147], v[166:167], v[164:165]
	v_fma_f64 v[164:165], v[4:5], v[116:117], -v[118:119]
	ds_load_b128 v[4:7], v2 offset:1104
	s_wait_loadcnt_dscnt 0xb01
	v_mul_f64_e32 v[158:159], v[152:153], v[122:123]
	v_mul_f64_e32 v[122:123], v[154:155], v[122:123]
	scratch_load_b128 v[116:119], off, off offset:576
	v_add_f64_e32 v[156:157], v[156:157], v[162:163]
	s_wait_loadcnt_dscnt 0xb00
	v_mul_f64_e32 v[162:163], v[4:5], v[126:127]
	v_add_f64_e32 v[166:167], v[146:147], v[144:145]
	v_mul_f64_e32 v[126:127], v[6:7], v[126:127]
	ds_load_b128 v[144:147], v2 offset:1120
	v_fmac_f64_e32 v[158:159], v[154:155], v[120:121]
	v_fma_f64 v[152:153], v[152:153], v[120:121], -v[122:123]
	scratch_load_b128 v[120:123], off, off offset:592
	v_add_f64_e32 v[156:157], v[156:157], v[160:161]
	v_fmac_f64_e32 v[162:163], v[6:7], v[124:125]
	v_add_f64_e32 v[154:155], v[166:167], v[164:165]
	;; [unrolled: 18-line block ×3, first 2 shown]
	v_fma_f64 v[164:165], v[4:5], v[136:137], -v[138:139]
	ds_load_b128 v[4:7], v2 offset:1168
	s_wait_loadcnt_dscnt 0xa01
	v_mul_f64_e32 v[162:163], v[152:153], v[150:151]
	v_mul_f64_e32 v[150:151], v[154:155], v[150:151]
	scratch_load_b128 v[136:139], off, off offset:640
	v_add_f64_e32 v[156:157], v[156:157], v[160:161]
	v_add_f64_e32 v[166:167], v[146:147], v[144:145]
	s_wait_loadcnt_dscnt 0xa00
	v_mul_f64_e32 v[160:161], v[4:5], v[134:135]
	v_mul_f64_e32 v[134:135], v[6:7], v[134:135]
	v_fmac_f64_e32 v[162:163], v[154:155], v[148:149]
	v_fma_f64 v[152:153], v[152:153], v[148:149], -v[150:151]
	ds_load_b128 v[144:147], v2 offset:1184
	scratch_load_b128 v[148:151], off, off offset:656
	v_add_f64_e32 v[156:157], v[156:157], v[158:159]
	v_add_f64_e32 v[154:155], v[166:167], v[164:165]
	v_fmac_f64_e32 v[160:161], v[6:7], v[132:133]
	v_fma_f64 v[164:165], v[4:5], v[132:133], -v[134:135]
	ds_load_b128 v[4:7], v2 offset:1200
	s_wait_loadcnt_dscnt 0xa01
	v_mul_f64_e32 v[158:159], v[144:145], v[10:11]
	v_mul_f64_e32 v[10:11], v[146:147], v[10:11]
	scratch_load_b128 v[132:135], off, off offset:672
	v_add_f64_e32 v[156:157], v[156:157], v[162:163]
	s_wait_loadcnt_dscnt 0xa00
	v_mul_f64_e32 v[162:163], v[4:5], v[14:15]
	v_add_f64_e32 v[166:167], v[154:155], v[152:153]
	v_mul_f64_e32 v[14:15], v[6:7], v[14:15]
	ds_load_b128 v[152:155], v2 offset:1216
	v_fmac_f64_e32 v[158:159], v[146:147], v[8:9]
	v_fma_f64 v[8:9], v[144:145], v[8:9], -v[10:11]
	s_wait_loadcnt_dscnt 0x900
	v_mul_f64_e32 v[146:147], v[152:153], v[18:19]
	v_mul_f64_e32 v[18:19], v[154:155], v[18:19]
	v_add_f64_e32 v[144:145], v[156:157], v[160:161]
	v_fmac_f64_e32 v[162:163], v[6:7], v[12:13]
	v_add_f64_e32 v[10:11], v[166:167], v[164:165]
	v_fma_f64 v[12:13], v[4:5], v[12:13], -v[14:15]
	v_fmac_f64_e32 v[146:147], v[154:155], v[16:17]
	v_fma_f64 v[16:17], v[152:153], v[16:17], -v[18:19]
	v_add_f64_e32 v[144:145], v[144:145], v[158:159]
	v_add_f64_e32 v[14:15], v[10:11], v[8:9]
	ds_load_b128 v[4:7], v2 offset:1232
	ds_load_b128 v[8:11], v2 offset:1248
	s_wait_loadcnt_dscnt 0x801
	v_mul_f64_e32 v[156:157], v[4:5], v[22:23]
	v_mul_f64_e32 v[22:23], v[6:7], v[22:23]
	s_wait_loadcnt_dscnt 0x700
	v_mul_f64_e32 v[18:19], v[8:9], v[114:115]
	v_mul_f64_e32 v[114:115], v[10:11], v[114:115]
	v_add_f64_e32 v[12:13], v[14:15], v[12:13]
	v_add_f64_e32 v[14:15], v[144:145], v[162:163]
	v_fmac_f64_e32 v[156:157], v[6:7], v[20:21]
	v_fma_f64 v[20:21], v[4:5], v[20:21], -v[22:23]
	v_fmac_f64_e32 v[18:19], v[10:11], v[112:113]
	v_fma_f64 v[8:9], v[8:9], v[112:113], -v[114:115]
	v_add_f64_e32 v[16:17], v[12:13], v[16:17]
	v_add_f64_e32 v[22:23], v[14:15], v[146:147]
	ds_load_b128 v[4:7], v2 offset:1264
	ds_load_b128 v[12:15], v2 offset:1280
	s_wait_loadcnt_dscnt 0x601
	v_mul_f64_e32 v[144:145], v[4:5], v[118:119]
	v_mul_f64_e32 v[118:119], v[6:7], v[118:119]
	v_add_f64_e32 v[10:11], v[16:17], v[20:21]
	v_add_f64_e32 v[16:17], v[22:23], v[156:157]
	s_wait_loadcnt_dscnt 0x500
	v_mul_f64_e32 v[20:21], v[12:13], v[122:123]
	v_mul_f64_e32 v[22:23], v[14:15], v[122:123]
	v_fmac_f64_e32 v[144:145], v[6:7], v[116:117]
	v_fma_f64 v[112:113], v[4:5], v[116:117], -v[118:119]
	v_add_f64_e32 v[114:115], v[10:11], v[8:9]
	v_add_f64_e32 v[16:17], v[16:17], v[18:19]
	ds_load_b128 v[4:7], v2 offset:1296
	ds_load_b128 v[8:11], v2 offset:1312
	v_fmac_f64_e32 v[20:21], v[14:15], v[120:121]
	v_fma_f64 v[12:13], v[12:13], v[120:121], -v[22:23]
	s_wait_loadcnt_dscnt 0x401
	v_mul_f64_e32 v[18:19], v[4:5], v[126:127]
	v_mul_f64_e32 v[116:117], v[6:7], v[126:127]
	s_wait_loadcnt_dscnt 0x300
	v_mul_f64_e32 v[22:23], v[8:9], v[130:131]
	v_add_f64_e32 v[14:15], v[114:115], v[112:113]
	v_add_f64_e32 v[16:17], v[16:17], v[144:145]
	v_mul_f64_e32 v[112:113], v[10:11], v[130:131]
	v_fmac_f64_e32 v[18:19], v[6:7], v[124:125]
	v_fma_f64 v[114:115], v[4:5], v[124:125], -v[116:117]
	v_fmac_f64_e32 v[22:23], v[10:11], v[128:129]
	v_add_f64_e32 v[116:117], v[14:15], v[12:13]
	v_add_f64_e32 v[16:17], v[16:17], v[20:21]
	ds_load_b128 v[4:7], v2 offset:1328
	ds_load_b128 v[12:15], v2 offset:1344
	v_fma_f64 v[8:9], v[8:9], v[128:129], -v[112:113]
	s_wait_loadcnt_dscnt 0x201
	v_mul_f64_e32 v[20:21], v[4:5], v[138:139]
	v_mul_f64_e32 v[118:119], v[6:7], v[138:139]
	s_wait_loadcnt_dscnt 0x100
	v_mul_f64_e32 v[112:113], v[14:15], v[150:151]
	v_add_f64_e32 v[10:11], v[116:117], v[114:115]
	v_add_f64_e32 v[16:17], v[16:17], v[18:19]
	v_mul_f64_e32 v[18:19], v[12:13], v[150:151]
	v_fmac_f64_e32 v[20:21], v[6:7], v[136:137]
	v_fma_f64 v[114:115], v[4:5], v[136:137], -v[118:119]
	ds_load_b128 v[4:7], v2 offset:1360
	v_fma_f64 v[12:13], v[12:13], v[148:149], -v[112:113]
	v_add_f64_e32 v[8:9], v[10:11], v[8:9]
	v_add_f64_e32 v[10:11], v[16:17], v[22:23]
	v_fmac_f64_e32 v[18:19], v[14:15], v[148:149]
	s_wait_loadcnt_dscnt 0x0
	v_mul_f64_e32 v[16:17], v[4:5], v[134:135]
	v_mul_f64_e32 v[22:23], v[6:7], v[134:135]
	v_add_f64_e32 v[8:9], v[8:9], v[114:115]
	v_add_f64_e32 v[10:11], v[10:11], v[20:21]
	s_delay_alu instid0(VALU_DEP_4) | instskip(NEXT) | instid1(VALU_DEP_4)
	v_fmac_f64_e32 v[16:17], v[6:7], v[132:133]
	v_fma_f64 v[4:5], v[4:5], v[132:133], -v[22:23]
	s_delay_alu instid0(VALU_DEP_4) | instskip(NEXT) | instid1(VALU_DEP_4)
	v_add_f64_e32 v[6:7], v[8:9], v[12:13]
	v_add_f64_e32 v[8:9], v[10:11], v[18:19]
	s_delay_alu instid0(VALU_DEP_2) | instskip(NEXT) | instid1(VALU_DEP_2)
	v_add_f64_e32 v[4:5], v[6:7], v[4:5]
	v_add_f64_e32 v[6:7], v[8:9], v[16:17]
	s_delay_alu instid0(VALU_DEP_2) | instskip(NEXT) | instid1(VALU_DEP_2)
	v_add_f64_e64 v[4:5], v[140:141], -v[4:5]
	v_add_f64_e64 v[6:7], v[142:143], -v[6:7]
	scratch_store_b128 off, v[4:7], off offset:272
	s_wait_xcnt 0x0
	v_cmpx_lt_u32_e32 16, v1
	s_cbranch_execz .LBB106_239
; %bb.238:
	scratch_load_b128 v[6:9], off, s43
	v_dual_mov_b32 v3, v2 :: v_dual_mov_b32 v4, v2
	v_mov_b32_e32 v5, v2
	scratch_store_b128 off, v[2:5], off offset:256
	s_wait_loadcnt 0x0
	ds_store_b128 v110, v[6:9]
.LBB106_239:
	s_wait_xcnt 0x0
	s_or_b32 exec_lo, exec_lo, s2
	s_wait_storecnt_dscnt 0x0
	s_barrier_signal -1
	s_barrier_wait -1
	s_clause 0x9
	scratch_load_b128 v[4:7], off, off offset:272
	scratch_load_b128 v[8:11], off, off offset:288
	;; [unrolled: 1-line block ×10, first 2 shown]
	ds_load_b128 v[132:135], v2 offset:960
	ds_load_b128 v[140:143], v2 offset:976
	s_clause 0x2
	scratch_load_b128 v[136:139], off, off offset:432
	scratch_load_b128 v[144:147], off, off offset:256
	;; [unrolled: 1-line block ×3, first 2 shown]
	s_mov_b32 s2, exec_lo
	s_wait_loadcnt_dscnt 0xc01
	v_mul_f64_e32 v[152:153], v[134:135], v[6:7]
	v_mul_f64_e32 v[156:157], v[132:133], v[6:7]
	s_wait_loadcnt_dscnt 0xb00
	v_mul_f64_e32 v[158:159], v[140:141], v[10:11]
	v_mul_f64_e32 v[10:11], v[142:143], v[10:11]
	s_delay_alu instid0(VALU_DEP_4) | instskip(NEXT) | instid1(VALU_DEP_4)
	v_fma_f64 v[160:161], v[132:133], v[4:5], -v[152:153]
	v_fmac_f64_e32 v[156:157], v[134:135], v[4:5]
	ds_load_b128 v[4:7], v2 offset:992
	ds_load_b128 v[132:135], v2 offset:1008
	scratch_load_b128 v[152:155], off, off offset:464
	v_fmac_f64_e32 v[158:159], v[142:143], v[8:9]
	v_fma_f64 v[140:141], v[140:141], v[8:9], -v[10:11]
	scratch_load_b128 v[8:11], off, off offset:480
	s_wait_loadcnt_dscnt 0xc01
	v_mul_f64_e32 v[162:163], v[4:5], v[14:15]
	v_mul_f64_e32 v[14:15], v[6:7], v[14:15]
	v_add_f64_e32 v[142:143], 0, v[160:161]
	v_add_f64_e32 v[156:157], 0, v[156:157]
	s_wait_loadcnt_dscnt 0xb00
	v_mul_f64_e32 v[160:161], v[132:133], v[18:19]
	v_mul_f64_e32 v[18:19], v[134:135], v[18:19]
	v_fmac_f64_e32 v[162:163], v[6:7], v[12:13]
	v_fma_f64 v[164:165], v[4:5], v[12:13], -v[14:15]
	ds_load_b128 v[4:7], v2 offset:1024
	ds_load_b128 v[12:15], v2 offset:1040
	v_add_f64_e32 v[166:167], v[142:143], v[140:141]
	v_add_f64_e32 v[156:157], v[156:157], v[158:159]
	scratch_load_b128 v[140:143], off, off offset:496
	v_fmac_f64_e32 v[160:161], v[134:135], v[16:17]
	v_fma_f64 v[132:133], v[132:133], v[16:17], -v[18:19]
	scratch_load_b128 v[16:19], off, off offset:512
	s_wait_loadcnt_dscnt 0xc01
	v_mul_f64_e32 v[158:159], v[4:5], v[22:23]
	v_mul_f64_e32 v[22:23], v[6:7], v[22:23]
	v_add_f64_e32 v[134:135], v[166:167], v[164:165]
	v_add_f64_e32 v[156:157], v[156:157], v[162:163]
	s_wait_loadcnt_dscnt 0xb00
	v_mul_f64_e32 v[162:163], v[12:13], v[114:115]
	v_mul_f64_e32 v[114:115], v[14:15], v[114:115]
	v_fmac_f64_e32 v[158:159], v[6:7], v[20:21]
	v_fma_f64 v[164:165], v[4:5], v[20:21], -v[22:23]
	ds_load_b128 v[4:7], v2 offset:1056
	ds_load_b128 v[20:23], v2 offset:1072
	v_add_f64_e32 v[166:167], v[134:135], v[132:133]
	v_add_f64_e32 v[156:157], v[156:157], v[160:161]
	scratch_load_b128 v[132:135], off, off offset:528
	s_wait_loadcnt_dscnt 0xb01
	v_mul_f64_e32 v[160:161], v[4:5], v[118:119]
	v_mul_f64_e32 v[118:119], v[6:7], v[118:119]
	v_fmac_f64_e32 v[162:163], v[14:15], v[112:113]
	v_fma_f64 v[112:113], v[12:13], v[112:113], -v[114:115]
	scratch_load_b128 v[12:15], off, off offset:544
	v_add_f64_e32 v[114:115], v[166:167], v[164:165]
	v_add_f64_e32 v[156:157], v[156:157], v[158:159]
	s_wait_loadcnt_dscnt 0xb00
	v_mul_f64_e32 v[158:159], v[20:21], v[122:123]
	v_mul_f64_e32 v[122:123], v[22:23], v[122:123]
	v_fmac_f64_e32 v[160:161], v[6:7], v[116:117]
	v_fma_f64 v[164:165], v[4:5], v[116:117], -v[118:119]
	v_add_f64_e32 v[166:167], v[114:115], v[112:113]
	v_add_f64_e32 v[156:157], v[156:157], v[162:163]
	ds_load_b128 v[4:7], v2 offset:1088
	ds_load_b128 v[112:115], v2 offset:1104
	scratch_load_b128 v[116:119], off, off offset:560
	v_fmac_f64_e32 v[158:159], v[22:23], v[120:121]
	v_fma_f64 v[120:121], v[20:21], v[120:121], -v[122:123]
	scratch_load_b128 v[20:23], off, off offset:576
	s_wait_loadcnt_dscnt 0xc01
	v_mul_f64_e32 v[162:163], v[4:5], v[126:127]
	v_mul_f64_e32 v[126:127], v[6:7], v[126:127]
	v_add_f64_e32 v[122:123], v[166:167], v[164:165]
	v_add_f64_e32 v[156:157], v[156:157], v[160:161]
	s_wait_loadcnt_dscnt 0xb00
	v_mul_f64_e32 v[160:161], v[112:113], v[130:131]
	v_mul_f64_e32 v[130:131], v[114:115], v[130:131]
	v_fmac_f64_e32 v[162:163], v[6:7], v[124:125]
	v_fma_f64 v[164:165], v[4:5], v[124:125], -v[126:127]
	v_add_f64_e32 v[166:167], v[122:123], v[120:121]
	v_add_f64_e32 v[156:157], v[156:157], v[158:159]
	ds_load_b128 v[4:7], v2 offset:1120
	ds_load_b128 v[120:123], v2 offset:1136
	scratch_load_b128 v[124:127], off, off offset:592
	v_fmac_f64_e32 v[160:161], v[114:115], v[128:129]
	v_fma_f64 v[128:129], v[112:113], v[128:129], -v[130:131]
	scratch_load_b128 v[112:115], off, off offset:608
	s_wait_loadcnt_dscnt 0xc01
	v_mul_f64_e32 v[158:159], v[4:5], v[138:139]
	v_mul_f64_e32 v[138:139], v[6:7], v[138:139]
	;; [unrolled: 18-line block ×4, first 2 shown]
	v_add_f64_e32 v[130:131], v[166:167], v[164:165]
	v_add_f64_e32 v[156:157], v[156:157], v[160:161]
	s_wait_loadcnt_dscnt 0xa00
	v_mul_f64_e32 v[160:161], v[148:149], v[18:19]
	v_mul_f64_e32 v[18:19], v[150:151], v[18:19]
	v_fmac_f64_e32 v[162:163], v[6:7], v[140:141]
	v_fma_f64 v[140:141], v[4:5], v[140:141], -v[142:143]
	v_add_f64_e32 v[142:143], v[130:131], v[128:129]
	v_add_f64_e32 v[156:157], v[156:157], v[158:159]
	ds_load_b128 v[4:7], v2 offset:1216
	ds_load_b128 v[128:131], v2 offset:1232
	v_fmac_f64_e32 v[160:161], v[150:151], v[16:17]
	v_fma_f64 v[16:17], v[148:149], v[16:17], -v[18:19]
	s_wait_loadcnt_dscnt 0x901
	v_mul_f64_e32 v[158:159], v[4:5], v[134:135]
	v_mul_f64_e32 v[134:135], v[6:7], v[134:135]
	s_wait_loadcnt_dscnt 0x800
	v_mul_f64_e32 v[148:149], v[130:131], v[14:15]
	v_add_f64_e32 v[18:19], v[142:143], v[140:141]
	v_add_f64_e32 v[140:141], v[156:157], v[162:163]
	v_mul_f64_e32 v[142:143], v[128:129], v[14:15]
	v_fmac_f64_e32 v[158:159], v[6:7], v[132:133]
	v_fma_f64 v[132:133], v[4:5], v[132:133], -v[134:135]
	v_add_f64_e32 v[18:19], v[18:19], v[16:17]
	v_add_f64_e32 v[134:135], v[140:141], v[160:161]
	ds_load_b128 v[4:7], v2 offset:1248
	ds_load_b128 v[14:17], v2 offset:1264
	v_fmac_f64_e32 v[142:143], v[130:131], v[12:13]
	v_fma_f64 v[12:13], v[128:129], v[12:13], -v[148:149]
	s_wait_loadcnt_dscnt 0x701
	v_mul_f64_e32 v[140:141], v[4:5], v[118:119]
	v_mul_f64_e32 v[118:119], v[6:7], v[118:119]
	s_wait_loadcnt_dscnt 0x600
	v_mul_f64_e32 v[130:131], v[14:15], v[22:23]
	v_mul_f64_e32 v[22:23], v[16:17], v[22:23]
	v_add_f64_e32 v[18:19], v[18:19], v[132:133]
	v_add_f64_e32 v[128:129], v[134:135], v[158:159]
	v_fmac_f64_e32 v[140:141], v[6:7], v[116:117]
	v_fma_f64 v[132:133], v[4:5], v[116:117], -v[118:119]
	ds_load_b128 v[4:7], v2 offset:1280
	ds_load_b128 v[116:119], v2 offset:1296
	v_fmac_f64_e32 v[130:131], v[16:17], v[20:21]
	v_fma_f64 v[14:15], v[14:15], v[20:21], -v[22:23]
	v_add_f64_e32 v[12:13], v[18:19], v[12:13]
	v_add_f64_e32 v[18:19], v[128:129], v[142:143]
	s_wait_loadcnt_dscnt 0x501
	v_mul_f64_e32 v[128:129], v[4:5], v[126:127]
	v_mul_f64_e32 v[126:127], v[6:7], v[126:127]
	s_wait_loadcnt_dscnt 0x400
	v_mul_f64_e32 v[20:21], v[118:119], v[114:115]
	v_add_f64_e32 v[12:13], v[12:13], v[132:133]
	v_add_f64_e32 v[16:17], v[18:19], v[140:141]
	v_mul_f64_e32 v[18:19], v[116:117], v[114:115]
	v_fmac_f64_e32 v[128:129], v[6:7], v[124:125]
	v_fma_f64 v[22:23], v[4:5], v[124:125], -v[126:127]
	v_fma_f64 v[20:21], v[116:117], v[112:113], -v[20:21]
	v_add_f64_e32 v[114:115], v[12:13], v[14:15]
	v_add_f64_e32 v[16:17], v[16:17], v[130:131]
	ds_load_b128 v[4:7], v2 offset:1312
	ds_load_b128 v[12:15], v2 offset:1328
	v_fmac_f64_e32 v[18:19], v[118:119], v[112:113]
	s_wait_loadcnt_dscnt 0x301
	v_mul_f64_e32 v[124:125], v[4:5], v[138:139]
	v_mul_f64_e32 v[126:127], v[6:7], v[138:139]
	s_wait_loadcnt_dscnt 0x200
	v_mul_f64_e32 v[112:113], v[12:13], v[122:123]
	v_add_f64_e32 v[22:23], v[114:115], v[22:23]
	v_add_f64_e32 v[16:17], v[16:17], v[128:129]
	v_mul_f64_e32 v[114:115], v[14:15], v[122:123]
	v_fmac_f64_e32 v[124:125], v[6:7], v[136:137]
	v_fma_f64 v[116:117], v[4:5], v[136:137], -v[126:127]
	v_fmac_f64_e32 v[112:113], v[14:15], v[120:121]
	v_add_f64_e32 v[20:21], v[22:23], v[20:21]
	v_add_f64_e32 v[22:23], v[16:17], v[18:19]
	ds_load_b128 v[4:7], v2 offset:1344
	ds_load_b128 v[16:19], v2 offset:1360
	v_fma_f64 v[12:13], v[12:13], v[120:121], -v[114:115]
	s_wait_loadcnt_dscnt 0x101
	v_mul_f64_e32 v[2:3], v[4:5], v[154:155]
	v_mul_f64_e32 v[118:119], v[6:7], v[154:155]
	v_add_f64_e32 v[14:15], v[20:21], v[116:117]
	v_add_f64_e32 v[20:21], v[22:23], v[124:125]
	s_wait_loadcnt_dscnt 0x0
	v_mul_f64_e32 v[22:23], v[16:17], v[10:11]
	v_mul_f64_e32 v[10:11], v[18:19], v[10:11]
	v_fmac_f64_e32 v[2:3], v[6:7], v[152:153]
	v_fma_f64 v[4:5], v[4:5], v[152:153], -v[118:119]
	v_add_f64_e32 v[6:7], v[14:15], v[12:13]
	v_add_f64_e32 v[12:13], v[20:21], v[112:113]
	v_fmac_f64_e32 v[22:23], v[18:19], v[8:9]
	v_fma_f64 v[8:9], v[16:17], v[8:9], -v[10:11]
	s_delay_alu instid0(VALU_DEP_4) | instskip(NEXT) | instid1(VALU_DEP_4)
	v_add_f64_e32 v[4:5], v[6:7], v[4:5]
	v_add_f64_e32 v[2:3], v[12:13], v[2:3]
	s_delay_alu instid0(VALU_DEP_2) | instskip(NEXT) | instid1(VALU_DEP_2)
	v_add_f64_e32 v[4:5], v[4:5], v[8:9]
	v_add_f64_e32 v[6:7], v[2:3], v[22:23]
	s_delay_alu instid0(VALU_DEP_2) | instskip(NEXT) | instid1(VALU_DEP_2)
	v_add_f64_e64 v[2:3], v[144:145], -v[4:5]
	v_add_f64_e64 v[4:5], v[146:147], -v[6:7]
	scratch_store_b128 off, v[2:5], off offset:256
	s_wait_xcnt 0x0
	v_cmpx_lt_u32_e32 15, v1
	s_cbranch_execz .LBB106_241
; %bb.240:
	scratch_load_b128 v[2:5], off, s44
	v_mov_b32_e32 v6, 0
	s_delay_alu instid0(VALU_DEP_1)
	v_dual_mov_b32 v7, v6 :: v_dual_mov_b32 v8, v6
	v_mov_b32_e32 v9, v6
	scratch_store_b128 off, v[6:9], off offset:240
	s_wait_loadcnt 0x0
	ds_store_b128 v110, v[2:5]
.LBB106_241:
	s_wait_xcnt 0x0
	s_or_b32 exec_lo, exec_lo, s2
	s_wait_storecnt_dscnt 0x0
	s_barrier_signal -1
	s_barrier_wait -1
	s_clause 0x9
	scratch_load_b128 v[4:7], off, off offset:256
	scratch_load_b128 v[8:11], off, off offset:272
	;; [unrolled: 1-line block ×10, first 2 shown]
	v_mov_b32_e32 v2, 0
	s_mov_b32 s2, exec_lo
	ds_load_b128 v[132:135], v2 offset:944
	s_clause 0x2
	scratch_load_b128 v[136:139], off, off offset:416
	scratch_load_b128 v[140:143], off, off offset:240
	;; [unrolled: 1-line block ×3, first 2 shown]
	s_wait_loadcnt_dscnt 0xc00
	v_mul_f64_e32 v[152:153], v[134:135], v[6:7]
	v_mul_f64_e32 v[156:157], v[132:133], v[6:7]
	ds_load_b128 v[144:147], v2 offset:960
	v_fma_f64 v[160:161], v[132:133], v[4:5], -v[152:153]
	v_fmac_f64_e32 v[156:157], v[134:135], v[4:5]
	ds_load_b128 v[4:7], v2 offset:976
	s_wait_loadcnt_dscnt 0xb01
	v_mul_f64_e32 v[158:159], v[144:145], v[10:11]
	v_mul_f64_e32 v[10:11], v[146:147], v[10:11]
	scratch_load_b128 v[132:135], off, off offset:448
	ds_load_b128 v[152:155], v2 offset:992
	s_wait_loadcnt_dscnt 0xb01
	v_mul_f64_e32 v[162:163], v[4:5], v[14:15]
	v_mul_f64_e32 v[14:15], v[6:7], v[14:15]
	v_add_f64_e32 v[156:157], 0, v[156:157]
	v_fmac_f64_e32 v[158:159], v[146:147], v[8:9]
	v_fma_f64 v[144:145], v[144:145], v[8:9], -v[10:11]
	v_add_f64_e32 v[146:147], 0, v[160:161]
	scratch_load_b128 v[8:11], off, off offset:464
	v_fmac_f64_e32 v[162:163], v[6:7], v[12:13]
	v_fma_f64 v[164:165], v[4:5], v[12:13], -v[14:15]
	ds_load_b128 v[4:7], v2 offset:1008
	s_wait_loadcnt_dscnt 0xb01
	v_mul_f64_e32 v[160:161], v[152:153], v[18:19]
	v_mul_f64_e32 v[18:19], v[154:155], v[18:19]
	scratch_load_b128 v[12:15], off, off offset:480
	v_add_f64_e32 v[156:157], v[156:157], v[158:159]
	v_add_f64_e32 v[166:167], v[146:147], v[144:145]
	ds_load_b128 v[144:147], v2 offset:1024
	s_wait_loadcnt_dscnt 0xb01
	v_mul_f64_e32 v[158:159], v[4:5], v[22:23]
	v_mul_f64_e32 v[22:23], v[6:7], v[22:23]
	v_fmac_f64_e32 v[160:161], v[154:155], v[16:17]
	v_fma_f64 v[152:153], v[152:153], v[16:17], -v[18:19]
	scratch_load_b128 v[16:19], off, off offset:496
	v_add_f64_e32 v[156:157], v[156:157], v[162:163]
	v_add_f64_e32 v[154:155], v[166:167], v[164:165]
	v_fmac_f64_e32 v[158:159], v[6:7], v[20:21]
	v_fma_f64 v[164:165], v[4:5], v[20:21], -v[22:23]
	ds_load_b128 v[4:7], v2 offset:1040
	s_wait_loadcnt_dscnt 0xb01
	v_mul_f64_e32 v[162:163], v[144:145], v[114:115]
	v_mul_f64_e32 v[114:115], v[146:147], v[114:115]
	scratch_load_b128 v[20:23], off, off offset:512
	v_add_f64_e32 v[156:157], v[156:157], v[160:161]
	s_wait_loadcnt_dscnt 0xb00
	v_mul_f64_e32 v[160:161], v[4:5], v[118:119]
	v_add_f64_e32 v[166:167], v[154:155], v[152:153]
	v_mul_f64_e32 v[118:119], v[6:7], v[118:119]
	ds_load_b128 v[152:155], v2 offset:1056
	v_fmac_f64_e32 v[162:163], v[146:147], v[112:113]
	v_fma_f64 v[144:145], v[144:145], v[112:113], -v[114:115]
	scratch_load_b128 v[112:115], off, off offset:528
	v_add_f64_e32 v[156:157], v[156:157], v[158:159]
	v_fmac_f64_e32 v[160:161], v[6:7], v[116:117]
	v_add_f64_e32 v[146:147], v[166:167], v[164:165]
	v_fma_f64 v[164:165], v[4:5], v[116:117], -v[118:119]
	ds_load_b128 v[4:7], v2 offset:1072
	s_wait_loadcnt_dscnt 0xb01
	v_mul_f64_e32 v[158:159], v[152:153], v[122:123]
	v_mul_f64_e32 v[122:123], v[154:155], v[122:123]
	scratch_load_b128 v[116:119], off, off offset:544
	v_add_f64_e32 v[156:157], v[156:157], v[162:163]
	s_wait_loadcnt_dscnt 0xb00
	v_mul_f64_e32 v[162:163], v[4:5], v[126:127]
	v_add_f64_e32 v[166:167], v[146:147], v[144:145]
	v_mul_f64_e32 v[126:127], v[6:7], v[126:127]
	ds_load_b128 v[144:147], v2 offset:1088
	v_fmac_f64_e32 v[158:159], v[154:155], v[120:121]
	v_fma_f64 v[152:153], v[152:153], v[120:121], -v[122:123]
	scratch_load_b128 v[120:123], off, off offset:560
	v_add_f64_e32 v[156:157], v[156:157], v[160:161]
	v_fmac_f64_e32 v[162:163], v[6:7], v[124:125]
	v_add_f64_e32 v[154:155], v[166:167], v[164:165]
	;; [unrolled: 18-line block ×3, first 2 shown]
	v_fma_f64 v[164:165], v[4:5], v[136:137], -v[138:139]
	ds_load_b128 v[4:7], v2 offset:1136
	s_wait_loadcnt_dscnt 0xa01
	v_mul_f64_e32 v[162:163], v[152:153], v[150:151]
	v_mul_f64_e32 v[150:151], v[154:155], v[150:151]
	scratch_load_b128 v[136:139], off, off offset:608
	v_add_f64_e32 v[156:157], v[156:157], v[160:161]
	v_add_f64_e32 v[166:167], v[146:147], v[144:145]
	s_wait_loadcnt_dscnt 0xa00
	v_mul_f64_e32 v[160:161], v[4:5], v[134:135]
	v_mul_f64_e32 v[134:135], v[6:7], v[134:135]
	v_fmac_f64_e32 v[162:163], v[154:155], v[148:149]
	v_fma_f64 v[152:153], v[152:153], v[148:149], -v[150:151]
	ds_load_b128 v[144:147], v2 offset:1152
	scratch_load_b128 v[148:151], off, off offset:624
	v_add_f64_e32 v[156:157], v[156:157], v[158:159]
	v_add_f64_e32 v[154:155], v[166:167], v[164:165]
	v_fmac_f64_e32 v[160:161], v[6:7], v[132:133]
	v_fma_f64 v[164:165], v[4:5], v[132:133], -v[134:135]
	ds_load_b128 v[4:7], v2 offset:1168
	s_wait_loadcnt_dscnt 0xa01
	v_mul_f64_e32 v[158:159], v[144:145], v[10:11]
	v_mul_f64_e32 v[10:11], v[146:147], v[10:11]
	scratch_load_b128 v[132:135], off, off offset:640
	v_add_f64_e32 v[156:157], v[156:157], v[162:163]
	s_wait_loadcnt_dscnt 0xa00
	v_mul_f64_e32 v[162:163], v[4:5], v[14:15]
	v_add_f64_e32 v[166:167], v[154:155], v[152:153]
	v_mul_f64_e32 v[14:15], v[6:7], v[14:15]
	ds_load_b128 v[152:155], v2 offset:1184
	v_fmac_f64_e32 v[158:159], v[146:147], v[8:9]
	v_fma_f64 v[144:145], v[144:145], v[8:9], -v[10:11]
	scratch_load_b128 v[8:11], off, off offset:656
	v_add_f64_e32 v[156:157], v[156:157], v[160:161]
	v_fmac_f64_e32 v[162:163], v[6:7], v[12:13]
	v_add_f64_e32 v[146:147], v[166:167], v[164:165]
	v_fma_f64 v[164:165], v[4:5], v[12:13], -v[14:15]
	ds_load_b128 v[4:7], v2 offset:1200
	s_wait_loadcnt_dscnt 0xa01
	v_mul_f64_e32 v[160:161], v[152:153], v[18:19]
	v_mul_f64_e32 v[18:19], v[154:155], v[18:19]
	scratch_load_b128 v[12:15], off, off offset:672
	v_add_f64_e32 v[156:157], v[156:157], v[158:159]
	s_wait_loadcnt_dscnt 0xa00
	v_mul_f64_e32 v[158:159], v[4:5], v[22:23]
	v_add_f64_e32 v[166:167], v[146:147], v[144:145]
	v_mul_f64_e32 v[22:23], v[6:7], v[22:23]
	ds_load_b128 v[144:147], v2 offset:1216
	v_fmac_f64_e32 v[160:161], v[154:155], v[16:17]
	v_fma_f64 v[16:17], v[152:153], v[16:17], -v[18:19]
	s_wait_loadcnt_dscnt 0x900
	v_mul_f64_e32 v[154:155], v[144:145], v[114:115]
	v_mul_f64_e32 v[114:115], v[146:147], v[114:115]
	v_add_f64_e32 v[152:153], v[156:157], v[162:163]
	v_fmac_f64_e32 v[158:159], v[6:7], v[20:21]
	v_add_f64_e32 v[18:19], v[166:167], v[164:165]
	v_fma_f64 v[20:21], v[4:5], v[20:21], -v[22:23]
	v_fmac_f64_e32 v[154:155], v[146:147], v[112:113]
	v_fma_f64 v[112:113], v[144:145], v[112:113], -v[114:115]
	v_add_f64_e32 v[152:153], v[152:153], v[160:161]
	v_add_f64_e32 v[22:23], v[18:19], v[16:17]
	ds_load_b128 v[4:7], v2 offset:1232
	ds_load_b128 v[16:19], v2 offset:1248
	s_wait_loadcnt_dscnt 0x801
	v_mul_f64_e32 v[156:157], v[4:5], v[118:119]
	v_mul_f64_e32 v[118:119], v[6:7], v[118:119]
	s_wait_loadcnt_dscnt 0x700
	v_mul_f64_e32 v[114:115], v[16:17], v[122:123]
	v_mul_f64_e32 v[122:123], v[18:19], v[122:123]
	v_add_f64_e32 v[20:21], v[22:23], v[20:21]
	v_add_f64_e32 v[22:23], v[152:153], v[158:159]
	v_fmac_f64_e32 v[156:157], v[6:7], v[116:117]
	v_fma_f64 v[116:117], v[4:5], v[116:117], -v[118:119]
	v_fmac_f64_e32 v[114:115], v[18:19], v[120:121]
	v_fma_f64 v[16:17], v[16:17], v[120:121], -v[122:123]
	v_add_f64_e32 v[112:113], v[20:21], v[112:113]
	v_add_f64_e32 v[118:119], v[22:23], v[154:155]
	ds_load_b128 v[4:7], v2 offset:1264
	ds_load_b128 v[20:23], v2 offset:1280
	s_wait_loadcnt_dscnt 0x601
	v_mul_f64_e32 v[144:145], v[4:5], v[126:127]
	v_mul_f64_e32 v[126:127], v[6:7], v[126:127]
	v_add_f64_e32 v[18:19], v[112:113], v[116:117]
	v_add_f64_e32 v[112:113], v[118:119], v[156:157]
	s_wait_loadcnt_dscnt 0x500
	v_mul_f64_e32 v[116:117], v[20:21], v[130:131]
	v_mul_f64_e32 v[118:119], v[22:23], v[130:131]
	v_fmac_f64_e32 v[144:145], v[6:7], v[124:125]
	v_fma_f64 v[120:121], v[4:5], v[124:125], -v[126:127]
	v_add_f64_e32 v[122:123], v[18:19], v[16:17]
	v_add_f64_e32 v[112:113], v[112:113], v[114:115]
	ds_load_b128 v[4:7], v2 offset:1296
	ds_load_b128 v[16:19], v2 offset:1312
	v_fmac_f64_e32 v[116:117], v[22:23], v[128:129]
	v_fma_f64 v[20:21], v[20:21], v[128:129], -v[118:119]
	s_wait_loadcnt_dscnt 0x401
	v_mul_f64_e32 v[114:115], v[4:5], v[138:139]
	v_mul_f64_e32 v[124:125], v[6:7], v[138:139]
	s_wait_loadcnt_dscnt 0x300
	v_mul_f64_e32 v[118:119], v[16:17], v[150:151]
	v_add_f64_e32 v[22:23], v[122:123], v[120:121]
	v_add_f64_e32 v[112:113], v[112:113], v[144:145]
	v_mul_f64_e32 v[120:121], v[18:19], v[150:151]
	v_fmac_f64_e32 v[114:115], v[6:7], v[136:137]
	v_fma_f64 v[122:123], v[4:5], v[136:137], -v[124:125]
	v_fmac_f64_e32 v[118:119], v[18:19], v[148:149]
	v_add_f64_e32 v[124:125], v[22:23], v[20:21]
	v_add_f64_e32 v[112:113], v[112:113], v[116:117]
	ds_load_b128 v[4:7], v2 offset:1328
	ds_load_b128 v[20:23], v2 offset:1344
	v_fma_f64 v[16:17], v[16:17], v[148:149], -v[120:121]
	s_wait_loadcnt_dscnt 0x201
	v_mul_f64_e32 v[116:117], v[4:5], v[134:135]
	v_mul_f64_e32 v[126:127], v[6:7], v[134:135]
	v_add_f64_e32 v[18:19], v[124:125], v[122:123]
	v_add_f64_e32 v[112:113], v[112:113], v[114:115]
	s_wait_loadcnt_dscnt 0x100
	v_mul_f64_e32 v[114:115], v[20:21], v[10:11]
	v_mul_f64_e32 v[10:11], v[22:23], v[10:11]
	v_fmac_f64_e32 v[116:117], v[6:7], v[132:133]
	v_fma_f64 v[120:121], v[4:5], v[132:133], -v[126:127]
	ds_load_b128 v[4:7], v2 offset:1360
	v_add_f64_e32 v[16:17], v[18:19], v[16:17]
	v_add_f64_e32 v[18:19], v[112:113], v[118:119]
	v_fmac_f64_e32 v[114:115], v[22:23], v[8:9]
	v_fma_f64 v[8:9], v[20:21], v[8:9], -v[10:11]
	s_wait_loadcnt_dscnt 0x0
	v_mul_f64_e32 v[112:113], v[4:5], v[14:15]
	v_mul_f64_e32 v[14:15], v[6:7], v[14:15]
	v_add_f64_e32 v[10:11], v[16:17], v[120:121]
	v_add_f64_e32 v[16:17], v[18:19], v[116:117]
	s_delay_alu instid0(VALU_DEP_4) | instskip(NEXT) | instid1(VALU_DEP_4)
	v_fmac_f64_e32 v[112:113], v[6:7], v[12:13]
	v_fma_f64 v[4:5], v[4:5], v[12:13], -v[14:15]
	s_delay_alu instid0(VALU_DEP_4) | instskip(NEXT) | instid1(VALU_DEP_4)
	v_add_f64_e32 v[6:7], v[10:11], v[8:9]
	v_add_f64_e32 v[8:9], v[16:17], v[114:115]
	s_delay_alu instid0(VALU_DEP_2) | instskip(NEXT) | instid1(VALU_DEP_2)
	v_add_f64_e32 v[4:5], v[6:7], v[4:5]
	v_add_f64_e32 v[6:7], v[8:9], v[112:113]
	s_delay_alu instid0(VALU_DEP_2) | instskip(NEXT) | instid1(VALU_DEP_2)
	v_add_f64_e64 v[4:5], v[140:141], -v[4:5]
	v_add_f64_e64 v[6:7], v[142:143], -v[6:7]
	scratch_store_b128 off, v[4:7], off offset:240
	s_wait_xcnt 0x0
	v_cmpx_lt_u32_e32 14, v1
	s_cbranch_execz .LBB106_243
; %bb.242:
	scratch_load_b128 v[6:9], off, s45
	v_dual_mov_b32 v3, v2 :: v_dual_mov_b32 v4, v2
	v_mov_b32_e32 v5, v2
	scratch_store_b128 off, v[2:5], off offset:224
	s_wait_loadcnt 0x0
	ds_store_b128 v110, v[6:9]
.LBB106_243:
	s_wait_xcnt 0x0
	s_or_b32 exec_lo, exec_lo, s2
	s_wait_storecnt_dscnt 0x0
	s_barrier_signal -1
	s_barrier_wait -1
	s_clause 0x9
	scratch_load_b128 v[4:7], off, off offset:240
	scratch_load_b128 v[8:11], off, off offset:256
	scratch_load_b128 v[12:15], off, off offset:272
	scratch_load_b128 v[16:19], off, off offset:288
	scratch_load_b128 v[20:23], off, off offset:304
	scratch_load_b128 v[112:115], off, off offset:320
	scratch_load_b128 v[116:119], off, off offset:336
	scratch_load_b128 v[120:123], off, off offset:352
	scratch_load_b128 v[124:127], off, off offset:368
	scratch_load_b128 v[128:131], off, off offset:384
	ds_load_b128 v[132:135], v2 offset:928
	ds_load_b128 v[140:143], v2 offset:944
	s_clause 0x2
	scratch_load_b128 v[136:139], off, off offset:400
	scratch_load_b128 v[144:147], off, off offset:224
	;; [unrolled: 1-line block ×3, first 2 shown]
	s_mov_b32 s2, exec_lo
	s_wait_loadcnt_dscnt 0xc01
	v_mul_f64_e32 v[152:153], v[134:135], v[6:7]
	v_mul_f64_e32 v[156:157], v[132:133], v[6:7]
	s_wait_loadcnt_dscnt 0xb00
	v_mul_f64_e32 v[158:159], v[140:141], v[10:11]
	v_mul_f64_e32 v[10:11], v[142:143], v[10:11]
	s_delay_alu instid0(VALU_DEP_4) | instskip(NEXT) | instid1(VALU_DEP_4)
	v_fma_f64 v[160:161], v[132:133], v[4:5], -v[152:153]
	v_fmac_f64_e32 v[156:157], v[134:135], v[4:5]
	ds_load_b128 v[4:7], v2 offset:960
	ds_load_b128 v[132:135], v2 offset:976
	scratch_load_b128 v[152:155], off, off offset:432
	v_fmac_f64_e32 v[158:159], v[142:143], v[8:9]
	v_fma_f64 v[140:141], v[140:141], v[8:9], -v[10:11]
	scratch_load_b128 v[8:11], off, off offset:448
	s_wait_loadcnt_dscnt 0xc01
	v_mul_f64_e32 v[162:163], v[4:5], v[14:15]
	v_mul_f64_e32 v[14:15], v[6:7], v[14:15]
	v_add_f64_e32 v[142:143], 0, v[160:161]
	v_add_f64_e32 v[156:157], 0, v[156:157]
	s_wait_loadcnt_dscnt 0xb00
	v_mul_f64_e32 v[160:161], v[132:133], v[18:19]
	v_mul_f64_e32 v[18:19], v[134:135], v[18:19]
	v_fmac_f64_e32 v[162:163], v[6:7], v[12:13]
	v_fma_f64 v[164:165], v[4:5], v[12:13], -v[14:15]
	ds_load_b128 v[4:7], v2 offset:992
	ds_load_b128 v[12:15], v2 offset:1008
	v_add_f64_e32 v[166:167], v[142:143], v[140:141]
	v_add_f64_e32 v[156:157], v[156:157], v[158:159]
	scratch_load_b128 v[140:143], off, off offset:464
	v_fmac_f64_e32 v[160:161], v[134:135], v[16:17]
	v_fma_f64 v[132:133], v[132:133], v[16:17], -v[18:19]
	scratch_load_b128 v[16:19], off, off offset:480
	s_wait_loadcnt_dscnt 0xc01
	v_mul_f64_e32 v[158:159], v[4:5], v[22:23]
	v_mul_f64_e32 v[22:23], v[6:7], v[22:23]
	v_add_f64_e32 v[134:135], v[166:167], v[164:165]
	v_add_f64_e32 v[156:157], v[156:157], v[162:163]
	s_wait_loadcnt_dscnt 0xb00
	v_mul_f64_e32 v[162:163], v[12:13], v[114:115]
	v_mul_f64_e32 v[114:115], v[14:15], v[114:115]
	v_fmac_f64_e32 v[158:159], v[6:7], v[20:21]
	v_fma_f64 v[164:165], v[4:5], v[20:21], -v[22:23]
	ds_load_b128 v[4:7], v2 offset:1024
	ds_load_b128 v[20:23], v2 offset:1040
	v_add_f64_e32 v[166:167], v[134:135], v[132:133]
	v_add_f64_e32 v[156:157], v[156:157], v[160:161]
	scratch_load_b128 v[132:135], off, off offset:496
	s_wait_loadcnt_dscnt 0xb01
	v_mul_f64_e32 v[160:161], v[4:5], v[118:119]
	v_mul_f64_e32 v[118:119], v[6:7], v[118:119]
	v_fmac_f64_e32 v[162:163], v[14:15], v[112:113]
	v_fma_f64 v[112:113], v[12:13], v[112:113], -v[114:115]
	scratch_load_b128 v[12:15], off, off offset:512
	v_add_f64_e32 v[114:115], v[166:167], v[164:165]
	v_add_f64_e32 v[156:157], v[156:157], v[158:159]
	s_wait_loadcnt_dscnt 0xb00
	v_mul_f64_e32 v[158:159], v[20:21], v[122:123]
	v_mul_f64_e32 v[122:123], v[22:23], v[122:123]
	v_fmac_f64_e32 v[160:161], v[6:7], v[116:117]
	v_fma_f64 v[164:165], v[4:5], v[116:117], -v[118:119]
	v_add_f64_e32 v[166:167], v[114:115], v[112:113]
	v_add_f64_e32 v[156:157], v[156:157], v[162:163]
	ds_load_b128 v[4:7], v2 offset:1056
	ds_load_b128 v[112:115], v2 offset:1072
	scratch_load_b128 v[116:119], off, off offset:528
	v_fmac_f64_e32 v[158:159], v[22:23], v[120:121]
	v_fma_f64 v[120:121], v[20:21], v[120:121], -v[122:123]
	scratch_load_b128 v[20:23], off, off offset:544
	s_wait_loadcnt_dscnt 0xc01
	v_mul_f64_e32 v[162:163], v[4:5], v[126:127]
	v_mul_f64_e32 v[126:127], v[6:7], v[126:127]
	v_add_f64_e32 v[122:123], v[166:167], v[164:165]
	v_add_f64_e32 v[156:157], v[156:157], v[160:161]
	s_wait_loadcnt_dscnt 0xb00
	v_mul_f64_e32 v[160:161], v[112:113], v[130:131]
	v_mul_f64_e32 v[130:131], v[114:115], v[130:131]
	v_fmac_f64_e32 v[162:163], v[6:7], v[124:125]
	v_fma_f64 v[164:165], v[4:5], v[124:125], -v[126:127]
	v_add_f64_e32 v[166:167], v[122:123], v[120:121]
	v_add_f64_e32 v[156:157], v[156:157], v[158:159]
	ds_load_b128 v[4:7], v2 offset:1088
	ds_load_b128 v[120:123], v2 offset:1104
	scratch_load_b128 v[124:127], off, off offset:560
	v_fmac_f64_e32 v[160:161], v[114:115], v[128:129]
	v_fma_f64 v[128:129], v[112:113], v[128:129], -v[130:131]
	scratch_load_b128 v[112:115], off, off offset:576
	s_wait_loadcnt_dscnt 0xc01
	v_mul_f64_e32 v[158:159], v[4:5], v[138:139]
	v_mul_f64_e32 v[138:139], v[6:7], v[138:139]
	v_add_f64_e32 v[130:131], v[166:167], v[164:165]
	v_add_f64_e32 v[156:157], v[156:157], v[162:163]
	s_wait_loadcnt_dscnt 0xa00
	v_mul_f64_e32 v[162:163], v[120:121], v[150:151]
	v_mul_f64_e32 v[150:151], v[122:123], v[150:151]
	v_fmac_f64_e32 v[158:159], v[6:7], v[136:137]
	v_fma_f64 v[164:165], v[4:5], v[136:137], -v[138:139]
	v_add_f64_e32 v[166:167], v[130:131], v[128:129]
	v_add_f64_e32 v[156:157], v[156:157], v[160:161]
	ds_load_b128 v[4:7], v2 offset:1120
	ds_load_b128 v[128:131], v2 offset:1136
	scratch_load_b128 v[136:139], off, off offset:592
	v_fmac_f64_e32 v[162:163], v[122:123], v[148:149]
	v_fma_f64 v[148:149], v[120:121], v[148:149], -v[150:151]
	scratch_load_b128 v[120:123], off, off offset:608
	s_wait_loadcnt_dscnt 0xb01
	v_mul_f64_e32 v[160:161], v[4:5], v[154:155]
	v_mul_f64_e32 v[154:155], v[6:7], v[154:155]
	v_add_f64_e32 v[150:151], v[166:167], v[164:165]
	v_add_f64_e32 v[156:157], v[156:157], v[158:159]
	s_wait_loadcnt_dscnt 0xa00
	v_mul_f64_e32 v[158:159], v[128:129], v[10:11]
	v_mul_f64_e32 v[10:11], v[130:131], v[10:11]
	v_fmac_f64_e32 v[160:161], v[6:7], v[152:153]
	v_fma_f64 v[164:165], v[4:5], v[152:153], -v[154:155]
	v_add_f64_e32 v[166:167], v[150:151], v[148:149]
	v_add_f64_e32 v[156:157], v[156:157], v[162:163]
	ds_load_b128 v[4:7], v2 offset:1152
	ds_load_b128 v[148:151], v2 offset:1168
	scratch_load_b128 v[152:155], off, off offset:624
	v_fmac_f64_e32 v[158:159], v[130:131], v[8:9]
	v_fma_f64 v[128:129], v[128:129], v[8:9], -v[10:11]
	scratch_load_b128 v[8:11], off, off offset:640
	s_wait_loadcnt_dscnt 0xb01
	v_mul_f64_e32 v[162:163], v[4:5], v[142:143]
	v_mul_f64_e32 v[142:143], v[6:7], v[142:143]
	v_add_f64_e32 v[130:131], v[166:167], v[164:165]
	v_add_f64_e32 v[156:157], v[156:157], v[160:161]
	s_wait_loadcnt_dscnt 0xa00
	v_mul_f64_e32 v[160:161], v[148:149], v[18:19]
	v_mul_f64_e32 v[18:19], v[150:151], v[18:19]
	v_fmac_f64_e32 v[162:163], v[6:7], v[140:141]
	v_fma_f64 v[164:165], v[4:5], v[140:141], -v[142:143]
	v_add_f64_e32 v[166:167], v[130:131], v[128:129]
	v_add_f64_e32 v[156:157], v[156:157], v[158:159]
	ds_load_b128 v[4:7], v2 offset:1184
	ds_load_b128 v[128:131], v2 offset:1200
	scratch_load_b128 v[140:143], off, off offset:656
	v_fmac_f64_e32 v[160:161], v[150:151], v[16:17]
	v_fma_f64 v[148:149], v[148:149], v[16:17], -v[18:19]
	scratch_load_b128 v[16:19], off, off offset:672
	s_wait_loadcnt_dscnt 0xb01
	v_mul_f64_e32 v[158:159], v[4:5], v[134:135]
	v_mul_f64_e32 v[134:135], v[6:7], v[134:135]
	v_add_f64_e32 v[150:151], v[166:167], v[164:165]
	v_add_f64_e32 v[156:157], v[156:157], v[162:163]
	s_wait_loadcnt_dscnt 0xa00
	v_mul_f64_e32 v[162:163], v[128:129], v[14:15]
	v_mul_f64_e32 v[14:15], v[130:131], v[14:15]
	v_fmac_f64_e32 v[158:159], v[6:7], v[132:133]
	v_fma_f64 v[164:165], v[4:5], v[132:133], -v[134:135]
	ds_load_b128 v[4:7], v2 offset:1216
	ds_load_b128 v[132:135], v2 offset:1232
	v_add_f64_e32 v[148:149], v[150:151], v[148:149]
	v_add_f64_e32 v[150:151], v[156:157], v[160:161]
	v_fmac_f64_e32 v[162:163], v[130:131], v[12:13]
	v_fma_f64 v[12:13], v[128:129], v[12:13], -v[14:15]
	s_wait_loadcnt_dscnt 0x901
	v_mul_f64_e32 v[156:157], v[4:5], v[118:119]
	v_mul_f64_e32 v[118:119], v[6:7], v[118:119]
	s_wait_loadcnt_dscnt 0x800
	v_mul_f64_e32 v[130:131], v[132:133], v[22:23]
	v_mul_f64_e32 v[22:23], v[134:135], v[22:23]
	v_add_f64_e32 v[14:15], v[148:149], v[164:165]
	v_add_f64_e32 v[128:129], v[150:151], v[158:159]
	v_fmac_f64_e32 v[156:157], v[6:7], v[116:117]
	v_fma_f64 v[116:117], v[4:5], v[116:117], -v[118:119]
	v_fmac_f64_e32 v[130:131], v[134:135], v[20:21]
	v_fma_f64 v[20:21], v[132:133], v[20:21], -v[22:23]
	v_add_f64_e32 v[118:119], v[14:15], v[12:13]
	v_add_f64_e32 v[128:129], v[128:129], v[162:163]
	ds_load_b128 v[4:7], v2 offset:1248
	ds_load_b128 v[12:15], v2 offset:1264
	s_wait_loadcnt_dscnt 0x701
	v_mul_f64_e32 v[148:149], v[4:5], v[126:127]
	v_mul_f64_e32 v[126:127], v[6:7], v[126:127]
	v_add_f64_e32 v[22:23], v[118:119], v[116:117]
	v_add_f64_e32 v[116:117], v[128:129], v[156:157]
	s_wait_loadcnt_dscnt 0x600
	v_mul_f64_e32 v[118:119], v[12:13], v[114:115]
	v_mul_f64_e32 v[114:115], v[14:15], v[114:115]
	v_fmac_f64_e32 v[148:149], v[6:7], v[124:125]
	v_fma_f64 v[124:125], v[4:5], v[124:125], -v[126:127]
	v_add_f64_e32 v[126:127], v[22:23], v[20:21]
	v_add_f64_e32 v[116:117], v[116:117], v[130:131]
	ds_load_b128 v[4:7], v2 offset:1280
	ds_load_b128 v[20:23], v2 offset:1296
	v_fmac_f64_e32 v[118:119], v[14:15], v[112:113]
	v_fma_f64 v[12:13], v[12:13], v[112:113], -v[114:115]
	s_wait_loadcnt_dscnt 0x501
	v_mul_f64_e32 v[128:129], v[4:5], v[138:139]
	v_mul_f64_e32 v[130:131], v[6:7], v[138:139]
	s_wait_loadcnt_dscnt 0x400
	v_mul_f64_e32 v[114:115], v[20:21], v[122:123]
	v_add_f64_e32 v[14:15], v[126:127], v[124:125]
	v_add_f64_e32 v[112:113], v[116:117], v[148:149]
	v_mul_f64_e32 v[116:117], v[22:23], v[122:123]
	v_fmac_f64_e32 v[128:129], v[6:7], v[136:137]
	v_fma_f64 v[122:123], v[4:5], v[136:137], -v[130:131]
	v_fmac_f64_e32 v[114:115], v[22:23], v[120:121]
	v_add_f64_e32 v[124:125], v[14:15], v[12:13]
	v_add_f64_e32 v[112:113], v[112:113], v[118:119]
	ds_load_b128 v[4:7], v2 offset:1312
	ds_load_b128 v[12:15], v2 offset:1328
	v_fma_f64 v[20:21], v[20:21], v[120:121], -v[116:117]
	s_wait_loadcnt_dscnt 0x301
	v_mul_f64_e32 v[118:119], v[4:5], v[154:155]
	v_mul_f64_e32 v[126:127], v[6:7], v[154:155]
	s_wait_loadcnt_dscnt 0x200
	v_mul_f64_e32 v[116:117], v[12:13], v[10:11]
	v_mul_f64_e32 v[10:11], v[14:15], v[10:11]
	v_add_f64_e32 v[22:23], v[124:125], v[122:123]
	v_add_f64_e32 v[112:113], v[112:113], v[128:129]
	v_fmac_f64_e32 v[118:119], v[6:7], v[152:153]
	v_fma_f64 v[120:121], v[4:5], v[152:153], -v[126:127]
	v_fmac_f64_e32 v[116:117], v[14:15], v[8:9]
	v_fma_f64 v[8:9], v[12:13], v[8:9], -v[10:11]
	v_add_f64_e32 v[122:123], v[22:23], v[20:21]
	v_add_f64_e32 v[112:113], v[112:113], v[114:115]
	ds_load_b128 v[4:7], v2 offset:1344
	ds_load_b128 v[20:23], v2 offset:1360
	s_wait_loadcnt_dscnt 0x101
	v_mul_f64_e32 v[2:3], v[4:5], v[142:143]
	v_mul_f64_e32 v[114:115], v[6:7], v[142:143]
	s_wait_loadcnt_dscnt 0x0
	v_mul_f64_e32 v[14:15], v[20:21], v[18:19]
	v_mul_f64_e32 v[18:19], v[22:23], v[18:19]
	v_add_f64_e32 v[10:11], v[122:123], v[120:121]
	v_add_f64_e32 v[12:13], v[112:113], v[118:119]
	v_fmac_f64_e32 v[2:3], v[6:7], v[140:141]
	v_fma_f64 v[4:5], v[4:5], v[140:141], -v[114:115]
	v_fmac_f64_e32 v[14:15], v[22:23], v[16:17]
	v_add_f64_e32 v[6:7], v[10:11], v[8:9]
	v_add_f64_e32 v[8:9], v[12:13], v[116:117]
	v_fma_f64 v[10:11], v[20:21], v[16:17], -v[18:19]
	s_delay_alu instid0(VALU_DEP_3) | instskip(NEXT) | instid1(VALU_DEP_3)
	v_add_f64_e32 v[4:5], v[6:7], v[4:5]
	v_add_f64_e32 v[2:3], v[8:9], v[2:3]
	s_delay_alu instid0(VALU_DEP_2) | instskip(NEXT) | instid1(VALU_DEP_2)
	v_add_f64_e32 v[4:5], v[4:5], v[10:11]
	v_add_f64_e32 v[6:7], v[2:3], v[14:15]
	s_delay_alu instid0(VALU_DEP_2) | instskip(NEXT) | instid1(VALU_DEP_2)
	v_add_f64_e64 v[2:3], v[144:145], -v[4:5]
	v_add_f64_e64 v[4:5], v[146:147], -v[6:7]
	scratch_store_b128 off, v[2:5], off offset:224
	s_wait_xcnt 0x0
	v_cmpx_lt_u32_e32 13, v1
	s_cbranch_execz .LBB106_245
; %bb.244:
	scratch_load_b128 v[2:5], off, s46
	v_mov_b32_e32 v6, 0
	s_delay_alu instid0(VALU_DEP_1)
	v_dual_mov_b32 v7, v6 :: v_dual_mov_b32 v8, v6
	v_mov_b32_e32 v9, v6
	scratch_store_b128 off, v[6:9], off offset:208
	s_wait_loadcnt 0x0
	ds_store_b128 v110, v[2:5]
.LBB106_245:
	s_wait_xcnt 0x0
	s_or_b32 exec_lo, exec_lo, s2
	s_wait_storecnt_dscnt 0x0
	s_barrier_signal -1
	s_barrier_wait -1
	s_clause 0x9
	scratch_load_b128 v[4:7], off, off offset:224
	scratch_load_b128 v[8:11], off, off offset:240
	;; [unrolled: 1-line block ×10, first 2 shown]
	v_mov_b32_e32 v2, 0
	s_mov_b32 s2, exec_lo
	ds_load_b128 v[132:135], v2 offset:912
	s_clause 0x2
	scratch_load_b128 v[136:139], off, off offset:384
	scratch_load_b128 v[140:143], off, off offset:208
	scratch_load_b128 v[148:151], off, off offset:400
	s_wait_loadcnt_dscnt 0xc00
	v_mul_f64_e32 v[152:153], v[134:135], v[6:7]
	v_mul_f64_e32 v[156:157], v[132:133], v[6:7]
	ds_load_b128 v[144:147], v2 offset:928
	v_fma_f64 v[160:161], v[132:133], v[4:5], -v[152:153]
	v_fmac_f64_e32 v[156:157], v[134:135], v[4:5]
	ds_load_b128 v[4:7], v2 offset:944
	s_wait_loadcnt_dscnt 0xb01
	v_mul_f64_e32 v[158:159], v[144:145], v[10:11]
	v_mul_f64_e32 v[10:11], v[146:147], v[10:11]
	scratch_load_b128 v[132:135], off, off offset:416
	ds_load_b128 v[152:155], v2 offset:960
	s_wait_loadcnt_dscnt 0xb01
	v_mul_f64_e32 v[162:163], v[4:5], v[14:15]
	v_mul_f64_e32 v[14:15], v[6:7], v[14:15]
	v_add_f64_e32 v[156:157], 0, v[156:157]
	v_fmac_f64_e32 v[158:159], v[146:147], v[8:9]
	v_fma_f64 v[144:145], v[144:145], v[8:9], -v[10:11]
	v_add_f64_e32 v[146:147], 0, v[160:161]
	scratch_load_b128 v[8:11], off, off offset:432
	v_fmac_f64_e32 v[162:163], v[6:7], v[12:13]
	v_fma_f64 v[164:165], v[4:5], v[12:13], -v[14:15]
	ds_load_b128 v[4:7], v2 offset:976
	s_wait_loadcnt_dscnt 0xb01
	v_mul_f64_e32 v[160:161], v[152:153], v[18:19]
	v_mul_f64_e32 v[18:19], v[154:155], v[18:19]
	scratch_load_b128 v[12:15], off, off offset:448
	v_add_f64_e32 v[156:157], v[156:157], v[158:159]
	v_add_f64_e32 v[166:167], v[146:147], v[144:145]
	ds_load_b128 v[144:147], v2 offset:992
	s_wait_loadcnt_dscnt 0xb01
	v_mul_f64_e32 v[158:159], v[4:5], v[22:23]
	v_mul_f64_e32 v[22:23], v[6:7], v[22:23]
	v_fmac_f64_e32 v[160:161], v[154:155], v[16:17]
	v_fma_f64 v[152:153], v[152:153], v[16:17], -v[18:19]
	scratch_load_b128 v[16:19], off, off offset:464
	v_add_f64_e32 v[156:157], v[156:157], v[162:163]
	v_add_f64_e32 v[154:155], v[166:167], v[164:165]
	v_fmac_f64_e32 v[158:159], v[6:7], v[20:21]
	v_fma_f64 v[164:165], v[4:5], v[20:21], -v[22:23]
	ds_load_b128 v[4:7], v2 offset:1008
	s_wait_loadcnt_dscnt 0xb01
	v_mul_f64_e32 v[162:163], v[144:145], v[114:115]
	v_mul_f64_e32 v[114:115], v[146:147], v[114:115]
	scratch_load_b128 v[20:23], off, off offset:480
	v_add_f64_e32 v[156:157], v[156:157], v[160:161]
	s_wait_loadcnt_dscnt 0xb00
	v_mul_f64_e32 v[160:161], v[4:5], v[118:119]
	v_add_f64_e32 v[166:167], v[154:155], v[152:153]
	v_mul_f64_e32 v[118:119], v[6:7], v[118:119]
	ds_load_b128 v[152:155], v2 offset:1024
	v_fmac_f64_e32 v[162:163], v[146:147], v[112:113]
	v_fma_f64 v[144:145], v[144:145], v[112:113], -v[114:115]
	scratch_load_b128 v[112:115], off, off offset:496
	v_add_f64_e32 v[156:157], v[156:157], v[158:159]
	v_fmac_f64_e32 v[160:161], v[6:7], v[116:117]
	v_add_f64_e32 v[146:147], v[166:167], v[164:165]
	v_fma_f64 v[164:165], v[4:5], v[116:117], -v[118:119]
	ds_load_b128 v[4:7], v2 offset:1040
	s_wait_loadcnt_dscnt 0xb01
	v_mul_f64_e32 v[158:159], v[152:153], v[122:123]
	v_mul_f64_e32 v[122:123], v[154:155], v[122:123]
	scratch_load_b128 v[116:119], off, off offset:512
	v_add_f64_e32 v[156:157], v[156:157], v[162:163]
	s_wait_loadcnt_dscnt 0xb00
	v_mul_f64_e32 v[162:163], v[4:5], v[126:127]
	v_add_f64_e32 v[166:167], v[146:147], v[144:145]
	v_mul_f64_e32 v[126:127], v[6:7], v[126:127]
	ds_load_b128 v[144:147], v2 offset:1056
	v_fmac_f64_e32 v[158:159], v[154:155], v[120:121]
	v_fma_f64 v[152:153], v[152:153], v[120:121], -v[122:123]
	scratch_load_b128 v[120:123], off, off offset:528
	v_add_f64_e32 v[156:157], v[156:157], v[160:161]
	v_fmac_f64_e32 v[162:163], v[6:7], v[124:125]
	v_add_f64_e32 v[154:155], v[166:167], v[164:165]
	;; [unrolled: 18-line block ×3, first 2 shown]
	v_fma_f64 v[164:165], v[4:5], v[136:137], -v[138:139]
	ds_load_b128 v[4:7], v2 offset:1104
	s_wait_loadcnt_dscnt 0xa01
	v_mul_f64_e32 v[162:163], v[152:153], v[150:151]
	v_mul_f64_e32 v[150:151], v[154:155], v[150:151]
	scratch_load_b128 v[136:139], off, off offset:576
	v_add_f64_e32 v[156:157], v[156:157], v[160:161]
	v_add_f64_e32 v[166:167], v[146:147], v[144:145]
	s_wait_loadcnt_dscnt 0xa00
	v_mul_f64_e32 v[160:161], v[4:5], v[134:135]
	v_mul_f64_e32 v[134:135], v[6:7], v[134:135]
	v_fmac_f64_e32 v[162:163], v[154:155], v[148:149]
	v_fma_f64 v[152:153], v[152:153], v[148:149], -v[150:151]
	ds_load_b128 v[144:147], v2 offset:1120
	scratch_load_b128 v[148:151], off, off offset:592
	v_add_f64_e32 v[156:157], v[156:157], v[158:159]
	v_add_f64_e32 v[154:155], v[166:167], v[164:165]
	v_fmac_f64_e32 v[160:161], v[6:7], v[132:133]
	v_fma_f64 v[164:165], v[4:5], v[132:133], -v[134:135]
	ds_load_b128 v[4:7], v2 offset:1136
	s_wait_loadcnt_dscnt 0xa01
	v_mul_f64_e32 v[158:159], v[144:145], v[10:11]
	v_mul_f64_e32 v[10:11], v[146:147], v[10:11]
	scratch_load_b128 v[132:135], off, off offset:608
	v_add_f64_e32 v[156:157], v[156:157], v[162:163]
	s_wait_loadcnt_dscnt 0xa00
	v_mul_f64_e32 v[162:163], v[4:5], v[14:15]
	v_add_f64_e32 v[166:167], v[154:155], v[152:153]
	v_mul_f64_e32 v[14:15], v[6:7], v[14:15]
	ds_load_b128 v[152:155], v2 offset:1152
	v_fmac_f64_e32 v[158:159], v[146:147], v[8:9]
	v_fma_f64 v[144:145], v[144:145], v[8:9], -v[10:11]
	scratch_load_b128 v[8:11], off, off offset:624
	v_add_f64_e32 v[156:157], v[156:157], v[160:161]
	v_fmac_f64_e32 v[162:163], v[6:7], v[12:13]
	v_add_f64_e32 v[146:147], v[166:167], v[164:165]
	v_fma_f64 v[164:165], v[4:5], v[12:13], -v[14:15]
	ds_load_b128 v[4:7], v2 offset:1168
	s_wait_loadcnt_dscnt 0xa01
	v_mul_f64_e32 v[160:161], v[152:153], v[18:19]
	v_mul_f64_e32 v[18:19], v[154:155], v[18:19]
	scratch_load_b128 v[12:15], off, off offset:640
	v_add_f64_e32 v[156:157], v[156:157], v[158:159]
	s_wait_loadcnt_dscnt 0xa00
	v_mul_f64_e32 v[158:159], v[4:5], v[22:23]
	v_add_f64_e32 v[166:167], v[146:147], v[144:145]
	v_mul_f64_e32 v[22:23], v[6:7], v[22:23]
	ds_load_b128 v[144:147], v2 offset:1184
	v_fmac_f64_e32 v[160:161], v[154:155], v[16:17]
	v_fma_f64 v[152:153], v[152:153], v[16:17], -v[18:19]
	scratch_load_b128 v[16:19], off, off offset:656
	v_add_f64_e32 v[156:157], v[156:157], v[162:163]
	v_fmac_f64_e32 v[158:159], v[6:7], v[20:21]
	v_add_f64_e32 v[154:155], v[166:167], v[164:165]
	v_fma_f64 v[164:165], v[4:5], v[20:21], -v[22:23]
	ds_load_b128 v[4:7], v2 offset:1200
	s_wait_loadcnt_dscnt 0xa01
	v_mul_f64_e32 v[162:163], v[144:145], v[114:115]
	v_mul_f64_e32 v[114:115], v[146:147], v[114:115]
	scratch_load_b128 v[20:23], off, off offset:672
	v_add_f64_e32 v[156:157], v[156:157], v[160:161]
	s_wait_loadcnt_dscnt 0xa00
	v_mul_f64_e32 v[160:161], v[4:5], v[118:119]
	v_add_f64_e32 v[166:167], v[154:155], v[152:153]
	v_mul_f64_e32 v[118:119], v[6:7], v[118:119]
	ds_load_b128 v[152:155], v2 offset:1216
	v_fmac_f64_e32 v[162:163], v[146:147], v[112:113]
	v_fma_f64 v[112:113], v[144:145], v[112:113], -v[114:115]
	s_wait_loadcnt_dscnt 0x900
	v_mul_f64_e32 v[146:147], v[152:153], v[122:123]
	v_mul_f64_e32 v[122:123], v[154:155], v[122:123]
	v_add_f64_e32 v[144:145], v[156:157], v[158:159]
	v_fmac_f64_e32 v[160:161], v[6:7], v[116:117]
	v_add_f64_e32 v[114:115], v[166:167], v[164:165]
	v_fma_f64 v[116:117], v[4:5], v[116:117], -v[118:119]
	v_fmac_f64_e32 v[146:147], v[154:155], v[120:121]
	v_fma_f64 v[120:121], v[152:153], v[120:121], -v[122:123]
	v_add_f64_e32 v[144:145], v[144:145], v[162:163]
	v_add_f64_e32 v[118:119], v[114:115], v[112:113]
	ds_load_b128 v[4:7], v2 offset:1232
	ds_load_b128 v[112:115], v2 offset:1248
	s_wait_loadcnt_dscnt 0x801
	v_mul_f64_e32 v[156:157], v[4:5], v[126:127]
	v_mul_f64_e32 v[126:127], v[6:7], v[126:127]
	s_wait_loadcnt_dscnt 0x700
	v_mul_f64_e32 v[122:123], v[112:113], v[130:131]
	v_mul_f64_e32 v[130:131], v[114:115], v[130:131]
	v_add_f64_e32 v[116:117], v[118:119], v[116:117]
	v_add_f64_e32 v[118:119], v[144:145], v[160:161]
	v_fmac_f64_e32 v[156:157], v[6:7], v[124:125]
	v_fma_f64 v[124:125], v[4:5], v[124:125], -v[126:127]
	v_fmac_f64_e32 v[122:123], v[114:115], v[128:129]
	v_fma_f64 v[112:113], v[112:113], v[128:129], -v[130:131]
	v_add_f64_e32 v[120:121], v[116:117], v[120:121]
	v_add_f64_e32 v[126:127], v[118:119], v[146:147]
	ds_load_b128 v[4:7], v2 offset:1264
	ds_load_b128 v[116:119], v2 offset:1280
	s_wait_loadcnt_dscnt 0x601
	v_mul_f64_e32 v[144:145], v[4:5], v[138:139]
	v_mul_f64_e32 v[138:139], v[6:7], v[138:139]
	v_add_f64_e32 v[114:115], v[120:121], v[124:125]
	v_add_f64_e32 v[120:121], v[126:127], v[156:157]
	s_wait_loadcnt_dscnt 0x500
	v_mul_f64_e32 v[124:125], v[116:117], v[150:151]
	v_mul_f64_e32 v[126:127], v[118:119], v[150:151]
	v_fmac_f64_e32 v[144:145], v[6:7], v[136:137]
	v_fma_f64 v[128:129], v[4:5], v[136:137], -v[138:139]
	v_add_f64_e32 v[130:131], v[114:115], v[112:113]
	v_add_f64_e32 v[120:121], v[120:121], v[122:123]
	ds_load_b128 v[4:7], v2 offset:1296
	ds_load_b128 v[112:115], v2 offset:1312
	v_fmac_f64_e32 v[124:125], v[118:119], v[148:149]
	v_fma_f64 v[116:117], v[116:117], v[148:149], -v[126:127]
	s_wait_loadcnt_dscnt 0x401
	v_mul_f64_e32 v[122:123], v[4:5], v[134:135]
	v_mul_f64_e32 v[134:135], v[6:7], v[134:135]
	s_wait_loadcnt_dscnt 0x300
	v_mul_f64_e32 v[126:127], v[112:113], v[10:11]
	v_mul_f64_e32 v[10:11], v[114:115], v[10:11]
	v_add_f64_e32 v[118:119], v[130:131], v[128:129]
	v_add_f64_e32 v[120:121], v[120:121], v[144:145]
	v_fmac_f64_e32 v[122:123], v[6:7], v[132:133]
	v_fma_f64 v[128:129], v[4:5], v[132:133], -v[134:135]
	v_fmac_f64_e32 v[126:127], v[114:115], v[8:9]
	v_fma_f64 v[8:9], v[112:113], v[8:9], -v[10:11]
	v_add_f64_e32 v[130:131], v[118:119], v[116:117]
	v_add_f64_e32 v[120:121], v[120:121], v[124:125]
	ds_load_b128 v[4:7], v2 offset:1328
	ds_load_b128 v[116:119], v2 offset:1344
	s_wait_loadcnt_dscnt 0x201
	v_mul_f64_e32 v[124:125], v[4:5], v[14:15]
	v_mul_f64_e32 v[14:15], v[6:7], v[14:15]
	s_wait_loadcnt_dscnt 0x100
	v_mul_f64_e32 v[114:115], v[116:117], v[18:19]
	v_mul_f64_e32 v[18:19], v[118:119], v[18:19]
	v_add_f64_e32 v[10:11], v[130:131], v[128:129]
	v_add_f64_e32 v[112:113], v[120:121], v[122:123]
	v_fmac_f64_e32 v[124:125], v[6:7], v[12:13]
	v_fma_f64 v[12:13], v[4:5], v[12:13], -v[14:15]
	ds_load_b128 v[4:7], v2 offset:1360
	v_fmac_f64_e32 v[114:115], v[118:119], v[16:17]
	v_fma_f64 v[16:17], v[116:117], v[16:17], -v[18:19]
	v_add_f64_e32 v[8:9], v[10:11], v[8:9]
	v_add_f64_e32 v[10:11], v[112:113], v[126:127]
	s_wait_loadcnt_dscnt 0x0
	v_mul_f64_e32 v[14:15], v[4:5], v[22:23]
	v_mul_f64_e32 v[22:23], v[6:7], v[22:23]
	s_delay_alu instid0(VALU_DEP_4) | instskip(NEXT) | instid1(VALU_DEP_4)
	v_add_f64_e32 v[8:9], v[8:9], v[12:13]
	v_add_f64_e32 v[10:11], v[10:11], v[124:125]
	s_delay_alu instid0(VALU_DEP_4) | instskip(NEXT) | instid1(VALU_DEP_4)
	v_fmac_f64_e32 v[14:15], v[6:7], v[20:21]
	v_fma_f64 v[4:5], v[4:5], v[20:21], -v[22:23]
	s_delay_alu instid0(VALU_DEP_4) | instskip(NEXT) | instid1(VALU_DEP_4)
	v_add_f64_e32 v[6:7], v[8:9], v[16:17]
	v_add_f64_e32 v[8:9], v[10:11], v[114:115]
	s_delay_alu instid0(VALU_DEP_2) | instskip(NEXT) | instid1(VALU_DEP_2)
	v_add_f64_e32 v[4:5], v[6:7], v[4:5]
	v_add_f64_e32 v[6:7], v[8:9], v[14:15]
	s_delay_alu instid0(VALU_DEP_2) | instskip(NEXT) | instid1(VALU_DEP_2)
	v_add_f64_e64 v[4:5], v[140:141], -v[4:5]
	v_add_f64_e64 v[6:7], v[142:143], -v[6:7]
	scratch_store_b128 off, v[4:7], off offset:208
	s_wait_xcnt 0x0
	v_cmpx_lt_u32_e32 12, v1
	s_cbranch_execz .LBB106_247
; %bb.246:
	scratch_load_b128 v[6:9], off, s47
	v_dual_mov_b32 v3, v2 :: v_dual_mov_b32 v4, v2
	v_mov_b32_e32 v5, v2
	scratch_store_b128 off, v[2:5], off offset:192
	s_wait_loadcnt 0x0
	ds_store_b128 v110, v[6:9]
.LBB106_247:
	s_wait_xcnt 0x0
	s_or_b32 exec_lo, exec_lo, s2
	s_wait_storecnt_dscnt 0x0
	s_barrier_signal -1
	s_barrier_wait -1
	s_clause 0x9
	scratch_load_b128 v[4:7], off, off offset:208
	scratch_load_b128 v[8:11], off, off offset:224
	;; [unrolled: 1-line block ×10, first 2 shown]
	ds_load_b128 v[132:135], v2 offset:896
	ds_load_b128 v[140:143], v2 offset:912
	s_clause 0x2
	scratch_load_b128 v[136:139], off, off offset:368
	scratch_load_b128 v[144:147], off, off offset:192
	;; [unrolled: 1-line block ×3, first 2 shown]
	s_mov_b32 s2, exec_lo
	s_wait_loadcnt_dscnt 0xc01
	v_mul_f64_e32 v[152:153], v[134:135], v[6:7]
	v_mul_f64_e32 v[156:157], v[132:133], v[6:7]
	s_wait_loadcnt_dscnt 0xb00
	v_mul_f64_e32 v[158:159], v[140:141], v[10:11]
	v_mul_f64_e32 v[10:11], v[142:143], v[10:11]
	s_delay_alu instid0(VALU_DEP_4) | instskip(NEXT) | instid1(VALU_DEP_4)
	v_fma_f64 v[160:161], v[132:133], v[4:5], -v[152:153]
	v_fmac_f64_e32 v[156:157], v[134:135], v[4:5]
	ds_load_b128 v[4:7], v2 offset:928
	ds_load_b128 v[132:135], v2 offset:944
	scratch_load_b128 v[152:155], off, off offset:400
	v_fmac_f64_e32 v[158:159], v[142:143], v[8:9]
	v_fma_f64 v[140:141], v[140:141], v[8:9], -v[10:11]
	scratch_load_b128 v[8:11], off, off offset:416
	s_wait_loadcnt_dscnt 0xc01
	v_mul_f64_e32 v[162:163], v[4:5], v[14:15]
	v_mul_f64_e32 v[14:15], v[6:7], v[14:15]
	v_add_f64_e32 v[142:143], 0, v[160:161]
	v_add_f64_e32 v[156:157], 0, v[156:157]
	s_wait_loadcnt_dscnt 0xb00
	v_mul_f64_e32 v[160:161], v[132:133], v[18:19]
	v_mul_f64_e32 v[18:19], v[134:135], v[18:19]
	v_fmac_f64_e32 v[162:163], v[6:7], v[12:13]
	v_fma_f64 v[164:165], v[4:5], v[12:13], -v[14:15]
	ds_load_b128 v[4:7], v2 offset:960
	ds_load_b128 v[12:15], v2 offset:976
	v_add_f64_e32 v[166:167], v[142:143], v[140:141]
	v_add_f64_e32 v[156:157], v[156:157], v[158:159]
	scratch_load_b128 v[140:143], off, off offset:432
	v_fmac_f64_e32 v[160:161], v[134:135], v[16:17]
	v_fma_f64 v[132:133], v[132:133], v[16:17], -v[18:19]
	scratch_load_b128 v[16:19], off, off offset:448
	s_wait_loadcnt_dscnt 0xc01
	v_mul_f64_e32 v[158:159], v[4:5], v[22:23]
	v_mul_f64_e32 v[22:23], v[6:7], v[22:23]
	v_add_f64_e32 v[134:135], v[166:167], v[164:165]
	v_add_f64_e32 v[156:157], v[156:157], v[162:163]
	s_wait_loadcnt_dscnt 0xb00
	v_mul_f64_e32 v[162:163], v[12:13], v[114:115]
	v_mul_f64_e32 v[114:115], v[14:15], v[114:115]
	v_fmac_f64_e32 v[158:159], v[6:7], v[20:21]
	v_fma_f64 v[164:165], v[4:5], v[20:21], -v[22:23]
	ds_load_b128 v[4:7], v2 offset:992
	ds_load_b128 v[20:23], v2 offset:1008
	v_add_f64_e32 v[166:167], v[134:135], v[132:133]
	v_add_f64_e32 v[156:157], v[156:157], v[160:161]
	scratch_load_b128 v[132:135], off, off offset:464
	s_wait_loadcnt_dscnt 0xb01
	v_mul_f64_e32 v[160:161], v[4:5], v[118:119]
	v_mul_f64_e32 v[118:119], v[6:7], v[118:119]
	v_fmac_f64_e32 v[162:163], v[14:15], v[112:113]
	v_fma_f64 v[112:113], v[12:13], v[112:113], -v[114:115]
	scratch_load_b128 v[12:15], off, off offset:480
	v_add_f64_e32 v[114:115], v[166:167], v[164:165]
	v_add_f64_e32 v[156:157], v[156:157], v[158:159]
	s_wait_loadcnt_dscnt 0xb00
	v_mul_f64_e32 v[158:159], v[20:21], v[122:123]
	v_mul_f64_e32 v[122:123], v[22:23], v[122:123]
	v_fmac_f64_e32 v[160:161], v[6:7], v[116:117]
	v_fma_f64 v[164:165], v[4:5], v[116:117], -v[118:119]
	v_add_f64_e32 v[166:167], v[114:115], v[112:113]
	v_add_f64_e32 v[156:157], v[156:157], v[162:163]
	ds_load_b128 v[4:7], v2 offset:1024
	ds_load_b128 v[112:115], v2 offset:1040
	scratch_load_b128 v[116:119], off, off offset:496
	v_fmac_f64_e32 v[158:159], v[22:23], v[120:121]
	v_fma_f64 v[120:121], v[20:21], v[120:121], -v[122:123]
	scratch_load_b128 v[20:23], off, off offset:512
	s_wait_loadcnt_dscnt 0xc01
	v_mul_f64_e32 v[162:163], v[4:5], v[126:127]
	v_mul_f64_e32 v[126:127], v[6:7], v[126:127]
	v_add_f64_e32 v[122:123], v[166:167], v[164:165]
	v_add_f64_e32 v[156:157], v[156:157], v[160:161]
	s_wait_loadcnt_dscnt 0xb00
	v_mul_f64_e32 v[160:161], v[112:113], v[130:131]
	v_mul_f64_e32 v[130:131], v[114:115], v[130:131]
	v_fmac_f64_e32 v[162:163], v[6:7], v[124:125]
	v_fma_f64 v[164:165], v[4:5], v[124:125], -v[126:127]
	v_add_f64_e32 v[166:167], v[122:123], v[120:121]
	v_add_f64_e32 v[156:157], v[156:157], v[158:159]
	ds_load_b128 v[4:7], v2 offset:1056
	ds_load_b128 v[120:123], v2 offset:1072
	scratch_load_b128 v[124:127], off, off offset:528
	v_fmac_f64_e32 v[160:161], v[114:115], v[128:129]
	v_fma_f64 v[128:129], v[112:113], v[128:129], -v[130:131]
	scratch_load_b128 v[112:115], off, off offset:544
	s_wait_loadcnt_dscnt 0xc01
	v_mul_f64_e32 v[158:159], v[4:5], v[138:139]
	v_mul_f64_e32 v[138:139], v[6:7], v[138:139]
	;; [unrolled: 18-line block ×5, first 2 shown]
	v_add_f64_e32 v[150:151], v[166:167], v[164:165]
	v_add_f64_e32 v[156:157], v[156:157], v[162:163]
	s_wait_loadcnt_dscnt 0xa00
	v_mul_f64_e32 v[162:163], v[128:129], v[14:15]
	v_mul_f64_e32 v[14:15], v[130:131], v[14:15]
	v_fmac_f64_e32 v[158:159], v[6:7], v[132:133]
	v_fma_f64 v[164:165], v[4:5], v[132:133], -v[134:135]
	ds_load_b128 v[4:7], v2 offset:1184
	ds_load_b128 v[132:135], v2 offset:1200
	v_add_f64_e32 v[166:167], v[150:151], v[148:149]
	v_add_f64_e32 v[156:157], v[156:157], v[160:161]
	scratch_load_b128 v[148:151], off, off offset:656
	v_fmac_f64_e32 v[162:163], v[130:131], v[12:13]
	v_fma_f64 v[128:129], v[128:129], v[12:13], -v[14:15]
	scratch_load_b128 v[12:15], off, off offset:672
	s_wait_loadcnt_dscnt 0xb01
	v_mul_f64_e32 v[160:161], v[4:5], v[118:119]
	v_mul_f64_e32 v[118:119], v[6:7], v[118:119]
	v_add_f64_e32 v[130:131], v[166:167], v[164:165]
	v_add_f64_e32 v[156:157], v[156:157], v[158:159]
	s_wait_loadcnt_dscnt 0xa00
	v_mul_f64_e32 v[158:159], v[132:133], v[22:23]
	v_mul_f64_e32 v[22:23], v[134:135], v[22:23]
	v_fmac_f64_e32 v[160:161], v[6:7], v[116:117]
	v_fma_f64 v[164:165], v[4:5], v[116:117], -v[118:119]
	ds_load_b128 v[4:7], v2 offset:1216
	ds_load_b128 v[116:119], v2 offset:1232
	v_add_f64_e32 v[128:129], v[130:131], v[128:129]
	v_add_f64_e32 v[130:131], v[156:157], v[162:163]
	v_fmac_f64_e32 v[158:159], v[134:135], v[20:21]
	s_wait_loadcnt_dscnt 0x901
	v_mul_f64_e32 v[156:157], v[4:5], v[126:127]
	v_mul_f64_e32 v[126:127], v[6:7], v[126:127]
	v_fma_f64 v[20:21], v[132:133], v[20:21], -v[22:23]
	v_add_f64_e32 v[22:23], v[128:129], v[164:165]
	v_add_f64_e32 v[128:129], v[130:131], v[160:161]
	s_wait_loadcnt_dscnt 0x800
	v_mul_f64_e32 v[130:131], v[116:117], v[114:115]
	v_mul_f64_e32 v[114:115], v[118:119], v[114:115]
	v_fmac_f64_e32 v[156:157], v[6:7], v[124:125]
	v_fma_f64 v[124:125], v[4:5], v[124:125], -v[126:127]
	v_add_f64_e32 v[126:127], v[22:23], v[20:21]
	v_add_f64_e32 v[128:129], v[128:129], v[158:159]
	ds_load_b128 v[4:7], v2 offset:1248
	ds_load_b128 v[20:23], v2 offset:1264
	v_fmac_f64_e32 v[130:131], v[118:119], v[112:113]
	v_fma_f64 v[112:113], v[116:117], v[112:113], -v[114:115]
	s_wait_loadcnt_dscnt 0x701
	v_mul_f64_e32 v[132:133], v[4:5], v[138:139]
	v_mul_f64_e32 v[134:135], v[6:7], v[138:139]
	s_wait_loadcnt_dscnt 0x600
	v_mul_f64_e32 v[118:119], v[20:21], v[122:123]
	v_mul_f64_e32 v[122:123], v[22:23], v[122:123]
	v_add_f64_e32 v[114:115], v[126:127], v[124:125]
	v_add_f64_e32 v[116:117], v[128:129], v[156:157]
	v_fmac_f64_e32 v[132:133], v[6:7], v[136:137]
	v_fma_f64 v[124:125], v[4:5], v[136:137], -v[134:135]
	v_fmac_f64_e32 v[118:119], v[22:23], v[120:121]
	v_fma_f64 v[20:21], v[20:21], v[120:121], -v[122:123]
	v_add_f64_e32 v[126:127], v[114:115], v[112:113]
	v_add_f64_e32 v[116:117], v[116:117], v[130:131]
	ds_load_b128 v[4:7], v2 offset:1280
	ds_load_b128 v[112:115], v2 offset:1296
	s_wait_loadcnt_dscnt 0x501
	v_mul_f64_e32 v[128:129], v[4:5], v[154:155]
	v_mul_f64_e32 v[130:131], v[6:7], v[154:155]
	s_wait_loadcnt_dscnt 0x400
	v_mul_f64_e32 v[120:121], v[112:113], v[10:11]
	v_mul_f64_e32 v[10:11], v[114:115], v[10:11]
	v_add_f64_e32 v[22:23], v[126:127], v[124:125]
	v_add_f64_e32 v[116:117], v[116:117], v[132:133]
	v_fmac_f64_e32 v[128:129], v[6:7], v[152:153]
	v_fma_f64 v[122:123], v[4:5], v[152:153], -v[130:131]
	v_fmac_f64_e32 v[120:121], v[114:115], v[8:9]
	v_fma_f64 v[8:9], v[112:113], v[8:9], -v[10:11]
	v_add_f64_e32 v[124:125], v[22:23], v[20:21]
	v_add_f64_e32 v[116:117], v[116:117], v[118:119]
	ds_load_b128 v[4:7], v2 offset:1312
	ds_load_b128 v[20:23], v2 offset:1328
	;; [unrolled: 16-line block ×3, first 2 shown]
	s_wait_loadcnt_dscnt 0x101
	v_mul_f64_e32 v[2:3], v[4:5], v[150:151]
	v_mul_f64_e32 v[120:121], v[6:7], v[150:151]
	s_wait_loadcnt_dscnt 0x0
	v_mul_f64_e32 v[22:23], v[8:9], v[14:15]
	v_mul_f64_e32 v[14:15], v[10:11], v[14:15]
	v_add_f64_e32 v[18:19], v[122:123], v[116:117]
	v_add_f64_e32 v[20:21], v[112:113], v[118:119]
	v_fmac_f64_e32 v[2:3], v[6:7], v[148:149]
	v_fma_f64 v[4:5], v[4:5], v[148:149], -v[120:121]
	v_fmac_f64_e32 v[22:23], v[10:11], v[12:13]
	v_fma_f64 v[8:9], v[8:9], v[12:13], -v[14:15]
	v_add_f64_e32 v[6:7], v[18:19], v[16:17]
	v_add_f64_e32 v[16:17], v[20:21], v[114:115]
	s_delay_alu instid0(VALU_DEP_2) | instskip(NEXT) | instid1(VALU_DEP_2)
	v_add_f64_e32 v[4:5], v[6:7], v[4:5]
	v_add_f64_e32 v[2:3], v[16:17], v[2:3]
	s_delay_alu instid0(VALU_DEP_2) | instskip(NEXT) | instid1(VALU_DEP_2)
	;; [unrolled: 3-line block ×3, first 2 shown]
	v_add_f64_e64 v[2:3], v[144:145], -v[4:5]
	v_add_f64_e64 v[4:5], v[146:147], -v[6:7]
	scratch_store_b128 off, v[2:5], off offset:192
	s_wait_xcnt 0x0
	v_cmpx_lt_u32_e32 11, v1
	s_cbranch_execz .LBB106_249
; %bb.248:
	scratch_load_b128 v[2:5], off, s48
	v_mov_b32_e32 v6, 0
	s_delay_alu instid0(VALU_DEP_1)
	v_dual_mov_b32 v7, v6 :: v_dual_mov_b32 v8, v6
	v_mov_b32_e32 v9, v6
	scratch_store_b128 off, v[6:9], off offset:176
	s_wait_loadcnt 0x0
	ds_store_b128 v110, v[2:5]
.LBB106_249:
	s_wait_xcnt 0x0
	s_or_b32 exec_lo, exec_lo, s2
	s_wait_storecnt_dscnt 0x0
	s_barrier_signal -1
	s_barrier_wait -1
	s_clause 0x9
	scratch_load_b128 v[4:7], off, off offset:192
	scratch_load_b128 v[8:11], off, off offset:208
	;; [unrolled: 1-line block ×10, first 2 shown]
	v_mov_b32_e32 v2, 0
	s_mov_b32 s2, exec_lo
	ds_load_b128 v[132:135], v2 offset:880
	s_clause 0x2
	scratch_load_b128 v[136:139], off, off offset:352
	scratch_load_b128 v[140:143], off, off offset:176
	;; [unrolled: 1-line block ×3, first 2 shown]
	s_wait_loadcnt_dscnt 0xc00
	v_mul_f64_e32 v[152:153], v[134:135], v[6:7]
	v_mul_f64_e32 v[156:157], v[132:133], v[6:7]
	ds_load_b128 v[144:147], v2 offset:896
	v_fma_f64 v[160:161], v[132:133], v[4:5], -v[152:153]
	v_fmac_f64_e32 v[156:157], v[134:135], v[4:5]
	ds_load_b128 v[4:7], v2 offset:912
	s_wait_loadcnt_dscnt 0xb01
	v_mul_f64_e32 v[158:159], v[144:145], v[10:11]
	v_mul_f64_e32 v[10:11], v[146:147], v[10:11]
	scratch_load_b128 v[132:135], off, off offset:384
	ds_load_b128 v[152:155], v2 offset:928
	s_wait_loadcnt_dscnt 0xb01
	v_mul_f64_e32 v[162:163], v[4:5], v[14:15]
	v_mul_f64_e32 v[14:15], v[6:7], v[14:15]
	v_add_f64_e32 v[156:157], 0, v[156:157]
	v_fmac_f64_e32 v[158:159], v[146:147], v[8:9]
	v_fma_f64 v[144:145], v[144:145], v[8:9], -v[10:11]
	v_add_f64_e32 v[146:147], 0, v[160:161]
	scratch_load_b128 v[8:11], off, off offset:400
	v_fmac_f64_e32 v[162:163], v[6:7], v[12:13]
	v_fma_f64 v[164:165], v[4:5], v[12:13], -v[14:15]
	ds_load_b128 v[4:7], v2 offset:944
	s_wait_loadcnt_dscnt 0xb01
	v_mul_f64_e32 v[160:161], v[152:153], v[18:19]
	v_mul_f64_e32 v[18:19], v[154:155], v[18:19]
	scratch_load_b128 v[12:15], off, off offset:416
	v_add_f64_e32 v[156:157], v[156:157], v[158:159]
	v_add_f64_e32 v[166:167], v[146:147], v[144:145]
	ds_load_b128 v[144:147], v2 offset:960
	s_wait_loadcnt_dscnt 0xb01
	v_mul_f64_e32 v[158:159], v[4:5], v[22:23]
	v_mul_f64_e32 v[22:23], v[6:7], v[22:23]
	v_fmac_f64_e32 v[160:161], v[154:155], v[16:17]
	v_fma_f64 v[152:153], v[152:153], v[16:17], -v[18:19]
	scratch_load_b128 v[16:19], off, off offset:432
	v_add_f64_e32 v[156:157], v[156:157], v[162:163]
	v_add_f64_e32 v[154:155], v[166:167], v[164:165]
	v_fmac_f64_e32 v[158:159], v[6:7], v[20:21]
	v_fma_f64 v[164:165], v[4:5], v[20:21], -v[22:23]
	ds_load_b128 v[4:7], v2 offset:976
	s_wait_loadcnt_dscnt 0xb01
	v_mul_f64_e32 v[162:163], v[144:145], v[114:115]
	v_mul_f64_e32 v[114:115], v[146:147], v[114:115]
	scratch_load_b128 v[20:23], off, off offset:448
	v_add_f64_e32 v[156:157], v[156:157], v[160:161]
	s_wait_loadcnt_dscnt 0xb00
	v_mul_f64_e32 v[160:161], v[4:5], v[118:119]
	v_add_f64_e32 v[166:167], v[154:155], v[152:153]
	v_mul_f64_e32 v[118:119], v[6:7], v[118:119]
	ds_load_b128 v[152:155], v2 offset:992
	v_fmac_f64_e32 v[162:163], v[146:147], v[112:113]
	v_fma_f64 v[144:145], v[144:145], v[112:113], -v[114:115]
	scratch_load_b128 v[112:115], off, off offset:464
	v_add_f64_e32 v[156:157], v[156:157], v[158:159]
	v_fmac_f64_e32 v[160:161], v[6:7], v[116:117]
	v_add_f64_e32 v[146:147], v[166:167], v[164:165]
	v_fma_f64 v[164:165], v[4:5], v[116:117], -v[118:119]
	ds_load_b128 v[4:7], v2 offset:1008
	s_wait_loadcnt_dscnt 0xb01
	v_mul_f64_e32 v[158:159], v[152:153], v[122:123]
	v_mul_f64_e32 v[122:123], v[154:155], v[122:123]
	scratch_load_b128 v[116:119], off, off offset:480
	v_add_f64_e32 v[156:157], v[156:157], v[162:163]
	s_wait_loadcnt_dscnt 0xb00
	v_mul_f64_e32 v[162:163], v[4:5], v[126:127]
	v_add_f64_e32 v[166:167], v[146:147], v[144:145]
	v_mul_f64_e32 v[126:127], v[6:7], v[126:127]
	ds_load_b128 v[144:147], v2 offset:1024
	v_fmac_f64_e32 v[158:159], v[154:155], v[120:121]
	v_fma_f64 v[152:153], v[152:153], v[120:121], -v[122:123]
	scratch_load_b128 v[120:123], off, off offset:496
	v_add_f64_e32 v[156:157], v[156:157], v[160:161]
	v_fmac_f64_e32 v[162:163], v[6:7], v[124:125]
	v_add_f64_e32 v[154:155], v[166:167], v[164:165]
	;; [unrolled: 18-line block ×3, first 2 shown]
	v_fma_f64 v[164:165], v[4:5], v[136:137], -v[138:139]
	ds_load_b128 v[4:7], v2 offset:1072
	s_wait_loadcnt_dscnt 0xa01
	v_mul_f64_e32 v[162:163], v[152:153], v[150:151]
	v_mul_f64_e32 v[150:151], v[154:155], v[150:151]
	scratch_load_b128 v[136:139], off, off offset:544
	v_add_f64_e32 v[156:157], v[156:157], v[160:161]
	v_add_f64_e32 v[166:167], v[146:147], v[144:145]
	s_wait_loadcnt_dscnt 0xa00
	v_mul_f64_e32 v[160:161], v[4:5], v[134:135]
	v_mul_f64_e32 v[134:135], v[6:7], v[134:135]
	v_fmac_f64_e32 v[162:163], v[154:155], v[148:149]
	v_fma_f64 v[152:153], v[152:153], v[148:149], -v[150:151]
	ds_load_b128 v[144:147], v2 offset:1088
	scratch_load_b128 v[148:151], off, off offset:560
	v_add_f64_e32 v[156:157], v[156:157], v[158:159]
	v_add_f64_e32 v[154:155], v[166:167], v[164:165]
	v_fmac_f64_e32 v[160:161], v[6:7], v[132:133]
	v_fma_f64 v[164:165], v[4:5], v[132:133], -v[134:135]
	ds_load_b128 v[4:7], v2 offset:1104
	s_wait_loadcnt_dscnt 0xa01
	v_mul_f64_e32 v[158:159], v[144:145], v[10:11]
	v_mul_f64_e32 v[10:11], v[146:147], v[10:11]
	scratch_load_b128 v[132:135], off, off offset:576
	v_add_f64_e32 v[156:157], v[156:157], v[162:163]
	s_wait_loadcnt_dscnt 0xa00
	v_mul_f64_e32 v[162:163], v[4:5], v[14:15]
	v_add_f64_e32 v[166:167], v[154:155], v[152:153]
	v_mul_f64_e32 v[14:15], v[6:7], v[14:15]
	ds_load_b128 v[152:155], v2 offset:1120
	v_fmac_f64_e32 v[158:159], v[146:147], v[8:9]
	v_fma_f64 v[144:145], v[144:145], v[8:9], -v[10:11]
	scratch_load_b128 v[8:11], off, off offset:592
	v_add_f64_e32 v[156:157], v[156:157], v[160:161]
	v_fmac_f64_e32 v[162:163], v[6:7], v[12:13]
	v_add_f64_e32 v[146:147], v[166:167], v[164:165]
	v_fma_f64 v[164:165], v[4:5], v[12:13], -v[14:15]
	ds_load_b128 v[4:7], v2 offset:1136
	s_wait_loadcnt_dscnt 0xa01
	v_mul_f64_e32 v[160:161], v[152:153], v[18:19]
	v_mul_f64_e32 v[18:19], v[154:155], v[18:19]
	scratch_load_b128 v[12:15], off, off offset:608
	v_add_f64_e32 v[156:157], v[156:157], v[158:159]
	s_wait_loadcnt_dscnt 0xa00
	v_mul_f64_e32 v[158:159], v[4:5], v[22:23]
	v_add_f64_e32 v[166:167], v[146:147], v[144:145]
	v_mul_f64_e32 v[22:23], v[6:7], v[22:23]
	ds_load_b128 v[144:147], v2 offset:1152
	v_fmac_f64_e32 v[160:161], v[154:155], v[16:17]
	v_fma_f64 v[152:153], v[152:153], v[16:17], -v[18:19]
	scratch_load_b128 v[16:19], off, off offset:624
	v_add_f64_e32 v[156:157], v[156:157], v[162:163]
	v_fmac_f64_e32 v[158:159], v[6:7], v[20:21]
	v_add_f64_e32 v[154:155], v[166:167], v[164:165]
	v_fma_f64 v[164:165], v[4:5], v[20:21], -v[22:23]
	ds_load_b128 v[4:7], v2 offset:1168
	s_wait_loadcnt_dscnt 0xa01
	v_mul_f64_e32 v[162:163], v[144:145], v[114:115]
	v_mul_f64_e32 v[114:115], v[146:147], v[114:115]
	scratch_load_b128 v[20:23], off, off offset:640
	v_add_f64_e32 v[156:157], v[156:157], v[160:161]
	s_wait_loadcnt_dscnt 0xa00
	v_mul_f64_e32 v[160:161], v[4:5], v[118:119]
	v_add_f64_e32 v[166:167], v[154:155], v[152:153]
	v_mul_f64_e32 v[118:119], v[6:7], v[118:119]
	ds_load_b128 v[152:155], v2 offset:1184
	v_fmac_f64_e32 v[162:163], v[146:147], v[112:113]
	v_fma_f64 v[144:145], v[144:145], v[112:113], -v[114:115]
	scratch_load_b128 v[112:115], off, off offset:656
	v_add_f64_e32 v[156:157], v[156:157], v[158:159]
	v_fmac_f64_e32 v[160:161], v[6:7], v[116:117]
	v_add_f64_e32 v[146:147], v[166:167], v[164:165]
	v_fma_f64 v[164:165], v[4:5], v[116:117], -v[118:119]
	ds_load_b128 v[4:7], v2 offset:1200
	s_wait_loadcnt_dscnt 0xa01
	v_mul_f64_e32 v[158:159], v[152:153], v[122:123]
	v_mul_f64_e32 v[122:123], v[154:155], v[122:123]
	scratch_load_b128 v[116:119], off, off offset:672
	v_add_f64_e32 v[156:157], v[156:157], v[162:163]
	s_wait_loadcnt_dscnt 0xa00
	v_mul_f64_e32 v[162:163], v[4:5], v[126:127]
	v_add_f64_e32 v[166:167], v[146:147], v[144:145]
	v_mul_f64_e32 v[126:127], v[6:7], v[126:127]
	ds_load_b128 v[144:147], v2 offset:1216
	v_fmac_f64_e32 v[158:159], v[154:155], v[120:121]
	v_fma_f64 v[120:121], v[152:153], v[120:121], -v[122:123]
	s_wait_loadcnt_dscnt 0x900
	v_mul_f64_e32 v[154:155], v[144:145], v[130:131]
	v_mul_f64_e32 v[130:131], v[146:147], v[130:131]
	v_add_f64_e32 v[152:153], v[156:157], v[160:161]
	v_fmac_f64_e32 v[162:163], v[6:7], v[124:125]
	v_add_f64_e32 v[122:123], v[166:167], v[164:165]
	v_fma_f64 v[124:125], v[4:5], v[124:125], -v[126:127]
	v_fmac_f64_e32 v[154:155], v[146:147], v[128:129]
	v_fma_f64 v[128:129], v[144:145], v[128:129], -v[130:131]
	v_add_f64_e32 v[152:153], v[152:153], v[158:159]
	v_add_f64_e32 v[126:127], v[122:123], v[120:121]
	ds_load_b128 v[4:7], v2 offset:1232
	ds_load_b128 v[120:123], v2 offset:1248
	s_wait_loadcnt_dscnt 0x801
	v_mul_f64_e32 v[156:157], v[4:5], v[138:139]
	v_mul_f64_e32 v[138:139], v[6:7], v[138:139]
	s_wait_loadcnt_dscnt 0x700
	v_mul_f64_e32 v[130:131], v[120:121], v[150:151]
	v_mul_f64_e32 v[144:145], v[122:123], v[150:151]
	v_add_f64_e32 v[124:125], v[126:127], v[124:125]
	v_add_f64_e32 v[126:127], v[152:153], v[162:163]
	v_fmac_f64_e32 v[156:157], v[6:7], v[136:137]
	v_fma_f64 v[136:137], v[4:5], v[136:137], -v[138:139]
	v_fmac_f64_e32 v[130:131], v[122:123], v[148:149]
	v_fma_f64 v[120:121], v[120:121], v[148:149], -v[144:145]
	v_add_f64_e32 v[128:129], v[124:125], v[128:129]
	v_add_f64_e32 v[138:139], v[126:127], v[154:155]
	ds_load_b128 v[4:7], v2 offset:1264
	ds_load_b128 v[124:127], v2 offset:1280
	s_wait_loadcnt_dscnt 0x601
	v_mul_f64_e32 v[146:147], v[4:5], v[134:135]
	v_mul_f64_e32 v[134:135], v[6:7], v[134:135]
	v_add_f64_e32 v[122:123], v[128:129], v[136:137]
	v_add_f64_e32 v[128:129], v[138:139], v[156:157]
	s_wait_loadcnt_dscnt 0x500
	v_mul_f64_e32 v[136:137], v[124:125], v[10:11]
	v_mul_f64_e32 v[10:11], v[126:127], v[10:11]
	v_fmac_f64_e32 v[146:147], v[6:7], v[132:133]
	v_fma_f64 v[132:133], v[4:5], v[132:133], -v[134:135]
	v_add_f64_e32 v[134:135], v[122:123], v[120:121]
	v_add_f64_e32 v[128:129], v[128:129], v[130:131]
	ds_load_b128 v[4:7], v2 offset:1296
	ds_load_b128 v[120:123], v2 offset:1312
	v_fmac_f64_e32 v[136:137], v[126:127], v[8:9]
	v_fma_f64 v[8:9], v[124:125], v[8:9], -v[10:11]
	s_wait_loadcnt_dscnt 0x401
	v_mul_f64_e32 v[130:131], v[4:5], v[14:15]
	v_mul_f64_e32 v[14:15], v[6:7], v[14:15]
	s_wait_loadcnt_dscnt 0x300
	v_mul_f64_e32 v[126:127], v[120:121], v[18:19]
	v_mul_f64_e32 v[18:19], v[122:123], v[18:19]
	v_add_f64_e32 v[10:11], v[134:135], v[132:133]
	v_add_f64_e32 v[124:125], v[128:129], v[146:147]
	v_fmac_f64_e32 v[130:131], v[6:7], v[12:13]
	v_fma_f64 v[12:13], v[4:5], v[12:13], -v[14:15]
	v_fmac_f64_e32 v[126:127], v[122:123], v[16:17]
	v_fma_f64 v[16:17], v[120:121], v[16:17], -v[18:19]
	v_add_f64_e32 v[14:15], v[10:11], v[8:9]
	v_add_f64_e32 v[124:125], v[124:125], v[136:137]
	ds_load_b128 v[4:7], v2 offset:1328
	ds_load_b128 v[8:11], v2 offset:1344
	s_wait_loadcnt_dscnt 0x201
	v_mul_f64_e32 v[128:129], v[4:5], v[22:23]
	v_mul_f64_e32 v[22:23], v[6:7], v[22:23]
	s_wait_loadcnt_dscnt 0x100
	v_mul_f64_e32 v[18:19], v[8:9], v[114:115]
	v_mul_f64_e32 v[114:115], v[10:11], v[114:115]
	v_add_f64_e32 v[12:13], v[14:15], v[12:13]
	v_add_f64_e32 v[14:15], v[124:125], v[130:131]
	v_fmac_f64_e32 v[128:129], v[6:7], v[20:21]
	v_fma_f64 v[20:21], v[4:5], v[20:21], -v[22:23]
	ds_load_b128 v[4:7], v2 offset:1360
	v_fmac_f64_e32 v[18:19], v[10:11], v[112:113]
	v_fma_f64 v[8:9], v[8:9], v[112:113], -v[114:115]
	v_add_f64_e32 v[12:13], v[12:13], v[16:17]
	v_add_f64_e32 v[14:15], v[14:15], v[126:127]
	s_wait_loadcnt_dscnt 0x0
	v_mul_f64_e32 v[16:17], v[4:5], v[118:119]
	v_mul_f64_e32 v[22:23], v[6:7], v[118:119]
	s_delay_alu instid0(VALU_DEP_4) | instskip(NEXT) | instid1(VALU_DEP_4)
	v_add_f64_e32 v[10:11], v[12:13], v[20:21]
	v_add_f64_e32 v[12:13], v[14:15], v[128:129]
	s_delay_alu instid0(VALU_DEP_4) | instskip(NEXT) | instid1(VALU_DEP_4)
	v_fmac_f64_e32 v[16:17], v[6:7], v[116:117]
	v_fma_f64 v[4:5], v[4:5], v[116:117], -v[22:23]
	s_delay_alu instid0(VALU_DEP_4) | instskip(NEXT) | instid1(VALU_DEP_4)
	v_add_f64_e32 v[6:7], v[10:11], v[8:9]
	v_add_f64_e32 v[8:9], v[12:13], v[18:19]
	s_delay_alu instid0(VALU_DEP_2) | instskip(NEXT) | instid1(VALU_DEP_2)
	v_add_f64_e32 v[4:5], v[6:7], v[4:5]
	v_add_f64_e32 v[6:7], v[8:9], v[16:17]
	s_delay_alu instid0(VALU_DEP_2) | instskip(NEXT) | instid1(VALU_DEP_2)
	v_add_f64_e64 v[4:5], v[140:141], -v[4:5]
	v_add_f64_e64 v[6:7], v[142:143], -v[6:7]
	scratch_store_b128 off, v[4:7], off offset:176
	s_wait_xcnt 0x0
	v_cmpx_lt_u32_e32 10, v1
	s_cbranch_execz .LBB106_251
; %bb.250:
	scratch_load_b128 v[6:9], off, s49
	v_dual_mov_b32 v3, v2 :: v_dual_mov_b32 v4, v2
	v_mov_b32_e32 v5, v2
	scratch_store_b128 off, v[2:5], off offset:160
	s_wait_loadcnt 0x0
	ds_store_b128 v110, v[6:9]
.LBB106_251:
	s_wait_xcnt 0x0
	s_or_b32 exec_lo, exec_lo, s2
	s_wait_storecnt_dscnt 0x0
	s_barrier_signal -1
	s_barrier_wait -1
	s_clause 0x9
	scratch_load_b128 v[4:7], off, off offset:176
	scratch_load_b128 v[8:11], off, off offset:192
	;; [unrolled: 1-line block ×10, first 2 shown]
	ds_load_b128 v[132:135], v2 offset:864
	ds_load_b128 v[140:143], v2 offset:880
	s_clause 0x2
	scratch_load_b128 v[136:139], off, off offset:336
	scratch_load_b128 v[144:147], off, off offset:160
	;; [unrolled: 1-line block ×3, first 2 shown]
	s_mov_b32 s2, exec_lo
	s_wait_loadcnt_dscnt 0xc01
	v_mul_f64_e32 v[152:153], v[134:135], v[6:7]
	v_mul_f64_e32 v[156:157], v[132:133], v[6:7]
	s_wait_loadcnt_dscnt 0xb00
	v_mul_f64_e32 v[158:159], v[140:141], v[10:11]
	v_mul_f64_e32 v[10:11], v[142:143], v[10:11]
	s_delay_alu instid0(VALU_DEP_4) | instskip(NEXT) | instid1(VALU_DEP_4)
	v_fma_f64 v[160:161], v[132:133], v[4:5], -v[152:153]
	v_fmac_f64_e32 v[156:157], v[134:135], v[4:5]
	ds_load_b128 v[4:7], v2 offset:896
	ds_load_b128 v[132:135], v2 offset:912
	scratch_load_b128 v[152:155], off, off offset:368
	v_fmac_f64_e32 v[158:159], v[142:143], v[8:9]
	v_fma_f64 v[140:141], v[140:141], v[8:9], -v[10:11]
	scratch_load_b128 v[8:11], off, off offset:384
	s_wait_loadcnt_dscnt 0xc01
	v_mul_f64_e32 v[162:163], v[4:5], v[14:15]
	v_mul_f64_e32 v[14:15], v[6:7], v[14:15]
	v_add_f64_e32 v[142:143], 0, v[160:161]
	v_add_f64_e32 v[156:157], 0, v[156:157]
	s_wait_loadcnt_dscnt 0xb00
	v_mul_f64_e32 v[160:161], v[132:133], v[18:19]
	v_mul_f64_e32 v[18:19], v[134:135], v[18:19]
	v_fmac_f64_e32 v[162:163], v[6:7], v[12:13]
	v_fma_f64 v[164:165], v[4:5], v[12:13], -v[14:15]
	ds_load_b128 v[4:7], v2 offset:928
	ds_load_b128 v[12:15], v2 offset:944
	v_add_f64_e32 v[166:167], v[142:143], v[140:141]
	v_add_f64_e32 v[156:157], v[156:157], v[158:159]
	scratch_load_b128 v[140:143], off, off offset:400
	v_fmac_f64_e32 v[160:161], v[134:135], v[16:17]
	v_fma_f64 v[132:133], v[132:133], v[16:17], -v[18:19]
	scratch_load_b128 v[16:19], off, off offset:416
	s_wait_loadcnt_dscnt 0xc01
	v_mul_f64_e32 v[158:159], v[4:5], v[22:23]
	v_mul_f64_e32 v[22:23], v[6:7], v[22:23]
	v_add_f64_e32 v[134:135], v[166:167], v[164:165]
	v_add_f64_e32 v[156:157], v[156:157], v[162:163]
	s_wait_loadcnt_dscnt 0xb00
	v_mul_f64_e32 v[162:163], v[12:13], v[114:115]
	v_mul_f64_e32 v[114:115], v[14:15], v[114:115]
	v_fmac_f64_e32 v[158:159], v[6:7], v[20:21]
	v_fma_f64 v[164:165], v[4:5], v[20:21], -v[22:23]
	ds_load_b128 v[4:7], v2 offset:960
	ds_load_b128 v[20:23], v2 offset:976
	v_add_f64_e32 v[166:167], v[134:135], v[132:133]
	v_add_f64_e32 v[156:157], v[156:157], v[160:161]
	scratch_load_b128 v[132:135], off, off offset:432
	s_wait_loadcnt_dscnt 0xb01
	v_mul_f64_e32 v[160:161], v[4:5], v[118:119]
	v_mul_f64_e32 v[118:119], v[6:7], v[118:119]
	v_fmac_f64_e32 v[162:163], v[14:15], v[112:113]
	v_fma_f64 v[112:113], v[12:13], v[112:113], -v[114:115]
	scratch_load_b128 v[12:15], off, off offset:448
	v_add_f64_e32 v[114:115], v[166:167], v[164:165]
	v_add_f64_e32 v[156:157], v[156:157], v[158:159]
	s_wait_loadcnt_dscnt 0xb00
	v_mul_f64_e32 v[158:159], v[20:21], v[122:123]
	v_mul_f64_e32 v[122:123], v[22:23], v[122:123]
	v_fmac_f64_e32 v[160:161], v[6:7], v[116:117]
	v_fma_f64 v[164:165], v[4:5], v[116:117], -v[118:119]
	v_add_f64_e32 v[166:167], v[114:115], v[112:113]
	v_add_f64_e32 v[156:157], v[156:157], v[162:163]
	ds_load_b128 v[4:7], v2 offset:992
	ds_load_b128 v[112:115], v2 offset:1008
	scratch_load_b128 v[116:119], off, off offset:464
	v_fmac_f64_e32 v[158:159], v[22:23], v[120:121]
	v_fma_f64 v[120:121], v[20:21], v[120:121], -v[122:123]
	scratch_load_b128 v[20:23], off, off offset:480
	s_wait_loadcnt_dscnt 0xc01
	v_mul_f64_e32 v[162:163], v[4:5], v[126:127]
	v_mul_f64_e32 v[126:127], v[6:7], v[126:127]
	v_add_f64_e32 v[122:123], v[166:167], v[164:165]
	v_add_f64_e32 v[156:157], v[156:157], v[160:161]
	s_wait_loadcnt_dscnt 0xb00
	v_mul_f64_e32 v[160:161], v[112:113], v[130:131]
	v_mul_f64_e32 v[130:131], v[114:115], v[130:131]
	v_fmac_f64_e32 v[162:163], v[6:7], v[124:125]
	v_fma_f64 v[164:165], v[4:5], v[124:125], -v[126:127]
	v_add_f64_e32 v[166:167], v[122:123], v[120:121]
	v_add_f64_e32 v[156:157], v[156:157], v[158:159]
	ds_load_b128 v[4:7], v2 offset:1024
	ds_load_b128 v[120:123], v2 offset:1040
	scratch_load_b128 v[124:127], off, off offset:496
	v_fmac_f64_e32 v[160:161], v[114:115], v[128:129]
	v_fma_f64 v[128:129], v[112:113], v[128:129], -v[130:131]
	scratch_load_b128 v[112:115], off, off offset:512
	s_wait_loadcnt_dscnt 0xc01
	v_mul_f64_e32 v[158:159], v[4:5], v[138:139]
	v_mul_f64_e32 v[138:139], v[6:7], v[138:139]
	v_add_f64_e32 v[130:131], v[166:167], v[164:165]
	v_add_f64_e32 v[156:157], v[156:157], v[162:163]
	s_wait_loadcnt_dscnt 0xa00
	v_mul_f64_e32 v[162:163], v[120:121], v[150:151]
	v_mul_f64_e32 v[150:151], v[122:123], v[150:151]
	v_fmac_f64_e32 v[158:159], v[6:7], v[136:137]
	v_fma_f64 v[164:165], v[4:5], v[136:137], -v[138:139]
	v_add_f64_e32 v[166:167], v[130:131], v[128:129]
	v_add_f64_e32 v[156:157], v[156:157], v[160:161]
	ds_load_b128 v[4:7], v2 offset:1056
	ds_load_b128 v[128:131], v2 offset:1072
	scratch_load_b128 v[136:139], off, off offset:528
	v_fmac_f64_e32 v[162:163], v[122:123], v[148:149]
	v_fma_f64 v[148:149], v[120:121], v[148:149], -v[150:151]
	scratch_load_b128 v[120:123], off, off offset:544
	s_wait_loadcnt_dscnt 0xb01
	v_mul_f64_e32 v[160:161], v[4:5], v[154:155]
	v_mul_f64_e32 v[154:155], v[6:7], v[154:155]
	v_add_f64_e32 v[150:151], v[166:167], v[164:165]
	v_add_f64_e32 v[156:157], v[156:157], v[158:159]
	s_wait_loadcnt_dscnt 0xa00
	v_mul_f64_e32 v[158:159], v[128:129], v[10:11]
	v_mul_f64_e32 v[10:11], v[130:131], v[10:11]
	v_fmac_f64_e32 v[160:161], v[6:7], v[152:153]
	v_fma_f64 v[164:165], v[4:5], v[152:153], -v[154:155]
	v_add_f64_e32 v[166:167], v[150:151], v[148:149]
	v_add_f64_e32 v[156:157], v[156:157], v[162:163]
	ds_load_b128 v[4:7], v2 offset:1088
	ds_load_b128 v[148:151], v2 offset:1104
	scratch_load_b128 v[152:155], off, off offset:560
	v_fmac_f64_e32 v[158:159], v[130:131], v[8:9]
	v_fma_f64 v[128:129], v[128:129], v[8:9], -v[10:11]
	scratch_load_b128 v[8:11], off, off offset:576
	s_wait_loadcnt_dscnt 0xb01
	v_mul_f64_e32 v[162:163], v[4:5], v[142:143]
	v_mul_f64_e32 v[142:143], v[6:7], v[142:143]
	v_add_f64_e32 v[130:131], v[166:167], v[164:165]
	v_add_f64_e32 v[156:157], v[156:157], v[160:161]
	s_wait_loadcnt_dscnt 0xa00
	v_mul_f64_e32 v[160:161], v[148:149], v[18:19]
	v_mul_f64_e32 v[18:19], v[150:151], v[18:19]
	v_fmac_f64_e32 v[162:163], v[6:7], v[140:141]
	v_fma_f64 v[164:165], v[4:5], v[140:141], -v[142:143]
	v_add_f64_e32 v[166:167], v[130:131], v[128:129]
	v_add_f64_e32 v[156:157], v[156:157], v[158:159]
	ds_load_b128 v[4:7], v2 offset:1120
	ds_load_b128 v[128:131], v2 offset:1136
	scratch_load_b128 v[140:143], off, off offset:592
	v_fmac_f64_e32 v[160:161], v[150:151], v[16:17]
	v_fma_f64 v[148:149], v[148:149], v[16:17], -v[18:19]
	scratch_load_b128 v[16:19], off, off offset:608
	s_wait_loadcnt_dscnt 0xb01
	v_mul_f64_e32 v[158:159], v[4:5], v[134:135]
	v_mul_f64_e32 v[134:135], v[6:7], v[134:135]
	v_add_f64_e32 v[150:151], v[166:167], v[164:165]
	v_add_f64_e32 v[156:157], v[156:157], v[162:163]
	s_wait_loadcnt_dscnt 0xa00
	v_mul_f64_e32 v[162:163], v[128:129], v[14:15]
	v_mul_f64_e32 v[14:15], v[130:131], v[14:15]
	v_fmac_f64_e32 v[158:159], v[6:7], v[132:133]
	v_fma_f64 v[164:165], v[4:5], v[132:133], -v[134:135]
	ds_load_b128 v[4:7], v2 offset:1152
	ds_load_b128 v[132:135], v2 offset:1168
	v_add_f64_e32 v[166:167], v[150:151], v[148:149]
	v_add_f64_e32 v[156:157], v[156:157], v[160:161]
	scratch_load_b128 v[148:151], off, off offset:624
	v_fmac_f64_e32 v[162:163], v[130:131], v[12:13]
	v_fma_f64 v[128:129], v[128:129], v[12:13], -v[14:15]
	scratch_load_b128 v[12:15], off, off offset:640
	s_wait_loadcnt_dscnt 0xb01
	v_mul_f64_e32 v[160:161], v[4:5], v[118:119]
	v_mul_f64_e32 v[118:119], v[6:7], v[118:119]
	v_add_f64_e32 v[130:131], v[166:167], v[164:165]
	v_add_f64_e32 v[156:157], v[156:157], v[158:159]
	s_wait_loadcnt_dscnt 0xa00
	v_mul_f64_e32 v[158:159], v[132:133], v[22:23]
	v_mul_f64_e32 v[22:23], v[134:135], v[22:23]
	v_fmac_f64_e32 v[160:161], v[6:7], v[116:117]
	v_fma_f64 v[164:165], v[4:5], v[116:117], -v[118:119]
	ds_load_b128 v[4:7], v2 offset:1184
	ds_load_b128 v[116:119], v2 offset:1200
	v_add_f64_e32 v[166:167], v[130:131], v[128:129]
	v_add_f64_e32 v[156:157], v[156:157], v[162:163]
	scratch_load_b128 v[128:131], off, off offset:656
	s_wait_loadcnt_dscnt 0xa01
	v_mul_f64_e32 v[162:163], v[4:5], v[126:127]
	v_mul_f64_e32 v[126:127], v[6:7], v[126:127]
	v_fmac_f64_e32 v[158:159], v[134:135], v[20:21]
	v_fma_f64 v[132:133], v[132:133], v[20:21], -v[22:23]
	scratch_load_b128 v[20:23], off, off offset:672
	v_add_f64_e32 v[134:135], v[166:167], v[164:165]
	v_add_f64_e32 v[156:157], v[156:157], v[160:161]
	s_wait_loadcnt_dscnt 0xa00
	v_mul_f64_e32 v[160:161], v[116:117], v[114:115]
	v_mul_f64_e32 v[114:115], v[118:119], v[114:115]
	v_fmac_f64_e32 v[162:163], v[6:7], v[124:125]
	v_fma_f64 v[164:165], v[4:5], v[124:125], -v[126:127]
	ds_load_b128 v[4:7], v2 offset:1216
	ds_load_b128 v[124:127], v2 offset:1232
	v_add_f64_e32 v[132:133], v[134:135], v[132:133]
	v_add_f64_e32 v[134:135], v[156:157], v[158:159]
	v_fmac_f64_e32 v[160:161], v[118:119], v[112:113]
	s_wait_loadcnt_dscnt 0x901
	v_mul_f64_e32 v[156:157], v[4:5], v[138:139]
	v_mul_f64_e32 v[138:139], v[6:7], v[138:139]
	v_fma_f64 v[112:113], v[116:117], v[112:113], -v[114:115]
	s_wait_loadcnt_dscnt 0x800
	v_mul_f64_e32 v[118:119], v[124:125], v[122:123]
	v_mul_f64_e32 v[122:123], v[126:127], v[122:123]
	v_add_f64_e32 v[114:115], v[132:133], v[164:165]
	v_add_f64_e32 v[116:117], v[134:135], v[162:163]
	v_fmac_f64_e32 v[156:157], v[6:7], v[136:137]
	v_fma_f64 v[132:133], v[4:5], v[136:137], -v[138:139]
	v_fmac_f64_e32 v[118:119], v[126:127], v[120:121]
	v_fma_f64 v[120:121], v[124:125], v[120:121], -v[122:123]
	v_add_f64_e32 v[134:135], v[114:115], v[112:113]
	v_add_f64_e32 v[116:117], v[116:117], v[160:161]
	ds_load_b128 v[4:7], v2 offset:1248
	ds_load_b128 v[112:115], v2 offset:1264
	s_wait_loadcnt_dscnt 0x701
	v_mul_f64_e32 v[136:137], v[4:5], v[154:155]
	v_mul_f64_e32 v[138:139], v[6:7], v[154:155]
	s_wait_loadcnt_dscnt 0x600
	v_mul_f64_e32 v[124:125], v[112:113], v[10:11]
	v_mul_f64_e32 v[10:11], v[114:115], v[10:11]
	v_add_f64_e32 v[122:123], v[134:135], v[132:133]
	v_add_f64_e32 v[116:117], v[116:117], v[156:157]
	v_fmac_f64_e32 v[136:137], v[6:7], v[152:153]
	v_fma_f64 v[126:127], v[4:5], v[152:153], -v[138:139]
	v_fmac_f64_e32 v[124:125], v[114:115], v[8:9]
	v_fma_f64 v[8:9], v[112:113], v[8:9], -v[10:11]
	v_add_f64_e32 v[120:121], v[122:123], v[120:121]
	v_add_f64_e32 v[122:123], v[116:117], v[118:119]
	ds_load_b128 v[4:7], v2 offset:1280
	ds_load_b128 v[116:119], v2 offset:1296
	s_wait_loadcnt_dscnt 0x501
	v_mul_f64_e32 v[132:133], v[4:5], v[142:143]
	v_mul_f64_e32 v[134:135], v[6:7], v[142:143]
	;; [unrolled: 16-line block ×4, first 2 shown]
	v_add_f64_e32 v[10:11], v[18:19], v[120:121]
	v_add_f64_e32 v[12:13], v[112:113], v[124:125]
	s_wait_loadcnt_dscnt 0x0
	v_mul_f64_e32 v[18:19], v[14:15], v[22:23]
	v_mul_f64_e32 v[22:23], v[16:17], v[22:23]
	v_fmac_f64_e32 v[2:3], v[6:7], v[128:129]
	v_fma_f64 v[4:5], v[4:5], v[128:129], -v[114:115]
	v_add_f64_e32 v[6:7], v[10:11], v[8:9]
	v_add_f64_e32 v[8:9], v[12:13], v[116:117]
	v_fmac_f64_e32 v[18:19], v[16:17], v[20:21]
	v_fma_f64 v[10:11], v[14:15], v[20:21], -v[22:23]
	s_delay_alu instid0(VALU_DEP_4) | instskip(NEXT) | instid1(VALU_DEP_4)
	v_add_f64_e32 v[4:5], v[6:7], v[4:5]
	v_add_f64_e32 v[2:3], v[8:9], v[2:3]
	s_delay_alu instid0(VALU_DEP_2) | instskip(NEXT) | instid1(VALU_DEP_2)
	v_add_f64_e32 v[4:5], v[4:5], v[10:11]
	v_add_f64_e32 v[6:7], v[2:3], v[18:19]
	s_delay_alu instid0(VALU_DEP_2) | instskip(NEXT) | instid1(VALU_DEP_2)
	v_add_f64_e64 v[2:3], v[144:145], -v[4:5]
	v_add_f64_e64 v[4:5], v[146:147], -v[6:7]
	scratch_store_b128 off, v[2:5], off offset:160
	s_wait_xcnt 0x0
	v_cmpx_lt_u32_e32 9, v1
	s_cbranch_execz .LBB106_253
; %bb.252:
	scratch_load_b128 v[2:5], off, s50
	v_mov_b32_e32 v6, 0
	s_delay_alu instid0(VALU_DEP_1)
	v_dual_mov_b32 v7, v6 :: v_dual_mov_b32 v8, v6
	v_mov_b32_e32 v9, v6
	scratch_store_b128 off, v[6:9], off offset:144
	s_wait_loadcnt 0x0
	ds_store_b128 v110, v[2:5]
.LBB106_253:
	s_wait_xcnt 0x0
	s_or_b32 exec_lo, exec_lo, s2
	s_wait_storecnt_dscnt 0x0
	s_barrier_signal -1
	s_barrier_wait -1
	s_clause 0x9
	scratch_load_b128 v[4:7], off, off offset:160
	scratch_load_b128 v[8:11], off, off offset:176
	;; [unrolled: 1-line block ×10, first 2 shown]
	v_mov_b32_e32 v2, 0
	s_mov_b32 s2, exec_lo
	ds_load_b128 v[132:135], v2 offset:848
	s_clause 0x2
	scratch_load_b128 v[136:139], off, off offset:320
	scratch_load_b128 v[140:143], off, off offset:144
	;; [unrolled: 1-line block ×3, first 2 shown]
	s_wait_loadcnt_dscnt 0xc00
	v_mul_f64_e32 v[152:153], v[134:135], v[6:7]
	v_mul_f64_e32 v[156:157], v[132:133], v[6:7]
	ds_load_b128 v[144:147], v2 offset:864
	v_fma_f64 v[160:161], v[132:133], v[4:5], -v[152:153]
	v_fmac_f64_e32 v[156:157], v[134:135], v[4:5]
	ds_load_b128 v[4:7], v2 offset:880
	s_wait_loadcnt_dscnt 0xb01
	v_mul_f64_e32 v[158:159], v[144:145], v[10:11]
	v_mul_f64_e32 v[10:11], v[146:147], v[10:11]
	scratch_load_b128 v[132:135], off, off offset:352
	ds_load_b128 v[152:155], v2 offset:896
	s_wait_loadcnt_dscnt 0xb01
	v_mul_f64_e32 v[162:163], v[4:5], v[14:15]
	v_mul_f64_e32 v[14:15], v[6:7], v[14:15]
	v_add_f64_e32 v[156:157], 0, v[156:157]
	v_fmac_f64_e32 v[158:159], v[146:147], v[8:9]
	v_fma_f64 v[144:145], v[144:145], v[8:9], -v[10:11]
	v_add_f64_e32 v[146:147], 0, v[160:161]
	scratch_load_b128 v[8:11], off, off offset:368
	v_fmac_f64_e32 v[162:163], v[6:7], v[12:13]
	v_fma_f64 v[164:165], v[4:5], v[12:13], -v[14:15]
	ds_load_b128 v[4:7], v2 offset:912
	s_wait_loadcnt_dscnt 0xb01
	v_mul_f64_e32 v[160:161], v[152:153], v[18:19]
	v_mul_f64_e32 v[18:19], v[154:155], v[18:19]
	scratch_load_b128 v[12:15], off, off offset:384
	v_add_f64_e32 v[156:157], v[156:157], v[158:159]
	v_add_f64_e32 v[166:167], v[146:147], v[144:145]
	ds_load_b128 v[144:147], v2 offset:928
	s_wait_loadcnt_dscnt 0xb01
	v_mul_f64_e32 v[158:159], v[4:5], v[22:23]
	v_mul_f64_e32 v[22:23], v[6:7], v[22:23]
	v_fmac_f64_e32 v[160:161], v[154:155], v[16:17]
	v_fma_f64 v[152:153], v[152:153], v[16:17], -v[18:19]
	scratch_load_b128 v[16:19], off, off offset:400
	v_add_f64_e32 v[156:157], v[156:157], v[162:163]
	v_add_f64_e32 v[154:155], v[166:167], v[164:165]
	v_fmac_f64_e32 v[158:159], v[6:7], v[20:21]
	v_fma_f64 v[164:165], v[4:5], v[20:21], -v[22:23]
	ds_load_b128 v[4:7], v2 offset:944
	s_wait_loadcnt_dscnt 0xb01
	v_mul_f64_e32 v[162:163], v[144:145], v[114:115]
	v_mul_f64_e32 v[114:115], v[146:147], v[114:115]
	scratch_load_b128 v[20:23], off, off offset:416
	v_add_f64_e32 v[156:157], v[156:157], v[160:161]
	s_wait_loadcnt_dscnt 0xb00
	v_mul_f64_e32 v[160:161], v[4:5], v[118:119]
	v_add_f64_e32 v[166:167], v[154:155], v[152:153]
	v_mul_f64_e32 v[118:119], v[6:7], v[118:119]
	ds_load_b128 v[152:155], v2 offset:960
	v_fmac_f64_e32 v[162:163], v[146:147], v[112:113]
	v_fma_f64 v[144:145], v[144:145], v[112:113], -v[114:115]
	scratch_load_b128 v[112:115], off, off offset:432
	v_add_f64_e32 v[156:157], v[156:157], v[158:159]
	v_fmac_f64_e32 v[160:161], v[6:7], v[116:117]
	v_add_f64_e32 v[146:147], v[166:167], v[164:165]
	v_fma_f64 v[164:165], v[4:5], v[116:117], -v[118:119]
	ds_load_b128 v[4:7], v2 offset:976
	s_wait_loadcnt_dscnt 0xb01
	v_mul_f64_e32 v[158:159], v[152:153], v[122:123]
	v_mul_f64_e32 v[122:123], v[154:155], v[122:123]
	scratch_load_b128 v[116:119], off, off offset:448
	v_add_f64_e32 v[156:157], v[156:157], v[162:163]
	s_wait_loadcnt_dscnt 0xb00
	v_mul_f64_e32 v[162:163], v[4:5], v[126:127]
	v_add_f64_e32 v[166:167], v[146:147], v[144:145]
	v_mul_f64_e32 v[126:127], v[6:7], v[126:127]
	ds_load_b128 v[144:147], v2 offset:992
	v_fmac_f64_e32 v[158:159], v[154:155], v[120:121]
	v_fma_f64 v[152:153], v[152:153], v[120:121], -v[122:123]
	scratch_load_b128 v[120:123], off, off offset:464
	v_add_f64_e32 v[156:157], v[156:157], v[160:161]
	v_fmac_f64_e32 v[162:163], v[6:7], v[124:125]
	v_add_f64_e32 v[154:155], v[166:167], v[164:165]
	;; [unrolled: 18-line block ×3, first 2 shown]
	v_fma_f64 v[164:165], v[4:5], v[136:137], -v[138:139]
	ds_load_b128 v[4:7], v2 offset:1040
	s_wait_loadcnt_dscnt 0xa01
	v_mul_f64_e32 v[162:163], v[152:153], v[150:151]
	v_mul_f64_e32 v[150:151], v[154:155], v[150:151]
	scratch_load_b128 v[136:139], off, off offset:512
	v_add_f64_e32 v[156:157], v[156:157], v[160:161]
	v_add_f64_e32 v[166:167], v[146:147], v[144:145]
	s_wait_loadcnt_dscnt 0xa00
	v_mul_f64_e32 v[160:161], v[4:5], v[134:135]
	v_mul_f64_e32 v[134:135], v[6:7], v[134:135]
	v_fmac_f64_e32 v[162:163], v[154:155], v[148:149]
	v_fma_f64 v[152:153], v[152:153], v[148:149], -v[150:151]
	ds_load_b128 v[144:147], v2 offset:1056
	scratch_load_b128 v[148:151], off, off offset:528
	v_add_f64_e32 v[156:157], v[156:157], v[158:159]
	v_add_f64_e32 v[154:155], v[166:167], v[164:165]
	v_fmac_f64_e32 v[160:161], v[6:7], v[132:133]
	v_fma_f64 v[164:165], v[4:5], v[132:133], -v[134:135]
	ds_load_b128 v[4:7], v2 offset:1072
	s_wait_loadcnt_dscnt 0xa01
	v_mul_f64_e32 v[158:159], v[144:145], v[10:11]
	v_mul_f64_e32 v[10:11], v[146:147], v[10:11]
	scratch_load_b128 v[132:135], off, off offset:544
	v_add_f64_e32 v[156:157], v[156:157], v[162:163]
	s_wait_loadcnt_dscnt 0xa00
	v_mul_f64_e32 v[162:163], v[4:5], v[14:15]
	v_add_f64_e32 v[166:167], v[154:155], v[152:153]
	v_mul_f64_e32 v[14:15], v[6:7], v[14:15]
	ds_load_b128 v[152:155], v2 offset:1088
	v_fmac_f64_e32 v[158:159], v[146:147], v[8:9]
	v_fma_f64 v[144:145], v[144:145], v[8:9], -v[10:11]
	scratch_load_b128 v[8:11], off, off offset:560
	v_add_f64_e32 v[156:157], v[156:157], v[160:161]
	v_fmac_f64_e32 v[162:163], v[6:7], v[12:13]
	v_add_f64_e32 v[146:147], v[166:167], v[164:165]
	v_fma_f64 v[164:165], v[4:5], v[12:13], -v[14:15]
	ds_load_b128 v[4:7], v2 offset:1104
	s_wait_loadcnt_dscnt 0xa01
	v_mul_f64_e32 v[160:161], v[152:153], v[18:19]
	v_mul_f64_e32 v[18:19], v[154:155], v[18:19]
	scratch_load_b128 v[12:15], off, off offset:576
	v_add_f64_e32 v[156:157], v[156:157], v[158:159]
	s_wait_loadcnt_dscnt 0xa00
	v_mul_f64_e32 v[158:159], v[4:5], v[22:23]
	v_add_f64_e32 v[166:167], v[146:147], v[144:145]
	v_mul_f64_e32 v[22:23], v[6:7], v[22:23]
	ds_load_b128 v[144:147], v2 offset:1120
	v_fmac_f64_e32 v[160:161], v[154:155], v[16:17]
	v_fma_f64 v[152:153], v[152:153], v[16:17], -v[18:19]
	scratch_load_b128 v[16:19], off, off offset:592
	v_add_f64_e32 v[156:157], v[156:157], v[162:163]
	v_fmac_f64_e32 v[158:159], v[6:7], v[20:21]
	v_add_f64_e32 v[154:155], v[166:167], v[164:165]
	;; [unrolled: 18-line block ×4, first 2 shown]
	v_fma_f64 v[164:165], v[4:5], v[124:125], -v[126:127]
	ds_load_b128 v[4:7], v2 offset:1200
	s_wait_loadcnt_dscnt 0xa01
	v_mul_f64_e32 v[160:161], v[144:145], v[130:131]
	v_mul_f64_e32 v[130:131], v[146:147], v[130:131]
	scratch_load_b128 v[124:127], off, off offset:672
	v_add_f64_e32 v[156:157], v[156:157], v[158:159]
	s_wait_loadcnt_dscnt 0xa00
	v_mul_f64_e32 v[158:159], v[4:5], v[138:139]
	v_add_f64_e32 v[166:167], v[154:155], v[152:153]
	v_mul_f64_e32 v[138:139], v[6:7], v[138:139]
	ds_load_b128 v[152:155], v2 offset:1216
	v_fmac_f64_e32 v[160:161], v[146:147], v[128:129]
	v_fma_f64 v[128:129], v[144:145], v[128:129], -v[130:131]
	s_wait_loadcnt_dscnt 0x900
	v_mul_f64_e32 v[146:147], v[152:153], v[150:151]
	v_mul_f64_e32 v[150:151], v[154:155], v[150:151]
	v_add_f64_e32 v[144:145], v[156:157], v[162:163]
	v_fmac_f64_e32 v[158:159], v[6:7], v[136:137]
	v_add_f64_e32 v[130:131], v[166:167], v[164:165]
	v_fma_f64 v[136:137], v[4:5], v[136:137], -v[138:139]
	v_fmac_f64_e32 v[146:147], v[154:155], v[148:149]
	v_fma_f64 v[148:149], v[152:153], v[148:149], -v[150:151]
	v_add_f64_e32 v[144:145], v[144:145], v[160:161]
	v_add_f64_e32 v[138:139], v[130:131], v[128:129]
	ds_load_b128 v[4:7], v2 offset:1232
	ds_load_b128 v[128:131], v2 offset:1248
	s_wait_loadcnt_dscnt 0x801
	v_mul_f64_e32 v[156:157], v[4:5], v[134:135]
	v_mul_f64_e32 v[134:135], v[6:7], v[134:135]
	v_add_f64_e32 v[136:137], v[138:139], v[136:137]
	v_add_f64_e32 v[138:139], v[144:145], v[158:159]
	s_wait_loadcnt_dscnt 0x700
	v_mul_f64_e32 v[144:145], v[128:129], v[10:11]
	v_mul_f64_e32 v[10:11], v[130:131], v[10:11]
	v_fmac_f64_e32 v[156:157], v[6:7], v[132:133]
	v_fma_f64 v[150:151], v[4:5], v[132:133], -v[134:135]
	ds_load_b128 v[4:7], v2 offset:1264
	ds_load_b128 v[132:135], v2 offset:1280
	v_add_f64_e32 v[136:137], v[136:137], v[148:149]
	v_add_f64_e32 v[138:139], v[138:139], v[146:147]
	v_fmac_f64_e32 v[144:145], v[130:131], v[8:9]
	v_fma_f64 v[8:9], v[128:129], v[8:9], -v[10:11]
	s_wait_loadcnt_dscnt 0x601
	v_mul_f64_e32 v[146:147], v[4:5], v[14:15]
	v_mul_f64_e32 v[14:15], v[6:7], v[14:15]
	s_wait_loadcnt_dscnt 0x500
	v_mul_f64_e32 v[130:131], v[132:133], v[18:19]
	v_mul_f64_e32 v[18:19], v[134:135], v[18:19]
	v_add_f64_e32 v[10:11], v[136:137], v[150:151]
	v_add_f64_e32 v[128:129], v[138:139], v[156:157]
	v_fmac_f64_e32 v[146:147], v[6:7], v[12:13]
	v_fma_f64 v[12:13], v[4:5], v[12:13], -v[14:15]
	v_fmac_f64_e32 v[130:131], v[134:135], v[16:17]
	v_fma_f64 v[16:17], v[132:133], v[16:17], -v[18:19]
	v_add_f64_e32 v[14:15], v[10:11], v[8:9]
	v_add_f64_e32 v[128:129], v[128:129], v[144:145]
	ds_load_b128 v[4:7], v2 offset:1296
	ds_load_b128 v[8:11], v2 offset:1312
	s_wait_loadcnt_dscnt 0x401
	v_mul_f64_e32 v[136:137], v[4:5], v[22:23]
	v_mul_f64_e32 v[22:23], v[6:7], v[22:23]
	s_wait_loadcnt_dscnt 0x300
	v_mul_f64_e32 v[18:19], v[8:9], v[114:115]
	v_mul_f64_e32 v[114:115], v[10:11], v[114:115]
	v_add_f64_e32 v[12:13], v[14:15], v[12:13]
	v_add_f64_e32 v[14:15], v[128:129], v[146:147]
	v_fmac_f64_e32 v[136:137], v[6:7], v[20:21]
	v_fma_f64 v[20:21], v[4:5], v[20:21], -v[22:23]
	v_fmac_f64_e32 v[18:19], v[10:11], v[112:113]
	v_fma_f64 v[8:9], v[8:9], v[112:113], -v[114:115]
	v_add_f64_e32 v[16:17], v[12:13], v[16:17]
	v_add_f64_e32 v[22:23], v[14:15], v[130:131]
	ds_load_b128 v[4:7], v2 offset:1328
	ds_load_b128 v[12:15], v2 offset:1344
	s_wait_loadcnt_dscnt 0x201
	v_mul_f64_e32 v[128:129], v[4:5], v[118:119]
	v_mul_f64_e32 v[118:119], v[6:7], v[118:119]
	v_add_f64_e32 v[10:11], v[16:17], v[20:21]
	v_add_f64_e32 v[16:17], v[22:23], v[136:137]
	s_wait_loadcnt_dscnt 0x100
	v_mul_f64_e32 v[20:21], v[12:13], v[122:123]
	v_mul_f64_e32 v[22:23], v[14:15], v[122:123]
	v_fmac_f64_e32 v[128:129], v[6:7], v[116:117]
	v_fma_f64 v[112:113], v[4:5], v[116:117], -v[118:119]
	ds_load_b128 v[4:7], v2 offset:1360
	v_add_f64_e32 v[8:9], v[10:11], v[8:9]
	v_add_f64_e32 v[10:11], v[16:17], v[18:19]
	v_fmac_f64_e32 v[20:21], v[14:15], v[120:121]
	v_fma_f64 v[12:13], v[12:13], v[120:121], -v[22:23]
	s_wait_loadcnt_dscnt 0x0
	v_mul_f64_e32 v[16:17], v[4:5], v[126:127]
	v_mul_f64_e32 v[18:19], v[6:7], v[126:127]
	v_add_f64_e32 v[8:9], v[8:9], v[112:113]
	v_add_f64_e32 v[10:11], v[10:11], v[128:129]
	s_delay_alu instid0(VALU_DEP_4) | instskip(NEXT) | instid1(VALU_DEP_4)
	v_fmac_f64_e32 v[16:17], v[6:7], v[124:125]
	v_fma_f64 v[4:5], v[4:5], v[124:125], -v[18:19]
	s_delay_alu instid0(VALU_DEP_4) | instskip(NEXT) | instid1(VALU_DEP_4)
	v_add_f64_e32 v[6:7], v[8:9], v[12:13]
	v_add_f64_e32 v[8:9], v[10:11], v[20:21]
	s_delay_alu instid0(VALU_DEP_2) | instskip(NEXT) | instid1(VALU_DEP_2)
	v_add_f64_e32 v[4:5], v[6:7], v[4:5]
	v_add_f64_e32 v[6:7], v[8:9], v[16:17]
	s_delay_alu instid0(VALU_DEP_2) | instskip(NEXT) | instid1(VALU_DEP_2)
	v_add_f64_e64 v[4:5], v[140:141], -v[4:5]
	v_add_f64_e64 v[6:7], v[142:143], -v[6:7]
	scratch_store_b128 off, v[4:7], off offset:144
	s_wait_xcnt 0x0
	v_cmpx_lt_u32_e32 8, v1
	s_cbranch_execz .LBB106_255
; %bb.254:
	scratch_load_b128 v[6:9], off, s51
	v_dual_mov_b32 v3, v2 :: v_dual_mov_b32 v4, v2
	v_mov_b32_e32 v5, v2
	scratch_store_b128 off, v[2:5], off offset:128
	s_wait_loadcnt 0x0
	ds_store_b128 v110, v[6:9]
.LBB106_255:
	s_wait_xcnt 0x0
	s_or_b32 exec_lo, exec_lo, s2
	s_wait_storecnt_dscnt 0x0
	s_barrier_signal -1
	s_barrier_wait -1
	s_clause 0x9
	scratch_load_b128 v[4:7], off, off offset:144
	scratch_load_b128 v[8:11], off, off offset:160
	;; [unrolled: 1-line block ×10, first 2 shown]
	ds_load_b128 v[132:135], v2 offset:832
	ds_load_b128 v[140:143], v2 offset:848
	s_clause 0x2
	scratch_load_b128 v[136:139], off, off offset:304
	scratch_load_b128 v[144:147], off, off offset:128
	;; [unrolled: 1-line block ×3, first 2 shown]
	s_mov_b32 s2, exec_lo
	s_wait_loadcnt_dscnt 0xc01
	v_mul_f64_e32 v[152:153], v[134:135], v[6:7]
	v_mul_f64_e32 v[156:157], v[132:133], v[6:7]
	s_wait_loadcnt_dscnt 0xb00
	v_mul_f64_e32 v[158:159], v[140:141], v[10:11]
	v_mul_f64_e32 v[10:11], v[142:143], v[10:11]
	s_delay_alu instid0(VALU_DEP_4) | instskip(NEXT) | instid1(VALU_DEP_4)
	v_fma_f64 v[160:161], v[132:133], v[4:5], -v[152:153]
	v_fmac_f64_e32 v[156:157], v[134:135], v[4:5]
	ds_load_b128 v[4:7], v2 offset:864
	ds_load_b128 v[132:135], v2 offset:880
	scratch_load_b128 v[152:155], off, off offset:336
	v_fmac_f64_e32 v[158:159], v[142:143], v[8:9]
	v_fma_f64 v[140:141], v[140:141], v[8:9], -v[10:11]
	scratch_load_b128 v[8:11], off, off offset:352
	s_wait_loadcnt_dscnt 0xc01
	v_mul_f64_e32 v[162:163], v[4:5], v[14:15]
	v_mul_f64_e32 v[14:15], v[6:7], v[14:15]
	v_add_f64_e32 v[142:143], 0, v[160:161]
	v_add_f64_e32 v[156:157], 0, v[156:157]
	s_wait_loadcnt_dscnt 0xb00
	v_mul_f64_e32 v[160:161], v[132:133], v[18:19]
	v_mul_f64_e32 v[18:19], v[134:135], v[18:19]
	v_fmac_f64_e32 v[162:163], v[6:7], v[12:13]
	v_fma_f64 v[164:165], v[4:5], v[12:13], -v[14:15]
	ds_load_b128 v[4:7], v2 offset:896
	ds_load_b128 v[12:15], v2 offset:912
	v_add_f64_e32 v[166:167], v[142:143], v[140:141]
	v_add_f64_e32 v[156:157], v[156:157], v[158:159]
	scratch_load_b128 v[140:143], off, off offset:368
	v_fmac_f64_e32 v[160:161], v[134:135], v[16:17]
	v_fma_f64 v[132:133], v[132:133], v[16:17], -v[18:19]
	scratch_load_b128 v[16:19], off, off offset:384
	s_wait_loadcnt_dscnt 0xc01
	v_mul_f64_e32 v[158:159], v[4:5], v[22:23]
	v_mul_f64_e32 v[22:23], v[6:7], v[22:23]
	v_add_f64_e32 v[134:135], v[166:167], v[164:165]
	v_add_f64_e32 v[156:157], v[156:157], v[162:163]
	s_wait_loadcnt_dscnt 0xb00
	v_mul_f64_e32 v[162:163], v[12:13], v[114:115]
	v_mul_f64_e32 v[114:115], v[14:15], v[114:115]
	v_fmac_f64_e32 v[158:159], v[6:7], v[20:21]
	v_fma_f64 v[164:165], v[4:5], v[20:21], -v[22:23]
	ds_load_b128 v[4:7], v2 offset:928
	ds_load_b128 v[20:23], v2 offset:944
	v_add_f64_e32 v[166:167], v[134:135], v[132:133]
	v_add_f64_e32 v[156:157], v[156:157], v[160:161]
	scratch_load_b128 v[132:135], off, off offset:400
	s_wait_loadcnt_dscnt 0xb01
	v_mul_f64_e32 v[160:161], v[4:5], v[118:119]
	v_mul_f64_e32 v[118:119], v[6:7], v[118:119]
	v_fmac_f64_e32 v[162:163], v[14:15], v[112:113]
	v_fma_f64 v[112:113], v[12:13], v[112:113], -v[114:115]
	scratch_load_b128 v[12:15], off, off offset:416
	v_add_f64_e32 v[114:115], v[166:167], v[164:165]
	v_add_f64_e32 v[156:157], v[156:157], v[158:159]
	s_wait_loadcnt_dscnt 0xb00
	v_mul_f64_e32 v[158:159], v[20:21], v[122:123]
	v_mul_f64_e32 v[122:123], v[22:23], v[122:123]
	v_fmac_f64_e32 v[160:161], v[6:7], v[116:117]
	v_fma_f64 v[164:165], v[4:5], v[116:117], -v[118:119]
	v_add_f64_e32 v[166:167], v[114:115], v[112:113]
	v_add_f64_e32 v[156:157], v[156:157], v[162:163]
	ds_load_b128 v[4:7], v2 offset:960
	ds_load_b128 v[112:115], v2 offset:976
	scratch_load_b128 v[116:119], off, off offset:432
	v_fmac_f64_e32 v[158:159], v[22:23], v[120:121]
	v_fma_f64 v[120:121], v[20:21], v[120:121], -v[122:123]
	scratch_load_b128 v[20:23], off, off offset:448
	s_wait_loadcnt_dscnt 0xc01
	v_mul_f64_e32 v[162:163], v[4:5], v[126:127]
	v_mul_f64_e32 v[126:127], v[6:7], v[126:127]
	v_add_f64_e32 v[122:123], v[166:167], v[164:165]
	v_add_f64_e32 v[156:157], v[156:157], v[160:161]
	s_wait_loadcnt_dscnt 0xb00
	v_mul_f64_e32 v[160:161], v[112:113], v[130:131]
	v_mul_f64_e32 v[130:131], v[114:115], v[130:131]
	v_fmac_f64_e32 v[162:163], v[6:7], v[124:125]
	v_fma_f64 v[164:165], v[4:5], v[124:125], -v[126:127]
	v_add_f64_e32 v[166:167], v[122:123], v[120:121]
	v_add_f64_e32 v[156:157], v[156:157], v[158:159]
	ds_load_b128 v[4:7], v2 offset:992
	ds_load_b128 v[120:123], v2 offset:1008
	scratch_load_b128 v[124:127], off, off offset:464
	v_fmac_f64_e32 v[160:161], v[114:115], v[128:129]
	v_fma_f64 v[128:129], v[112:113], v[128:129], -v[130:131]
	scratch_load_b128 v[112:115], off, off offset:480
	s_wait_loadcnt_dscnt 0xc01
	v_mul_f64_e32 v[158:159], v[4:5], v[138:139]
	v_mul_f64_e32 v[138:139], v[6:7], v[138:139]
	;; [unrolled: 18-line block ×5, first 2 shown]
	v_add_f64_e32 v[150:151], v[166:167], v[164:165]
	v_add_f64_e32 v[156:157], v[156:157], v[162:163]
	s_wait_loadcnt_dscnt 0xa00
	v_mul_f64_e32 v[162:163], v[128:129], v[14:15]
	v_mul_f64_e32 v[14:15], v[130:131], v[14:15]
	v_fmac_f64_e32 v[158:159], v[6:7], v[132:133]
	v_fma_f64 v[164:165], v[4:5], v[132:133], -v[134:135]
	ds_load_b128 v[4:7], v2 offset:1120
	ds_load_b128 v[132:135], v2 offset:1136
	v_add_f64_e32 v[166:167], v[150:151], v[148:149]
	v_add_f64_e32 v[156:157], v[156:157], v[160:161]
	scratch_load_b128 v[148:151], off, off offset:592
	v_fmac_f64_e32 v[162:163], v[130:131], v[12:13]
	v_fma_f64 v[128:129], v[128:129], v[12:13], -v[14:15]
	scratch_load_b128 v[12:15], off, off offset:608
	s_wait_loadcnt_dscnt 0xb01
	v_mul_f64_e32 v[160:161], v[4:5], v[118:119]
	v_mul_f64_e32 v[118:119], v[6:7], v[118:119]
	v_add_f64_e32 v[130:131], v[166:167], v[164:165]
	v_add_f64_e32 v[156:157], v[156:157], v[158:159]
	s_wait_loadcnt_dscnt 0xa00
	v_mul_f64_e32 v[158:159], v[132:133], v[22:23]
	v_mul_f64_e32 v[22:23], v[134:135], v[22:23]
	v_fmac_f64_e32 v[160:161], v[6:7], v[116:117]
	v_fma_f64 v[164:165], v[4:5], v[116:117], -v[118:119]
	ds_load_b128 v[4:7], v2 offset:1152
	ds_load_b128 v[116:119], v2 offset:1168
	v_add_f64_e32 v[166:167], v[130:131], v[128:129]
	v_add_f64_e32 v[156:157], v[156:157], v[162:163]
	scratch_load_b128 v[128:131], off, off offset:624
	s_wait_loadcnt_dscnt 0xa01
	v_mul_f64_e32 v[162:163], v[4:5], v[126:127]
	v_mul_f64_e32 v[126:127], v[6:7], v[126:127]
	v_fmac_f64_e32 v[158:159], v[134:135], v[20:21]
	v_fma_f64 v[132:133], v[132:133], v[20:21], -v[22:23]
	scratch_load_b128 v[20:23], off, off offset:640
	v_add_f64_e32 v[134:135], v[166:167], v[164:165]
	v_add_f64_e32 v[156:157], v[156:157], v[160:161]
	s_wait_loadcnt_dscnt 0xa00
	v_mul_f64_e32 v[160:161], v[116:117], v[114:115]
	v_mul_f64_e32 v[114:115], v[118:119], v[114:115]
	v_fmac_f64_e32 v[162:163], v[6:7], v[124:125]
	v_fma_f64 v[164:165], v[4:5], v[124:125], -v[126:127]
	ds_load_b128 v[4:7], v2 offset:1184
	ds_load_b128 v[124:127], v2 offset:1200
	v_add_f64_e32 v[166:167], v[134:135], v[132:133]
	v_add_f64_e32 v[156:157], v[156:157], v[158:159]
	scratch_load_b128 v[132:135], off, off offset:656
	s_wait_loadcnt_dscnt 0xa01
	v_mul_f64_e32 v[158:159], v[4:5], v[138:139]
	v_mul_f64_e32 v[138:139], v[6:7], v[138:139]
	v_fmac_f64_e32 v[160:161], v[118:119], v[112:113]
	v_fma_f64 v[116:117], v[116:117], v[112:113], -v[114:115]
	scratch_load_b128 v[112:115], off, off offset:672
	v_add_f64_e32 v[118:119], v[166:167], v[164:165]
	v_add_f64_e32 v[156:157], v[156:157], v[162:163]
	s_wait_loadcnt_dscnt 0xa00
	v_mul_f64_e32 v[162:163], v[124:125], v[122:123]
	v_mul_f64_e32 v[122:123], v[126:127], v[122:123]
	v_fmac_f64_e32 v[158:159], v[6:7], v[136:137]
	v_fma_f64 v[136:137], v[4:5], v[136:137], -v[138:139]
	v_add_f64_e32 v[138:139], v[118:119], v[116:117]
	v_add_f64_e32 v[156:157], v[156:157], v[160:161]
	ds_load_b128 v[4:7], v2 offset:1216
	ds_load_b128 v[116:119], v2 offset:1232
	v_fmac_f64_e32 v[162:163], v[126:127], v[120:121]
	v_fma_f64 v[120:121], v[124:125], v[120:121], -v[122:123]
	s_wait_loadcnt_dscnt 0x901
	v_mul_f64_e32 v[160:161], v[4:5], v[154:155]
	v_mul_f64_e32 v[154:155], v[6:7], v[154:155]
	s_wait_loadcnt_dscnt 0x800
	v_mul_f64_e32 v[126:127], v[116:117], v[10:11]
	v_mul_f64_e32 v[10:11], v[118:119], v[10:11]
	v_add_f64_e32 v[122:123], v[138:139], v[136:137]
	v_add_f64_e32 v[124:125], v[156:157], v[158:159]
	v_fmac_f64_e32 v[160:161], v[6:7], v[152:153]
	v_fma_f64 v[136:137], v[4:5], v[152:153], -v[154:155]
	v_fmac_f64_e32 v[126:127], v[118:119], v[8:9]
	v_fma_f64 v[8:9], v[116:117], v[8:9], -v[10:11]
	v_add_f64_e32 v[138:139], v[122:123], v[120:121]
	v_add_f64_e32 v[124:125], v[124:125], v[162:163]
	ds_load_b128 v[4:7], v2 offset:1248
	ds_load_b128 v[120:123], v2 offset:1264
	s_wait_loadcnt_dscnt 0x701
	v_mul_f64_e32 v[152:153], v[4:5], v[142:143]
	v_mul_f64_e32 v[142:143], v[6:7], v[142:143]
	s_wait_loadcnt_dscnt 0x600
	v_mul_f64_e32 v[118:119], v[120:121], v[18:19]
	v_mul_f64_e32 v[18:19], v[122:123], v[18:19]
	v_add_f64_e32 v[10:11], v[138:139], v[136:137]
	v_add_f64_e32 v[116:117], v[124:125], v[160:161]
	v_fmac_f64_e32 v[152:153], v[6:7], v[140:141]
	v_fma_f64 v[124:125], v[4:5], v[140:141], -v[142:143]
	v_fmac_f64_e32 v[118:119], v[122:123], v[16:17]
	v_fma_f64 v[16:17], v[120:121], v[16:17], -v[18:19]
	v_add_f64_e32 v[136:137], v[10:11], v[8:9]
	v_add_f64_e32 v[116:117], v[116:117], v[126:127]
	ds_load_b128 v[4:7], v2 offset:1280
	ds_load_b128 v[8:11], v2 offset:1296
	;; [unrolled: 16-line block ×3, first 2 shown]
	s_wait_loadcnt_dscnt 0x301
	v_mul_f64_e32 v[118:119], v[4:5], v[130:131]
	v_mul_f64_e32 v[130:131], v[6:7], v[130:131]
	v_add_f64_e32 v[10:11], v[18:19], v[124:125]
	v_add_f64_e32 v[12:13], v[116:117], v[126:127]
	s_wait_loadcnt_dscnt 0x200
	v_mul_f64_e32 v[18:19], v[14:15], v[22:23]
	v_mul_f64_e32 v[22:23], v[16:17], v[22:23]
	v_fmac_f64_e32 v[118:119], v[6:7], v[128:129]
	v_fma_f64 v[116:117], v[4:5], v[128:129], -v[130:131]
	v_add_f64_e32 v[122:123], v[10:11], v[8:9]
	v_add_f64_e32 v[12:13], v[12:13], v[120:121]
	ds_load_b128 v[4:7], v2 offset:1344
	ds_load_b128 v[8:11], v2 offset:1360
	v_fmac_f64_e32 v[18:19], v[16:17], v[20:21]
	v_fma_f64 v[14:15], v[14:15], v[20:21], -v[22:23]
	s_wait_loadcnt_dscnt 0x101
	v_mul_f64_e32 v[2:3], v[4:5], v[134:135]
	v_mul_f64_e32 v[120:121], v[6:7], v[134:135]
	s_wait_loadcnt_dscnt 0x0
	v_mul_f64_e32 v[20:21], v[8:9], v[114:115]
	v_mul_f64_e32 v[22:23], v[10:11], v[114:115]
	v_add_f64_e32 v[16:17], v[122:123], v[116:117]
	v_add_f64_e32 v[12:13], v[12:13], v[118:119]
	v_fmac_f64_e32 v[2:3], v[6:7], v[132:133]
	v_fma_f64 v[4:5], v[4:5], v[132:133], -v[120:121]
	v_fmac_f64_e32 v[20:21], v[10:11], v[112:113]
	v_fma_f64 v[8:9], v[8:9], v[112:113], -v[22:23]
	v_add_f64_e32 v[6:7], v[16:17], v[14:15]
	v_add_f64_e32 v[12:13], v[12:13], v[18:19]
	s_delay_alu instid0(VALU_DEP_2) | instskip(NEXT) | instid1(VALU_DEP_2)
	v_add_f64_e32 v[4:5], v[6:7], v[4:5]
	v_add_f64_e32 v[2:3], v[12:13], v[2:3]
	s_delay_alu instid0(VALU_DEP_2) | instskip(NEXT) | instid1(VALU_DEP_2)
	v_add_f64_e32 v[4:5], v[4:5], v[8:9]
	v_add_f64_e32 v[6:7], v[2:3], v[20:21]
	s_delay_alu instid0(VALU_DEP_2) | instskip(NEXT) | instid1(VALU_DEP_2)
	v_add_f64_e64 v[2:3], v[144:145], -v[4:5]
	v_add_f64_e64 v[4:5], v[146:147], -v[6:7]
	scratch_store_b128 off, v[2:5], off offset:128
	s_wait_xcnt 0x0
	v_cmpx_lt_u32_e32 7, v1
	s_cbranch_execz .LBB106_257
; %bb.256:
	scratch_load_b128 v[2:5], off, s52
	v_mov_b32_e32 v6, 0
	s_delay_alu instid0(VALU_DEP_1)
	v_dual_mov_b32 v7, v6 :: v_dual_mov_b32 v8, v6
	v_mov_b32_e32 v9, v6
	scratch_store_b128 off, v[6:9], off offset:112
	s_wait_loadcnt 0x0
	ds_store_b128 v110, v[2:5]
.LBB106_257:
	s_wait_xcnt 0x0
	s_or_b32 exec_lo, exec_lo, s2
	s_wait_storecnt_dscnt 0x0
	s_barrier_signal -1
	s_barrier_wait -1
	s_clause 0x9
	scratch_load_b128 v[4:7], off, off offset:128
	scratch_load_b128 v[8:11], off, off offset:144
	;; [unrolled: 1-line block ×10, first 2 shown]
	v_mov_b32_e32 v2, 0
	s_mov_b32 s2, exec_lo
	ds_load_b128 v[132:135], v2 offset:816
	s_clause 0x2
	scratch_load_b128 v[136:139], off, off offset:288
	scratch_load_b128 v[140:143], off, off offset:112
	;; [unrolled: 1-line block ×3, first 2 shown]
	s_wait_loadcnt_dscnt 0xc00
	v_mul_f64_e32 v[152:153], v[134:135], v[6:7]
	v_mul_f64_e32 v[156:157], v[132:133], v[6:7]
	ds_load_b128 v[144:147], v2 offset:832
	v_fma_f64 v[160:161], v[132:133], v[4:5], -v[152:153]
	v_fmac_f64_e32 v[156:157], v[134:135], v[4:5]
	ds_load_b128 v[4:7], v2 offset:848
	s_wait_loadcnt_dscnt 0xb01
	v_mul_f64_e32 v[158:159], v[144:145], v[10:11]
	v_mul_f64_e32 v[10:11], v[146:147], v[10:11]
	scratch_load_b128 v[132:135], off, off offset:320
	ds_load_b128 v[152:155], v2 offset:864
	s_wait_loadcnt_dscnt 0xb01
	v_mul_f64_e32 v[162:163], v[4:5], v[14:15]
	v_mul_f64_e32 v[14:15], v[6:7], v[14:15]
	v_add_f64_e32 v[156:157], 0, v[156:157]
	v_fmac_f64_e32 v[158:159], v[146:147], v[8:9]
	v_fma_f64 v[144:145], v[144:145], v[8:9], -v[10:11]
	v_add_f64_e32 v[146:147], 0, v[160:161]
	scratch_load_b128 v[8:11], off, off offset:336
	v_fmac_f64_e32 v[162:163], v[6:7], v[12:13]
	v_fma_f64 v[164:165], v[4:5], v[12:13], -v[14:15]
	ds_load_b128 v[4:7], v2 offset:880
	s_wait_loadcnt_dscnt 0xb01
	v_mul_f64_e32 v[160:161], v[152:153], v[18:19]
	v_mul_f64_e32 v[18:19], v[154:155], v[18:19]
	scratch_load_b128 v[12:15], off, off offset:352
	v_add_f64_e32 v[156:157], v[156:157], v[158:159]
	v_add_f64_e32 v[166:167], v[146:147], v[144:145]
	ds_load_b128 v[144:147], v2 offset:896
	s_wait_loadcnt_dscnt 0xb01
	v_mul_f64_e32 v[158:159], v[4:5], v[22:23]
	v_mul_f64_e32 v[22:23], v[6:7], v[22:23]
	v_fmac_f64_e32 v[160:161], v[154:155], v[16:17]
	v_fma_f64 v[152:153], v[152:153], v[16:17], -v[18:19]
	scratch_load_b128 v[16:19], off, off offset:368
	v_add_f64_e32 v[156:157], v[156:157], v[162:163]
	v_add_f64_e32 v[154:155], v[166:167], v[164:165]
	v_fmac_f64_e32 v[158:159], v[6:7], v[20:21]
	v_fma_f64 v[164:165], v[4:5], v[20:21], -v[22:23]
	ds_load_b128 v[4:7], v2 offset:912
	s_wait_loadcnt_dscnt 0xb01
	v_mul_f64_e32 v[162:163], v[144:145], v[114:115]
	v_mul_f64_e32 v[114:115], v[146:147], v[114:115]
	scratch_load_b128 v[20:23], off, off offset:384
	v_add_f64_e32 v[156:157], v[156:157], v[160:161]
	s_wait_loadcnt_dscnt 0xb00
	v_mul_f64_e32 v[160:161], v[4:5], v[118:119]
	v_add_f64_e32 v[166:167], v[154:155], v[152:153]
	v_mul_f64_e32 v[118:119], v[6:7], v[118:119]
	ds_load_b128 v[152:155], v2 offset:928
	v_fmac_f64_e32 v[162:163], v[146:147], v[112:113]
	v_fma_f64 v[144:145], v[144:145], v[112:113], -v[114:115]
	scratch_load_b128 v[112:115], off, off offset:400
	v_add_f64_e32 v[156:157], v[156:157], v[158:159]
	v_fmac_f64_e32 v[160:161], v[6:7], v[116:117]
	v_add_f64_e32 v[146:147], v[166:167], v[164:165]
	v_fma_f64 v[164:165], v[4:5], v[116:117], -v[118:119]
	ds_load_b128 v[4:7], v2 offset:944
	s_wait_loadcnt_dscnt 0xb01
	v_mul_f64_e32 v[158:159], v[152:153], v[122:123]
	v_mul_f64_e32 v[122:123], v[154:155], v[122:123]
	scratch_load_b128 v[116:119], off, off offset:416
	v_add_f64_e32 v[156:157], v[156:157], v[162:163]
	s_wait_loadcnt_dscnt 0xb00
	v_mul_f64_e32 v[162:163], v[4:5], v[126:127]
	v_add_f64_e32 v[166:167], v[146:147], v[144:145]
	v_mul_f64_e32 v[126:127], v[6:7], v[126:127]
	ds_load_b128 v[144:147], v2 offset:960
	v_fmac_f64_e32 v[158:159], v[154:155], v[120:121]
	v_fma_f64 v[152:153], v[152:153], v[120:121], -v[122:123]
	scratch_load_b128 v[120:123], off, off offset:432
	v_add_f64_e32 v[156:157], v[156:157], v[160:161]
	v_fmac_f64_e32 v[162:163], v[6:7], v[124:125]
	v_add_f64_e32 v[154:155], v[166:167], v[164:165]
	;; [unrolled: 18-line block ×3, first 2 shown]
	v_fma_f64 v[164:165], v[4:5], v[136:137], -v[138:139]
	ds_load_b128 v[4:7], v2 offset:1008
	s_wait_loadcnt_dscnt 0xa01
	v_mul_f64_e32 v[162:163], v[152:153], v[150:151]
	v_mul_f64_e32 v[150:151], v[154:155], v[150:151]
	scratch_load_b128 v[136:139], off, off offset:480
	v_add_f64_e32 v[156:157], v[156:157], v[160:161]
	v_add_f64_e32 v[166:167], v[146:147], v[144:145]
	s_wait_loadcnt_dscnt 0xa00
	v_mul_f64_e32 v[160:161], v[4:5], v[134:135]
	v_mul_f64_e32 v[134:135], v[6:7], v[134:135]
	v_fmac_f64_e32 v[162:163], v[154:155], v[148:149]
	v_fma_f64 v[152:153], v[152:153], v[148:149], -v[150:151]
	ds_load_b128 v[144:147], v2 offset:1024
	scratch_load_b128 v[148:151], off, off offset:496
	v_add_f64_e32 v[156:157], v[156:157], v[158:159]
	v_add_f64_e32 v[154:155], v[166:167], v[164:165]
	v_fmac_f64_e32 v[160:161], v[6:7], v[132:133]
	v_fma_f64 v[164:165], v[4:5], v[132:133], -v[134:135]
	ds_load_b128 v[4:7], v2 offset:1040
	s_wait_loadcnt_dscnt 0xa01
	v_mul_f64_e32 v[158:159], v[144:145], v[10:11]
	v_mul_f64_e32 v[10:11], v[146:147], v[10:11]
	scratch_load_b128 v[132:135], off, off offset:512
	v_add_f64_e32 v[156:157], v[156:157], v[162:163]
	s_wait_loadcnt_dscnt 0xa00
	v_mul_f64_e32 v[162:163], v[4:5], v[14:15]
	v_add_f64_e32 v[166:167], v[154:155], v[152:153]
	v_mul_f64_e32 v[14:15], v[6:7], v[14:15]
	ds_load_b128 v[152:155], v2 offset:1056
	v_fmac_f64_e32 v[158:159], v[146:147], v[8:9]
	v_fma_f64 v[144:145], v[144:145], v[8:9], -v[10:11]
	scratch_load_b128 v[8:11], off, off offset:528
	v_add_f64_e32 v[156:157], v[156:157], v[160:161]
	v_fmac_f64_e32 v[162:163], v[6:7], v[12:13]
	v_add_f64_e32 v[146:147], v[166:167], v[164:165]
	v_fma_f64 v[164:165], v[4:5], v[12:13], -v[14:15]
	ds_load_b128 v[4:7], v2 offset:1072
	s_wait_loadcnt_dscnt 0xa01
	v_mul_f64_e32 v[160:161], v[152:153], v[18:19]
	v_mul_f64_e32 v[18:19], v[154:155], v[18:19]
	scratch_load_b128 v[12:15], off, off offset:544
	v_add_f64_e32 v[156:157], v[156:157], v[158:159]
	s_wait_loadcnt_dscnt 0xa00
	v_mul_f64_e32 v[158:159], v[4:5], v[22:23]
	v_add_f64_e32 v[166:167], v[146:147], v[144:145]
	v_mul_f64_e32 v[22:23], v[6:7], v[22:23]
	ds_load_b128 v[144:147], v2 offset:1088
	v_fmac_f64_e32 v[160:161], v[154:155], v[16:17]
	v_fma_f64 v[152:153], v[152:153], v[16:17], -v[18:19]
	scratch_load_b128 v[16:19], off, off offset:560
	v_add_f64_e32 v[156:157], v[156:157], v[162:163]
	v_fmac_f64_e32 v[158:159], v[6:7], v[20:21]
	v_add_f64_e32 v[154:155], v[166:167], v[164:165]
	;; [unrolled: 18-line block ×5, first 2 shown]
	v_fma_f64 v[164:165], v[4:5], v[136:137], -v[138:139]
	ds_load_b128 v[4:7], v2 offset:1200
	s_wait_loadcnt_dscnt 0xa01
	v_mul_f64_e32 v[162:163], v[152:153], v[150:151]
	v_mul_f64_e32 v[150:151], v[154:155], v[150:151]
	scratch_load_b128 v[136:139], off, off offset:672
	v_add_f64_e32 v[156:157], v[156:157], v[160:161]
	s_wait_loadcnt_dscnt 0xa00
	v_mul_f64_e32 v[160:161], v[4:5], v[134:135]
	v_add_f64_e32 v[166:167], v[146:147], v[144:145]
	v_mul_f64_e32 v[134:135], v[6:7], v[134:135]
	ds_load_b128 v[144:147], v2 offset:1216
	v_fmac_f64_e32 v[162:163], v[154:155], v[148:149]
	v_fma_f64 v[148:149], v[152:153], v[148:149], -v[150:151]
	s_wait_loadcnt_dscnt 0x900
	v_mul_f64_e32 v[154:155], v[144:145], v[10:11]
	v_mul_f64_e32 v[10:11], v[146:147], v[10:11]
	v_add_f64_e32 v[152:153], v[156:157], v[158:159]
	v_fmac_f64_e32 v[160:161], v[6:7], v[132:133]
	v_add_f64_e32 v[150:151], v[166:167], v[164:165]
	v_fma_f64 v[156:157], v[4:5], v[132:133], -v[134:135]
	ds_load_b128 v[4:7], v2 offset:1232
	ds_load_b128 v[132:135], v2 offset:1248
	v_fmac_f64_e32 v[154:155], v[146:147], v[8:9]
	v_fma_f64 v[8:9], v[144:145], v[8:9], -v[10:11]
	v_add_f64_e32 v[148:149], v[150:151], v[148:149]
	v_add_f64_e32 v[150:151], v[152:153], v[162:163]
	s_wait_loadcnt_dscnt 0x801
	v_mul_f64_e32 v[152:153], v[4:5], v[14:15]
	v_mul_f64_e32 v[14:15], v[6:7], v[14:15]
	s_wait_loadcnt_dscnt 0x700
	v_mul_f64_e32 v[146:147], v[132:133], v[18:19]
	v_mul_f64_e32 v[18:19], v[134:135], v[18:19]
	v_add_f64_e32 v[10:11], v[148:149], v[156:157]
	v_add_f64_e32 v[144:145], v[150:151], v[160:161]
	v_fmac_f64_e32 v[152:153], v[6:7], v[12:13]
	v_fma_f64 v[12:13], v[4:5], v[12:13], -v[14:15]
	v_fmac_f64_e32 v[146:147], v[134:135], v[16:17]
	v_fma_f64 v[16:17], v[132:133], v[16:17], -v[18:19]
	v_add_f64_e32 v[14:15], v[10:11], v[8:9]
	v_add_f64_e32 v[144:145], v[144:145], v[154:155]
	ds_load_b128 v[4:7], v2 offset:1264
	ds_load_b128 v[8:11], v2 offset:1280
	s_wait_loadcnt_dscnt 0x601
	v_mul_f64_e32 v[148:149], v[4:5], v[22:23]
	v_mul_f64_e32 v[22:23], v[6:7], v[22:23]
	s_wait_loadcnt_dscnt 0x500
	v_mul_f64_e32 v[18:19], v[8:9], v[114:115]
	v_mul_f64_e32 v[114:115], v[10:11], v[114:115]
	v_add_f64_e32 v[12:13], v[14:15], v[12:13]
	v_add_f64_e32 v[14:15], v[144:145], v[152:153]
	v_fmac_f64_e32 v[148:149], v[6:7], v[20:21]
	v_fma_f64 v[20:21], v[4:5], v[20:21], -v[22:23]
	v_fmac_f64_e32 v[18:19], v[10:11], v[112:113]
	v_fma_f64 v[8:9], v[8:9], v[112:113], -v[114:115]
	v_add_f64_e32 v[16:17], v[12:13], v[16:17]
	v_add_f64_e32 v[22:23], v[14:15], v[146:147]
	ds_load_b128 v[4:7], v2 offset:1296
	ds_load_b128 v[12:15], v2 offset:1312
	s_wait_loadcnt_dscnt 0x401
	v_mul_f64_e32 v[132:133], v[4:5], v[118:119]
	v_mul_f64_e32 v[118:119], v[6:7], v[118:119]
	v_add_f64_e32 v[10:11], v[16:17], v[20:21]
	v_add_f64_e32 v[16:17], v[22:23], v[148:149]
	s_wait_loadcnt_dscnt 0x300
	v_mul_f64_e32 v[20:21], v[12:13], v[122:123]
	v_mul_f64_e32 v[22:23], v[14:15], v[122:123]
	v_fmac_f64_e32 v[132:133], v[6:7], v[116:117]
	v_fma_f64 v[112:113], v[4:5], v[116:117], -v[118:119]
	v_add_f64_e32 v[114:115], v[10:11], v[8:9]
	v_add_f64_e32 v[16:17], v[16:17], v[18:19]
	ds_load_b128 v[4:7], v2 offset:1328
	ds_load_b128 v[8:11], v2 offset:1344
	v_fmac_f64_e32 v[20:21], v[14:15], v[120:121]
	v_fma_f64 v[12:13], v[12:13], v[120:121], -v[22:23]
	s_wait_loadcnt_dscnt 0x201
	v_mul_f64_e32 v[18:19], v[4:5], v[126:127]
	v_mul_f64_e32 v[116:117], v[6:7], v[126:127]
	s_wait_loadcnt_dscnt 0x100
	v_mul_f64_e32 v[22:23], v[8:9], v[130:131]
	v_add_f64_e32 v[14:15], v[114:115], v[112:113]
	v_add_f64_e32 v[16:17], v[16:17], v[132:133]
	v_mul_f64_e32 v[112:113], v[10:11], v[130:131]
	v_fmac_f64_e32 v[18:19], v[6:7], v[124:125]
	v_fma_f64 v[114:115], v[4:5], v[124:125], -v[116:117]
	ds_load_b128 v[4:7], v2 offset:1360
	v_fmac_f64_e32 v[22:23], v[10:11], v[128:129]
	v_add_f64_e32 v[12:13], v[14:15], v[12:13]
	v_add_f64_e32 v[14:15], v[16:17], v[20:21]
	v_fma_f64 v[8:9], v[8:9], v[128:129], -v[112:113]
	s_wait_loadcnt_dscnt 0x0
	v_mul_f64_e32 v[16:17], v[4:5], v[138:139]
	v_mul_f64_e32 v[20:21], v[6:7], v[138:139]
	v_add_f64_e32 v[10:11], v[12:13], v[114:115]
	v_add_f64_e32 v[12:13], v[14:15], v[18:19]
	s_delay_alu instid0(VALU_DEP_4) | instskip(NEXT) | instid1(VALU_DEP_4)
	v_fmac_f64_e32 v[16:17], v[6:7], v[136:137]
	v_fma_f64 v[4:5], v[4:5], v[136:137], -v[20:21]
	s_delay_alu instid0(VALU_DEP_4) | instskip(NEXT) | instid1(VALU_DEP_4)
	v_add_f64_e32 v[6:7], v[10:11], v[8:9]
	v_add_f64_e32 v[8:9], v[12:13], v[22:23]
	s_delay_alu instid0(VALU_DEP_2) | instskip(NEXT) | instid1(VALU_DEP_2)
	v_add_f64_e32 v[4:5], v[6:7], v[4:5]
	v_add_f64_e32 v[6:7], v[8:9], v[16:17]
	s_delay_alu instid0(VALU_DEP_2) | instskip(NEXT) | instid1(VALU_DEP_2)
	v_add_f64_e64 v[4:5], v[140:141], -v[4:5]
	v_add_f64_e64 v[6:7], v[142:143], -v[6:7]
	scratch_store_b128 off, v[4:7], off offset:112
	s_wait_xcnt 0x0
	v_cmpx_lt_u32_e32 6, v1
	s_cbranch_execz .LBB106_259
; %bb.258:
	scratch_load_b128 v[6:9], off, s53
	v_dual_mov_b32 v3, v2 :: v_dual_mov_b32 v4, v2
	v_mov_b32_e32 v5, v2
	scratch_store_b128 off, v[2:5], off offset:96
	s_wait_loadcnt 0x0
	ds_store_b128 v110, v[6:9]
.LBB106_259:
	s_wait_xcnt 0x0
	s_or_b32 exec_lo, exec_lo, s2
	s_wait_storecnt_dscnt 0x0
	s_barrier_signal -1
	s_barrier_wait -1
	s_clause 0x9
	scratch_load_b128 v[4:7], off, off offset:112
	scratch_load_b128 v[8:11], off, off offset:128
	;; [unrolled: 1-line block ×10, first 2 shown]
	ds_load_b128 v[132:135], v2 offset:800
	ds_load_b128 v[140:143], v2 offset:816
	s_clause 0x2
	scratch_load_b128 v[136:139], off, off offset:272
	scratch_load_b128 v[144:147], off, off offset:96
	;; [unrolled: 1-line block ×3, first 2 shown]
	s_mov_b32 s2, exec_lo
	s_wait_loadcnt_dscnt 0xc01
	v_mul_f64_e32 v[152:153], v[134:135], v[6:7]
	v_mul_f64_e32 v[156:157], v[132:133], v[6:7]
	s_wait_loadcnt_dscnt 0xb00
	v_mul_f64_e32 v[158:159], v[140:141], v[10:11]
	v_mul_f64_e32 v[10:11], v[142:143], v[10:11]
	s_delay_alu instid0(VALU_DEP_4) | instskip(NEXT) | instid1(VALU_DEP_4)
	v_fma_f64 v[160:161], v[132:133], v[4:5], -v[152:153]
	v_fmac_f64_e32 v[156:157], v[134:135], v[4:5]
	ds_load_b128 v[4:7], v2 offset:832
	ds_load_b128 v[132:135], v2 offset:848
	scratch_load_b128 v[152:155], off, off offset:304
	v_fmac_f64_e32 v[158:159], v[142:143], v[8:9]
	v_fma_f64 v[140:141], v[140:141], v[8:9], -v[10:11]
	scratch_load_b128 v[8:11], off, off offset:320
	s_wait_loadcnt_dscnt 0xc01
	v_mul_f64_e32 v[162:163], v[4:5], v[14:15]
	v_mul_f64_e32 v[14:15], v[6:7], v[14:15]
	v_add_f64_e32 v[142:143], 0, v[160:161]
	v_add_f64_e32 v[156:157], 0, v[156:157]
	s_wait_loadcnt_dscnt 0xb00
	v_mul_f64_e32 v[160:161], v[132:133], v[18:19]
	v_mul_f64_e32 v[18:19], v[134:135], v[18:19]
	v_fmac_f64_e32 v[162:163], v[6:7], v[12:13]
	v_fma_f64 v[164:165], v[4:5], v[12:13], -v[14:15]
	ds_load_b128 v[4:7], v2 offset:864
	ds_load_b128 v[12:15], v2 offset:880
	v_add_f64_e32 v[166:167], v[142:143], v[140:141]
	v_add_f64_e32 v[156:157], v[156:157], v[158:159]
	scratch_load_b128 v[140:143], off, off offset:336
	v_fmac_f64_e32 v[160:161], v[134:135], v[16:17]
	v_fma_f64 v[132:133], v[132:133], v[16:17], -v[18:19]
	scratch_load_b128 v[16:19], off, off offset:352
	s_wait_loadcnt_dscnt 0xc01
	v_mul_f64_e32 v[158:159], v[4:5], v[22:23]
	v_mul_f64_e32 v[22:23], v[6:7], v[22:23]
	v_add_f64_e32 v[134:135], v[166:167], v[164:165]
	v_add_f64_e32 v[156:157], v[156:157], v[162:163]
	s_wait_loadcnt_dscnt 0xb00
	v_mul_f64_e32 v[162:163], v[12:13], v[114:115]
	v_mul_f64_e32 v[114:115], v[14:15], v[114:115]
	v_fmac_f64_e32 v[158:159], v[6:7], v[20:21]
	v_fma_f64 v[164:165], v[4:5], v[20:21], -v[22:23]
	ds_load_b128 v[4:7], v2 offset:896
	ds_load_b128 v[20:23], v2 offset:912
	v_add_f64_e32 v[166:167], v[134:135], v[132:133]
	v_add_f64_e32 v[156:157], v[156:157], v[160:161]
	scratch_load_b128 v[132:135], off, off offset:368
	s_wait_loadcnt_dscnt 0xb01
	v_mul_f64_e32 v[160:161], v[4:5], v[118:119]
	v_mul_f64_e32 v[118:119], v[6:7], v[118:119]
	v_fmac_f64_e32 v[162:163], v[14:15], v[112:113]
	v_fma_f64 v[112:113], v[12:13], v[112:113], -v[114:115]
	scratch_load_b128 v[12:15], off, off offset:384
	v_add_f64_e32 v[114:115], v[166:167], v[164:165]
	v_add_f64_e32 v[156:157], v[156:157], v[158:159]
	s_wait_loadcnt_dscnt 0xb00
	v_mul_f64_e32 v[158:159], v[20:21], v[122:123]
	v_mul_f64_e32 v[122:123], v[22:23], v[122:123]
	v_fmac_f64_e32 v[160:161], v[6:7], v[116:117]
	v_fma_f64 v[164:165], v[4:5], v[116:117], -v[118:119]
	v_add_f64_e32 v[166:167], v[114:115], v[112:113]
	v_add_f64_e32 v[156:157], v[156:157], v[162:163]
	ds_load_b128 v[4:7], v2 offset:928
	ds_load_b128 v[112:115], v2 offset:944
	scratch_load_b128 v[116:119], off, off offset:400
	v_fmac_f64_e32 v[158:159], v[22:23], v[120:121]
	v_fma_f64 v[120:121], v[20:21], v[120:121], -v[122:123]
	scratch_load_b128 v[20:23], off, off offset:416
	s_wait_loadcnt_dscnt 0xc01
	v_mul_f64_e32 v[162:163], v[4:5], v[126:127]
	v_mul_f64_e32 v[126:127], v[6:7], v[126:127]
	v_add_f64_e32 v[122:123], v[166:167], v[164:165]
	v_add_f64_e32 v[156:157], v[156:157], v[160:161]
	s_wait_loadcnt_dscnt 0xb00
	v_mul_f64_e32 v[160:161], v[112:113], v[130:131]
	v_mul_f64_e32 v[130:131], v[114:115], v[130:131]
	v_fmac_f64_e32 v[162:163], v[6:7], v[124:125]
	v_fma_f64 v[164:165], v[4:5], v[124:125], -v[126:127]
	v_add_f64_e32 v[166:167], v[122:123], v[120:121]
	v_add_f64_e32 v[156:157], v[156:157], v[158:159]
	ds_load_b128 v[4:7], v2 offset:960
	ds_load_b128 v[120:123], v2 offset:976
	scratch_load_b128 v[124:127], off, off offset:432
	v_fmac_f64_e32 v[160:161], v[114:115], v[128:129]
	v_fma_f64 v[128:129], v[112:113], v[128:129], -v[130:131]
	scratch_load_b128 v[112:115], off, off offset:448
	s_wait_loadcnt_dscnt 0xc01
	v_mul_f64_e32 v[158:159], v[4:5], v[138:139]
	v_mul_f64_e32 v[138:139], v[6:7], v[138:139]
	v_add_f64_e32 v[130:131], v[166:167], v[164:165]
	v_add_f64_e32 v[156:157], v[156:157], v[162:163]
	s_wait_loadcnt_dscnt 0xa00
	v_mul_f64_e32 v[162:163], v[120:121], v[150:151]
	v_mul_f64_e32 v[150:151], v[122:123], v[150:151]
	v_fmac_f64_e32 v[158:159], v[6:7], v[136:137]
	v_fma_f64 v[164:165], v[4:5], v[136:137], -v[138:139]
	v_add_f64_e32 v[166:167], v[130:131], v[128:129]
	v_add_f64_e32 v[156:157], v[156:157], v[160:161]
	ds_load_b128 v[4:7], v2 offset:992
	ds_load_b128 v[128:131], v2 offset:1008
	scratch_load_b128 v[136:139], off, off offset:464
	v_fmac_f64_e32 v[162:163], v[122:123], v[148:149]
	v_fma_f64 v[148:149], v[120:121], v[148:149], -v[150:151]
	scratch_load_b128 v[120:123], off, off offset:480
	s_wait_loadcnt_dscnt 0xb01
	v_mul_f64_e32 v[160:161], v[4:5], v[154:155]
	v_mul_f64_e32 v[154:155], v[6:7], v[154:155]
	v_add_f64_e32 v[150:151], v[166:167], v[164:165]
	v_add_f64_e32 v[156:157], v[156:157], v[158:159]
	s_wait_loadcnt_dscnt 0xa00
	v_mul_f64_e32 v[158:159], v[128:129], v[10:11]
	v_mul_f64_e32 v[10:11], v[130:131], v[10:11]
	v_fmac_f64_e32 v[160:161], v[6:7], v[152:153]
	v_fma_f64 v[164:165], v[4:5], v[152:153], -v[154:155]
	v_add_f64_e32 v[166:167], v[150:151], v[148:149]
	v_add_f64_e32 v[156:157], v[156:157], v[162:163]
	ds_load_b128 v[4:7], v2 offset:1024
	ds_load_b128 v[148:151], v2 offset:1040
	scratch_load_b128 v[152:155], off, off offset:496
	v_fmac_f64_e32 v[158:159], v[130:131], v[8:9]
	v_fma_f64 v[128:129], v[128:129], v[8:9], -v[10:11]
	scratch_load_b128 v[8:11], off, off offset:512
	s_wait_loadcnt_dscnt 0xb01
	v_mul_f64_e32 v[162:163], v[4:5], v[142:143]
	v_mul_f64_e32 v[142:143], v[6:7], v[142:143]
	v_add_f64_e32 v[130:131], v[166:167], v[164:165]
	v_add_f64_e32 v[156:157], v[156:157], v[160:161]
	s_wait_loadcnt_dscnt 0xa00
	v_mul_f64_e32 v[160:161], v[148:149], v[18:19]
	v_mul_f64_e32 v[18:19], v[150:151], v[18:19]
	v_fmac_f64_e32 v[162:163], v[6:7], v[140:141]
	v_fma_f64 v[164:165], v[4:5], v[140:141], -v[142:143]
	v_add_f64_e32 v[166:167], v[130:131], v[128:129]
	v_add_f64_e32 v[156:157], v[156:157], v[158:159]
	ds_load_b128 v[4:7], v2 offset:1056
	ds_load_b128 v[128:131], v2 offset:1072
	scratch_load_b128 v[140:143], off, off offset:528
	v_fmac_f64_e32 v[160:161], v[150:151], v[16:17]
	v_fma_f64 v[148:149], v[148:149], v[16:17], -v[18:19]
	scratch_load_b128 v[16:19], off, off offset:544
	s_wait_loadcnt_dscnt 0xb01
	v_mul_f64_e32 v[158:159], v[4:5], v[134:135]
	v_mul_f64_e32 v[134:135], v[6:7], v[134:135]
	v_add_f64_e32 v[150:151], v[166:167], v[164:165]
	v_add_f64_e32 v[156:157], v[156:157], v[162:163]
	s_wait_loadcnt_dscnt 0xa00
	v_mul_f64_e32 v[162:163], v[128:129], v[14:15]
	v_mul_f64_e32 v[14:15], v[130:131], v[14:15]
	v_fmac_f64_e32 v[158:159], v[6:7], v[132:133]
	v_fma_f64 v[164:165], v[4:5], v[132:133], -v[134:135]
	ds_load_b128 v[4:7], v2 offset:1088
	ds_load_b128 v[132:135], v2 offset:1104
	v_add_f64_e32 v[166:167], v[150:151], v[148:149]
	v_add_f64_e32 v[156:157], v[156:157], v[160:161]
	scratch_load_b128 v[148:151], off, off offset:560
	v_fmac_f64_e32 v[162:163], v[130:131], v[12:13]
	v_fma_f64 v[128:129], v[128:129], v[12:13], -v[14:15]
	scratch_load_b128 v[12:15], off, off offset:576
	s_wait_loadcnt_dscnt 0xb01
	v_mul_f64_e32 v[160:161], v[4:5], v[118:119]
	v_mul_f64_e32 v[118:119], v[6:7], v[118:119]
	v_add_f64_e32 v[130:131], v[166:167], v[164:165]
	v_add_f64_e32 v[156:157], v[156:157], v[158:159]
	s_wait_loadcnt_dscnt 0xa00
	v_mul_f64_e32 v[158:159], v[132:133], v[22:23]
	v_mul_f64_e32 v[22:23], v[134:135], v[22:23]
	v_fmac_f64_e32 v[160:161], v[6:7], v[116:117]
	v_fma_f64 v[164:165], v[4:5], v[116:117], -v[118:119]
	ds_load_b128 v[4:7], v2 offset:1120
	ds_load_b128 v[116:119], v2 offset:1136
	v_add_f64_e32 v[166:167], v[130:131], v[128:129]
	v_add_f64_e32 v[156:157], v[156:157], v[162:163]
	scratch_load_b128 v[128:131], off, off offset:592
	s_wait_loadcnt_dscnt 0xa01
	v_mul_f64_e32 v[162:163], v[4:5], v[126:127]
	v_mul_f64_e32 v[126:127], v[6:7], v[126:127]
	v_fmac_f64_e32 v[158:159], v[134:135], v[20:21]
	v_fma_f64 v[132:133], v[132:133], v[20:21], -v[22:23]
	scratch_load_b128 v[20:23], off, off offset:608
	v_add_f64_e32 v[134:135], v[166:167], v[164:165]
	v_add_f64_e32 v[156:157], v[156:157], v[160:161]
	s_wait_loadcnt_dscnt 0xa00
	v_mul_f64_e32 v[160:161], v[116:117], v[114:115]
	v_mul_f64_e32 v[114:115], v[118:119], v[114:115]
	v_fmac_f64_e32 v[162:163], v[6:7], v[124:125]
	v_fma_f64 v[164:165], v[4:5], v[124:125], -v[126:127]
	ds_load_b128 v[4:7], v2 offset:1152
	ds_load_b128 v[124:127], v2 offset:1168
	v_add_f64_e32 v[166:167], v[134:135], v[132:133]
	v_add_f64_e32 v[156:157], v[156:157], v[158:159]
	scratch_load_b128 v[132:135], off, off offset:624
	s_wait_loadcnt_dscnt 0xa01
	v_mul_f64_e32 v[158:159], v[4:5], v[138:139]
	v_mul_f64_e32 v[138:139], v[6:7], v[138:139]
	v_fmac_f64_e32 v[160:161], v[118:119], v[112:113]
	v_fma_f64 v[116:117], v[116:117], v[112:113], -v[114:115]
	scratch_load_b128 v[112:115], off, off offset:640
	v_add_f64_e32 v[118:119], v[166:167], v[164:165]
	v_add_f64_e32 v[156:157], v[156:157], v[162:163]
	s_wait_loadcnt_dscnt 0xa00
	v_mul_f64_e32 v[162:163], v[124:125], v[122:123]
	v_mul_f64_e32 v[122:123], v[126:127], v[122:123]
	v_fmac_f64_e32 v[158:159], v[6:7], v[136:137]
	v_fma_f64 v[164:165], v[4:5], v[136:137], -v[138:139]
	v_add_f64_e32 v[166:167], v[118:119], v[116:117]
	v_add_f64_e32 v[156:157], v[156:157], v[160:161]
	ds_load_b128 v[4:7], v2 offset:1184
	ds_load_b128 v[116:119], v2 offset:1200
	scratch_load_b128 v[136:139], off, off offset:656
	v_fmac_f64_e32 v[162:163], v[126:127], v[120:121]
	v_fma_f64 v[124:125], v[124:125], v[120:121], -v[122:123]
	scratch_load_b128 v[120:123], off, off offset:672
	s_wait_loadcnt_dscnt 0xb01
	v_mul_f64_e32 v[160:161], v[4:5], v[154:155]
	v_mul_f64_e32 v[154:155], v[6:7], v[154:155]
	v_add_f64_e32 v[126:127], v[166:167], v[164:165]
	v_add_f64_e32 v[156:157], v[156:157], v[158:159]
	s_wait_loadcnt_dscnt 0xa00
	v_mul_f64_e32 v[158:159], v[116:117], v[10:11]
	v_mul_f64_e32 v[10:11], v[118:119], v[10:11]
	v_fmac_f64_e32 v[160:161], v[6:7], v[152:153]
	v_fma_f64 v[152:153], v[4:5], v[152:153], -v[154:155]
	v_add_f64_e32 v[154:155], v[126:127], v[124:125]
	v_add_f64_e32 v[156:157], v[156:157], v[162:163]
	ds_load_b128 v[4:7], v2 offset:1216
	ds_load_b128 v[124:127], v2 offset:1232
	v_fmac_f64_e32 v[158:159], v[118:119], v[8:9]
	v_fma_f64 v[8:9], v[116:117], v[8:9], -v[10:11]
	s_wait_loadcnt_dscnt 0x901
	v_mul_f64_e32 v[162:163], v[4:5], v[142:143]
	v_mul_f64_e32 v[142:143], v[6:7], v[142:143]
	s_wait_loadcnt_dscnt 0x800
	v_mul_f64_e32 v[118:119], v[124:125], v[18:19]
	v_mul_f64_e32 v[18:19], v[126:127], v[18:19]
	v_add_f64_e32 v[10:11], v[154:155], v[152:153]
	v_add_f64_e32 v[116:117], v[156:157], v[160:161]
	v_fmac_f64_e32 v[162:163], v[6:7], v[140:141]
	v_fma_f64 v[140:141], v[4:5], v[140:141], -v[142:143]
	v_fmac_f64_e32 v[118:119], v[126:127], v[16:17]
	v_fma_f64 v[16:17], v[124:125], v[16:17], -v[18:19]
	v_add_f64_e32 v[142:143], v[10:11], v[8:9]
	v_add_f64_e32 v[116:117], v[116:117], v[158:159]
	ds_load_b128 v[4:7], v2 offset:1248
	ds_load_b128 v[8:11], v2 offset:1264
	s_wait_loadcnt_dscnt 0x701
	v_mul_f64_e32 v[152:153], v[4:5], v[150:151]
	v_mul_f64_e32 v[150:151], v[6:7], v[150:151]
	s_wait_loadcnt_dscnt 0x600
	v_mul_f64_e32 v[124:125], v[8:9], v[14:15]
	v_mul_f64_e32 v[126:127], v[10:11], v[14:15]
	v_add_f64_e32 v[18:19], v[142:143], v[140:141]
	v_add_f64_e32 v[116:117], v[116:117], v[162:163]
	v_fmac_f64_e32 v[152:153], v[6:7], v[148:149]
	v_fma_f64 v[140:141], v[4:5], v[148:149], -v[150:151]
	v_fmac_f64_e32 v[124:125], v[10:11], v[12:13]
	v_fma_f64 v[8:9], v[8:9], v[12:13], -v[126:127]
	v_add_f64_e32 v[18:19], v[18:19], v[16:17]
	v_add_f64_e32 v[116:117], v[116:117], v[118:119]
	ds_load_b128 v[4:7], v2 offset:1280
	ds_load_b128 v[14:17], v2 offset:1296
	s_wait_loadcnt_dscnt 0x501
	v_mul_f64_e32 v[118:119], v[4:5], v[130:131]
	v_mul_f64_e32 v[130:131], v[6:7], v[130:131]
	v_add_f64_e32 v[10:11], v[18:19], v[140:141]
	v_add_f64_e32 v[12:13], v[116:117], v[152:153]
	s_wait_loadcnt_dscnt 0x400
	v_mul_f64_e32 v[18:19], v[14:15], v[22:23]
	v_mul_f64_e32 v[22:23], v[16:17], v[22:23]
	v_fmac_f64_e32 v[118:119], v[6:7], v[128:129]
	v_fma_f64 v[116:117], v[4:5], v[128:129], -v[130:131]
	v_add_f64_e32 v[126:127], v[10:11], v[8:9]
	v_add_f64_e32 v[12:13], v[12:13], v[124:125]
	ds_load_b128 v[4:7], v2 offset:1312
	ds_load_b128 v[8:11], v2 offset:1328
	v_fmac_f64_e32 v[18:19], v[16:17], v[20:21]
	v_fma_f64 v[14:15], v[14:15], v[20:21], -v[22:23]
	s_wait_loadcnt_dscnt 0x301
	v_mul_f64_e32 v[124:125], v[4:5], v[134:135]
	v_mul_f64_e32 v[128:129], v[6:7], v[134:135]
	s_wait_loadcnt_dscnt 0x200
	v_mul_f64_e32 v[20:21], v[8:9], v[114:115]
	v_mul_f64_e32 v[22:23], v[10:11], v[114:115]
	v_add_f64_e32 v[16:17], v[126:127], v[116:117]
	v_add_f64_e32 v[12:13], v[12:13], v[118:119]
	v_fmac_f64_e32 v[124:125], v[6:7], v[132:133]
	v_fma_f64 v[114:115], v[4:5], v[132:133], -v[128:129]
	v_fmac_f64_e32 v[20:21], v[10:11], v[112:113]
	v_fma_f64 v[8:9], v[8:9], v[112:113], -v[22:23]
	v_add_f64_e32 v[16:17], v[16:17], v[14:15]
	v_add_f64_e32 v[18:19], v[12:13], v[18:19]
	ds_load_b128 v[4:7], v2 offset:1344
	ds_load_b128 v[12:15], v2 offset:1360
	s_wait_loadcnt_dscnt 0x101
	v_mul_f64_e32 v[2:3], v[4:5], v[138:139]
	v_mul_f64_e32 v[116:117], v[6:7], v[138:139]
	s_wait_loadcnt_dscnt 0x0
	v_mul_f64_e32 v[22:23], v[14:15], v[122:123]
	v_add_f64_e32 v[10:11], v[16:17], v[114:115]
	v_add_f64_e32 v[16:17], v[18:19], v[124:125]
	v_mul_f64_e32 v[18:19], v[12:13], v[122:123]
	v_fmac_f64_e32 v[2:3], v[6:7], v[136:137]
	v_fma_f64 v[4:5], v[4:5], v[136:137], -v[116:117]
	v_add_f64_e32 v[6:7], v[10:11], v[8:9]
	v_add_f64_e32 v[8:9], v[16:17], v[20:21]
	v_fmac_f64_e32 v[18:19], v[14:15], v[120:121]
	v_fma_f64 v[10:11], v[12:13], v[120:121], -v[22:23]
	s_delay_alu instid0(VALU_DEP_4) | instskip(NEXT) | instid1(VALU_DEP_4)
	v_add_f64_e32 v[4:5], v[6:7], v[4:5]
	v_add_f64_e32 v[2:3], v[8:9], v[2:3]
	s_delay_alu instid0(VALU_DEP_2) | instskip(NEXT) | instid1(VALU_DEP_2)
	v_add_f64_e32 v[4:5], v[4:5], v[10:11]
	v_add_f64_e32 v[6:7], v[2:3], v[18:19]
	s_delay_alu instid0(VALU_DEP_2) | instskip(NEXT) | instid1(VALU_DEP_2)
	v_add_f64_e64 v[2:3], v[144:145], -v[4:5]
	v_add_f64_e64 v[4:5], v[146:147], -v[6:7]
	scratch_store_b128 off, v[2:5], off offset:96
	s_wait_xcnt 0x0
	v_cmpx_lt_u32_e32 5, v1
	s_cbranch_execz .LBB106_261
; %bb.260:
	scratch_load_b128 v[2:5], off, s54
	v_mov_b32_e32 v6, 0
	s_delay_alu instid0(VALU_DEP_1)
	v_dual_mov_b32 v7, v6 :: v_dual_mov_b32 v8, v6
	v_mov_b32_e32 v9, v6
	scratch_store_b128 off, v[6:9], off offset:80
	s_wait_loadcnt 0x0
	ds_store_b128 v110, v[2:5]
.LBB106_261:
	s_wait_xcnt 0x0
	s_or_b32 exec_lo, exec_lo, s2
	s_wait_storecnt_dscnt 0x0
	s_barrier_signal -1
	s_barrier_wait -1
	s_clause 0x9
	scratch_load_b128 v[4:7], off, off offset:96
	scratch_load_b128 v[8:11], off, off offset:112
	;; [unrolled: 1-line block ×10, first 2 shown]
	v_mov_b32_e32 v2, 0
	s_mov_b32 s2, exec_lo
	ds_load_b128 v[132:135], v2 offset:784
	s_clause 0x2
	scratch_load_b128 v[136:139], off, off offset:256
	scratch_load_b128 v[140:143], off, off offset:80
	;; [unrolled: 1-line block ×3, first 2 shown]
	s_wait_loadcnt_dscnt 0xc00
	v_mul_f64_e32 v[152:153], v[134:135], v[6:7]
	v_mul_f64_e32 v[156:157], v[132:133], v[6:7]
	ds_load_b128 v[144:147], v2 offset:800
	v_fma_f64 v[160:161], v[132:133], v[4:5], -v[152:153]
	v_fmac_f64_e32 v[156:157], v[134:135], v[4:5]
	ds_load_b128 v[4:7], v2 offset:816
	s_wait_loadcnt_dscnt 0xb01
	v_mul_f64_e32 v[158:159], v[144:145], v[10:11]
	v_mul_f64_e32 v[10:11], v[146:147], v[10:11]
	scratch_load_b128 v[132:135], off, off offset:288
	ds_load_b128 v[152:155], v2 offset:832
	s_wait_loadcnt_dscnt 0xb01
	v_mul_f64_e32 v[162:163], v[4:5], v[14:15]
	v_mul_f64_e32 v[14:15], v[6:7], v[14:15]
	v_add_f64_e32 v[156:157], 0, v[156:157]
	v_fmac_f64_e32 v[158:159], v[146:147], v[8:9]
	v_fma_f64 v[144:145], v[144:145], v[8:9], -v[10:11]
	v_add_f64_e32 v[146:147], 0, v[160:161]
	scratch_load_b128 v[8:11], off, off offset:304
	v_fmac_f64_e32 v[162:163], v[6:7], v[12:13]
	v_fma_f64 v[164:165], v[4:5], v[12:13], -v[14:15]
	ds_load_b128 v[4:7], v2 offset:848
	s_wait_loadcnt_dscnt 0xb01
	v_mul_f64_e32 v[160:161], v[152:153], v[18:19]
	v_mul_f64_e32 v[18:19], v[154:155], v[18:19]
	scratch_load_b128 v[12:15], off, off offset:320
	v_add_f64_e32 v[156:157], v[156:157], v[158:159]
	v_add_f64_e32 v[166:167], v[146:147], v[144:145]
	ds_load_b128 v[144:147], v2 offset:864
	s_wait_loadcnt_dscnt 0xb01
	v_mul_f64_e32 v[158:159], v[4:5], v[22:23]
	v_mul_f64_e32 v[22:23], v[6:7], v[22:23]
	v_fmac_f64_e32 v[160:161], v[154:155], v[16:17]
	v_fma_f64 v[152:153], v[152:153], v[16:17], -v[18:19]
	scratch_load_b128 v[16:19], off, off offset:336
	v_add_f64_e32 v[156:157], v[156:157], v[162:163]
	v_add_f64_e32 v[154:155], v[166:167], v[164:165]
	v_fmac_f64_e32 v[158:159], v[6:7], v[20:21]
	v_fma_f64 v[164:165], v[4:5], v[20:21], -v[22:23]
	ds_load_b128 v[4:7], v2 offset:880
	s_wait_loadcnt_dscnt 0xb01
	v_mul_f64_e32 v[162:163], v[144:145], v[114:115]
	v_mul_f64_e32 v[114:115], v[146:147], v[114:115]
	scratch_load_b128 v[20:23], off, off offset:352
	v_add_f64_e32 v[156:157], v[156:157], v[160:161]
	s_wait_loadcnt_dscnt 0xb00
	v_mul_f64_e32 v[160:161], v[4:5], v[118:119]
	v_add_f64_e32 v[166:167], v[154:155], v[152:153]
	v_mul_f64_e32 v[118:119], v[6:7], v[118:119]
	ds_load_b128 v[152:155], v2 offset:896
	v_fmac_f64_e32 v[162:163], v[146:147], v[112:113]
	v_fma_f64 v[144:145], v[144:145], v[112:113], -v[114:115]
	scratch_load_b128 v[112:115], off, off offset:368
	v_add_f64_e32 v[156:157], v[156:157], v[158:159]
	v_fmac_f64_e32 v[160:161], v[6:7], v[116:117]
	v_add_f64_e32 v[146:147], v[166:167], v[164:165]
	v_fma_f64 v[164:165], v[4:5], v[116:117], -v[118:119]
	ds_load_b128 v[4:7], v2 offset:912
	s_wait_loadcnt_dscnt 0xb01
	v_mul_f64_e32 v[158:159], v[152:153], v[122:123]
	v_mul_f64_e32 v[122:123], v[154:155], v[122:123]
	scratch_load_b128 v[116:119], off, off offset:384
	v_add_f64_e32 v[156:157], v[156:157], v[162:163]
	s_wait_loadcnt_dscnt 0xb00
	v_mul_f64_e32 v[162:163], v[4:5], v[126:127]
	v_add_f64_e32 v[166:167], v[146:147], v[144:145]
	v_mul_f64_e32 v[126:127], v[6:7], v[126:127]
	ds_load_b128 v[144:147], v2 offset:928
	v_fmac_f64_e32 v[158:159], v[154:155], v[120:121]
	v_fma_f64 v[152:153], v[152:153], v[120:121], -v[122:123]
	scratch_load_b128 v[120:123], off, off offset:400
	v_add_f64_e32 v[156:157], v[156:157], v[160:161]
	v_fmac_f64_e32 v[162:163], v[6:7], v[124:125]
	v_add_f64_e32 v[154:155], v[166:167], v[164:165]
	;; [unrolled: 18-line block ×3, first 2 shown]
	v_fma_f64 v[164:165], v[4:5], v[136:137], -v[138:139]
	ds_load_b128 v[4:7], v2 offset:976
	s_wait_loadcnt_dscnt 0xa01
	v_mul_f64_e32 v[162:163], v[152:153], v[150:151]
	v_mul_f64_e32 v[150:151], v[154:155], v[150:151]
	scratch_load_b128 v[136:139], off, off offset:448
	v_add_f64_e32 v[156:157], v[156:157], v[160:161]
	v_add_f64_e32 v[166:167], v[146:147], v[144:145]
	s_wait_loadcnt_dscnt 0xa00
	v_mul_f64_e32 v[160:161], v[4:5], v[134:135]
	v_mul_f64_e32 v[134:135], v[6:7], v[134:135]
	v_fmac_f64_e32 v[162:163], v[154:155], v[148:149]
	v_fma_f64 v[152:153], v[152:153], v[148:149], -v[150:151]
	ds_load_b128 v[144:147], v2 offset:992
	scratch_load_b128 v[148:151], off, off offset:464
	v_add_f64_e32 v[156:157], v[156:157], v[158:159]
	v_add_f64_e32 v[154:155], v[166:167], v[164:165]
	v_fmac_f64_e32 v[160:161], v[6:7], v[132:133]
	v_fma_f64 v[164:165], v[4:5], v[132:133], -v[134:135]
	ds_load_b128 v[4:7], v2 offset:1008
	s_wait_loadcnt_dscnt 0xa01
	v_mul_f64_e32 v[158:159], v[144:145], v[10:11]
	v_mul_f64_e32 v[10:11], v[146:147], v[10:11]
	scratch_load_b128 v[132:135], off, off offset:480
	v_add_f64_e32 v[156:157], v[156:157], v[162:163]
	s_wait_loadcnt_dscnt 0xa00
	v_mul_f64_e32 v[162:163], v[4:5], v[14:15]
	v_add_f64_e32 v[166:167], v[154:155], v[152:153]
	v_mul_f64_e32 v[14:15], v[6:7], v[14:15]
	ds_load_b128 v[152:155], v2 offset:1024
	v_fmac_f64_e32 v[158:159], v[146:147], v[8:9]
	v_fma_f64 v[144:145], v[144:145], v[8:9], -v[10:11]
	scratch_load_b128 v[8:11], off, off offset:496
	v_add_f64_e32 v[156:157], v[156:157], v[160:161]
	v_fmac_f64_e32 v[162:163], v[6:7], v[12:13]
	v_add_f64_e32 v[146:147], v[166:167], v[164:165]
	v_fma_f64 v[164:165], v[4:5], v[12:13], -v[14:15]
	ds_load_b128 v[4:7], v2 offset:1040
	s_wait_loadcnt_dscnt 0xa01
	v_mul_f64_e32 v[160:161], v[152:153], v[18:19]
	v_mul_f64_e32 v[18:19], v[154:155], v[18:19]
	scratch_load_b128 v[12:15], off, off offset:512
	v_add_f64_e32 v[156:157], v[156:157], v[158:159]
	s_wait_loadcnt_dscnt 0xa00
	v_mul_f64_e32 v[158:159], v[4:5], v[22:23]
	v_add_f64_e32 v[166:167], v[146:147], v[144:145]
	v_mul_f64_e32 v[22:23], v[6:7], v[22:23]
	ds_load_b128 v[144:147], v2 offset:1056
	v_fmac_f64_e32 v[160:161], v[154:155], v[16:17]
	v_fma_f64 v[152:153], v[152:153], v[16:17], -v[18:19]
	scratch_load_b128 v[16:19], off, off offset:528
	v_add_f64_e32 v[156:157], v[156:157], v[162:163]
	v_fmac_f64_e32 v[158:159], v[6:7], v[20:21]
	v_add_f64_e32 v[154:155], v[166:167], v[164:165]
	v_fma_f64 v[164:165], v[4:5], v[20:21], -v[22:23]
	ds_load_b128 v[4:7], v2 offset:1072
	s_wait_loadcnt_dscnt 0xa01
	v_mul_f64_e32 v[162:163], v[144:145], v[114:115]
	v_mul_f64_e32 v[114:115], v[146:147], v[114:115]
	scratch_load_b128 v[20:23], off, off offset:544
	v_add_f64_e32 v[156:157], v[156:157], v[160:161]
	s_wait_loadcnt_dscnt 0xa00
	v_mul_f64_e32 v[160:161], v[4:5], v[118:119]
	v_add_f64_e32 v[166:167], v[154:155], v[152:153]
	v_mul_f64_e32 v[118:119], v[6:7], v[118:119]
	ds_load_b128 v[152:155], v2 offset:1088
	v_fmac_f64_e32 v[162:163], v[146:147], v[112:113]
	v_fma_f64 v[144:145], v[144:145], v[112:113], -v[114:115]
	scratch_load_b128 v[112:115], off, off offset:560
	v_add_f64_e32 v[156:157], v[156:157], v[158:159]
	v_fmac_f64_e32 v[160:161], v[6:7], v[116:117]
	v_add_f64_e32 v[146:147], v[166:167], v[164:165]
	v_fma_f64 v[164:165], v[4:5], v[116:117], -v[118:119]
	ds_load_b128 v[4:7], v2 offset:1104
	s_wait_loadcnt_dscnt 0xa01
	v_mul_f64_e32 v[158:159], v[152:153], v[122:123]
	v_mul_f64_e32 v[122:123], v[154:155], v[122:123]
	scratch_load_b128 v[116:119], off, off offset:576
	v_add_f64_e32 v[156:157], v[156:157], v[162:163]
	s_wait_loadcnt_dscnt 0xa00
	v_mul_f64_e32 v[162:163], v[4:5], v[126:127]
	v_add_f64_e32 v[166:167], v[146:147], v[144:145]
	v_mul_f64_e32 v[126:127], v[6:7], v[126:127]
	ds_load_b128 v[144:147], v2 offset:1120
	v_fmac_f64_e32 v[158:159], v[154:155], v[120:121]
	v_fma_f64 v[152:153], v[152:153], v[120:121], -v[122:123]
	scratch_load_b128 v[120:123], off, off offset:592
	v_add_f64_e32 v[156:157], v[156:157], v[160:161]
	v_fmac_f64_e32 v[162:163], v[6:7], v[124:125]
	v_add_f64_e32 v[154:155], v[166:167], v[164:165]
	v_fma_f64 v[164:165], v[4:5], v[124:125], -v[126:127]
	ds_load_b128 v[4:7], v2 offset:1136
	s_wait_loadcnt_dscnt 0xa01
	v_mul_f64_e32 v[160:161], v[144:145], v[130:131]
	v_mul_f64_e32 v[130:131], v[146:147], v[130:131]
	scratch_load_b128 v[124:127], off, off offset:608
	v_add_f64_e32 v[156:157], v[156:157], v[158:159]
	s_wait_loadcnt_dscnt 0xa00
	v_mul_f64_e32 v[158:159], v[4:5], v[138:139]
	v_add_f64_e32 v[166:167], v[154:155], v[152:153]
	v_mul_f64_e32 v[138:139], v[6:7], v[138:139]
	ds_load_b128 v[152:155], v2 offset:1152
	v_fmac_f64_e32 v[160:161], v[146:147], v[128:129]
	v_fma_f64 v[144:145], v[144:145], v[128:129], -v[130:131]
	scratch_load_b128 v[128:131], off, off offset:624
	v_add_f64_e32 v[156:157], v[156:157], v[162:163]
	v_fmac_f64_e32 v[158:159], v[6:7], v[136:137]
	v_add_f64_e32 v[146:147], v[166:167], v[164:165]
	v_fma_f64 v[164:165], v[4:5], v[136:137], -v[138:139]
	ds_load_b128 v[4:7], v2 offset:1168
	s_wait_loadcnt_dscnt 0xa01
	v_mul_f64_e32 v[162:163], v[152:153], v[150:151]
	v_mul_f64_e32 v[150:151], v[154:155], v[150:151]
	scratch_load_b128 v[136:139], off, off offset:640
	v_add_f64_e32 v[156:157], v[156:157], v[160:161]
	s_wait_loadcnt_dscnt 0xa00
	v_mul_f64_e32 v[160:161], v[4:5], v[134:135]
	v_add_f64_e32 v[166:167], v[146:147], v[144:145]
	v_mul_f64_e32 v[134:135], v[6:7], v[134:135]
	ds_load_b128 v[144:147], v2 offset:1184
	v_fmac_f64_e32 v[162:163], v[154:155], v[148:149]
	v_fma_f64 v[152:153], v[152:153], v[148:149], -v[150:151]
	scratch_load_b128 v[148:151], off, off offset:656
	v_add_f64_e32 v[156:157], v[156:157], v[158:159]
	v_fmac_f64_e32 v[160:161], v[6:7], v[132:133]
	v_add_f64_e32 v[154:155], v[166:167], v[164:165]
	v_fma_f64 v[164:165], v[4:5], v[132:133], -v[134:135]
	ds_load_b128 v[4:7], v2 offset:1200
	s_wait_loadcnt_dscnt 0xa01
	v_mul_f64_e32 v[158:159], v[144:145], v[10:11]
	v_mul_f64_e32 v[10:11], v[146:147], v[10:11]
	scratch_load_b128 v[132:135], off, off offset:672
	v_add_f64_e32 v[156:157], v[156:157], v[162:163]
	s_wait_loadcnt_dscnt 0xa00
	v_mul_f64_e32 v[162:163], v[4:5], v[14:15]
	v_add_f64_e32 v[166:167], v[154:155], v[152:153]
	v_mul_f64_e32 v[14:15], v[6:7], v[14:15]
	ds_load_b128 v[152:155], v2 offset:1216
	v_fmac_f64_e32 v[158:159], v[146:147], v[8:9]
	v_fma_f64 v[8:9], v[144:145], v[8:9], -v[10:11]
	s_wait_loadcnt_dscnt 0x900
	v_mul_f64_e32 v[146:147], v[152:153], v[18:19]
	v_mul_f64_e32 v[18:19], v[154:155], v[18:19]
	v_add_f64_e32 v[144:145], v[156:157], v[160:161]
	v_fmac_f64_e32 v[162:163], v[6:7], v[12:13]
	v_add_f64_e32 v[10:11], v[166:167], v[164:165]
	v_fma_f64 v[12:13], v[4:5], v[12:13], -v[14:15]
	v_fmac_f64_e32 v[146:147], v[154:155], v[16:17]
	v_fma_f64 v[16:17], v[152:153], v[16:17], -v[18:19]
	v_add_f64_e32 v[144:145], v[144:145], v[158:159]
	v_add_f64_e32 v[14:15], v[10:11], v[8:9]
	ds_load_b128 v[4:7], v2 offset:1232
	ds_load_b128 v[8:11], v2 offset:1248
	s_wait_loadcnt_dscnt 0x801
	v_mul_f64_e32 v[156:157], v[4:5], v[22:23]
	v_mul_f64_e32 v[22:23], v[6:7], v[22:23]
	s_wait_loadcnt_dscnt 0x700
	v_mul_f64_e32 v[18:19], v[8:9], v[114:115]
	v_mul_f64_e32 v[114:115], v[10:11], v[114:115]
	v_add_f64_e32 v[12:13], v[14:15], v[12:13]
	v_add_f64_e32 v[14:15], v[144:145], v[162:163]
	v_fmac_f64_e32 v[156:157], v[6:7], v[20:21]
	v_fma_f64 v[20:21], v[4:5], v[20:21], -v[22:23]
	v_fmac_f64_e32 v[18:19], v[10:11], v[112:113]
	v_fma_f64 v[8:9], v[8:9], v[112:113], -v[114:115]
	v_add_f64_e32 v[16:17], v[12:13], v[16:17]
	v_add_f64_e32 v[22:23], v[14:15], v[146:147]
	ds_load_b128 v[4:7], v2 offset:1264
	ds_load_b128 v[12:15], v2 offset:1280
	s_wait_loadcnt_dscnt 0x601
	v_mul_f64_e32 v[144:145], v[4:5], v[118:119]
	v_mul_f64_e32 v[118:119], v[6:7], v[118:119]
	v_add_f64_e32 v[10:11], v[16:17], v[20:21]
	v_add_f64_e32 v[16:17], v[22:23], v[156:157]
	s_wait_loadcnt_dscnt 0x500
	v_mul_f64_e32 v[20:21], v[12:13], v[122:123]
	v_mul_f64_e32 v[22:23], v[14:15], v[122:123]
	v_fmac_f64_e32 v[144:145], v[6:7], v[116:117]
	v_fma_f64 v[112:113], v[4:5], v[116:117], -v[118:119]
	v_add_f64_e32 v[114:115], v[10:11], v[8:9]
	v_add_f64_e32 v[16:17], v[16:17], v[18:19]
	ds_load_b128 v[4:7], v2 offset:1296
	ds_load_b128 v[8:11], v2 offset:1312
	v_fmac_f64_e32 v[20:21], v[14:15], v[120:121]
	v_fma_f64 v[12:13], v[12:13], v[120:121], -v[22:23]
	s_wait_loadcnt_dscnt 0x401
	v_mul_f64_e32 v[18:19], v[4:5], v[126:127]
	v_mul_f64_e32 v[116:117], v[6:7], v[126:127]
	s_wait_loadcnt_dscnt 0x300
	v_mul_f64_e32 v[22:23], v[8:9], v[130:131]
	v_add_f64_e32 v[14:15], v[114:115], v[112:113]
	v_add_f64_e32 v[16:17], v[16:17], v[144:145]
	v_mul_f64_e32 v[112:113], v[10:11], v[130:131]
	v_fmac_f64_e32 v[18:19], v[6:7], v[124:125]
	v_fma_f64 v[114:115], v[4:5], v[124:125], -v[116:117]
	v_fmac_f64_e32 v[22:23], v[10:11], v[128:129]
	v_add_f64_e32 v[116:117], v[14:15], v[12:13]
	v_add_f64_e32 v[16:17], v[16:17], v[20:21]
	ds_load_b128 v[4:7], v2 offset:1328
	ds_load_b128 v[12:15], v2 offset:1344
	v_fma_f64 v[8:9], v[8:9], v[128:129], -v[112:113]
	s_wait_loadcnt_dscnt 0x201
	v_mul_f64_e32 v[20:21], v[4:5], v[138:139]
	v_mul_f64_e32 v[118:119], v[6:7], v[138:139]
	s_wait_loadcnt_dscnt 0x100
	v_mul_f64_e32 v[112:113], v[14:15], v[150:151]
	v_add_f64_e32 v[10:11], v[116:117], v[114:115]
	v_add_f64_e32 v[16:17], v[16:17], v[18:19]
	v_mul_f64_e32 v[18:19], v[12:13], v[150:151]
	v_fmac_f64_e32 v[20:21], v[6:7], v[136:137]
	v_fma_f64 v[114:115], v[4:5], v[136:137], -v[118:119]
	ds_load_b128 v[4:7], v2 offset:1360
	v_fma_f64 v[12:13], v[12:13], v[148:149], -v[112:113]
	v_add_f64_e32 v[8:9], v[10:11], v[8:9]
	v_add_f64_e32 v[10:11], v[16:17], v[22:23]
	v_fmac_f64_e32 v[18:19], v[14:15], v[148:149]
	s_wait_loadcnt_dscnt 0x0
	v_mul_f64_e32 v[16:17], v[4:5], v[134:135]
	v_mul_f64_e32 v[22:23], v[6:7], v[134:135]
	v_add_f64_e32 v[8:9], v[8:9], v[114:115]
	v_add_f64_e32 v[10:11], v[10:11], v[20:21]
	s_delay_alu instid0(VALU_DEP_4) | instskip(NEXT) | instid1(VALU_DEP_4)
	v_fmac_f64_e32 v[16:17], v[6:7], v[132:133]
	v_fma_f64 v[4:5], v[4:5], v[132:133], -v[22:23]
	s_delay_alu instid0(VALU_DEP_4) | instskip(NEXT) | instid1(VALU_DEP_4)
	v_add_f64_e32 v[6:7], v[8:9], v[12:13]
	v_add_f64_e32 v[8:9], v[10:11], v[18:19]
	s_delay_alu instid0(VALU_DEP_2) | instskip(NEXT) | instid1(VALU_DEP_2)
	v_add_f64_e32 v[4:5], v[6:7], v[4:5]
	v_add_f64_e32 v[6:7], v[8:9], v[16:17]
	s_delay_alu instid0(VALU_DEP_2) | instskip(NEXT) | instid1(VALU_DEP_2)
	v_add_f64_e64 v[4:5], v[140:141], -v[4:5]
	v_add_f64_e64 v[6:7], v[142:143], -v[6:7]
	scratch_store_b128 off, v[4:7], off offset:80
	s_wait_xcnt 0x0
	v_cmpx_lt_u32_e32 4, v1
	s_cbranch_execz .LBB106_263
; %bb.262:
	scratch_load_b128 v[6:9], off, s12
	v_dual_mov_b32 v3, v2 :: v_dual_mov_b32 v4, v2
	v_mov_b32_e32 v5, v2
	scratch_store_b128 off, v[2:5], off offset:64
	s_wait_loadcnt 0x0
	ds_store_b128 v110, v[6:9]
.LBB106_263:
	s_wait_xcnt 0x0
	s_or_b32 exec_lo, exec_lo, s2
	s_wait_storecnt_dscnt 0x0
	s_barrier_signal -1
	s_barrier_wait -1
	s_clause 0x9
	scratch_load_b128 v[4:7], off, off offset:80
	scratch_load_b128 v[8:11], off, off offset:96
	;; [unrolled: 1-line block ×10, first 2 shown]
	ds_load_b128 v[132:135], v2 offset:768
	ds_load_b128 v[140:143], v2 offset:784
	s_clause 0x2
	scratch_load_b128 v[136:139], off, off offset:240
	scratch_load_b128 v[144:147], off, off offset:64
	;; [unrolled: 1-line block ×3, first 2 shown]
	s_mov_b32 s2, exec_lo
	s_wait_loadcnt_dscnt 0xc01
	v_mul_f64_e32 v[152:153], v[134:135], v[6:7]
	v_mul_f64_e32 v[156:157], v[132:133], v[6:7]
	s_wait_loadcnt_dscnt 0xb00
	v_mul_f64_e32 v[158:159], v[140:141], v[10:11]
	v_mul_f64_e32 v[10:11], v[142:143], v[10:11]
	s_delay_alu instid0(VALU_DEP_4) | instskip(NEXT) | instid1(VALU_DEP_4)
	v_fma_f64 v[160:161], v[132:133], v[4:5], -v[152:153]
	v_fmac_f64_e32 v[156:157], v[134:135], v[4:5]
	ds_load_b128 v[4:7], v2 offset:800
	ds_load_b128 v[132:135], v2 offset:816
	scratch_load_b128 v[152:155], off, off offset:272
	v_fmac_f64_e32 v[158:159], v[142:143], v[8:9]
	v_fma_f64 v[140:141], v[140:141], v[8:9], -v[10:11]
	scratch_load_b128 v[8:11], off, off offset:288
	s_wait_loadcnt_dscnt 0xc01
	v_mul_f64_e32 v[162:163], v[4:5], v[14:15]
	v_mul_f64_e32 v[14:15], v[6:7], v[14:15]
	v_add_f64_e32 v[142:143], 0, v[160:161]
	v_add_f64_e32 v[156:157], 0, v[156:157]
	s_wait_loadcnt_dscnt 0xb00
	v_mul_f64_e32 v[160:161], v[132:133], v[18:19]
	v_mul_f64_e32 v[18:19], v[134:135], v[18:19]
	v_fmac_f64_e32 v[162:163], v[6:7], v[12:13]
	v_fma_f64 v[164:165], v[4:5], v[12:13], -v[14:15]
	ds_load_b128 v[4:7], v2 offset:832
	ds_load_b128 v[12:15], v2 offset:848
	v_add_f64_e32 v[166:167], v[142:143], v[140:141]
	v_add_f64_e32 v[156:157], v[156:157], v[158:159]
	scratch_load_b128 v[140:143], off, off offset:304
	v_fmac_f64_e32 v[160:161], v[134:135], v[16:17]
	v_fma_f64 v[132:133], v[132:133], v[16:17], -v[18:19]
	scratch_load_b128 v[16:19], off, off offset:320
	s_wait_loadcnt_dscnt 0xc01
	v_mul_f64_e32 v[158:159], v[4:5], v[22:23]
	v_mul_f64_e32 v[22:23], v[6:7], v[22:23]
	v_add_f64_e32 v[134:135], v[166:167], v[164:165]
	v_add_f64_e32 v[156:157], v[156:157], v[162:163]
	s_wait_loadcnt_dscnt 0xb00
	v_mul_f64_e32 v[162:163], v[12:13], v[114:115]
	v_mul_f64_e32 v[114:115], v[14:15], v[114:115]
	v_fmac_f64_e32 v[158:159], v[6:7], v[20:21]
	v_fma_f64 v[164:165], v[4:5], v[20:21], -v[22:23]
	ds_load_b128 v[4:7], v2 offset:864
	ds_load_b128 v[20:23], v2 offset:880
	v_add_f64_e32 v[166:167], v[134:135], v[132:133]
	v_add_f64_e32 v[156:157], v[156:157], v[160:161]
	scratch_load_b128 v[132:135], off, off offset:336
	s_wait_loadcnt_dscnt 0xb01
	v_mul_f64_e32 v[160:161], v[4:5], v[118:119]
	v_mul_f64_e32 v[118:119], v[6:7], v[118:119]
	v_fmac_f64_e32 v[162:163], v[14:15], v[112:113]
	v_fma_f64 v[112:113], v[12:13], v[112:113], -v[114:115]
	scratch_load_b128 v[12:15], off, off offset:352
	v_add_f64_e32 v[114:115], v[166:167], v[164:165]
	v_add_f64_e32 v[156:157], v[156:157], v[158:159]
	s_wait_loadcnt_dscnt 0xb00
	v_mul_f64_e32 v[158:159], v[20:21], v[122:123]
	v_mul_f64_e32 v[122:123], v[22:23], v[122:123]
	v_fmac_f64_e32 v[160:161], v[6:7], v[116:117]
	v_fma_f64 v[164:165], v[4:5], v[116:117], -v[118:119]
	v_add_f64_e32 v[166:167], v[114:115], v[112:113]
	v_add_f64_e32 v[156:157], v[156:157], v[162:163]
	ds_load_b128 v[4:7], v2 offset:896
	ds_load_b128 v[112:115], v2 offset:912
	scratch_load_b128 v[116:119], off, off offset:368
	v_fmac_f64_e32 v[158:159], v[22:23], v[120:121]
	v_fma_f64 v[120:121], v[20:21], v[120:121], -v[122:123]
	scratch_load_b128 v[20:23], off, off offset:384
	s_wait_loadcnt_dscnt 0xc01
	v_mul_f64_e32 v[162:163], v[4:5], v[126:127]
	v_mul_f64_e32 v[126:127], v[6:7], v[126:127]
	v_add_f64_e32 v[122:123], v[166:167], v[164:165]
	v_add_f64_e32 v[156:157], v[156:157], v[160:161]
	s_wait_loadcnt_dscnt 0xb00
	v_mul_f64_e32 v[160:161], v[112:113], v[130:131]
	v_mul_f64_e32 v[130:131], v[114:115], v[130:131]
	v_fmac_f64_e32 v[162:163], v[6:7], v[124:125]
	v_fma_f64 v[164:165], v[4:5], v[124:125], -v[126:127]
	v_add_f64_e32 v[166:167], v[122:123], v[120:121]
	v_add_f64_e32 v[156:157], v[156:157], v[158:159]
	ds_load_b128 v[4:7], v2 offset:928
	ds_load_b128 v[120:123], v2 offset:944
	scratch_load_b128 v[124:127], off, off offset:400
	v_fmac_f64_e32 v[160:161], v[114:115], v[128:129]
	v_fma_f64 v[128:129], v[112:113], v[128:129], -v[130:131]
	scratch_load_b128 v[112:115], off, off offset:416
	s_wait_loadcnt_dscnt 0xc01
	v_mul_f64_e32 v[158:159], v[4:5], v[138:139]
	v_mul_f64_e32 v[138:139], v[6:7], v[138:139]
	;; [unrolled: 18-line block ×5, first 2 shown]
	v_add_f64_e32 v[150:151], v[166:167], v[164:165]
	v_add_f64_e32 v[156:157], v[156:157], v[162:163]
	s_wait_loadcnt_dscnt 0xa00
	v_mul_f64_e32 v[162:163], v[128:129], v[14:15]
	v_mul_f64_e32 v[14:15], v[130:131], v[14:15]
	v_fmac_f64_e32 v[158:159], v[6:7], v[132:133]
	v_fma_f64 v[164:165], v[4:5], v[132:133], -v[134:135]
	ds_load_b128 v[4:7], v2 offset:1056
	ds_load_b128 v[132:135], v2 offset:1072
	v_add_f64_e32 v[166:167], v[150:151], v[148:149]
	v_add_f64_e32 v[156:157], v[156:157], v[160:161]
	scratch_load_b128 v[148:151], off, off offset:528
	v_fmac_f64_e32 v[162:163], v[130:131], v[12:13]
	v_fma_f64 v[128:129], v[128:129], v[12:13], -v[14:15]
	scratch_load_b128 v[12:15], off, off offset:544
	s_wait_loadcnt_dscnt 0xb01
	v_mul_f64_e32 v[160:161], v[4:5], v[118:119]
	v_mul_f64_e32 v[118:119], v[6:7], v[118:119]
	v_add_f64_e32 v[130:131], v[166:167], v[164:165]
	v_add_f64_e32 v[156:157], v[156:157], v[158:159]
	s_wait_loadcnt_dscnt 0xa00
	v_mul_f64_e32 v[158:159], v[132:133], v[22:23]
	v_mul_f64_e32 v[22:23], v[134:135], v[22:23]
	v_fmac_f64_e32 v[160:161], v[6:7], v[116:117]
	v_fma_f64 v[164:165], v[4:5], v[116:117], -v[118:119]
	ds_load_b128 v[4:7], v2 offset:1088
	ds_load_b128 v[116:119], v2 offset:1104
	v_add_f64_e32 v[166:167], v[130:131], v[128:129]
	v_add_f64_e32 v[156:157], v[156:157], v[162:163]
	scratch_load_b128 v[128:131], off, off offset:560
	s_wait_loadcnt_dscnt 0xa01
	v_mul_f64_e32 v[162:163], v[4:5], v[126:127]
	v_mul_f64_e32 v[126:127], v[6:7], v[126:127]
	v_fmac_f64_e32 v[158:159], v[134:135], v[20:21]
	v_fma_f64 v[132:133], v[132:133], v[20:21], -v[22:23]
	scratch_load_b128 v[20:23], off, off offset:576
	v_add_f64_e32 v[134:135], v[166:167], v[164:165]
	v_add_f64_e32 v[156:157], v[156:157], v[160:161]
	s_wait_loadcnt_dscnt 0xa00
	v_mul_f64_e32 v[160:161], v[116:117], v[114:115]
	v_mul_f64_e32 v[114:115], v[118:119], v[114:115]
	v_fmac_f64_e32 v[162:163], v[6:7], v[124:125]
	v_fma_f64 v[164:165], v[4:5], v[124:125], -v[126:127]
	ds_load_b128 v[4:7], v2 offset:1120
	ds_load_b128 v[124:127], v2 offset:1136
	v_add_f64_e32 v[166:167], v[134:135], v[132:133]
	v_add_f64_e32 v[156:157], v[156:157], v[158:159]
	scratch_load_b128 v[132:135], off, off offset:592
	s_wait_loadcnt_dscnt 0xa01
	v_mul_f64_e32 v[158:159], v[4:5], v[138:139]
	v_mul_f64_e32 v[138:139], v[6:7], v[138:139]
	v_fmac_f64_e32 v[160:161], v[118:119], v[112:113]
	v_fma_f64 v[116:117], v[116:117], v[112:113], -v[114:115]
	scratch_load_b128 v[112:115], off, off offset:608
	v_add_f64_e32 v[118:119], v[166:167], v[164:165]
	v_add_f64_e32 v[156:157], v[156:157], v[162:163]
	s_wait_loadcnt_dscnt 0xa00
	v_mul_f64_e32 v[162:163], v[124:125], v[122:123]
	v_mul_f64_e32 v[122:123], v[126:127], v[122:123]
	v_fmac_f64_e32 v[158:159], v[6:7], v[136:137]
	v_fma_f64 v[164:165], v[4:5], v[136:137], -v[138:139]
	v_add_f64_e32 v[166:167], v[118:119], v[116:117]
	v_add_f64_e32 v[156:157], v[156:157], v[160:161]
	ds_load_b128 v[4:7], v2 offset:1152
	ds_load_b128 v[116:119], v2 offset:1168
	scratch_load_b128 v[136:139], off, off offset:624
	v_fmac_f64_e32 v[162:163], v[126:127], v[120:121]
	v_fma_f64 v[124:125], v[124:125], v[120:121], -v[122:123]
	scratch_load_b128 v[120:123], off, off offset:640
	s_wait_loadcnt_dscnt 0xb01
	v_mul_f64_e32 v[160:161], v[4:5], v[154:155]
	v_mul_f64_e32 v[154:155], v[6:7], v[154:155]
	v_add_f64_e32 v[126:127], v[166:167], v[164:165]
	v_add_f64_e32 v[156:157], v[156:157], v[158:159]
	s_wait_loadcnt_dscnt 0xa00
	v_mul_f64_e32 v[158:159], v[116:117], v[10:11]
	v_mul_f64_e32 v[10:11], v[118:119], v[10:11]
	v_fmac_f64_e32 v[160:161], v[6:7], v[152:153]
	v_fma_f64 v[164:165], v[4:5], v[152:153], -v[154:155]
	v_add_f64_e32 v[166:167], v[126:127], v[124:125]
	v_add_f64_e32 v[156:157], v[156:157], v[162:163]
	ds_load_b128 v[4:7], v2 offset:1184
	ds_load_b128 v[124:127], v2 offset:1200
	scratch_load_b128 v[152:155], off, off offset:656
	v_fmac_f64_e32 v[158:159], v[118:119], v[8:9]
	v_fma_f64 v[116:117], v[116:117], v[8:9], -v[10:11]
	scratch_load_b128 v[8:11], off, off offset:672
	s_wait_loadcnt_dscnt 0xb01
	v_mul_f64_e32 v[162:163], v[4:5], v[142:143]
	v_mul_f64_e32 v[142:143], v[6:7], v[142:143]
	v_add_f64_e32 v[118:119], v[166:167], v[164:165]
	v_add_f64_e32 v[156:157], v[156:157], v[160:161]
	s_wait_loadcnt_dscnt 0xa00
	v_mul_f64_e32 v[160:161], v[124:125], v[18:19]
	v_mul_f64_e32 v[18:19], v[126:127], v[18:19]
	v_fmac_f64_e32 v[162:163], v[6:7], v[140:141]
	v_fma_f64 v[140:141], v[4:5], v[140:141], -v[142:143]
	v_add_f64_e32 v[142:143], v[118:119], v[116:117]
	v_add_f64_e32 v[156:157], v[156:157], v[158:159]
	ds_load_b128 v[4:7], v2 offset:1216
	ds_load_b128 v[116:119], v2 offset:1232
	v_fmac_f64_e32 v[160:161], v[126:127], v[16:17]
	v_fma_f64 v[16:17], v[124:125], v[16:17], -v[18:19]
	s_wait_loadcnt_dscnt 0x901
	v_mul_f64_e32 v[158:159], v[4:5], v[150:151]
	v_mul_f64_e32 v[150:151], v[6:7], v[150:151]
	s_wait_loadcnt_dscnt 0x800
	v_mul_f64_e32 v[126:127], v[116:117], v[14:15]
	v_add_f64_e32 v[18:19], v[142:143], v[140:141]
	v_add_f64_e32 v[124:125], v[156:157], v[162:163]
	v_mul_f64_e32 v[140:141], v[118:119], v[14:15]
	v_fmac_f64_e32 v[158:159], v[6:7], v[148:149]
	v_fma_f64 v[142:143], v[4:5], v[148:149], -v[150:151]
	v_fmac_f64_e32 v[126:127], v[118:119], v[12:13]
	v_add_f64_e32 v[18:19], v[18:19], v[16:17]
	v_add_f64_e32 v[124:125], v[124:125], v[160:161]
	ds_load_b128 v[4:7], v2 offset:1248
	ds_load_b128 v[14:17], v2 offset:1264
	v_fma_f64 v[12:13], v[116:117], v[12:13], -v[140:141]
	s_wait_loadcnt_dscnt 0x701
	v_mul_f64_e32 v[148:149], v[4:5], v[130:131]
	v_mul_f64_e32 v[130:131], v[6:7], v[130:131]
	v_add_f64_e32 v[18:19], v[18:19], v[142:143]
	v_add_f64_e32 v[116:117], v[124:125], v[158:159]
	s_wait_loadcnt_dscnt 0x600
	v_mul_f64_e32 v[124:125], v[14:15], v[22:23]
	v_mul_f64_e32 v[22:23], v[16:17], v[22:23]
	v_fmac_f64_e32 v[148:149], v[6:7], v[128:129]
	v_fma_f64 v[128:129], v[4:5], v[128:129], -v[130:131]
	v_add_f64_e32 v[12:13], v[18:19], v[12:13]
	v_add_f64_e32 v[18:19], v[116:117], v[126:127]
	ds_load_b128 v[4:7], v2 offset:1280
	ds_load_b128 v[116:119], v2 offset:1296
	v_fmac_f64_e32 v[124:125], v[16:17], v[20:21]
	v_fma_f64 v[14:15], v[14:15], v[20:21], -v[22:23]
	s_wait_loadcnt_dscnt 0x501
	v_mul_f64_e32 v[126:127], v[4:5], v[134:135]
	v_mul_f64_e32 v[130:131], v[6:7], v[134:135]
	s_wait_loadcnt_dscnt 0x400
	v_mul_f64_e32 v[20:21], v[118:119], v[114:115]
	v_add_f64_e32 v[12:13], v[12:13], v[128:129]
	v_add_f64_e32 v[16:17], v[18:19], v[148:149]
	v_mul_f64_e32 v[18:19], v[116:117], v[114:115]
	v_fmac_f64_e32 v[126:127], v[6:7], v[132:133]
	v_fma_f64 v[22:23], v[4:5], v[132:133], -v[130:131]
	v_fma_f64 v[20:21], v[116:117], v[112:113], -v[20:21]
	v_add_f64_e32 v[114:115], v[12:13], v[14:15]
	v_add_f64_e32 v[16:17], v[16:17], v[124:125]
	ds_load_b128 v[4:7], v2 offset:1312
	ds_load_b128 v[12:15], v2 offset:1328
	v_fmac_f64_e32 v[18:19], v[118:119], v[112:113]
	s_wait_loadcnt_dscnt 0x301
	v_mul_f64_e32 v[124:125], v[4:5], v[138:139]
	v_mul_f64_e32 v[128:129], v[6:7], v[138:139]
	s_wait_loadcnt_dscnt 0x200
	v_mul_f64_e32 v[112:113], v[12:13], v[122:123]
	v_add_f64_e32 v[22:23], v[114:115], v[22:23]
	v_add_f64_e32 v[16:17], v[16:17], v[126:127]
	v_mul_f64_e32 v[114:115], v[14:15], v[122:123]
	v_fmac_f64_e32 v[124:125], v[6:7], v[136:137]
	v_fma_f64 v[116:117], v[4:5], v[136:137], -v[128:129]
	v_fmac_f64_e32 v[112:113], v[14:15], v[120:121]
	v_add_f64_e32 v[20:21], v[22:23], v[20:21]
	v_add_f64_e32 v[22:23], v[16:17], v[18:19]
	ds_load_b128 v[4:7], v2 offset:1344
	ds_load_b128 v[16:19], v2 offset:1360
	v_fma_f64 v[12:13], v[12:13], v[120:121], -v[114:115]
	s_wait_loadcnt_dscnt 0x101
	v_mul_f64_e32 v[2:3], v[4:5], v[154:155]
	v_mul_f64_e32 v[118:119], v[6:7], v[154:155]
	v_add_f64_e32 v[14:15], v[20:21], v[116:117]
	v_add_f64_e32 v[20:21], v[22:23], v[124:125]
	s_wait_loadcnt_dscnt 0x0
	v_mul_f64_e32 v[22:23], v[16:17], v[10:11]
	v_mul_f64_e32 v[10:11], v[18:19], v[10:11]
	v_fmac_f64_e32 v[2:3], v[6:7], v[152:153]
	v_fma_f64 v[4:5], v[4:5], v[152:153], -v[118:119]
	v_add_f64_e32 v[6:7], v[14:15], v[12:13]
	v_add_f64_e32 v[12:13], v[20:21], v[112:113]
	v_fmac_f64_e32 v[22:23], v[18:19], v[8:9]
	v_fma_f64 v[8:9], v[16:17], v[8:9], -v[10:11]
	s_delay_alu instid0(VALU_DEP_4) | instskip(NEXT) | instid1(VALU_DEP_4)
	v_add_f64_e32 v[4:5], v[6:7], v[4:5]
	v_add_f64_e32 v[2:3], v[12:13], v[2:3]
	s_delay_alu instid0(VALU_DEP_2) | instskip(NEXT) | instid1(VALU_DEP_2)
	v_add_f64_e32 v[4:5], v[4:5], v[8:9]
	v_add_f64_e32 v[6:7], v[2:3], v[22:23]
	s_delay_alu instid0(VALU_DEP_2) | instskip(NEXT) | instid1(VALU_DEP_2)
	v_add_f64_e64 v[2:3], v[144:145], -v[4:5]
	v_add_f64_e64 v[4:5], v[146:147], -v[6:7]
	scratch_store_b128 off, v[2:5], off offset:64
	s_wait_xcnt 0x0
	v_cmpx_lt_u32_e32 3, v1
	s_cbranch_execz .LBB106_265
; %bb.264:
	scratch_load_b128 v[2:5], off, s14
	v_mov_b32_e32 v6, 0
	s_delay_alu instid0(VALU_DEP_1)
	v_dual_mov_b32 v7, v6 :: v_dual_mov_b32 v8, v6
	v_mov_b32_e32 v9, v6
	scratch_store_b128 off, v[6:9], off offset:48
	s_wait_loadcnt 0x0
	ds_store_b128 v110, v[2:5]
.LBB106_265:
	s_wait_xcnt 0x0
	s_or_b32 exec_lo, exec_lo, s2
	s_wait_storecnt_dscnt 0x0
	s_barrier_signal -1
	s_barrier_wait -1
	s_clause 0x9
	scratch_load_b128 v[4:7], off, off offset:64
	scratch_load_b128 v[8:11], off, off offset:80
	scratch_load_b128 v[12:15], off, off offset:96
	scratch_load_b128 v[16:19], off, off offset:112
	scratch_load_b128 v[20:23], off, off offset:128
	scratch_load_b128 v[112:115], off, off offset:144
	scratch_load_b128 v[116:119], off, off offset:160
	scratch_load_b128 v[120:123], off, off offset:176
	scratch_load_b128 v[124:127], off, off offset:192
	scratch_load_b128 v[128:131], off, off offset:208
	v_mov_b32_e32 v2, 0
	s_mov_b32 s2, exec_lo
	ds_load_b128 v[132:135], v2 offset:752
	s_clause 0x2
	scratch_load_b128 v[136:139], off, off offset:224
	scratch_load_b128 v[140:143], off, off offset:48
	scratch_load_b128 v[148:151], off, off offset:240
	s_wait_loadcnt_dscnt 0xc00
	v_mul_f64_e32 v[152:153], v[134:135], v[6:7]
	v_mul_f64_e32 v[156:157], v[132:133], v[6:7]
	ds_load_b128 v[144:147], v2 offset:768
	v_fma_f64 v[160:161], v[132:133], v[4:5], -v[152:153]
	v_fmac_f64_e32 v[156:157], v[134:135], v[4:5]
	ds_load_b128 v[4:7], v2 offset:784
	s_wait_loadcnt_dscnt 0xb01
	v_mul_f64_e32 v[158:159], v[144:145], v[10:11]
	v_mul_f64_e32 v[10:11], v[146:147], v[10:11]
	scratch_load_b128 v[132:135], off, off offset:256
	ds_load_b128 v[152:155], v2 offset:800
	s_wait_loadcnt_dscnt 0xb01
	v_mul_f64_e32 v[162:163], v[4:5], v[14:15]
	v_mul_f64_e32 v[14:15], v[6:7], v[14:15]
	v_add_f64_e32 v[156:157], 0, v[156:157]
	v_fmac_f64_e32 v[158:159], v[146:147], v[8:9]
	v_fma_f64 v[144:145], v[144:145], v[8:9], -v[10:11]
	v_add_f64_e32 v[146:147], 0, v[160:161]
	scratch_load_b128 v[8:11], off, off offset:272
	v_fmac_f64_e32 v[162:163], v[6:7], v[12:13]
	v_fma_f64 v[164:165], v[4:5], v[12:13], -v[14:15]
	ds_load_b128 v[4:7], v2 offset:816
	s_wait_loadcnt_dscnt 0xb01
	v_mul_f64_e32 v[160:161], v[152:153], v[18:19]
	v_mul_f64_e32 v[18:19], v[154:155], v[18:19]
	scratch_load_b128 v[12:15], off, off offset:288
	v_add_f64_e32 v[156:157], v[156:157], v[158:159]
	v_add_f64_e32 v[166:167], v[146:147], v[144:145]
	ds_load_b128 v[144:147], v2 offset:832
	s_wait_loadcnt_dscnt 0xb01
	v_mul_f64_e32 v[158:159], v[4:5], v[22:23]
	v_mul_f64_e32 v[22:23], v[6:7], v[22:23]
	v_fmac_f64_e32 v[160:161], v[154:155], v[16:17]
	v_fma_f64 v[152:153], v[152:153], v[16:17], -v[18:19]
	scratch_load_b128 v[16:19], off, off offset:304
	v_add_f64_e32 v[156:157], v[156:157], v[162:163]
	v_add_f64_e32 v[154:155], v[166:167], v[164:165]
	v_fmac_f64_e32 v[158:159], v[6:7], v[20:21]
	v_fma_f64 v[164:165], v[4:5], v[20:21], -v[22:23]
	ds_load_b128 v[4:7], v2 offset:848
	s_wait_loadcnt_dscnt 0xb01
	v_mul_f64_e32 v[162:163], v[144:145], v[114:115]
	v_mul_f64_e32 v[114:115], v[146:147], v[114:115]
	scratch_load_b128 v[20:23], off, off offset:320
	v_add_f64_e32 v[156:157], v[156:157], v[160:161]
	s_wait_loadcnt_dscnt 0xb00
	v_mul_f64_e32 v[160:161], v[4:5], v[118:119]
	v_add_f64_e32 v[166:167], v[154:155], v[152:153]
	v_mul_f64_e32 v[118:119], v[6:7], v[118:119]
	ds_load_b128 v[152:155], v2 offset:864
	v_fmac_f64_e32 v[162:163], v[146:147], v[112:113]
	v_fma_f64 v[144:145], v[144:145], v[112:113], -v[114:115]
	scratch_load_b128 v[112:115], off, off offset:336
	v_add_f64_e32 v[156:157], v[156:157], v[158:159]
	v_fmac_f64_e32 v[160:161], v[6:7], v[116:117]
	v_add_f64_e32 v[146:147], v[166:167], v[164:165]
	v_fma_f64 v[164:165], v[4:5], v[116:117], -v[118:119]
	ds_load_b128 v[4:7], v2 offset:880
	s_wait_loadcnt_dscnt 0xb01
	v_mul_f64_e32 v[158:159], v[152:153], v[122:123]
	v_mul_f64_e32 v[122:123], v[154:155], v[122:123]
	scratch_load_b128 v[116:119], off, off offset:352
	v_add_f64_e32 v[156:157], v[156:157], v[162:163]
	s_wait_loadcnt_dscnt 0xb00
	v_mul_f64_e32 v[162:163], v[4:5], v[126:127]
	v_add_f64_e32 v[166:167], v[146:147], v[144:145]
	v_mul_f64_e32 v[126:127], v[6:7], v[126:127]
	ds_load_b128 v[144:147], v2 offset:896
	v_fmac_f64_e32 v[158:159], v[154:155], v[120:121]
	v_fma_f64 v[152:153], v[152:153], v[120:121], -v[122:123]
	scratch_load_b128 v[120:123], off, off offset:368
	v_add_f64_e32 v[156:157], v[156:157], v[160:161]
	v_fmac_f64_e32 v[162:163], v[6:7], v[124:125]
	v_add_f64_e32 v[154:155], v[166:167], v[164:165]
	;; [unrolled: 18-line block ×3, first 2 shown]
	v_fma_f64 v[164:165], v[4:5], v[136:137], -v[138:139]
	ds_load_b128 v[4:7], v2 offset:944
	s_wait_loadcnt_dscnt 0xa01
	v_mul_f64_e32 v[162:163], v[152:153], v[150:151]
	v_mul_f64_e32 v[150:151], v[154:155], v[150:151]
	scratch_load_b128 v[136:139], off, off offset:416
	v_add_f64_e32 v[156:157], v[156:157], v[160:161]
	v_add_f64_e32 v[166:167], v[146:147], v[144:145]
	s_wait_loadcnt_dscnt 0xa00
	v_mul_f64_e32 v[160:161], v[4:5], v[134:135]
	v_mul_f64_e32 v[134:135], v[6:7], v[134:135]
	v_fmac_f64_e32 v[162:163], v[154:155], v[148:149]
	v_fma_f64 v[152:153], v[152:153], v[148:149], -v[150:151]
	ds_load_b128 v[144:147], v2 offset:960
	scratch_load_b128 v[148:151], off, off offset:432
	v_add_f64_e32 v[156:157], v[156:157], v[158:159]
	v_add_f64_e32 v[154:155], v[166:167], v[164:165]
	v_fmac_f64_e32 v[160:161], v[6:7], v[132:133]
	v_fma_f64 v[164:165], v[4:5], v[132:133], -v[134:135]
	ds_load_b128 v[4:7], v2 offset:976
	s_wait_loadcnt_dscnt 0xa01
	v_mul_f64_e32 v[158:159], v[144:145], v[10:11]
	v_mul_f64_e32 v[10:11], v[146:147], v[10:11]
	scratch_load_b128 v[132:135], off, off offset:448
	v_add_f64_e32 v[156:157], v[156:157], v[162:163]
	s_wait_loadcnt_dscnt 0xa00
	v_mul_f64_e32 v[162:163], v[4:5], v[14:15]
	v_add_f64_e32 v[166:167], v[154:155], v[152:153]
	v_mul_f64_e32 v[14:15], v[6:7], v[14:15]
	ds_load_b128 v[152:155], v2 offset:992
	v_fmac_f64_e32 v[158:159], v[146:147], v[8:9]
	v_fma_f64 v[144:145], v[144:145], v[8:9], -v[10:11]
	scratch_load_b128 v[8:11], off, off offset:464
	v_add_f64_e32 v[156:157], v[156:157], v[160:161]
	v_fmac_f64_e32 v[162:163], v[6:7], v[12:13]
	v_add_f64_e32 v[146:147], v[166:167], v[164:165]
	v_fma_f64 v[164:165], v[4:5], v[12:13], -v[14:15]
	ds_load_b128 v[4:7], v2 offset:1008
	s_wait_loadcnt_dscnt 0xa01
	v_mul_f64_e32 v[160:161], v[152:153], v[18:19]
	v_mul_f64_e32 v[18:19], v[154:155], v[18:19]
	scratch_load_b128 v[12:15], off, off offset:480
	v_add_f64_e32 v[156:157], v[156:157], v[158:159]
	s_wait_loadcnt_dscnt 0xa00
	v_mul_f64_e32 v[158:159], v[4:5], v[22:23]
	v_add_f64_e32 v[166:167], v[146:147], v[144:145]
	v_mul_f64_e32 v[22:23], v[6:7], v[22:23]
	ds_load_b128 v[144:147], v2 offset:1024
	v_fmac_f64_e32 v[160:161], v[154:155], v[16:17]
	v_fma_f64 v[152:153], v[152:153], v[16:17], -v[18:19]
	scratch_load_b128 v[16:19], off, off offset:496
	v_add_f64_e32 v[156:157], v[156:157], v[162:163]
	v_fmac_f64_e32 v[158:159], v[6:7], v[20:21]
	v_add_f64_e32 v[154:155], v[166:167], v[164:165]
	;; [unrolled: 18-line block ×7, first 2 shown]
	v_fma_f64 v[164:165], v[4:5], v[12:13], -v[14:15]
	ds_load_b128 v[4:7], v2 offset:1200
	s_wait_loadcnt_dscnt 0xa01
	v_mul_f64_e32 v[160:161], v[152:153], v[18:19]
	v_mul_f64_e32 v[18:19], v[154:155], v[18:19]
	scratch_load_b128 v[12:15], off, off offset:672
	v_add_f64_e32 v[156:157], v[156:157], v[158:159]
	s_wait_loadcnt_dscnt 0xa00
	v_mul_f64_e32 v[158:159], v[4:5], v[22:23]
	v_add_f64_e32 v[166:167], v[146:147], v[144:145]
	v_mul_f64_e32 v[22:23], v[6:7], v[22:23]
	ds_load_b128 v[144:147], v2 offset:1216
	v_fmac_f64_e32 v[160:161], v[154:155], v[16:17]
	v_fma_f64 v[16:17], v[152:153], v[16:17], -v[18:19]
	s_wait_loadcnt_dscnt 0x900
	v_mul_f64_e32 v[154:155], v[144:145], v[114:115]
	v_mul_f64_e32 v[114:115], v[146:147], v[114:115]
	v_add_f64_e32 v[152:153], v[156:157], v[162:163]
	v_fmac_f64_e32 v[158:159], v[6:7], v[20:21]
	v_add_f64_e32 v[18:19], v[166:167], v[164:165]
	v_fma_f64 v[20:21], v[4:5], v[20:21], -v[22:23]
	v_fmac_f64_e32 v[154:155], v[146:147], v[112:113]
	v_fma_f64 v[112:113], v[144:145], v[112:113], -v[114:115]
	v_add_f64_e32 v[152:153], v[152:153], v[160:161]
	v_add_f64_e32 v[22:23], v[18:19], v[16:17]
	ds_load_b128 v[4:7], v2 offset:1232
	ds_load_b128 v[16:19], v2 offset:1248
	s_wait_loadcnt_dscnt 0x801
	v_mul_f64_e32 v[156:157], v[4:5], v[118:119]
	v_mul_f64_e32 v[118:119], v[6:7], v[118:119]
	s_wait_loadcnt_dscnt 0x700
	v_mul_f64_e32 v[114:115], v[16:17], v[122:123]
	v_mul_f64_e32 v[122:123], v[18:19], v[122:123]
	v_add_f64_e32 v[20:21], v[22:23], v[20:21]
	v_add_f64_e32 v[22:23], v[152:153], v[158:159]
	v_fmac_f64_e32 v[156:157], v[6:7], v[116:117]
	v_fma_f64 v[116:117], v[4:5], v[116:117], -v[118:119]
	v_fmac_f64_e32 v[114:115], v[18:19], v[120:121]
	v_fma_f64 v[16:17], v[16:17], v[120:121], -v[122:123]
	v_add_f64_e32 v[112:113], v[20:21], v[112:113]
	v_add_f64_e32 v[118:119], v[22:23], v[154:155]
	ds_load_b128 v[4:7], v2 offset:1264
	ds_load_b128 v[20:23], v2 offset:1280
	s_wait_loadcnt_dscnt 0x601
	v_mul_f64_e32 v[144:145], v[4:5], v[126:127]
	v_mul_f64_e32 v[126:127], v[6:7], v[126:127]
	v_add_f64_e32 v[18:19], v[112:113], v[116:117]
	v_add_f64_e32 v[112:113], v[118:119], v[156:157]
	s_wait_loadcnt_dscnt 0x500
	v_mul_f64_e32 v[116:117], v[20:21], v[130:131]
	v_mul_f64_e32 v[118:119], v[22:23], v[130:131]
	v_fmac_f64_e32 v[144:145], v[6:7], v[124:125]
	v_fma_f64 v[120:121], v[4:5], v[124:125], -v[126:127]
	v_add_f64_e32 v[122:123], v[18:19], v[16:17]
	v_add_f64_e32 v[112:113], v[112:113], v[114:115]
	ds_load_b128 v[4:7], v2 offset:1296
	ds_load_b128 v[16:19], v2 offset:1312
	v_fmac_f64_e32 v[116:117], v[22:23], v[128:129]
	v_fma_f64 v[20:21], v[20:21], v[128:129], -v[118:119]
	s_wait_loadcnt_dscnt 0x401
	v_mul_f64_e32 v[114:115], v[4:5], v[138:139]
	v_mul_f64_e32 v[124:125], v[6:7], v[138:139]
	s_wait_loadcnt_dscnt 0x300
	v_mul_f64_e32 v[118:119], v[16:17], v[150:151]
	v_add_f64_e32 v[22:23], v[122:123], v[120:121]
	v_add_f64_e32 v[112:113], v[112:113], v[144:145]
	v_mul_f64_e32 v[120:121], v[18:19], v[150:151]
	v_fmac_f64_e32 v[114:115], v[6:7], v[136:137]
	v_fma_f64 v[122:123], v[4:5], v[136:137], -v[124:125]
	v_fmac_f64_e32 v[118:119], v[18:19], v[148:149]
	v_add_f64_e32 v[124:125], v[22:23], v[20:21]
	v_add_f64_e32 v[112:113], v[112:113], v[116:117]
	ds_load_b128 v[4:7], v2 offset:1328
	ds_load_b128 v[20:23], v2 offset:1344
	v_fma_f64 v[16:17], v[16:17], v[148:149], -v[120:121]
	s_wait_loadcnt_dscnt 0x201
	v_mul_f64_e32 v[116:117], v[4:5], v[134:135]
	v_mul_f64_e32 v[126:127], v[6:7], v[134:135]
	v_add_f64_e32 v[18:19], v[124:125], v[122:123]
	v_add_f64_e32 v[112:113], v[112:113], v[114:115]
	s_wait_loadcnt_dscnt 0x100
	v_mul_f64_e32 v[114:115], v[20:21], v[10:11]
	v_mul_f64_e32 v[10:11], v[22:23], v[10:11]
	v_fmac_f64_e32 v[116:117], v[6:7], v[132:133]
	v_fma_f64 v[120:121], v[4:5], v[132:133], -v[126:127]
	ds_load_b128 v[4:7], v2 offset:1360
	v_add_f64_e32 v[16:17], v[18:19], v[16:17]
	v_add_f64_e32 v[18:19], v[112:113], v[118:119]
	v_fmac_f64_e32 v[114:115], v[22:23], v[8:9]
	v_fma_f64 v[8:9], v[20:21], v[8:9], -v[10:11]
	s_wait_loadcnt_dscnt 0x0
	v_mul_f64_e32 v[112:113], v[4:5], v[14:15]
	v_mul_f64_e32 v[14:15], v[6:7], v[14:15]
	v_add_f64_e32 v[10:11], v[16:17], v[120:121]
	v_add_f64_e32 v[16:17], v[18:19], v[116:117]
	s_delay_alu instid0(VALU_DEP_4) | instskip(NEXT) | instid1(VALU_DEP_4)
	v_fmac_f64_e32 v[112:113], v[6:7], v[12:13]
	v_fma_f64 v[4:5], v[4:5], v[12:13], -v[14:15]
	s_delay_alu instid0(VALU_DEP_4) | instskip(NEXT) | instid1(VALU_DEP_4)
	v_add_f64_e32 v[6:7], v[10:11], v[8:9]
	v_add_f64_e32 v[8:9], v[16:17], v[114:115]
	s_delay_alu instid0(VALU_DEP_2) | instskip(NEXT) | instid1(VALU_DEP_2)
	v_add_f64_e32 v[4:5], v[6:7], v[4:5]
	v_add_f64_e32 v[6:7], v[8:9], v[112:113]
	s_delay_alu instid0(VALU_DEP_2) | instskip(NEXT) | instid1(VALU_DEP_2)
	v_add_f64_e64 v[4:5], v[140:141], -v[4:5]
	v_add_f64_e64 v[6:7], v[142:143], -v[6:7]
	scratch_store_b128 off, v[4:7], off offset:48
	s_wait_xcnt 0x0
	v_cmpx_lt_u32_e32 2, v1
	s_cbranch_execz .LBB106_267
; %bb.266:
	scratch_load_b128 v[6:9], off, s16
	v_dual_mov_b32 v3, v2 :: v_dual_mov_b32 v4, v2
	v_mov_b32_e32 v5, v2
	scratch_store_b128 off, v[2:5], off offset:32
	s_wait_loadcnt 0x0
	ds_store_b128 v110, v[6:9]
.LBB106_267:
	s_wait_xcnt 0x0
	s_or_b32 exec_lo, exec_lo, s2
	s_wait_storecnt_dscnt 0x0
	s_barrier_signal -1
	s_barrier_wait -1
	s_clause 0x9
	scratch_load_b128 v[4:7], off, off offset:48
	scratch_load_b128 v[8:11], off, off offset:64
	;; [unrolled: 1-line block ×10, first 2 shown]
	ds_load_b128 v[132:135], v2 offset:736
	ds_load_b128 v[140:143], v2 offset:752
	s_clause 0x2
	scratch_load_b128 v[136:139], off, off offset:208
	scratch_load_b128 v[144:147], off, off offset:32
	scratch_load_b128 v[148:151], off, off offset:224
	s_mov_b32 s2, exec_lo
	v_ashrrev_i32_e32 v29, 31, v28
	v_ashrrev_i32_e32 v33, 31, v32
	;; [unrolled: 1-line block ×3, first 2 shown]
	v_dual_ashrrev_i32 v41, 31, v40 :: v_dual_ashrrev_i32 v31, 31, v30
	v_dual_ashrrev_i32 v35, 31, v34 :: v_dual_ashrrev_i32 v45, 31, v44
	;; [unrolled: 1-line block ×8, first 2 shown]
	v_ashrrev_i32_e32 v73, 31, v72
	v_ashrrev_i32_e32 v77, 31, v76
	v_dual_ashrrev_i32 v81, 31, v80 :: v_dual_ashrrev_i32 v63, 31, v62
	v_ashrrev_i32_e32 v67, 31, v66
	v_ashrrev_i32_e32 v71, 31, v70
	v_dual_ashrrev_i32 v75, 31, v74 :: v_dual_ashrrev_i32 v85, 31, v84
	v_dual_ashrrev_i32 v89, 31, v88 :: v_dual_ashrrev_i32 v79, 31, v78
	;; [unrolled: 1-line block ×3, first 2 shown]
	v_ashrrev_i32_e32 v97, 31, v96
	v_dual_ashrrev_i32 v101, 31, v100 :: v_dual_ashrrev_i32 v87, 31, v86
	v_dual_ashrrev_i32 v105, 31, v104 :: v_dual_ashrrev_i32 v91, 31, v90
	;; [unrolled: 1-line block ×3, first 2 shown]
	v_ashrrev_i32_e32 v99, 31, v98
	v_ashrrev_i32_e32 v103, 31, v102
	;; [unrolled: 1-line block ×3, first 2 shown]
	s_wait_loadcnt_dscnt 0xc01
	v_mul_f64_e32 v[152:153], v[134:135], v[6:7]
	v_mul_f64_e32 v[156:157], v[132:133], v[6:7]
	s_wait_loadcnt_dscnt 0xb00
	v_mul_f64_e32 v[158:159], v[140:141], v[10:11]
	v_mul_f64_e32 v[10:11], v[142:143], v[10:11]
	s_delay_alu instid0(VALU_DEP_4) | instskip(NEXT) | instid1(VALU_DEP_4)
	v_fma_f64 v[160:161], v[132:133], v[4:5], -v[152:153]
	v_fmac_f64_e32 v[156:157], v[134:135], v[4:5]
	ds_load_b128 v[4:7], v2 offset:768
	ds_load_b128 v[152:155], v2 offset:784
	scratch_load_b128 v[132:135], off, off offset:240
	v_fmac_f64_e32 v[158:159], v[142:143], v[8:9]
	v_fma_f64 v[140:141], v[140:141], v[8:9], -v[10:11]
	scratch_load_b128 v[8:11], off, off offset:256
	s_wait_loadcnt_dscnt 0xc01
	v_mul_f64_e32 v[162:163], v[4:5], v[14:15]
	v_mul_f64_e32 v[14:15], v[6:7], v[14:15]
	v_add_f64_e32 v[142:143], 0, v[160:161]
	v_add_f64_e32 v[156:157], 0, v[156:157]
	s_wait_loadcnt_dscnt 0xb00
	v_mul_f64_e32 v[160:161], v[152:153], v[18:19]
	v_mul_f64_e32 v[18:19], v[154:155], v[18:19]
	v_fmac_f64_e32 v[162:163], v[6:7], v[12:13]
	v_fma_f64 v[164:165], v[4:5], v[12:13], -v[14:15]
	ds_load_b128 v[4:7], v2 offset:800
	scratch_load_b128 v[12:15], off, off offset:272
	v_add_f64_e32 v[166:167], v[142:143], v[140:141]
	v_add_f64_e32 v[156:157], v[156:157], v[158:159]
	ds_load_b128 v[140:143], v2 offset:816
	v_fmac_f64_e32 v[160:161], v[154:155], v[16:17]
	v_fma_f64 v[152:153], v[152:153], v[16:17], -v[18:19]
	scratch_load_b128 v[16:19], off, off offset:288
	s_wait_loadcnt_dscnt 0xc01
	v_mul_f64_e32 v[158:159], v[4:5], v[22:23]
	v_mul_f64_e32 v[22:23], v[6:7], v[22:23]
	v_add_f64_e32 v[154:155], v[166:167], v[164:165]
	v_add_f64_e32 v[156:157], v[156:157], v[162:163]
	s_wait_loadcnt_dscnt 0xb00
	v_mul_f64_e32 v[162:163], v[140:141], v[114:115]
	v_mul_f64_e32 v[114:115], v[142:143], v[114:115]
	v_fmac_f64_e32 v[158:159], v[6:7], v[20:21]
	v_fma_f64 v[164:165], v[4:5], v[20:21], -v[22:23]
	ds_load_b128 v[4:7], v2 offset:832
	scratch_load_b128 v[20:23], off, off offset:304
	v_add_f64_e32 v[166:167], v[154:155], v[152:153]
	v_add_f64_e32 v[156:157], v[156:157], v[160:161]
	ds_load_b128 v[152:155], v2 offset:848
	s_wait_loadcnt_dscnt 0xb01
	v_mul_f64_e32 v[160:161], v[4:5], v[118:119]
	v_mul_f64_e32 v[118:119], v[6:7], v[118:119]
	v_fmac_f64_e32 v[162:163], v[142:143], v[112:113]
	v_fma_f64 v[140:141], v[140:141], v[112:113], -v[114:115]
	scratch_load_b128 v[112:115], off, off offset:320
	v_add_f64_e32 v[142:143], v[166:167], v[164:165]
	v_add_f64_e32 v[156:157], v[156:157], v[158:159]
	s_wait_loadcnt_dscnt 0xb00
	v_mul_f64_e32 v[158:159], v[152:153], v[122:123]
	v_mul_f64_e32 v[122:123], v[154:155], v[122:123]
	v_fmac_f64_e32 v[160:161], v[6:7], v[116:117]
	v_fma_f64 v[164:165], v[4:5], v[116:117], -v[118:119]
	ds_load_b128 v[4:7], v2 offset:864
	scratch_load_b128 v[116:119], off, off offset:336
	v_add_f64_e32 v[166:167], v[142:143], v[140:141]
	v_add_f64_e32 v[156:157], v[156:157], v[162:163]
	ds_load_b128 v[140:143], v2 offset:880
	s_wait_loadcnt_dscnt 0xb01
	v_mul_f64_e32 v[162:163], v[4:5], v[126:127]
	v_mul_f64_e32 v[126:127], v[6:7], v[126:127]
	v_fmac_f64_e32 v[158:159], v[154:155], v[120:121]
	v_fma_f64 v[152:153], v[152:153], v[120:121], -v[122:123]
	scratch_load_b128 v[120:123], off, off offset:352
	;; [unrolled: 18-line block ×3, first 2 shown]
	v_add_f64_e32 v[142:143], v[166:167], v[164:165]
	v_add_f64_e32 v[156:157], v[156:157], v[162:163]
	s_wait_loadcnt_dscnt 0xa00
	v_mul_f64_e32 v[162:163], v[152:153], v[150:151]
	v_mul_f64_e32 v[150:151], v[154:155], v[150:151]
	v_fmac_f64_e32 v[158:159], v[6:7], v[136:137]
	v_fma_f64 v[164:165], v[4:5], v[136:137], -v[138:139]
	ds_load_b128 v[4:7], v2 offset:928
	scratch_load_b128 v[136:139], off, off offset:400
	v_add_f64_e32 v[166:167], v[142:143], v[140:141]
	v_add_f64_e32 v[156:157], v[156:157], v[160:161]
	ds_load_b128 v[140:143], v2 offset:944
	v_fmac_f64_e32 v[162:163], v[154:155], v[148:149]
	s_wait_loadcnt_dscnt 0xa01
	v_mul_f64_e32 v[160:161], v[4:5], v[134:135]
	v_mul_f64_e32 v[134:135], v[6:7], v[134:135]
	v_fma_f64 v[152:153], v[152:153], v[148:149], -v[150:151]
	scratch_load_b128 v[148:151], off, off offset:416
	v_add_f64_e32 v[154:155], v[166:167], v[164:165]
	v_add_f64_e32 v[156:157], v[156:157], v[158:159]
	s_wait_loadcnt_dscnt 0xa00
	v_mul_f64_e32 v[158:159], v[140:141], v[10:11]
	v_mul_f64_e32 v[10:11], v[142:143], v[10:11]
	v_fmac_f64_e32 v[160:161], v[6:7], v[132:133]
	v_fma_f64 v[164:165], v[4:5], v[132:133], -v[134:135]
	ds_load_b128 v[4:7], v2 offset:960
	scratch_load_b128 v[132:135], off, off offset:432
	v_add_f64_e32 v[166:167], v[154:155], v[152:153]
	v_add_f64_e32 v[156:157], v[156:157], v[162:163]
	ds_load_b128 v[152:155], v2 offset:976
	s_wait_loadcnt_dscnt 0xa01
	v_mul_f64_e32 v[162:163], v[4:5], v[14:15]
	v_mul_f64_e32 v[14:15], v[6:7], v[14:15]
	v_fmac_f64_e32 v[158:159], v[142:143], v[8:9]
	v_fma_f64 v[140:141], v[140:141], v[8:9], -v[10:11]
	scratch_load_b128 v[8:11], off, off offset:448
	v_add_f64_e32 v[142:143], v[166:167], v[164:165]
	v_add_f64_e32 v[156:157], v[156:157], v[160:161]
	s_wait_loadcnt_dscnt 0xa00
	v_mul_f64_e32 v[160:161], v[152:153], v[18:19]
	v_mul_f64_e32 v[18:19], v[154:155], v[18:19]
	v_fmac_f64_e32 v[162:163], v[6:7], v[12:13]
	v_fma_f64 v[164:165], v[4:5], v[12:13], -v[14:15]
	ds_load_b128 v[4:7], v2 offset:992
	scratch_load_b128 v[12:15], off, off offset:464
	v_add_f64_e32 v[166:167], v[142:143], v[140:141]
	v_add_f64_e32 v[156:157], v[156:157], v[158:159]
	ds_load_b128 v[140:143], v2 offset:1008
	s_wait_loadcnt_dscnt 0xa01
	v_mul_f64_e32 v[158:159], v[4:5], v[22:23]
	v_mul_f64_e32 v[22:23], v[6:7], v[22:23]
	v_fmac_f64_e32 v[160:161], v[154:155], v[16:17]
	;; [unrolled: 18-line block ×8, first 2 shown]
	v_fma_f64 v[152:153], v[152:153], v[16:17], -v[18:19]
	scratch_load_b128 v[16:19], off, off offset:672
	v_add_f64_e32 v[154:155], v[166:167], v[164:165]
	v_add_f64_e32 v[156:157], v[156:157], v[162:163]
	s_wait_loadcnt_dscnt 0xa00
	v_mul_f64_e32 v[162:163], v[140:141], v[114:115]
	v_mul_f64_e32 v[114:115], v[142:143], v[114:115]
	v_fmac_f64_e32 v[158:159], v[6:7], v[20:21]
	v_fma_f64 v[164:165], v[4:5], v[20:21], -v[22:23]
	ds_load_b128 v[4:7], v2 offset:1216
	ds_load_b128 v[20:23], v2 offset:1232
	v_add_f64_e32 v[152:153], v[154:155], v[152:153]
	v_add_f64_e32 v[154:155], v[156:157], v[160:161]
	s_wait_loadcnt_dscnt 0x901
	v_mul_f64_e32 v[156:157], v[4:5], v[118:119]
	v_mul_f64_e32 v[118:119], v[6:7], v[118:119]
	v_fmac_f64_e32 v[162:163], v[142:143], v[112:113]
	v_fma_f64 v[112:113], v[140:141], v[112:113], -v[114:115]
	s_wait_loadcnt_dscnt 0x800
	v_mul_f64_e32 v[142:143], v[20:21], v[122:123]
	v_mul_f64_e32 v[122:123], v[22:23], v[122:123]
	v_add_f64_e32 v[114:115], v[152:153], v[164:165]
	v_add_f64_e32 v[140:141], v[154:155], v[158:159]
	v_fmac_f64_e32 v[156:157], v[6:7], v[116:117]
	v_fma_f64 v[116:117], v[4:5], v[116:117], -v[118:119]
	v_fmac_f64_e32 v[142:143], v[22:23], v[120:121]
	v_fma_f64 v[20:21], v[20:21], v[120:121], -v[122:123]
	v_add_f64_e32 v[118:119], v[114:115], v[112:113]
	v_add_f64_e32 v[140:141], v[140:141], v[162:163]
	ds_load_b128 v[4:7], v2 offset:1248
	ds_load_b128 v[112:115], v2 offset:1264
	s_wait_loadcnt_dscnt 0x701
	v_mul_f64_e32 v[152:153], v[4:5], v[126:127]
	v_mul_f64_e32 v[126:127], v[6:7], v[126:127]
	s_wait_loadcnt_dscnt 0x600
	v_mul_f64_e32 v[120:121], v[114:115], v[130:131]
	v_add_f64_e32 v[22:23], v[118:119], v[116:117]
	v_add_f64_e32 v[116:117], v[140:141], v[156:157]
	v_mul_f64_e32 v[118:119], v[112:113], v[130:131]
	v_fmac_f64_e32 v[152:153], v[6:7], v[124:125]
	v_fma_f64 v[122:123], v[4:5], v[124:125], -v[126:127]
	v_fma_f64 v[112:113], v[112:113], v[128:129], -v[120:121]
	v_add_f64_e32 v[124:125], v[22:23], v[20:21]
	v_add_f64_e32 v[116:117], v[116:117], v[142:143]
	ds_load_b128 v[4:7], v2 offset:1280
	ds_load_b128 v[20:23], v2 offset:1296
	v_fmac_f64_e32 v[118:119], v[114:115], v[128:129]
	s_wait_loadcnt_dscnt 0x501
	v_mul_f64_e32 v[126:127], v[4:5], v[138:139]
	v_mul_f64_e32 v[130:131], v[6:7], v[138:139]
	s_wait_loadcnt_dscnt 0x400
	v_mul_f64_e32 v[120:121], v[20:21], v[150:151]
	v_add_f64_e32 v[114:115], v[124:125], v[122:123]
	v_add_f64_e32 v[116:117], v[116:117], v[152:153]
	v_mul_f64_e32 v[122:123], v[22:23], v[150:151]
	v_fmac_f64_e32 v[126:127], v[6:7], v[136:137]
	v_fma_f64 v[124:125], v[4:5], v[136:137], -v[130:131]
	v_fmac_f64_e32 v[120:121], v[22:23], v[148:149]
	v_add_f64_e32 v[128:129], v[114:115], v[112:113]
	v_add_f64_e32 v[116:117], v[116:117], v[118:119]
	ds_load_b128 v[4:7], v2 offset:1312
	ds_load_b128 v[112:115], v2 offset:1328
	v_fma_f64 v[20:21], v[20:21], v[148:149], -v[122:123]
	s_wait_loadcnt_dscnt 0x301
	v_mul_f64_e32 v[118:119], v[4:5], v[134:135]
	v_mul_f64_e32 v[130:131], v[6:7], v[134:135]
	s_wait_loadcnt_dscnt 0x200
	v_mul_f64_e32 v[122:123], v[112:113], v[10:11]
	v_mul_f64_e32 v[10:11], v[114:115], v[10:11]
	v_add_f64_e32 v[22:23], v[128:129], v[124:125]
	v_add_f64_e32 v[116:117], v[116:117], v[126:127]
	v_fmac_f64_e32 v[118:119], v[6:7], v[132:133]
	v_fma_f64 v[124:125], v[4:5], v[132:133], -v[130:131]
	v_fmac_f64_e32 v[122:123], v[114:115], v[8:9]
	v_fma_f64 v[8:9], v[112:113], v[8:9], -v[10:11]
	v_add_f64_e32 v[126:127], v[22:23], v[20:21]
	v_add_f64_e32 v[116:117], v[116:117], v[120:121]
	ds_load_b128 v[4:7], v2 offset:1344
	ds_load_b128 v[20:23], v2 offset:1360
	s_wait_loadcnt_dscnt 0x101
	v_mul_f64_e32 v[2:3], v[4:5], v[14:15]
	v_mul_f64_e32 v[14:15], v[6:7], v[14:15]
	s_wait_loadcnt_dscnt 0x0
	v_mul_f64_e32 v[114:115], v[20:21], v[18:19]
	v_mul_f64_e32 v[18:19], v[22:23], v[18:19]
	v_add_f64_e32 v[10:11], v[126:127], v[124:125]
	v_add_f64_e32 v[112:113], v[116:117], v[118:119]
	v_fmac_f64_e32 v[2:3], v[6:7], v[12:13]
	v_fma_f64 v[4:5], v[4:5], v[12:13], -v[14:15]
	v_fmac_f64_e32 v[114:115], v[22:23], v[16:17]
	v_add_f64_e32 v[6:7], v[10:11], v[8:9]
	v_add_f64_e32 v[8:9], v[112:113], v[122:123]
	v_fma_f64 v[10:11], v[20:21], v[16:17], -v[18:19]
	s_delay_alu instid0(VALU_DEP_3) | instskip(NEXT) | instid1(VALU_DEP_3)
	v_add_f64_e32 v[4:5], v[6:7], v[4:5]
	v_add_f64_e32 v[2:3], v[8:9], v[2:3]
	s_delay_alu instid0(VALU_DEP_2) | instskip(NEXT) | instid1(VALU_DEP_2)
	v_add_f64_e32 v[4:5], v[4:5], v[10:11]
	v_add_f64_e32 v[6:7], v[2:3], v[114:115]
	s_delay_alu instid0(VALU_DEP_2) | instskip(NEXT) | instid1(VALU_DEP_2)
	v_add_f64_e64 v[2:3], v[144:145], -v[4:5]
	v_add_f64_e64 v[4:5], v[146:147], -v[6:7]
	scratch_store_b128 off, v[2:5], off offset:32
	s_wait_xcnt 0x0
	v_cmpx_lt_u32_e32 1, v1
	s_cbranch_execz .LBB106_269
; %bb.268:
	scratch_load_b128 v[2:5], off, s18
	v_mov_b32_e32 v6, 0
	s_delay_alu instid0(VALU_DEP_1)
	v_dual_mov_b32 v7, v6 :: v_dual_mov_b32 v8, v6
	v_mov_b32_e32 v9, v6
	scratch_store_b128 off, v[6:9], off offset:16
	s_wait_loadcnt 0x0
	ds_store_b128 v110, v[2:5]
.LBB106_269:
	s_wait_xcnt 0x0
	s_or_b32 exec_lo, exec_lo, s2
	s_wait_storecnt_dscnt 0x0
	s_barrier_signal -1
	s_barrier_wait -1
	s_clause 0x9
	scratch_load_b128 v[4:7], off, off offset:32
	scratch_load_b128 v[8:11], off, off offset:48
	;; [unrolled: 1-line block ×10, first 2 shown]
	v_mov_b32_e32 v2, 0
	s_mov_b32 s2, exec_lo
	ds_load_b128 v[132:135], v2 offset:720
	s_clause 0x2
	scratch_load_b128 v[136:139], off, off offset:192
	scratch_load_b128 v[140:143], off, off offset:16
	;; [unrolled: 1-line block ×3, first 2 shown]
	s_wait_loadcnt_dscnt 0xc00
	v_mul_f64_e32 v[152:153], v[134:135], v[6:7]
	v_mul_f64_e32 v[156:157], v[132:133], v[6:7]
	ds_load_b128 v[144:147], v2 offset:736
	v_fma_f64 v[160:161], v[132:133], v[4:5], -v[152:153]
	v_fmac_f64_e32 v[156:157], v[134:135], v[4:5]
	ds_load_b128 v[4:7], v2 offset:752
	s_wait_loadcnt_dscnt 0xb01
	v_mul_f64_e32 v[158:159], v[144:145], v[10:11]
	v_mul_f64_e32 v[10:11], v[146:147], v[10:11]
	scratch_load_b128 v[132:135], off, off offset:224
	ds_load_b128 v[152:155], v2 offset:768
	s_wait_loadcnt_dscnt 0xb01
	v_mul_f64_e32 v[162:163], v[4:5], v[14:15]
	v_mul_f64_e32 v[14:15], v[6:7], v[14:15]
	v_add_f64_e32 v[156:157], 0, v[156:157]
	v_fmac_f64_e32 v[158:159], v[146:147], v[8:9]
	v_fma_f64 v[144:145], v[144:145], v[8:9], -v[10:11]
	v_add_f64_e32 v[146:147], 0, v[160:161]
	scratch_load_b128 v[8:11], off, off offset:240
	v_fmac_f64_e32 v[162:163], v[6:7], v[12:13]
	v_fma_f64 v[164:165], v[4:5], v[12:13], -v[14:15]
	ds_load_b128 v[4:7], v2 offset:784
	s_wait_loadcnt_dscnt 0xb01
	v_mul_f64_e32 v[160:161], v[152:153], v[18:19]
	v_mul_f64_e32 v[18:19], v[154:155], v[18:19]
	scratch_load_b128 v[12:15], off, off offset:256
	v_add_f64_e32 v[156:157], v[156:157], v[158:159]
	v_add_f64_e32 v[166:167], v[146:147], v[144:145]
	ds_load_b128 v[144:147], v2 offset:800
	s_wait_loadcnt_dscnt 0xb01
	v_mul_f64_e32 v[158:159], v[4:5], v[22:23]
	v_mul_f64_e32 v[22:23], v[6:7], v[22:23]
	v_fmac_f64_e32 v[160:161], v[154:155], v[16:17]
	v_fma_f64 v[152:153], v[152:153], v[16:17], -v[18:19]
	scratch_load_b128 v[16:19], off, off offset:272
	v_add_f64_e32 v[156:157], v[156:157], v[162:163]
	v_add_f64_e32 v[154:155], v[166:167], v[164:165]
	v_fmac_f64_e32 v[158:159], v[6:7], v[20:21]
	v_fma_f64 v[164:165], v[4:5], v[20:21], -v[22:23]
	ds_load_b128 v[4:7], v2 offset:816
	s_wait_loadcnt_dscnt 0xb01
	v_mul_f64_e32 v[162:163], v[144:145], v[114:115]
	v_mul_f64_e32 v[114:115], v[146:147], v[114:115]
	scratch_load_b128 v[20:23], off, off offset:288
	v_add_f64_e32 v[156:157], v[156:157], v[160:161]
	s_wait_loadcnt_dscnt 0xb00
	v_mul_f64_e32 v[160:161], v[4:5], v[118:119]
	v_add_f64_e32 v[166:167], v[154:155], v[152:153]
	v_mul_f64_e32 v[118:119], v[6:7], v[118:119]
	ds_load_b128 v[152:155], v2 offset:832
	v_fmac_f64_e32 v[162:163], v[146:147], v[112:113]
	v_fma_f64 v[144:145], v[144:145], v[112:113], -v[114:115]
	scratch_load_b128 v[112:115], off, off offset:304
	v_add_f64_e32 v[156:157], v[156:157], v[158:159]
	v_fmac_f64_e32 v[160:161], v[6:7], v[116:117]
	v_add_f64_e32 v[146:147], v[166:167], v[164:165]
	v_fma_f64 v[164:165], v[4:5], v[116:117], -v[118:119]
	ds_load_b128 v[4:7], v2 offset:848
	s_wait_loadcnt_dscnt 0xb01
	v_mul_f64_e32 v[158:159], v[152:153], v[122:123]
	v_mul_f64_e32 v[122:123], v[154:155], v[122:123]
	scratch_load_b128 v[116:119], off, off offset:320
	v_add_f64_e32 v[156:157], v[156:157], v[162:163]
	s_wait_loadcnt_dscnt 0xb00
	v_mul_f64_e32 v[162:163], v[4:5], v[126:127]
	v_add_f64_e32 v[166:167], v[146:147], v[144:145]
	v_mul_f64_e32 v[126:127], v[6:7], v[126:127]
	ds_load_b128 v[144:147], v2 offset:864
	v_fmac_f64_e32 v[158:159], v[154:155], v[120:121]
	v_fma_f64 v[152:153], v[152:153], v[120:121], -v[122:123]
	scratch_load_b128 v[120:123], off, off offset:336
	v_add_f64_e32 v[156:157], v[156:157], v[160:161]
	v_fmac_f64_e32 v[162:163], v[6:7], v[124:125]
	v_add_f64_e32 v[154:155], v[166:167], v[164:165]
	;; [unrolled: 18-line block ×3, first 2 shown]
	v_fma_f64 v[164:165], v[4:5], v[136:137], -v[138:139]
	ds_load_b128 v[4:7], v2 offset:912
	s_wait_loadcnt_dscnt 0xa01
	v_mul_f64_e32 v[162:163], v[152:153], v[150:151]
	v_mul_f64_e32 v[150:151], v[154:155], v[150:151]
	scratch_load_b128 v[136:139], off, off offset:384
	v_add_f64_e32 v[156:157], v[156:157], v[160:161]
	v_add_f64_e32 v[166:167], v[146:147], v[144:145]
	s_wait_loadcnt_dscnt 0xa00
	v_mul_f64_e32 v[160:161], v[4:5], v[134:135]
	v_mul_f64_e32 v[134:135], v[6:7], v[134:135]
	v_fmac_f64_e32 v[162:163], v[154:155], v[148:149]
	v_fma_f64 v[152:153], v[152:153], v[148:149], -v[150:151]
	ds_load_b128 v[144:147], v2 offset:928
	scratch_load_b128 v[148:151], off, off offset:400
	v_add_f64_e32 v[156:157], v[156:157], v[158:159]
	v_add_f64_e32 v[154:155], v[166:167], v[164:165]
	v_fmac_f64_e32 v[160:161], v[6:7], v[132:133]
	v_fma_f64 v[164:165], v[4:5], v[132:133], -v[134:135]
	ds_load_b128 v[4:7], v2 offset:944
	s_wait_loadcnt_dscnt 0xa01
	v_mul_f64_e32 v[158:159], v[144:145], v[10:11]
	v_mul_f64_e32 v[10:11], v[146:147], v[10:11]
	scratch_load_b128 v[132:135], off, off offset:416
	v_add_f64_e32 v[156:157], v[156:157], v[162:163]
	s_wait_loadcnt_dscnt 0xa00
	v_mul_f64_e32 v[162:163], v[4:5], v[14:15]
	v_add_f64_e32 v[166:167], v[154:155], v[152:153]
	v_mul_f64_e32 v[14:15], v[6:7], v[14:15]
	ds_load_b128 v[152:155], v2 offset:960
	v_fmac_f64_e32 v[158:159], v[146:147], v[8:9]
	v_fma_f64 v[144:145], v[144:145], v[8:9], -v[10:11]
	scratch_load_b128 v[8:11], off, off offset:432
	v_add_f64_e32 v[156:157], v[156:157], v[160:161]
	v_fmac_f64_e32 v[162:163], v[6:7], v[12:13]
	v_add_f64_e32 v[146:147], v[166:167], v[164:165]
	v_fma_f64 v[164:165], v[4:5], v[12:13], -v[14:15]
	ds_load_b128 v[4:7], v2 offset:976
	s_wait_loadcnt_dscnt 0xa01
	v_mul_f64_e32 v[160:161], v[152:153], v[18:19]
	v_mul_f64_e32 v[18:19], v[154:155], v[18:19]
	scratch_load_b128 v[12:15], off, off offset:448
	v_add_f64_e32 v[156:157], v[156:157], v[158:159]
	s_wait_loadcnt_dscnt 0xa00
	v_mul_f64_e32 v[158:159], v[4:5], v[22:23]
	v_add_f64_e32 v[166:167], v[146:147], v[144:145]
	v_mul_f64_e32 v[22:23], v[6:7], v[22:23]
	ds_load_b128 v[144:147], v2 offset:992
	v_fmac_f64_e32 v[160:161], v[154:155], v[16:17]
	v_fma_f64 v[152:153], v[152:153], v[16:17], -v[18:19]
	scratch_load_b128 v[16:19], off, off offset:464
	v_add_f64_e32 v[156:157], v[156:157], v[162:163]
	v_fmac_f64_e32 v[158:159], v[6:7], v[20:21]
	v_add_f64_e32 v[154:155], v[166:167], v[164:165]
	;; [unrolled: 18-line block ×8, first 2 shown]
	v_fma_f64 v[164:165], v[4:5], v[20:21], -v[22:23]
	ds_load_b128 v[4:7], v2 offset:1200
	s_wait_loadcnt_dscnt 0xa01
	v_mul_f64_e32 v[162:163], v[144:145], v[114:115]
	v_mul_f64_e32 v[114:115], v[146:147], v[114:115]
	scratch_load_b128 v[20:23], off, off offset:672
	v_add_f64_e32 v[156:157], v[156:157], v[160:161]
	s_wait_loadcnt_dscnt 0xa00
	v_mul_f64_e32 v[160:161], v[4:5], v[118:119]
	v_add_f64_e32 v[166:167], v[154:155], v[152:153]
	v_mul_f64_e32 v[118:119], v[6:7], v[118:119]
	ds_load_b128 v[152:155], v2 offset:1216
	v_fmac_f64_e32 v[162:163], v[146:147], v[112:113]
	v_fma_f64 v[112:113], v[144:145], v[112:113], -v[114:115]
	s_wait_loadcnt_dscnt 0x900
	v_mul_f64_e32 v[146:147], v[152:153], v[122:123]
	v_mul_f64_e32 v[122:123], v[154:155], v[122:123]
	v_add_f64_e32 v[144:145], v[156:157], v[158:159]
	v_fmac_f64_e32 v[160:161], v[6:7], v[116:117]
	v_add_f64_e32 v[114:115], v[166:167], v[164:165]
	v_fma_f64 v[116:117], v[4:5], v[116:117], -v[118:119]
	v_fmac_f64_e32 v[146:147], v[154:155], v[120:121]
	v_fma_f64 v[120:121], v[152:153], v[120:121], -v[122:123]
	v_add_f64_e32 v[144:145], v[144:145], v[162:163]
	v_add_f64_e32 v[118:119], v[114:115], v[112:113]
	ds_load_b128 v[4:7], v2 offset:1232
	ds_load_b128 v[112:115], v2 offset:1248
	s_wait_loadcnt_dscnt 0x801
	v_mul_f64_e32 v[156:157], v[4:5], v[126:127]
	v_mul_f64_e32 v[126:127], v[6:7], v[126:127]
	s_wait_loadcnt_dscnt 0x700
	v_mul_f64_e32 v[122:123], v[112:113], v[130:131]
	v_mul_f64_e32 v[130:131], v[114:115], v[130:131]
	v_add_f64_e32 v[116:117], v[118:119], v[116:117]
	v_add_f64_e32 v[118:119], v[144:145], v[160:161]
	v_fmac_f64_e32 v[156:157], v[6:7], v[124:125]
	v_fma_f64 v[124:125], v[4:5], v[124:125], -v[126:127]
	v_fmac_f64_e32 v[122:123], v[114:115], v[128:129]
	v_fma_f64 v[112:113], v[112:113], v[128:129], -v[130:131]
	v_add_f64_e32 v[120:121], v[116:117], v[120:121]
	v_add_f64_e32 v[126:127], v[118:119], v[146:147]
	ds_load_b128 v[4:7], v2 offset:1264
	ds_load_b128 v[116:119], v2 offset:1280
	s_wait_loadcnt_dscnt 0x601
	v_mul_f64_e32 v[144:145], v[4:5], v[138:139]
	v_mul_f64_e32 v[138:139], v[6:7], v[138:139]
	v_add_f64_e32 v[114:115], v[120:121], v[124:125]
	v_add_f64_e32 v[120:121], v[126:127], v[156:157]
	s_wait_loadcnt_dscnt 0x500
	v_mul_f64_e32 v[124:125], v[116:117], v[150:151]
	v_mul_f64_e32 v[126:127], v[118:119], v[150:151]
	v_fmac_f64_e32 v[144:145], v[6:7], v[136:137]
	v_fma_f64 v[128:129], v[4:5], v[136:137], -v[138:139]
	v_add_f64_e32 v[130:131], v[114:115], v[112:113]
	v_add_f64_e32 v[120:121], v[120:121], v[122:123]
	ds_load_b128 v[4:7], v2 offset:1296
	ds_load_b128 v[112:115], v2 offset:1312
	v_fmac_f64_e32 v[124:125], v[118:119], v[148:149]
	v_fma_f64 v[116:117], v[116:117], v[148:149], -v[126:127]
	s_wait_loadcnt_dscnt 0x401
	v_mul_f64_e32 v[122:123], v[4:5], v[134:135]
	v_mul_f64_e32 v[134:135], v[6:7], v[134:135]
	s_wait_loadcnt_dscnt 0x300
	v_mul_f64_e32 v[126:127], v[112:113], v[10:11]
	v_mul_f64_e32 v[10:11], v[114:115], v[10:11]
	v_add_f64_e32 v[118:119], v[130:131], v[128:129]
	v_add_f64_e32 v[120:121], v[120:121], v[144:145]
	v_fmac_f64_e32 v[122:123], v[6:7], v[132:133]
	v_fma_f64 v[128:129], v[4:5], v[132:133], -v[134:135]
	v_fmac_f64_e32 v[126:127], v[114:115], v[8:9]
	v_fma_f64 v[8:9], v[112:113], v[8:9], -v[10:11]
	v_add_f64_e32 v[130:131], v[118:119], v[116:117]
	v_add_f64_e32 v[120:121], v[120:121], v[124:125]
	ds_load_b128 v[4:7], v2 offset:1328
	ds_load_b128 v[116:119], v2 offset:1344
	s_wait_loadcnt_dscnt 0x201
	v_mul_f64_e32 v[124:125], v[4:5], v[14:15]
	v_mul_f64_e32 v[14:15], v[6:7], v[14:15]
	s_wait_loadcnt_dscnt 0x100
	v_mul_f64_e32 v[114:115], v[116:117], v[18:19]
	v_mul_f64_e32 v[18:19], v[118:119], v[18:19]
	v_add_f64_e32 v[10:11], v[130:131], v[128:129]
	v_add_f64_e32 v[112:113], v[120:121], v[122:123]
	v_fmac_f64_e32 v[124:125], v[6:7], v[12:13]
	v_fma_f64 v[12:13], v[4:5], v[12:13], -v[14:15]
	ds_load_b128 v[4:7], v2 offset:1360
	v_fmac_f64_e32 v[114:115], v[118:119], v[16:17]
	v_fma_f64 v[16:17], v[116:117], v[16:17], -v[18:19]
	v_add_f64_e32 v[8:9], v[10:11], v[8:9]
	v_add_f64_e32 v[10:11], v[112:113], v[126:127]
	s_wait_loadcnt_dscnt 0x0
	v_mul_f64_e32 v[14:15], v[4:5], v[22:23]
	v_mul_f64_e32 v[22:23], v[6:7], v[22:23]
	s_delay_alu instid0(VALU_DEP_4) | instskip(NEXT) | instid1(VALU_DEP_4)
	v_add_f64_e32 v[8:9], v[8:9], v[12:13]
	v_add_f64_e32 v[10:11], v[10:11], v[124:125]
	s_delay_alu instid0(VALU_DEP_4) | instskip(NEXT) | instid1(VALU_DEP_4)
	v_fmac_f64_e32 v[14:15], v[6:7], v[20:21]
	v_fma_f64 v[4:5], v[4:5], v[20:21], -v[22:23]
	s_delay_alu instid0(VALU_DEP_4) | instskip(NEXT) | instid1(VALU_DEP_4)
	v_add_f64_e32 v[6:7], v[8:9], v[16:17]
	v_add_f64_e32 v[8:9], v[10:11], v[114:115]
	s_delay_alu instid0(VALU_DEP_2) | instskip(NEXT) | instid1(VALU_DEP_2)
	v_add_f64_e32 v[4:5], v[6:7], v[4:5]
	v_add_f64_e32 v[6:7], v[8:9], v[14:15]
	s_delay_alu instid0(VALU_DEP_2) | instskip(NEXT) | instid1(VALU_DEP_2)
	v_add_f64_e64 v[4:5], v[140:141], -v[4:5]
	v_add_f64_e64 v[6:7], v[142:143], -v[6:7]
	scratch_store_b128 off, v[4:7], off offset:16
	s_wait_xcnt 0x0
	v_cmpx_ne_u32_e32 0, v1
	s_cbranch_execz .LBB106_271
; %bb.270:
	scratch_load_b128 v[6:9], off, off
	v_dual_mov_b32 v3, v2 :: v_dual_mov_b32 v4, v2
	v_mov_b32_e32 v5, v2
	scratch_store_b128 off, v[2:5], off
	s_wait_loadcnt 0x0
	ds_store_b128 v110, v[6:9]
.LBB106_271:
	s_wait_xcnt 0x0
	s_or_b32 exec_lo, exec_lo, s2
	s_wait_storecnt_dscnt 0x0
	s_barrier_signal -1
	s_barrier_wait -1
	s_clause 0x9
	scratch_load_b128 v[4:7], off, off offset:16
	scratch_load_b128 v[8:11], off, off offset:32
	;; [unrolled: 1-line block ×10, first 2 shown]
	ds_load_b128 v[130:133], v2 offset:704
	ds_load_b128 v[138:141], v2 offset:720
	s_clause 0x2
	scratch_load_b128 v[134:137], off, off offset:176
	scratch_load_b128 v[142:145], off, off
	scratch_load_b128 v[146:149], off, off offset:192
	s_and_b32 vcc_lo, exec_lo, s55
	s_wait_loadcnt_dscnt 0xc01
	v_mul_f64_e32 v[150:151], v[132:133], v[6:7]
	v_mul_f64_e32 v[154:155], v[130:131], v[6:7]
	s_wait_loadcnt_dscnt 0xb00
	v_mul_f64_e32 v[156:157], v[138:139], v[10:11]
	v_mul_f64_e32 v[10:11], v[140:141], v[10:11]
	s_delay_alu instid0(VALU_DEP_4) | instskip(NEXT) | instid1(VALU_DEP_4)
	v_fma_f64 v[158:159], v[130:131], v[4:5], -v[150:151]
	v_fmac_f64_e32 v[154:155], v[132:133], v[4:5]
	ds_load_b128 v[4:7], v2 offset:736
	ds_load_b128 v[130:133], v2 offset:752
	scratch_load_b128 v[150:153], off, off offset:208
	v_fmac_f64_e32 v[156:157], v[140:141], v[8:9]
	v_fma_f64 v[138:139], v[138:139], v[8:9], -v[10:11]
	scratch_load_b128 v[8:11], off, off offset:224
	s_wait_loadcnt_dscnt 0xc01
	v_mul_f64_e32 v[160:161], v[4:5], v[14:15]
	v_mul_f64_e32 v[14:15], v[6:7], v[14:15]
	v_add_f64_e32 v[140:141], 0, v[158:159]
	v_add_f64_e32 v[154:155], 0, v[154:155]
	s_wait_loadcnt_dscnt 0xb00
	v_mul_f64_e32 v[158:159], v[130:131], v[18:19]
	v_mul_f64_e32 v[18:19], v[132:133], v[18:19]
	v_fmac_f64_e32 v[160:161], v[6:7], v[12:13]
	v_fma_f64 v[162:163], v[4:5], v[12:13], -v[14:15]
	ds_load_b128 v[4:7], v2 offset:768
	ds_load_b128 v[12:15], v2 offset:784
	v_add_f64_e32 v[164:165], v[140:141], v[138:139]
	v_add_f64_e32 v[154:155], v[154:155], v[156:157]
	scratch_load_b128 v[138:141], off, off offset:240
	v_fmac_f64_e32 v[158:159], v[132:133], v[16:17]
	v_fma_f64 v[130:131], v[130:131], v[16:17], -v[18:19]
	scratch_load_b128 v[16:19], off, off offset:256
	s_wait_loadcnt_dscnt 0xc01
	v_mul_f64_e32 v[156:157], v[4:5], v[22:23]
	v_mul_f64_e32 v[22:23], v[6:7], v[22:23]
	v_add_f64_e32 v[132:133], v[164:165], v[162:163]
	v_add_f64_e32 v[154:155], v[154:155], v[160:161]
	s_wait_loadcnt_dscnt 0xb00
	v_mul_f64_e32 v[160:161], v[12:13], v[112:113]
	v_mul_f64_e32 v[112:113], v[14:15], v[112:113]
	v_fmac_f64_e32 v[156:157], v[6:7], v[20:21]
	v_fma_f64 v[162:163], v[4:5], v[20:21], -v[22:23]
	ds_load_b128 v[4:7], v2 offset:800
	ds_load_b128 v[20:23], v2 offset:816
	v_add_f64_e32 v[164:165], v[132:133], v[130:131]
	v_add_f64_e32 v[154:155], v[154:155], v[158:159]
	scratch_load_b128 v[130:133], off, off offset:272
	s_wait_loadcnt_dscnt 0xb01
	v_mul_f64_e32 v[158:159], v[4:5], v[116:117]
	v_mul_f64_e32 v[116:117], v[6:7], v[116:117]
	v_fmac_f64_e32 v[160:161], v[14:15], v[110:111]
	v_fma_f64 v[110:111], v[12:13], v[110:111], -v[112:113]
	scratch_load_b128 v[12:15], off, off offset:288
	v_add_f64_e32 v[112:113], v[164:165], v[162:163]
	v_add_f64_e32 v[154:155], v[154:155], v[156:157]
	s_wait_loadcnt_dscnt 0xb00
	v_mul_f64_e32 v[156:157], v[20:21], v[120:121]
	v_mul_f64_e32 v[120:121], v[22:23], v[120:121]
	v_fmac_f64_e32 v[158:159], v[6:7], v[114:115]
	v_fma_f64 v[162:163], v[4:5], v[114:115], -v[116:117]
	v_add_f64_e32 v[164:165], v[112:113], v[110:111]
	v_add_f64_e32 v[154:155], v[154:155], v[160:161]
	ds_load_b128 v[4:7], v2 offset:832
	ds_load_b128 v[110:113], v2 offset:848
	scratch_load_b128 v[114:117], off, off offset:304
	v_fmac_f64_e32 v[156:157], v[22:23], v[118:119]
	v_fma_f64 v[118:119], v[20:21], v[118:119], -v[120:121]
	scratch_load_b128 v[20:23], off, off offset:320
	s_wait_loadcnt_dscnt 0xc01
	v_mul_f64_e32 v[160:161], v[4:5], v[124:125]
	v_mul_f64_e32 v[124:125], v[6:7], v[124:125]
	v_add_f64_e32 v[120:121], v[164:165], v[162:163]
	v_add_f64_e32 v[154:155], v[154:155], v[158:159]
	s_wait_loadcnt_dscnt 0xb00
	v_mul_f64_e32 v[158:159], v[110:111], v[128:129]
	v_mul_f64_e32 v[128:129], v[112:113], v[128:129]
	v_fmac_f64_e32 v[160:161], v[6:7], v[122:123]
	v_fma_f64 v[162:163], v[4:5], v[122:123], -v[124:125]
	v_add_f64_e32 v[164:165], v[120:121], v[118:119]
	v_add_f64_e32 v[154:155], v[154:155], v[156:157]
	ds_load_b128 v[4:7], v2 offset:864
	ds_load_b128 v[118:121], v2 offset:880
	scratch_load_b128 v[122:125], off, off offset:336
	v_fmac_f64_e32 v[158:159], v[112:113], v[126:127]
	v_fma_f64 v[126:127], v[110:111], v[126:127], -v[128:129]
	scratch_load_b128 v[110:113], off, off offset:352
	s_wait_loadcnt_dscnt 0xc01
	v_mul_f64_e32 v[156:157], v[4:5], v[136:137]
	v_mul_f64_e32 v[136:137], v[6:7], v[136:137]
	;; [unrolled: 18-line block ×5, first 2 shown]
	v_add_f64_e32 v[148:149], v[164:165], v[162:163]
	v_add_f64_e32 v[154:155], v[154:155], v[160:161]
	s_wait_loadcnt_dscnt 0xa00
	v_mul_f64_e32 v[160:161], v[126:127], v[14:15]
	v_mul_f64_e32 v[14:15], v[128:129], v[14:15]
	v_fmac_f64_e32 v[156:157], v[6:7], v[130:131]
	v_fma_f64 v[162:163], v[4:5], v[130:131], -v[132:133]
	ds_load_b128 v[4:7], v2 offset:992
	ds_load_b128 v[130:133], v2 offset:1008
	v_add_f64_e32 v[164:165], v[148:149], v[146:147]
	v_add_f64_e32 v[154:155], v[154:155], v[158:159]
	scratch_load_b128 v[146:149], off, off offset:464
	v_fmac_f64_e32 v[160:161], v[128:129], v[12:13]
	v_fma_f64 v[126:127], v[126:127], v[12:13], -v[14:15]
	scratch_load_b128 v[12:15], off, off offset:480
	s_wait_loadcnt_dscnt 0xb01
	v_mul_f64_e32 v[158:159], v[4:5], v[116:117]
	v_mul_f64_e32 v[116:117], v[6:7], v[116:117]
	v_add_f64_e32 v[128:129], v[164:165], v[162:163]
	v_add_f64_e32 v[154:155], v[154:155], v[156:157]
	s_wait_loadcnt_dscnt 0xa00
	v_mul_f64_e32 v[156:157], v[130:131], v[22:23]
	v_mul_f64_e32 v[22:23], v[132:133], v[22:23]
	v_fmac_f64_e32 v[158:159], v[6:7], v[114:115]
	v_fma_f64 v[162:163], v[4:5], v[114:115], -v[116:117]
	ds_load_b128 v[4:7], v2 offset:1024
	ds_load_b128 v[114:117], v2 offset:1040
	v_add_f64_e32 v[164:165], v[128:129], v[126:127]
	v_add_f64_e32 v[154:155], v[154:155], v[160:161]
	scratch_load_b128 v[126:129], off, off offset:496
	s_wait_loadcnt_dscnt 0xa01
	v_mul_f64_e32 v[160:161], v[4:5], v[124:125]
	v_mul_f64_e32 v[124:125], v[6:7], v[124:125]
	v_fmac_f64_e32 v[156:157], v[132:133], v[20:21]
	v_fma_f64 v[130:131], v[130:131], v[20:21], -v[22:23]
	scratch_load_b128 v[20:23], off, off offset:512
	v_add_f64_e32 v[132:133], v[164:165], v[162:163]
	v_add_f64_e32 v[154:155], v[154:155], v[158:159]
	s_wait_loadcnt_dscnt 0xa00
	v_mul_f64_e32 v[158:159], v[114:115], v[112:113]
	v_mul_f64_e32 v[112:113], v[116:117], v[112:113]
	v_fmac_f64_e32 v[160:161], v[6:7], v[122:123]
	v_fma_f64 v[162:163], v[4:5], v[122:123], -v[124:125]
	ds_load_b128 v[4:7], v2 offset:1056
	ds_load_b128 v[122:125], v2 offset:1072
	v_add_f64_e32 v[164:165], v[132:133], v[130:131]
	v_add_f64_e32 v[154:155], v[154:155], v[156:157]
	scratch_load_b128 v[130:133], off, off offset:528
	s_wait_loadcnt_dscnt 0xa01
	v_mul_f64_e32 v[156:157], v[4:5], v[136:137]
	v_mul_f64_e32 v[136:137], v[6:7], v[136:137]
	v_fmac_f64_e32 v[158:159], v[116:117], v[110:111]
	v_fma_f64 v[114:115], v[114:115], v[110:111], -v[112:113]
	scratch_load_b128 v[110:113], off, off offset:544
	v_add_f64_e32 v[116:117], v[164:165], v[162:163]
	v_add_f64_e32 v[154:155], v[154:155], v[160:161]
	s_wait_loadcnt_dscnt 0xa00
	v_mul_f64_e32 v[160:161], v[122:123], v[120:121]
	v_mul_f64_e32 v[120:121], v[124:125], v[120:121]
	v_fmac_f64_e32 v[156:157], v[6:7], v[134:135]
	v_fma_f64 v[162:163], v[4:5], v[134:135], -v[136:137]
	v_add_f64_e32 v[164:165], v[116:117], v[114:115]
	v_add_f64_e32 v[154:155], v[154:155], v[158:159]
	ds_load_b128 v[4:7], v2 offset:1088
	ds_load_b128 v[114:117], v2 offset:1104
	scratch_load_b128 v[134:137], off, off offset:560
	v_fmac_f64_e32 v[160:161], v[124:125], v[118:119]
	v_fma_f64 v[122:123], v[122:123], v[118:119], -v[120:121]
	scratch_load_b128 v[118:121], off, off offset:576
	s_wait_loadcnt_dscnt 0xb01
	v_mul_f64_e32 v[158:159], v[4:5], v[152:153]
	v_mul_f64_e32 v[152:153], v[6:7], v[152:153]
	v_add_f64_e32 v[124:125], v[164:165], v[162:163]
	v_add_f64_e32 v[154:155], v[154:155], v[156:157]
	s_wait_loadcnt_dscnt 0xa00
	v_mul_f64_e32 v[156:157], v[114:115], v[10:11]
	v_mul_f64_e32 v[10:11], v[116:117], v[10:11]
	v_fmac_f64_e32 v[158:159], v[6:7], v[150:151]
	v_fma_f64 v[162:163], v[4:5], v[150:151], -v[152:153]
	v_add_f64_e32 v[164:165], v[124:125], v[122:123]
	v_add_f64_e32 v[154:155], v[154:155], v[160:161]
	ds_load_b128 v[4:7], v2 offset:1120
	ds_load_b128 v[122:125], v2 offset:1136
	scratch_load_b128 v[150:153], off, off offset:592
	v_fmac_f64_e32 v[156:157], v[116:117], v[8:9]
	v_fma_f64 v[114:115], v[114:115], v[8:9], -v[10:11]
	scratch_load_b128 v[8:11], off, off offset:608
	s_wait_loadcnt_dscnt 0xb01
	v_mul_f64_e32 v[160:161], v[4:5], v[140:141]
	v_mul_f64_e32 v[140:141], v[6:7], v[140:141]
	;; [unrolled: 18-line block ×4, first 2 shown]
	v_add_f64_e32 v[116:117], v[164:165], v[162:163]
	v_add_f64_e32 v[154:155], v[154:155], v[156:157]
	s_wait_loadcnt_dscnt 0xa00
	v_mul_f64_e32 v[156:157], v[122:123], v[22:23]
	v_mul_f64_e32 v[22:23], v[124:125], v[22:23]
	v_fmac_f64_e32 v[158:159], v[6:7], v[126:127]
	v_fma_f64 v[126:127], v[4:5], v[126:127], -v[128:129]
	v_add_f64_e32 v[128:129], v[116:117], v[114:115]
	v_add_f64_e32 v[154:155], v[154:155], v[160:161]
	ds_load_b128 v[4:7], v2 offset:1216
	ds_load_b128 v[114:117], v2 offset:1232
	v_fmac_f64_e32 v[156:157], v[124:125], v[20:21]
	v_fma_f64 v[20:21], v[122:123], v[20:21], -v[22:23]
	s_wait_loadcnt_dscnt 0x901
	v_mul_f64_e32 v[160:161], v[4:5], v[132:133]
	v_mul_f64_e32 v[132:133], v[6:7], v[132:133]
	s_wait_loadcnt_dscnt 0x800
	v_mul_f64_e32 v[124:125], v[114:115], v[112:113]
	v_mul_f64_e32 v[112:113], v[116:117], v[112:113]
	v_add_f64_e32 v[22:23], v[128:129], v[126:127]
	v_add_f64_e32 v[122:123], v[154:155], v[158:159]
	v_fmac_f64_e32 v[160:161], v[6:7], v[130:131]
	v_fma_f64 v[126:127], v[4:5], v[130:131], -v[132:133]
	v_fmac_f64_e32 v[124:125], v[116:117], v[110:111]
	v_fma_f64 v[110:111], v[114:115], v[110:111], -v[112:113]
	v_add_f64_e32 v[128:129], v[22:23], v[20:21]
	v_add_f64_e32 v[122:123], v[122:123], v[156:157]
	ds_load_b128 v[4:7], v2 offset:1248
	ds_load_b128 v[20:23], v2 offset:1264
	s_wait_loadcnt_dscnt 0x701
	v_mul_f64_e32 v[130:131], v[4:5], v[136:137]
	v_mul_f64_e32 v[132:133], v[6:7], v[136:137]
	s_wait_loadcnt_dscnt 0x600
	v_mul_f64_e32 v[116:117], v[20:21], v[120:121]
	v_mul_f64_e32 v[120:121], v[22:23], v[120:121]
	v_lshl_add_u64 v[136:137], v[30:31], 4, s[4:5]
	v_lshl_add_u64 v[30:31], v[84:85], 4, s[4:5]
	v_add_f64_e32 v[112:113], v[128:129], v[126:127]
	v_add_f64_e32 v[114:115], v[122:123], v[160:161]
	v_fmac_f64_e32 v[130:131], v[6:7], v[134:135]
	v_fma_f64 v[122:123], v[4:5], v[134:135], -v[132:133]
	v_fmac_f64_e32 v[116:117], v[22:23], v[118:119]
	v_fma_f64 v[20:21], v[20:21], v[118:119], -v[120:121]
	v_lshl_add_u64 v[134:135], v[32:33], 4, s[4:5]
	v_lshl_add_u64 v[132:133], v[34:35], 4, s[4:5]
	;; [unrolled: 1-line block ×4, first 2 shown]
	v_add_f64_e32 v[126:127], v[112:113], v[110:111]
	v_add_f64_e32 v[114:115], v[114:115], v[124:125]
	ds_load_b128 v[4:7], v2 offset:1280
	ds_load_b128 v[110:113], v2 offset:1296
	s_wait_loadcnt_dscnt 0x501
	v_mul_f64_e32 v[124:125], v[4:5], v[152:153]
	v_mul_f64_e32 v[128:129], v[6:7], v[152:153]
	s_wait_loadcnt_dscnt 0x400
	v_mul_f64_e32 v[118:119], v[110:111], v[10:11]
	v_mul_f64_e32 v[10:11], v[112:113], v[10:11]
	v_add_f64_e32 v[22:23], v[126:127], v[122:123]
	v_add_f64_e32 v[114:115], v[114:115], v[130:131]
	v_lshl_add_u64 v[130:131], v[36:37], 4, s[4:5]
	v_lshl_add_u64 v[36:37], v[78:79], 4, s[4:5]
	v_fmac_f64_e32 v[124:125], v[6:7], v[150:151]
	v_fma_f64 v[120:121], v[4:5], v[150:151], -v[128:129]
	v_fmac_f64_e32 v[118:119], v[112:113], v[8:9]
	v_fma_f64 v[8:9], v[110:111], v[8:9], -v[10:11]
	v_lshl_add_u64 v[128:129], v[48:49], 4, s[4:5]
	v_lshl_add_u64 v[48:49], v[66:67], 4, s[4:5]
	v_add_f64_e32 v[122:123], v[22:23], v[20:21]
	v_add_f64_e32 v[114:115], v[114:115], v[116:117]
	ds_load_b128 v[4:7], v2 offset:1312
	ds_load_b128 v[20:23], v2 offset:1328
	s_wait_loadcnt_dscnt 0x301
	v_mul_f64_e32 v[116:117], v[4:5], v[140:141]
	v_mul_f64_e32 v[126:127], v[6:7], v[140:141]
	s_wait_loadcnt_dscnt 0x200
	v_mul_f64_e32 v[112:113], v[20:21], v[18:19]
	v_mul_f64_e32 v[18:19], v[22:23], v[18:19]
	v_add_f64_e32 v[10:11], v[122:123], v[120:121]
	v_add_f64_e32 v[110:111], v[114:115], v[124:125]
	v_lshl_add_u64 v[122:123], v[40:41], 4, s[4:5]
	v_lshl_add_u64 v[124:125], v[52:53], 4, s[4:5]
	;; [unrolled: 1-line block ×4, first 2 shown]
	v_fmac_f64_e32 v[116:117], v[6:7], v[138:139]
	v_fma_f64 v[114:115], v[4:5], v[138:139], -v[126:127]
	v_fmac_f64_e32 v[112:113], v[22:23], v[16:17]
	v_fma_f64 v[16:17], v[20:21], v[16:17], -v[18:19]
	v_lshl_add_u64 v[138:139], v[28:29], 4, s[4:5]
	v_lshl_add_u64 v[126:127], v[38:39], 4, s[4:5]
	v_lshl_add_u64 v[38:39], v[76:77], 4, s[4:5]
	v_lshl_add_u64 v[28:29], v[86:87], 4, s[4:5]
	v_add_f64_e32 v[120:121], v[10:11], v[8:9]
	v_add_f64_e32 v[110:111], v[110:111], v[118:119]
	ds_load_b128 v[4:7], v2 offset:1344
	ds_load_b128 v[8:11], v2 offset:1360
	s_wait_loadcnt_dscnt 0x101
	v_mul_f64_e32 v[2:3], v[4:5], v[148:149]
	v_mul_f64_e32 v[118:119], v[6:7], v[148:149]
	s_wait_loadcnt_dscnt 0x0
	v_mul_f64_e32 v[22:23], v[8:9], v[14:15]
	v_mul_f64_e32 v[14:15], v[10:11], v[14:15]
	v_add_f64_e32 v[18:19], v[120:121], v[114:115]
	v_add_f64_e32 v[20:21], v[110:111], v[116:117]
	v_lshl_add_u64 v[114:115], v[44:45], 4, s[4:5]
	v_lshl_add_u64 v[110:111], v[50:51], 4, s[4:5]
	v_lshl_add_u64 v[120:121], v[54:55], 4, s[4:5]
	v_lshl_add_u64 v[116:117], v[56:57], 4, s[4:5]
	v_lshl_add_u64 v[56:57], v[58:59], 4, s[4:5]
	v_lshl_add_u64 v[54:55], v[60:61], 4, s[4:5]
	v_lshl_add_u64 v[50:51], v[64:65], 4, s[4:5]
	v_lshl_add_u64 v[44:45], v[70:71], 4, s[4:5]
	v_fmac_f64_e32 v[2:3], v[6:7], v[146:147]
	v_fma_f64 v[4:5], v[4:5], v[146:147], -v[118:119]
	v_fmac_f64_e32 v[22:23], v[10:11], v[12:13]
	v_fma_f64 v[8:9], v[8:9], v[12:13], -v[14:15]
	v_lshl_add_u64 v[118:119], v[42:43], 4, s[4:5]
	v_lshl_add_u64 v[42:43], v[72:73], 4, s[4:5]
	;; [unrolled: 1-line block ×5, first 2 shown]
	v_add_f64_e32 v[6:7], v[18:19], v[16:17]
	v_add_f64_e32 v[16:17], v[20:21], v[112:113]
	v_lshl_add_u64 v[112:113], v[46:47], 4, s[4:5]
	v_lshl_add_u64 v[46:47], v[68:69], 4, s[4:5]
	;; [unrolled: 1-line block ×4, first 2 shown]
	v_add_f64_e32 v[4:5], v[6:7], v[4:5]
	v_add_f64_e32 v[2:3], v[16:17], v[2:3]
	v_lshl_add_u64 v[16:17], v[94:95], 4, s[4:5]
	v_lshl_add_u64 v[6:7], v[104:105], 4, s[4:5]
	s_delay_alu instid0(VALU_DEP_4) | instskip(NEXT) | instid1(VALU_DEP_4)
	v_add_f64_e32 v[4:5], v[4:5], v[8:9]
	v_add_f64_e32 v[2:3], v[2:3], v[22:23]
	v_lshl_add_u64 v[22:23], v[88:89], 4, s[4:5]
	v_lshl_add_u64 v[8:9], v[102:103], 4, s[4:5]
	s_delay_alu instid0(VALU_DEP_4) | instskip(NEXT) | instid1(VALU_DEP_4)
	v_add_f64_e64 v[140:141], v[142:143], -v[4:5]
	v_add_f64_e64 v[142:143], v[144:145], -v[2:3]
	v_lshl_add_u64 v[4:5], v[106:107], 4, s[4:5]
	v_lshl_add_u64 v[2:3], v[108:109], 4, s[4:5]
	scratch_store_b128 off, v[140:143], off
	s_cbranch_vccz .LBB106_356
; %bb.272:
	v_mov_b32_e32 v58, 0
	s_load_b64 s[2:3], s[0:1], 0x4
	v_bfe_u32 v60, v0, 10, 10
	v_bfe_u32 v0, v0, 20, 10
	global_load_b32 v59, v58, s[8:9] offset:164
	s_wait_kmcnt 0x0
	s_lshr_b32 s0, s2, 16
	v_mul_u32_u24_e32 v60, s3, v60
	s_mul_i32 s0, s0, s3
	s_delay_alu instid0(SALU_CYCLE_1) | instskip(NEXT) | instid1(VALU_DEP_1)
	v_mul_u32_u24_e32 v1, s0, v1
	v_add3_u32 v0, v1, v60, v0
	s_delay_alu instid0(VALU_DEP_1)
	v_lshl_add_u32 v0, v0, 4, 0x568
	s_wait_loadcnt 0x0
	v_cmp_ne_u32_e32 vcc_lo, 42, v59
	s_cbranch_vccz .LBB106_274
; %bb.273:
	v_lshlrev_b32_e32 v1, 4, v59
	s_clause 0x1
	scratch_load_b128 v[60:63], off, s15
	scratch_load_b128 v[64:67], v1, off offset:-16
	s_wait_loadcnt 0x1
	ds_store_2addr_b64 v0, v[60:61], v[62:63] offset1:1
	s_wait_loadcnt 0x0
	s_clause 0x1
	scratch_store_b128 off, v[64:67], s15
	scratch_store_b128 v1, v[60:63], off offset:-16
.LBB106_274:
	global_load_b32 v1, v58, s[8:9] offset:160
	s_wait_loadcnt 0x0
	v_cmp_eq_u32_e32 vcc_lo, 41, v1
	s_cbranch_vccnz .LBB106_276
; %bb.275:
	v_lshlrev_b32_e32 v1, 4, v1
	s_clause 0x1
	scratch_load_b128 v[58:61], off, s17
	scratch_load_b128 v[62:65], v1, off offset:-16
	s_wait_loadcnt 0x1
	ds_store_2addr_b64 v0, v[58:59], v[60:61] offset1:1
	s_wait_loadcnt 0x0
	s_clause 0x1
	scratch_store_b128 off, v[62:65], s17
	scratch_store_b128 v1, v[58:61], off offset:-16
.LBB106_276:
	s_wait_xcnt 0x0
	v_mov_b32_e32 v1, 0
	global_load_b32 v58, v1, s[8:9] offset:156
	s_wait_loadcnt 0x0
	v_cmp_eq_u32_e32 vcc_lo, 40, v58
	s_cbranch_vccnz .LBB106_278
; %bb.277:
	v_lshlrev_b32_e32 v58, 4, v58
	s_delay_alu instid0(VALU_DEP_1)
	v_mov_b32_e32 v66, v58
	s_clause 0x1
	scratch_load_b128 v[58:61], off, s19
	scratch_load_b128 v[62:65], v66, off offset:-16
	s_wait_loadcnt 0x1
	ds_store_2addr_b64 v0, v[58:59], v[60:61] offset1:1
	s_wait_loadcnt 0x0
	s_clause 0x1
	scratch_store_b128 off, v[62:65], s19
	scratch_store_b128 v66, v[58:61], off offset:-16
.LBB106_278:
	global_load_b32 v1, v1, s[8:9] offset:152
	s_wait_loadcnt 0x0
	v_cmp_eq_u32_e32 vcc_lo, 39, v1
	s_cbranch_vccnz .LBB106_280
; %bb.279:
	s_wait_xcnt 0x0
	v_lshlrev_b32_e32 v1, 4, v1
	s_clause 0x1
	scratch_load_b128 v[58:61], off, s20
	scratch_load_b128 v[62:65], v1, off offset:-16
	s_wait_loadcnt 0x1
	ds_store_2addr_b64 v0, v[58:59], v[60:61] offset1:1
	s_wait_loadcnt 0x0
	s_clause 0x1
	scratch_store_b128 off, v[62:65], s20
	scratch_store_b128 v1, v[58:61], off offset:-16
.LBB106_280:
	s_wait_xcnt 0x0
	v_mov_b32_e32 v1, 0
	global_load_b32 v58, v1, s[8:9] offset:148
	s_wait_loadcnt 0x0
	v_cmp_eq_u32_e32 vcc_lo, 38, v58
	s_cbranch_vccnz .LBB106_282
; %bb.281:
	v_lshlrev_b32_e32 v58, 4, v58
	s_delay_alu instid0(VALU_DEP_1)
	v_mov_b32_e32 v66, v58
	s_clause 0x1
	scratch_load_b128 v[58:61], off, s21
	scratch_load_b128 v[62:65], v66, off offset:-16
	s_wait_loadcnt 0x1
	ds_store_2addr_b64 v0, v[58:59], v[60:61] offset1:1
	s_wait_loadcnt 0x0
	s_clause 0x1
	scratch_store_b128 off, v[62:65], s21
	scratch_store_b128 v66, v[58:61], off offset:-16
.LBB106_282:
	global_load_b32 v1, v1, s[8:9] offset:144
	s_wait_loadcnt 0x0
	v_cmp_eq_u32_e32 vcc_lo, 37, v1
	s_cbranch_vccnz .LBB106_284
; %bb.283:
	s_wait_xcnt 0x0
	v_lshlrev_b32_e32 v1, 4, v1
	s_clause 0x1
	scratch_load_b128 v[58:61], off, s22
	scratch_load_b128 v[62:65], v1, off offset:-16
	s_wait_loadcnt 0x1
	ds_store_2addr_b64 v0, v[58:59], v[60:61] offset1:1
	s_wait_loadcnt 0x0
	s_clause 0x1
	scratch_store_b128 off, v[62:65], s22
	scratch_store_b128 v1, v[58:61], off offset:-16
.LBB106_284:
	;; [unrolled: 37-line block ×19, first 2 shown]
	s_wait_xcnt 0x0
	v_mov_b32_e32 v1, 0
	global_load_b32 v58, v1, s[8:9] offset:4
	s_wait_loadcnt 0x0
	v_cmp_eq_u32_e32 vcc_lo, 2, v58
	s_cbranch_vccnz .LBB106_354
; %bb.353:
	v_lshlrev_b32_e32 v58, 4, v58
	s_delay_alu instid0(VALU_DEP_1)
	v_mov_b32_e32 v66, v58
	s_clause 0x1
	scratch_load_b128 v[58:61], off, s18
	scratch_load_b128 v[62:65], v66, off offset:-16
	s_wait_loadcnt 0x1
	ds_store_2addr_b64 v0, v[58:59], v[60:61] offset1:1
	s_wait_loadcnt 0x0
	s_clause 0x1
	scratch_store_b128 off, v[62:65], s18
	scratch_store_b128 v66, v[58:61], off offset:-16
.LBB106_354:
	global_load_b32 v1, v1, s[8:9]
	s_wait_loadcnt 0x0
	v_cmp_eq_u32_e32 vcc_lo, 1, v1
	s_cbranch_vccnz .LBB106_356
; %bb.355:
	s_wait_xcnt 0x0
	v_lshlrev_b32_e32 v1, 4, v1
	scratch_load_b128 v[58:61], off, off
	scratch_load_b128 v[62:65], v1, off offset:-16
	s_wait_loadcnt 0x1
	ds_store_2addr_b64 v0, v[58:59], v[60:61] offset1:1
	s_wait_loadcnt 0x0
	scratch_store_b128 off, v[62:65], off
	scratch_store_b128 v1, v[58:61], off offset:-16
.LBB106_356:
	scratch_load_b128 v[58:61], off, off
	s_wait_loadcnt 0x0
	flat_store_b128 v[24:25], v[58:61]
	scratch_load_b128 v[58:61], off, s18
	s_wait_loadcnt 0x0
	flat_store_b128 v[26:27], v[58:61]
	scratch_load_b128 v[24:27], off, s16
	;; [unrolled: 3-line block ×42, first 2 shown]
	s_wait_loadcnt 0x0
	flat_store_b128 v[2:3], v[4:7]
	s_sendmsg sendmsg(MSG_DEALLOC_VGPRS)
	s_endpgm
	.section	.rodata,"a",@progbits
	.p2align	6, 0x0
	.amdhsa_kernel _ZN9rocsolver6v33100L18getri_kernel_smallILi43E19rocblas_complex_numIdEPKPS3_EEvT1_iilPiilS8_bb
		.amdhsa_group_segment_fixed_size 2408
		.amdhsa_private_segment_fixed_size 704
		.amdhsa_kernarg_size 60
		.amdhsa_user_sgpr_count 4
		.amdhsa_user_sgpr_dispatch_ptr 1
		.amdhsa_user_sgpr_queue_ptr 0
		.amdhsa_user_sgpr_kernarg_segment_ptr 1
		.amdhsa_user_sgpr_dispatch_id 0
		.amdhsa_user_sgpr_kernarg_preload_length 0
		.amdhsa_user_sgpr_kernarg_preload_offset 0
		.amdhsa_user_sgpr_private_segment_size 0
		.amdhsa_wavefront_size32 1
		.amdhsa_uses_dynamic_stack 0
		.amdhsa_enable_private_segment 1
		.amdhsa_system_sgpr_workgroup_id_x 1
		.amdhsa_system_sgpr_workgroup_id_y 0
		.amdhsa_system_sgpr_workgroup_id_z 0
		.amdhsa_system_sgpr_workgroup_info 0
		.amdhsa_system_vgpr_workitem_id 2
		.amdhsa_next_free_vgpr 168
		.amdhsa_next_free_sgpr 75
		.amdhsa_named_barrier_count 0
		.amdhsa_reserve_vcc 1
		.amdhsa_float_round_mode_32 0
		.amdhsa_float_round_mode_16_64 0
		.amdhsa_float_denorm_mode_32 3
		.amdhsa_float_denorm_mode_16_64 3
		.amdhsa_fp16_overflow 0
		.amdhsa_memory_ordered 1
		.amdhsa_forward_progress 1
		.amdhsa_inst_pref_size 255
		.amdhsa_round_robin_scheduling 0
		.amdhsa_exception_fp_ieee_invalid_op 0
		.amdhsa_exception_fp_denorm_src 0
		.amdhsa_exception_fp_ieee_div_zero 0
		.amdhsa_exception_fp_ieee_overflow 0
		.amdhsa_exception_fp_ieee_underflow 0
		.amdhsa_exception_fp_ieee_inexact 0
		.amdhsa_exception_int_div_zero 0
	.end_amdhsa_kernel
	.section	.text._ZN9rocsolver6v33100L18getri_kernel_smallILi43E19rocblas_complex_numIdEPKPS3_EEvT1_iilPiilS8_bb,"axG",@progbits,_ZN9rocsolver6v33100L18getri_kernel_smallILi43E19rocblas_complex_numIdEPKPS3_EEvT1_iilPiilS8_bb,comdat
.Lfunc_end106:
	.size	_ZN9rocsolver6v33100L18getri_kernel_smallILi43E19rocblas_complex_numIdEPKPS3_EEvT1_iilPiilS8_bb, .Lfunc_end106-_ZN9rocsolver6v33100L18getri_kernel_smallILi43E19rocblas_complex_numIdEPKPS3_EEvT1_iilPiilS8_bb
                                        ; -- End function
	.set _ZN9rocsolver6v33100L18getri_kernel_smallILi43E19rocblas_complex_numIdEPKPS3_EEvT1_iilPiilS8_bb.num_vgpr, 168
	.set _ZN9rocsolver6v33100L18getri_kernel_smallILi43E19rocblas_complex_numIdEPKPS3_EEvT1_iilPiilS8_bb.num_agpr, 0
	.set _ZN9rocsolver6v33100L18getri_kernel_smallILi43E19rocblas_complex_numIdEPKPS3_EEvT1_iilPiilS8_bb.numbered_sgpr, 75
	.set _ZN9rocsolver6v33100L18getri_kernel_smallILi43E19rocblas_complex_numIdEPKPS3_EEvT1_iilPiilS8_bb.num_named_barrier, 0
	.set _ZN9rocsolver6v33100L18getri_kernel_smallILi43E19rocblas_complex_numIdEPKPS3_EEvT1_iilPiilS8_bb.private_seg_size, 704
	.set _ZN9rocsolver6v33100L18getri_kernel_smallILi43E19rocblas_complex_numIdEPKPS3_EEvT1_iilPiilS8_bb.uses_vcc, 1
	.set _ZN9rocsolver6v33100L18getri_kernel_smallILi43E19rocblas_complex_numIdEPKPS3_EEvT1_iilPiilS8_bb.uses_flat_scratch, 1
	.set _ZN9rocsolver6v33100L18getri_kernel_smallILi43E19rocblas_complex_numIdEPKPS3_EEvT1_iilPiilS8_bb.has_dyn_sized_stack, 0
	.set _ZN9rocsolver6v33100L18getri_kernel_smallILi43E19rocblas_complex_numIdEPKPS3_EEvT1_iilPiilS8_bb.has_recursion, 0
	.set _ZN9rocsolver6v33100L18getri_kernel_smallILi43E19rocblas_complex_numIdEPKPS3_EEvT1_iilPiilS8_bb.has_indirect_call, 0
	.section	.AMDGPU.csdata,"",@progbits
; Kernel info:
; codeLenInByte = 73764
; TotalNumSgprs: 77
; NumVgprs: 168
; ScratchSize: 704
; MemoryBound: 0
; FloatMode: 240
; IeeeMode: 1
; LDSByteSize: 2408 bytes/workgroup (compile time only)
; SGPRBlocks: 0
; VGPRBlocks: 10
; NumSGPRsForWavesPerEU: 77
; NumVGPRsForWavesPerEU: 168
; NamedBarCnt: 0
; Occupancy: 5
; WaveLimiterHint : 1
; COMPUTE_PGM_RSRC2:SCRATCH_EN: 1
; COMPUTE_PGM_RSRC2:USER_SGPR: 4
; COMPUTE_PGM_RSRC2:TRAP_HANDLER: 0
; COMPUTE_PGM_RSRC2:TGID_X_EN: 1
; COMPUTE_PGM_RSRC2:TGID_Y_EN: 0
; COMPUTE_PGM_RSRC2:TGID_Z_EN: 0
; COMPUTE_PGM_RSRC2:TIDIG_COMP_CNT: 2
	.section	.text._ZN9rocsolver6v33100L18getri_kernel_smallILi44E19rocblas_complex_numIdEPKPS3_EEvT1_iilPiilS8_bb,"axG",@progbits,_ZN9rocsolver6v33100L18getri_kernel_smallILi44E19rocblas_complex_numIdEPKPS3_EEvT1_iilPiilS8_bb,comdat
	.globl	_ZN9rocsolver6v33100L18getri_kernel_smallILi44E19rocblas_complex_numIdEPKPS3_EEvT1_iilPiilS8_bb ; -- Begin function _ZN9rocsolver6v33100L18getri_kernel_smallILi44E19rocblas_complex_numIdEPKPS3_EEvT1_iilPiilS8_bb
	.p2align	8
	.type	_ZN9rocsolver6v33100L18getri_kernel_smallILi44E19rocblas_complex_numIdEPKPS3_EEvT1_iilPiilS8_bb,@function
_ZN9rocsolver6v33100L18getri_kernel_smallILi44E19rocblas_complex_numIdEPKPS3_EEvT1_iilPiilS8_bb: ; @_ZN9rocsolver6v33100L18getri_kernel_smallILi44E19rocblas_complex_numIdEPKPS3_EEvT1_iilPiilS8_bb
; %bb.0:
	v_and_b32_e32 v1, 0x3ff, v0
	s_mov_b32 s4, exec_lo
	s_delay_alu instid0(VALU_DEP_1)
	v_cmpx_gt_u32_e32 44, v1
	s_cbranch_execz .LBB107_190
; %bb.1:
	s_clause 0x1
	s_load_b32 s16, s[2:3], 0x38
	s_load_b64 s[8:9], s[2:3], 0x0
	s_getreg_b32 s6, hwreg(HW_REG_IB_STS2, 6, 4)
	s_wait_kmcnt 0x0
	s_bitcmp1_b32 s16, 8
	s_cselect_b32 s56, -1, 0
	s_bfe_u32 s4, ttmp6, 0x4000c
	s_and_b32 s5, ttmp6, 15
	s_add_co_i32 s4, s4, 1
	s_delay_alu instid0(SALU_CYCLE_1) | instskip(NEXT) | instid1(SALU_CYCLE_1)
	s_mul_i32 s4, ttmp9, s4
	s_add_co_i32 s5, s5, s4
	s_cmp_eq_u32 s6, 0
	s_cselect_b32 s10, ttmp9, s5
	s_load_b128 s[4:7], s[2:3], 0x28
	s_ashr_i32 s11, s10, 31
	s_delay_alu instid0(SALU_CYCLE_1) | instskip(NEXT) | instid1(SALU_CYCLE_1)
	s_lshl_b64 s[12:13], s[10:11], 3
	s_add_nc_u64 s[8:9], s[8:9], s[12:13]
	s_load_b64 s[14:15], s[8:9], 0x0
	s_wait_xcnt 0x0
	s_bfe_u32 s8, s16, 0x10008
	s_delay_alu instid0(SALU_CYCLE_1)
	s_cmp_eq_u32 s8, 0
                                        ; implicit-def: $sgpr8_sgpr9
	s_cbranch_scc1 .LBB107_3
; %bb.2:
	s_load_b96 s[16:18], s[2:3], 0x18
	s_wait_kmcnt 0x0
	s_mul_u64 s[4:5], s[4:5], s[10:11]
	s_delay_alu instid0(SALU_CYCLE_1) | instskip(SKIP_4) | instid1(SALU_CYCLE_1)
	s_lshl_b64 s[4:5], s[4:5], 2
	s_ashr_i32 s9, s18, 31
	s_mov_b32 s8, s18
	s_add_nc_u64 s[4:5], s[16:17], s[4:5]
	s_lshl_b64 s[8:9], s[8:9], 2
	s_add_nc_u64 s[8:9], s[4:5], s[8:9]
.LBB107_3:
	s_clause 0x1
	s_load_b64 s[12:13], s[2:3], 0x8
	s_load_b32 s57, s[2:3], 0x38
	v_dual_mov_b32 v15, 0 :: v_dual_lshlrev_b32 v14, 4, v1
	s_movk_i32 s58, 0x1a0
	s_movk_i32 s59, 0x1b0
	;; [unrolled: 1-line block ×16, first 2 shown]
	s_wait_kmcnt 0x0
	s_ashr_i32 s3, s12, 31
	s_mov_b32 s2, s12
	v_add3_u32 v20, s13, s13, v1
	s_lshl_b64 s[2:3], s[2:3], 4
	s_movk_i32 s74, 0x2a0
	s_add_nc_u64 s[4:5], s[14:15], s[2:3]
	s_ashr_i32 s3, s13, 31
	flat_load_b128 v[2:5], v1, s[4:5] scale_offset
	v_add_nc_u64_e32 v[16:17], s[4:5], v[14:15]
	s_mov_b32 s2, s13
	v_add_nc_u32_e32 v22, s13, v20
	s_movk_i32 s75, 0x2b0
	s_mov_b32 s18, 16
	s_mov_b32 s16, 32
	s_mov_b32 s14, 48
	v_lshl_add_u64 v[18:19], s[2:3], 4, v[16:17]
	v_add_nc_u32_e32 v24, s13, v22
	s_mov_b32 s12, 64
	s_movk_i32 s55, 0x50
	s_movk_i32 s54, 0x60
	s_movk_i32 s53, 0x70
	v_add_nc_u32_e32 v26, s13, v24
	s_movk_i32 s52, 0x80
	s_movk_i32 s51, 0x90
	s_movk_i32 s50, 0xa0
	s_movk_i32 s49, 0xb0
	v_add_nc_u32_e32 v28, s13, v26
	s_movk_i32 s48, 0xc0
	;; [unrolled: 5-line block ×5, first 2 shown]
	s_movk_i32 s35, 0x190
	s_mov_b32 s34, s58
	s_mov_b32 s33, s59
	v_add_nc_u32_e32 v36, s13, v34
	s_mov_b32 s31, s60
	s_mov_b32 s30, s61
	s_mov_b32 s29, s62
	s_mov_b32 s28, s63
	v_add_nc_u32_e32 v38, s13, v36
	s_mov_b32 s27, s64
	s_mov_b32 s26, s65
	;; [unrolled: 5-line block ×4, first 2 shown]
	s_mov_b32 s15, s74
	s_bitcmp0_b32 s57, 0
	v_add_nc_u32_e32 v42, s13, v44
	s_mov_b32 s3, -1
	s_delay_alu instid0(VALU_DEP_1) | instskip(NEXT) | instid1(VALU_DEP_1)
	v_add_nc_u32_e32 v46, s13, v42
	v_add_nc_u32_e32 v48, s13, v46
	s_delay_alu instid0(VALU_DEP_1) | instskip(NEXT) | instid1(VALU_DEP_1)
	v_add_nc_u32_e32 v50, s13, v48
	v_add_nc_u32_e32 v52, s13, v50
	;; [unrolled: 3-line block ×14, first 2 shown]
	s_delay_alu instid0(VALU_DEP_1)
	v_add_nc_u32_e32 v102, s13, v100
	s_mov_b32 s13, s75
	s_wait_loadcnt_dscnt 0x0
	scratch_store_b128 off, v[2:5], off
	flat_load_b128 v[2:5], v[18:19]
	s_wait_loadcnt_dscnt 0x0
	scratch_store_b128 off, v[2:5], off offset:16
	flat_load_b128 v[2:5], v20, s[4:5] scale_offset
	s_wait_loadcnt_dscnt 0x0
	scratch_store_b128 off, v[2:5], off offset:32
	flat_load_b128 v[2:5], v22, s[4:5] scale_offset
	;; [unrolled: 3-line block ×42, first 2 shown]
	s_wait_loadcnt_dscnt 0x0
	scratch_store_b128 off, v[2:5], off offset:688
	s_cbranch_scc1 .LBB107_188
; %bb.4:
	v_cmp_eq_u32_e64 s2, 0, v1
	s_wait_xcnt 0x0
	s_and_saveexec_b32 s3, s2
; %bb.5:
	v_mov_b32_e32 v2, 0
	ds_store_b32 v2, v2 offset:1408
; %bb.6:
	s_or_b32 exec_lo, exec_lo, s3
	s_wait_storecnt_dscnt 0x0
	s_barrier_signal -1
	s_barrier_wait -1
	scratch_load_b128 v[2:5], v1, off scale_offset
	s_wait_loadcnt 0x0
	v_cmp_eq_f64_e32 vcc_lo, 0, v[2:3]
	v_cmp_eq_f64_e64 s3, 0, v[4:5]
	s_and_b32 s3, vcc_lo, s3
	s_delay_alu instid0(SALU_CYCLE_1)
	s_and_saveexec_b32 s57, s3
	s_cbranch_execz .LBB107_10
; %bb.7:
	v_mov_b32_e32 v2, 0
	s_mov_b32 s58, 0
	ds_load_b32 v3, v2 offset:1408
	s_wait_dscnt 0x0
	v_readfirstlane_b32 s3, v3
	v_add_nc_u32_e32 v3, 1, v1
	s_cmp_eq_u32 s3, 0
	s_delay_alu instid0(VALU_DEP_1) | instskip(SKIP_1) | instid1(SALU_CYCLE_1)
	v_cmp_gt_i32_e32 vcc_lo, s3, v3
	s_cselect_b32 s59, -1, 0
	s_or_b32 s59, s59, vcc_lo
	s_delay_alu instid0(SALU_CYCLE_1)
	s_and_b32 exec_lo, exec_lo, s59
	s_cbranch_execz .LBB107_10
; %bb.8:
	v_mov_b32_e32 v4, s3
.LBB107_9:                              ; =>This Inner Loop Header: Depth=1
	ds_cmpstore_rtn_b32 v4, v2, v3, v4 offset:1408
	s_wait_dscnt 0x0
	v_cmp_ne_u32_e32 vcc_lo, 0, v4
	v_cmp_le_i32_e64 s3, v4, v3
	s_and_b32 s3, vcc_lo, s3
	s_delay_alu instid0(SALU_CYCLE_1) | instskip(NEXT) | instid1(SALU_CYCLE_1)
	s_and_b32 s3, exec_lo, s3
	s_or_b32 s58, s3, s58
	s_delay_alu instid0(SALU_CYCLE_1)
	s_and_not1_b32 exec_lo, exec_lo, s58
	s_cbranch_execnz .LBB107_9
.LBB107_10:
	s_or_b32 exec_lo, exec_lo, s57
	v_mov_b32_e32 v2, 0
	s_barrier_signal -1
	s_barrier_wait -1
	ds_load_b32 v3, v2 offset:1408
	s_and_saveexec_b32 s3, s2
	s_cbranch_execz .LBB107_12
; %bb.11:
	s_lshl_b64 s[58:59], s[10:11], 2
	s_delay_alu instid0(SALU_CYCLE_1)
	s_add_nc_u64 s[58:59], s[6:7], s[58:59]
	s_wait_dscnt 0x0
	global_store_b32 v2, v3, s[58:59]
.LBB107_12:
	s_wait_xcnt 0x0
	s_or_b32 exec_lo, exec_lo, s3
	s_wait_dscnt 0x0
	v_cmp_ne_u32_e32 vcc_lo, 0, v3
	s_mov_b32 s3, 0
	s_cbranch_vccnz .LBB107_188
; %bb.13:
	v_lshl_add_u32 v15, v1, 4, 0
                                        ; implicit-def: $vgpr6_vgpr7
                                        ; implicit-def: $vgpr10_vgpr11
	scratch_load_b128 v[2:5], v15, off
	s_wait_loadcnt 0x0
	v_cmp_ngt_f64_e64 s3, |v[2:3]|, |v[4:5]|
	s_wait_xcnt 0x0
	s_and_saveexec_b32 s57, s3
	s_delay_alu instid0(SALU_CYCLE_1)
	s_xor_b32 s3, exec_lo, s57
	s_cbranch_execz .LBB107_15
; %bb.14:
	v_div_scale_f64 v[6:7], null, v[4:5], v[4:5], v[2:3]
	v_div_scale_f64 v[12:13], vcc_lo, v[2:3], v[4:5], v[2:3]
	s_delay_alu instid0(VALU_DEP_2) | instskip(SKIP_1) | instid1(TRANS32_DEP_1)
	v_rcp_f64_e32 v[8:9], v[6:7]
	v_nop
	v_fma_f64 v[10:11], -v[6:7], v[8:9], 1.0
	s_delay_alu instid0(VALU_DEP_1) | instskip(NEXT) | instid1(VALU_DEP_1)
	v_fmac_f64_e32 v[8:9], v[8:9], v[10:11]
	v_fma_f64 v[10:11], -v[6:7], v[8:9], 1.0
	s_delay_alu instid0(VALU_DEP_1) | instskip(NEXT) | instid1(VALU_DEP_1)
	v_fmac_f64_e32 v[8:9], v[8:9], v[10:11]
	v_mul_f64_e32 v[10:11], v[12:13], v[8:9]
	s_delay_alu instid0(VALU_DEP_1) | instskip(NEXT) | instid1(VALU_DEP_1)
	v_fma_f64 v[6:7], -v[6:7], v[10:11], v[12:13]
	v_div_fmas_f64 v[6:7], v[6:7], v[8:9], v[10:11]
	s_delay_alu instid0(VALU_DEP_1) | instskip(NEXT) | instid1(VALU_DEP_1)
	v_div_fixup_f64 v[6:7], v[6:7], v[4:5], v[2:3]
	v_fmac_f64_e32 v[4:5], v[2:3], v[6:7]
	s_delay_alu instid0(VALU_DEP_1) | instskip(SKIP_1) | instid1(VALU_DEP_2)
	v_div_scale_f64 v[2:3], null, v[4:5], v[4:5], 1.0
	v_div_scale_f64 v[12:13], vcc_lo, 1.0, v[4:5], 1.0
	v_rcp_f64_e32 v[8:9], v[2:3]
	v_nop
	s_delay_alu instid0(TRANS32_DEP_1) | instskip(NEXT) | instid1(VALU_DEP_1)
	v_fma_f64 v[10:11], -v[2:3], v[8:9], 1.0
	v_fmac_f64_e32 v[8:9], v[8:9], v[10:11]
	s_delay_alu instid0(VALU_DEP_1) | instskip(NEXT) | instid1(VALU_DEP_1)
	v_fma_f64 v[10:11], -v[2:3], v[8:9], 1.0
	v_fmac_f64_e32 v[8:9], v[8:9], v[10:11]
	s_delay_alu instid0(VALU_DEP_1) | instskip(NEXT) | instid1(VALU_DEP_1)
	v_mul_f64_e32 v[10:11], v[12:13], v[8:9]
	v_fma_f64 v[2:3], -v[2:3], v[10:11], v[12:13]
	s_delay_alu instid0(VALU_DEP_1) | instskip(NEXT) | instid1(VALU_DEP_1)
	v_div_fmas_f64 v[2:3], v[2:3], v[8:9], v[10:11]
	v_div_fixup_f64 v[8:9], v[2:3], v[4:5], 1.0
                                        ; implicit-def: $vgpr2_vgpr3
	s_delay_alu instid0(VALU_DEP_1) | instskip(SKIP_1) | instid1(VALU_DEP_2)
	v_mul_f64_e32 v[6:7], v[6:7], v[8:9]
	v_xor_b32_e32 v9, 0x80000000, v9
	v_xor_b32_e32 v11, 0x80000000, v7
	s_delay_alu instid0(VALU_DEP_3)
	v_mov_b32_e32 v10, v6
.LBB107_15:
	s_and_not1_saveexec_b32 s3, s3
	s_cbranch_execz .LBB107_17
; %bb.16:
	v_div_scale_f64 v[6:7], null, v[2:3], v[2:3], v[4:5]
	v_div_scale_f64 v[12:13], vcc_lo, v[4:5], v[2:3], v[4:5]
	s_delay_alu instid0(VALU_DEP_2) | instskip(SKIP_1) | instid1(TRANS32_DEP_1)
	v_rcp_f64_e32 v[8:9], v[6:7]
	v_nop
	v_fma_f64 v[10:11], -v[6:7], v[8:9], 1.0
	s_delay_alu instid0(VALU_DEP_1) | instskip(NEXT) | instid1(VALU_DEP_1)
	v_fmac_f64_e32 v[8:9], v[8:9], v[10:11]
	v_fma_f64 v[10:11], -v[6:7], v[8:9], 1.0
	s_delay_alu instid0(VALU_DEP_1) | instskip(NEXT) | instid1(VALU_DEP_1)
	v_fmac_f64_e32 v[8:9], v[8:9], v[10:11]
	v_mul_f64_e32 v[10:11], v[12:13], v[8:9]
	s_delay_alu instid0(VALU_DEP_1) | instskip(NEXT) | instid1(VALU_DEP_1)
	v_fma_f64 v[6:7], -v[6:7], v[10:11], v[12:13]
	v_div_fmas_f64 v[6:7], v[6:7], v[8:9], v[10:11]
	s_delay_alu instid0(VALU_DEP_1) | instskip(NEXT) | instid1(VALU_DEP_1)
	v_div_fixup_f64 v[8:9], v[6:7], v[2:3], v[4:5]
	v_fmac_f64_e32 v[2:3], v[4:5], v[8:9]
	s_delay_alu instid0(VALU_DEP_1) | instskip(NEXT) | instid1(VALU_DEP_1)
	v_div_scale_f64 v[4:5], null, v[2:3], v[2:3], 1.0
	v_rcp_f64_e32 v[6:7], v[4:5]
	v_nop
	s_delay_alu instid0(TRANS32_DEP_1) | instskip(NEXT) | instid1(VALU_DEP_1)
	v_fma_f64 v[10:11], -v[4:5], v[6:7], 1.0
	v_fmac_f64_e32 v[6:7], v[6:7], v[10:11]
	s_delay_alu instid0(VALU_DEP_1) | instskip(NEXT) | instid1(VALU_DEP_1)
	v_fma_f64 v[10:11], -v[4:5], v[6:7], 1.0
	v_fmac_f64_e32 v[6:7], v[6:7], v[10:11]
	v_div_scale_f64 v[10:11], vcc_lo, 1.0, v[2:3], 1.0
	s_delay_alu instid0(VALU_DEP_1) | instskip(NEXT) | instid1(VALU_DEP_1)
	v_mul_f64_e32 v[12:13], v[10:11], v[6:7]
	v_fma_f64 v[4:5], -v[4:5], v[12:13], v[10:11]
	s_delay_alu instid0(VALU_DEP_1) | instskip(NEXT) | instid1(VALU_DEP_1)
	v_div_fmas_f64 v[4:5], v[4:5], v[6:7], v[12:13]
	v_div_fixup_f64 v[6:7], v[4:5], v[2:3], 1.0
	s_delay_alu instid0(VALU_DEP_1)
	v_mul_f64_e64 v[8:9], v[8:9], -v[6:7]
	v_xor_b32_e32 v11, 0x80000000, v7
	v_mov_b32_e32 v10, v6
.LBB107_17:
	s_or_b32 exec_lo, exec_lo, s3
	s_clause 0x1
	scratch_store_b128 v15, v[6:9], off
	scratch_load_b128 v[2:5], off, s18
	v_xor_b32_e32 v13, 0x80000000, v9
	v_mov_b32_e32 v12, v8
	s_wait_xcnt 0x1
	v_add_nc_u32_e32 v6, 0x2c0, v14
	ds_store_b128 v14, v[10:13]
	s_wait_loadcnt 0x0
	ds_store_b128 v14, v[2:5] offset:704
	s_wait_storecnt_dscnt 0x0
	s_barrier_signal -1
	s_barrier_wait -1
	s_wait_xcnt 0x0
	s_and_saveexec_b32 s3, s2
	s_cbranch_execz .LBB107_19
; %bb.18:
	scratch_load_b128 v[2:5], v15, off
	ds_load_b128 v[8:11], v6
	v_mov_b32_e32 v7, 0
	ds_load_b128 v[104:107], v7 offset:16
	s_wait_loadcnt_dscnt 0x1
	v_mul_f64_e32 v[12:13], v[8:9], v[4:5]
	v_mul_f64_e32 v[4:5], v[10:11], v[4:5]
	s_delay_alu instid0(VALU_DEP_2) | instskip(NEXT) | instid1(VALU_DEP_2)
	v_fmac_f64_e32 v[12:13], v[10:11], v[2:3]
	v_fma_f64 v[2:3], v[8:9], v[2:3], -v[4:5]
	s_delay_alu instid0(VALU_DEP_2) | instskip(NEXT) | instid1(VALU_DEP_2)
	v_add_f64_e32 v[8:9], 0, v[12:13]
	v_add_f64_e32 v[2:3], 0, v[2:3]
	s_wait_dscnt 0x0
	s_delay_alu instid0(VALU_DEP_2) | instskip(NEXT) | instid1(VALU_DEP_2)
	v_mul_f64_e32 v[10:11], v[8:9], v[106:107]
	v_mul_f64_e32 v[4:5], v[2:3], v[106:107]
	s_delay_alu instid0(VALU_DEP_2) | instskip(NEXT) | instid1(VALU_DEP_2)
	v_fma_f64 v[2:3], v[2:3], v[104:105], -v[10:11]
	v_fmac_f64_e32 v[4:5], v[8:9], v[104:105]
	scratch_store_b128 off, v[2:5], off offset:16
.LBB107_19:
	s_wait_xcnt 0x0
	s_or_b32 exec_lo, exec_lo, s3
	s_wait_storecnt 0x0
	s_barrier_signal -1
	s_barrier_wait -1
	scratch_load_b128 v[2:5], off, s16
	s_mov_b32 s3, exec_lo
	s_wait_loadcnt 0x0
	ds_store_b128 v6, v[2:5]
	s_wait_dscnt 0x0
	s_barrier_signal -1
	s_barrier_wait -1
	v_cmpx_gt_u32_e32 2, v1
	s_cbranch_execz .LBB107_23
; %bb.20:
	scratch_load_b128 v[2:5], v15, off
	ds_load_b128 v[8:11], v6
	s_wait_loadcnt_dscnt 0x0
	v_mul_f64_e32 v[12:13], v[10:11], v[4:5]
	v_mul_f64_e32 v[104:105], v[8:9], v[4:5]
	s_delay_alu instid0(VALU_DEP_2) | instskip(NEXT) | instid1(VALU_DEP_2)
	v_fma_f64 v[4:5], v[8:9], v[2:3], -v[12:13]
	v_fmac_f64_e32 v[104:105], v[10:11], v[2:3]
	s_delay_alu instid0(VALU_DEP_2) | instskip(NEXT) | instid1(VALU_DEP_2)
	v_add_f64_e32 v[4:5], 0, v[4:5]
	v_add_f64_e32 v[2:3], 0, v[104:105]
	s_and_saveexec_b32 s57, s2
	s_cbranch_execz .LBB107_22
; %bb.21:
	scratch_load_b128 v[8:11], off, off offset:16
	v_mov_b32_e32 v7, 0
	ds_load_b128 v[104:107], v7 offset:720
	s_wait_loadcnt_dscnt 0x0
	v_mul_f64_e32 v[12:13], v[104:105], v[10:11]
	v_mul_f64_e32 v[10:11], v[106:107], v[10:11]
	s_delay_alu instid0(VALU_DEP_2) | instskip(NEXT) | instid1(VALU_DEP_2)
	v_fmac_f64_e32 v[12:13], v[106:107], v[8:9]
	v_fma_f64 v[8:9], v[104:105], v[8:9], -v[10:11]
	s_delay_alu instid0(VALU_DEP_2) | instskip(NEXT) | instid1(VALU_DEP_2)
	v_add_f64_e32 v[2:3], v[2:3], v[12:13]
	v_add_f64_e32 v[4:5], v[4:5], v[8:9]
.LBB107_22:
	s_or_b32 exec_lo, exec_lo, s57
	v_mov_b32_e32 v7, 0
	ds_load_b128 v[8:11], v7 offset:32
	s_wait_dscnt 0x0
	v_mul_f64_e32 v[104:105], v[2:3], v[10:11]
	v_mul_f64_e32 v[12:13], v[4:5], v[10:11]
	s_delay_alu instid0(VALU_DEP_2) | instskip(NEXT) | instid1(VALU_DEP_2)
	v_fma_f64 v[10:11], v[4:5], v[8:9], -v[104:105]
	v_fmac_f64_e32 v[12:13], v[2:3], v[8:9]
	scratch_store_b128 off, v[10:13], off offset:32
.LBB107_23:
	s_wait_xcnt 0x0
	s_or_b32 exec_lo, exec_lo, s3
	s_wait_storecnt 0x0
	s_barrier_signal -1
	s_barrier_wait -1
	scratch_load_b128 v[2:5], off, s14
	v_add_nc_u32_e32 v7, -1, v1
	s_mov_b32 s2, exec_lo
	s_wait_loadcnt 0x0
	ds_store_b128 v6, v[2:5]
	s_wait_dscnt 0x0
	s_barrier_signal -1
	s_barrier_wait -1
	v_cmpx_gt_u32_e32 3, v1
	s_cbranch_execz .LBB107_27
; %bb.24:
	v_dual_mov_b32 v10, v14 :: v_dual_add_nc_u32 v8, -1, v1
	v_mov_b64_e32 v[2:3], 0
	v_mov_b64_e32 v[4:5], 0
	v_add_nc_u32_e32 v9, 0x2c0, v14
	s_delay_alu instid0(VALU_DEP_4)
	v_or_b32_e32 v10, 8, v10
	s_mov_b32 s3, 0
.LBB107_25:                             ; =>This Inner Loop Header: Depth=1
	scratch_load_b128 v[104:107], v10, off offset:-8
	ds_load_b128 v[108:111], v9
	v_dual_add_nc_u32 v8, 1, v8 :: v_dual_add_nc_u32 v9, 16, v9
	s_wait_xcnt 0x0
	v_add_nc_u32_e32 v10, 16, v10
	s_delay_alu instid0(VALU_DEP_2) | instskip(SKIP_4) | instid1(VALU_DEP_2)
	v_cmp_lt_u32_e32 vcc_lo, 1, v8
	s_or_b32 s3, vcc_lo, s3
	s_wait_loadcnt_dscnt 0x0
	v_mul_f64_e32 v[12:13], v[110:111], v[106:107]
	v_mul_f64_e32 v[106:107], v[108:109], v[106:107]
	v_fma_f64 v[12:13], v[108:109], v[104:105], -v[12:13]
	s_delay_alu instid0(VALU_DEP_2) | instskip(NEXT) | instid1(VALU_DEP_2)
	v_fmac_f64_e32 v[106:107], v[110:111], v[104:105]
	v_add_f64_e32 v[4:5], v[4:5], v[12:13]
	s_delay_alu instid0(VALU_DEP_2)
	v_add_f64_e32 v[2:3], v[2:3], v[106:107]
	s_and_not1_b32 exec_lo, exec_lo, s3
	s_cbranch_execnz .LBB107_25
; %bb.26:
	s_or_b32 exec_lo, exec_lo, s3
	v_mov_b32_e32 v8, 0
	ds_load_b128 v[8:11], v8 offset:48
	s_wait_dscnt 0x0
	v_mul_f64_e32 v[104:105], v[2:3], v[10:11]
	v_mul_f64_e32 v[12:13], v[4:5], v[10:11]
	s_delay_alu instid0(VALU_DEP_2) | instskip(NEXT) | instid1(VALU_DEP_2)
	v_fma_f64 v[10:11], v[4:5], v[8:9], -v[104:105]
	v_fmac_f64_e32 v[12:13], v[2:3], v[8:9]
	scratch_store_b128 off, v[10:13], off offset:48
.LBB107_27:
	s_wait_xcnt 0x0
	s_or_b32 exec_lo, exec_lo, s2
	s_wait_storecnt 0x0
	s_barrier_signal -1
	s_barrier_wait -1
	scratch_load_b128 v[2:5], off, s12
	s_mov_b32 s2, exec_lo
	s_wait_loadcnt 0x0
	ds_store_b128 v6, v[2:5]
	s_wait_dscnt 0x0
	s_barrier_signal -1
	s_barrier_wait -1
	v_cmpx_gt_u32_e32 4, v1
	s_cbranch_execz .LBB107_31
; %bb.28:
	v_dual_mov_b32 v10, v14 :: v_dual_add_nc_u32 v8, -1, v1
	v_mov_b64_e32 v[2:3], 0
	v_mov_b64_e32 v[4:5], 0
	v_add_nc_u32_e32 v9, 0x2c0, v14
	s_delay_alu instid0(VALU_DEP_4)
	v_or_b32_e32 v10, 8, v10
	s_mov_b32 s3, 0
.LBB107_29:                             ; =>This Inner Loop Header: Depth=1
	scratch_load_b128 v[104:107], v10, off offset:-8
	ds_load_b128 v[108:111], v9
	v_dual_add_nc_u32 v8, 1, v8 :: v_dual_add_nc_u32 v9, 16, v9
	s_wait_xcnt 0x0
	v_add_nc_u32_e32 v10, 16, v10
	s_delay_alu instid0(VALU_DEP_2) | instskip(SKIP_4) | instid1(VALU_DEP_2)
	v_cmp_lt_u32_e32 vcc_lo, 2, v8
	s_or_b32 s3, vcc_lo, s3
	s_wait_loadcnt_dscnt 0x0
	v_mul_f64_e32 v[12:13], v[110:111], v[106:107]
	v_mul_f64_e32 v[106:107], v[108:109], v[106:107]
	v_fma_f64 v[12:13], v[108:109], v[104:105], -v[12:13]
	s_delay_alu instid0(VALU_DEP_2) | instskip(NEXT) | instid1(VALU_DEP_2)
	v_fmac_f64_e32 v[106:107], v[110:111], v[104:105]
	v_add_f64_e32 v[4:5], v[4:5], v[12:13]
	s_delay_alu instid0(VALU_DEP_2)
	v_add_f64_e32 v[2:3], v[2:3], v[106:107]
	s_and_not1_b32 exec_lo, exec_lo, s3
	s_cbranch_execnz .LBB107_29
; %bb.30:
	s_or_b32 exec_lo, exec_lo, s3
	v_mov_b32_e32 v8, 0
	ds_load_b128 v[8:11], v8 offset:64
	s_wait_dscnt 0x0
	v_mul_f64_e32 v[104:105], v[2:3], v[10:11]
	v_mul_f64_e32 v[12:13], v[4:5], v[10:11]
	s_delay_alu instid0(VALU_DEP_2) | instskip(NEXT) | instid1(VALU_DEP_2)
	v_fma_f64 v[10:11], v[4:5], v[8:9], -v[104:105]
	v_fmac_f64_e32 v[12:13], v[2:3], v[8:9]
	scratch_store_b128 off, v[10:13], off offset:64
.LBB107_31:
	s_wait_xcnt 0x0
	s_or_b32 exec_lo, exec_lo, s2
	s_wait_storecnt 0x0
	s_barrier_signal -1
	s_barrier_wait -1
	scratch_load_b128 v[2:5], off, s55
	;; [unrolled: 54-line block ×19, first 2 shown]
	s_mov_b32 s2, exec_lo
	s_wait_loadcnt 0x0
	ds_store_b128 v6, v[2:5]
	s_wait_dscnt 0x0
	s_barrier_signal -1
	s_barrier_wait -1
	v_cmpx_gt_u32_e32 22, v1
	s_cbranch_execz .LBB107_103
; %bb.100:
	v_dual_mov_b32 v10, v14 :: v_dual_add_nc_u32 v8, -1, v1
	v_mov_b64_e32 v[2:3], 0
	v_mov_b64_e32 v[4:5], 0
	v_add_nc_u32_e32 v9, 0x2c0, v14
	s_delay_alu instid0(VALU_DEP_4)
	v_or_b32_e32 v10, 8, v10
	s_mov_b32 s3, 0
.LBB107_101:                            ; =>This Inner Loop Header: Depth=1
	scratch_load_b128 v[104:107], v10, off offset:-8
	ds_load_b128 v[108:111], v9
	v_dual_add_nc_u32 v8, 1, v8 :: v_dual_add_nc_u32 v9, 16, v9
	s_wait_xcnt 0x0
	v_add_nc_u32_e32 v10, 16, v10
	s_delay_alu instid0(VALU_DEP_2) | instskip(SKIP_4) | instid1(VALU_DEP_2)
	v_cmp_lt_u32_e32 vcc_lo, 20, v8
	s_or_b32 s3, vcc_lo, s3
	s_wait_loadcnt_dscnt 0x0
	v_mul_f64_e32 v[12:13], v[110:111], v[106:107]
	v_mul_f64_e32 v[106:107], v[108:109], v[106:107]
	v_fma_f64 v[12:13], v[108:109], v[104:105], -v[12:13]
	s_delay_alu instid0(VALU_DEP_2) | instskip(NEXT) | instid1(VALU_DEP_2)
	v_fmac_f64_e32 v[106:107], v[110:111], v[104:105]
	v_add_f64_e32 v[4:5], v[4:5], v[12:13]
	s_delay_alu instid0(VALU_DEP_2)
	v_add_f64_e32 v[2:3], v[2:3], v[106:107]
	s_and_not1_b32 exec_lo, exec_lo, s3
	s_cbranch_execnz .LBB107_101
; %bb.102:
	s_or_b32 exec_lo, exec_lo, s3
	v_mov_b32_e32 v8, 0
	ds_load_b128 v[8:11], v8 offset:352
	s_wait_dscnt 0x0
	v_mul_f64_e32 v[104:105], v[2:3], v[10:11]
	v_mul_f64_e32 v[12:13], v[4:5], v[10:11]
	s_delay_alu instid0(VALU_DEP_2) | instskip(NEXT) | instid1(VALU_DEP_2)
	v_fma_f64 v[10:11], v[4:5], v[8:9], -v[104:105]
	v_fmac_f64_e32 v[12:13], v[2:3], v[8:9]
	scratch_store_b128 off, v[10:13], off offset:352
.LBB107_103:
	s_wait_xcnt 0x0
	s_or_b32 exec_lo, exec_lo, s2
	s_wait_storecnt 0x0
	s_barrier_signal -1
	s_barrier_wait -1
	scratch_load_b128 v[2:5], off, s37
	s_mov_b32 s2, exec_lo
	s_wait_loadcnt 0x0
	ds_store_b128 v6, v[2:5]
	s_wait_dscnt 0x0
	s_barrier_signal -1
	s_barrier_wait -1
	v_cmpx_gt_u32_e32 23, v1
	s_cbranch_execz .LBB107_107
; %bb.104:
	v_dual_mov_b32 v10, v14 :: v_dual_add_nc_u32 v8, -1, v1
	v_mov_b64_e32 v[2:3], 0
	v_mov_b64_e32 v[4:5], 0
	v_add_nc_u32_e32 v9, 0x2c0, v14
	s_delay_alu instid0(VALU_DEP_4)
	v_or_b32_e32 v10, 8, v10
	s_mov_b32 s3, 0
.LBB107_105:                            ; =>This Inner Loop Header: Depth=1
	scratch_load_b128 v[104:107], v10, off offset:-8
	ds_load_b128 v[108:111], v9
	v_dual_add_nc_u32 v8, 1, v8 :: v_dual_add_nc_u32 v9, 16, v9
	s_wait_xcnt 0x0
	v_add_nc_u32_e32 v10, 16, v10
	s_delay_alu instid0(VALU_DEP_2) | instskip(SKIP_4) | instid1(VALU_DEP_2)
	v_cmp_lt_u32_e32 vcc_lo, 21, v8
	s_or_b32 s3, vcc_lo, s3
	s_wait_loadcnt_dscnt 0x0
	v_mul_f64_e32 v[12:13], v[110:111], v[106:107]
	v_mul_f64_e32 v[106:107], v[108:109], v[106:107]
	v_fma_f64 v[12:13], v[108:109], v[104:105], -v[12:13]
	s_delay_alu instid0(VALU_DEP_2) | instskip(NEXT) | instid1(VALU_DEP_2)
	v_fmac_f64_e32 v[106:107], v[110:111], v[104:105]
	v_add_f64_e32 v[4:5], v[4:5], v[12:13]
	s_delay_alu instid0(VALU_DEP_2)
	v_add_f64_e32 v[2:3], v[2:3], v[106:107]
	s_and_not1_b32 exec_lo, exec_lo, s3
	s_cbranch_execnz .LBB107_105
; %bb.106:
	s_or_b32 exec_lo, exec_lo, s3
	v_mov_b32_e32 v8, 0
	ds_load_b128 v[8:11], v8 offset:368
	s_wait_dscnt 0x0
	v_mul_f64_e32 v[104:105], v[2:3], v[10:11]
	v_mul_f64_e32 v[12:13], v[4:5], v[10:11]
	s_delay_alu instid0(VALU_DEP_2) | instskip(NEXT) | instid1(VALU_DEP_2)
	v_fma_f64 v[10:11], v[4:5], v[8:9], -v[104:105]
	v_fmac_f64_e32 v[12:13], v[2:3], v[8:9]
	scratch_store_b128 off, v[10:13], off offset:368
.LBB107_107:
	s_wait_xcnt 0x0
	s_or_b32 exec_lo, exec_lo, s2
	s_wait_storecnt 0x0
	s_barrier_signal -1
	s_barrier_wait -1
	scratch_load_b128 v[2:5], off, s36
	;; [unrolled: 54-line block ×21, first 2 shown]
	s_mov_b32 s2, exec_lo
	s_wait_loadcnt 0x0
	ds_store_b128 v6, v[2:5]
	s_wait_dscnt 0x0
	s_barrier_signal -1
	s_barrier_wait -1
	v_cmpx_ne_u32_e32 43, v1
	s_cbranch_execz .LBB107_187
; %bb.184:
	v_mov_b32_e32 v8, v14
	v_mov_b64_e32 v[2:3], 0
	v_mov_b64_e32 v[4:5], 0
	s_mov_b32 s3, 0
	s_delay_alu instid0(VALU_DEP_3)
	v_or_b32_e32 v8, 8, v8
.LBB107_185:                            ; =>This Inner Loop Header: Depth=1
	scratch_load_b128 v[10:13], v8, off offset:-8
	ds_load_b128 v[104:107], v6
	v_dual_add_nc_u32 v7, 1, v7 :: v_dual_add_nc_u32 v6, 16, v6
	s_wait_xcnt 0x0
	v_add_nc_u32_e32 v8, 16, v8
	s_delay_alu instid0(VALU_DEP_2) | instskip(SKIP_4) | instid1(VALU_DEP_2)
	v_cmp_lt_u32_e32 vcc_lo, 41, v7
	s_or_b32 s3, vcc_lo, s3
	s_wait_loadcnt_dscnt 0x0
	v_mul_f64_e32 v[14:15], v[106:107], v[12:13]
	v_mul_f64_e32 v[12:13], v[104:105], v[12:13]
	v_fma_f64 v[14:15], v[104:105], v[10:11], -v[14:15]
	s_delay_alu instid0(VALU_DEP_2) | instskip(NEXT) | instid1(VALU_DEP_2)
	v_fmac_f64_e32 v[12:13], v[106:107], v[10:11]
	v_add_f64_e32 v[4:5], v[4:5], v[14:15]
	s_delay_alu instid0(VALU_DEP_2)
	v_add_f64_e32 v[2:3], v[2:3], v[12:13]
	s_and_not1_b32 exec_lo, exec_lo, s3
	s_cbranch_execnz .LBB107_185
; %bb.186:
	s_or_b32 exec_lo, exec_lo, s3
	v_mov_b32_e32 v6, 0
	ds_load_b128 v[6:9], v6 offset:688
	s_wait_dscnt 0x0
	v_mul_f64_e32 v[12:13], v[2:3], v[8:9]
	v_mul_f64_e32 v[10:11], v[4:5], v[8:9]
	s_delay_alu instid0(VALU_DEP_2) | instskip(NEXT) | instid1(VALU_DEP_2)
	v_fma_f64 v[8:9], v[4:5], v[6:7], -v[12:13]
	v_fmac_f64_e32 v[10:11], v[2:3], v[6:7]
	scratch_store_b128 off, v[8:11], off offset:688
.LBB107_187:
	s_wait_xcnt 0x0
	s_or_b32 exec_lo, exec_lo, s2
	s_mov_b32 s3, -1
	s_wait_storecnt 0x0
	s_barrier_signal -1
	s_barrier_wait -1
.LBB107_188:
	s_and_b32 vcc_lo, exec_lo, s3
	s_cbranch_vccz .LBB107_190
; %bb.189:
	s_wait_xcnt 0x0
	v_mov_b32_e32 v2, 0
	s_lshl_b64 s[2:3], s[10:11], 2
	s_delay_alu instid0(SALU_CYCLE_1)
	s_add_nc_u64 s[2:3], s[6:7], s[2:3]
	global_load_b32 v2, v2, s[2:3]
	s_wait_loadcnt 0x0
	v_cmp_ne_u32_e32 vcc_lo, 0, v2
	s_cbranch_vccz .LBB107_191
.LBB107_190:
	s_sendmsg sendmsg(MSG_DEALLOC_VGPRS)
	s_endpgm
.LBB107_191:
	v_lshl_add_u32 v104, v1, 4, 0x2c0
	s_wait_xcnt 0x0
	s_mov_b32 s2, exec_lo
	v_cmpx_eq_u32_e32 43, v1
	s_cbranch_execz .LBB107_193
; %bb.192:
	scratch_load_b128 v[2:5], off, s15
	v_mov_b32_e32 v6, 0
	s_delay_alu instid0(VALU_DEP_1)
	v_dual_mov_b32 v7, v6 :: v_dual_mov_b32 v8, v6
	v_mov_b32_e32 v9, v6
	scratch_store_b128 off, v[6:9], off offset:672
	s_wait_loadcnt 0x0
	ds_store_b128 v104, v[2:5]
.LBB107_193:
	s_wait_xcnt 0x0
	s_or_b32 exec_lo, exec_lo, s2
	s_wait_storecnt_dscnt 0x0
	s_barrier_signal -1
	s_barrier_wait -1
	s_clause 0x1
	scratch_load_b128 v[4:7], off, off offset:688
	scratch_load_b128 v[8:11], off, off offset:672
	v_mov_b32_e32 v2, 0
	s_mov_b32 s2, exec_lo
	ds_load_b128 v[12:15], v2 offset:1392
	s_wait_loadcnt_dscnt 0x100
	v_mul_f64_e32 v[106:107], v[14:15], v[6:7]
	v_mul_f64_e32 v[6:7], v[12:13], v[6:7]
	s_delay_alu instid0(VALU_DEP_2) | instskip(NEXT) | instid1(VALU_DEP_2)
	v_fma_f64 v[12:13], v[12:13], v[4:5], -v[106:107]
	v_fmac_f64_e32 v[6:7], v[14:15], v[4:5]
	s_delay_alu instid0(VALU_DEP_2) | instskip(NEXT) | instid1(VALU_DEP_2)
	v_add_f64_e32 v[4:5], 0, v[12:13]
	v_add_f64_e32 v[6:7], 0, v[6:7]
	s_wait_loadcnt 0x0
	s_delay_alu instid0(VALU_DEP_2) | instskip(NEXT) | instid1(VALU_DEP_2)
	v_add_f64_e64 v[4:5], v[8:9], -v[4:5]
	v_add_f64_e64 v[6:7], v[10:11], -v[6:7]
	scratch_store_b128 off, v[4:7], off offset:672
	s_wait_xcnt 0x0
	v_cmpx_lt_u32_e32 41, v1
	s_cbranch_execz .LBB107_195
; %bb.194:
	scratch_load_b128 v[6:9], off, s17
	v_dual_mov_b32 v3, v2 :: v_dual_mov_b32 v4, v2
	v_mov_b32_e32 v5, v2
	scratch_store_b128 off, v[2:5], off offset:656
	s_wait_loadcnt 0x0
	ds_store_b128 v104, v[6:9]
.LBB107_195:
	s_wait_xcnt 0x0
	s_or_b32 exec_lo, exec_lo, s2
	s_wait_storecnt_dscnt 0x0
	s_barrier_signal -1
	s_barrier_wait -1
	s_clause 0x2
	scratch_load_b128 v[4:7], off, off offset:672
	scratch_load_b128 v[8:11], off, off offset:688
	;; [unrolled: 1-line block ×3, first 2 shown]
	ds_load_b128 v[106:109], v2 offset:1376
	ds_load_b128 v[110:113], v2 offset:1392
	s_mov_b32 s2, exec_lo
	s_wait_loadcnt_dscnt 0x201
	v_mul_f64_e32 v[2:3], v[108:109], v[6:7]
	v_mul_f64_e32 v[6:7], v[106:107], v[6:7]
	s_wait_loadcnt_dscnt 0x100
	v_mul_f64_e32 v[114:115], v[110:111], v[10:11]
	v_mul_f64_e32 v[10:11], v[112:113], v[10:11]
	s_delay_alu instid0(VALU_DEP_4) | instskip(NEXT) | instid1(VALU_DEP_4)
	v_fma_f64 v[2:3], v[106:107], v[4:5], -v[2:3]
	v_fmac_f64_e32 v[6:7], v[108:109], v[4:5]
	s_delay_alu instid0(VALU_DEP_4) | instskip(NEXT) | instid1(VALU_DEP_4)
	v_fmac_f64_e32 v[114:115], v[112:113], v[8:9]
	v_fma_f64 v[4:5], v[110:111], v[8:9], -v[10:11]
	s_delay_alu instid0(VALU_DEP_4) | instskip(NEXT) | instid1(VALU_DEP_4)
	v_add_f64_e32 v[2:3], 0, v[2:3]
	v_add_f64_e32 v[6:7], 0, v[6:7]
	s_delay_alu instid0(VALU_DEP_2) | instskip(NEXT) | instid1(VALU_DEP_2)
	v_add_f64_e32 v[2:3], v[2:3], v[4:5]
	v_add_f64_e32 v[4:5], v[6:7], v[114:115]
	s_wait_loadcnt 0x0
	s_delay_alu instid0(VALU_DEP_2) | instskip(NEXT) | instid1(VALU_DEP_2)
	v_add_f64_e64 v[2:3], v[12:13], -v[2:3]
	v_add_f64_e64 v[4:5], v[14:15], -v[4:5]
	scratch_store_b128 off, v[2:5], off offset:656
	s_wait_xcnt 0x0
	v_cmpx_lt_u32_e32 40, v1
	s_cbranch_execz .LBB107_197
; %bb.196:
	scratch_load_b128 v[2:5], off, s19
	v_mov_b32_e32 v6, 0
	s_delay_alu instid0(VALU_DEP_1)
	v_dual_mov_b32 v7, v6 :: v_dual_mov_b32 v8, v6
	v_mov_b32_e32 v9, v6
	scratch_store_b128 off, v[6:9], off offset:640
	s_wait_loadcnt 0x0
	ds_store_b128 v104, v[2:5]
.LBB107_197:
	s_wait_xcnt 0x0
	s_or_b32 exec_lo, exec_lo, s2
	s_wait_storecnt_dscnt 0x0
	s_barrier_signal -1
	s_barrier_wait -1
	s_clause 0x3
	scratch_load_b128 v[4:7], off, off offset:656
	scratch_load_b128 v[8:11], off, off offset:672
	;; [unrolled: 1-line block ×4, first 2 shown]
	v_mov_b32_e32 v2, 0
	ds_load_b128 v[110:113], v2 offset:1360
	ds_load_b128 v[114:117], v2 offset:1376
	s_mov_b32 s2, exec_lo
	s_wait_loadcnt_dscnt 0x301
	v_mul_f64_e32 v[118:119], v[112:113], v[6:7]
	v_mul_f64_e32 v[120:121], v[110:111], v[6:7]
	s_wait_loadcnt_dscnt 0x200
	v_mul_f64_e32 v[122:123], v[114:115], v[10:11]
	v_mul_f64_e32 v[10:11], v[116:117], v[10:11]
	s_delay_alu instid0(VALU_DEP_4) | instskip(NEXT) | instid1(VALU_DEP_4)
	v_fma_f64 v[110:111], v[110:111], v[4:5], -v[118:119]
	v_fmac_f64_e32 v[120:121], v[112:113], v[4:5]
	ds_load_b128 v[4:7], v2 offset:1392
	v_fmac_f64_e32 v[122:123], v[116:117], v[8:9]
	v_fma_f64 v[8:9], v[114:115], v[8:9], -v[10:11]
	s_wait_loadcnt_dscnt 0x100
	v_mul_f64_e32 v[112:113], v[4:5], v[14:15]
	v_mul_f64_e32 v[14:15], v[6:7], v[14:15]
	v_add_f64_e32 v[10:11], 0, v[110:111]
	v_add_f64_e32 v[110:111], 0, v[120:121]
	s_delay_alu instid0(VALU_DEP_4) | instskip(NEXT) | instid1(VALU_DEP_4)
	v_fmac_f64_e32 v[112:113], v[6:7], v[12:13]
	v_fma_f64 v[4:5], v[4:5], v[12:13], -v[14:15]
	s_delay_alu instid0(VALU_DEP_4) | instskip(NEXT) | instid1(VALU_DEP_4)
	v_add_f64_e32 v[6:7], v[10:11], v[8:9]
	v_add_f64_e32 v[8:9], v[110:111], v[122:123]
	s_delay_alu instid0(VALU_DEP_2) | instskip(NEXT) | instid1(VALU_DEP_2)
	v_add_f64_e32 v[4:5], v[6:7], v[4:5]
	v_add_f64_e32 v[6:7], v[8:9], v[112:113]
	s_wait_loadcnt 0x0
	s_delay_alu instid0(VALU_DEP_2) | instskip(NEXT) | instid1(VALU_DEP_2)
	v_add_f64_e64 v[4:5], v[106:107], -v[4:5]
	v_add_f64_e64 v[6:7], v[108:109], -v[6:7]
	scratch_store_b128 off, v[4:7], off offset:640
	s_wait_xcnt 0x0
	v_cmpx_lt_u32_e32 39, v1
	s_cbranch_execz .LBB107_199
; %bb.198:
	scratch_load_b128 v[6:9], off, s20
	v_dual_mov_b32 v3, v2 :: v_dual_mov_b32 v4, v2
	v_mov_b32_e32 v5, v2
	scratch_store_b128 off, v[2:5], off offset:624
	s_wait_loadcnt 0x0
	ds_store_b128 v104, v[6:9]
.LBB107_199:
	s_wait_xcnt 0x0
	s_or_b32 exec_lo, exec_lo, s2
	s_wait_storecnt_dscnt 0x0
	s_barrier_signal -1
	s_barrier_wait -1
	s_clause 0x4
	scratch_load_b128 v[4:7], off, off offset:640
	scratch_load_b128 v[8:11], off, off offset:656
	scratch_load_b128 v[12:15], off, off offset:672
	scratch_load_b128 v[106:109], off, off offset:688
	scratch_load_b128 v[110:113], off, off offset:624
	ds_load_b128 v[114:117], v2 offset:1344
	ds_load_b128 v[118:121], v2 offset:1360
	s_mov_b32 s2, exec_lo
	s_wait_loadcnt_dscnt 0x401
	v_mul_f64_e32 v[122:123], v[116:117], v[6:7]
	v_mul_f64_e32 v[124:125], v[114:115], v[6:7]
	s_wait_loadcnt_dscnt 0x300
	v_mul_f64_e32 v[126:127], v[118:119], v[10:11]
	v_mul_f64_e32 v[10:11], v[120:121], v[10:11]
	s_delay_alu instid0(VALU_DEP_4) | instskip(NEXT) | instid1(VALU_DEP_4)
	v_fma_f64 v[122:123], v[114:115], v[4:5], -v[122:123]
	v_fmac_f64_e32 v[124:125], v[116:117], v[4:5]
	ds_load_b128 v[4:7], v2 offset:1376
	ds_load_b128 v[114:117], v2 offset:1392
	v_fmac_f64_e32 v[126:127], v[120:121], v[8:9]
	v_fma_f64 v[8:9], v[118:119], v[8:9], -v[10:11]
	s_wait_loadcnt_dscnt 0x201
	v_mul_f64_e32 v[2:3], v[4:5], v[14:15]
	v_mul_f64_e32 v[14:15], v[6:7], v[14:15]
	s_wait_loadcnt_dscnt 0x100
	v_mul_f64_e32 v[120:121], v[114:115], v[108:109]
	v_mul_f64_e32 v[108:109], v[116:117], v[108:109]
	v_add_f64_e32 v[10:11], 0, v[122:123]
	v_add_f64_e32 v[118:119], 0, v[124:125]
	v_fmac_f64_e32 v[2:3], v[6:7], v[12:13]
	v_fma_f64 v[4:5], v[4:5], v[12:13], -v[14:15]
	v_fmac_f64_e32 v[120:121], v[116:117], v[106:107]
	v_add_f64_e32 v[6:7], v[10:11], v[8:9]
	v_add_f64_e32 v[8:9], v[118:119], v[126:127]
	v_fma_f64 v[10:11], v[114:115], v[106:107], -v[108:109]
	s_delay_alu instid0(VALU_DEP_3) | instskip(NEXT) | instid1(VALU_DEP_3)
	v_add_f64_e32 v[4:5], v[6:7], v[4:5]
	v_add_f64_e32 v[2:3], v[8:9], v[2:3]
	s_delay_alu instid0(VALU_DEP_2) | instskip(NEXT) | instid1(VALU_DEP_2)
	v_add_f64_e32 v[4:5], v[4:5], v[10:11]
	v_add_f64_e32 v[6:7], v[2:3], v[120:121]
	s_wait_loadcnt 0x0
	s_delay_alu instid0(VALU_DEP_2) | instskip(NEXT) | instid1(VALU_DEP_2)
	v_add_f64_e64 v[2:3], v[110:111], -v[4:5]
	v_add_f64_e64 v[4:5], v[112:113], -v[6:7]
	scratch_store_b128 off, v[2:5], off offset:624
	s_wait_xcnt 0x0
	v_cmpx_lt_u32_e32 38, v1
	s_cbranch_execz .LBB107_201
; %bb.200:
	scratch_load_b128 v[2:5], off, s21
	v_mov_b32_e32 v6, 0
	s_delay_alu instid0(VALU_DEP_1)
	v_dual_mov_b32 v7, v6 :: v_dual_mov_b32 v8, v6
	v_mov_b32_e32 v9, v6
	scratch_store_b128 off, v[6:9], off offset:608
	s_wait_loadcnt 0x0
	ds_store_b128 v104, v[2:5]
.LBB107_201:
	s_wait_xcnt 0x0
	s_or_b32 exec_lo, exec_lo, s2
	s_wait_storecnt_dscnt 0x0
	s_barrier_signal -1
	s_barrier_wait -1
	s_clause 0x5
	scratch_load_b128 v[4:7], off, off offset:624
	scratch_load_b128 v[8:11], off, off offset:640
	;; [unrolled: 1-line block ×6, first 2 shown]
	v_mov_b32_e32 v2, 0
	ds_load_b128 v[118:121], v2 offset:1328
	ds_load_b128 v[122:125], v2 offset:1344
	s_mov_b32 s2, exec_lo
	s_wait_loadcnt_dscnt 0x501
	v_mul_f64_e32 v[126:127], v[120:121], v[6:7]
	v_mul_f64_e32 v[128:129], v[118:119], v[6:7]
	s_wait_loadcnt_dscnt 0x400
	v_mul_f64_e32 v[130:131], v[122:123], v[10:11]
	v_mul_f64_e32 v[10:11], v[124:125], v[10:11]
	s_delay_alu instid0(VALU_DEP_4) | instskip(NEXT) | instid1(VALU_DEP_4)
	v_fma_f64 v[126:127], v[118:119], v[4:5], -v[126:127]
	v_fmac_f64_e32 v[128:129], v[120:121], v[4:5]
	ds_load_b128 v[4:7], v2 offset:1360
	ds_load_b128 v[118:121], v2 offset:1376
	v_fmac_f64_e32 v[130:131], v[124:125], v[8:9]
	v_fma_f64 v[8:9], v[122:123], v[8:9], -v[10:11]
	s_wait_loadcnt_dscnt 0x301
	v_mul_f64_e32 v[132:133], v[4:5], v[14:15]
	v_mul_f64_e32 v[14:15], v[6:7], v[14:15]
	s_wait_loadcnt_dscnt 0x200
	v_mul_f64_e32 v[124:125], v[118:119], v[108:109]
	v_mul_f64_e32 v[108:109], v[120:121], v[108:109]
	v_add_f64_e32 v[10:11], 0, v[126:127]
	v_add_f64_e32 v[122:123], 0, v[128:129]
	v_fmac_f64_e32 v[132:133], v[6:7], v[12:13]
	v_fma_f64 v[12:13], v[4:5], v[12:13], -v[14:15]
	ds_load_b128 v[4:7], v2 offset:1392
	v_fmac_f64_e32 v[124:125], v[120:121], v[106:107]
	v_fma_f64 v[106:107], v[118:119], v[106:107], -v[108:109]
	v_add_f64_e32 v[8:9], v[10:11], v[8:9]
	v_add_f64_e32 v[10:11], v[122:123], v[130:131]
	s_wait_loadcnt_dscnt 0x100
	v_mul_f64_e32 v[14:15], v[4:5], v[112:113]
	v_mul_f64_e32 v[112:113], v[6:7], v[112:113]
	s_delay_alu instid0(VALU_DEP_4) | instskip(NEXT) | instid1(VALU_DEP_4)
	v_add_f64_e32 v[8:9], v[8:9], v[12:13]
	v_add_f64_e32 v[10:11], v[10:11], v[132:133]
	s_delay_alu instid0(VALU_DEP_4) | instskip(NEXT) | instid1(VALU_DEP_4)
	v_fmac_f64_e32 v[14:15], v[6:7], v[110:111]
	v_fma_f64 v[4:5], v[4:5], v[110:111], -v[112:113]
	s_delay_alu instid0(VALU_DEP_4) | instskip(NEXT) | instid1(VALU_DEP_4)
	v_add_f64_e32 v[6:7], v[8:9], v[106:107]
	v_add_f64_e32 v[8:9], v[10:11], v[124:125]
	s_delay_alu instid0(VALU_DEP_2) | instskip(NEXT) | instid1(VALU_DEP_2)
	v_add_f64_e32 v[4:5], v[6:7], v[4:5]
	v_add_f64_e32 v[6:7], v[8:9], v[14:15]
	s_wait_loadcnt 0x0
	s_delay_alu instid0(VALU_DEP_2) | instskip(NEXT) | instid1(VALU_DEP_2)
	v_add_f64_e64 v[4:5], v[114:115], -v[4:5]
	v_add_f64_e64 v[6:7], v[116:117], -v[6:7]
	scratch_store_b128 off, v[4:7], off offset:608
	s_wait_xcnt 0x0
	v_cmpx_lt_u32_e32 37, v1
	s_cbranch_execz .LBB107_203
; %bb.202:
	scratch_load_b128 v[6:9], off, s22
	v_dual_mov_b32 v3, v2 :: v_dual_mov_b32 v4, v2
	v_mov_b32_e32 v5, v2
	scratch_store_b128 off, v[2:5], off offset:592
	s_wait_loadcnt 0x0
	ds_store_b128 v104, v[6:9]
.LBB107_203:
	s_wait_xcnt 0x0
	s_or_b32 exec_lo, exec_lo, s2
	s_wait_storecnt_dscnt 0x0
	s_barrier_signal -1
	s_barrier_wait -1
	s_clause 0x6
	scratch_load_b128 v[4:7], off, off offset:608
	scratch_load_b128 v[8:11], off, off offset:624
	scratch_load_b128 v[12:15], off, off offset:640
	scratch_load_b128 v[106:109], off, off offset:656
	scratch_load_b128 v[110:113], off, off offset:672
	scratch_load_b128 v[114:117], off, off offset:688
	scratch_load_b128 v[118:121], off, off offset:592
	ds_load_b128 v[122:125], v2 offset:1312
	ds_load_b128 v[126:129], v2 offset:1328
	s_mov_b32 s2, exec_lo
	s_wait_loadcnt_dscnt 0x601
	v_mul_f64_e32 v[130:131], v[124:125], v[6:7]
	v_mul_f64_e32 v[132:133], v[122:123], v[6:7]
	s_wait_loadcnt_dscnt 0x500
	v_mul_f64_e32 v[134:135], v[126:127], v[10:11]
	v_mul_f64_e32 v[10:11], v[128:129], v[10:11]
	s_delay_alu instid0(VALU_DEP_4) | instskip(NEXT) | instid1(VALU_DEP_4)
	v_fma_f64 v[130:131], v[122:123], v[4:5], -v[130:131]
	v_fmac_f64_e32 v[132:133], v[124:125], v[4:5]
	ds_load_b128 v[4:7], v2 offset:1344
	ds_load_b128 v[122:125], v2 offset:1360
	v_fmac_f64_e32 v[134:135], v[128:129], v[8:9]
	v_fma_f64 v[8:9], v[126:127], v[8:9], -v[10:11]
	s_wait_loadcnt_dscnt 0x401
	v_mul_f64_e32 v[136:137], v[4:5], v[14:15]
	v_mul_f64_e32 v[14:15], v[6:7], v[14:15]
	s_wait_loadcnt_dscnt 0x300
	v_mul_f64_e32 v[128:129], v[122:123], v[108:109]
	v_mul_f64_e32 v[108:109], v[124:125], v[108:109]
	v_add_f64_e32 v[10:11], 0, v[130:131]
	v_add_f64_e32 v[126:127], 0, v[132:133]
	v_fmac_f64_e32 v[136:137], v[6:7], v[12:13]
	v_fma_f64 v[12:13], v[4:5], v[12:13], -v[14:15]
	v_fmac_f64_e32 v[128:129], v[124:125], v[106:107]
	v_fma_f64 v[106:107], v[122:123], v[106:107], -v[108:109]
	v_add_f64_e32 v[14:15], v[10:11], v[8:9]
	v_add_f64_e32 v[126:127], v[126:127], v[134:135]
	ds_load_b128 v[4:7], v2 offset:1376
	ds_load_b128 v[8:11], v2 offset:1392
	s_wait_loadcnt_dscnt 0x201
	v_mul_f64_e32 v[2:3], v[4:5], v[112:113]
	v_mul_f64_e32 v[112:113], v[6:7], v[112:113]
	s_wait_loadcnt_dscnt 0x100
	v_mul_f64_e32 v[108:109], v[8:9], v[116:117]
	v_mul_f64_e32 v[116:117], v[10:11], v[116:117]
	v_add_f64_e32 v[12:13], v[14:15], v[12:13]
	v_add_f64_e32 v[14:15], v[126:127], v[136:137]
	v_fmac_f64_e32 v[2:3], v[6:7], v[110:111]
	v_fma_f64 v[4:5], v[4:5], v[110:111], -v[112:113]
	v_fmac_f64_e32 v[108:109], v[10:11], v[114:115]
	v_fma_f64 v[8:9], v[8:9], v[114:115], -v[116:117]
	v_add_f64_e32 v[6:7], v[12:13], v[106:107]
	v_add_f64_e32 v[12:13], v[14:15], v[128:129]
	s_delay_alu instid0(VALU_DEP_2) | instskip(NEXT) | instid1(VALU_DEP_2)
	v_add_f64_e32 v[4:5], v[6:7], v[4:5]
	v_add_f64_e32 v[2:3], v[12:13], v[2:3]
	s_delay_alu instid0(VALU_DEP_2) | instskip(NEXT) | instid1(VALU_DEP_2)
	v_add_f64_e32 v[4:5], v[4:5], v[8:9]
	v_add_f64_e32 v[6:7], v[2:3], v[108:109]
	s_wait_loadcnt 0x0
	s_delay_alu instid0(VALU_DEP_2) | instskip(NEXT) | instid1(VALU_DEP_2)
	v_add_f64_e64 v[2:3], v[118:119], -v[4:5]
	v_add_f64_e64 v[4:5], v[120:121], -v[6:7]
	scratch_store_b128 off, v[2:5], off offset:592
	s_wait_xcnt 0x0
	v_cmpx_lt_u32_e32 36, v1
	s_cbranch_execz .LBB107_205
; %bb.204:
	scratch_load_b128 v[2:5], off, s23
	v_mov_b32_e32 v6, 0
	s_delay_alu instid0(VALU_DEP_1)
	v_dual_mov_b32 v7, v6 :: v_dual_mov_b32 v8, v6
	v_mov_b32_e32 v9, v6
	scratch_store_b128 off, v[6:9], off offset:576
	s_wait_loadcnt 0x0
	ds_store_b128 v104, v[2:5]
.LBB107_205:
	s_wait_xcnt 0x0
	s_or_b32 exec_lo, exec_lo, s2
	s_wait_storecnt_dscnt 0x0
	s_barrier_signal -1
	s_barrier_wait -1
	s_clause 0x7
	scratch_load_b128 v[4:7], off, off offset:592
	scratch_load_b128 v[8:11], off, off offset:608
	;; [unrolled: 1-line block ×8, first 2 shown]
	v_mov_b32_e32 v2, 0
	ds_load_b128 v[126:129], v2 offset:1296
	ds_load_b128 v[130:133], v2 offset:1312
	s_mov_b32 s2, exec_lo
	s_wait_loadcnt_dscnt 0x701
	v_mul_f64_e32 v[134:135], v[128:129], v[6:7]
	v_mul_f64_e32 v[136:137], v[126:127], v[6:7]
	s_wait_loadcnt_dscnt 0x600
	v_mul_f64_e32 v[138:139], v[130:131], v[10:11]
	v_mul_f64_e32 v[10:11], v[132:133], v[10:11]
	s_delay_alu instid0(VALU_DEP_4) | instskip(NEXT) | instid1(VALU_DEP_4)
	v_fma_f64 v[134:135], v[126:127], v[4:5], -v[134:135]
	v_fmac_f64_e32 v[136:137], v[128:129], v[4:5]
	ds_load_b128 v[4:7], v2 offset:1328
	ds_load_b128 v[126:129], v2 offset:1344
	v_fmac_f64_e32 v[138:139], v[132:133], v[8:9]
	v_fma_f64 v[8:9], v[130:131], v[8:9], -v[10:11]
	s_wait_loadcnt_dscnt 0x501
	v_mul_f64_e32 v[140:141], v[4:5], v[14:15]
	v_mul_f64_e32 v[14:15], v[6:7], v[14:15]
	s_wait_loadcnt_dscnt 0x400
	v_mul_f64_e32 v[132:133], v[126:127], v[108:109]
	v_mul_f64_e32 v[108:109], v[128:129], v[108:109]
	v_add_f64_e32 v[10:11], 0, v[134:135]
	v_add_f64_e32 v[130:131], 0, v[136:137]
	v_fmac_f64_e32 v[140:141], v[6:7], v[12:13]
	v_fma_f64 v[12:13], v[4:5], v[12:13], -v[14:15]
	v_fmac_f64_e32 v[132:133], v[128:129], v[106:107]
	v_fma_f64 v[106:107], v[126:127], v[106:107], -v[108:109]
	v_add_f64_e32 v[14:15], v[10:11], v[8:9]
	v_add_f64_e32 v[130:131], v[130:131], v[138:139]
	ds_load_b128 v[4:7], v2 offset:1360
	ds_load_b128 v[8:11], v2 offset:1376
	s_wait_loadcnt_dscnt 0x301
	v_mul_f64_e32 v[134:135], v[4:5], v[112:113]
	v_mul_f64_e32 v[112:113], v[6:7], v[112:113]
	s_wait_loadcnt_dscnt 0x200
	v_mul_f64_e32 v[108:109], v[8:9], v[116:117]
	v_mul_f64_e32 v[116:117], v[10:11], v[116:117]
	v_add_f64_e32 v[12:13], v[14:15], v[12:13]
	v_add_f64_e32 v[14:15], v[130:131], v[140:141]
	v_fmac_f64_e32 v[134:135], v[6:7], v[110:111]
	v_fma_f64 v[110:111], v[4:5], v[110:111], -v[112:113]
	ds_load_b128 v[4:7], v2 offset:1392
	v_fmac_f64_e32 v[108:109], v[10:11], v[114:115]
	v_fma_f64 v[8:9], v[8:9], v[114:115], -v[116:117]
	v_add_f64_e32 v[12:13], v[12:13], v[106:107]
	v_add_f64_e32 v[14:15], v[14:15], v[132:133]
	s_wait_loadcnt_dscnt 0x100
	v_mul_f64_e32 v[106:107], v[4:5], v[120:121]
	v_mul_f64_e32 v[112:113], v[6:7], v[120:121]
	s_delay_alu instid0(VALU_DEP_4) | instskip(NEXT) | instid1(VALU_DEP_4)
	v_add_f64_e32 v[10:11], v[12:13], v[110:111]
	v_add_f64_e32 v[12:13], v[14:15], v[134:135]
	s_delay_alu instid0(VALU_DEP_4) | instskip(NEXT) | instid1(VALU_DEP_4)
	v_fmac_f64_e32 v[106:107], v[6:7], v[118:119]
	v_fma_f64 v[4:5], v[4:5], v[118:119], -v[112:113]
	s_delay_alu instid0(VALU_DEP_4) | instskip(NEXT) | instid1(VALU_DEP_4)
	v_add_f64_e32 v[6:7], v[10:11], v[8:9]
	v_add_f64_e32 v[8:9], v[12:13], v[108:109]
	s_delay_alu instid0(VALU_DEP_2) | instskip(NEXT) | instid1(VALU_DEP_2)
	v_add_f64_e32 v[4:5], v[6:7], v[4:5]
	v_add_f64_e32 v[6:7], v[8:9], v[106:107]
	s_wait_loadcnt 0x0
	s_delay_alu instid0(VALU_DEP_2) | instskip(NEXT) | instid1(VALU_DEP_2)
	v_add_f64_e64 v[4:5], v[122:123], -v[4:5]
	v_add_f64_e64 v[6:7], v[124:125], -v[6:7]
	scratch_store_b128 off, v[4:7], off offset:576
	s_wait_xcnt 0x0
	v_cmpx_lt_u32_e32 35, v1
	s_cbranch_execz .LBB107_207
; %bb.206:
	scratch_load_b128 v[6:9], off, s24
	v_dual_mov_b32 v3, v2 :: v_dual_mov_b32 v4, v2
	v_mov_b32_e32 v5, v2
	scratch_store_b128 off, v[2:5], off offset:560
	s_wait_loadcnt 0x0
	ds_store_b128 v104, v[6:9]
.LBB107_207:
	s_wait_xcnt 0x0
	s_or_b32 exec_lo, exec_lo, s2
	s_wait_storecnt_dscnt 0x0
	s_barrier_signal -1
	s_barrier_wait -1
	s_clause 0x7
	scratch_load_b128 v[4:7], off, off offset:576
	scratch_load_b128 v[8:11], off, off offset:592
	;; [unrolled: 1-line block ×8, first 2 shown]
	ds_load_b128 v[126:129], v2 offset:1280
	ds_load_b128 v[130:133], v2 offset:1296
	scratch_load_b128 v[134:137], off, off offset:560
	s_mov_b32 s2, exec_lo
	s_wait_loadcnt_dscnt 0x801
	v_mul_f64_e32 v[138:139], v[128:129], v[6:7]
	v_mul_f64_e32 v[140:141], v[126:127], v[6:7]
	s_wait_loadcnt_dscnt 0x700
	v_mul_f64_e32 v[142:143], v[130:131], v[10:11]
	v_mul_f64_e32 v[10:11], v[132:133], v[10:11]
	s_delay_alu instid0(VALU_DEP_4) | instskip(NEXT) | instid1(VALU_DEP_4)
	v_fma_f64 v[138:139], v[126:127], v[4:5], -v[138:139]
	v_fmac_f64_e32 v[140:141], v[128:129], v[4:5]
	ds_load_b128 v[4:7], v2 offset:1312
	ds_load_b128 v[126:129], v2 offset:1328
	v_fmac_f64_e32 v[142:143], v[132:133], v[8:9]
	v_fma_f64 v[8:9], v[130:131], v[8:9], -v[10:11]
	s_wait_loadcnt_dscnt 0x601
	v_mul_f64_e32 v[144:145], v[4:5], v[14:15]
	v_mul_f64_e32 v[14:15], v[6:7], v[14:15]
	s_wait_loadcnt_dscnt 0x500
	v_mul_f64_e32 v[132:133], v[126:127], v[108:109]
	v_mul_f64_e32 v[108:109], v[128:129], v[108:109]
	v_add_f64_e32 v[10:11], 0, v[138:139]
	v_add_f64_e32 v[130:131], 0, v[140:141]
	v_fmac_f64_e32 v[144:145], v[6:7], v[12:13]
	v_fma_f64 v[12:13], v[4:5], v[12:13], -v[14:15]
	v_fmac_f64_e32 v[132:133], v[128:129], v[106:107]
	v_fma_f64 v[106:107], v[126:127], v[106:107], -v[108:109]
	v_add_f64_e32 v[14:15], v[10:11], v[8:9]
	v_add_f64_e32 v[130:131], v[130:131], v[142:143]
	ds_load_b128 v[4:7], v2 offset:1344
	ds_load_b128 v[8:11], v2 offset:1360
	s_wait_loadcnt_dscnt 0x401
	v_mul_f64_e32 v[138:139], v[4:5], v[112:113]
	v_mul_f64_e32 v[112:113], v[6:7], v[112:113]
	s_wait_loadcnt_dscnt 0x300
	v_mul_f64_e32 v[108:109], v[8:9], v[116:117]
	v_mul_f64_e32 v[116:117], v[10:11], v[116:117]
	v_add_f64_e32 v[12:13], v[14:15], v[12:13]
	v_add_f64_e32 v[14:15], v[130:131], v[144:145]
	v_fmac_f64_e32 v[138:139], v[6:7], v[110:111]
	v_fma_f64 v[110:111], v[4:5], v[110:111], -v[112:113]
	v_fmac_f64_e32 v[108:109], v[10:11], v[114:115]
	v_fma_f64 v[8:9], v[8:9], v[114:115], -v[116:117]
	v_add_f64_e32 v[106:107], v[12:13], v[106:107]
	v_add_f64_e32 v[112:113], v[14:15], v[132:133]
	ds_load_b128 v[4:7], v2 offset:1376
	ds_load_b128 v[12:15], v2 offset:1392
	s_wait_loadcnt_dscnt 0x201
	v_mul_f64_e32 v[2:3], v[4:5], v[120:121]
	v_mul_f64_e32 v[120:121], v[6:7], v[120:121]
	v_add_f64_e32 v[10:11], v[106:107], v[110:111]
	v_add_f64_e32 v[106:107], v[112:113], v[138:139]
	s_wait_loadcnt_dscnt 0x100
	v_mul_f64_e32 v[110:111], v[12:13], v[124:125]
	v_mul_f64_e32 v[112:113], v[14:15], v[124:125]
	v_fmac_f64_e32 v[2:3], v[6:7], v[118:119]
	v_fma_f64 v[4:5], v[4:5], v[118:119], -v[120:121]
	v_add_f64_e32 v[6:7], v[10:11], v[8:9]
	v_add_f64_e32 v[8:9], v[106:107], v[108:109]
	v_fmac_f64_e32 v[110:111], v[14:15], v[122:123]
	v_fma_f64 v[10:11], v[12:13], v[122:123], -v[112:113]
	s_delay_alu instid0(VALU_DEP_4) | instskip(NEXT) | instid1(VALU_DEP_4)
	v_add_f64_e32 v[4:5], v[6:7], v[4:5]
	v_add_f64_e32 v[2:3], v[8:9], v[2:3]
	s_delay_alu instid0(VALU_DEP_2) | instskip(NEXT) | instid1(VALU_DEP_2)
	v_add_f64_e32 v[4:5], v[4:5], v[10:11]
	v_add_f64_e32 v[6:7], v[2:3], v[110:111]
	s_wait_loadcnt 0x0
	s_delay_alu instid0(VALU_DEP_2) | instskip(NEXT) | instid1(VALU_DEP_2)
	v_add_f64_e64 v[2:3], v[134:135], -v[4:5]
	v_add_f64_e64 v[4:5], v[136:137], -v[6:7]
	scratch_store_b128 off, v[2:5], off offset:560
	s_wait_xcnt 0x0
	v_cmpx_lt_u32_e32 34, v1
	s_cbranch_execz .LBB107_209
; %bb.208:
	scratch_load_b128 v[2:5], off, s25
	v_mov_b32_e32 v6, 0
	s_delay_alu instid0(VALU_DEP_1)
	v_dual_mov_b32 v7, v6 :: v_dual_mov_b32 v8, v6
	v_mov_b32_e32 v9, v6
	scratch_store_b128 off, v[6:9], off offset:544
	s_wait_loadcnt 0x0
	ds_store_b128 v104, v[2:5]
.LBB107_209:
	s_wait_xcnt 0x0
	s_or_b32 exec_lo, exec_lo, s2
	s_wait_storecnt_dscnt 0x0
	s_barrier_signal -1
	s_barrier_wait -1
	s_clause 0x8
	scratch_load_b128 v[4:7], off, off offset:560
	scratch_load_b128 v[8:11], off, off offset:576
	;; [unrolled: 1-line block ×9, first 2 shown]
	v_mov_b32_e32 v2, 0
	scratch_load_b128 v[134:137], off, off offset:544
	s_mov_b32 s2, exec_lo
	ds_load_b128 v[130:133], v2 offset:1264
	ds_load_b128 v[138:141], v2 offset:1280
	s_wait_loadcnt_dscnt 0x901
	v_mul_f64_e32 v[142:143], v[132:133], v[6:7]
	v_mul_f64_e32 v[144:145], v[130:131], v[6:7]
	s_wait_loadcnt_dscnt 0x800
	v_mul_f64_e32 v[146:147], v[138:139], v[10:11]
	v_mul_f64_e32 v[10:11], v[140:141], v[10:11]
	s_delay_alu instid0(VALU_DEP_4) | instskip(NEXT) | instid1(VALU_DEP_4)
	v_fma_f64 v[142:143], v[130:131], v[4:5], -v[142:143]
	v_fmac_f64_e32 v[144:145], v[132:133], v[4:5]
	ds_load_b128 v[4:7], v2 offset:1296
	ds_load_b128 v[130:133], v2 offset:1312
	v_fmac_f64_e32 v[146:147], v[140:141], v[8:9]
	v_fma_f64 v[8:9], v[138:139], v[8:9], -v[10:11]
	s_wait_loadcnt_dscnt 0x701
	v_mul_f64_e32 v[148:149], v[4:5], v[14:15]
	v_mul_f64_e32 v[14:15], v[6:7], v[14:15]
	s_wait_loadcnt_dscnt 0x600
	v_mul_f64_e32 v[140:141], v[130:131], v[108:109]
	v_mul_f64_e32 v[108:109], v[132:133], v[108:109]
	v_add_f64_e32 v[10:11], 0, v[142:143]
	v_add_f64_e32 v[138:139], 0, v[144:145]
	v_fmac_f64_e32 v[148:149], v[6:7], v[12:13]
	v_fma_f64 v[12:13], v[4:5], v[12:13], -v[14:15]
	v_fmac_f64_e32 v[140:141], v[132:133], v[106:107]
	v_fma_f64 v[106:107], v[130:131], v[106:107], -v[108:109]
	v_add_f64_e32 v[14:15], v[10:11], v[8:9]
	v_add_f64_e32 v[138:139], v[138:139], v[146:147]
	ds_load_b128 v[4:7], v2 offset:1328
	ds_load_b128 v[8:11], v2 offset:1344
	s_wait_loadcnt_dscnt 0x501
	v_mul_f64_e32 v[142:143], v[4:5], v[112:113]
	v_mul_f64_e32 v[112:113], v[6:7], v[112:113]
	s_wait_loadcnt_dscnt 0x400
	v_mul_f64_e32 v[108:109], v[8:9], v[116:117]
	v_mul_f64_e32 v[116:117], v[10:11], v[116:117]
	v_add_f64_e32 v[12:13], v[14:15], v[12:13]
	v_add_f64_e32 v[14:15], v[138:139], v[148:149]
	v_fmac_f64_e32 v[142:143], v[6:7], v[110:111]
	v_fma_f64 v[110:111], v[4:5], v[110:111], -v[112:113]
	v_fmac_f64_e32 v[108:109], v[10:11], v[114:115]
	v_fma_f64 v[8:9], v[8:9], v[114:115], -v[116:117]
	v_add_f64_e32 v[106:107], v[12:13], v[106:107]
	v_add_f64_e32 v[112:113], v[14:15], v[140:141]
	ds_load_b128 v[4:7], v2 offset:1360
	ds_load_b128 v[12:15], v2 offset:1376
	s_wait_loadcnt_dscnt 0x301
	v_mul_f64_e32 v[130:131], v[4:5], v[120:121]
	v_mul_f64_e32 v[120:121], v[6:7], v[120:121]
	v_add_f64_e32 v[10:11], v[106:107], v[110:111]
	v_add_f64_e32 v[106:107], v[112:113], v[142:143]
	s_wait_loadcnt_dscnt 0x200
	v_mul_f64_e32 v[110:111], v[12:13], v[124:125]
	v_mul_f64_e32 v[112:113], v[14:15], v[124:125]
	v_fmac_f64_e32 v[130:131], v[6:7], v[118:119]
	v_fma_f64 v[114:115], v[4:5], v[118:119], -v[120:121]
	ds_load_b128 v[4:7], v2 offset:1392
	v_add_f64_e32 v[8:9], v[10:11], v[8:9]
	v_add_f64_e32 v[10:11], v[106:107], v[108:109]
	v_fmac_f64_e32 v[110:111], v[14:15], v[122:123]
	v_fma_f64 v[12:13], v[12:13], v[122:123], -v[112:113]
	s_wait_loadcnt_dscnt 0x100
	v_mul_f64_e32 v[106:107], v[4:5], v[128:129]
	v_mul_f64_e32 v[108:109], v[6:7], v[128:129]
	v_add_f64_e32 v[8:9], v[8:9], v[114:115]
	v_add_f64_e32 v[10:11], v[10:11], v[130:131]
	s_delay_alu instid0(VALU_DEP_4) | instskip(NEXT) | instid1(VALU_DEP_4)
	v_fmac_f64_e32 v[106:107], v[6:7], v[126:127]
	v_fma_f64 v[4:5], v[4:5], v[126:127], -v[108:109]
	s_delay_alu instid0(VALU_DEP_4) | instskip(NEXT) | instid1(VALU_DEP_4)
	v_add_f64_e32 v[6:7], v[8:9], v[12:13]
	v_add_f64_e32 v[8:9], v[10:11], v[110:111]
	s_delay_alu instid0(VALU_DEP_2) | instskip(NEXT) | instid1(VALU_DEP_2)
	v_add_f64_e32 v[4:5], v[6:7], v[4:5]
	v_add_f64_e32 v[6:7], v[8:9], v[106:107]
	s_wait_loadcnt 0x0
	s_delay_alu instid0(VALU_DEP_2) | instskip(NEXT) | instid1(VALU_DEP_2)
	v_add_f64_e64 v[4:5], v[134:135], -v[4:5]
	v_add_f64_e64 v[6:7], v[136:137], -v[6:7]
	scratch_store_b128 off, v[4:7], off offset:544
	s_wait_xcnt 0x0
	v_cmpx_lt_u32_e32 33, v1
	s_cbranch_execz .LBB107_211
; %bb.210:
	scratch_load_b128 v[6:9], off, s26
	v_dual_mov_b32 v3, v2 :: v_dual_mov_b32 v4, v2
	v_mov_b32_e32 v5, v2
	scratch_store_b128 off, v[2:5], off offset:528
	s_wait_loadcnt 0x0
	ds_store_b128 v104, v[6:9]
.LBB107_211:
	s_wait_xcnt 0x0
	s_or_b32 exec_lo, exec_lo, s2
	s_wait_storecnt_dscnt 0x0
	s_barrier_signal -1
	s_barrier_wait -1
	s_clause 0x9
	scratch_load_b128 v[4:7], off, off offset:544
	scratch_load_b128 v[8:11], off, off offset:560
	;; [unrolled: 1-line block ×10, first 2 shown]
	ds_load_b128 v[134:137], v2 offset:1248
	ds_load_b128 v[138:141], v2 offset:1264
	scratch_load_b128 v[142:145], off, off offset:528
	s_mov_b32 s2, exec_lo
	s_wait_loadcnt_dscnt 0xa01
	v_mul_f64_e32 v[146:147], v[136:137], v[6:7]
	v_mul_f64_e32 v[148:149], v[134:135], v[6:7]
	s_wait_loadcnt_dscnt 0x900
	v_mul_f64_e32 v[150:151], v[138:139], v[10:11]
	v_mul_f64_e32 v[10:11], v[140:141], v[10:11]
	s_delay_alu instid0(VALU_DEP_4) | instskip(NEXT) | instid1(VALU_DEP_4)
	v_fma_f64 v[146:147], v[134:135], v[4:5], -v[146:147]
	v_fmac_f64_e32 v[148:149], v[136:137], v[4:5]
	ds_load_b128 v[4:7], v2 offset:1280
	ds_load_b128 v[134:137], v2 offset:1296
	v_fmac_f64_e32 v[150:151], v[140:141], v[8:9]
	v_fma_f64 v[8:9], v[138:139], v[8:9], -v[10:11]
	s_wait_loadcnt_dscnt 0x801
	v_mul_f64_e32 v[152:153], v[4:5], v[14:15]
	v_mul_f64_e32 v[14:15], v[6:7], v[14:15]
	s_wait_loadcnt_dscnt 0x700
	v_mul_f64_e32 v[140:141], v[134:135], v[108:109]
	v_mul_f64_e32 v[108:109], v[136:137], v[108:109]
	v_add_f64_e32 v[10:11], 0, v[146:147]
	v_add_f64_e32 v[138:139], 0, v[148:149]
	v_fmac_f64_e32 v[152:153], v[6:7], v[12:13]
	v_fma_f64 v[12:13], v[4:5], v[12:13], -v[14:15]
	v_fmac_f64_e32 v[140:141], v[136:137], v[106:107]
	v_fma_f64 v[106:107], v[134:135], v[106:107], -v[108:109]
	v_add_f64_e32 v[14:15], v[10:11], v[8:9]
	v_add_f64_e32 v[138:139], v[138:139], v[150:151]
	ds_load_b128 v[4:7], v2 offset:1312
	ds_load_b128 v[8:11], v2 offset:1328
	s_wait_loadcnt_dscnt 0x601
	v_mul_f64_e32 v[146:147], v[4:5], v[112:113]
	v_mul_f64_e32 v[112:113], v[6:7], v[112:113]
	s_wait_loadcnt_dscnt 0x500
	v_mul_f64_e32 v[108:109], v[8:9], v[116:117]
	v_mul_f64_e32 v[116:117], v[10:11], v[116:117]
	v_add_f64_e32 v[12:13], v[14:15], v[12:13]
	v_add_f64_e32 v[14:15], v[138:139], v[152:153]
	v_fmac_f64_e32 v[146:147], v[6:7], v[110:111]
	v_fma_f64 v[110:111], v[4:5], v[110:111], -v[112:113]
	v_fmac_f64_e32 v[108:109], v[10:11], v[114:115]
	v_fma_f64 v[8:9], v[8:9], v[114:115], -v[116:117]
	v_add_f64_e32 v[106:107], v[12:13], v[106:107]
	v_add_f64_e32 v[112:113], v[14:15], v[140:141]
	ds_load_b128 v[4:7], v2 offset:1344
	ds_load_b128 v[12:15], v2 offset:1360
	s_wait_loadcnt_dscnt 0x401
	v_mul_f64_e32 v[134:135], v[4:5], v[120:121]
	v_mul_f64_e32 v[120:121], v[6:7], v[120:121]
	v_add_f64_e32 v[10:11], v[106:107], v[110:111]
	v_add_f64_e32 v[106:107], v[112:113], v[146:147]
	s_wait_loadcnt_dscnt 0x300
	v_mul_f64_e32 v[110:111], v[12:13], v[124:125]
	v_mul_f64_e32 v[112:113], v[14:15], v[124:125]
	v_fmac_f64_e32 v[134:135], v[6:7], v[118:119]
	v_fma_f64 v[114:115], v[4:5], v[118:119], -v[120:121]
	v_add_f64_e32 v[116:117], v[10:11], v[8:9]
	v_add_f64_e32 v[106:107], v[106:107], v[108:109]
	ds_load_b128 v[4:7], v2 offset:1376
	ds_load_b128 v[8:11], v2 offset:1392
	v_fmac_f64_e32 v[110:111], v[14:15], v[122:123]
	v_fma_f64 v[12:13], v[12:13], v[122:123], -v[112:113]
	s_wait_loadcnt_dscnt 0x201
	v_mul_f64_e32 v[2:3], v[4:5], v[128:129]
	v_mul_f64_e32 v[108:109], v[6:7], v[128:129]
	s_wait_loadcnt_dscnt 0x100
	v_mul_f64_e32 v[112:113], v[8:9], v[132:133]
	v_add_f64_e32 v[14:15], v[116:117], v[114:115]
	v_add_f64_e32 v[106:107], v[106:107], v[134:135]
	v_mul_f64_e32 v[114:115], v[10:11], v[132:133]
	v_fmac_f64_e32 v[2:3], v[6:7], v[126:127]
	v_fma_f64 v[4:5], v[4:5], v[126:127], -v[108:109]
	v_fmac_f64_e32 v[112:113], v[10:11], v[130:131]
	v_add_f64_e32 v[6:7], v[14:15], v[12:13]
	v_add_f64_e32 v[12:13], v[106:107], v[110:111]
	v_fma_f64 v[8:9], v[8:9], v[130:131], -v[114:115]
	s_delay_alu instid0(VALU_DEP_3) | instskip(NEXT) | instid1(VALU_DEP_3)
	v_add_f64_e32 v[4:5], v[6:7], v[4:5]
	v_add_f64_e32 v[2:3], v[12:13], v[2:3]
	s_delay_alu instid0(VALU_DEP_2) | instskip(NEXT) | instid1(VALU_DEP_2)
	v_add_f64_e32 v[4:5], v[4:5], v[8:9]
	v_add_f64_e32 v[6:7], v[2:3], v[112:113]
	s_wait_loadcnt 0x0
	s_delay_alu instid0(VALU_DEP_2) | instskip(NEXT) | instid1(VALU_DEP_2)
	v_add_f64_e64 v[2:3], v[142:143], -v[4:5]
	v_add_f64_e64 v[4:5], v[144:145], -v[6:7]
	scratch_store_b128 off, v[2:5], off offset:528
	s_wait_xcnt 0x0
	v_cmpx_lt_u32_e32 32, v1
	s_cbranch_execz .LBB107_213
; %bb.212:
	scratch_load_b128 v[2:5], off, s27
	v_mov_b32_e32 v6, 0
	s_delay_alu instid0(VALU_DEP_1)
	v_dual_mov_b32 v7, v6 :: v_dual_mov_b32 v8, v6
	v_mov_b32_e32 v9, v6
	scratch_store_b128 off, v[6:9], off offset:512
	s_wait_loadcnt 0x0
	ds_store_b128 v104, v[2:5]
.LBB107_213:
	s_wait_xcnt 0x0
	s_or_b32 exec_lo, exec_lo, s2
	s_wait_storecnt_dscnt 0x0
	s_barrier_signal -1
	s_barrier_wait -1
	s_clause 0x9
	scratch_load_b128 v[4:7], off, off offset:528
	scratch_load_b128 v[8:11], off, off offset:544
	;; [unrolled: 1-line block ×10, first 2 shown]
	v_mov_b32_e32 v2, 0
	s_mov_b32 s2, exec_lo
	ds_load_b128 v[134:137], v2 offset:1232
	s_clause 0x1
	scratch_load_b128 v[138:141], off, off offset:688
	scratch_load_b128 v[142:145], off, off offset:512
	s_wait_loadcnt_dscnt 0xb00
	v_mul_f64_e32 v[150:151], v[136:137], v[6:7]
	v_mul_f64_e32 v[152:153], v[134:135], v[6:7]
	ds_load_b128 v[146:149], v2 offset:1248
	s_wait_loadcnt_dscnt 0xa00
	v_mul_f64_e32 v[154:155], v[146:147], v[10:11]
	v_mul_f64_e32 v[10:11], v[148:149], v[10:11]
	v_fma_f64 v[150:151], v[134:135], v[4:5], -v[150:151]
	v_fmac_f64_e32 v[152:153], v[136:137], v[4:5]
	ds_load_b128 v[4:7], v2 offset:1264
	ds_load_b128 v[134:137], v2 offset:1280
	s_wait_loadcnt_dscnt 0x901
	v_mul_f64_e32 v[156:157], v[4:5], v[14:15]
	v_mul_f64_e32 v[14:15], v[6:7], v[14:15]
	v_fmac_f64_e32 v[154:155], v[148:149], v[8:9]
	v_fma_f64 v[8:9], v[146:147], v[8:9], -v[10:11]
	s_wait_loadcnt_dscnt 0x800
	v_mul_f64_e32 v[148:149], v[134:135], v[108:109]
	v_mul_f64_e32 v[108:109], v[136:137], v[108:109]
	v_add_f64_e32 v[10:11], 0, v[150:151]
	v_add_f64_e32 v[146:147], 0, v[152:153]
	v_fmac_f64_e32 v[156:157], v[6:7], v[12:13]
	v_fma_f64 v[12:13], v[4:5], v[12:13], -v[14:15]
	v_fmac_f64_e32 v[148:149], v[136:137], v[106:107]
	v_fma_f64 v[106:107], v[134:135], v[106:107], -v[108:109]
	v_add_f64_e32 v[14:15], v[10:11], v[8:9]
	v_add_f64_e32 v[146:147], v[146:147], v[154:155]
	ds_load_b128 v[4:7], v2 offset:1296
	ds_load_b128 v[8:11], v2 offset:1312
	s_wait_loadcnt_dscnt 0x701
	v_mul_f64_e32 v[150:151], v[4:5], v[112:113]
	v_mul_f64_e32 v[112:113], v[6:7], v[112:113]
	s_wait_loadcnt_dscnt 0x600
	v_mul_f64_e32 v[108:109], v[8:9], v[116:117]
	v_mul_f64_e32 v[116:117], v[10:11], v[116:117]
	v_add_f64_e32 v[12:13], v[14:15], v[12:13]
	v_add_f64_e32 v[14:15], v[146:147], v[156:157]
	v_fmac_f64_e32 v[150:151], v[6:7], v[110:111]
	v_fma_f64 v[110:111], v[4:5], v[110:111], -v[112:113]
	v_fmac_f64_e32 v[108:109], v[10:11], v[114:115]
	v_fma_f64 v[8:9], v[8:9], v[114:115], -v[116:117]
	v_add_f64_e32 v[106:107], v[12:13], v[106:107]
	v_add_f64_e32 v[112:113], v[14:15], v[148:149]
	ds_load_b128 v[4:7], v2 offset:1328
	ds_load_b128 v[12:15], v2 offset:1344
	s_wait_loadcnt_dscnt 0x501
	v_mul_f64_e32 v[134:135], v[4:5], v[120:121]
	v_mul_f64_e32 v[120:121], v[6:7], v[120:121]
	v_add_f64_e32 v[10:11], v[106:107], v[110:111]
	v_add_f64_e32 v[106:107], v[112:113], v[150:151]
	s_wait_loadcnt_dscnt 0x400
	v_mul_f64_e32 v[110:111], v[12:13], v[124:125]
	v_mul_f64_e32 v[112:113], v[14:15], v[124:125]
	v_fmac_f64_e32 v[134:135], v[6:7], v[118:119]
	v_fma_f64 v[114:115], v[4:5], v[118:119], -v[120:121]
	v_add_f64_e32 v[116:117], v[10:11], v[8:9]
	v_add_f64_e32 v[106:107], v[106:107], v[108:109]
	ds_load_b128 v[4:7], v2 offset:1360
	ds_load_b128 v[8:11], v2 offset:1376
	v_fmac_f64_e32 v[110:111], v[14:15], v[122:123]
	v_fma_f64 v[12:13], v[12:13], v[122:123], -v[112:113]
	s_wait_loadcnt_dscnt 0x301
	v_mul_f64_e32 v[108:109], v[4:5], v[128:129]
	v_mul_f64_e32 v[118:119], v[6:7], v[128:129]
	s_wait_loadcnt_dscnt 0x200
	v_mul_f64_e32 v[112:113], v[8:9], v[132:133]
	v_add_f64_e32 v[14:15], v[116:117], v[114:115]
	v_add_f64_e32 v[106:107], v[106:107], v[134:135]
	v_mul_f64_e32 v[114:115], v[10:11], v[132:133]
	v_fmac_f64_e32 v[108:109], v[6:7], v[126:127]
	v_fma_f64 v[116:117], v[4:5], v[126:127], -v[118:119]
	ds_load_b128 v[4:7], v2 offset:1392
	v_fmac_f64_e32 v[112:113], v[10:11], v[130:131]
	v_add_f64_e32 v[12:13], v[14:15], v[12:13]
	v_add_f64_e32 v[14:15], v[106:107], v[110:111]
	v_fma_f64 v[8:9], v[8:9], v[130:131], -v[114:115]
	s_wait_loadcnt_dscnt 0x100
	v_mul_f64_e32 v[106:107], v[4:5], v[140:141]
	v_mul_f64_e32 v[110:111], v[6:7], v[140:141]
	v_add_f64_e32 v[10:11], v[12:13], v[116:117]
	v_add_f64_e32 v[12:13], v[14:15], v[108:109]
	s_delay_alu instid0(VALU_DEP_4) | instskip(NEXT) | instid1(VALU_DEP_4)
	v_fmac_f64_e32 v[106:107], v[6:7], v[138:139]
	v_fma_f64 v[4:5], v[4:5], v[138:139], -v[110:111]
	s_delay_alu instid0(VALU_DEP_4) | instskip(NEXT) | instid1(VALU_DEP_4)
	v_add_f64_e32 v[6:7], v[10:11], v[8:9]
	v_add_f64_e32 v[8:9], v[12:13], v[112:113]
	s_delay_alu instid0(VALU_DEP_2) | instskip(NEXT) | instid1(VALU_DEP_2)
	v_add_f64_e32 v[4:5], v[6:7], v[4:5]
	v_add_f64_e32 v[6:7], v[8:9], v[106:107]
	s_wait_loadcnt 0x0
	s_delay_alu instid0(VALU_DEP_2) | instskip(NEXT) | instid1(VALU_DEP_2)
	v_add_f64_e64 v[4:5], v[142:143], -v[4:5]
	v_add_f64_e64 v[6:7], v[144:145], -v[6:7]
	scratch_store_b128 off, v[4:7], off offset:512
	s_wait_xcnt 0x0
	v_cmpx_lt_u32_e32 31, v1
	s_cbranch_execz .LBB107_215
; %bb.214:
	scratch_load_b128 v[6:9], off, s28
	v_dual_mov_b32 v3, v2 :: v_dual_mov_b32 v4, v2
	v_mov_b32_e32 v5, v2
	scratch_store_b128 off, v[2:5], off offset:496
	s_wait_loadcnt 0x0
	ds_store_b128 v104, v[6:9]
.LBB107_215:
	s_wait_xcnt 0x0
	s_or_b32 exec_lo, exec_lo, s2
	s_wait_storecnt_dscnt 0x0
	s_barrier_signal -1
	s_barrier_wait -1
	s_clause 0x9
	scratch_load_b128 v[4:7], off, off offset:512
	scratch_load_b128 v[8:11], off, off offset:528
	;; [unrolled: 1-line block ×10, first 2 shown]
	ds_load_b128 v[134:137], v2 offset:1216
	ds_load_b128 v[142:145], v2 offset:1232
	s_clause 0x2
	scratch_load_b128 v[138:141], off, off offset:672
	scratch_load_b128 v[146:149], off, off offset:496
	;; [unrolled: 1-line block ×3, first 2 shown]
	s_mov_b32 s2, exec_lo
	s_wait_loadcnt_dscnt 0xc01
	v_mul_f64_e32 v[154:155], v[136:137], v[6:7]
	v_mul_f64_e32 v[156:157], v[134:135], v[6:7]
	s_wait_loadcnt_dscnt 0xb00
	v_mul_f64_e32 v[158:159], v[142:143], v[10:11]
	v_mul_f64_e32 v[10:11], v[144:145], v[10:11]
	s_delay_alu instid0(VALU_DEP_4) | instskip(NEXT) | instid1(VALU_DEP_4)
	v_fma_f64 v[154:155], v[134:135], v[4:5], -v[154:155]
	v_fmac_f64_e32 v[156:157], v[136:137], v[4:5]
	ds_load_b128 v[4:7], v2 offset:1248
	ds_load_b128 v[134:137], v2 offset:1264
	v_fmac_f64_e32 v[158:159], v[144:145], v[8:9]
	v_fma_f64 v[8:9], v[142:143], v[8:9], -v[10:11]
	s_wait_loadcnt_dscnt 0xa01
	v_mul_f64_e32 v[160:161], v[4:5], v[14:15]
	v_mul_f64_e32 v[14:15], v[6:7], v[14:15]
	s_wait_loadcnt_dscnt 0x900
	v_mul_f64_e32 v[144:145], v[134:135], v[108:109]
	v_mul_f64_e32 v[108:109], v[136:137], v[108:109]
	v_add_f64_e32 v[10:11], 0, v[154:155]
	v_add_f64_e32 v[142:143], 0, v[156:157]
	v_fmac_f64_e32 v[160:161], v[6:7], v[12:13]
	v_fma_f64 v[12:13], v[4:5], v[12:13], -v[14:15]
	v_fmac_f64_e32 v[144:145], v[136:137], v[106:107]
	v_fma_f64 v[106:107], v[134:135], v[106:107], -v[108:109]
	v_add_f64_e32 v[14:15], v[10:11], v[8:9]
	v_add_f64_e32 v[142:143], v[142:143], v[158:159]
	ds_load_b128 v[4:7], v2 offset:1280
	ds_load_b128 v[8:11], v2 offset:1296
	s_wait_loadcnt_dscnt 0x801
	v_mul_f64_e32 v[154:155], v[4:5], v[112:113]
	v_mul_f64_e32 v[112:113], v[6:7], v[112:113]
	s_wait_loadcnt_dscnt 0x700
	v_mul_f64_e32 v[108:109], v[8:9], v[116:117]
	v_mul_f64_e32 v[116:117], v[10:11], v[116:117]
	v_add_f64_e32 v[12:13], v[14:15], v[12:13]
	v_add_f64_e32 v[14:15], v[142:143], v[160:161]
	v_fmac_f64_e32 v[154:155], v[6:7], v[110:111]
	v_fma_f64 v[110:111], v[4:5], v[110:111], -v[112:113]
	v_fmac_f64_e32 v[108:109], v[10:11], v[114:115]
	v_fma_f64 v[8:9], v[8:9], v[114:115], -v[116:117]
	v_add_f64_e32 v[106:107], v[12:13], v[106:107]
	v_add_f64_e32 v[112:113], v[14:15], v[144:145]
	ds_load_b128 v[4:7], v2 offset:1312
	ds_load_b128 v[12:15], v2 offset:1328
	s_wait_loadcnt_dscnt 0x601
	v_mul_f64_e32 v[134:135], v[4:5], v[120:121]
	v_mul_f64_e32 v[120:121], v[6:7], v[120:121]
	v_add_f64_e32 v[10:11], v[106:107], v[110:111]
	v_add_f64_e32 v[106:107], v[112:113], v[154:155]
	s_wait_loadcnt_dscnt 0x500
	v_mul_f64_e32 v[110:111], v[12:13], v[124:125]
	v_mul_f64_e32 v[112:113], v[14:15], v[124:125]
	v_fmac_f64_e32 v[134:135], v[6:7], v[118:119]
	v_fma_f64 v[114:115], v[4:5], v[118:119], -v[120:121]
	v_add_f64_e32 v[116:117], v[10:11], v[8:9]
	v_add_f64_e32 v[106:107], v[106:107], v[108:109]
	ds_load_b128 v[4:7], v2 offset:1344
	ds_load_b128 v[8:11], v2 offset:1360
	v_fmac_f64_e32 v[110:111], v[14:15], v[122:123]
	v_fma_f64 v[12:13], v[12:13], v[122:123], -v[112:113]
	s_wait_loadcnt_dscnt 0x401
	v_mul_f64_e32 v[108:109], v[4:5], v[128:129]
	v_mul_f64_e32 v[118:119], v[6:7], v[128:129]
	s_wait_loadcnt_dscnt 0x300
	v_mul_f64_e32 v[112:113], v[8:9], v[132:133]
	v_add_f64_e32 v[14:15], v[116:117], v[114:115]
	v_add_f64_e32 v[106:107], v[106:107], v[134:135]
	v_mul_f64_e32 v[114:115], v[10:11], v[132:133]
	v_fmac_f64_e32 v[108:109], v[6:7], v[126:127]
	v_fma_f64 v[116:117], v[4:5], v[126:127], -v[118:119]
	v_fmac_f64_e32 v[112:113], v[10:11], v[130:131]
	v_add_f64_e32 v[118:119], v[14:15], v[12:13]
	v_add_f64_e32 v[106:107], v[106:107], v[110:111]
	ds_load_b128 v[4:7], v2 offset:1376
	ds_load_b128 v[12:15], v2 offset:1392
	v_fma_f64 v[8:9], v[8:9], v[130:131], -v[114:115]
	s_wait_loadcnt_dscnt 0x201
	v_mul_f64_e32 v[2:3], v[4:5], v[140:141]
	v_mul_f64_e32 v[110:111], v[6:7], v[140:141]
	s_wait_loadcnt_dscnt 0x0
	v_mul_f64_e32 v[114:115], v[14:15], v[152:153]
	v_add_f64_e32 v[10:11], v[118:119], v[116:117]
	v_add_f64_e32 v[106:107], v[106:107], v[108:109]
	v_mul_f64_e32 v[108:109], v[12:13], v[152:153]
	v_fmac_f64_e32 v[2:3], v[6:7], v[138:139]
	v_fma_f64 v[4:5], v[4:5], v[138:139], -v[110:111]
	v_add_f64_e32 v[6:7], v[10:11], v[8:9]
	v_add_f64_e32 v[8:9], v[106:107], v[112:113]
	v_fmac_f64_e32 v[108:109], v[14:15], v[150:151]
	v_fma_f64 v[10:11], v[12:13], v[150:151], -v[114:115]
	s_delay_alu instid0(VALU_DEP_4) | instskip(NEXT) | instid1(VALU_DEP_4)
	v_add_f64_e32 v[4:5], v[6:7], v[4:5]
	v_add_f64_e32 v[2:3], v[8:9], v[2:3]
	s_delay_alu instid0(VALU_DEP_2) | instskip(NEXT) | instid1(VALU_DEP_2)
	v_add_f64_e32 v[4:5], v[4:5], v[10:11]
	v_add_f64_e32 v[6:7], v[2:3], v[108:109]
	s_delay_alu instid0(VALU_DEP_2) | instskip(NEXT) | instid1(VALU_DEP_2)
	v_add_f64_e64 v[2:3], v[146:147], -v[4:5]
	v_add_f64_e64 v[4:5], v[148:149], -v[6:7]
	scratch_store_b128 off, v[2:5], off offset:496
	s_wait_xcnt 0x0
	v_cmpx_lt_u32_e32 30, v1
	s_cbranch_execz .LBB107_217
; %bb.216:
	scratch_load_b128 v[2:5], off, s29
	v_mov_b32_e32 v6, 0
	s_delay_alu instid0(VALU_DEP_1)
	v_dual_mov_b32 v7, v6 :: v_dual_mov_b32 v8, v6
	v_mov_b32_e32 v9, v6
	scratch_store_b128 off, v[6:9], off offset:480
	s_wait_loadcnt 0x0
	ds_store_b128 v104, v[2:5]
.LBB107_217:
	s_wait_xcnt 0x0
	s_or_b32 exec_lo, exec_lo, s2
	s_wait_storecnt_dscnt 0x0
	s_barrier_signal -1
	s_barrier_wait -1
	s_clause 0x9
	scratch_load_b128 v[4:7], off, off offset:496
	scratch_load_b128 v[8:11], off, off offset:512
	;; [unrolled: 1-line block ×10, first 2 shown]
	v_mov_b32_e32 v2, 0
	s_mov_b32 s2, exec_lo
	ds_load_b128 v[134:137], v2 offset:1200
	s_clause 0x2
	scratch_load_b128 v[138:141], off, off offset:656
	scratch_load_b128 v[142:145], off, off offset:480
	;; [unrolled: 1-line block ×3, first 2 shown]
	s_wait_loadcnt_dscnt 0xc00
	v_mul_f64_e32 v[154:155], v[136:137], v[6:7]
	v_mul_f64_e32 v[158:159], v[134:135], v[6:7]
	ds_load_b128 v[146:149], v2 offset:1216
	v_fma_f64 v[162:163], v[134:135], v[4:5], -v[154:155]
	v_fmac_f64_e32 v[158:159], v[136:137], v[4:5]
	ds_load_b128 v[4:7], v2 offset:1232
	s_wait_loadcnt_dscnt 0xb01
	v_mul_f64_e32 v[160:161], v[146:147], v[10:11]
	v_mul_f64_e32 v[10:11], v[148:149], v[10:11]
	scratch_load_b128 v[134:137], off, off offset:688
	ds_load_b128 v[154:157], v2 offset:1248
	s_wait_loadcnt_dscnt 0xb01
	v_mul_f64_e32 v[164:165], v[4:5], v[14:15]
	v_mul_f64_e32 v[14:15], v[6:7], v[14:15]
	v_fmac_f64_e32 v[160:161], v[148:149], v[8:9]
	v_fma_f64 v[8:9], v[146:147], v[8:9], -v[10:11]
	v_add_f64_e32 v[10:11], 0, v[162:163]
	v_add_f64_e32 v[146:147], 0, v[158:159]
	s_wait_loadcnt_dscnt 0xa00
	v_mul_f64_e32 v[148:149], v[154:155], v[108:109]
	v_mul_f64_e32 v[108:109], v[156:157], v[108:109]
	v_fmac_f64_e32 v[164:165], v[6:7], v[12:13]
	v_fma_f64 v[12:13], v[4:5], v[12:13], -v[14:15]
	v_add_f64_e32 v[14:15], v[10:11], v[8:9]
	v_add_f64_e32 v[146:147], v[146:147], v[160:161]
	ds_load_b128 v[4:7], v2 offset:1264
	ds_load_b128 v[8:11], v2 offset:1280
	v_fmac_f64_e32 v[148:149], v[156:157], v[106:107]
	v_fma_f64 v[106:107], v[154:155], v[106:107], -v[108:109]
	s_wait_loadcnt_dscnt 0x901
	v_mul_f64_e32 v[158:159], v[4:5], v[112:113]
	v_mul_f64_e32 v[112:113], v[6:7], v[112:113]
	s_wait_loadcnt_dscnt 0x800
	v_mul_f64_e32 v[108:109], v[8:9], v[116:117]
	v_mul_f64_e32 v[116:117], v[10:11], v[116:117]
	v_add_f64_e32 v[12:13], v[14:15], v[12:13]
	v_add_f64_e32 v[14:15], v[146:147], v[164:165]
	v_fmac_f64_e32 v[158:159], v[6:7], v[110:111]
	v_fma_f64 v[110:111], v[4:5], v[110:111], -v[112:113]
	v_fmac_f64_e32 v[108:109], v[10:11], v[114:115]
	v_fma_f64 v[8:9], v[8:9], v[114:115], -v[116:117]
	v_add_f64_e32 v[106:107], v[12:13], v[106:107]
	v_add_f64_e32 v[112:113], v[14:15], v[148:149]
	ds_load_b128 v[4:7], v2 offset:1296
	ds_load_b128 v[12:15], v2 offset:1312
	s_wait_loadcnt_dscnt 0x701
	v_mul_f64_e32 v[146:147], v[4:5], v[120:121]
	v_mul_f64_e32 v[120:121], v[6:7], v[120:121]
	v_add_f64_e32 v[10:11], v[106:107], v[110:111]
	v_add_f64_e32 v[106:107], v[112:113], v[158:159]
	s_wait_loadcnt_dscnt 0x600
	v_mul_f64_e32 v[110:111], v[12:13], v[124:125]
	v_mul_f64_e32 v[112:113], v[14:15], v[124:125]
	v_fmac_f64_e32 v[146:147], v[6:7], v[118:119]
	v_fma_f64 v[114:115], v[4:5], v[118:119], -v[120:121]
	v_add_f64_e32 v[116:117], v[10:11], v[8:9]
	v_add_f64_e32 v[106:107], v[106:107], v[108:109]
	ds_load_b128 v[4:7], v2 offset:1328
	ds_load_b128 v[8:11], v2 offset:1344
	v_fmac_f64_e32 v[110:111], v[14:15], v[122:123]
	v_fma_f64 v[12:13], v[12:13], v[122:123], -v[112:113]
	s_wait_loadcnt_dscnt 0x501
	v_mul_f64_e32 v[108:109], v[4:5], v[128:129]
	v_mul_f64_e32 v[118:119], v[6:7], v[128:129]
	s_wait_loadcnt_dscnt 0x400
	v_mul_f64_e32 v[112:113], v[8:9], v[132:133]
	v_add_f64_e32 v[14:15], v[116:117], v[114:115]
	v_add_f64_e32 v[106:107], v[106:107], v[146:147]
	v_mul_f64_e32 v[114:115], v[10:11], v[132:133]
	v_fmac_f64_e32 v[108:109], v[6:7], v[126:127]
	v_fma_f64 v[116:117], v[4:5], v[126:127], -v[118:119]
	v_fmac_f64_e32 v[112:113], v[10:11], v[130:131]
	v_add_f64_e32 v[118:119], v[14:15], v[12:13]
	v_add_f64_e32 v[106:107], v[106:107], v[110:111]
	ds_load_b128 v[4:7], v2 offset:1360
	ds_load_b128 v[12:15], v2 offset:1376
	v_fma_f64 v[8:9], v[8:9], v[130:131], -v[114:115]
	s_wait_loadcnt_dscnt 0x301
	v_mul_f64_e32 v[110:111], v[4:5], v[140:141]
	v_mul_f64_e32 v[120:121], v[6:7], v[140:141]
	s_wait_loadcnt_dscnt 0x100
	v_mul_f64_e32 v[114:115], v[14:15], v[152:153]
	v_add_f64_e32 v[10:11], v[118:119], v[116:117]
	v_add_f64_e32 v[106:107], v[106:107], v[108:109]
	v_mul_f64_e32 v[108:109], v[12:13], v[152:153]
	v_fmac_f64_e32 v[110:111], v[6:7], v[138:139]
	v_fma_f64 v[116:117], v[4:5], v[138:139], -v[120:121]
	ds_load_b128 v[4:7], v2 offset:1392
	v_fma_f64 v[12:13], v[12:13], v[150:151], -v[114:115]
	v_add_f64_e32 v[8:9], v[10:11], v[8:9]
	v_add_f64_e32 v[10:11], v[106:107], v[112:113]
	v_fmac_f64_e32 v[108:109], v[14:15], v[150:151]
	s_wait_loadcnt_dscnt 0x0
	v_mul_f64_e32 v[106:107], v[4:5], v[136:137]
	v_mul_f64_e32 v[112:113], v[6:7], v[136:137]
	v_add_f64_e32 v[8:9], v[8:9], v[116:117]
	v_add_f64_e32 v[10:11], v[10:11], v[110:111]
	s_delay_alu instid0(VALU_DEP_4) | instskip(NEXT) | instid1(VALU_DEP_4)
	v_fmac_f64_e32 v[106:107], v[6:7], v[134:135]
	v_fma_f64 v[4:5], v[4:5], v[134:135], -v[112:113]
	s_delay_alu instid0(VALU_DEP_4) | instskip(NEXT) | instid1(VALU_DEP_4)
	v_add_f64_e32 v[6:7], v[8:9], v[12:13]
	v_add_f64_e32 v[8:9], v[10:11], v[108:109]
	s_delay_alu instid0(VALU_DEP_2) | instskip(NEXT) | instid1(VALU_DEP_2)
	v_add_f64_e32 v[4:5], v[6:7], v[4:5]
	v_add_f64_e32 v[6:7], v[8:9], v[106:107]
	s_delay_alu instid0(VALU_DEP_2) | instskip(NEXT) | instid1(VALU_DEP_2)
	v_add_f64_e64 v[4:5], v[142:143], -v[4:5]
	v_add_f64_e64 v[6:7], v[144:145], -v[6:7]
	scratch_store_b128 off, v[4:7], off offset:480
	s_wait_xcnt 0x0
	v_cmpx_lt_u32_e32 29, v1
	s_cbranch_execz .LBB107_219
; %bb.218:
	scratch_load_b128 v[6:9], off, s30
	v_dual_mov_b32 v3, v2 :: v_dual_mov_b32 v4, v2
	v_mov_b32_e32 v5, v2
	scratch_store_b128 off, v[2:5], off offset:464
	s_wait_loadcnt 0x0
	ds_store_b128 v104, v[6:9]
.LBB107_219:
	s_wait_xcnt 0x0
	s_or_b32 exec_lo, exec_lo, s2
	s_wait_storecnt_dscnt 0x0
	s_barrier_signal -1
	s_barrier_wait -1
	s_clause 0x9
	scratch_load_b128 v[4:7], off, off offset:480
	scratch_load_b128 v[8:11], off, off offset:496
	;; [unrolled: 1-line block ×10, first 2 shown]
	ds_load_b128 v[134:137], v2 offset:1184
	ds_load_b128 v[142:145], v2 offset:1200
	s_clause 0x2
	scratch_load_b128 v[138:141], off, off offset:640
	scratch_load_b128 v[146:149], off, off offset:464
	;; [unrolled: 1-line block ×3, first 2 shown]
	s_mov_b32 s2, exec_lo
	s_wait_loadcnt_dscnt 0xc01
	v_mul_f64_e32 v[154:155], v[136:137], v[6:7]
	v_mul_f64_e32 v[158:159], v[134:135], v[6:7]
	s_wait_loadcnt_dscnt 0xb00
	v_mul_f64_e32 v[160:161], v[142:143], v[10:11]
	v_mul_f64_e32 v[10:11], v[144:145], v[10:11]
	s_delay_alu instid0(VALU_DEP_4) | instskip(NEXT) | instid1(VALU_DEP_4)
	v_fma_f64 v[162:163], v[134:135], v[4:5], -v[154:155]
	v_fmac_f64_e32 v[158:159], v[136:137], v[4:5]
	ds_load_b128 v[4:7], v2 offset:1216
	ds_load_b128 v[134:137], v2 offset:1232
	scratch_load_b128 v[154:157], off, off offset:672
	v_fmac_f64_e32 v[160:161], v[144:145], v[8:9]
	v_fma_f64 v[142:143], v[142:143], v[8:9], -v[10:11]
	scratch_load_b128 v[8:11], off, off offset:688
	s_wait_loadcnt_dscnt 0xc01
	v_mul_f64_e32 v[164:165], v[4:5], v[14:15]
	v_mul_f64_e32 v[14:15], v[6:7], v[14:15]
	v_add_f64_e32 v[144:145], 0, v[162:163]
	v_add_f64_e32 v[158:159], 0, v[158:159]
	s_wait_loadcnt_dscnt 0xb00
	v_mul_f64_e32 v[162:163], v[134:135], v[108:109]
	v_mul_f64_e32 v[108:109], v[136:137], v[108:109]
	v_fmac_f64_e32 v[164:165], v[6:7], v[12:13]
	v_fma_f64 v[166:167], v[4:5], v[12:13], -v[14:15]
	ds_load_b128 v[4:7], v2 offset:1248
	ds_load_b128 v[12:15], v2 offset:1264
	v_add_f64_e32 v[142:143], v[144:145], v[142:143]
	v_add_f64_e32 v[144:145], v[158:159], v[160:161]
	v_fmac_f64_e32 v[162:163], v[136:137], v[106:107]
	v_fma_f64 v[106:107], v[134:135], v[106:107], -v[108:109]
	s_wait_loadcnt_dscnt 0xa01
	v_mul_f64_e32 v[158:159], v[4:5], v[112:113]
	v_mul_f64_e32 v[112:113], v[6:7], v[112:113]
	s_wait_loadcnt_dscnt 0x900
	v_mul_f64_e32 v[136:137], v[12:13], v[116:117]
	v_mul_f64_e32 v[116:117], v[14:15], v[116:117]
	v_add_f64_e32 v[108:109], v[142:143], v[166:167]
	v_add_f64_e32 v[134:135], v[144:145], v[164:165]
	v_fmac_f64_e32 v[158:159], v[6:7], v[110:111]
	v_fma_f64 v[110:111], v[4:5], v[110:111], -v[112:113]
	v_fmac_f64_e32 v[136:137], v[14:15], v[114:115]
	v_fma_f64 v[12:13], v[12:13], v[114:115], -v[116:117]
	v_add_f64_e32 v[112:113], v[108:109], v[106:107]
	v_add_f64_e32 v[134:135], v[134:135], v[162:163]
	ds_load_b128 v[4:7], v2 offset:1280
	ds_load_b128 v[106:109], v2 offset:1296
	s_wait_loadcnt_dscnt 0x801
	v_mul_f64_e32 v[142:143], v[4:5], v[120:121]
	v_mul_f64_e32 v[120:121], v[6:7], v[120:121]
	s_wait_loadcnt_dscnt 0x700
	v_mul_f64_e32 v[114:115], v[108:109], v[124:125]
	v_add_f64_e32 v[14:15], v[112:113], v[110:111]
	v_add_f64_e32 v[110:111], v[134:135], v[158:159]
	v_mul_f64_e32 v[112:113], v[106:107], v[124:125]
	v_fmac_f64_e32 v[142:143], v[6:7], v[118:119]
	v_fma_f64 v[116:117], v[4:5], v[118:119], -v[120:121]
	v_fma_f64 v[106:107], v[106:107], v[122:123], -v[114:115]
	v_add_f64_e32 v[118:119], v[14:15], v[12:13]
	v_add_f64_e32 v[110:111], v[110:111], v[136:137]
	ds_load_b128 v[4:7], v2 offset:1312
	ds_load_b128 v[12:15], v2 offset:1328
	v_fmac_f64_e32 v[112:113], v[108:109], v[122:123]
	s_wait_loadcnt_dscnt 0x601
	v_mul_f64_e32 v[120:121], v[4:5], v[128:129]
	v_mul_f64_e32 v[124:125], v[6:7], v[128:129]
	s_wait_loadcnt_dscnt 0x500
	v_mul_f64_e32 v[114:115], v[12:13], v[132:133]
	v_add_f64_e32 v[108:109], v[118:119], v[116:117]
	v_add_f64_e32 v[110:111], v[110:111], v[142:143]
	v_mul_f64_e32 v[116:117], v[14:15], v[132:133]
	v_fmac_f64_e32 v[120:121], v[6:7], v[126:127]
	v_fma_f64 v[118:119], v[4:5], v[126:127], -v[124:125]
	v_fmac_f64_e32 v[114:115], v[14:15], v[130:131]
	v_add_f64_e32 v[122:123], v[108:109], v[106:107]
	v_add_f64_e32 v[110:111], v[110:111], v[112:113]
	ds_load_b128 v[4:7], v2 offset:1344
	ds_load_b128 v[106:109], v2 offset:1360
	v_fma_f64 v[12:13], v[12:13], v[130:131], -v[116:117]
	s_wait_loadcnt_dscnt 0x401
	v_mul_f64_e32 v[112:113], v[4:5], v[140:141]
	v_mul_f64_e32 v[124:125], v[6:7], v[140:141]
	s_wait_loadcnt_dscnt 0x200
	v_mul_f64_e32 v[116:117], v[106:107], v[152:153]
	v_add_f64_e32 v[14:15], v[122:123], v[118:119]
	v_add_f64_e32 v[110:111], v[110:111], v[120:121]
	v_mul_f64_e32 v[118:119], v[108:109], v[152:153]
	v_fmac_f64_e32 v[112:113], v[6:7], v[138:139]
	v_fma_f64 v[120:121], v[4:5], v[138:139], -v[124:125]
	v_fmac_f64_e32 v[116:117], v[108:109], v[150:151]
	v_add_f64_e32 v[122:123], v[14:15], v[12:13]
	v_add_f64_e32 v[110:111], v[110:111], v[114:115]
	ds_load_b128 v[4:7], v2 offset:1376
	ds_load_b128 v[12:15], v2 offset:1392
	v_fma_f64 v[106:107], v[106:107], v[150:151], -v[118:119]
	s_wait_loadcnt_dscnt 0x101
	v_mul_f64_e32 v[2:3], v[4:5], v[156:157]
	v_mul_f64_e32 v[114:115], v[6:7], v[156:157]
	v_add_f64_e32 v[108:109], v[122:123], v[120:121]
	v_add_f64_e32 v[110:111], v[110:111], v[112:113]
	s_wait_loadcnt_dscnt 0x0
	v_mul_f64_e32 v[112:113], v[12:13], v[10:11]
	v_mul_f64_e32 v[10:11], v[14:15], v[10:11]
	v_fmac_f64_e32 v[2:3], v[6:7], v[154:155]
	v_fma_f64 v[4:5], v[4:5], v[154:155], -v[114:115]
	v_add_f64_e32 v[6:7], v[108:109], v[106:107]
	v_add_f64_e32 v[106:107], v[110:111], v[116:117]
	v_fmac_f64_e32 v[112:113], v[14:15], v[8:9]
	v_fma_f64 v[8:9], v[12:13], v[8:9], -v[10:11]
	s_delay_alu instid0(VALU_DEP_4) | instskip(NEXT) | instid1(VALU_DEP_4)
	v_add_f64_e32 v[4:5], v[6:7], v[4:5]
	v_add_f64_e32 v[2:3], v[106:107], v[2:3]
	s_delay_alu instid0(VALU_DEP_2) | instskip(NEXT) | instid1(VALU_DEP_2)
	v_add_f64_e32 v[4:5], v[4:5], v[8:9]
	v_add_f64_e32 v[6:7], v[2:3], v[112:113]
	s_delay_alu instid0(VALU_DEP_2) | instskip(NEXT) | instid1(VALU_DEP_2)
	v_add_f64_e64 v[2:3], v[146:147], -v[4:5]
	v_add_f64_e64 v[4:5], v[148:149], -v[6:7]
	scratch_store_b128 off, v[2:5], off offset:464
	s_wait_xcnt 0x0
	v_cmpx_lt_u32_e32 28, v1
	s_cbranch_execz .LBB107_221
; %bb.220:
	scratch_load_b128 v[2:5], off, s31
	v_mov_b32_e32 v6, 0
	s_delay_alu instid0(VALU_DEP_1)
	v_dual_mov_b32 v7, v6 :: v_dual_mov_b32 v8, v6
	v_mov_b32_e32 v9, v6
	scratch_store_b128 off, v[6:9], off offset:448
	s_wait_loadcnt 0x0
	ds_store_b128 v104, v[2:5]
.LBB107_221:
	s_wait_xcnt 0x0
	s_or_b32 exec_lo, exec_lo, s2
	s_wait_storecnt_dscnt 0x0
	s_barrier_signal -1
	s_barrier_wait -1
	s_clause 0x9
	scratch_load_b128 v[4:7], off, off offset:464
	scratch_load_b128 v[8:11], off, off offset:480
	scratch_load_b128 v[12:15], off, off offset:496
	scratch_load_b128 v[106:109], off, off offset:512
	scratch_load_b128 v[110:113], off, off offset:528
	scratch_load_b128 v[114:117], off, off offset:544
	scratch_load_b128 v[118:121], off, off offset:560
	scratch_load_b128 v[122:125], off, off offset:576
	scratch_load_b128 v[126:129], off, off offset:592
	scratch_load_b128 v[130:133], off, off offset:608
	v_mov_b32_e32 v2, 0
	s_mov_b32 s2, exec_lo
	ds_load_b128 v[134:137], v2 offset:1168
	s_clause 0x2
	scratch_load_b128 v[138:141], off, off offset:624
	scratch_load_b128 v[142:145], off, off offset:448
	;; [unrolled: 1-line block ×3, first 2 shown]
	s_wait_loadcnt_dscnt 0xc00
	v_mul_f64_e32 v[154:155], v[136:137], v[6:7]
	v_mul_f64_e32 v[158:159], v[134:135], v[6:7]
	ds_load_b128 v[146:149], v2 offset:1184
	v_fma_f64 v[162:163], v[134:135], v[4:5], -v[154:155]
	v_fmac_f64_e32 v[158:159], v[136:137], v[4:5]
	ds_load_b128 v[4:7], v2 offset:1200
	s_wait_loadcnt_dscnt 0xb01
	v_mul_f64_e32 v[160:161], v[146:147], v[10:11]
	v_mul_f64_e32 v[10:11], v[148:149], v[10:11]
	scratch_load_b128 v[134:137], off, off offset:656
	ds_load_b128 v[154:157], v2 offset:1216
	s_wait_loadcnt_dscnt 0xb01
	v_mul_f64_e32 v[164:165], v[4:5], v[14:15]
	v_mul_f64_e32 v[14:15], v[6:7], v[14:15]
	v_add_f64_e32 v[158:159], 0, v[158:159]
	v_fmac_f64_e32 v[160:161], v[148:149], v[8:9]
	v_fma_f64 v[146:147], v[146:147], v[8:9], -v[10:11]
	v_add_f64_e32 v[148:149], 0, v[162:163]
	scratch_load_b128 v[8:11], off, off offset:672
	v_fmac_f64_e32 v[164:165], v[6:7], v[12:13]
	v_fma_f64 v[166:167], v[4:5], v[12:13], -v[14:15]
	ds_load_b128 v[4:7], v2 offset:1232
	s_wait_loadcnt_dscnt 0xb01
	v_mul_f64_e32 v[162:163], v[154:155], v[108:109]
	v_mul_f64_e32 v[108:109], v[156:157], v[108:109]
	scratch_load_b128 v[12:15], off, off offset:688
	v_add_f64_e32 v[158:159], v[158:159], v[160:161]
	v_add_f64_e32 v[168:169], v[148:149], v[146:147]
	ds_load_b128 v[146:149], v2 offset:1248
	s_wait_loadcnt_dscnt 0xb01
	v_mul_f64_e32 v[160:161], v[4:5], v[112:113]
	v_mul_f64_e32 v[112:113], v[6:7], v[112:113]
	v_fmac_f64_e32 v[162:163], v[156:157], v[106:107]
	v_fma_f64 v[106:107], v[154:155], v[106:107], -v[108:109]
	s_wait_loadcnt_dscnt 0xa00
	v_mul_f64_e32 v[156:157], v[146:147], v[116:117]
	v_mul_f64_e32 v[116:117], v[148:149], v[116:117]
	v_add_f64_e32 v[154:155], v[158:159], v[164:165]
	v_add_f64_e32 v[108:109], v[168:169], v[166:167]
	v_fmac_f64_e32 v[160:161], v[6:7], v[110:111]
	v_fma_f64 v[110:111], v[4:5], v[110:111], -v[112:113]
	v_fmac_f64_e32 v[156:157], v[148:149], v[114:115]
	v_fma_f64 v[114:115], v[146:147], v[114:115], -v[116:117]
	v_add_f64_e32 v[154:155], v[154:155], v[162:163]
	v_add_f64_e32 v[112:113], v[108:109], v[106:107]
	ds_load_b128 v[4:7], v2 offset:1264
	ds_load_b128 v[106:109], v2 offset:1280
	s_wait_loadcnt_dscnt 0x901
	v_mul_f64_e32 v[158:159], v[4:5], v[120:121]
	v_mul_f64_e32 v[120:121], v[6:7], v[120:121]
	s_wait_loadcnt_dscnt 0x800
	v_mul_f64_e32 v[116:117], v[106:107], v[124:125]
	v_mul_f64_e32 v[124:125], v[108:109], v[124:125]
	v_add_f64_e32 v[110:111], v[112:113], v[110:111]
	v_add_f64_e32 v[112:113], v[154:155], v[160:161]
	v_fmac_f64_e32 v[158:159], v[6:7], v[118:119]
	v_fma_f64 v[118:119], v[4:5], v[118:119], -v[120:121]
	v_fmac_f64_e32 v[116:117], v[108:109], v[122:123]
	v_fma_f64 v[106:107], v[106:107], v[122:123], -v[124:125]
	v_add_f64_e32 v[114:115], v[110:111], v[114:115]
	v_add_f64_e32 v[120:121], v[112:113], v[156:157]
	ds_load_b128 v[4:7], v2 offset:1296
	ds_load_b128 v[110:113], v2 offset:1312
	s_wait_loadcnt_dscnt 0x701
	v_mul_f64_e32 v[146:147], v[4:5], v[128:129]
	v_mul_f64_e32 v[128:129], v[6:7], v[128:129]
	v_add_f64_e32 v[108:109], v[114:115], v[118:119]
	v_add_f64_e32 v[114:115], v[120:121], v[158:159]
	s_wait_loadcnt_dscnt 0x600
	v_mul_f64_e32 v[118:119], v[110:111], v[132:133]
	v_mul_f64_e32 v[120:121], v[112:113], v[132:133]
	v_fmac_f64_e32 v[146:147], v[6:7], v[126:127]
	v_fma_f64 v[122:123], v[4:5], v[126:127], -v[128:129]
	v_add_f64_e32 v[124:125], v[108:109], v[106:107]
	v_add_f64_e32 v[114:115], v[114:115], v[116:117]
	ds_load_b128 v[4:7], v2 offset:1328
	ds_load_b128 v[106:109], v2 offset:1344
	v_fmac_f64_e32 v[118:119], v[112:113], v[130:131]
	v_fma_f64 v[110:111], v[110:111], v[130:131], -v[120:121]
	s_wait_loadcnt_dscnt 0x501
	v_mul_f64_e32 v[116:117], v[4:5], v[140:141]
	v_mul_f64_e32 v[126:127], v[6:7], v[140:141]
	s_wait_loadcnt_dscnt 0x300
	v_mul_f64_e32 v[120:121], v[106:107], v[152:153]
	v_add_f64_e32 v[112:113], v[124:125], v[122:123]
	v_add_f64_e32 v[114:115], v[114:115], v[146:147]
	v_mul_f64_e32 v[122:123], v[108:109], v[152:153]
	v_fmac_f64_e32 v[116:117], v[6:7], v[138:139]
	v_fma_f64 v[124:125], v[4:5], v[138:139], -v[126:127]
	v_fmac_f64_e32 v[120:121], v[108:109], v[150:151]
	v_add_f64_e32 v[126:127], v[112:113], v[110:111]
	v_add_f64_e32 v[114:115], v[114:115], v[118:119]
	ds_load_b128 v[4:7], v2 offset:1360
	ds_load_b128 v[110:113], v2 offset:1376
	v_fma_f64 v[106:107], v[106:107], v[150:151], -v[122:123]
	s_wait_loadcnt_dscnt 0x201
	v_mul_f64_e32 v[118:119], v[4:5], v[136:137]
	v_mul_f64_e32 v[128:129], v[6:7], v[136:137]
	v_add_f64_e32 v[108:109], v[126:127], v[124:125]
	v_add_f64_e32 v[114:115], v[114:115], v[116:117]
	s_wait_loadcnt_dscnt 0x100
	v_mul_f64_e32 v[116:117], v[110:111], v[10:11]
	v_mul_f64_e32 v[10:11], v[112:113], v[10:11]
	v_fmac_f64_e32 v[118:119], v[6:7], v[134:135]
	v_fma_f64 v[122:123], v[4:5], v[134:135], -v[128:129]
	ds_load_b128 v[4:7], v2 offset:1392
	v_add_f64_e32 v[106:107], v[108:109], v[106:107]
	v_add_f64_e32 v[108:109], v[114:115], v[120:121]
	v_fmac_f64_e32 v[116:117], v[112:113], v[8:9]
	v_fma_f64 v[8:9], v[110:111], v[8:9], -v[10:11]
	s_wait_loadcnt_dscnt 0x0
	v_mul_f64_e32 v[114:115], v[4:5], v[14:15]
	v_mul_f64_e32 v[14:15], v[6:7], v[14:15]
	v_add_f64_e32 v[10:11], v[106:107], v[122:123]
	v_add_f64_e32 v[106:107], v[108:109], v[118:119]
	s_delay_alu instid0(VALU_DEP_4) | instskip(NEXT) | instid1(VALU_DEP_4)
	v_fmac_f64_e32 v[114:115], v[6:7], v[12:13]
	v_fma_f64 v[4:5], v[4:5], v[12:13], -v[14:15]
	s_delay_alu instid0(VALU_DEP_4) | instskip(NEXT) | instid1(VALU_DEP_4)
	v_add_f64_e32 v[6:7], v[10:11], v[8:9]
	v_add_f64_e32 v[8:9], v[106:107], v[116:117]
	s_delay_alu instid0(VALU_DEP_2) | instskip(NEXT) | instid1(VALU_DEP_2)
	v_add_f64_e32 v[4:5], v[6:7], v[4:5]
	v_add_f64_e32 v[6:7], v[8:9], v[114:115]
	s_delay_alu instid0(VALU_DEP_2) | instskip(NEXT) | instid1(VALU_DEP_2)
	v_add_f64_e64 v[4:5], v[142:143], -v[4:5]
	v_add_f64_e64 v[6:7], v[144:145], -v[6:7]
	scratch_store_b128 off, v[4:7], off offset:448
	s_wait_xcnt 0x0
	v_cmpx_lt_u32_e32 27, v1
	s_cbranch_execz .LBB107_223
; %bb.222:
	scratch_load_b128 v[6:9], off, s33
	v_dual_mov_b32 v3, v2 :: v_dual_mov_b32 v4, v2
	v_mov_b32_e32 v5, v2
	scratch_store_b128 off, v[2:5], off offset:432
	s_wait_loadcnt 0x0
	ds_store_b128 v104, v[6:9]
.LBB107_223:
	s_wait_xcnt 0x0
	s_or_b32 exec_lo, exec_lo, s2
	s_wait_storecnt_dscnt 0x0
	s_barrier_signal -1
	s_barrier_wait -1
	s_clause 0x9
	scratch_load_b128 v[4:7], off, off offset:448
	scratch_load_b128 v[8:11], off, off offset:464
	;; [unrolled: 1-line block ×10, first 2 shown]
	ds_load_b128 v[134:137], v2 offset:1152
	ds_load_b128 v[142:145], v2 offset:1168
	s_clause 0x2
	scratch_load_b128 v[138:141], off, off offset:608
	scratch_load_b128 v[146:149], off, off offset:432
	scratch_load_b128 v[150:153], off, off offset:624
	s_mov_b32 s2, exec_lo
	s_wait_loadcnt_dscnt 0xc01
	v_mul_f64_e32 v[154:155], v[136:137], v[6:7]
	v_mul_f64_e32 v[158:159], v[134:135], v[6:7]
	s_wait_loadcnt_dscnt 0xb00
	v_mul_f64_e32 v[160:161], v[142:143], v[10:11]
	v_mul_f64_e32 v[10:11], v[144:145], v[10:11]
	s_delay_alu instid0(VALU_DEP_4) | instskip(NEXT) | instid1(VALU_DEP_4)
	v_fma_f64 v[162:163], v[134:135], v[4:5], -v[154:155]
	v_fmac_f64_e32 v[158:159], v[136:137], v[4:5]
	ds_load_b128 v[4:7], v2 offset:1184
	ds_load_b128 v[134:137], v2 offset:1200
	scratch_load_b128 v[154:157], off, off offset:640
	v_fmac_f64_e32 v[160:161], v[144:145], v[8:9]
	v_fma_f64 v[142:143], v[142:143], v[8:9], -v[10:11]
	scratch_load_b128 v[8:11], off, off offset:656
	s_wait_loadcnt_dscnt 0xc01
	v_mul_f64_e32 v[164:165], v[4:5], v[14:15]
	v_mul_f64_e32 v[14:15], v[6:7], v[14:15]
	v_add_f64_e32 v[144:145], 0, v[162:163]
	v_add_f64_e32 v[158:159], 0, v[158:159]
	s_wait_loadcnt_dscnt 0xb00
	v_mul_f64_e32 v[162:163], v[134:135], v[108:109]
	v_mul_f64_e32 v[108:109], v[136:137], v[108:109]
	v_fmac_f64_e32 v[164:165], v[6:7], v[12:13]
	v_fma_f64 v[166:167], v[4:5], v[12:13], -v[14:15]
	ds_load_b128 v[4:7], v2 offset:1216
	ds_load_b128 v[12:15], v2 offset:1232
	v_add_f64_e32 v[168:169], v[144:145], v[142:143]
	v_add_f64_e32 v[158:159], v[158:159], v[160:161]
	scratch_load_b128 v[142:145], off, off offset:672
	v_fmac_f64_e32 v[162:163], v[136:137], v[106:107]
	v_fma_f64 v[134:135], v[134:135], v[106:107], -v[108:109]
	scratch_load_b128 v[106:109], off, off offset:688
	s_wait_loadcnt_dscnt 0xc01
	v_mul_f64_e32 v[160:161], v[4:5], v[112:113]
	v_mul_f64_e32 v[112:113], v[6:7], v[112:113]
	v_add_f64_e32 v[136:137], v[168:169], v[166:167]
	v_add_f64_e32 v[158:159], v[158:159], v[164:165]
	s_wait_loadcnt_dscnt 0xb00
	v_mul_f64_e32 v[164:165], v[12:13], v[116:117]
	v_mul_f64_e32 v[116:117], v[14:15], v[116:117]
	v_fmac_f64_e32 v[160:161], v[6:7], v[110:111]
	v_fma_f64 v[166:167], v[4:5], v[110:111], -v[112:113]
	ds_load_b128 v[4:7], v2 offset:1248
	ds_load_b128 v[110:113], v2 offset:1264
	v_add_f64_e32 v[134:135], v[136:137], v[134:135]
	v_add_f64_e32 v[136:137], v[158:159], v[162:163]
	s_wait_loadcnt_dscnt 0xa01
	v_mul_f64_e32 v[158:159], v[4:5], v[120:121]
	v_mul_f64_e32 v[120:121], v[6:7], v[120:121]
	v_fmac_f64_e32 v[164:165], v[14:15], v[114:115]
	v_fma_f64 v[12:13], v[12:13], v[114:115], -v[116:117]
	s_wait_loadcnt_dscnt 0x900
	v_mul_f64_e32 v[116:117], v[110:111], v[124:125]
	v_mul_f64_e32 v[124:125], v[112:113], v[124:125]
	v_add_f64_e32 v[14:15], v[134:135], v[166:167]
	v_add_f64_e32 v[114:115], v[136:137], v[160:161]
	v_fmac_f64_e32 v[158:159], v[6:7], v[118:119]
	v_fma_f64 v[118:119], v[4:5], v[118:119], -v[120:121]
	v_fmac_f64_e32 v[116:117], v[112:113], v[122:123]
	v_fma_f64 v[110:111], v[110:111], v[122:123], -v[124:125]
	v_add_f64_e32 v[120:121], v[14:15], v[12:13]
	v_add_f64_e32 v[114:115], v[114:115], v[164:165]
	ds_load_b128 v[4:7], v2 offset:1280
	ds_load_b128 v[12:15], v2 offset:1296
	s_wait_loadcnt_dscnt 0x801
	v_mul_f64_e32 v[134:135], v[4:5], v[128:129]
	v_mul_f64_e32 v[128:129], v[6:7], v[128:129]
	v_add_f64_e32 v[112:113], v[120:121], v[118:119]
	v_add_f64_e32 v[114:115], v[114:115], v[158:159]
	s_wait_loadcnt_dscnt 0x700
	v_mul_f64_e32 v[118:119], v[12:13], v[132:133]
	v_mul_f64_e32 v[120:121], v[14:15], v[132:133]
	v_fmac_f64_e32 v[134:135], v[6:7], v[126:127]
	v_fma_f64 v[122:123], v[4:5], v[126:127], -v[128:129]
	v_add_f64_e32 v[124:125], v[112:113], v[110:111]
	v_add_f64_e32 v[114:115], v[114:115], v[116:117]
	ds_load_b128 v[4:7], v2 offset:1312
	ds_load_b128 v[110:113], v2 offset:1328
	v_fmac_f64_e32 v[118:119], v[14:15], v[130:131]
	v_fma_f64 v[12:13], v[12:13], v[130:131], -v[120:121]
	s_wait_loadcnt_dscnt 0x601
	v_mul_f64_e32 v[116:117], v[4:5], v[140:141]
	v_mul_f64_e32 v[126:127], v[6:7], v[140:141]
	s_wait_loadcnt_dscnt 0x400
	v_mul_f64_e32 v[120:121], v[110:111], v[152:153]
	v_add_f64_e32 v[14:15], v[124:125], v[122:123]
	v_add_f64_e32 v[114:115], v[114:115], v[134:135]
	v_mul_f64_e32 v[122:123], v[112:113], v[152:153]
	v_fmac_f64_e32 v[116:117], v[6:7], v[138:139]
	v_fma_f64 v[124:125], v[4:5], v[138:139], -v[126:127]
	v_fmac_f64_e32 v[120:121], v[112:113], v[150:151]
	v_add_f64_e32 v[126:127], v[14:15], v[12:13]
	v_add_f64_e32 v[114:115], v[114:115], v[118:119]
	ds_load_b128 v[4:7], v2 offset:1344
	ds_load_b128 v[12:15], v2 offset:1360
	v_fma_f64 v[110:111], v[110:111], v[150:151], -v[122:123]
	s_wait_loadcnt_dscnt 0x301
	v_mul_f64_e32 v[118:119], v[4:5], v[156:157]
	v_mul_f64_e32 v[128:129], v[6:7], v[156:157]
	v_add_f64_e32 v[112:113], v[126:127], v[124:125]
	v_add_f64_e32 v[114:115], v[114:115], v[116:117]
	s_wait_loadcnt_dscnt 0x200
	v_mul_f64_e32 v[116:117], v[12:13], v[10:11]
	v_mul_f64_e32 v[10:11], v[14:15], v[10:11]
	v_fmac_f64_e32 v[118:119], v[6:7], v[154:155]
	v_fma_f64 v[122:123], v[4:5], v[154:155], -v[128:129]
	v_add_f64_e32 v[124:125], v[112:113], v[110:111]
	v_add_f64_e32 v[114:115], v[114:115], v[120:121]
	ds_load_b128 v[4:7], v2 offset:1376
	ds_load_b128 v[110:113], v2 offset:1392
	v_fmac_f64_e32 v[116:117], v[14:15], v[8:9]
	v_fma_f64 v[8:9], v[12:13], v[8:9], -v[10:11]
	s_wait_loadcnt_dscnt 0x101
	v_mul_f64_e32 v[2:3], v[4:5], v[144:145]
	v_mul_f64_e32 v[120:121], v[6:7], v[144:145]
	s_wait_loadcnt_dscnt 0x0
	v_mul_f64_e32 v[14:15], v[110:111], v[108:109]
	v_mul_f64_e32 v[108:109], v[112:113], v[108:109]
	v_add_f64_e32 v[10:11], v[124:125], v[122:123]
	v_add_f64_e32 v[12:13], v[114:115], v[118:119]
	v_fmac_f64_e32 v[2:3], v[6:7], v[142:143]
	v_fma_f64 v[4:5], v[4:5], v[142:143], -v[120:121]
	v_fmac_f64_e32 v[14:15], v[112:113], v[106:107]
	v_add_f64_e32 v[6:7], v[10:11], v[8:9]
	v_add_f64_e32 v[8:9], v[12:13], v[116:117]
	v_fma_f64 v[10:11], v[110:111], v[106:107], -v[108:109]
	s_delay_alu instid0(VALU_DEP_3) | instskip(NEXT) | instid1(VALU_DEP_3)
	v_add_f64_e32 v[4:5], v[6:7], v[4:5]
	v_add_f64_e32 v[2:3], v[8:9], v[2:3]
	s_delay_alu instid0(VALU_DEP_2) | instskip(NEXT) | instid1(VALU_DEP_2)
	v_add_f64_e32 v[4:5], v[4:5], v[10:11]
	v_add_f64_e32 v[6:7], v[2:3], v[14:15]
	s_delay_alu instid0(VALU_DEP_2) | instskip(NEXT) | instid1(VALU_DEP_2)
	v_add_f64_e64 v[2:3], v[146:147], -v[4:5]
	v_add_f64_e64 v[4:5], v[148:149], -v[6:7]
	scratch_store_b128 off, v[2:5], off offset:432
	s_wait_xcnt 0x0
	v_cmpx_lt_u32_e32 26, v1
	s_cbranch_execz .LBB107_225
; %bb.224:
	scratch_load_b128 v[2:5], off, s34
	v_mov_b32_e32 v6, 0
	s_delay_alu instid0(VALU_DEP_1)
	v_dual_mov_b32 v7, v6 :: v_dual_mov_b32 v8, v6
	v_mov_b32_e32 v9, v6
	scratch_store_b128 off, v[6:9], off offset:416
	s_wait_loadcnt 0x0
	ds_store_b128 v104, v[2:5]
.LBB107_225:
	s_wait_xcnt 0x0
	s_or_b32 exec_lo, exec_lo, s2
	s_wait_storecnt_dscnt 0x0
	s_barrier_signal -1
	s_barrier_wait -1
	s_clause 0x9
	scratch_load_b128 v[4:7], off, off offset:432
	scratch_load_b128 v[8:11], off, off offset:448
	scratch_load_b128 v[12:15], off, off offset:464
	scratch_load_b128 v[106:109], off, off offset:480
	scratch_load_b128 v[110:113], off, off offset:496
	scratch_load_b128 v[114:117], off, off offset:512
	scratch_load_b128 v[118:121], off, off offset:528
	scratch_load_b128 v[122:125], off, off offset:544
	scratch_load_b128 v[126:129], off, off offset:560
	scratch_load_b128 v[130:133], off, off offset:576
	v_mov_b32_e32 v2, 0
	s_mov_b32 s2, exec_lo
	ds_load_b128 v[134:137], v2 offset:1136
	s_clause 0x2
	scratch_load_b128 v[138:141], off, off offset:592
	scratch_load_b128 v[142:145], off, off offset:416
	;; [unrolled: 1-line block ×3, first 2 shown]
	s_wait_loadcnt_dscnt 0xc00
	v_mul_f64_e32 v[154:155], v[136:137], v[6:7]
	v_mul_f64_e32 v[158:159], v[134:135], v[6:7]
	ds_load_b128 v[146:149], v2 offset:1152
	v_fma_f64 v[162:163], v[134:135], v[4:5], -v[154:155]
	v_fmac_f64_e32 v[158:159], v[136:137], v[4:5]
	ds_load_b128 v[4:7], v2 offset:1168
	s_wait_loadcnt_dscnt 0xb01
	v_mul_f64_e32 v[160:161], v[146:147], v[10:11]
	v_mul_f64_e32 v[10:11], v[148:149], v[10:11]
	scratch_load_b128 v[134:137], off, off offset:624
	ds_load_b128 v[154:157], v2 offset:1184
	s_wait_loadcnt_dscnt 0xb01
	v_mul_f64_e32 v[164:165], v[4:5], v[14:15]
	v_mul_f64_e32 v[14:15], v[6:7], v[14:15]
	v_add_f64_e32 v[158:159], 0, v[158:159]
	v_fmac_f64_e32 v[160:161], v[148:149], v[8:9]
	v_fma_f64 v[146:147], v[146:147], v[8:9], -v[10:11]
	v_add_f64_e32 v[148:149], 0, v[162:163]
	scratch_load_b128 v[8:11], off, off offset:640
	v_fmac_f64_e32 v[164:165], v[6:7], v[12:13]
	v_fma_f64 v[166:167], v[4:5], v[12:13], -v[14:15]
	ds_load_b128 v[4:7], v2 offset:1200
	s_wait_loadcnt_dscnt 0xb01
	v_mul_f64_e32 v[162:163], v[154:155], v[108:109]
	v_mul_f64_e32 v[108:109], v[156:157], v[108:109]
	scratch_load_b128 v[12:15], off, off offset:656
	v_add_f64_e32 v[158:159], v[158:159], v[160:161]
	v_add_f64_e32 v[168:169], v[148:149], v[146:147]
	ds_load_b128 v[146:149], v2 offset:1216
	s_wait_loadcnt_dscnt 0xb01
	v_mul_f64_e32 v[160:161], v[4:5], v[112:113]
	v_mul_f64_e32 v[112:113], v[6:7], v[112:113]
	v_fmac_f64_e32 v[162:163], v[156:157], v[106:107]
	v_fma_f64 v[154:155], v[154:155], v[106:107], -v[108:109]
	scratch_load_b128 v[106:109], off, off offset:672
	v_add_f64_e32 v[158:159], v[158:159], v[164:165]
	v_add_f64_e32 v[156:157], v[168:169], v[166:167]
	v_fmac_f64_e32 v[160:161], v[6:7], v[110:111]
	v_fma_f64 v[166:167], v[4:5], v[110:111], -v[112:113]
	ds_load_b128 v[4:7], v2 offset:1232
	s_wait_loadcnt_dscnt 0xb01
	v_mul_f64_e32 v[164:165], v[146:147], v[116:117]
	v_mul_f64_e32 v[116:117], v[148:149], v[116:117]
	scratch_load_b128 v[110:113], off, off offset:688
	v_add_f64_e32 v[158:159], v[158:159], v[162:163]
	s_wait_loadcnt_dscnt 0xb00
	v_mul_f64_e32 v[162:163], v[4:5], v[120:121]
	v_add_f64_e32 v[168:169], v[156:157], v[154:155]
	v_mul_f64_e32 v[120:121], v[6:7], v[120:121]
	ds_load_b128 v[154:157], v2 offset:1248
	v_fmac_f64_e32 v[164:165], v[148:149], v[114:115]
	v_fma_f64 v[114:115], v[146:147], v[114:115], -v[116:117]
	s_wait_loadcnt_dscnt 0xa00
	v_mul_f64_e32 v[148:149], v[154:155], v[124:125]
	v_mul_f64_e32 v[124:125], v[156:157], v[124:125]
	v_add_f64_e32 v[146:147], v[158:159], v[160:161]
	v_fmac_f64_e32 v[162:163], v[6:7], v[118:119]
	v_add_f64_e32 v[116:117], v[168:169], v[166:167]
	v_fma_f64 v[118:119], v[4:5], v[118:119], -v[120:121]
	v_fmac_f64_e32 v[148:149], v[156:157], v[122:123]
	v_fma_f64 v[122:123], v[154:155], v[122:123], -v[124:125]
	v_add_f64_e32 v[146:147], v[146:147], v[164:165]
	v_add_f64_e32 v[120:121], v[116:117], v[114:115]
	ds_load_b128 v[4:7], v2 offset:1264
	ds_load_b128 v[114:117], v2 offset:1280
	s_wait_loadcnt_dscnt 0x901
	v_mul_f64_e32 v[158:159], v[4:5], v[128:129]
	v_mul_f64_e32 v[128:129], v[6:7], v[128:129]
	s_wait_loadcnt_dscnt 0x800
	v_mul_f64_e32 v[124:125], v[114:115], v[132:133]
	v_mul_f64_e32 v[132:133], v[116:117], v[132:133]
	v_add_f64_e32 v[118:119], v[120:121], v[118:119]
	v_add_f64_e32 v[120:121], v[146:147], v[162:163]
	v_fmac_f64_e32 v[158:159], v[6:7], v[126:127]
	v_fma_f64 v[126:127], v[4:5], v[126:127], -v[128:129]
	v_fmac_f64_e32 v[124:125], v[116:117], v[130:131]
	v_fma_f64 v[114:115], v[114:115], v[130:131], -v[132:133]
	v_add_f64_e32 v[122:123], v[118:119], v[122:123]
	v_add_f64_e32 v[128:129], v[120:121], v[148:149]
	ds_load_b128 v[4:7], v2 offset:1296
	ds_load_b128 v[118:121], v2 offset:1312
	s_wait_loadcnt_dscnt 0x701
	v_mul_f64_e32 v[146:147], v[4:5], v[140:141]
	v_mul_f64_e32 v[140:141], v[6:7], v[140:141]
	v_add_f64_e32 v[116:117], v[122:123], v[126:127]
	v_add_f64_e32 v[122:123], v[128:129], v[158:159]
	s_wait_loadcnt_dscnt 0x500
	v_mul_f64_e32 v[126:127], v[118:119], v[152:153]
	v_mul_f64_e32 v[128:129], v[120:121], v[152:153]
	v_fmac_f64_e32 v[146:147], v[6:7], v[138:139]
	v_fma_f64 v[130:131], v[4:5], v[138:139], -v[140:141]
	v_add_f64_e32 v[132:133], v[116:117], v[114:115]
	v_add_f64_e32 v[122:123], v[122:123], v[124:125]
	ds_load_b128 v[4:7], v2 offset:1328
	ds_load_b128 v[114:117], v2 offset:1344
	v_fmac_f64_e32 v[126:127], v[120:121], v[150:151]
	v_fma_f64 v[118:119], v[118:119], v[150:151], -v[128:129]
	s_wait_loadcnt_dscnt 0x401
	v_mul_f64_e32 v[124:125], v[4:5], v[136:137]
	v_mul_f64_e32 v[136:137], v[6:7], v[136:137]
	v_add_f64_e32 v[120:121], v[132:133], v[130:131]
	v_add_f64_e32 v[122:123], v[122:123], v[146:147]
	s_wait_loadcnt_dscnt 0x300
	v_mul_f64_e32 v[128:129], v[114:115], v[10:11]
	v_mul_f64_e32 v[10:11], v[116:117], v[10:11]
	v_fmac_f64_e32 v[124:125], v[6:7], v[134:135]
	v_fma_f64 v[130:131], v[4:5], v[134:135], -v[136:137]
	v_add_f64_e32 v[132:133], v[120:121], v[118:119]
	v_add_f64_e32 v[122:123], v[122:123], v[126:127]
	ds_load_b128 v[4:7], v2 offset:1360
	ds_load_b128 v[118:121], v2 offset:1376
	v_fmac_f64_e32 v[128:129], v[116:117], v[8:9]
	v_fma_f64 v[8:9], v[114:115], v[8:9], -v[10:11]
	s_wait_loadcnt_dscnt 0x201
	v_mul_f64_e32 v[126:127], v[4:5], v[14:15]
	v_mul_f64_e32 v[14:15], v[6:7], v[14:15]
	s_wait_loadcnt_dscnt 0x100
	v_mul_f64_e32 v[116:117], v[118:119], v[108:109]
	v_mul_f64_e32 v[108:109], v[120:121], v[108:109]
	v_add_f64_e32 v[10:11], v[132:133], v[130:131]
	v_add_f64_e32 v[114:115], v[122:123], v[124:125]
	v_fmac_f64_e32 v[126:127], v[6:7], v[12:13]
	v_fma_f64 v[12:13], v[4:5], v[12:13], -v[14:15]
	ds_load_b128 v[4:7], v2 offset:1392
	v_fmac_f64_e32 v[116:117], v[120:121], v[106:107]
	v_fma_f64 v[106:107], v[118:119], v[106:107], -v[108:109]
	v_add_f64_e32 v[8:9], v[10:11], v[8:9]
	v_add_f64_e32 v[10:11], v[114:115], v[128:129]
	s_wait_loadcnt_dscnt 0x0
	v_mul_f64_e32 v[14:15], v[4:5], v[112:113]
	v_mul_f64_e32 v[112:113], v[6:7], v[112:113]
	s_delay_alu instid0(VALU_DEP_4) | instskip(NEXT) | instid1(VALU_DEP_4)
	v_add_f64_e32 v[8:9], v[8:9], v[12:13]
	v_add_f64_e32 v[10:11], v[10:11], v[126:127]
	s_delay_alu instid0(VALU_DEP_4) | instskip(NEXT) | instid1(VALU_DEP_4)
	v_fmac_f64_e32 v[14:15], v[6:7], v[110:111]
	v_fma_f64 v[4:5], v[4:5], v[110:111], -v[112:113]
	s_delay_alu instid0(VALU_DEP_4) | instskip(NEXT) | instid1(VALU_DEP_4)
	v_add_f64_e32 v[6:7], v[8:9], v[106:107]
	v_add_f64_e32 v[8:9], v[10:11], v[116:117]
	s_delay_alu instid0(VALU_DEP_2) | instskip(NEXT) | instid1(VALU_DEP_2)
	v_add_f64_e32 v[4:5], v[6:7], v[4:5]
	v_add_f64_e32 v[6:7], v[8:9], v[14:15]
	s_delay_alu instid0(VALU_DEP_2) | instskip(NEXT) | instid1(VALU_DEP_2)
	v_add_f64_e64 v[4:5], v[142:143], -v[4:5]
	v_add_f64_e64 v[6:7], v[144:145], -v[6:7]
	scratch_store_b128 off, v[4:7], off offset:416
	s_wait_xcnt 0x0
	v_cmpx_lt_u32_e32 25, v1
	s_cbranch_execz .LBB107_227
; %bb.226:
	scratch_load_b128 v[6:9], off, s35
	v_dual_mov_b32 v3, v2 :: v_dual_mov_b32 v4, v2
	v_mov_b32_e32 v5, v2
	scratch_store_b128 off, v[2:5], off offset:400
	s_wait_loadcnt 0x0
	ds_store_b128 v104, v[6:9]
.LBB107_227:
	s_wait_xcnt 0x0
	s_or_b32 exec_lo, exec_lo, s2
	s_wait_storecnt_dscnt 0x0
	s_barrier_signal -1
	s_barrier_wait -1
	s_clause 0x9
	scratch_load_b128 v[4:7], off, off offset:416
	scratch_load_b128 v[8:11], off, off offset:432
	;; [unrolled: 1-line block ×10, first 2 shown]
	ds_load_b128 v[134:137], v2 offset:1120
	ds_load_b128 v[142:145], v2 offset:1136
	s_clause 0x2
	scratch_load_b128 v[138:141], off, off offset:576
	scratch_load_b128 v[146:149], off, off offset:400
	;; [unrolled: 1-line block ×3, first 2 shown]
	s_mov_b32 s2, exec_lo
	s_wait_loadcnt_dscnt 0xc01
	v_mul_f64_e32 v[154:155], v[136:137], v[6:7]
	v_mul_f64_e32 v[158:159], v[134:135], v[6:7]
	s_wait_loadcnt_dscnt 0xb00
	v_mul_f64_e32 v[160:161], v[142:143], v[10:11]
	v_mul_f64_e32 v[10:11], v[144:145], v[10:11]
	s_delay_alu instid0(VALU_DEP_4) | instskip(NEXT) | instid1(VALU_DEP_4)
	v_fma_f64 v[162:163], v[134:135], v[4:5], -v[154:155]
	v_fmac_f64_e32 v[158:159], v[136:137], v[4:5]
	ds_load_b128 v[4:7], v2 offset:1152
	ds_load_b128 v[134:137], v2 offset:1168
	scratch_load_b128 v[154:157], off, off offset:608
	v_fmac_f64_e32 v[160:161], v[144:145], v[8:9]
	v_fma_f64 v[142:143], v[142:143], v[8:9], -v[10:11]
	scratch_load_b128 v[8:11], off, off offset:624
	s_wait_loadcnt_dscnt 0xc01
	v_mul_f64_e32 v[164:165], v[4:5], v[14:15]
	v_mul_f64_e32 v[14:15], v[6:7], v[14:15]
	v_add_f64_e32 v[144:145], 0, v[162:163]
	v_add_f64_e32 v[158:159], 0, v[158:159]
	s_wait_loadcnt_dscnt 0xb00
	v_mul_f64_e32 v[162:163], v[134:135], v[108:109]
	v_mul_f64_e32 v[108:109], v[136:137], v[108:109]
	v_fmac_f64_e32 v[164:165], v[6:7], v[12:13]
	v_fma_f64 v[166:167], v[4:5], v[12:13], -v[14:15]
	ds_load_b128 v[4:7], v2 offset:1184
	ds_load_b128 v[12:15], v2 offset:1200
	v_add_f64_e32 v[168:169], v[144:145], v[142:143]
	v_add_f64_e32 v[158:159], v[158:159], v[160:161]
	scratch_load_b128 v[142:145], off, off offset:640
	v_fmac_f64_e32 v[162:163], v[136:137], v[106:107]
	v_fma_f64 v[134:135], v[134:135], v[106:107], -v[108:109]
	scratch_load_b128 v[106:109], off, off offset:656
	s_wait_loadcnt_dscnt 0xc01
	v_mul_f64_e32 v[160:161], v[4:5], v[112:113]
	v_mul_f64_e32 v[112:113], v[6:7], v[112:113]
	v_add_f64_e32 v[136:137], v[168:169], v[166:167]
	v_add_f64_e32 v[158:159], v[158:159], v[164:165]
	s_wait_loadcnt_dscnt 0xb00
	v_mul_f64_e32 v[164:165], v[12:13], v[116:117]
	v_mul_f64_e32 v[116:117], v[14:15], v[116:117]
	v_fmac_f64_e32 v[160:161], v[6:7], v[110:111]
	v_fma_f64 v[166:167], v[4:5], v[110:111], -v[112:113]
	ds_load_b128 v[4:7], v2 offset:1216
	ds_load_b128 v[110:113], v2 offset:1232
	v_add_f64_e32 v[168:169], v[136:137], v[134:135]
	v_add_f64_e32 v[158:159], v[158:159], v[162:163]
	scratch_load_b128 v[134:137], off, off offset:672
	s_wait_loadcnt_dscnt 0xb01
	v_mul_f64_e32 v[162:163], v[4:5], v[120:121]
	v_mul_f64_e32 v[120:121], v[6:7], v[120:121]
	v_fmac_f64_e32 v[164:165], v[14:15], v[114:115]
	v_fma_f64 v[114:115], v[12:13], v[114:115], -v[116:117]
	scratch_load_b128 v[12:15], off, off offset:688
	v_add_f64_e32 v[116:117], v[168:169], v[166:167]
	v_add_f64_e32 v[158:159], v[158:159], v[160:161]
	s_wait_loadcnt_dscnt 0xb00
	v_mul_f64_e32 v[160:161], v[110:111], v[124:125]
	v_mul_f64_e32 v[124:125], v[112:113], v[124:125]
	v_fmac_f64_e32 v[162:163], v[6:7], v[118:119]
	v_fma_f64 v[118:119], v[4:5], v[118:119], -v[120:121]
	v_add_f64_e32 v[120:121], v[116:117], v[114:115]
	v_add_f64_e32 v[158:159], v[158:159], v[164:165]
	ds_load_b128 v[4:7], v2 offset:1248
	ds_load_b128 v[114:117], v2 offset:1264
	v_fmac_f64_e32 v[160:161], v[112:113], v[122:123]
	v_fma_f64 v[110:111], v[110:111], v[122:123], -v[124:125]
	s_wait_loadcnt_dscnt 0xa01
	v_mul_f64_e32 v[164:165], v[4:5], v[128:129]
	v_mul_f64_e32 v[128:129], v[6:7], v[128:129]
	s_wait_loadcnt_dscnt 0x900
	v_mul_f64_e32 v[122:123], v[116:117], v[132:133]
	v_add_f64_e32 v[112:113], v[120:121], v[118:119]
	v_add_f64_e32 v[118:119], v[158:159], v[162:163]
	v_mul_f64_e32 v[120:121], v[114:115], v[132:133]
	v_fmac_f64_e32 v[164:165], v[6:7], v[126:127]
	v_fma_f64 v[124:125], v[4:5], v[126:127], -v[128:129]
	v_fma_f64 v[114:115], v[114:115], v[130:131], -v[122:123]
	v_add_f64_e32 v[126:127], v[112:113], v[110:111]
	v_add_f64_e32 v[118:119], v[118:119], v[160:161]
	ds_load_b128 v[4:7], v2 offset:1280
	ds_load_b128 v[110:113], v2 offset:1296
	v_fmac_f64_e32 v[120:121], v[116:117], v[130:131]
	s_wait_loadcnt_dscnt 0x801
	v_mul_f64_e32 v[128:129], v[4:5], v[140:141]
	v_mul_f64_e32 v[132:133], v[6:7], v[140:141]
	s_wait_loadcnt_dscnt 0x600
	v_mul_f64_e32 v[122:123], v[110:111], v[152:153]
	v_add_f64_e32 v[116:117], v[126:127], v[124:125]
	v_add_f64_e32 v[118:119], v[118:119], v[164:165]
	v_mul_f64_e32 v[124:125], v[112:113], v[152:153]
	v_fmac_f64_e32 v[128:129], v[6:7], v[138:139]
	v_fma_f64 v[126:127], v[4:5], v[138:139], -v[132:133]
	v_fmac_f64_e32 v[122:123], v[112:113], v[150:151]
	v_add_f64_e32 v[130:131], v[116:117], v[114:115]
	v_add_f64_e32 v[118:119], v[118:119], v[120:121]
	ds_load_b128 v[4:7], v2 offset:1312
	ds_load_b128 v[114:117], v2 offset:1328
	v_fma_f64 v[110:111], v[110:111], v[150:151], -v[124:125]
	s_wait_loadcnt_dscnt 0x501
	v_mul_f64_e32 v[120:121], v[4:5], v[156:157]
	v_mul_f64_e32 v[132:133], v[6:7], v[156:157]
	s_wait_loadcnt_dscnt 0x400
	v_mul_f64_e32 v[124:125], v[114:115], v[10:11]
	v_mul_f64_e32 v[10:11], v[116:117], v[10:11]
	v_add_f64_e32 v[112:113], v[130:131], v[126:127]
	v_add_f64_e32 v[118:119], v[118:119], v[128:129]
	v_fmac_f64_e32 v[120:121], v[6:7], v[154:155]
	v_fma_f64 v[126:127], v[4:5], v[154:155], -v[132:133]
	v_fmac_f64_e32 v[124:125], v[116:117], v[8:9]
	v_fma_f64 v[8:9], v[114:115], v[8:9], -v[10:11]
	v_add_f64_e32 v[128:129], v[112:113], v[110:111]
	v_add_f64_e32 v[118:119], v[118:119], v[122:123]
	ds_load_b128 v[4:7], v2 offset:1344
	ds_load_b128 v[110:113], v2 offset:1360
	s_wait_loadcnt_dscnt 0x301
	v_mul_f64_e32 v[122:123], v[4:5], v[144:145]
	v_mul_f64_e32 v[130:131], v[6:7], v[144:145]
	s_wait_loadcnt_dscnt 0x200
	v_mul_f64_e32 v[116:117], v[110:111], v[108:109]
	v_mul_f64_e32 v[108:109], v[112:113], v[108:109]
	v_add_f64_e32 v[10:11], v[128:129], v[126:127]
	v_add_f64_e32 v[114:115], v[118:119], v[120:121]
	v_fmac_f64_e32 v[122:123], v[6:7], v[142:143]
	v_fma_f64 v[118:119], v[4:5], v[142:143], -v[130:131]
	v_fmac_f64_e32 v[116:117], v[112:113], v[106:107]
	v_fma_f64 v[106:107], v[110:111], v[106:107], -v[108:109]
	v_add_f64_e32 v[120:121], v[10:11], v[8:9]
	v_add_f64_e32 v[114:115], v[114:115], v[124:125]
	ds_load_b128 v[4:7], v2 offset:1376
	ds_load_b128 v[8:11], v2 offset:1392
	s_wait_loadcnt_dscnt 0x101
	v_mul_f64_e32 v[2:3], v[4:5], v[136:137]
	v_mul_f64_e32 v[124:125], v[6:7], v[136:137]
	s_wait_loadcnt_dscnt 0x0
	v_mul_f64_e32 v[112:113], v[8:9], v[14:15]
	v_mul_f64_e32 v[14:15], v[10:11], v[14:15]
	v_add_f64_e32 v[108:109], v[120:121], v[118:119]
	v_add_f64_e32 v[110:111], v[114:115], v[122:123]
	v_fmac_f64_e32 v[2:3], v[6:7], v[134:135]
	v_fma_f64 v[4:5], v[4:5], v[134:135], -v[124:125]
	v_fmac_f64_e32 v[112:113], v[10:11], v[12:13]
	v_fma_f64 v[8:9], v[8:9], v[12:13], -v[14:15]
	v_add_f64_e32 v[6:7], v[108:109], v[106:107]
	v_add_f64_e32 v[106:107], v[110:111], v[116:117]
	s_delay_alu instid0(VALU_DEP_2) | instskip(NEXT) | instid1(VALU_DEP_2)
	v_add_f64_e32 v[4:5], v[6:7], v[4:5]
	v_add_f64_e32 v[2:3], v[106:107], v[2:3]
	s_delay_alu instid0(VALU_DEP_2) | instskip(NEXT) | instid1(VALU_DEP_2)
	;; [unrolled: 3-line block ×3, first 2 shown]
	v_add_f64_e64 v[2:3], v[146:147], -v[4:5]
	v_add_f64_e64 v[4:5], v[148:149], -v[6:7]
	scratch_store_b128 off, v[2:5], off offset:400
	s_wait_xcnt 0x0
	v_cmpx_lt_u32_e32 24, v1
	s_cbranch_execz .LBB107_229
; %bb.228:
	scratch_load_b128 v[2:5], off, s36
	v_mov_b32_e32 v6, 0
	s_delay_alu instid0(VALU_DEP_1)
	v_dual_mov_b32 v7, v6 :: v_dual_mov_b32 v8, v6
	v_mov_b32_e32 v9, v6
	scratch_store_b128 off, v[6:9], off offset:384
	s_wait_loadcnt 0x0
	ds_store_b128 v104, v[2:5]
.LBB107_229:
	s_wait_xcnt 0x0
	s_or_b32 exec_lo, exec_lo, s2
	s_wait_storecnt_dscnt 0x0
	s_barrier_signal -1
	s_barrier_wait -1
	s_clause 0x9
	scratch_load_b128 v[4:7], off, off offset:400
	scratch_load_b128 v[8:11], off, off offset:416
	;; [unrolled: 1-line block ×10, first 2 shown]
	v_mov_b32_e32 v2, 0
	s_mov_b32 s2, exec_lo
	ds_load_b128 v[134:137], v2 offset:1104
	s_clause 0x2
	scratch_load_b128 v[138:141], off, off offset:560
	scratch_load_b128 v[142:145], off, off offset:384
	;; [unrolled: 1-line block ×3, first 2 shown]
	s_wait_loadcnt_dscnt 0xc00
	v_mul_f64_e32 v[154:155], v[136:137], v[6:7]
	v_mul_f64_e32 v[158:159], v[134:135], v[6:7]
	ds_load_b128 v[146:149], v2 offset:1120
	v_fma_f64 v[162:163], v[134:135], v[4:5], -v[154:155]
	v_fmac_f64_e32 v[158:159], v[136:137], v[4:5]
	ds_load_b128 v[4:7], v2 offset:1136
	s_wait_loadcnt_dscnt 0xb01
	v_mul_f64_e32 v[160:161], v[146:147], v[10:11]
	v_mul_f64_e32 v[10:11], v[148:149], v[10:11]
	scratch_load_b128 v[134:137], off, off offset:592
	ds_load_b128 v[154:157], v2 offset:1152
	s_wait_loadcnt_dscnt 0xb01
	v_mul_f64_e32 v[164:165], v[4:5], v[14:15]
	v_mul_f64_e32 v[14:15], v[6:7], v[14:15]
	v_add_f64_e32 v[158:159], 0, v[158:159]
	v_fmac_f64_e32 v[160:161], v[148:149], v[8:9]
	v_fma_f64 v[146:147], v[146:147], v[8:9], -v[10:11]
	v_add_f64_e32 v[148:149], 0, v[162:163]
	scratch_load_b128 v[8:11], off, off offset:608
	v_fmac_f64_e32 v[164:165], v[6:7], v[12:13]
	v_fma_f64 v[166:167], v[4:5], v[12:13], -v[14:15]
	ds_load_b128 v[4:7], v2 offset:1168
	s_wait_loadcnt_dscnt 0xb01
	v_mul_f64_e32 v[162:163], v[154:155], v[108:109]
	v_mul_f64_e32 v[108:109], v[156:157], v[108:109]
	scratch_load_b128 v[12:15], off, off offset:624
	v_add_f64_e32 v[158:159], v[158:159], v[160:161]
	v_add_f64_e32 v[168:169], v[148:149], v[146:147]
	ds_load_b128 v[146:149], v2 offset:1184
	s_wait_loadcnt_dscnt 0xb01
	v_mul_f64_e32 v[160:161], v[4:5], v[112:113]
	v_mul_f64_e32 v[112:113], v[6:7], v[112:113]
	v_fmac_f64_e32 v[162:163], v[156:157], v[106:107]
	v_fma_f64 v[154:155], v[154:155], v[106:107], -v[108:109]
	scratch_load_b128 v[106:109], off, off offset:640
	v_add_f64_e32 v[158:159], v[158:159], v[164:165]
	v_add_f64_e32 v[156:157], v[168:169], v[166:167]
	v_fmac_f64_e32 v[160:161], v[6:7], v[110:111]
	v_fma_f64 v[166:167], v[4:5], v[110:111], -v[112:113]
	ds_load_b128 v[4:7], v2 offset:1200
	s_wait_loadcnt_dscnt 0xb01
	v_mul_f64_e32 v[164:165], v[146:147], v[116:117]
	v_mul_f64_e32 v[116:117], v[148:149], v[116:117]
	scratch_load_b128 v[110:113], off, off offset:656
	v_add_f64_e32 v[158:159], v[158:159], v[162:163]
	s_wait_loadcnt_dscnt 0xb00
	v_mul_f64_e32 v[162:163], v[4:5], v[120:121]
	v_add_f64_e32 v[168:169], v[156:157], v[154:155]
	v_mul_f64_e32 v[120:121], v[6:7], v[120:121]
	ds_load_b128 v[154:157], v2 offset:1216
	v_fmac_f64_e32 v[164:165], v[148:149], v[114:115]
	v_fma_f64 v[146:147], v[146:147], v[114:115], -v[116:117]
	scratch_load_b128 v[114:117], off, off offset:672
	v_add_f64_e32 v[158:159], v[158:159], v[160:161]
	v_fmac_f64_e32 v[162:163], v[6:7], v[118:119]
	v_add_f64_e32 v[148:149], v[168:169], v[166:167]
	v_fma_f64 v[166:167], v[4:5], v[118:119], -v[120:121]
	ds_load_b128 v[4:7], v2 offset:1232
	s_wait_loadcnt_dscnt 0xb01
	v_mul_f64_e32 v[160:161], v[154:155], v[124:125]
	v_mul_f64_e32 v[124:125], v[156:157], v[124:125]
	scratch_load_b128 v[118:121], off, off offset:688
	v_add_f64_e32 v[158:159], v[158:159], v[164:165]
	s_wait_loadcnt_dscnt 0xb00
	v_mul_f64_e32 v[164:165], v[4:5], v[128:129]
	v_add_f64_e32 v[168:169], v[148:149], v[146:147]
	v_mul_f64_e32 v[128:129], v[6:7], v[128:129]
	ds_load_b128 v[146:149], v2 offset:1248
	v_fmac_f64_e32 v[160:161], v[156:157], v[122:123]
	v_fma_f64 v[122:123], v[154:155], v[122:123], -v[124:125]
	s_wait_loadcnt_dscnt 0xa00
	v_mul_f64_e32 v[156:157], v[146:147], v[132:133]
	v_mul_f64_e32 v[132:133], v[148:149], v[132:133]
	v_add_f64_e32 v[154:155], v[158:159], v[162:163]
	v_fmac_f64_e32 v[164:165], v[6:7], v[126:127]
	v_add_f64_e32 v[124:125], v[168:169], v[166:167]
	v_fma_f64 v[126:127], v[4:5], v[126:127], -v[128:129]
	v_fmac_f64_e32 v[156:157], v[148:149], v[130:131]
	v_fma_f64 v[130:131], v[146:147], v[130:131], -v[132:133]
	v_add_f64_e32 v[154:155], v[154:155], v[160:161]
	v_add_f64_e32 v[128:129], v[124:125], v[122:123]
	ds_load_b128 v[4:7], v2 offset:1264
	ds_load_b128 v[122:125], v2 offset:1280
	s_wait_loadcnt_dscnt 0x901
	v_mul_f64_e32 v[158:159], v[4:5], v[140:141]
	v_mul_f64_e32 v[140:141], v[6:7], v[140:141]
	s_wait_loadcnt_dscnt 0x700
	v_mul_f64_e32 v[132:133], v[122:123], v[152:153]
	v_mul_f64_e32 v[146:147], v[124:125], v[152:153]
	v_add_f64_e32 v[126:127], v[128:129], v[126:127]
	v_add_f64_e32 v[128:129], v[154:155], v[164:165]
	v_fmac_f64_e32 v[158:159], v[6:7], v[138:139]
	v_fma_f64 v[138:139], v[4:5], v[138:139], -v[140:141]
	v_fmac_f64_e32 v[132:133], v[124:125], v[150:151]
	v_fma_f64 v[122:123], v[122:123], v[150:151], -v[146:147]
	v_add_f64_e32 v[130:131], v[126:127], v[130:131]
	v_add_f64_e32 v[140:141], v[128:129], v[156:157]
	ds_load_b128 v[4:7], v2 offset:1296
	ds_load_b128 v[126:129], v2 offset:1312
	s_wait_loadcnt_dscnt 0x601
	v_mul_f64_e32 v[148:149], v[4:5], v[136:137]
	v_mul_f64_e32 v[136:137], v[6:7], v[136:137]
	v_add_f64_e32 v[124:125], v[130:131], v[138:139]
	v_add_f64_e32 v[130:131], v[140:141], v[158:159]
	s_wait_loadcnt_dscnt 0x500
	v_mul_f64_e32 v[138:139], v[126:127], v[10:11]
	v_mul_f64_e32 v[10:11], v[128:129], v[10:11]
	v_fmac_f64_e32 v[148:149], v[6:7], v[134:135]
	v_fma_f64 v[134:135], v[4:5], v[134:135], -v[136:137]
	v_add_f64_e32 v[136:137], v[124:125], v[122:123]
	v_add_f64_e32 v[130:131], v[130:131], v[132:133]
	ds_load_b128 v[4:7], v2 offset:1328
	ds_load_b128 v[122:125], v2 offset:1344
	v_fmac_f64_e32 v[138:139], v[128:129], v[8:9]
	v_fma_f64 v[8:9], v[126:127], v[8:9], -v[10:11]
	s_wait_loadcnt_dscnt 0x401
	v_mul_f64_e32 v[132:133], v[4:5], v[14:15]
	v_mul_f64_e32 v[14:15], v[6:7], v[14:15]
	s_wait_loadcnt_dscnt 0x300
	v_mul_f64_e32 v[128:129], v[122:123], v[108:109]
	v_mul_f64_e32 v[108:109], v[124:125], v[108:109]
	v_add_f64_e32 v[10:11], v[136:137], v[134:135]
	v_add_f64_e32 v[126:127], v[130:131], v[148:149]
	v_fmac_f64_e32 v[132:133], v[6:7], v[12:13]
	v_fma_f64 v[12:13], v[4:5], v[12:13], -v[14:15]
	v_fmac_f64_e32 v[128:129], v[124:125], v[106:107]
	v_fma_f64 v[106:107], v[122:123], v[106:107], -v[108:109]
	v_add_f64_e32 v[14:15], v[10:11], v[8:9]
	v_add_f64_e32 v[126:127], v[126:127], v[138:139]
	ds_load_b128 v[4:7], v2 offset:1360
	ds_load_b128 v[8:11], v2 offset:1376
	s_wait_loadcnt_dscnt 0x201
	v_mul_f64_e32 v[130:131], v[4:5], v[112:113]
	v_mul_f64_e32 v[112:113], v[6:7], v[112:113]
	s_wait_loadcnt_dscnt 0x100
	v_mul_f64_e32 v[108:109], v[8:9], v[116:117]
	v_mul_f64_e32 v[116:117], v[10:11], v[116:117]
	v_add_f64_e32 v[12:13], v[14:15], v[12:13]
	v_add_f64_e32 v[14:15], v[126:127], v[132:133]
	v_fmac_f64_e32 v[130:131], v[6:7], v[110:111]
	v_fma_f64 v[110:111], v[4:5], v[110:111], -v[112:113]
	ds_load_b128 v[4:7], v2 offset:1392
	v_fmac_f64_e32 v[108:109], v[10:11], v[114:115]
	v_fma_f64 v[8:9], v[8:9], v[114:115], -v[116:117]
	v_add_f64_e32 v[12:13], v[12:13], v[106:107]
	v_add_f64_e32 v[14:15], v[14:15], v[128:129]
	s_wait_loadcnt_dscnt 0x0
	v_mul_f64_e32 v[106:107], v[4:5], v[120:121]
	v_mul_f64_e32 v[112:113], v[6:7], v[120:121]
	s_delay_alu instid0(VALU_DEP_4) | instskip(NEXT) | instid1(VALU_DEP_4)
	v_add_f64_e32 v[10:11], v[12:13], v[110:111]
	v_add_f64_e32 v[12:13], v[14:15], v[130:131]
	s_delay_alu instid0(VALU_DEP_4) | instskip(NEXT) | instid1(VALU_DEP_4)
	v_fmac_f64_e32 v[106:107], v[6:7], v[118:119]
	v_fma_f64 v[4:5], v[4:5], v[118:119], -v[112:113]
	s_delay_alu instid0(VALU_DEP_4) | instskip(NEXT) | instid1(VALU_DEP_4)
	v_add_f64_e32 v[6:7], v[10:11], v[8:9]
	v_add_f64_e32 v[8:9], v[12:13], v[108:109]
	s_delay_alu instid0(VALU_DEP_2) | instskip(NEXT) | instid1(VALU_DEP_2)
	v_add_f64_e32 v[4:5], v[6:7], v[4:5]
	v_add_f64_e32 v[6:7], v[8:9], v[106:107]
	s_delay_alu instid0(VALU_DEP_2) | instskip(NEXT) | instid1(VALU_DEP_2)
	v_add_f64_e64 v[4:5], v[142:143], -v[4:5]
	v_add_f64_e64 v[6:7], v[144:145], -v[6:7]
	scratch_store_b128 off, v[4:7], off offset:384
	s_wait_xcnt 0x0
	v_cmpx_lt_u32_e32 23, v1
	s_cbranch_execz .LBB107_231
; %bb.230:
	scratch_load_b128 v[6:9], off, s37
	v_dual_mov_b32 v3, v2 :: v_dual_mov_b32 v4, v2
	v_mov_b32_e32 v5, v2
	scratch_store_b128 off, v[2:5], off offset:368
	s_wait_loadcnt 0x0
	ds_store_b128 v104, v[6:9]
.LBB107_231:
	s_wait_xcnt 0x0
	s_or_b32 exec_lo, exec_lo, s2
	s_wait_storecnt_dscnt 0x0
	s_barrier_signal -1
	s_barrier_wait -1
	s_clause 0x9
	scratch_load_b128 v[4:7], off, off offset:384
	scratch_load_b128 v[8:11], off, off offset:400
	;; [unrolled: 1-line block ×10, first 2 shown]
	ds_load_b128 v[134:137], v2 offset:1088
	ds_load_b128 v[142:145], v2 offset:1104
	s_clause 0x2
	scratch_load_b128 v[138:141], off, off offset:544
	scratch_load_b128 v[146:149], off, off offset:368
	;; [unrolled: 1-line block ×3, first 2 shown]
	s_mov_b32 s2, exec_lo
	s_wait_loadcnt_dscnt 0xc01
	v_mul_f64_e32 v[154:155], v[136:137], v[6:7]
	v_mul_f64_e32 v[158:159], v[134:135], v[6:7]
	s_wait_loadcnt_dscnt 0xb00
	v_mul_f64_e32 v[160:161], v[142:143], v[10:11]
	v_mul_f64_e32 v[10:11], v[144:145], v[10:11]
	s_delay_alu instid0(VALU_DEP_4) | instskip(NEXT) | instid1(VALU_DEP_4)
	v_fma_f64 v[162:163], v[134:135], v[4:5], -v[154:155]
	v_fmac_f64_e32 v[158:159], v[136:137], v[4:5]
	ds_load_b128 v[4:7], v2 offset:1120
	ds_load_b128 v[134:137], v2 offset:1136
	scratch_load_b128 v[154:157], off, off offset:576
	v_fmac_f64_e32 v[160:161], v[144:145], v[8:9]
	v_fma_f64 v[142:143], v[142:143], v[8:9], -v[10:11]
	scratch_load_b128 v[8:11], off, off offset:592
	s_wait_loadcnt_dscnt 0xc01
	v_mul_f64_e32 v[164:165], v[4:5], v[14:15]
	v_mul_f64_e32 v[14:15], v[6:7], v[14:15]
	v_add_f64_e32 v[144:145], 0, v[162:163]
	v_add_f64_e32 v[158:159], 0, v[158:159]
	s_wait_loadcnt_dscnt 0xb00
	v_mul_f64_e32 v[162:163], v[134:135], v[108:109]
	v_mul_f64_e32 v[108:109], v[136:137], v[108:109]
	v_fmac_f64_e32 v[164:165], v[6:7], v[12:13]
	v_fma_f64 v[166:167], v[4:5], v[12:13], -v[14:15]
	ds_load_b128 v[4:7], v2 offset:1152
	ds_load_b128 v[12:15], v2 offset:1168
	v_add_f64_e32 v[168:169], v[144:145], v[142:143]
	v_add_f64_e32 v[158:159], v[158:159], v[160:161]
	scratch_load_b128 v[142:145], off, off offset:608
	v_fmac_f64_e32 v[162:163], v[136:137], v[106:107]
	v_fma_f64 v[134:135], v[134:135], v[106:107], -v[108:109]
	scratch_load_b128 v[106:109], off, off offset:624
	s_wait_loadcnt_dscnt 0xc01
	v_mul_f64_e32 v[160:161], v[4:5], v[112:113]
	v_mul_f64_e32 v[112:113], v[6:7], v[112:113]
	v_add_f64_e32 v[136:137], v[168:169], v[166:167]
	v_add_f64_e32 v[158:159], v[158:159], v[164:165]
	s_wait_loadcnt_dscnt 0xb00
	v_mul_f64_e32 v[164:165], v[12:13], v[116:117]
	v_mul_f64_e32 v[116:117], v[14:15], v[116:117]
	v_fmac_f64_e32 v[160:161], v[6:7], v[110:111]
	v_fma_f64 v[166:167], v[4:5], v[110:111], -v[112:113]
	ds_load_b128 v[4:7], v2 offset:1184
	ds_load_b128 v[110:113], v2 offset:1200
	v_add_f64_e32 v[168:169], v[136:137], v[134:135]
	v_add_f64_e32 v[158:159], v[158:159], v[162:163]
	scratch_load_b128 v[134:137], off, off offset:640
	s_wait_loadcnt_dscnt 0xb01
	v_mul_f64_e32 v[162:163], v[4:5], v[120:121]
	v_mul_f64_e32 v[120:121], v[6:7], v[120:121]
	v_fmac_f64_e32 v[164:165], v[14:15], v[114:115]
	v_fma_f64 v[114:115], v[12:13], v[114:115], -v[116:117]
	scratch_load_b128 v[12:15], off, off offset:656
	v_add_f64_e32 v[116:117], v[168:169], v[166:167]
	v_add_f64_e32 v[158:159], v[158:159], v[160:161]
	s_wait_loadcnt_dscnt 0xb00
	v_mul_f64_e32 v[160:161], v[110:111], v[124:125]
	v_mul_f64_e32 v[124:125], v[112:113], v[124:125]
	v_fmac_f64_e32 v[162:163], v[6:7], v[118:119]
	v_fma_f64 v[166:167], v[4:5], v[118:119], -v[120:121]
	v_add_f64_e32 v[168:169], v[116:117], v[114:115]
	v_add_f64_e32 v[158:159], v[158:159], v[164:165]
	ds_load_b128 v[4:7], v2 offset:1216
	ds_load_b128 v[114:117], v2 offset:1232
	scratch_load_b128 v[118:121], off, off offset:672
	v_fmac_f64_e32 v[160:161], v[112:113], v[122:123]
	v_fma_f64 v[122:123], v[110:111], v[122:123], -v[124:125]
	scratch_load_b128 v[110:113], off, off offset:688
	s_wait_loadcnt_dscnt 0xc01
	v_mul_f64_e32 v[164:165], v[4:5], v[128:129]
	v_mul_f64_e32 v[128:129], v[6:7], v[128:129]
	v_add_f64_e32 v[124:125], v[168:169], v[166:167]
	v_add_f64_e32 v[158:159], v[158:159], v[162:163]
	s_wait_loadcnt_dscnt 0xb00
	v_mul_f64_e32 v[162:163], v[114:115], v[132:133]
	v_mul_f64_e32 v[132:133], v[116:117], v[132:133]
	v_fmac_f64_e32 v[164:165], v[6:7], v[126:127]
	v_fma_f64 v[126:127], v[4:5], v[126:127], -v[128:129]
	v_add_f64_e32 v[128:129], v[124:125], v[122:123]
	v_add_f64_e32 v[158:159], v[158:159], v[160:161]
	ds_load_b128 v[4:7], v2 offset:1248
	ds_load_b128 v[122:125], v2 offset:1264
	v_fmac_f64_e32 v[162:163], v[116:117], v[130:131]
	v_fma_f64 v[114:115], v[114:115], v[130:131], -v[132:133]
	s_wait_loadcnt_dscnt 0xa01
	v_mul_f64_e32 v[160:161], v[4:5], v[140:141]
	v_mul_f64_e32 v[140:141], v[6:7], v[140:141]
	s_wait_loadcnt_dscnt 0x800
	v_mul_f64_e32 v[130:131], v[124:125], v[152:153]
	v_add_f64_e32 v[116:117], v[128:129], v[126:127]
	v_add_f64_e32 v[126:127], v[158:159], v[164:165]
	v_mul_f64_e32 v[128:129], v[122:123], v[152:153]
	v_fmac_f64_e32 v[160:161], v[6:7], v[138:139]
	v_fma_f64 v[132:133], v[4:5], v[138:139], -v[140:141]
	v_fma_f64 v[122:123], v[122:123], v[150:151], -v[130:131]
	v_add_f64_e32 v[138:139], v[116:117], v[114:115]
	v_add_f64_e32 v[126:127], v[126:127], v[162:163]
	ds_load_b128 v[4:7], v2 offset:1280
	ds_load_b128 v[114:117], v2 offset:1296
	v_fmac_f64_e32 v[128:129], v[124:125], v[150:151]
	s_wait_loadcnt_dscnt 0x701
	v_mul_f64_e32 v[140:141], v[4:5], v[156:157]
	v_mul_f64_e32 v[152:153], v[6:7], v[156:157]
	s_wait_loadcnt_dscnt 0x600
	v_mul_f64_e32 v[130:131], v[114:115], v[10:11]
	v_mul_f64_e32 v[10:11], v[116:117], v[10:11]
	v_add_f64_e32 v[124:125], v[138:139], v[132:133]
	v_add_f64_e32 v[126:127], v[126:127], v[160:161]
	v_fmac_f64_e32 v[140:141], v[6:7], v[154:155]
	v_fma_f64 v[132:133], v[4:5], v[154:155], -v[152:153]
	v_fmac_f64_e32 v[130:131], v[116:117], v[8:9]
	v_fma_f64 v[8:9], v[114:115], v[8:9], -v[10:11]
	v_add_f64_e32 v[138:139], v[124:125], v[122:123]
	v_add_f64_e32 v[126:127], v[126:127], v[128:129]
	ds_load_b128 v[4:7], v2 offset:1312
	ds_load_b128 v[122:125], v2 offset:1328
	s_wait_loadcnt_dscnt 0x501
	v_mul_f64_e32 v[128:129], v[4:5], v[144:145]
	v_mul_f64_e32 v[144:145], v[6:7], v[144:145]
	s_wait_loadcnt_dscnt 0x400
	v_mul_f64_e32 v[116:117], v[122:123], v[108:109]
	v_mul_f64_e32 v[108:109], v[124:125], v[108:109]
	v_add_f64_e32 v[10:11], v[138:139], v[132:133]
	v_add_f64_e32 v[114:115], v[126:127], v[140:141]
	v_fmac_f64_e32 v[128:129], v[6:7], v[142:143]
	v_fma_f64 v[126:127], v[4:5], v[142:143], -v[144:145]
	v_fmac_f64_e32 v[116:117], v[124:125], v[106:107]
	v_fma_f64 v[106:107], v[122:123], v[106:107], -v[108:109]
	v_add_f64_e32 v[132:133], v[10:11], v[8:9]
	v_add_f64_e32 v[114:115], v[114:115], v[130:131]
	ds_load_b128 v[4:7], v2 offset:1344
	ds_load_b128 v[8:11], v2 offset:1360
	;; [unrolled: 16-line block ×3, first 2 shown]
	s_wait_loadcnt_dscnt 0x101
	v_mul_f64_e32 v[2:3], v[4:5], v[120:121]
	v_mul_f64_e32 v[116:117], v[6:7], v[120:121]
	s_wait_loadcnt_dscnt 0x0
	v_mul_f64_e32 v[14:15], v[106:107], v[112:113]
	v_mul_f64_e32 v[112:113], v[108:109], v[112:113]
	v_add_f64_e32 v[10:11], v[126:127], v[124:125]
	v_add_f64_e32 v[12:13], v[114:115], v[130:131]
	v_fmac_f64_e32 v[2:3], v[6:7], v[118:119]
	v_fma_f64 v[4:5], v[4:5], v[118:119], -v[116:117]
	v_fmac_f64_e32 v[14:15], v[108:109], v[110:111]
	v_add_f64_e32 v[6:7], v[10:11], v[8:9]
	v_add_f64_e32 v[8:9], v[12:13], v[122:123]
	v_fma_f64 v[10:11], v[106:107], v[110:111], -v[112:113]
	s_delay_alu instid0(VALU_DEP_3) | instskip(NEXT) | instid1(VALU_DEP_3)
	v_add_f64_e32 v[4:5], v[6:7], v[4:5]
	v_add_f64_e32 v[2:3], v[8:9], v[2:3]
	s_delay_alu instid0(VALU_DEP_2) | instskip(NEXT) | instid1(VALU_DEP_2)
	v_add_f64_e32 v[4:5], v[4:5], v[10:11]
	v_add_f64_e32 v[6:7], v[2:3], v[14:15]
	s_delay_alu instid0(VALU_DEP_2) | instskip(NEXT) | instid1(VALU_DEP_2)
	v_add_f64_e64 v[2:3], v[146:147], -v[4:5]
	v_add_f64_e64 v[4:5], v[148:149], -v[6:7]
	scratch_store_b128 off, v[2:5], off offset:368
	s_wait_xcnt 0x0
	v_cmpx_lt_u32_e32 22, v1
	s_cbranch_execz .LBB107_233
; %bb.232:
	scratch_load_b128 v[2:5], off, s38
	v_mov_b32_e32 v6, 0
	s_delay_alu instid0(VALU_DEP_1)
	v_dual_mov_b32 v7, v6 :: v_dual_mov_b32 v8, v6
	v_mov_b32_e32 v9, v6
	scratch_store_b128 off, v[6:9], off offset:352
	s_wait_loadcnt 0x0
	ds_store_b128 v104, v[2:5]
.LBB107_233:
	s_wait_xcnt 0x0
	s_or_b32 exec_lo, exec_lo, s2
	s_wait_storecnt_dscnt 0x0
	s_barrier_signal -1
	s_barrier_wait -1
	s_clause 0x9
	scratch_load_b128 v[4:7], off, off offset:368
	scratch_load_b128 v[8:11], off, off offset:384
	;; [unrolled: 1-line block ×10, first 2 shown]
	v_mov_b32_e32 v2, 0
	s_mov_b32 s2, exec_lo
	ds_load_b128 v[134:137], v2 offset:1072
	s_clause 0x2
	scratch_load_b128 v[138:141], off, off offset:528
	scratch_load_b128 v[142:145], off, off offset:352
	;; [unrolled: 1-line block ×3, first 2 shown]
	s_wait_loadcnt_dscnt 0xc00
	v_mul_f64_e32 v[154:155], v[136:137], v[6:7]
	v_mul_f64_e32 v[158:159], v[134:135], v[6:7]
	ds_load_b128 v[146:149], v2 offset:1088
	v_fma_f64 v[162:163], v[134:135], v[4:5], -v[154:155]
	v_fmac_f64_e32 v[158:159], v[136:137], v[4:5]
	ds_load_b128 v[4:7], v2 offset:1104
	s_wait_loadcnt_dscnt 0xb01
	v_mul_f64_e32 v[160:161], v[146:147], v[10:11]
	v_mul_f64_e32 v[10:11], v[148:149], v[10:11]
	scratch_load_b128 v[134:137], off, off offset:560
	ds_load_b128 v[154:157], v2 offset:1120
	s_wait_loadcnt_dscnt 0xb01
	v_mul_f64_e32 v[164:165], v[4:5], v[14:15]
	v_mul_f64_e32 v[14:15], v[6:7], v[14:15]
	v_add_f64_e32 v[158:159], 0, v[158:159]
	v_fmac_f64_e32 v[160:161], v[148:149], v[8:9]
	v_fma_f64 v[146:147], v[146:147], v[8:9], -v[10:11]
	v_add_f64_e32 v[148:149], 0, v[162:163]
	scratch_load_b128 v[8:11], off, off offset:576
	v_fmac_f64_e32 v[164:165], v[6:7], v[12:13]
	v_fma_f64 v[166:167], v[4:5], v[12:13], -v[14:15]
	ds_load_b128 v[4:7], v2 offset:1136
	s_wait_loadcnt_dscnt 0xb01
	v_mul_f64_e32 v[162:163], v[154:155], v[108:109]
	v_mul_f64_e32 v[108:109], v[156:157], v[108:109]
	scratch_load_b128 v[12:15], off, off offset:592
	v_add_f64_e32 v[158:159], v[158:159], v[160:161]
	v_add_f64_e32 v[168:169], v[148:149], v[146:147]
	ds_load_b128 v[146:149], v2 offset:1152
	s_wait_loadcnt_dscnt 0xb01
	v_mul_f64_e32 v[160:161], v[4:5], v[112:113]
	v_mul_f64_e32 v[112:113], v[6:7], v[112:113]
	v_fmac_f64_e32 v[162:163], v[156:157], v[106:107]
	v_fma_f64 v[154:155], v[154:155], v[106:107], -v[108:109]
	scratch_load_b128 v[106:109], off, off offset:608
	v_add_f64_e32 v[158:159], v[158:159], v[164:165]
	v_add_f64_e32 v[156:157], v[168:169], v[166:167]
	v_fmac_f64_e32 v[160:161], v[6:7], v[110:111]
	v_fma_f64 v[166:167], v[4:5], v[110:111], -v[112:113]
	ds_load_b128 v[4:7], v2 offset:1168
	s_wait_loadcnt_dscnt 0xb01
	v_mul_f64_e32 v[164:165], v[146:147], v[116:117]
	v_mul_f64_e32 v[116:117], v[148:149], v[116:117]
	scratch_load_b128 v[110:113], off, off offset:624
	v_add_f64_e32 v[158:159], v[158:159], v[162:163]
	s_wait_loadcnt_dscnt 0xb00
	v_mul_f64_e32 v[162:163], v[4:5], v[120:121]
	v_add_f64_e32 v[168:169], v[156:157], v[154:155]
	v_mul_f64_e32 v[120:121], v[6:7], v[120:121]
	ds_load_b128 v[154:157], v2 offset:1184
	v_fmac_f64_e32 v[164:165], v[148:149], v[114:115]
	v_fma_f64 v[146:147], v[146:147], v[114:115], -v[116:117]
	scratch_load_b128 v[114:117], off, off offset:640
	v_add_f64_e32 v[158:159], v[158:159], v[160:161]
	v_fmac_f64_e32 v[162:163], v[6:7], v[118:119]
	v_add_f64_e32 v[148:149], v[168:169], v[166:167]
	v_fma_f64 v[166:167], v[4:5], v[118:119], -v[120:121]
	ds_load_b128 v[4:7], v2 offset:1200
	s_wait_loadcnt_dscnt 0xb01
	v_mul_f64_e32 v[160:161], v[154:155], v[124:125]
	v_mul_f64_e32 v[124:125], v[156:157], v[124:125]
	scratch_load_b128 v[118:121], off, off offset:656
	v_add_f64_e32 v[158:159], v[158:159], v[164:165]
	s_wait_loadcnt_dscnt 0xb00
	v_mul_f64_e32 v[164:165], v[4:5], v[128:129]
	v_add_f64_e32 v[168:169], v[148:149], v[146:147]
	v_mul_f64_e32 v[128:129], v[6:7], v[128:129]
	ds_load_b128 v[146:149], v2 offset:1216
	v_fmac_f64_e32 v[160:161], v[156:157], v[122:123]
	v_fma_f64 v[154:155], v[154:155], v[122:123], -v[124:125]
	scratch_load_b128 v[122:125], off, off offset:672
	v_add_f64_e32 v[158:159], v[158:159], v[162:163]
	v_fmac_f64_e32 v[164:165], v[6:7], v[126:127]
	v_add_f64_e32 v[156:157], v[168:169], v[166:167]
	v_fma_f64 v[166:167], v[4:5], v[126:127], -v[128:129]
	ds_load_b128 v[4:7], v2 offset:1232
	s_wait_loadcnt_dscnt 0xb01
	v_mul_f64_e32 v[162:163], v[146:147], v[132:133]
	v_mul_f64_e32 v[132:133], v[148:149], v[132:133]
	scratch_load_b128 v[126:129], off, off offset:688
	v_add_f64_e32 v[158:159], v[158:159], v[160:161]
	s_wait_loadcnt_dscnt 0xb00
	v_mul_f64_e32 v[160:161], v[4:5], v[140:141]
	v_add_f64_e32 v[168:169], v[156:157], v[154:155]
	v_mul_f64_e32 v[140:141], v[6:7], v[140:141]
	ds_load_b128 v[154:157], v2 offset:1248
	v_fmac_f64_e32 v[162:163], v[148:149], v[130:131]
	v_fma_f64 v[130:131], v[146:147], v[130:131], -v[132:133]
	s_wait_loadcnt_dscnt 0x900
	v_mul_f64_e32 v[148:149], v[154:155], v[152:153]
	v_mul_f64_e32 v[152:153], v[156:157], v[152:153]
	v_add_f64_e32 v[146:147], v[158:159], v[164:165]
	v_fmac_f64_e32 v[160:161], v[6:7], v[138:139]
	v_add_f64_e32 v[132:133], v[168:169], v[166:167]
	v_fma_f64 v[138:139], v[4:5], v[138:139], -v[140:141]
	v_fmac_f64_e32 v[148:149], v[156:157], v[150:151]
	v_fma_f64 v[150:151], v[154:155], v[150:151], -v[152:153]
	v_add_f64_e32 v[146:147], v[146:147], v[162:163]
	v_add_f64_e32 v[140:141], v[132:133], v[130:131]
	ds_load_b128 v[4:7], v2 offset:1264
	ds_load_b128 v[130:133], v2 offset:1280
	s_wait_loadcnt_dscnt 0x801
	v_mul_f64_e32 v[158:159], v[4:5], v[136:137]
	v_mul_f64_e32 v[136:137], v[6:7], v[136:137]
	v_add_f64_e32 v[138:139], v[140:141], v[138:139]
	v_add_f64_e32 v[140:141], v[146:147], v[160:161]
	s_wait_loadcnt_dscnt 0x700
	v_mul_f64_e32 v[146:147], v[130:131], v[10:11]
	v_mul_f64_e32 v[10:11], v[132:133], v[10:11]
	v_fmac_f64_e32 v[158:159], v[6:7], v[134:135]
	v_fma_f64 v[152:153], v[4:5], v[134:135], -v[136:137]
	ds_load_b128 v[4:7], v2 offset:1296
	ds_load_b128 v[134:137], v2 offset:1312
	v_add_f64_e32 v[138:139], v[138:139], v[150:151]
	v_add_f64_e32 v[140:141], v[140:141], v[148:149]
	v_fmac_f64_e32 v[146:147], v[132:133], v[8:9]
	v_fma_f64 v[8:9], v[130:131], v[8:9], -v[10:11]
	s_wait_loadcnt_dscnt 0x601
	v_mul_f64_e32 v[148:149], v[4:5], v[14:15]
	v_mul_f64_e32 v[14:15], v[6:7], v[14:15]
	s_wait_loadcnt_dscnt 0x500
	v_mul_f64_e32 v[132:133], v[134:135], v[108:109]
	v_mul_f64_e32 v[108:109], v[136:137], v[108:109]
	v_add_f64_e32 v[10:11], v[138:139], v[152:153]
	v_add_f64_e32 v[130:131], v[140:141], v[158:159]
	v_fmac_f64_e32 v[148:149], v[6:7], v[12:13]
	v_fma_f64 v[12:13], v[4:5], v[12:13], -v[14:15]
	v_fmac_f64_e32 v[132:133], v[136:137], v[106:107]
	v_fma_f64 v[106:107], v[134:135], v[106:107], -v[108:109]
	v_add_f64_e32 v[14:15], v[10:11], v[8:9]
	v_add_f64_e32 v[130:131], v[130:131], v[146:147]
	ds_load_b128 v[4:7], v2 offset:1328
	ds_load_b128 v[8:11], v2 offset:1344
	s_wait_loadcnt_dscnt 0x401
	v_mul_f64_e32 v[138:139], v[4:5], v[112:113]
	v_mul_f64_e32 v[112:113], v[6:7], v[112:113]
	s_wait_loadcnt_dscnt 0x300
	v_mul_f64_e32 v[108:109], v[8:9], v[116:117]
	v_mul_f64_e32 v[116:117], v[10:11], v[116:117]
	v_add_f64_e32 v[12:13], v[14:15], v[12:13]
	v_add_f64_e32 v[14:15], v[130:131], v[148:149]
	v_fmac_f64_e32 v[138:139], v[6:7], v[110:111]
	v_fma_f64 v[110:111], v[4:5], v[110:111], -v[112:113]
	v_fmac_f64_e32 v[108:109], v[10:11], v[114:115]
	v_fma_f64 v[8:9], v[8:9], v[114:115], -v[116:117]
	v_add_f64_e32 v[106:107], v[12:13], v[106:107]
	v_add_f64_e32 v[112:113], v[14:15], v[132:133]
	ds_load_b128 v[4:7], v2 offset:1360
	ds_load_b128 v[12:15], v2 offset:1376
	s_wait_loadcnt_dscnt 0x201
	v_mul_f64_e32 v[130:131], v[4:5], v[120:121]
	v_mul_f64_e32 v[120:121], v[6:7], v[120:121]
	v_add_f64_e32 v[10:11], v[106:107], v[110:111]
	v_add_f64_e32 v[106:107], v[112:113], v[138:139]
	s_wait_loadcnt_dscnt 0x100
	v_mul_f64_e32 v[110:111], v[12:13], v[124:125]
	v_mul_f64_e32 v[112:113], v[14:15], v[124:125]
	v_fmac_f64_e32 v[130:131], v[6:7], v[118:119]
	v_fma_f64 v[114:115], v[4:5], v[118:119], -v[120:121]
	ds_load_b128 v[4:7], v2 offset:1392
	v_add_f64_e32 v[8:9], v[10:11], v[8:9]
	v_add_f64_e32 v[10:11], v[106:107], v[108:109]
	v_fmac_f64_e32 v[110:111], v[14:15], v[122:123]
	v_fma_f64 v[12:13], v[12:13], v[122:123], -v[112:113]
	s_wait_loadcnt_dscnt 0x0
	v_mul_f64_e32 v[106:107], v[4:5], v[128:129]
	v_mul_f64_e32 v[108:109], v[6:7], v[128:129]
	v_add_f64_e32 v[8:9], v[8:9], v[114:115]
	v_add_f64_e32 v[10:11], v[10:11], v[130:131]
	s_delay_alu instid0(VALU_DEP_4) | instskip(NEXT) | instid1(VALU_DEP_4)
	v_fmac_f64_e32 v[106:107], v[6:7], v[126:127]
	v_fma_f64 v[4:5], v[4:5], v[126:127], -v[108:109]
	s_delay_alu instid0(VALU_DEP_4) | instskip(NEXT) | instid1(VALU_DEP_4)
	v_add_f64_e32 v[6:7], v[8:9], v[12:13]
	v_add_f64_e32 v[8:9], v[10:11], v[110:111]
	s_delay_alu instid0(VALU_DEP_2) | instskip(NEXT) | instid1(VALU_DEP_2)
	v_add_f64_e32 v[4:5], v[6:7], v[4:5]
	v_add_f64_e32 v[6:7], v[8:9], v[106:107]
	s_delay_alu instid0(VALU_DEP_2) | instskip(NEXT) | instid1(VALU_DEP_2)
	v_add_f64_e64 v[4:5], v[142:143], -v[4:5]
	v_add_f64_e64 v[6:7], v[144:145], -v[6:7]
	scratch_store_b128 off, v[4:7], off offset:352
	s_wait_xcnt 0x0
	v_cmpx_lt_u32_e32 21, v1
	s_cbranch_execz .LBB107_235
; %bb.234:
	scratch_load_b128 v[6:9], off, s39
	v_dual_mov_b32 v3, v2 :: v_dual_mov_b32 v4, v2
	v_mov_b32_e32 v5, v2
	scratch_store_b128 off, v[2:5], off offset:336
	s_wait_loadcnt 0x0
	ds_store_b128 v104, v[6:9]
.LBB107_235:
	s_wait_xcnt 0x0
	s_or_b32 exec_lo, exec_lo, s2
	s_wait_storecnt_dscnt 0x0
	s_barrier_signal -1
	s_barrier_wait -1
	s_clause 0x9
	scratch_load_b128 v[4:7], off, off offset:352
	scratch_load_b128 v[8:11], off, off offset:368
	;; [unrolled: 1-line block ×10, first 2 shown]
	ds_load_b128 v[134:137], v2 offset:1056
	ds_load_b128 v[142:145], v2 offset:1072
	s_clause 0x2
	scratch_load_b128 v[138:141], off, off offset:512
	scratch_load_b128 v[146:149], off, off offset:336
	;; [unrolled: 1-line block ×3, first 2 shown]
	s_mov_b32 s2, exec_lo
	s_wait_loadcnt_dscnt 0xc01
	v_mul_f64_e32 v[154:155], v[136:137], v[6:7]
	v_mul_f64_e32 v[158:159], v[134:135], v[6:7]
	s_wait_loadcnt_dscnt 0xb00
	v_mul_f64_e32 v[160:161], v[142:143], v[10:11]
	v_mul_f64_e32 v[10:11], v[144:145], v[10:11]
	s_delay_alu instid0(VALU_DEP_4) | instskip(NEXT) | instid1(VALU_DEP_4)
	v_fma_f64 v[162:163], v[134:135], v[4:5], -v[154:155]
	v_fmac_f64_e32 v[158:159], v[136:137], v[4:5]
	ds_load_b128 v[4:7], v2 offset:1088
	ds_load_b128 v[134:137], v2 offset:1104
	scratch_load_b128 v[154:157], off, off offset:544
	v_fmac_f64_e32 v[160:161], v[144:145], v[8:9]
	v_fma_f64 v[142:143], v[142:143], v[8:9], -v[10:11]
	scratch_load_b128 v[8:11], off, off offset:560
	s_wait_loadcnt_dscnt 0xc01
	v_mul_f64_e32 v[164:165], v[4:5], v[14:15]
	v_mul_f64_e32 v[14:15], v[6:7], v[14:15]
	v_add_f64_e32 v[144:145], 0, v[162:163]
	v_add_f64_e32 v[158:159], 0, v[158:159]
	s_wait_loadcnt_dscnt 0xb00
	v_mul_f64_e32 v[162:163], v[134:135], v[108:109]
	v_mul_f64_e32 v[108:109], v[136:137], v[108:109]
	v_fmac_f64_e32 v[164:165], v[6:7], v[12:13]
	v_fma_f64 v[166:167], v[4:5], v[12:13], -v[14:15]
	ds_load_b128 v[4:7], v2 offset:1120
	ds_load_b128 v[12:15], v2 offset:1136
	v_add_f64_e32 v[168:169], v[144:145], v[142:143]
	v_add_f64_e32 v[158:159], v[158:159], v[160:161]
	scratch_load_b128 v[142:145], off, off offset:576
	v_fmac_f64_e32 v[162:163], v[136:137], v[106:107]
	v_fma_f64 v[134:135], v[134:135], v[106:107], -v[108:109]
	scratch_load_b128 v[106:109], off, off offset:592
	s_wait_loadcnt_dscnt 0xc01
	v_mul_f64_e32 v[160:161], v[4:5], v[112:113]
	v_mul_f64_e32 v[112:113], v[6:7], v[112:113]
	v_add_f64_e32 v[136:137], v[168:169], v[166:167]
	v_add_f64_e32 v[158:159], v[158:159], v[164:165]
	s_wait_loadcnt_dscnt 0xb00
	v_mul_f64_e32 v[164:165], v[12:13], v[116:117]
	v_mul_f64_e32 v[116:117], v[14:15], v[116:117]
	v_fmac_f64_e32 v[160:161], v[6:7], v[110:111]
	v_fma_f64 v[166:167], v[4:5], v[110:111], -v[112:113]
	ds_load_b128 v[4:7], v2 offset:1152
	ds_load_b128 v[110:113], v2 offset:1168
	v_add_f64_e32 v[168:169], v[136:137], v[134:135]
	v_add_f64_e32 v[158:159], v[158:159], v[162:163]
	scratch_load_b128 v[134:137], off, off offset:608
	s_wait_loadcnt_dscnt 0xb01
	v_mul_f64_e32 v[162:163], v[4:5], v[120:121]
	v_mul_f64_e32 v[120:121], v[6:7], v[120:121]
	v_fmac_f64_e32 v[164:165], v[14:15], v[114:115]
	v_fma_f64 v[114:115], v[12:13], v[114:115], -v[116:117]
	scratch_load_b128 v[12:15], off, off offset:624
	v_add_f64_e32 v[116:117], v[168:169], v[166:167]
	v_add_f64_e32 v[158:159], v[158:159], v[160:161]
	s_wait_loadcnt_dscnt 0xb00
	v_mul_f64_e32 v[160:161], v[110:111], v[124:125]
	v_mul_f64_e32 v[124:125], v[112:113], v[124:125]
	v_fmac_f64_e32 v[162:163], v[6:7], v[118:119]
	v_fma_f64 v[166:167], v[4:5], v[118:119], -v[120:121]
	v_add_f64_e32 v[168:169], v[116:117], v[114:115]
	v_add_f64_e32 v[158:159], v[158:159], v[164:165]
	ds_load_b128 v[4:7], v2 offset:1184
	ds_load_b128 v[114:117], v2 offset:1200
	scratch_load_b128 v[118:121], off, off offset:640
	v_fmac_f64_e32 v[160:161], v[112:113], v[122:123]
	v_fma_f64 v[122:123], v[110:111], v[122:123], -v[124:125]
	scratch_load_b128 v[110:113], off, off offset:656
	s_wait_loadcnt_dscnt 0xc01
	v_mul_f64_e32 v[164:165], v[4:5], v[128:129]
	v_mul_f64_e32 v[128:129], v[6:7], v[128:129]
	v_add_f64_e32 v[124:125], v[168:169], v[166:167]
	v_add_f64_e32 v[158:159], v[158:159], v[162:163]
	s_wait_loadcnt_dscnt 0xb00
	v_mul_f64_e32 v[162:163], v[114:115], v[132:133]
	v_mul_f64_e32 v[132:133], v[116:117], v[132:133]
	v_fmac_f64_e32 v[164:165], v[6:7], v[126:127]
	v_fma_f64 v[166:167], v[4:5], v[126:127], -v[128:129]
	v_add_f64_e32 v[168:169], v[124:125], v[122:123]
	v_add_f64_e32 v[158:159], v[158:159], v[160:161]
	ds_load_b128 v[4:7], v2 offset:1216
	ds_load_b128 v[122:125], v2 offset:1232
	scratch_load_b128 v[126:129], off, off offset:672
	v_fmac_f64_e32 v[162:163], v[116:117], v[130:131]
	v_fma_f64 v[130:131], v[114:115], v[130:131], -v[132:133]
	scratch_load_b128 v[114:117], off, off offset:688
	s_wait_loadcnt_dscnt 0xc01
	v_mul_f64_e32 v[160:161], v[4:5], v[140:141]
	v_mul_f64_e32 v[140:141], v[6:7], v[140:141]
	v_add_f64_e32 v[132:133], v[168:169], v[166:167]
	v_add_f64_e32 v[158:159], v[158:159], v[164:165]
	s_wait_loadcnt_dscnt 0xa00
	v_mul_f64_e32 v[164:165], v[122:123], v[152:153]
	v_mul_f64_e32 v[152:153], v[124:125], v[152:153]
	v_fmac_f64_e32 v[160:161], v[6:7], v[138:139]
	v_fma_f64 v[138:139], v[4:5], v[138:139], -v[140:141]
	v_add_f64_e32 v[140:141], v[132:133], v[130:131]
	v_add_f64_e32 v[158:159], v[158:159], v[162:163]
	ds_load_b128 v[4:7], v2 offset:1248
	ds_load_b128 v[130:133], v2 offset:1264
	v_fmac_f64_e32 v[164:165], v[124:125], v[150:151]
	v_fma_f64 v[122:123], v[122:123], v[150:151], -v[152:153]
	s_wait_loadcnt_dscnt 0x901
	v_mul_f64_e32 v[162:163], v[4:5], v[156:157]
	v_mul_f64_e32 v[156:157], v[6:7], v[156:157]
	v_add_f64_e32 v[124:125], v[140:141], v[138:139]
	v_add_f64_e32 v[138:139], v[158:159], v[160:161]
	s_wait_loadcnt_dscnt 0x800
	v_mul_f64_e32 v[140:141], v[130:131], v[10:11]
	v_mul_f64_e32 v[10:11], v[132:133], v[10:11]
	v_fmac_f64_e32 v[162:163], v[6:7], v[154:155]
	v_fma_f64 v[150:151], v[4:5], v[154:155], -v[156:157]
	v_add_f64_e32 v[152:153], v[124:125], v[122:123]
	v_add_f64_e32 v[138:139], v[138:139], v[164:165]
	ds_load_b128 v[4:7], v2 offset:1280
	ds_load_b128 v[122:125], v2 offset:1296
	v_fmac_f64_e32 v[140:141], v[132:133], v[8:9]
	v_fma_f64 v[8:9], v[130:131], v[8:9], -v[10:11]
	s_wait_loadcnt_dscnt 0x701
	v_mul_f64_e32 v[154:155], v[4:5], v[144:145]
	v_mul_f64_e32 v[144:145], v[6:7], v[144:145]
	s_wait_loadcnt_dscnt 0x600
	v_mul_f64_e32 v[132:133], v[122:123], v[108:109]
	v_mul_f64_e32 v[108:109], v[124:125], v[108:109]
	v_add_f64_e32 v[10:11], v[152:153], v[150:151]
	v_add_f64_e32 v[130:131], v[138:139], v[162:163]
	v_fmac_f64_e32 v[154:155], v[6:7], v[142:143]
	v_fma_f64 v[138:139], v[4:5], v[142:143], -v[144:145]
	v_fmac_f64_e32 v[132:133], v[124:125], v[106:107]
	v_fma_f64 v[106:107], v[122:123], v[106:107], -v[108:109]
	v_add_f64_e32 v[142:143], v[10:11], v[8:9]
	v_add_f64_e32 v[130:131], v[130:131], v[140:141]
	ds_load_b128 v[4:7], v2 offset:1312
	ds_load_b128 v[8:11], v2 offset:1328
	s_wait_loadcnt_dscnt 0x501
	v_mul_f64_e32 v[140:141], v[4:5], v[136:137]
	v_mul_f64_e32 v[136:137], v[6:7], v[136:137]
	s_wait_loadcnt_dscnt 0x400
	v_mul_f64_e32 v[124:125], v[8:9], v[14:15]
	v_mul_f64_e32 v[14:15], v[10:11], v[14:15]
	v_add_f64_e32 v[108:109], v[142:143], v[138:139]
	v_add_f64_e32 v[122:123], v[130:131], v[154:155]
	v_fmac_f64_e32 v[140:141], v[6:7], v[134:135]
	v_fma_f64 v[130:131], v[4:5], v[134:135], -v[136:137]
	v_fmac_f64_e32 v[124:125], v[10:11], v[12:13]
	v_fma_f64 v[8:9], v[8:9], v[12:13], -v[14:15]
	v_add_f64_e32 v[134:135], v[108:109], v[106:107]
	v_add_f64_e32 v[122:123], v[122:123], v[132:133]
	ds_load_b128 v[4:7], v2 offset:1344
	ds_load_b128 v[106:109], v2 offset:1360
	;; [unrolled: 16-line block ×3, first 2 shown]
	s_wait_loadcnt_dscnt 0x101
	v_mul_f64_e32 v[2:3], v[4:5], v[128:129]
	v_mul_f64_e32 v[122:123], v[6:7], v[128:129]
	s_wait_loadcnt_dscnt 0x0
	v_mul_f64_e32 v[110:111], v[8:9], v[116:117]
	v_mul_f64_e32 v[112:113], v[10:11], v[116:117]
	v_add_f64_e32 v[108:109], v[120:121], v[118:119]
	v_add_f64_e32 v[12:13], v[12:13], v[132:133]
	v_fmac_f64_e32 v[2:3], v[6:7], v[126:127]
	v_fma_f64 v[4:5], v[4:5], v[126:127], -v[122:123]
	v_fmac_f64_e32 v[110:111], v[10:11], v[114:115]
	v_fma_f64 v[8:9], v[8:9], v[114:115], -v[112:113]
	v_add_f64_e32 v[6:7], v[108:109], v[106:107]
	v_add_f64_e32 v[12:13], v[12:13], v[14:15]
	s_delay_alu instid0(VALU_DEP_2) | instskip(NEXT) | instid1(VALU_DEP_2)
	v_add_f64_e32 v[4:5], v[6:7], v[4:5]
	v_add_f64_e32 v[2:3], v[12:13], v[2:3]
	s_delay_alu instid0(VALU_DEP_2) | instskip(NEXT) | instid1(VALU_DEP_2)
	;; [unrolled: 3-line block ×3, first 2 shown]
	v_add_f64_e64 v[2:3], v[146:147], -v[4:5]
	v_add_f64_e64 v[4:5], v[148:149], -v[6:7]
	scratch_store_b128 off, v[2:5], off offset:336
	s_wait_xcnt 0x0
	v_cmpx_lt_u32_e32 20, v1
	s_cbranch_execz .LBB107_237
; %bb.236:
	scratch_load_b128 v[2:5], off, s40
	v_mov_b32_e32 v6, 0
	s_delay_alu instid0(VALU_DEP_1)
	v_dual_mov_b32 v7, v6 :: v_dual_mov_b32 v8, v6
	v_mov_b32_e32 v9, v6
	scratch_store_b128 off, v[6:9], off offset:320
	s_wait_loadcnt 0x0
	ds_store_b128 v104, v[2:5]
.LBB107_237:
	s_wait_xcnt 0x0
	s_or_b32 exec_lo, exec_lo, s2
	s_wait_storecnt_dscnt 0x0
	s_barrier_signal -1
	s_barrier_wait -1
	s_clause 0x9
	scratch_load_b128 v[4:7], off, off offset:336
	scratch_load_b128 v[8:11], off, off offset:352
	;; [unrolled: 1-line block ×10, first 2 shown]
	v_mov_b32_e32 v2, 0
	s_mov_b32 s2, exec_lo
	ds_load_b128 v[134:137], v2 offset:1040
	s_clause 0x2
	scratch_load_b128 v[138:141], off, off offset:496
	scratch_load_b128 v[142:145], off, off offset:320
	;; [unrolled: 1-line block ×3, first 2 shown]
	s_wait_loadcnt_dscnt 0xc00
	v_mul_f64_e32 v[154:155], v[136:137], v[6:7]
	v_mul_f64_e32 v[158:159], v[134:135], v[6:7]
	ds_load_b128 v[146:149], v2 offset:1056
	v_fma_f64 v[162:163], v[134:135], v[4:5], -v[154:155]
	v_fmac_f64_e32 v[158:159], v[136:137], v[4:5]
	ds_load_b128 v[4:7], v2 offset:1072
	s_wait_loadcnt_dscnt 0xb01
	v_mul_f64_e32 v[160:161], v[146:147], v[10:11]
	v_mul_f64_e32 v[10:11], v[148:149], v[10:11]
	scratch_load_b128 v[134:137], off, off offset:528
	ds_load_b128 v[154:157], v2 offset:1088
	s_wait_loadcnt_dscnt 0xb01
	v_mul_f64_e32 v[164:165], v[4:5], v[14:15]
	v_mul_f64_e32 v[14:15], v[6:7], v[14:15]
	v_add_f64_e32 v[158:159], 0, v[158:159]
	v_fmac_f64_e32 v[160:161], v[148:149], v[8:9]
	v_fma_f64 v[146:147], v[146:147], v[8:9], -v[10:11]
	v_add_f64_e32 v[148:149], 0, v[162:163]
	scratch_load_b128 v[8:11], off, off offset:544
	v_fmac_f64_e32 v[164:165], v[6:7], v[12:13]
	v_fma_f64 v[166:167], v[4:5], v[12:13], -v[14:15]
	ds_load_b128 v[4:7], v2 offset:1104
	s_wait_loadcnt_dscnt 0xb01
	v_mul_f64_e32 v[162:163], v[154:155], v[108:109]
	v_mul_f64_e32 v[108:109], v[156:157], v[108:109]
	scratch_load_b128 v[12:15], off, off offset:560
	v_add_f64_e32 v[158:159], v[158:159], v[160:161]
	v_add_f64_e32 v[168:169], v[148:149], v[146:147]
	ds_load_b128 v[146:149], v2 offset:1120
	s_wait_loadcnt_dscnt 0xb01
	v_mul_f64_e32 v[160:161], v[4:5], v[112:113]
	v_mul_f64_e32 v[112:113], v[6:7], v[112:113]
	v_fmac_f64_e32 v[162:163], v[156:157], v[106:107]
	v_fma_f64 v[154:155], v[154:155], v[106:107], -v[108:109]
	scratch_load_b128 v[106:109], off, off offset:576
	v_add_f64_e32 v[158:159], v[158:159], v[164:165]
	v_add_f64_e32 v[156:157], v[168:169], v[166:167]
	v_fmac_f64_e32 v[160:161], v[6:7], v[110:111]
	v_fma_f64 v[166:167], v[4:5], v[110:111], -v[112:113]
	ds_load_b128 v[4:7], v2 offset:1136
	s_wait_loadcnt_dscnt 0xb01
	v_mul_f64_e32 v[164:165], v[146:147], v[116:117]
	v_mul_f64_e32 v[116:117], v[148:149], v[116:117]
	scratch_load_b128 v[110:113], off, off offset:592
	v_add_f64_e32 v[158:159], v[158:159], v[162:163]
	s_wait_loadcnt_dscnt 0xb00
	v_mul_f64_e32 v[162:163], v[4:5], v[120:121]
	v_add_f64_e32 v[168:169], v[156:157], v[154:155]
	v_mul_f64_e32 v[120:121], v[6:7], v[120:121]
	ds_load_b128 v[154:157], v2 offset:1152
	v_fmac_f64_e32 v[164:165], v[148:149], v[114:115]
	v_fma_f64 v[146:147], v[146:147], v[114:115], -v[116:117]
	scratch_load_b128 v[114:117], off, off offset:608
	v_add_f64_e32 v[158:159], v[158:159], v[160:161]
	v_fmac_f64_e32 v[162:163], v[6:7], v[118:119]
	v_add_f64_e32 v[148:149], v[168:169], v[166:167]
	v_fma_f64 v[166:167], v[4:5], v[118:119], -v[120:121]
	ds_load_b128 v[4:7], v2 offset:1168
	s_wait_loadcnt_dscnt 0xb01
	v_mul_f64_e32 v[160:161], v[154:155], v[124:125]
	v_mul_f64_e32 v[124:125], v[156:157], v[124:125]
	scratch_load_b128 v[118:121], off, off offset:624
	v_add_f64_e32 v[158:159], v[158:159], v[164:165]
	s_wait_loadcnt_dscnt 0xb00
	v_mul_f64_e32 v[164:165], v[4:5], v[128:129]
	v_add_f64_e32 v[168:169], v[148:149], v[146:147]
	v_mul_f64_e32 v[128:129], v[6:7], v[128:129]
	ds_load_b128 v[146:149], v2 offset:1184
	v_fmac_f64_e32 v[160:161], v[156:157], v[122:123]
	v_fma_f64 v[154:155], v[154:155], v[122:123], -v[124:125]
	scratch_load_b128 v[122:125], off, off offset:640
	v_add_f64_e32 v[158:159], v[158:159], v[162:163]
	v_fmac_f64_e32 v[164:165], v[6:7], v[126:127]
	v_add_f64_e32 v[156:157], v[168:169], v[166:167]
	;; [unrolled: 18-line block ×3, first 2 shown]
	v_fma_f64 v[166:167], v[4:5], v[138:139], -v[140:141]
	ds_load_b128 v[4:7], v2 offset:1232
	s_wait_loadcnt_dscnt 0xa01
	v_mul_f64_e32 v[164:165], v[154:155], v[152:153]
	v_mul_f64_e32 v[152:153], v[156:157], v[152:153]
	scratch_load_b128 v[138:141], off, off offset:688
	v_add_f64_e32 v[158:159], v[158:159], v[162:163]
	v_add_f64_e32 v[168:169], v[148:149], v[146:147]
	s_wait_loadcnt_dscnt 0xa00
	v_mul_f64_e32 v[162:163], v[4:5], v[136:137]
	v_mul_f64_e32 v[136:137], v[6:7], v[136:137]
	v_fmac_f64_e32 v[164:165], v[156:157], v[150:151]
	v_fma_f64 v[150:151], v[154:155], v[150:151], -v[152:153]
	ds_load_b128 v[146:149], v2 offset:1248
	v_add_f64_e32 v[154:155], v[158:159], v[160:161]
	v_add_f64_e32 v[152:153], v[168:169], v[166:167]
	s_wait_loadcnt_dscnt 0x900
	v_mul_f64_e32 v[156:157], v[146:147], v[10:11]
	v_mul_f64_e32 v[10:11], v[148:149], v[10:11]
	v_fmac_f64_e32 v[162:163], v[6:7], v[134:135]
	v_fma_f64 v[158:159], v[4:5], v[134:135], -v[136:137]
	ds_load_b128 v[4:7], v2 offset:1264
	ds_load_b128 v[134:137], v2 offset:1280
	v_add_f64_e32 v[150:151], v[152:153], v[150:151]
	v_add_f64_e32 v[152:153], v[154:155], v[164:165]
	s_wait_loadcnt_dscnt 0x801
	v_mul_f64_e32 v[154:155], v[4:5], v[14:15]
	v_mul_f64_e32 v[14:15], v[6:7], v[14:15]
	v_fmac_f64_e32 v[156:157], v[148:149], v[8:9]
	v_fma_f64 v[8:9], v[146:147], v[8:9], -v[10:11]
	s_wait_loadcnt_dscnt 0x700
	v_mul_f64_e32 v[148:149], v[134:135], v[108:109]
	v_mul_f64_e32 v[108:109], v[136:137], v[108:109]
	v_add_f64_e32 v[10:11], v[150:151], v[158:159]
	v_add_f64_e32 v[146:147], v[152:153], v[162:163]
	v_fmac_f64_e32 v[154:155], v[6:7], v[12:13]
	v_fma_f64 v[12:13], v[4:5], v[12:13], -v[14:15]
	v_fmac_f64_e32 v[148:149], v[136:137], v[106:107]
	v_fma_f64 v[106:107], v[134:135], v[106:107], -v[108:109]
	v_add_f64_e32 v[14:15], v[10:11], v[8:9]
	v_add_f64_e32 v[146:147], v[146:147], v[156:157]
	ds_load_b128 v[4:7], v2 offset:1296
	ds_load_b128 v[8:11], v2 offset:1312
	s_wait_loadcnt_dscnt 0x601
	v_mul_f64_e32 v[150:151], v[4:5], v[112:113]
	v_mul_f64_e32 v[112:113], v[6:7], v[112:113]
	s_wait_loadcnt_dscnt 0x500
	v_mul_f64_e32 v[108:109], v[8:9], v[116:117]
	v_mul_f64_e32 v[116:117], v[10:11], v[116:117]
	v_add_f64_e32 v[12:13], v[14:15], v[12:13]
	v_add_f64_e32 v[14:15], v[146:147], v[154:155]
	v_fmac_f64_e32 v[150:151], v[6:7], v[110:111]
	v_fma_f64 v[110:111], v[4:5], v[110:111], -v[112:113]
	v_fmac_f64_e32 v[108:109], v[10:11], v[114:115]
	v_fma_f64 v[8:9], v[8:9], v[114:115], -v[116:117]
	v_add_f64_e32 v[106:107], v[12:13], v[106:107]
	v_add_f64_e32 v[112:113], v[14:15], v[148:149]
	ds_load_b128 v[4:7], v2 offset:1328
	ds_load_b128 v[12:15], v2 offset:1344
	s_wait_loadcnt_dscnt 0x401
	v_mul_f64_e32 v[134:135], v[4:5], v[120:121]
	v_mul_f64_e32 v[120:121], v[6:7], v[120:121]
	v_add_f64_e32 v[10:11], v[106:107], v[110:111]
	v_add_f64_e32 v[106:107], v[112:113], v[150:151]
	s_wait_loadcnt_dscnt 0x300
	v_mul_f64_e32 v[110:111], v[12:13], v[124:125]
	v_mul_f64_e32 v[112:113], v[14:15], v[124:125]
	v_fmac_f64_e32 v[134:135], v[6:7], v[118:119]
	v_fma_f64 v[114:115], v[4:5], v[118:119], -v[120:121]
	v_add_f64_e32 v[116:117], v[10:11], v[8:9]
	v_add_f64_e32 v[106:107], v[106:107], v[108:109]
	ds_load_b128 v[4:7], v2 offset:1360
	ds_load_b128 v[8:11], v2 offset:1376
	v_fmac_f64_e32 v[110:111], v[14:15], v[122:123]
	v_fma_f64 v[12:13], v[12:13], v[122:123], -v[112:113]
	s_wait_loadcnt_dscnt 0x201
	v_mul_f64_e32 v[108:109], v[4:5], v[128:129]
	v_mul_f64_e32 v[118:119], v[6:7], v[128:129]
	s_wait_loadcnt_dscnt 0x100
	v_mul_f64_e32 v[112:113], v[8:9], v[132:133]
	v_add_f64_e32 v[14:15], v[116:117], v[114:115]
	v_add_f64_e32 v[106:107], v[106:107], v[134:135]
	v_mul_f64_e32 v[114:115], v[10:11], v[132:133]
	v_fmac_f64_e32 v[108:109], v[6:7], v[126:127]
	v_fma_f64 v[116:117], v[4:5], v[126:127], -v[118:119]
	ds_load_b128 v[4:7], v2 offset:1392
	v_fmac_f64_e32 v[112:113], v[10:11], v[130:131]
	v_add_f64_e32 v[12:13], v[14:15], v[12:13]
	v_add_f64_e32 v[14:15], v[106:107], v[110:111]
	v_fma_f64 v[8:9], v[8:9], v[130:131], -v[114:115]
	s_wait_loadcnt_dscnt 0x0
	v_mul_f64_e32 v[106:107], v[4:5], v[140:141]
	v_mul_f64_e32 v[110:111], v[6:7], v[140:141]
	v_add_f64_e32 v[10:11], v[12:13], v[116:117]
	v_add_f64_e32 v[12:13], v[14:15], v[108:109]
	s_delay_alu instid0(VALU_DEP_4) | instskip(NEXT) | instid1(VALU_DEP_4)
	v_fmac_f64_e32 v[106:107], v[6:7], v[138:139]
	v_fma_f64 v[4:5], v[4:5], v[138:139], -v[110:111]
	s_delay_alu instid0(VALU_DEP_4) | instskip(NEXT) | instid1(VALU_DEP_4)
	v_add_f64_e32 v[6:7], v[10:11], v[8:9]
	v_add_f64_e32 v[8:9], v[12:13], v[112:113]
	s_delay_alu instid0(VALU_DEP_2) | instskip(NEXT) | instid1(VALU_DEP_2)
	v_add_f64_e32 v[4:5], v[6:7], v[4:5]
	v_add_f64_e32 v[6:7], v[8:9], v[106:107]
	s_delay_alu instid0(VALU_DEP_2) | instskip(NEXT) | instid1(VALU_DEP_2)
	v_add_f64_e64 v[4:5], v[142:143], -v[4:5]
	v_add_f64_e64 v[6:7], v[144:145], -v[6:7]
	scratch_store_b128 off, v[4:7], off offset:320
	s_wait_xcnt 0x0
	v_cmpx_lt_u32_e32 19, v1
	s_cbranch_execz .LBB107_239
; %bb.238:
	scratch_load_b128 v[6:9], off, s41
	v_dual_mov_b32 v3, v2 :: v_dual_mov_b32 v4, v2
	v_mov_b32_e32 v5, v2
	scratch_store_b128 off, v[2:5], off offset:304
	s_wait_loadcnt 0x0
	ds_store_b128 v104, v[6:9]
.LBB107_239:
	s_wait_xcnt 0x0
	s_or_b32 exec_lo, exec_lo, s2
	s_wait_storecnt_dscnt 0x0
	s_barrier_signal -1
	s_barrier_wait -1
	s_clause 0x9
	scratch_load_b128 v[4:7], off, off offset:320
	scratch_load_b128 v[8:11], off, off offset:336
	;; [unrolled: 1-line block ×10, first 2 shown]
	ds_load_b128 v[134:137], v2 offset:1024
	ds_load_b128 v[142:145], v2 offset:1040
	s_clause 0x2
	scratch_load_b128 v[138:141], off, off offset:480
	scratch_load_b128 v[146:149], off, off offset:304
	;; [unrolled: 1-line block ×3, first 2 shown]
	s_mov_b32 s2, exec_lo
	s_wait_loadcnt_dscnt 0xc01
	v_mul_f64_e32 v[154:155], v[136:137], v[6:7]
	v_mul_f64_e32 v[158:159], v[134:135], v[6:7]
	s_wait_loadcnt_dscnt 0xb00
	v_mul_f64_e32 v[160:161], v[142:143], v[10:11]
	v_mul_f64_e32 v[10:11], v[144:145], v[10:11]
	s_delay_alu instid0(VALU_DEP_4) | instskip(NEXT) | instid1(VALU_DEP_4)
	v_fma_f64 v[162:163], v[134:135], v[4:5], -v[154:155]
	v_fmac_f64_e32 v[158:159], v[136:137], v[4:5]
	ds_load_b128 v[4:7], v2 offset:1056
	ds_load_b128 v[134:137], v2 offset:1072
	scratch_load_b128 v[154:157], off, off offset:512
	v_fmac_f64_e32 v[160:161], v[144:145], v[8:9]
	v_fma_f64 v[142:143], v[142:143], v[8:9], -v[10:11]
	scratch_load_b128 v[8:11], off, off offset:528
	s_wait_loadcnt_dscnt 0xc01
	v_mul_f64_e32 v[164:165], v[4:5], v[14:15]
	v_mul_f64_e32 v[14:15], v[6:7], v[14:15]
	v_add_f64_e32 v[144:145], 0, v[162:163]
	v_add_f64_e32 v[158:159], 0, v[158:159]
	s_wait_loadcnt_dscnt 0xb00
	v_mul_f64_e32 v[162:163], v[134:135], v[108:109]
	v_mul_f64_e32 v[108:109], v[136:137], v[108:109]
	v_fmac_f64_e32 v[164:165], v[6:7], v[12:13]
	v_fma_f64 v[166:167], v[4:5], v[12:13], -v[14:15]
	ds_load_b128 v[4:7], v2 offset:1088
	ds_load_b128 v[12:15], v2 offset:1104
	v_add_f64_e32 v[168:169], v[144:145], v[142:143]
	v_add_f64_e32 v[158:159], v[158:159], v[160:161]
	scratch_load_b128 v[142:145], off, off offset:544
	v_fmac_f64_e32 v[162:163], v[136:137], v[106:107]
	v_fma_f64 v[134:135], v[134:135], v[106:107], -v[108:109]
	scratch_load_b128 v[106:109], off, off offset:560
	s_wait_loadcnt_dscnt 0xc01
	v_mul_f64_e32 v[160:161], v[4:5], v[112:113]
	v_mul_f64_e32 v[112:113], v[6:7], v[112:113]
	v_add_f64_e32 v[136:137], v[168:169], v[166:167]
	v_add_f64_e32 v[158:159], v[158:159], v[164:165]
	s_wait_loadcnt_dscnt 0xb00
	v_mul_f64_e32 v[164:165], v[12:13], v[116:117]
	v_mul_f64_e32 v[116:117], v[14:15], v[116:117]
	v_fmac_f64_e32 v[160:161], v[6:7], v[110:111]
	v_fma_f64 v[166:167], v[4:5], v[110:111], -v[112:113]
	ds_load_b128 v[4:7], v2 offset:1120
	ds_load_b128 v[110:113], v2 offset:1136
	v_add_f64_e32 v[168:169], v[136:137], v[134:135]
	v_add_f64_e32 v[158:159], v[158:159], v[162:163]
	scratch_load_b128 v[134:137], off, off offset:576
	s_wait_loadcnt_dscnt 0xb01
	v_mul_f64_e32 v[162:163], v[4:5], v[120:121]
	v_mul_f64_e32 v[120:121], v[6:7], v[120:121]
	v_fmac_f64_e32 v[164:165], v[14:15], v[114:115]
	v_fma_f64 v[114:115], v[12:13], v[114:115], -v[116:117]
	scratch_load_b128 v[12:15], off, off offset:592
	v_add_f64_e32 v[116:117], v[168:169], v[166:167]
	v_add_f64_e32 v[158:159], v[158:159], v[160:161]
	s_wait_loadcnt_dscnt 0xb00
	v_mul_f64_e32 v[160:161], v[110:111], v[124:125]
	v_mul_f64_e32 v[124:125], v[112:113], v[124:125]
	v_fmac_f64_e32 v[162:163], v[6:7], v[118:119]
	v_fma_f64 v[166:167], v[4:5], v[118:119], -v[120:121]
	v_add_f64_e32 v[168:169], v[116:117], v[114:115]
	v_add_f64_e32 v[158:159], v[158:159], v[164:165]
	ds_load_b128 v[4:7], v2 offset:1152
	ds_load_b128 v[114:117], v2 offset:1168
	scratch_load_b128 v[118:121], off, off offset:608
	v_fmac_f64_e32 v[160:161], v[112:113], v[122:123]
	v_fma_f64 v[122:123], v[110:111], v[122:123], -v[124:125]
	scratch_load_b128 v[110:113], off, off offset:624
	s_wait_loadcnt_dscnt 0xc01
	v_mul_f64_e32 v[164:165], v[4:5], v[128:129]
	v_mul_f64_e32 v[128:129], v[6:7], v[128:129]
	v_add_f64_e32 v[124:125], v[168:169], v[166:167]
	v_add_f64_e32 v[158:159], v[158:159], v[162:163]
	s_wait_loadcnt_dscnt 0xb00
	v_mul_f64_e32 v[162:163], v[114:115], v[132:133]
	v_mul_f64_e32 v[132:133], v[116:117], v[132:133]
	v_fmac_f64_e32 v[164:165], v[6:7], v[126:127]
	v_fma_f64 v[166:167], v[4:5], v[126:127], -v[128:129]
	v_add_f64_e32 v[168:169], v[124:125], v[122:123]
	v_add_f64_e32 v[158:159], v[158:159], v[160:161]
	ds_load_b128 v[4:7], v2 offset:1184
	ds_load_b128 v[122:125], v2 offset:1200
	scratch_load_b128 v[126:129], off, off offset:640
	v_fmac_f64_e32 v[162:163], v[116:117], v[130:131]
	v_fma_f64 v[130:131], v[114:115], v[130:131], -v[132:133]
	scratch_load_b128 v[114:117], off, off offset:656
	s_wait_loadcnt_dscnt 0xc01
	v_mul_f64_e32 v[160:161], v[4:5], v[140:141]
	v_mul_f64_e32 v[140:141], v[6:7], v[140:141]
	;; [unrolled: 18-line block ×3, first 2 shown]
	v_add_f64_e32 v[152:153], v[168:169], v[166:167]
	v_add_f64_e32 v[158:159], v[158:159], v[160:161]
	s_wait_loadcnt_dscnt 0xa00
	v_mul_f64_e32 v[160:161], v[130:131], v[10:11]
	v_mul_f64_e32 v[10:11], v[132:133], v[10:11]
	v_fmac_f64_e32 v[162:163], v[6:7], v[154:155]
	v_fma_f64 v[154:155], v[4:5], v[154:155], -v[156:157]
	v_add_f64_e32 v[156:157], v[152:153], v[150:151]
	v_add_f64_e32 v[158:159], v[158:159], v[164:165]
	ds_load_b128 v[4:7], v2 offset:1248
	ds_load_b128 v[150:153], v2 offset:1264
	v_fmac_f64_e32 v[160:161], v[132:133], v[8:9]
	v_fma_f64 v[8:9], v[130:131], v[8:9], -v[10:11]
	s_wait_loadcnt_dscnt 0x901
	v_mul_f64_e32 v[164:165], v[4:5], v[144:145]
	v_mul_f64_e32 v[144:145], v[6:7], v[144:145]
	s_wait_loadcnt_dscnt 0x800
	v_mul_f64_e32 v[132:133], v[150:151], v[108:109]
	v_mul_f64_e32 v[108:109], v[152:153], v[108:109]
	v_add_f64_e32 v[10:11], v[156:157], v[154:155]
	v_add_f64_e32 v[130:131], v[158:159], v[162:163]
	v_fmac_f64_e32 v[164:165], v[6:7], v[142:143]
	v_fma_f64 v[142:143], v[4:5], v[142:143], -v[144:145]
	v_fmac_f64_e32 v[132:133], v[152:153], v[106:107]
	v_fma_f64 v[106:107], v[150:151], v[106:107], -v[108:109]
	v_add_f64_e32 v[144:145], v[10:11], v[8:9]
	v_add_f64_e32 v[130:131], v[130:131], v[160:161]
	ds_load_b128 v[4:7], v2 offset:1280
	ds_load_b128 v[8:11], v2 offset:1296
	s_wait_loadcnt_dscnt 0x701
	v_mul_f64_e32 v[154:155], v[4:5], v[136:137]
	v_mul_f64_e32 v[136:137], v[6:7], v[136:137]
	v_add_f64_e32 v[108:109], v[144:145], v[142:143]
	v_add_f64_e32 v[130:131], v[130:131], v[164:165]
	s_wait_loadcnt_dscnt 0x600
	v_mul_f64_e32 v[142:143], v[8:9], v[14:15]
	v_mul_f64_e32 v[14:15], v[10:11], v[14:15]
	v_fmac_f64_e32 v[154:155], v[6:7], v[134:135]
	v_fma_f64 v[134:135], v[4:5], v[134:135], -v[136:137]
	v_add_f64_e32 v[136:137], v[108:109], v[106:107]
	v_add_f64_e32 v[130:131], v[130:131], v[132:133]
	ds_load_b128 v[4:7], v2 offset:1312
	ds_load_b128 v[106:109], v2 offset:1328
	v_fmac_f64_e32 v[142:143], v[10:11], v[12:13]
	v_fma_f64 v[8:9], v[8:9], v[12:13], -v[14:15]
	s_wait_loadcnt_dscnt 0x501
	v_mul_f64_e32 v[132:133], v[4:5], v[120:121]
	v_mul_f64_e32 v[120:121], v[6:7], v[120:121]
	s_wait_loadcnt_dscnt 0x400
	v_mul_f64_e32 v[14:15], v[106:107], v[112:113]
	v_mul_f64_e32 v[112:113], v[108:109], v[112:113]
	v_add_f64_e32 v[10:11], v[136:137], v[134:135]
	v_add_f64_e32 v[12:13], v[130:131], v[154:155]
	v_fmac_f64_e32 v[132:133], v[6:7], v[118:119]
	v_fma_f64 v[118:119], v[4:5], v[118:119], -v[120:121]
	v_fmac_f64_e32 v[14:15], v[108:109], v[110:111]
	v_fma_f64 v[106:107], v[106:107], v[110:111], -v[112:113]
	v_add_f64_e32 v[120:121], v[10:11], v[8:9]
	v_add_f64_e32 v[12:13], v[12:13], v[142:143]
	ds_load_b128 v[4:7], v2 offset:1344
	ds_load_b128 v[8:11], v2 offset:1360
	s_wait_loadcnt_dscnt 0x301
	v_mul_f64_e32 v[130:131], v[4:5], v[128:129]
	v_mul_f64_e32 v[128:129], v[6:7], v[128:129]
	s_wait_loadcnt_dscnt 0x200
	v_mul_f64_e32 v[110:111], v[8:9], v[116:117]
	v_mul_f64_e32 v[112:113], v[10:11], v[116:117]
	v_add_f64_e32 v[108:109], v[120:121], v[118:119]
	v_add_f64_e32 v[12:13], v[12:13], v[132:133]
	v_fmac_f64_e32 v[130:131], v[6:7], v[126:127]
	v_fma_f64 v[116:117], v[4:5], v[126:127], -v[128:129]
	v_fmac_f64_e32 v[110:111], v[10:11], v[114:115]
	v_fma_f64 v[8:9], v[8:9], v[114:115], -v[112:113]
	v_add_f64_e32 v[106:107], v[108:109], v[106:107]
	v_add_f64_e32 v[108:109], v[12:13], v[14:15]
	ds_load_b128 v[4:7], v2 offset:1376
	ds_load_b128 v[12:15], v2 offset:1392
	s_wait_loadcnt_dscnt 0x101
	v_mul_f64_e32 v[2:3], v[4:5], v[140:141]
	v_mul_f64_e32 v[118:119], v[6:7], v[140:141]
	s_wait_loadcnt_dscnt 0x0
	v_mul_f64_e32 v[112:113], v[14:15], v[124:125]
	v_add_f64_e32 v[10:11], v[106:107], v[116:117]
	v_add_f64_e32 v[106:107], v[108:109], v[130:131]
	v_mul_f64_e32 v[108:109], v[12:13], v[124:125]
	v_fmac_f64_e32 v[2:3], v[6:7], v[138:139]
	v_fma_f64 v[4:5], v[4:5], v[138:139], -v[118:119]
	v_add_f64_e32 v[6:7], v[10:11], v[8:9]
	v_add_f64_e32 v[8:9], v[106:107], v[110:111]
	v_fmac_f64_e32 v[108:109], v[14:15], v[122:123]
	v_fma_f64 v[10:11], v[12:13], v[122:123], -v[112:113]
	s_delay_alu instid0(VALU_DEP_4) | instskip(NEXT) | instid1(VALU_DEP_4)
	v_add_f64_e32 v[4:5], v[6:7], v[4:5]
	v_add_f64_e32 v[2:3], v[8:9], v[2:3]
	s_delay_alu instid0(VALU_DEP_2) | instskip(NEXT) | instid1(VALU_DEP_2)
	v_add_f64_e32 v[4:5], v[4:5], v[10:11]
	v_add_f64_e32 v[6:7], v[2:3], v[108:109]
	s_delay_alu instid0(VALU_DEP_2) | instskip(NEXT) | instid1(VALU_DEP_2)
	v_add_f64_e64 v[2:3], v[146:147], -v[4:5]
	v_add_f64_e64 v[4:5], v[148:149], -v[6:7]
	scratch_store_b128 off, v[2:5], off offset:304
	s_wait_xcnt 0x0
	v_cmpx_lt_u32_e32 18, v1
	s_cbranch_execz .LBB107_241
; %bb.240:
	scratch_load_b128 v[2:5], off, s42
	v_mov_b32_e32 v6, 0
	s_delay_alu instid0(VALU_DEP_1)
	v_dual_mov_b32 v7, v6 :: v_dual_mov_b32 v8, v6
	v_mov_b32_e32 v9, v6
	scratch_store_b128 off, v[6:9], off offset:288
	s_wait_loadcnt 0x0
	ds_store_b128 v104, v[2:5]
.LBB107_241:
	s_wait_xcnt 0x0
	s_or_b32 exec_lo, exec_lo, s2
	s_wait_storecnt_dscnt 0x0
	s_barrier_signal -1
	s_barrier_wait -1
	s_clause 0x9
	scratch_load_b128 v[4:7], off, off offset:304
	scratch_load_b128 v[8:11], off, off offset:320
	;; [unrolled: 1-line block ×10, first 2 shown]
	v_mov_b32_e32 v2, 0
	s_mov_b32 s2, exec_lo
	ds_load_b128 v[134:137], v2 offset:1008
	s_clause 0x2
	scratch_load_b128 v[138:141], off, off offset:464
	scratch_load_b128 v[142:145], off, off offset:288
	;; [unrolled: 1-line block ×3, first 2 shown]
	s_wait_loadcnt_dscnt 0xc00
	v_mul_f64_e32 v[154:155], v[136:137], v[6:7]
	v_mul_f64_e32 v[158:159], v[134:135], v[6:7]
	ds_load_b128 v[146:149], v2 offset:1024
	v_fma_f64 v[162:163], v[134:135], v[4:5], -v[154:155]
	v_fmac_f64_e32 v[158:159], v[136:137], v[4:5]
	ds_load_b128 v[4:7], v2 offset:1040
	s_wait_loadcnt_dscnt 0xb01
	v_mul_f64_e32 v[160:161], v[146:147], v[10:11]
	v_mul_f64_e32 v[10:11], v[148:149], v[10:11]
	scratch_load_b128 v[134:137], off, off offset:496
	ds_load_b128 v[154:157], v2 offset:1056
	s_wait_loadcnt_dscnt 0xb01
	v_mul_f64_e32 v[164:165], v[4:5], v[14:15]
	v_mul_f64_e32 v[14:15], v[6:7], v[14:15]
	v_add_f64_e32 v[158:159], 0, v[158:159]
	v_fmac_f64_e32 v[160:161], v[148:149], v[8:9]
	v_fma_f64 v[146:147], v[146:147], v[8:9], -v[10:11]
	v_add_f64_e32 v[148:149], 0, v[162:163]
	scratch_load_b128 v[8:11], off, off offset:512
	v_fmac_f64_e32 v[164:165], v[6:7], v[12:13]
	v_fma_f64 v[166:167], v[4:5], v[12:13], -v[14:15]
	ds_load_b128 v[4:7], v2 offset:1072
	s_wait_loadcnt_dscnt 0xb01
	v_mul_f64_e32 v[162:163], v[154:155], v[108:109]
	v_mul_f64_e32 v[108:109], v[156:157], v[108:109]
	scratch_load_b128 v[12:15], off, off offset:528
	v_add_f64_e32 v[158:159], v[158:159], v[160:161]
	v_add_f64_e32 v[168:169], v[148:149], v[146:147]
	ds_load_b128 v[146:149], v2 offset:1088
	s_wait_loadcnt_dscnt 0xb01
	v_mul_f64_e32 v[160:161], v[4:5], v[112:113]
	v_mul_f64_e32 v[112:113], v[6:7], v[112:113]
	v_fmac_f64_e32 v[162:163], v[156:157], v[106:107]
	v_fma_f64 v[154:155], v[154:155], v[106:107], -v[108:109]
	scratch_load_b128 v[106:109], off, off offset:544
	v_add_f64_e32 v[158:159], v[158:159], v[164:165]
	v_add_f64_e32 v[156:157], v[168:169], v[166:167]
	v_fmac_f64_e32 v[160:161], v[6:7], v[110:111]
	v_fma_f64 v[166:167], v[4:5], v[110:111], -v[112:113]
	ds_load_b128 v[4:7], v2 offset:1104
	s_wait_loadcnt_dscnt 0xb01
	v_mul_f64_e32 v[164:165], v[146:147], v[116:117]
	v_mul_f64_e32 v[116:117], v[148:149], v[116:117]
	scratch_load_b128 v[110:113], off, off offset:560
	v_add_f64_e32 v[158:159], v[158:159], v[162:163]
	s_wait_loadcnt_dscnt 0xb00
	v_mul_f64_e32 v[162:163], v[4:5], v[120:121]
	v_add_f64_e32 v[168:169], v[156:157], v[154:155]
	v_mul_f64_e32 v[120:121], v[6:7], v[120:121]
	ds_load_b128 v[154:157], v2 offset:1120
	v_fmac_f64_e32 v[164:165], v[148:149], v[114:115]
	v_fma_f64 v[146:147], v[146:147], v[114:115], -v[116:117]
	scratch_load_b128 v[114:117], off, off offset:576
	v_add_f64_e32 v[158:159], v[158:159], v[160:161]
	v_fmac_f64_e32 v[162:163], v[6:7], v[118:119]
	v_add_f64_e32 v[148:149], v[168:169], v[166:167]
	v_fma_f64 v[166:167], v[4:5], v[118:119], -v[120:121]
	ds_load_b128 v[4:7], v2 offset:1136
	s_wait_loadcnt_dscnt 0xb01
	v_mul_f64_e32 v[160:161], v[154:155], v[124:125]
	v_mul_f64_e32 v[124:125], v[156:157], v[124:125]
	scratch_load_b128 v[118:121], off, off offset:592
	v_add_f64_e32 v[158:159], v[158:159], v[164:165]
	s_wait_loadcnt_dscnt 0xb00
	v_mul_f64_e32 v[164:165], v[4:5], v[128:129]
	v_add_f64_e32 v[168:169], v[148:149], v[146:147]
	v_mul_f64_e32 v[128:129], v[6:7], v[128:129]
	ds_load_b128 v[146:149], v2 offset:1152
	v_fmac_f64_e32 v[160:161], v[156:157], v[122:123]
	v_fma_f64 v[154:155], v[154:155], v[122:123], -v[124:125]
	scratch_load_b128 v[122:125], off, off offset:608
	v_add_f64_e32 v[158:159], v[158:159], v[162:163]
	v_fmac_f64_e32 v[164:165], v[6:7], v[126:127]
	v_add_f64_e32 v[156:157], v[168:169], v[166:167]
	;; [unrolled: 18-line block ×3, first 2 shown]
	v_fma_f64 v[166:167], v[4:5], v[138:139], -v[140:141]
	ds_load_b128 v[4:7], v2 offset:1200
	s_wait_loadcnt_dscnt 0xa01
	v_mul_f64_e32 v[164:165], v[154:155], v[152:153]
	v_mul_f64_e32 v[152:153], v[156:157], v[152:153]
	scratch_load_b128 v[138:141], off, off offset:656
	v_add_f64_e32 v[158:159], v[158:159], v[162:163]
	v_add_f64_e32 v[168:169], v[148:149], v[146:147]
	s_wait_loadcnt_dscnt 0xa00
	v_mul_f64_e32 v[162:163], v[4:5], v[136:137]
	v_mul_f64_e32 v[136:137], v[6:7], v[136:137]
	v_fmac_f64_e32 v[164:165], v[156:157], v[150:151]
	v_fma_f64 v[154:155], v[154:155], v[150:151], -v[152:153]
	ds_load_b128 v[146:149], v2 offset:1216
	scratch_load_b128 v[150:153], off, off offset:672
	v_add_f64_e32 v[158:159], v[158:159], v[160:161]
	v_add_f64_e32 v[156:157], v[168:169], v[166:167]
	v_fmac_f64_e32 v[162:163], v[6:7], v[134:135]
	v_fma_f64 v[166:167], v[4:5], v[134:135], -v[136:137]
	ds_load_b128 v[4:7], v2 offset:1232
	s_wait_loadcnt_dscnt 0xa01
	v_mul_f64_e32 v[160:161], v[146:147], v[10:11]
	v_mul_f64_e32 v[10:11], v[148:149], v[10:11]
	scratch_load_b128 v[134:137], off, off offset:688
	v_add_f64_e32 v[158:159], v[158:159], v[164:165]
	s_wait_loadcnt_dscnt 0xa00
	v_mul_f64_e32 v[164:165], v[4:5], v[14:15]
	v_add_f64_e32 v[168:169], v[156:157], v[154:155]
	v_mul_f64_e32 v[14:15], v[6:7], v[14:15]
	ds_load_b128 v[154:157], v2 offset:1248
	v_fmac_f64_e32 v[160:161], v[148:149], v[8:9]
	v_fma_f64 v[8:9], v[146:147], v[8:9], -v[10:11]
	s_wait_loadcnt_dscnt 0x900
	v_mul_f64_e32 v[148:149], v[154:155], v[108:109]
	v_mul_f64_e32 v[108:109], v[156:157], v[108:109]
	v_add_f64_e32 v[146:147], v[158:159], v[162:163]
	v_fmac_f64_e32 v[164:165], v[6:7], v[12:13]
	v_add_f64_e32 v[10:11], v[168:169], v[166:167]
	v_fma_f64 v[12:13], v[4:5], v[12:13], -v[14:15]
	v_fmac_f64_e32 v[148:149], v[156:157], v[106:107]
	v_fma_f64 v[106:107], v[154:155], v[106:107], -v[108:109]
	v_add_f64_e32 v[146:147], v[146:147], v[160:161]
	v_add_f64_e32 v[14:15], v[10:11], v[8:9]
	ds_load_b128 v[4:7], v2 offset:1264
	ds_load_b128 v[8:11], v2 offset:1280
	s_wait_loadcnt_dscnt 0x801
	v_mul_f64_e32 v[158:159], v[4:5], v[112:113]
	v_mul_f64_e32 v[112:113], v[6:7], v[112:113]
	s_wait_loadcnt_dscnt 0x700
	v_mul_f64_e32 v[108:109], v[8:9], v[116:117]
	v_mul_f64_e32 v[116:117], v[10:11], v[116:117]
	v_add_f64_e32 v[12:13], v[14:15], v[12:13]
	v_add_f64_e32 v[14:15], v[146:147], v[164:165]
	v_fmac_f64_e32 v[158:159], v[6:7], v[110:111]
	v_fma_f64 v[110:111], v[4:5], v[110:111], -v[112:113]
	v_fmac_f64_e32 v[108:109], v[10:11], v[114:115]
	v_fma_f64 v[8:9], v[8:9], v[114:115], -v[116:117]
	v_add_f64_e32 v[106:107], v[12:13], v[106:107]
	v_add_f64_e32 v[112:113], v[14:15], v[148:149]
	ds_load_b128 v[4:7], v2 offset:1296
	ds_load_b128 v[12:15], v2 offset:1312
	s_wait_loadcnt_dscnt 0x601
	v_mul_f64_e32 v[146:147], v[4:5], v[120:121]
	v_mul_f64_e32 v[120:121], v[6:7], v[120:121]
	v_add_f64_e32 v[10:11], v[106:107], v[110:111]
	v_add_f64_e32 v[106:107], v[112:113], v[158:159]
	s_wait_loadcnt_dscnt 0x500
	v_mul_f64_e32 v[110:111], v[12:13], v[124:125]
	v_mul_f64_e32 v[112:113], v[14:15], v[124:125]
	v_fmac_f64_e32 v[146:147], v[6:7], v[118:119]
	v_fma_f64 v[114:115], v[4:5], v[118:119], -v[120:121]
	v_add_f64_e32 v[116:117], v[10:11], v[8:9]
	v_add_f64_e32 v[106:107], v[106:107], v[108:109]
	ds_load_b128 v[4:7], v2 offset:1328
	ds_load_b128 v[8:11], v2 offset:1344
	v_fmac_f64_e32 v[110:111], v[14:15], v[122:123]
	v_fma_f64 v[12:13], v[12:13], v[122:123], -v[112:113]
	s_wait_loadcnt_dscnt 0x401
	v_mul_f64_e32 v[108:109], v[4:5], v[128:129]
	v_mul_f64_e32 v[118:119], v[6:7], v[128:129]
	s_wait_loadcnt_dscnt 0x300
	v_mul_f64_e32 v[112:113], v[8:9], v[132:133]
	v_add_f64_e32 v[14:15], v[116:117], v[114:115]
	v_add_f64_e32 v[106:107], v[106:107], v[146:147]
	v_mul_f64_e32 v[114:115], v[10:11], v[132:133]
	v_fmac_f64_e32 v[108:109], v[6:7], v[126:127]
	v_fma_f64 v[116:117], v[4:5], v[126:127], -v[118:119]
	v_fmac_f64_e32 v[112:113], v[10:11], v[130:131]
	v_add_f64_e32 v[118:119], v[14:15], v[12:13]
	v_add_f64_e32 v[106:107], v[106:107], v[110:111]
	ds_load_b128 v[4:7], v2 offset:1360
	ds_load_b128 v[12:15], v2 offset:1376
	v_fma_f64 v[8:9], v[8:9], v[130:131], -v[114:115]
	s_wait_loadcnt_dscnt 0x201
	v_mul_f64_e32 v[110:111], v[4:5], v[140:141]
	v_mul_f64_e32 v[120:121], v[6:7], v[140:141]
	s_wait_loadcnt_dscnt 0x100
	v_mul_f64_e32 v[114:115], v[14:15], v[152:153]
	v_add_f64_e32 v[10:11], v[118:119], v[116:117]
	v_add_f64_e32 v[106:107], v[106:107], v[108:109]
	v_mul_f64_e32 v[108:109], v[12:13], v[152:153]
	v_fmac_f64_e32 v[110:111], v[6:7], v[138:139]
	v_fma_f64 v[116:117], v[4:5], v[138:139], -v[120:121]
	ds_load_b128 v[4:7], v2 offset:1392
	v_fma_f64 v[12:13], v[12:13], v[150:151], -v[114:115]
	v_add_f64_e32 v[8:9], v[10:11], v[8:9]
	v_add_f64_e32 v[10:11], v[106:107], v[112:113]
	v_fmac_f64_e32 v[108:109], v[14:15], v[150:151]
	s_wait_loadcnt_dscnt 0x0
	v_mul_f64_e32 v[106:107], v[4:5], v[136:137]
	v_mul_f64_e32 v[112:113], v[6:7], v[136:137]
	v_add_f64_e32 v[8:9], v[8:9], v[116:117]
	v_add_f64_e32 v[10:11], v[10:11], v[110:111]
	s_delay_alu instid0(VALU_DEP_4) | instskip(NEXT) | instid1(VALU_DEP_4)
	v_fmac_f64_e32 v[106:107], v[6:7], v[134:135]
	v_fma_f64 v[4:5], v[4:5], v[134:135], -v[112:113]
	s_delay_alu instid0(VALU_DEP_4) | instskip(NEXT) | instid1(VALU_DEP_4)
	v_add_f64_e32 v[6:7], v[8:9], v[12:13]
	v_add_f64_e32 v[8:9], v[10:11], v[108:109]
	s_delay_alu instid0(VALU_DEP_2) | instskip(NEXT) | instid1(VALU_DEP_2)
	v_add_f64_e32 v[4:5], v[6:7], v[4:5]
	v_add_f64_e32 v[6:7], v[8:9], v[106:107]
	s_delay_alu instid0(VALU_DEP_2) | instskip(NEXT) | instid1(VALU_DEP_2)
	v_add_f64_e64 v[4:5], v[142:143], -v[4:5]
	v_add_f64_e64 v[6:7], v[144:145], -v[6:7]
	scratch_store_b128 off, v[4:7], off offset:288
	s_wait_xcnt 0x0
	v_cmpx_lt_u32_e32 17, v1
	s_cbranch_execz .LBB107_243
; %bb.242:
	scratch_load_b128 v[6:9], off, s43
	v_dual_mov_b32 v3, v2 :: v_dual_mov_b32 v4, v2
	v_mov_b32_e32 v5, v2
	scratch_store_b128 off, v[2:5], off offset:272
	s_wait_loadcnt 0x0
	ds_store_b128 v104, v[6:9]
.LBB107_243:
	s_wait_xcnt 0x0
	s_or_b32 exec_lo, exec_lo, s2
	s_wait_storecnt_dscnt 0x0
	s_barrier_signal -1
	s_barrier_wait -1
	s_clause 0x9
	scratch_load_b128 v[4:7], off, off offset:288
	scratch_load_b128 v[8:11], off, off offset:304
	;; [unrolled: 1-line block ×10, first 2 shown]
	ds_load_b128 v[134:137], v2 offset:992
	ds_load_b128 v[142:145], v2 offset:1008
	s_clause 0x2
	scratch_load_b128 v[138:141], off, off offset:448
	scratch_load_b128 v[146:149], off, off offset:272
	;; [unrolled: 1-line block ×3, first 2 shown]
	s_mov_b32 s2, exec_lo
	s_wait_loadcnt_dscnt 0xc01
	v_mul_f64_e32 v[154:155], v[136:137], v[6:7]
	v_mul_f64_e32 v[158:159], v[134:135], v[6:7]
	s_wait_loadcnt_dscnt 0xb00
	v_mul_f64_e32 v[160:161], v[142:143], v[10:11]
	v_mul_f64_e32 v[10:11], v[144:145], v[10:11]
	s_delay_alu instid0(VALU_DEP_4) | instskip(NEXT) | instid1(VALU_DEP_4)
	v_fma_f64 v[162:163], v[134:135], v[4:5], -v[154:155]
	v_fmac_f64_e32 v[158:159], v[136:137], v[4:5]
	ds_load_b128 v[4:7], v2 offset:1024
	ds_load_b128 v[134:137], v2 offset:1040
	scratch_load_b128 v[154:157], off, off offset:480
	v_fmac_f64_e32 v[160:161], v[144:145], v[8:9]
	v_fma_f64 v[142:143], v[142:143], v[8:9], -v[10:11]
	scratch_load_b128 v[8:11], off, off offset:496
	s_wait_loadcnt_dscnt 0xc01
	v_mul_f64_e32 v[164:165], v[4:5], v[14:15]
	v_mul_f64_e32 v[14:15], v[6:7], v[14:15]
	v_add_f64_e32 v[144:145], 0, v[162:163]
	v_add_f64_e32 v[158:159], 0, v[158:159]
	s_wait_loadcnt_dscnt 0xb00
	v_mul_f64_e32 v[162:163], v[134:135], v[108:109]
	v_mul_f64_e32 v[108:109], v[136:137], v[108:109]
	v_fmac_f64_e32 v[164:165], v[6:7], v[12:13]
	v_fma_f64 v[166:167], v[4:5], v[12:13], -v[14:15]
	ds_load_b128 v[4:7], v2 offset:1056
	ds_load_b128 v[12:15], v2 offset:1072
	v_add_f64_e32 v[168:169], v[144:145], v[142:143]
	v_add_f64_e32 v[158:159], v[158:159], v[160:161]
	scratch_load_b128 v[142:145], off, off offset:512
	v_fmac_f64_e32 v[162:163], v[136:137], v[106:107]
	v_fma_f64 v[134:135], v[134:135], v[106:107], -v[108:109]
	scratch_load_b128 v[106:109], off, off offset:528
	s_wait_loadcnt_dscnt 0xc01
	v_mul_f64_e32 v[160:161], v[4:5], v[112:113]
	v_mul_f64_e32 v[112:113], v[6:7], v[112:113]
	v_add_f64_e32 v[136:137], v[168:169], v[166:167]
	v_add_f64_e32 v[158:159], v[158:159], v[164:165]
	s_wait_loadcnt_dscnt 0xb00
	v_mul_f64_e32 v[164:165], v[12:13], v[116:117]
	v_mul_f64_e32 v[116:117], v[14:15], v[116:117]
	v_fmac_f64_e32 v[160:161], v[6:7], v[110:111]
	v_fma_f64 v[166:167], v[4:5], v[110:111], -v[112:113]
	ds_load_b128 v[4:7], v2 offset:1088
	ds_load_b128 v[110:113], v2 offset:1104
	v_add_f64_e32 v[168:169], v[136:137], v[134:135]
	v_add_f64_e32 v[158:159], v[158:159], v[162:163]
	scratch_load_b128 v[134:137], off, off offset:544
	s_wait_loadcnt_dscnt 0xb01
	v_mul_f64_e32 v[162:163], v[4:5], v[120:121]
	v_mul_f64_e32 v[120:121], v[6:7], v[120:121]
	v_fmac_f64_e32 v[164:165], v[14:15], v[114:115]
	v_fma_f64 v[114:115], v[12:13], v[114:115], -v[116:117]
	scratch_load_b128 v[12:15], off, off offset:560
	v_add_f64_e32 v[116:117], v[168:169], v[166:167]
	v_add_f64_e32 v[158:159], v[158:159], v[160:161]
	s_wait_loadcnt_dscnt 0xb00
	v_mul_f64_e32 v[160:161], v[110:111], v[124:125]
	v_mul_f64_e32 v[124:125], v[112:113], v[124:125]
	v_fmac_f64_e32 v[162:163], v[6:7], v[118:119]
	v_fma_f64 v[166:167], v[4:5], v[118:119], -v[120:121]
	v_add_f64_e32 v[168:169], v[116:117], v[114:115]
	v_add_f64_e32 v[158:159], v[158:159], v[164:165]
	ds_load_b128 v[4:7], v2 offset:1120
	ds_load_b128 v[114:117], v2 offset:1136
	scratch_load_b128 v[118:121], off, off offset:576
	v_fmac_f64_e32 v[160:161], v[112:113], v[122:123]
	v_fma_f64 v[122:123], v[110:111], v[122:123], -v[124:125]
	scratch_load_b128 v[110:113], off, off offset:592
	s_wait_loadcnt_dscnt 0xc01
	v_mul_f64_e32 v[164:165], v[4:5], v[128:129]
	v_mul_f64_e32 v[128:129], v[6:7], v[128:129]
	v_add_f64_e32 v[124:125], v[168:169], v[166:167]
	v_add_f64_e32 v[158:159], v[158:159], v[162:163]
	s_wait_loadcnt_dscnt 0xb00
	v_mul_f64_e32 v[162:163], v[114:115], v[132:133]
	v_mul_f64_e32 v[132:133], v[116:117], v[132:133]
	v_fmac_f64_e32 v[164:165], v[6:7], v[126:127]
	v_fma_f64 v[166:167], v[4:5], v[126:127], -v[128:129]
	v_add_f64_e32 v[168:169], v[124:125], v[122:123]
	v_add_f64_e32 v[158:159], v[158:159], v[160:161]
	ds_load_b128 v[4:7], v2 offset:1152
	ds_load_b128 v[122:125], v2 offset:1168
	scratch_load_b128 v[126:129], off, off offset:608
	v_fmac_f64_e32 v[162:163], v[116:117], v[130:131]
	v_fma_f64 v[130:131], v[114:115], v[130:131], -v[132:133]
	scratch_load_b128 v[114:117], off, off offset:624
	s_wait_loadcnt_dscnt 0xc01
	v_mul_f64_e32 v[160:161], v[4:5], v[140:141]
	v_mul_f64_e32 v[140:141], v[6:7], v[140:141]
	;; [unrolled: 18-line block ×4, first 2 shown]
	v_add_f64_e32 v[132:133], v[168:169], v[166:167]
	v_add_f64_e32 v[158:159], v[158:159], v[162:163]
	s_wait_loadcnt_dscnt 0xa00
	v_mul_f64_e32 v[162:163], v[150:151], v[108:109]
	v_mul_f64_e32 v[108:109], v[152:153], v[108:109]
	v_fmac_f64_e32 v[164:165], v[6:7], v[142:143]
	v_fma_f64 v[142:143], v[4:5], v[142:143], -v[144:145]
	v_add_f64_e32 v[144:145], v[132:133], v[130:131]
	v_add_f64_e32 v[158:159], v[158:159], v[160:161]
	ds_load_b128 v[4:7], v2 offset:1248
	ds_load_b128 v[130:133], v2 offset:1264
	v_fmac_f64_e32 v[162:163], v[152:153], v[106:107]
	v_fma_f64 v[106:107], v[150:151], v[106:107], -v[108:109]
	s_wait_loadcnt_dscnt 0x901
	v_mul_f64_e32 v[160:161], v[4:5], v[136:137]
	v_mul_f64_e32 v[136:137], v[6:7], v[136:137]
	v_add_f64_e32 v[108:109], v[144:145], v[142:143]
	v_add_f64_e32 v[142:143], v[158:159], v[164:165]
	s_wait_loadcnt_dscnt 0x800
	v_mul_f64_e32 v[144:145], v[130:131], v[14:15]
	v_mul_f64_e32 v[14:15], v[132:133], v[14:15]
	v_fmac_f64_e32 v[160:161], v[6:7], v[134:135]
	v_fma_f64 v[134:135], v[4:5], v[134:135], -v[136:137]
	v_add_f64_e32 v[136:137], v[108:109], v[106:107]
	v_add_f64_e32 v[142:143], v[142:143], v[162:163]
	ds_load_b128 v[4:7], v2 offset:1280
	ds_load_b128 v[106:109], v2 offset:1296
	v_fmac_f64_e32 v[144:145], v[132:133], v[12:13]
	v_fma_f64 v[12:13], v[130:131], v[12:13], -v[14:15]
	s_wait_loadcnt_dscnt 0x701
	v_mul_f64_e32 v[150:151], v[4:5], v[120:121]
	v_mul_f64_e32 v[120:121], v[6:7], v[120:121]
	s_wait_loadcnt_dscnt 0x600
	v_mul_f64_e32 v[132:133], v[106:107], v[112:113]
	v_mul_f64_e32 v[112:113], v[108:109], v[112:113]
	v_add_f64_e32 v[14:15], v[136:137], v[134:135]
	v_add_f64_e32 v[130:131], v[142:143], v[160:161]
	v_fmac_f64_e32 v[150:151], v[6:7], v[118:119]
	v_fma_f64 v[118:119], v[4:5], v[118:119], -v[120:121]
	v_fmac_f64_e32 v[132:133], v[108:109], v[110:111]
	v_fma_f64 v[106:107], v[106:107], v[110:111], -v[112:113]
	v_add_f64_e32 v[120:121], v[14:15], v[12:13]
	v_add_f64_e32 v[130:131], v[130:131], v[144:145]
	ds_load_b128 v[4:7], v2 offset:1312
	ds_load_b128 v[12:15], v2 offset:1328
	s_wait_loadcnt_dscnt 0x501
	v_mul_f64_e32 v[134:135], v[4:5], v[128:129]
	v_mul_f64_e32 v[128:129], v[6:7], v[128:129]
	s_wait_loadcnt_dscnt 0x400
	v_mul_f64_e32 v[112:113], v[12:13], v[116:117]
	v_mul_f64_e32 v[116:117], v[14:15], v[116:117]
	v_add_f64_e32 v[108:109], v[120:121], v[118:119]
	v_add_f64_e32 v[110:111], v[130:131], v[150:151]
	v_fmac_f64_e32 v[134:135], v[6:7], v[126:127]
	v_fma_f64 v[118:119], v[4:5], v[126:127], -v[128:129]
	v_fmac_f64_e32 v[112:113], v[14:15], v[114:115]
	v_fma_f64 v[12:13], v[12:13], v[114:115], -v[116:117]
	v_add_f64_e32 v[120:121], v[108:109], v[106:107]
	v_add_f64_e32 v[110:111], v[110:111], v[132:133]
	ds_load_b128 v[4:7], v2 offset:1344
	ds_load_b128 v[106:109], v2 offset:1360
	;; [unrolled: 16-line block ×3, first 2 shown]
	s_wait_loadcnt_dscnt 0x101
	v_mul_f64_e32 v[2:3], v[4:5], v[156:157]
	v_mul_f64_e32 v[112:113], v[6:7], v[156:157]
	s_wait_loadcnt_dscnt 0x0
	v_mul_f64_e32 v[116:117], v[12:13], v[10:11]
	v_mul_f64_e32 v[10:11], v[14:15], v[10:11]
	v_add_f64_e32 v[108:109], v[120:121], v[118:119]
	v_add_f64_e32 v[110:111], v[110:111], v[126:127]
	v_fmac_f64_e32 v[2:3], v[6:7], v[154:155]
	v_fma_f64 v[4:5], v[4:5], v[154:155], -v[112:113]
	v_fmac_f64_e32 v[116:117], v[14:15], v[8:9]
	v_fma_f64 v[8:9], v[12:13], v[8:9], -v[10:11]
	v_add_f64_e32 v[6:7], v[108:109], v[106:107]
	v_add_f64_e32 v[106:107], v[110:111], v[114:115]
	s_delay_alu instid0(VALU_DEP_2) | instskip(NEXT) | instid1(VALU_DEP_2)
	v_add_f64_e32 v[4:5], v[6:7], v[4:5]
	v_add_f64_e32 v[2:3], v[106:107], v[2:3]
	s_delay_alu instid0(VALU_DEP_2) | instskip(NEXT) | instid1(VALU_DEP_2)
	;; [unrolled: 3-line block ×3, first 2 shown]
	v_add_f64_e64 v[2:3], v[146:147], -v[4:5]
	v_add_f64_e64 v[4:5], v[148:149], -v[6:7]
	scratch_store_b128 off, v[2:5], off offset:272
	s_wait_xcnt 0x0
	v_cmpx_lt_u32_e32 16, v1
	s_cbranch_execz .LBB107_245
; %bb.244:
	scratch_load_b128 v[2:5], off, s44
	v_mov_b32_e32 v6, 0
	s_delay_alu instid0(VALU_DEP_1)
	v_dual_mov_b32 v7, v6 :: v_dual_mov_b32 v8, v6
	v_mov_b32_e32 v9, v6
	scratch_store_b128 off, v[6:9], off offset:256
	s_wait_loadcnt 0x0
	ds_store_b128 v104, v[2:5]
.LBB107_245:
	s_wait_xcnt 0x0
	s_or_b32 exec_lo, exec_lo, s2
	s_wait_storecnt_dscnt 0x0
	s_barrier_signal -1
	s_barrier_wait -1
	s_clause 0x9
	scratch_load_b128 v[4:7], off, off offset:272
	scratch_load_b128 v[8:11], off, off offset:288
	;; [unrolled: 1-line block ×10, first 2 shown]
	v_mov_b32_e32 v2, 0
	s_mov_b32 s2, exec_lo
	ds_load_b128 v[134:137], v2 offset:976
	s_clause 0x2
	scratch_load_b128 v[138:141], off, off offset:432
	scratch_load_b128 v[142:145], off, off offset:256
	;; [unrolled: 1-line block ×3, first 2 shown]
	s_wait_loadcnt_dscnt 0xc00
	v_mul_f64_e32 v[154:155], v[136:137], v[6:7]
	v_mul_f64_e32 v[158:159], v[134:135], v[6:7]
	ds_load_b128 v[146:149], v2 offset:992
	v_fma_f64 v[162:163], v[134:135], v[4:5], -v[154:155]
	v_fmac_f64_e32 v[158:159], v[136:137], v[4:5]
	ds_load_b128 v[4:7], v2 offset:1008
	s_wait_loadcnt_dscnt 0xb01
	v_mul_f64_e32 v[160:161], v[146:147], v[10:11]
	v_mul_f64_e32 v[10:11], v[148:149], v[10:11]
	scratch_load_b128 v[134:137], off, off offset:464
	ds_load_b128 v[154:157], v2 offset:1024
	s_wait_loadcnt_dscnt 0xb01
	v_mul_f64_e32 v[164:165], v[4:5], v[14:15]
	v_mul_f64_e32 v[14:15], v[6:7], v[14:15]
	v_add_f64_e32 v[158:159], 0, v[158:159]
	v_fmac_f64_e32 v[160:161], v[148:149], v[8:9]
	v_fma_f64 v[146:147], v[146:147], v[8:9], -v[10:11]
	v_add_f64_e32 v[148:149], 0, v[162:163]
	scratch_load_b128 v[8:11], off, off offset:480
	v_fmac_f64_e32 v[164:165], v[6:7], v[12:13]
	v_fma_f64 v[166:167], v[4:5], v[12:13], -v[14:15]
	ds_load_b128 v[4:7], v2 offset:1040
	s_wait_loadcnt_dscnt 0xb01
	v_mul_f64_e32 v[162:163], v[154:155], v[108:109]
	v_mul_f64_e32 v[108:109], v[156:157], v[108:109]
	scratch_load_b128 v[12:15], off, off offset:496
	v_add_f64_e32 v[158:159], v[158:159], v[160:161]
	v_add_f64_e32 v[168:169], v[148:149], v[146:147]
	ds_load_b128 v[146:149], v2 offset:1056
	s_wait_loadcnt_dscnt 0xb01
	v_mul_f64_e32 v[160:161], v[4:5], v[112:113]
	v_mul_f64_e32 v[112:113], v[6:7], v[112:113]
	v_fmac_f64_e32 v[162:163], v[156:157], v[106:107]
	v_fma_f64 v[154:155], v[154:155], v[106:107], -v[108:109]
	scratch_load_b128 v[106:109], off, off offset:512
	v_add_f64_e32 v[158:159], v[158:159], v[164:165]
	v_add_f64_e32 v[156:157], v[168:169], v[166:167]
	v_fmac_f64_e32 v[160:161], v[6:7], v[110:111]
	v_fma_f64 v[166:167], v[4:5], v[110:111], -v[112:113]
	ds_load_b128 v[4:7], v2 offset:1072
	s_wait_loadcnt_dscnt 0xb01
	v_mul_f64_e32 v[164:165], v[146:147], v[116:117]
	v_mul_f64_e32 v[116:117], v[148:149], v[116:117]
	scratch_load_b128 v[110:113], off, off offset:528
	v_add_f64_e32 v[158:159], v[158:159], v[162:163]
	s_wait_loadcnt_dscnt 0xb00
	v_mul_f64_e32 v[162:163], v[4:5], v[120:121]
	v_add_f64_e32 v[168:169], v[156:157], v[154:155]
	v_mul_f64_e32 v[120:121], v[6:7], v[120:121]
	ds_load_b128 v[154:157], v2 offset:1088
	v_fmac_f64_e32 v[164:165], v[148:149], v[114:115]
	v_fma_f64 v[146:147], v[146:147], v[114:115], -v[116:117]
	scratch_load_b128 v[114:117], off, off offset:544
	v_add_f64_e32 v[158:159], v[158:159], v[160:161]
	v_fmac_f64_e32 v[162:163], v[6:7], v[118:119]
	v_add_f64_e32 v[148:149], v[168:169], v[166:167]
	v_fma_f64 v[166:167], v[4:5], v[118:119], -v[120:121]
	ds_load_b128 v[4:7], v2 offset:1104
	s_wait_loadcnt_dscnt 0xb01
	v_mul_f64_e32 v[160:161], v[154:155], v[124:125]
	v_mul_f64_e32 v[124:125], v[156:157], v[124:125]
	scratch_load_b128 v[118:121], off, off offset:560
	v_add_f64_e32 v[158:159], v[158:159], v[164:165]
	s_wait_loadcnt_dscnt 0xb00
	v_mul_f64_e32 v[164:165], v[4:5], v[128:129]
	v_add_f64_e32 v[168:169], v[148:149], v[146:147]
	v_mul_f64_e32 v[128:129], v[6:7], v[128:129]
	ds_load_b128 v[146:149], v2 offset:1120
	v_fmac_f64_e32 v[160:161], v[156:157], v[122:123]
	v_fma_f64 v[154:155], v[154:155], v[122:123], -v[124:125]
	scratch_load_b128 v[122:125], off, off offset:576
	v_add_f64_e32 v[158:159], v[158:159], v[162:163]
	v_fmac_f64_e32 v[164:165], v[6:7], v[126:127]
	v_add_f64_e32 v[156:157], v[168:169], v[166:167]
	;; [unrolled: 18-line block ×3, first 2 shown]
	v_fma_f64 v[166:167], v[4:5], v[138:139], -v[140:141]
	ds_load_b128 v[4:7], v2 offset:1168
	s_wait_loadcnt_dscnt 0xa01
	v_mul_f64_e32 v[164:165], v[154:155], v[152:153]
	v_mul_f64_e32 v[152:153], v[156:157], v[152:153]
	scratch_load_b128 v[138:141], off, off offset:624
	v_add_f64_e32 v[158:159], v[158:159], v[162:163]
	v_add_f64_e32 v[168:169], v[148:149], v[146:147]
	s_wait_loadcnt_dscnt 0xa00
	v_mul_f64_e32 v[162:163], v[4:5], v[136:137]
	v_mul_f64_e32 v[136:137], v[6:7], v[136:137]
	v_fmac_f64_e32 v[164:165], v[156:157], v[150:151]
	v_fma_f64 v[154:155], v[154:155], v[150:151], -v[152:153]
	ds_load_b128 v[146:149], v2 offset:1184
	scratch_load_b128 v[150:153], off, off offset:640
	v_add_f64_e32 v[158:159], v[158:159], v[160:161]
	v_add_f64_e32 v[156:157], v[168:169], v[166:167]
	v_fmac_f64_e32 v[162:163], v[6:7], v[134:135]
	v_fma_f64 v[166:167], v[4:5], v[134:135], -v[136:137]
	ds_load_b128 v[4:7], v2 offset:1200
	s_wait_loadcnt_dscnt 0xa01
	v_mul_f64_e32 v[160:161], v[146:147], v[10:11]
	v_mul_f64_e32 v[10:11], v[148:149], v[10:11]
	scratch_load_b128 v[134:137], off, off offset:656
	v_add_f64_e32 v[158:159], v[158:159], v[164:165]
	s_wait_loadcnt_dscnt 0xa00
	v_mul_f64_e32 v[164:165], v[4:5], v[14:15]
	v_add_f64_e32 v[168:169], v[156:157], v[154:155]
	v_mul_f64_e32 v[14:15], v[6:7], v[14:15]
	ds_load_b128 v[154:157], v2 offset:1216
	v_fmac_f64_e32 v[160:161], v[148:149], v[8:9]
	v_fma_f64 v[146:147], v[146:147], v[8:9], -v[10:11]
	scratch_load_b128 v[8:11], off, off offset:672
	v_add_f64_e32 v[158:159], v[158:159], v[162:163]
	v_fmac_f64_e32 v[164:165], v[6:7], v[12:13]
	v_add_f64_e32 v[148:149], v[168:169], v[166:167]
	v_fma_f64 v[166:167], v[4:5], v[12:13], -v[14:15]
	ds_load_b128 v[4:7], v2 offset:1232
	s_wait_loadcnt_dscnt 0xa01
	v_mul_f64_e32 v[162:163], v[154:155], v[108:109]
	v_mul_f64_e32 v[108:109], v[156:157], v[108:109]
	scratch_load_b128 v[12:15], off, off offset:688
	v_add_f64_e32 v[158:159], v[158:159], v[160:161]
	s_wait_loadcnt_dscnt 0xa00
	v_mul_f64_e32 v[160:161], v[4:5], v[112:113]
	v_add_f64_e32 v[168:169], v[148:149], v[146:147]
	v_mul_f64_e32 v[112:113], v[6:7], v[112:113]
	ds_load_b128 v[146:149], v2 offset:1248
	v_fmac_f64_e32 v[162:163], v[156:157], v[106:107]
	v_fma_f64 v[106:107], v[154:155], v[106:107], -v[108:109]
	s_wait_loadcnt_dscnt 0x900
	v_mul_f64_e32 v[156:157], v[146:147], v[116:117]
	v_mul_f64_e32 v[116:117], v[148:149], v[116:117]
	v_add_f64_e32 v[154:155], v[158:159], v[164:165]
	v_fmac_f64_e32 v[160:161], v[6:7], v[110:111]
	v_add_f64_e32 v[108:109], v[168:169], v[166:167]
	v_fma_f64 v[110:111], v[4:5], v[110:111], -v[112:113]
	v_fmac_f64_e32 v[156:157], v[148:149], v[114:115]
	v_fma_f64 v[114:115], v[146:147], v[114:115], -v[116:117]
	v_add_f64_e32 v[154:155], v[154:155], v[162:163]
	v_add_f64_e32 v[112:113], v[108:109], v[106:107]
	ds_load_b128 v[4:7], v2 offset:1264
	ds_load_b128 v[106:109], v2 offset:1280
	s_wait_loadcnt_dscnt 0x801
	v_mul_f64_e32 v[158:159], v[4:5], v[120:121]
	v_mul_f64_e32 v[120:121], v[6:7], v[120:121]
	s_wait_loadcnt_dscnt 0x700
	v_mul_f64_e32 v[116:117], v[106:107], v[124:125]
	v_mul_f64_e32 v[124:125], v[108:109], v[124:125]
	v_add_f64_e32 v[110:111], v[112:113], v[110:111]
	v_add_f64_e32 v[112:113], v[154:155], v[160:161]
	v_fmac_f64_e32 v[158:159], v[6:7], v[118:119]
	v_fma_f64 v[118:119], v[4:5], v[118:119], -v[120:121]
	v_fmac_f64_e32 v[116:117], v[108:109], v[122:123]
	v_fma_f64 v[106:107], v[106:107], v[122:123], -v[124:125]
	v_add_f64_e32 v[114:115], v[110:111], v[114:115]
	v_add_f64_e32 v[120:121], v[112:113], v[156:157]
	ds_load_b128 v[4:7], v2 offset:1296
	ds_load_b128 v[110:113], v2 offset:1312
	s_wait_loadcnt_dscnt 0x601
	v_mul_f64_e32 v[146:147], v[4:5], v[128:129]
	v_mul_f64_e32 v[128:129], v[6:7], v[128:129]
	v_add_f64_e32 v[108:109], v[114:115], v[118:119]
	v_add_f64_e32 v[114:115], v[120:121], v[158:159]
	s_wait_loadcnt_dscnt 0x500
	v_mul_f64_e32 v[118:119], v[110:111], v[132:133]
	v_mul_f64_e32 v[120:121], v[112:113], v[132:133]
	v_fmac_f64_e32 v[146:147], v[6:7], v[126:127]
	v_fma_f64 v[122:123], v[4:5], v[126:127], -v[128:129]
	v_add_f64_e32 v[124:125], v[108:109], v[106:107]
	v_add_f64_e32 v[114:115], v[114:115], v[116:117]
	ds_load_b128 v[4:7], v2 offset:1328
	ds_load_b128 v[106:109], v2 offset:1344
	v_fmac_f64_e32 v[118:119], v[112:113], v[130:131]
	v_fma_f64 v[110:111], v[110:111], v[130:131], -v[120:121]
	s_wait_loadcnt_dscnt 0x401
	v_mul_f64_e32 v[116:117], v[4:5], v[140:141]
	v_mul_f64_e32 v[126:127], v[6:7], v[140:141]
	s_wait_loadcnt_dscnt 0x300
	v_mul_f64_e32 v[120:121], v[106:107], v[152:153]
	v_add_f64_e32 v[112:113], v[124:125], v[122:123]
	v_add_f64_e32 v[114:115], v[114:115], v[146:147]
	v_mul_f64_e32 v[122:123], v[108:109], v[152:153]
	v_fmac_f64_e32 v[116:117], v[6:7], v[138:139]
	v_fma_f64 v[124:125], v[4:5], v[138:139], -v[126:127]
	v_fmac_f64_e32 v[120:121], v[108:109], v[150:151]
	v_add_f64_e32 v[126:127], v[112:113], v[110:111]
	v_add_f64_e32 v[114:115], v[114:115], v[118:119]
	ds_load_b128 v[4:7], v2 offset:1360
	ds_load_b128 v[110:113], v2 offset:1376
	v_fma_f64 v[106:107], v[106:107], v[150:151], -v[122:123]
	s_wait_loadcnt_dscnt 0x201
	v_mul_f64_e32 v[118:119], v[4:5], v[136:137]
	v_mul_f64_e32 v[128:129], v[6:7], v[136:137]
	v_add_f64_e32 v[108:109], v[126:127], v[124:125]
	v_add_f64_e32 v[114:115], v[114:115], v[116:117]
	s_wait_loadcnt_dscnt 0x100
	v_mul_f64_e32 v[116:117], v[110:111], v[10:11]
	v_mul_f64_e32 v[10:11], v[112:113], v[10:11]
	v_fmac_f64_e32 v[118:119], v[6:7], v[134:135]
	v_fma_f64 v[122:123], v[4:5], v[134:135], -v[128:129]
	ds_load_b128 v[4:7], v2 offset:1392
	v_add_f64_e32 v[106:107], v[108:109], v[106:107]
	v_add_f64_e32 v[108:109], v[114:115], v[120:121]
	v_fmac_f64_e32 v[116:117], v[112:113], v[8:9]
	v_fma_f64 v[8:9], v[110:111], v[8:9], -v[10:11]
	s_wait_loadcnt_dscnt 0x0
	v_mul_f64_e32 v[114:115], v[4:5], v[14:15]
	v_mul_f64_e32 v[14:15], v[6:7], v[14:15]
	v_add_f64_e32 v[10:11], v[106:107], v[122:123]
	v_add_f64_e32 v[106:107], v[108:109], v[118:119]
	s_delay_alu instid0(VALU_DEP_4) | instskip(NEXT) | instid1(VALU_DEP_4)
	v_fmac_f64_e32 v[114:115], v[6:7], v[12:13]
	v_fma_f64 v[4:5], v[4:5], v[12:13], -v[14:15]
	s_delay_alu instid0(VALU_DEP_4) | instskip(NEXT) | instid1(VALU_DEP_4)
	v_add_f64_e32 v[6:7], v[10:11], v[8:9]
	v_add_f64_e32 v[8:9], v[106:107], v[116:117]
	s_delay_alu instid0(VALU_DEP_2) | instskip(NEXT) | instid1(VALU_DEP_2)
	v_add_f64_e32 v[4:5], v[6:7], v[4:5]
	v_add_f64_e32 v[6:7], v[8:9], v[114:115]
	s_delay_alu instid0(VALU_DEP_2) | instskip(NEXT) | instid1(VALU_DEP_2)
	v_add_f64_e64 v[4:5], v[142:143], -v[4:5]
	v_add_f64_e64 v[6:7], v[144:145], -v[6:7]
	scratch_store_b128 off, v[4:7], off offset:256
	s_wait_xcnt 0x0
	v_cmpx_lt_u32_e32 15, v1
	s_cbranch_execz .LBB107_247
; %bb.246:
	scratch_load_b128 v[6:9], off, s45
	v_dual_mov_b32 v3, v2 :: v_dual_mov_b32 v4, v2
	v_mov_b32_e32 v5, v2
	scratch_store_b128 off, v[2:5], off offset:240
	s_wait_loadcnt 0x0
	ds_store_b128 v104, v[6:9]
.LBB107_247:
	s_wait_xcnt 0x0
	s_or_b32 exec_lo, exec_lo, s2
	s_wait_storecnt_dscnt 0x0
	s_barrier_signal -1
	s_barrier_wait -1
	s_clause 0x9
	scratch_load_b128 v[4:7], off, off offset:256
	scratch_load_b128 v[8:11], off, off offset:272
	;; [unrolled: 1-line block ×10, first 2 shown]
	ds_load_b128 v[134:137], v2 offset:960
	ds_load_b128 v[142:145], v2 offset:976
	s_clause 0x2
	scratch_load_b128 v[138:141], off, off offset:416
	scratch_load_b128 v[146:149], off, off offset:240
	;; [unrolled: 1-line block ×3, first 2 shown]
	s_mov_b32 s2, exec_lo
	s_wait_loadcnt_dscnt 0xc01
	v_mul_f64_e32 v[154:155], v[136:137], v[6:7]
	v_mul_f64_e32 v[158:159], v[134:135], v[6:7]
	s_wait_loadcnt_dscnt 0xb00
	v_mul_f64_e32 v[160:161], v[142:143], v[10:11]
	v_mul_f64_e32 v[10:11], v[144:145], v[10:11]
	s_delay_alu instid0(VALU_DEP_4) | instskip(NEXT) | instid1(VALU_DEP_4)
	v_fma_f64 v[162:163], v[134:135], v[4:5], -v[154:155]
	v_fmac_f64_e32 v[158:159], v[136:137], v[4:5]
	ds_load_b128 v[4:7], v2 offset:992
	ds_load_b128 v[134:137], v2 offset:1008
	scratch_load_b128 v[154:157], off, off offset:448
	v_fmac_f64_e32 v[160:161], v[144:145], v[8:9]
	v_fma_f64 v[142:143], v[142:143], v[8:9], -v[10:11]
	scratch_load_b128 v[8:11], off, off offset:464
	s_wait_loadcnt_dscnt 0xc01
	v_mul_f64_e32 v[164:165], v[4:5], v[14:15]
	v_mul_f64_e32 v[14:15], v[6:7], v[14:15]
	v_add_f64_e32 v[144:145], 0, v[162:163]
	v_add_f64_e32 v[158:159], 0, v[158:159]
	s_wait_loadcnt_dscnt 0xb00
	v_mul_f64_e32 v[162:163], v[134:135], v[108:109]
	v_mul_f64_e32 v[108:109], v[136:137], v[108:109]
	v_fmac_f64_e32 v[164:165], v[6:7], v[12:13]
	v_fma_f64 v[166:167], v[4:5], v[12:13], -v[14:15]
	ds_load_b128 v[4:7], v2 offset:1024
	ds_load_b128 v[12:15], v2 offset:1040
	v_add_f64_e32 v[168:169], v[144:145], v[142:143]
	v_add_f64_e32 v[158:159], v[158:159], v[160:161]
	scratch_load_b128 v[142:145], off, off offset:480
	v_fmac_f64_e32 v[162:163], v[136:137], v[106:107]
	v_fma_f64 v[134:135], v[134:135], v[106:107], -v[108:109]
	scratch_load_b128 v[106:109], off, off offset:496
	s_wait_loadcnt_dscnt 0xc01
	v_mul_f64_e32 v[160:161], v[4:5], v[112:113]
	v_mul_f64_e32 v[112:113], v[6:7], v[112:113]
	v_add_f64_e32 v[136:137], v[168:169], v[166:167]
	v_add_f64_e32 v[158:159], v[158:159], v[164:165]
	s_wait_loadcnt_dscnt 0xb00
	v_mul_f64_e32 v[164:165], v[12:13], v[116:117]
	v_mul_f64_e32 v[116:117], v[14:15], v[116:117]
	v_fmac_f64_e32 v[160:161], v[6:7], v[110:111]
	v_fma_f64 v[166:167], v[4:5], v[110:111], -v[112:113]
	ds_load_b128 v[4:7], v2 offset:1056
	ds_load_b128 v[110:113], v2 offset:1072
	v_add_f64_e32 v[168:169], v[136:137], v[134:135]
	v_add_f64_e32 v[158:159], v[158:159], v[162:163]
	scratch_load_b128 v[134:137], off, off offset:512
	s_wait_loadcnt_dscnt 0xb01
	v_mul_f64_e32 v[162:163], v[4:5], v[120:121]
	v_mul_f64_e32 v[120:121], v[6:7], v[120:121]
	v_fmac_f64_e32 v[164:165], v[14:15], v[114:115]
	v_fma_f64 v[114:115], v[12:13], v[114:115], -v[116:117]
	scratch_load_b128 v[12:15], off, off offset:528
	v_add_f64_e32 v[116:117], v[168:169], v[166:167]
	v_add_f64_e32 v[158:159], v[158:159], v[160:161]
	s_wait_loadcnt_dscnt 0xb00
	v_mul_f64_e32 v[160:161], v[110:111], v[124:125]
	v_mul_f64_e32 v[124:125], v[112:113], v[124:125]
	v_fmac_f64_e32 v[162:163], v[6:7], v[118:119]
	v_fma_f64 v[166:167], v[4:5], v[118:119], -v[120:121]
	v_add_f64_e32 v[168:169], v[116:117], v[114:115]
	v_add_f64_e32 v[158:159], v[158:159], v[164:165]
	ds_load_b128 v[4:7], v2 offset:1088
	ds_load_b128 v[114:117], v2 offset:1104
	scratch_load_b128 v[118:121], off, off offset:544
	v_fmac_f64_e32 v[160:161], v[112:113], v[122:123]
	v_fma_f64 v[122:123], v[110:111], v[122:123], -v[124:125]
	scratch_load_b128 v[110:113], off, off offset:560
	s_wait_loadcnt_dscnt 0xc01
	v_mul_f64_e32 v[164:165], v[4:5], v[128:129]
	v_mul_f64_e32 v[128:129], v[6:7], v[128:129]
	v_add_f64_e32 v[124:125], v[168:169], v[166:167]
	v_add_f64_e32 v[158:159], v[158:159], v[162:163]
	s_wait_loadcnt_dscnt 0xb00
	v_mul_f64_e32 v[162:163], v[114:115], v[132:133]
	v_mul_f64_e32 v[132:133], v[116:117], v[132:133]
	v_fmac_f64_e32 v[164:165], v[6:7], v[126:127]
	v_fma_f64 v[166:167], v[4:5], v[126:127], -v[128:129]
	v_add_f64_e32 v[168:169], v[124:125], v[122:123]
	v_add_f64_e32 v[158:159], v[158:159], v[160:161]
	ds_load_b128 v[4:7], v2 offset:1120
	ds_load_b128 v[122:125], v2 offset:1136
	scratch_load_b128 v[126:129], off, off offset:576
	v_fmac_f64_e32 v[162:163], v[116:117], v[130:131]
	v_fma_f64 v[130:131], v[114:115], v[130:131], -v[132:133]
	scratch_load_b128 v[114:117], off, off offset:592
	s_wait_loadcnt_dscnt 0xc01
	v_mul_f64_e32 v[160:161], v[4:5], v[140:141]
	v_mul_f64_e32 v[140:141], v[6:7], v[140:141]
	v_add_f64_e32 v[132:133], v[168:169], v[166:167]
	v_add_f64_e32 v[158:159], v[158:159], v[164:165]
	s_wait_loadcnt_dscnt 0xa00
	v_mul_f64_e32 v[164:165], v[122:123], v[152:153]
	v_mul_f64_e32 v[152:153], v[124:125], v[152:153]
	v_fmac_f64_e32 v[160:161], v[6:7], v[138:139]
	v_fma_f64 v[166:167], v[4:5], v[138:139], -v[140:141]
	v_add_f64_e32 v[168:169], v[132:133], v[130:131]
	v_add_f64_e32 v[158:159], v[158:159], v[162:163]
	ds_load_b128 v[4:7], v2 offset:1152
	ds_load_b128 v[130:133], v2 offset:1168
	scratch_load_b128 v[138:141], off, off offset:608
	v_fmac_f64_e32 v[164:165], v[124:125], v[150:151]
	v_fma_f64 v[150:151], v[122:123], v[150:151], -v[152:153]
	scratch_load_b128 v[122:125], off, off offset:624
	s_wait_loadcnt_dscnt 0xb01
	v_mul_f64_e32 v[162:163], v[4:5], v[156:157]
	v_mul_f64_e32 v[156:157], v[6:7], v[156:157]
	v_add_f64_e32 v[152:153], v[168:169], v[166:167]
	v_add_f64_e32 v[158:159], v[158:159], v[160:161]
	s_wait_loadcnt_dscnt 0xa00
	v_mul_f64_e32 v[160:161], v[130:131], v[10:11]
	v_mul_f64_e32 v[10:11], v[132:133], v[10:11]
	v_fmac_f64_e32 v[162:163], v[6:7], v[154:155]
	v_fma_f64 v[166:167], v[4:5], v[154:155], -v[156:157]
	v_add_f64_e32 v[168:169], v[152:153], v[150:151]
	v_add_f64_e32 v[158:159], v[158:159], v[164:165]
	ds_load_b128 v[4:7], v2 offset:1184
	ds_load_b128 v[150:153], v2 offset:1200
	scratch_load_b128 v[154:157], off, off offset:640
	v_fmac_f64_e32 v[160:161], v[132:133], v[8:9]
	v_fma_f64 v[130:131], v[130:131], v[8:9], -v[10:11]
	scratch_load_b128 v[8:11], off, off offset:656
	s_wait_loadcnt_dscnt 0xb01
	v_mul_f64_e32 v[164:165], v[4:5], v[144:145]
	v_mul_f64_e32 v[144:145], v[6:7], v[144:145]
	v_add_f64_e32 v[132:133], v[168:169], v[166:167]
	v_add_f64_e32 v[158:159], v[158:159], v[162:163]
	s_wait_loadcnt_dscnt 0xa00
	v_mul_f64_e32 v[162:163], v[150:151], v[108:109]
	v_mul_f64_e32 v[108:109], v[152:153], v[108:109]
	v_fmac_f64_e32 v[164:165], v[6:7], v[142:143]
	v_fma_f64 v[166:167], v[4:5], v[142:143], -v[144:145]
	v_add_f64_e32 v[168:169], v[132:133], v[130:131]
	v_add_f64_e32 v[158:159], v[158:159], v[160:161]
	ds_load_b128 v[4:7], v2 offset:1216
	ds_load_b128 v[130:133], v2 offset:1232
	scratch_load_b128 v[142:145], off, off offset:672
	v_fmac_f64_e32 v[162:163], v[152:153], v[106:107]
	v_fma_f64 v[150:151], v[150:151], v[106:107], -v[108:109]
	scratch_load_b128 v[106:109], off, off offset:688
	s_wait_loadcnt_dscnt 0xb01
	v_mul_f64_e32 v[160:161], v[4:5], v[136:137]
	v_mul_f64_e32 v[136:137], v[6:7], v[136:137]
	v_add_f64_e32 v[152:153], v[168:169], v[166:167]
	v_add_f64_e32 v[158:159], v[158:159], v[164:165]
	s_wait_loadcnt_dscnt 0xa00
	v_mul_f64_e32 v[164:165], v[130:131], v[14:15]
	v_mul_f64_e32 v[14:15], v[132:133], v[14:15]
	v_fmac_f64_e32 v[160:161], v[6:7], v[134:135]
	v_fma_f64 v[166:167], v[4:5], v[134:135], -v[136:137]
	ds_load_b128 v[4:7], v2 offset:1248
	ds_load_b128 v[134:137], v2 offset:1264
	v_add_f64_e32 v[150:151], v[152:153], v[150:151]
	v_add_f64_e32 v[152:153], v[158:159], v[162:163]
	v_fmac_f64_e32 v[164:165], v[132:133], v[12:13]
	v_fma_f64 v[12:13], v[130:131], v[12:13], -v[14:15]
	s_wait_loadcnt_dscnt 0x901
	v_mul_f64_e32 v[158:159], v[4:5], v[120:121]
	v_mul_f64_e32 v[120:121], v[6:7], v[120:121]
	s_wait_loadcnt_dscnt 0x800
	v_mul_f64_e32 v[132:133], v[134:135], v[112:113]
	v_mul_f64_e32 v[112:113], v[136:137], v[112:113]
	v_add_f64_e32 v[14:15], v[150:151], v[166:167]
	v_add_f64_e32 v[130:131], v[152:153], v[160:161]
	v_fmac_f64_e32 v[158:159], v[6:7], v[118:119]
	v_fma_f64 v[118:119], v[4:5], v[118:119], -v[120:121]
	v_fmac_f64_e32 v[132:133], v[136:137], v[110:111]
	v_fma_f64 v[110:111], v[134:135], v[110:111], -v[112:113]
	v_add_f64_e32 v[120:121], v[14:15], v[12:13]
	v_add_f64_e32 v[130:131], v[130:131], v[164:165]
	ds_load_b128 v[4:7], v2 offset:1280
	ds_load_b128 v[12:15], v2 offset:1296
	s_wait_loadcnt_dscnt 0x701
	v_mul_f64_e32 v[150:151], v[4:5], v[128:129]
	v_mul_f64_e32 v[128:129], v[6:7], v[128:129]
	v_add_f64_e32 v[112:113], v[120:121], v[118:119]
	v_add_f64_e32 v[118:119], v[130:131], v[158:159]
	s_wait_loadcnt_dscnt 0x600
	v_mul_f64_e32 v[120:121], v[12:13], v[116:117]
	v_mul_f64_e32 v[116:117], v[14:15], v[116:117]
	v_fmac_f64_e32 v[150:151], v[6:7], v[126:127]
	v_fma_f64 v[126:127], v[4:5], v[126:127], -v[128:129]
	v_add_f64_e32 v[128:129], v[112:113], v[110:111]
	v_add_f64_e32 v[118:119], v[118:119], v[132:133]
	ds_load_b128 v[4:7], v2 offset:1312
	ds_load_b128 v[110:113], v2 offset:1328
	v_fmac_f64_e32 v[120:121], v[14:15], v[114:115]
	v_fma_f64 v[12:13], v[12:13], v[114:115], -v[116:117]
	s_wait_loadcnt_dscnt 0x501
	v_mul_f64_e32 v[130:131], v[4:5], v[140:141]
	v_mul_f64_e32 v[132:133], v[6:7], v[140:141]
	s_wait_loadcnt_dscnt 0x400
	v_mul_f64_e32 v[116:117], v[110:111], v[124:125]
	v_add_f64_e32 v[14:15], v[128:129], v[126:127]
	v_add_f64_e32 v[114:115], v[118:119], v[150:151]
	v_mul_f64_e32 v[118:119], v[112:113], v[124:125]
	v_fmac_f64_e32 v[130:131], v[6:7], v[138:139]
	v_fma_f64 v[124:125], v[4:5], v[138:139], -v[132:133]
	v_fmac_f64_e32 v[116:117], v[112:113], v[122:123]
	v_add_f64_e32 v[126:127], v[14:15], v[12:13]
	v_add_f64_e32 v[114:115], v[114:115], v[120:121]
	ds_load_b128 v[4:7], v2 offset:1344
	ds_load_b128 v[12:15], v2 offset:1360
	v_fma_f64 v[110:111], v[110:111], v[122:123], -v[118:119]
	s_wait_loadcnt_dscnt 0x301
	v_mul_f64_e32 v[120:121], v[4:5], v[156:157]
	v_mul_f64_e32 v[128:129], v[6:7], v[156:157]
	s_wait_loadcnt_dscnt 0x200
	v_mul_f64_e32 v[118:119], v[12:13], v[10:11]
	v_mul_f64_e32 v[10:11], v[14:15], v[10:11]
	v_add_f64_e32 v[112:113], v[126:127], v[124:125]
	v_add_f64_e32 v[114:115], v[114:115], v[130:131]
	v_fmac_f64_e32 v[120:121], v[6:7], v[154:155]
	v_fma_f64 v[122:123], v[4:5], v[154:155], -v[128:129]
	v_fmac_f64_e32 v[118:119], v[14:15], v[8:9]
	v_fma_f64 v[8:9], v[12:13], v[8:9], -v[10:11]
	v_add_f64_e32 v[124:125], v[112:113], v[110:111]
	v_add_f64_e32 v[114:115], v[114:115], v[116:117]
	ds_load_b128 v[4:7], v2 offset:1376
	ds_load_b128 v[110:113], v2 offset:1392
	s_wait_loadcnt_dscnt 0x101
	v_mul_f64_e32 v[2:3], v[4:5], v[144:145]
	v_mul_f64_e32 v[116:117], v[6:7], v[144:145]
	s_wait_loadcnt_dscnt 0x0
	v_mul_f64_e32 v[14:15], v[110:111], v[108:109]
	v_mul_f64_e32 v[108:109], v[112:113], v[108:109]
	v_add_f64_e32 v[10:11], v[124:125], v[122:123]
	v_add_f64_e32 v[12:13], v[114:115], v[120:121]
	v_fmac_f64_e32 v[2:3], v[6:7], v[142:143]
	v_fma_f64 v[4:5], v[4:5], v[142:143], -v[116:117]
	v_fmac_f64_e32 v[14:15], v[112:113], v[106:107]
	v_add_f64_e32 v[6:7], v[10:11], v[8:9]
	v_add_f64_e32 v[8:9], v[12:13], v[118:119]
	v_fma_f64 v[10:11], v[110:111], v[106:107], -v[108:109]
	s_delay_alu instid0(VALU_DEP_3) | instskip(NEXT) | instid1(VALU_DEP_3)
	v_add_f64_e32 v[4:5], v[6:7], v[4:5]
	v_add_f64_e32 v[2:3], v[8:9], v[2:3]
	s_delay_alu instid0(VALU_DEP_2) | instskip(NEXT) | instid1(VALU_DEP_2)
	v_add_f64_e32 v[4:5], v[4:5], v[10:11]
	v_add_f64_e32 v[6:7], v[2:3], v[14:15]
	s_delay_alu instid0(VALU_DEP_2) | instskip(NEXT) | instid1(VALU_DEP_2)
	v_add_f64_e64 v[2:3], v[146:147], -v[4:5]
	v_add_f64_e64 v[4:5], v[148:149], -v[6:7]
	scratch_store_b128 off, v[2:5], off offset:240
	s_wait_xcnt 0x0
	v_cmpx_lt_u32_e32 14, v1
	s_cbranch_execz .LBB107_249
; %bb.248:
	scratch_load_b128 v[2:5], off, s46
	v_mov_b32_e32 v6, 0
	s_delay_alu instid0(VALU_DEP_1)
	v_dual_mov_b32 v7, v6 :: v_dual_mov_b32 v8, v6
	v_mov_b32_e32 v9, v6
	scratch_store_b128 off, v[6:9], off offset:224
	s_wait_loadcnt 0x0
	ds_store_b128 v104, v[2:5]
.LBB107_249:
	s_wait_xcnt 0x0
	s_or_b32 exec_lo, exec_lo, s2
	s_wait_storecnt_dscnt 0x0
	s_barrier_signal -1
	s_barrier_wait -1
	s_clause 0x9
	scratch_load_b128 v[4:7], off, off offset:240
	scratch_load_b128 v[8:11], off, off offset:256
	;; [unrolled: 1-line block ×10, first 2 shown]
	v_mov_b32_e32 v2, 0
	s_mov_b32 s2, exec_lo
	ds_load_b128 v[134:137], v2 offset:944
	s_clause 0x2
	scratch_load_b128 v[138:141], off, off offset:400
	scratch_load_b128 v[142:145], off, off offset:224
	;; [unrolled: 1-line block ×3, first 2 shown]
	s_wait_loadcnt_dscnt 0xc00
	v_mul_f64_e32 v[154:155], v[136:137], v[6:7]
	v_mul_f64_e32 v[158:159], v[134:135], v[6:7]
	ds_load_b128 v[146:149], v2 offset:960
	v_fma_f64 v[162:163], v[134:135], v[4:5], -v[154:155]
	v_fmac_f64_e32 v[158:159], v[136:137], v[4:5]
	ds_load_b128 v[4:7], v2 offset:976
	s_wait_loadcnt_dscnt 0xb01
	v_mul_f64_e32 v[160:161], v[146:147], v[10:11]
	v_mul_f64_e32 v[10:11], v[148:149], v[10:11]
	scratch_load_b128 v[134:137], off, off offset:432
	ds_load_b128 v[154:157], v2 offset:992
	s_wait_loadcnt_dscnt 0xb01
	v_mul_f64_e32 v[164:165], v[4:5], v[14:15]
	v_mul_f64_e32 v[14:15], v[6:7], v[14:15]
	v_add_f64_e32 v[158:159], 0, v[158:159]
	v_fmac_f64_e32 v[160:161], v[148:149], v[8:9]
	v_fma_f64 v[146:147], v[146:147], v[8:9], -v[10:11]
	v_add_f64_e32 v[148:149], 0, v[162:163]
	scratch_load_b128 v[8:11], off, off offset:448
	v_fmac_f64_e32 v[164:165], v[6:7], v[12:13]
	v_fma_f64 v[166:167], v[4:5], v[12:13], -v[14:15]
	ds_load_b128 v[4:7], v2 offset:1008
	s_wait_loadcnt_dscnt 0xb01
	v_mul_f64_e32 v[162:163], v[154:155], v[108:109]
	v_mul_f64_e32 v[108:109], v[156:157], v[108:109]
	scratch_load_b128 v[12:15], off, off offset:464
	v_add_f64_e32 v[158:159], v[158:159], v[160:161]
	v_add_f64_e32 v[168:169], v[148:149], v[146:147]
	ds_load_b128 v[146:149], v2 offset:1024
	s_wait_loadcnt_dscnt 0xb01
	v_mul_f64_e32 v[160:161], v[4:5], v[112:113]
	v_mul_f64_e32 v[112:113], v[6:7], v[112:113]
	v_fmac_f64_e32 v[162:163], v[156:157], v[106:107]
	v_fma_f64 v[154:155], v[154:155], v[106:107], -v[108:109]
	scratch_load_b128 v[106:109], off, off offset:480
	v_add_f64_e32 v[158:159], v[158:159], v[164:165]
	v_add_f64_e32 v[156:157], v[168:169], v[166:167]
	v_fmac_f64_e32 v[160:161], v[6:7], v[110:111]
	v_fma_f64 v[166:167], v[4:5], v[110:111], -v[112:113]
	ds_load_b128 v[4:7], v2 offset:1040
	s_wait_loadcnt_dscnt 0xb01
	v_mul_f64_e32 v[164:165], v[146:147], v[116:117]
	v_mul_f64_e32 v[116:117], v[148:149], v[116:117]
	scratch_load_b128 v[110:113], off, off offset:496
	v_add_f64_e32 v[158:159], v[158:159], v[162:163]
	s_wait_loadcnt_dscnt 0xb00
	v_mul_f64_e32 v[162:163], v[4:5], v[120:121]
	v_add_f64_e32 v[168:169], v[156:157], v[154:155]
	v_mul_f64_e32 v[120:121], v[6:7], v[120:121]
	ds_load_b128 v[154:157], v2 offset:1056
	v_fmac_f64_e32 v[164:165], v[148:149], v[114:115]
	v_fma_f64 v[146:147], v[146:147], v[114:115], -v[116:117]
	scratch_load_b128 v[114:117], off, off offset:512
	v_add_f64_e32 v[158:159], v[158:159], v[160:161]
	v_fmac_f64_e32 v[162:163], v[6:7], v[118:119]
	v_add_f64_e32 v[148:149], v[168:169], v[166:167]
	v_fma_f64 v[166:167], v[4:5], v[118:119], -v[120:121]
	ds_load_b128 v[4:7], v2 offset:1072
	s_wait_loadcnt_dscnt 0xb01
	v_mul_f64_e32 v[160:161], v[154:155], v[124:125]
	v_mul_f64_e32 v[124:125], v[156:157], v[124:125]
	scratch_load_b128 v[118:121], off, off offset:528
	v_add_f64_e32 v[158:159], v[158:159], v[164:165]
	s_wait_loadcnt_dscnt 0xb00
	v_mul_f64_e32 v[164:165], v[4:5], v[128:129]
	v_add_f64_e32 v[168:169], v[148:149], v[146:147]
	v_mul_f64_e32 v[128:129], v[6:7], v[128:129]
	ds_load_b128 v[146:149], v2 offset:1088
	v_fmac_f64_e32 v[160:161], v[156:157], v[122:123]
	v_fma_f64 v[154:155], v[154:155], v[122:123], -v[124:125]
	scratch_load_b128 v[122:125], off, off offset:544
	v_add_f64_e32 v[158:159], v[158:159], v[162:163]
	v_fmac_f64_e32 v[164:165], v[6:7], v[126:127]
	v_add_f64_e32 v[156:157], v[168:169], v[166:167]
	;; [unrolled: 18-line block ×3, first 2 shown]
	v_fma_f64 v[166:167], v[4:5], v[138:139], -v[140:141]
	ds_load_b128 v[4:7], v2 offset:1136
	s_wait_loadcnt_dscnt 0xa01
	v_mul_f64_e32 v[164:165], v[154:155], v[152:153]
	v_mul_f64_e32 v[152:153], v[156:157], v[152:153]
	scratch_load_b128 v[138:141], off, off offset:592
	v_add_f64_e32 v[158:159], v[158:159], v[162:163]
	v_add_f64_e32 v[168:169], v[148:149], v[146:147]
	s_wait_loadcnt_dscnt 0xa00
	v_mul_f64_e32 v[162:163], v[4:5], v[136:137]
	v_mul_f64_e32 v[136:137], v[6:7], v[136:137]
	v_fmac_f64_e32 v[164:165], v[156:157], v[150:151]
	v_fma_f64 v[154:155], v[154:155], v[150:151], -v[152:153]
	ds_load_b128 v[146:149], v2 offset:1152
	scratch_load_b128 v[150:153], off, off offset:608
	v_add_f64_e32 v[158:159], v[158:159], v[160:161]
	v_add_f64_e32 v[156:157], v[168:169], v[166:167]
	v_fmac_f64_e32 v[162:163], v[6:7], v[134:135]
	v_fma_f64 v[166:167], v[4:5], v[134:135], -v[136:137]
	ds_load_b128 v[4:7], v2 offset:1168
	s_wait_loadcnt_dscnt 0xa01
	v_mul_f64_e32 v[160:161], v[146:147], v[10:11]
	v_mul_f64_e32 v[10:11], v[148:149], v[10:11]
	scratch_load_b128 v[134:137], off, off offset:624
	v_add_f64_e32 v[158:159], v[158:159], v[164:165]
	s_wait_loadcnt_dscnt 0xa00
	v_mul_f64_e32 v[164:165], v[4:5], v[14:15]
	v_add_f64_e32 v[168:169], v[156:157], v[154:155]
	v_mul_f64_e32 v[14:15], v[6:7], v[14:15]
	ds_load_b128 v[154:157], v2 offset:1184
	v_fmac_f64_e32 v[160:161], v[148:149], v[8:9]
	v_fma_f64 v[146:147], v[146:147], v[8:9], -v[10:11]
	scratch_load_b128 v[8:11], off, off offset:640
	v_add_f64_e32 v[158:159], v[158:159], v[162:163]
	v_fmac_f64_e32 v[164:165], v[6:7], v[12:13]
	v_add_f64_e32 v[148:149], v[168:169], v[166:167]
	v_fma_f64 v[166:167], v[4:5], v[12:13], -v[14:15]
	ds_load_b128 v[4:7], v2 offset:1200
	s_wait_loadcnt_dscnt 0xa01
	v_mul_f64_e32 v[162:163], v[154:155], v[108:109]
	v_mul_f64_e32 v[108:109], v[156:157], v[108:109]
	scratch_load_b128 v[12:15], off, off offset:656
	v_add_f64_e32 v[158:159], v[158:159], v[160:161]
	s_wait_loadcnt_dscnt 0xa00
	v_mul_f64_e32 v[160:161], v[4:5], v[112:113]
	v_add_f64_e32 v[168:169], v[148:149], v[146:147]
	v_mul_f64_e32 v[112:113], v[6:7], v[112:113]
	ds_load_b128 v[146:149], v2 offset:1216
	v_fmac_f64_e32 v[162:163], v[156:157], v[106:107]
	v_fma_f64 v[154:155], v[154:155], v[106:107], -v[108:109]
	scratch_load_b128 v[106:109], off, off offset:672
	v_add_f64_e32 v[158:159], v[158:159], v[164:165]
	v_fmac_f64_e32 v[160:161], v[6:7], v[110:111]
	v_add_f64_e32 v[156:157], v[168:169], v[166:167]
	v_fma_f64 v[166:167], v[4:5], v[110:111], -v[112:113]
	ds_load_b128 v[4:7], v2 offset:1232
	s_wait_loadcnt_dscnt 0xa01
	v_mul_f64_e32 v[164:165], v[146:147], v[116:117]
	v_mul_f64_e32 v[116:117], v[148:149], v[116:117]
	scratch_load_b128 v[110:113], off, off offset:688
	v_add_f64_e32 v[158:159], v[158:159], v[162:163]
	s_wait_loadcnt_dscnt 0xa00
	v_mul_f64_e32 v[162:163], v[4:5], v[120:121]
	v_add_f64_e32 v[168:169], v[156:157], v[154:155]
	v_mul_f64_e32 v[120:121], v[6:7], v[120:121]
	ds_load_b128 v[154:157], v2 offset:1248
	v_fmac_f64_e32 v[164:165], v[148:149], v[114:115]
	v_fma_f64 v[114:115], v[146:147], v[114:115], -v[116:117]
	s_wait_loadcnt_dscnt 0x900
	v_mul_f64_e32 v[148:149], v[154:155], v[124:125]
	v_mul_f64_e32 v[124:125], v[156:157], v[124:125]
	v_add_f64_e32 v[146:147], v[158:159], v[160:161]
	v_fmac_f64_e32 v[162:163], v[6:7], v[118:119]
	v_add_f64_e32 v[116:117], v[168:169], v[166:167]
	v_fma_f64 v[118:119], v[4:5], v[118:119], -v[120:121]
	v_fmac_f64_e32 v[148:149], v[156:157], v[122:123]
	v_fma_f64 v[122:123], v[154:155], v[122:123], -v[124:125]
	v_add_f64_e32 v[146:147], v[146:147], v[164:165]
	v_add_f64_e32 v[120:121], v[116:117], v[114:115]
	ds_load_b128 v[4:7], v2 offset:1264
	ds_load_b128 v[114:117], v2 offset:1280
	s_wait_loadcnt_dscnt 0x801
	v_mul_f64_e32 v[158:159], v[4:5], v[128:129]
	v_mul_f64_e32 v[128:129], v[6:7], v[128:129]
	s_wait_loadcnt_dscnt 0x700
	v_mul_f64_e32 v[124:125], v[114:115], v[132:133]
	v_mul_f64_e32 v[132:133], v[116:117], v[132:133]
	v_add_f64_e32 v[118:119], v[120:121], v[118:119]
	v_add_f64_e32 v[120:121], v[146:147], v[162:163]
	v_fmac_f64_e32 v[158:159], v[6:7], v[126:127]
	v_fma_f64 v[126:127], v[4:5], v[126:127], -v[128:129]
	v_fmac_f64_e32 v[124:125], v[116:117], v[130:131]
	v_fma_f64 v[114:115], v[114:115], v[130:131], -v[132:133]
	v_add_f64_e32 v[122:123], v[118:119], v[122:123]
	v_add_f64_e32 v[128:129], v[120:121], v[148:149]
	ds_load_b128 v[4:7], v2 offset:1296
	ds_load_b128 v[118:121], v2 offset:1312
	s_wait_loadcnt_dscnt 0x601
	v_mul_f64_e32 v[146:147], v[4:5], v[140:141]
	v_mul_f64_e32 v[140:141], v[6:7], v[140:141]
	v_add_f64_e32 v[116:117], v[122:123], v[126:127]
	v_add_f64_e32 v[122:123], v[128:129], v[158:159]
	s_wait_loadcnt_dscnt 0x500
	v_mul_f64_e32 v[126:127], v[118:119], v[152:153]
	v_mul_f64_e32 v[128:129], v[120:121], v[152:153]
	v_fmac_f64_e32 v[146:147], v[6:7], v[138:139]
	v_fma_f64 v[130:131], v[4:5], v[138:139], -v[140:141]
	v_add_f64_e32 v[132:133], v[116:117], v[114:115]
	v_add_f64_e32 v[122:123], v[122:123], v[124:125]
	ds_load_b128 v[4:7], v2 offset:1328
	ds_load_b128 v[114:117], v2 offset:1344
	v_fmac_f64_e32 v[126:127], v[120:121], v[150:151]
	v_fma_f64 v[118:119], v[118:119], v[150:151], -v[128:129]
	s_wait_loadcnt_dscnt 0x401
	v_mul_f64_e32 v[124:125], v[4:5], v[136:137]
	v_mul_f64_e32 v[136:137], v[6:7], v[136:137]
	s_wait_loadcnt_dscnt 0x300
	v_mul_f64_e32 v[128:129], v[114:115], v[10:11]
	v_mul_f64_e32 v[10:11], v[116:117], v[10:11]
	v_add_f64_e32 v[120:121], v[132:133], v[130:131]
	v_add_f64_e32 v[122:123], v[122:123], v[146:147]
	v_fmac_f64_e32 v[124:125], v[6:7], v[134:135]
	v_fma_f64 v[130:131], v[4:5], v[134:135], -v[136:137]
	v_fmac_f64_e32 v[128:129], v[116:117], v[8:9]
	v_fma_f64 v[8:9], v[114:115], v[8:9], -v[10:11]
	v_add_f64_e32 v[132:133], v[120:121], v[118:119]
	v_add_f64_e32 v[122:123], v[122:123], v[126:127]
	ds_load_b128 v[4:7], v2 offset:1360
	ds_load_b128 v[118:121], v2 offset:1376
	s_wait_loadcnt_dscnt 0x201
	v_mul_f64_e32 v[126:127], v[4:5], v[14:15]
	v_mul_f64_e32 v[14:15], v[6:7], v[14:15]
	s_wait_loadcnt_dscnt 0x100
	v_mul_f64_e32 v[116:117], v[118:119], v[108:109]
	v_mul_f64_e32 v[108:109], v[120:121], v[108:109]
	v_add_f64_e32 v[10:11], v[132:133], v[130:131]
	v_add_f64_e32 v[114:115], v[122:123], v[124:125]
	v_fmac_f64_e32 v[126:127], v[6:7], v[12:13]
	v_fma_f64 v[12:13], v[4:5], v[12:13], -v[14:15]
	ds_load_b128 v[4:7], v2 offset:1392
	v_fmac_f64_e32 v[116:117], v[120:121], v[106:107]
	v_fma_f64 v[106:107], v[118:119], v[106:107], -v[108:109]
	v_add_f64_e32 v[8:9], v[10:11], v[8:9]
	v_add_f64_e32 v[10:11], v[114:115], v[128:129]
	s_wait_loadcnt_dscnt 0x0
	v_mul_f64_e32 v[14:15], v[4:5], v[112:113]
	v_mul_f64_e32 v[112:113], v[6:7], v[112:113]
	s_delay_alu instid0(VALU_DEP_4) | instskip(NEXT) | instid1(VALU_DEP_4)
	v_add_f64_e32 v[8:9], v[8:9], v[12:13]
	v_add_f64_e32 v[10:11], v[10:11], v[126:127]
	s_delay_alu instid0(VALU_DEP_4) | instskip(NEXT) | instid1(VALU_DEP_4)
	v_fmac_f64_e32 v[14:15], v[6:7], v[110:111]
	v_fma_f64 v[4:5], v[4:5], v[110:111], -v[112:113]
	s_delay_alu instid0(VALU_DEP_4) | instskip(NEXT) | instid1(VALU_DEP_4)
	v_add_f64_e32 v[6:7], v[8:9], v[106:107]
	v_add_f64_e32 v[8:9], v[10:11], v[116:117]
	s_delay_alu instid0(VALU_DEP_2) | instskip(NEXT) | instid1(VALU_DEP_2)
	v_add_f64_e32 v[4:5], v[6:7], v[4:5]
	v_add_f64_e32 v[6:7], v[8:9], v[14:15]
	s_delay_alu instid0(VALU_DEP_2) | instskip(NEXT) | instid1(VALU_DEP_2)
	v_add_f64_e64 v[4:5], v[142:143], -v[4:5]
	v_add_f64_e64 v[6:7], v[144:145], -v[6:7]
	scratch_store_b128 off, v[4:7], off offset:224
	s_wait_xcnt 0x0
	v_cmpx_lt_u32_e32 13, v1
	s_cbranch_execz .LBB107_251
; %bb.250:
	scratch_load_b128 v[6:9], off, s47
	v_dual_mov_b32 v3, v2 :: v_dual_mov_b32 v4, v2
	v_mov_b32_e32 v5, v2
	scratch_store_b128 off, v[2:5], off offset:208
	s_wait_loadcnt 0x0
	ds_store_b128 v104, v[6:9]
.LBB107_251:
	s_wait_xcnt 0x0
	s_or_b32 exec_lo, exec_lo, s2
	s_wait_storecnt_dscnt 0x0
	s_barrier_signal -1
	s_barrier_wait -1
	s_clause 0x9
	scratch_load_b128 v[4:7], off, off offset:224
	scratch_load_b128 v[8:11], off, off offset:240
	;; [unrolled: 1-line block ×10, first 2 shown]
	ds_load_b128 v[134:137], v2 offset:928
	ds_load_b128 v[142:145], v2 offset:944
	s_clause 0x2
	scratch_load_b128 v[138:141], off, off offset:384
	scratch_load_b128 v[146:149], off, off offset:208
	;; [unrolled: 1-line block ×3, first 2 shown]
	s_mov_b32 s2, exec_lo
	s_wait_loadcnt_dscnt 0xc01
	v_mul_f64_e32 v[154:155], v[136:137], v[6:7]
	v_mul_f64_e32 v[158:159], v[134:135], v[6:7]
	s_wait_loadcnt_dscnt 0xb00
	v_mul_f64_e32 v[160:161], v[142:143], v[10:11]
	v_mul_f64_e32 v[10:11], v[144:145], v[10:11]
	s_delay_alu instid0(VALU_DEP_4) | instskip(NEXT) | instid1(VALU_DEP_4)
	v_fma_f64 v[162:163], v[134:135], v[4:5], -v[154:155]
	v_fmac_f64_e32 v[158:159], v[136:137], v[4:5]
	ds_load_b128 v[4:7], v2 offset:960
	ds_load_b128 v[134:137], v2 offset:976
	scratch_load_b128 v[154:157], off, off offset:416
	v_fmac_f64_e32 v[160:161], v[144:145], v[8:9]
	v_fma_f64 v[142:143], v[142:143], v[8:9], -v[10:11]
	scratch_load_b128 v[8:11], off, off offset:432
	s_wait_loadcnt_dscnt 0xc01
	v_mul_f64_e32 v[164:165], v[4:5], v[14:15]
	v_mul_f64_e32 v[14:15], v[6:7], v[14:15]
	v_add_f64_e32 v[144:145], 0, v[162:163]
	v_add_f64_e32 v[158:159], 0, v[158:159]
	s_wait_loadcnt_dscnt 0xb00
	v_mul_f64_e32 v[162:163], v[134:135], v[108:109]
	v_mul_f64_e32 v[108:109], v[136:137], v[108:109]
	v_fmac_f64_e32 v[164:165], v[6:7], v[12:13]
	v_fma_f64 v[166:167], v[4:5], v[12:13], -v[14:15]
	ds_load_b128 v[4:7], v2 offset:992
	ds_load_b128 v[12:15], v2 offset:1008
	v_add_f64_e32 v[168:169], v[144:145], v[142:143]
	v_add_f64_e32 v[158:159], v[158:159], v[160:161]
	scratch_load_b128 v[142:145], off, off offset:448
	v_fmac_f64_e32 v[162:163], v[136:137], v[106:107]
	v_fma_f64 v[134:135], v[134:135], v[106:107], -v[108:109]
	scratch_load_b128 v[106:109], off, off offset:464
	s_wait_loadcnt_dscnt 0xc01
	v_mul_f64_e32 v[160:161], v[4:5], v[112:113]
	v_mul_f64_e32 v[112:113], v[6:7], v[112:113]
	v_add_f64_e32 v[136:137], v[168:169], v[166:167]
	v_add_f64_e32 v[158:159], v[158:159], v[164:165]
	s_wait_loadcnt_dscnt 0xb00
	v_mul_f64_e32 v[164:165], v[12:13], v[116:117]
	v_mul_f64_e32 v[116:117], v[14:15], v[116:117]
	v_fmac_f64_e32 v[160:161], v[6:7], v[110:111]
	v_fma_f64 v[166:167], v[4:5], v[110:111], -v[112:113]
	ds_load_b128 v[4:7], v2 offset:1024
	ds_load_b128 v[110:113], v2 offset:1040
	v_add_f64_e32 v[168:169], v[136:137], v[134:135]
	v_add_f64_e32 v[158:159], v[158:159], v[162:163]
	scratch_load_b128 v[134:137], off, off offset:480
	s_wait_loadcnt_dscnt 0xb01
	v_mul_f64_e32 v[162:163], v[4:5], v[120:121]
	v_mul_f64_e32 v[120:121], v[6:7], v[120:121]
	v_fmac_f64_e32 v[164:165], v[14:15], v[114:115]
	v_fma_f64 v[114:115], v[12:13], v[114:115], -v[116:117]
	scratch_load_b128 v[12:15], off, off offset:496
	v_add_f64_e32 v[116:117], v[168:169], v[166:167]
	v_add_f64_e32 v[158:159], v[158:159], v[160:161]
	s_wait_loadcnt_dscnt 0xb00
	v_mul_f64_e32 v[160:161], v[110:111], v[124:125]
	v_mul_f64_e32 v[124:125], v[112:113], v[124:125]
	v_fmac_f64_e32 v[162:163], v[6:7], v[118:119]
	v_fma_f64 v[166:167], v[4:5], v[118:119], -v[120:121]
	v_add_f64_e32 v[168:169], v[116:117], v[114:115]
	v_add_f64_e32 v[158:159], v[158:159], v[164:165]
	ds_load_b128 v[4:7], v2 offset:1056
	ds_load_b128 v[114:117], v2 offset:1072
	scratch_load_b128 v[118:121], off, off offset:512
	v_fmac_f64_e32 v[160:161], v[112:113], v[122:123]
	v_fma_f64 v[122:123], v[110:111], v[122:123], -v[124:125]
	scratch_load_b128 v[110:113], off, off offset:528
	s_wait_loadcnt_dscnt 0xc01
	v_mul_f64_e32 v[164:165], v[4:5], v[128:129]
	v_mul_f64_e32 v[128:129], v[6:7], v[128:129]
	v_add_f64_e32 v[124:125], v[168:169], v[166:167]
	v_add_f64_e32 v[158:159], v[158:159], v[162:163]
	s_wait_loadcnt_dscnt 0xb00
	v_mul_f64_e32 v[162:163], v[114:115], v[132:133]
	v_mul_f64_e32 v[132:133], v[116:117], v[132:133]
	v_fmac_f64_e32 v[164:165], v[6:7], v[126:127]
	v_fma_f64 v[166:167], v[4:5], v[126:127], -v[128:129]
	v_add_f64_e32 v[168:169], v[124:125], v[122:123]
	v_add_f64_e32 v[158:159], v[158:159], v[160:161]
	ds_load_b128 v[4:7], v2 offset:1088
	ds_load_b128 v[122:125], v2 offset:1104
	scratch_load_b128 v[126:129], off, off offset:544
	v_fmac_f64_e32 v[162:163], v[116:117], v[130:131]
	v_fma_f64 v[130:131], v[114:115], v[130:131], -v[132:133]
	scratch_load_b128 v[114:117], off, off offset:560
	s_wait_loadcnt_dscnt 0xc01
	v_mul_f64_e32 v[160:161], v[4:5], v[140:141]
	v_mul_f64_e32 v[140:141], v[6:7], v[140:141]
	;; [unrolled: 18-line block ×5, first 2 shown]
	v_add_f64_e32 v[152:153], v[168:169], v[166:167]
	v_add_f64_e32 v[158:159], v[158:159], v[164:165]
	s_wait_loadcnt_dscnt 0xa00
	v_mul_f64_e32 v[164:165], v[130:131], v[14:15]
	v_mul_f64_e32 v[14:15], v[132:133], v[14:15]
	v_fmac_f64_e32 v[160:161], v[6:7], v[134:135]
	v_fma_f64 v[166:167], v[4:5], v[134:135], -v[136:137]
	ds_load_b128 v[4:7], v2 offset:1216
	ds_load_b128 v[134:137], v2 offset:1232
	v_add_f64_e32 v[168:169], v[152:153], v[150:151]
	v_add_f64_e32 v[158:159], v[158:159], v[162:163]
	scratch_load_b128 v[150:153], off, off offset:672
	v_fmac_f64_e32 v[164:165], v[132:133], v[12:13]
	v_fma_f64 v[130:131], v[130:131], v[12:13], -v[14:15]
	scratch_load_b128 v[12:15], off, off offset:688
	s_wait_loadcnt_dscnt 0xb01
	v_mul_f64_e32 v[162:163], v[4:5], v[120:121]
	v_mul_f64_e32 v[120:121], v[6:7], v[120:121]
	v_add_f64_e32 v[132:133], v[168:169], v[166:167]
	v_add_f64_e32 v[158:159], v[158:159], v[160:161]
	s_wait_loadcnt_dscnt 0xa00
	v_mul_f64_e32 v[160:161], v[134:135], v[112:113]
	v_mul_f64_e32 v[112:113], v[136:137], v[112:113]
	v_fmac_f64_e32 v[162:163], v[6:7], v[118:119]
	v_fma_f64 v[166:167], v[4:5], v[118:119], -v[120:121]
	ds_load_b128 v[4:7], v2 offset:1248
	ds_load_b128 v[118:121], v2 offset:1264
	v_add_f64_e32 v[130:131], v[132:133], v[130:131]
	v_add_f64_e32 v[132:133], v[158:159], v[164:165]
	v_fmac_f64_e32 v[160:161], v[136:137], v[110:111]
	s_wait_loadcnt_dscnt 0x901
	v_mul_f64_e32 v[158:159], v[4:5], v[128:129]
	v_mul_f64_e32 v[128:129], v[6:7], v[128:129]
	v_fma_f64 v[110:111], v[134:135], v[110:111], -v[112:113]
	v_add_f64_e32 v[112:113], v[130:131], v[166:167]
	v_add_f64_e32 v[130:131], v[132:133], v[162:163]
	s_wait_loadcnt_dscnt 0x800
	v_mul_f64_e32 v[132:133], v[118:119], v[116:117]
	v_mul_f64_e32 v[116:117], v[120:121], v[116:117]
	v_fmac_f64_e32 v[158:159], v[6:7], v[126:127]
	v_fma_f64 v[126:127], v[4:5], v[126:127], -v[128:129]
	v_add_f64_e32 v[128:129], v[112:113], v[110:111]
	v_add_f64_e32 v[130:131], v[130:131], v[160:161]
	ds_load_b128 v[4:7], v2 offset:1280
	ds_load_b128 v[110:113], v2 offset:1296
	v_fmac_f64_e32 v[132:133], v[120:121], v[114:115]
	v_fma_f64 v[114:115], v[118:119], v[114:115], -v[116:117]
	s_wait_loadcnt_dscnt 0x701
	v_mul_f64_e32 v[134:135], v[4:5], v[140:141]
	v_mul_f64_e32 v[136:137], v[6:7], v[140:141]
	s_wait_loadcnt_dscnt 0x600
	v_mul_f64_e32 v[120:121], v[110:111], v[124:125]
	v_mul_f64_e32 v[124:125], v[112:113], v[124:125]
	v_add_f64_e32 v[116:117], v[128:129], v[126:127]
	v_add_f64_e32 v[118:119], v[130:131], v[158:159]
	v_fmac_f64_e32 v[134:135], v[6:7], v[138:139]
	v_fma_f64 v[126:127], v[4:5], v[138:139], -v[136:137]
	v_fmac_f64_e32 v[120:121], v[112:113], v[122:123]
	v_fma_f64 v[110:111], v[110:111], v[122:123], -v[124:125]
	v_add_f64_e32 v[128:129], v[116:117], v[114:115]
	v_add_f64_e32 v[118:119], v[118:119], v[132:133]
	ds_load_b128 v[4:7], v2 offset:1312
	ds_load_b128 v[114:117], v2 offset:1328
	s_wait_loadcnt_dscnt 0x501
	v_mul_f64_e32 v[130:131], v[4:5], v[156:157]
	v_mul_f64_e32 v[132:133], v[6:7], v[156:157]
	s_wait_loadcnt_dscnt 0x400
	v_mul_f64_e32 v[122:123], v[114:115], v[10:11]
	v_mul_f64_e32 v[10:11], v[116:117], v[10:11]
	v_add_f64_e32 v[112:113], v[128:129], v[126:127]
	v_add_f64_e32 v[118:119], v[118:119], v[134:135]
	v_fmac_f64_e32 v[130:131], v[6:7], v[154:155]
	v_fma_f64 v[124:125], v[4:5], v[154:155], -v[132:133]
	v_fmac_f64_e32 v[122:123], v[116:117], v[8:9]
	v_fma_f64 v[8:9], v[114:115], v[8:9], -v[10:11]
	v_add_f64_e32 v[126:127], v[112:113], v[110:111]
	v_add_f64_e32 v[118:119], v[118:119], v[120:121]
	ds_load_b128 v[4:7], v2 offset:1344
	ds_load_b128 v[110:113], v2 offset:1360
	;; [unrolled: 16-line block ×3, first 2 shown]
	s_wait_loadcnt_dscnt 0x101
	v_mul_f64_e32 v[2:3], v[4:5], v[152:153]
	v_mul_f64_e32 v[122:123], v[6:7], v[152:153]
	s_wait_loadcnt_dscnt 0x0
	v_mul_f64_e32 v[112:113], v[8:9], v[14:15]
	v_mul_f64_e32 v[14:15], v[10:11], v[14:15]
	v_add_f64_e32 v[108:109], v[124:125], v[118:119]
	v_add_f64_e32 v[110:111], v[114:115], v[120:121]
	v_fmac_f64_e32 v[2:3], v[6:7], v[150:151]
	v_fma_f64 v[4:5], v[4:5], v[150:151], -v[122:123]
	v_fmac_f64_e32 v[112:113], v[10:11], v[12:13]
	v_fma_f64 v[8:9], v[8:9], v[12:13], -v[14:15]
	v_add_f64_e32 v[6:7], v[108:109], v[106:107]
	v_add_f64_e32 v[106:107], v[110:111], v[116:117]
	s_delay_alu instid0(VALU_DEP_2) | instskip(NEXT) | instid1(VALU_DEP_2)
	v_add_f64_e32 v[4:5], v[6:7], v[4:5]
	v_add_f64_e32 v[2:3], v[106:107], v[2:3]
	s_delay_alu instid0(VALU_DEP_2) | instskip(NEXT) | instid1(VALU_DEP_2)
	;; [unrolled: 3-line block ×3, first 2 shown]
	v_add_f64_e64 v[2:3], v[146:147], -v[4:5]
	v_add_f64_e64 v[4:5], v[148:149], -v[6:7]
	scratch_store_b128 off, v[2:5], off offset:208
	s_wait_xcnt 0x0
	v_cmpx_lt_u32_e32 12, v1
	s_cbranch_execz .LBB107_253
; %bb.252:
	scratch_load_b128 v[2:5], off, s48
	v_mov_b32_e32 v6, 0
	s_delay_alu instid0(VALU_DEP_1)
	v_dual_mov_b32 v7, v6 :: v_dual_mov_b32 v8, v6
	v_mov_b32_e32 v9, v6
	scratch_store_b128 off, v[6:9], off offset:192
	s_wait_loadcnt 0x0
	ds_store_b128 v104, v[2:5]
.LBB107_253:
	s_wait_xcnt 0x0
	s_or_b32 exec_lo, exec_lo, s2
	s_wait_storecnt_dscnt 0x0
	s_barrier_signal -1
	s_barrier_wait -1
	s_clause 0x9
	scratch_load_b128 v[4:7], off, off offset:208
	scratch_load_b128 v[8:11], off, off offset:224
	;; [unrolled: 1-line block ×10, first 2 shown]
	v_mov_b32_e32 v2, 0
	s_mov_b32 s2, exec_lo
	ds_load_b128 v[134:137], v2 offset:912
	s_clause 0x2
	scratch_load_b128 v[138:141], off, off offset:368
	scratch_load_b128 v[142:145], off, off offset:192
	;; [unrolled: 1-line block ×3, first 2 shown]
	s_wait_loadcnt_dscnt 0xc00
	v_mul_f64_e32 v[154:155], v[136:137], v[6:7]
	v_mul_f64_e32 v[158:159], v[134:135], v[6:7]
	ds_load_b128 v[146:149], v2 offset:928
	v_fma_f64 v[162:163], v[134:135], v[4:5], -v[154:155]
	v_fmac_f64_e32 v[158:159], v[136:137], v[4:5]
	ds_load_b128 v[4:7], v2 offset:944
	s_wait_loadcnt_dscnt 0xb01
	v_mul_f64_e32 v[160:161], v[146:147], v[10:11]
	v_mul_f64_e32 v[10:11], v[148:149], v[10:11]
	scratch_load_b128 v[134:137], off, off offset:400
	ds_load_b128 v[154:157], v2 offset:960
	s_wait_loadcnt_dscnt 0xb01
	v_mul_f64_e32 v[164:165], v[4:5], v[14:15]
	v_mul_f64_e32 v[14:15], v[6:7], v[14:15]
	v_add_f64_e32 v[158:159], 0, v[158:159]
	v_fmac_f64_e32 v[160:161], v[148:149], v[8:9]
	v_fma_f64 v[146:147], v[146:147], v[8:9], -v[10:11]
	v_add_f64_e32 v[148:149], 0, v[162:163]
	scratch_load_b128 v[8:11], off, off offset:416
	v_fmac_f64_e32 v[164:165], v[6:7], v[12:13]
	v_fma_f64 v[166:167], v[4:5], v[12:13], -v[14:15]
	ds_load_b128 v[4:7], v2 offset:976
	s_wait_loadcnt_dscnt 0xb01
	v_mul_f64_e32 v[162:163], v[154:155], v[108:109]
	v_mul_f64_e32 v[108:109], v[156:157], v[108:109]
	scratch_load_b128 v[12:15], off, off offset:432
	v_add_f64_e32 v[158:159], v[158:159], v[160:161]
	v_add_f64_e32 v[168:169], v[148:149], v[146:147]
	ds_load_b128 v[146:149], v2 offset:992
	s_wait_loadcnt_dscnt 0xb01
	v_mul_f64_e32 v[160:161], v[4:5], v[112:113]
	v_mul_f64_e32 v[112:113], v[6:7], v[112:113]
	v_fmac_f64_e32 v[162:163], v[156:157], v[106:107]
	v_fma_f64 v[154:155], v[154:155], v[106:107], -v[108:109]
	scratch_load_b128 v[106:109], off, off offset:448
	v_add_f64_e32 v[158:159], v[158:159], v[164:165]
	v_add_f64_e32 v[156:157], v[168:169], v[166:167]
	v_fmac_f64_e32 v[160:161], v[6:7], v[110:111]
	v_fma_f64 v[166:167], v[4:5], v[110:111], -v[112:113]
	ds_load_b128 v[4:7], v2 offset:1008
	s_wait_loadcnt_dscnt 0xb01
	v_mul_f64_e32 v[164:165], v[146:147], v[116:117]
	v_mul_f64_e32 v[116:117], v[148:149], v[116:117]
	scratch_load_b128 v[110:113], off, off offset:464
	v_add_f64_e32 v[158:159], v[158:159], v[162:163]
	s_wait_loadcnt_dscnt 0xb00
	v_mul_f64_e32 v[162:163], v[4:5], v[120:121]
	v_add_f64_e32 v[168:169], v[156:157], v[154:155]
	v_mul_f64_e32 v[120:121], v[6:7], v[120:121]
	ds_load_b128 v[154:157], v2 offset:1024
	v_fmac_f64_e32 v[164:165], v[148:149], v[114:115]
	v_fma_f64 v[146:147], v[146:147], v[114:115], -v[116:117]
	scratch_load_b128 v[114:117], off, off offset:480
	v_add_f64_e32 v[158:159], v[158:159], v[160:161]
	v_fmac_f64_e32 v[162:163], v[6:7], v[118:119]
	v_add_f64_e32 v[148:149], v[168:169], v[166:167]
	v_fma_f64 v[166:167], v[4:5], v[118:119], -v[120:121]
	ds_load_b128 v[4:7], v2 offset:1040
	s_wait_loadcnt_dscnt 0xb01
	v_mul_f64_e32 v[160:161], v[154:155], v[124:125]
	v_mul_f64_e32 v[124:125], v[156:157], v[124:125]
	scratch_load_b128 v[118:121], off, off offset:496
	v_add_f64_e32 v[158:159], v[158:159], v[164:165]
	s_wait_loadcnt_dscnt 0xb00
	v_mul_f64_e32 v[164:165], v[4:5], v[128:129]
	v_add_f64_e32 v[168:169], v[148:149], v[146:147]
	v_mul_f64_e32 v[128:129], v[6:7], v[128:129]
	ds_load_b128 v[146:149], v2 offset:1056
	v_fmac_f64_e32 v[160:161], v[156:157], v[122:123]
	v_fma_f64 v[154:155], v[154:155], v[122:123], -v[124:125]
	scratch_load_b128 v[122:125], off, off offset:512
	v_add_f64_e32 v[158:159], v[158:159], v[162:163]
	v_fmac_f64_e32 v[164:165], v[6:7], v[126:127]
	v_add_f64_e32 v[156:157], v[168:169], v[166:167]
	;; [unrolled: 18-line block ×3, first 2 shown]
	v_fma_f64 v[166:167], v[4:5], v[138:139], -v[140:141]
	ds_load_b128 v[4:7], v2 offset:1104
	s_wait_loadcnt_dscnt 0xa01
	v_mul_f64_e32 v[164:165], v[154:155], v[152:153]
	v_mul_f64_e32 v[152:153], v[156:157], v[152:153]
	scratch_load_b128 v[138:141], off, off offset:560
	v_add_f64_e32 v[158:159], v[158:159], v[162:163]
	v_add_f64_e32 v[168:169], v[148:149], v[146:147]
	s_wait_loadcnt_dscnt 0xa00
	v_mul_f64_e32 v[162:163], v[4:5], v[136:137]
	v_mul_f64_e32 v[136:137], v[6:7], v[136:137]
	v_fmac_f64_e32 v[164:165], v[156:157], v[150:151]
	v_fma_f64 v[154:155], v[154:155], v[150:151], -v[152:153]
	ds_load_b128 v[146:149], v2 offset:1120
	scratch_load_b128 v[150:153], off, off offset:576
	v_add_f64_e32 v[158:159], v[158:159], v[160:161]
	v_add_f64_e32 v[156:157], v[168:169], v[166:167]
	v_fmac_f64_e32 v[162:163], v[6:7], v[134:135]
	v_fma_f64 v[166:167], v[4:5], v[134:135], -v[136:137]
	ds_load_b128 v[4:7], v2 offset:1136
	s_wait_loadcnt_dscnt 0xa01
	v_mul_f64_e32 v[160:161], v[146:147], v[10:11]
	v_mul_f64_e32 v[10:11], v[148:149], v[10:11]
	scratch_load_b128 v[134:137], off, off offset:592
	v_add_f64_e32 v[158:159], v[158:159], v[164:165]
	s_wait_loadcnt_dscnt 0xa00
	v_mul_f64_e32 v[164:165], v[4:5], v[14:15]
	v_add_f64_e32 v[168:169], v[156:157], v[154:155]
	v_mul_f64_e32 v[14:15], v[6:7], v[14:15]
	ds_load_b128 v[154:157], v2 offset:1152
	v_fmac_f64_e32 v[160:161], v[148:149], v[8:9]
	v_fma_f64 v[146:147], v[146:147], v[8:9], -v[10:11]
	scratch_load_b128 v[8:11], off, off offset:608
	v_add_f64_e32 v[158:159], v[158:159], v[162:163]
	v_fmac_f64_e32 v[164:165], v[6:7], v[12:13]
	v_add_f64_e32 v[148:149], v[168:169], v[166:167]
	v_fma_f64 v[166:167], v[4:5], v[12:13], -v[14:15]
	ds_load_b128 v[4:7], v2 offset:1168
	s_wait_loadcnt_dscnt 0xa01
	v_mul_f64_e32 v[162:163], v[154:155], v[108:109]
	v_mul_f64_e32 v[108:109], v[156:157], v[108:109]
	scratch_load_b128 v[12:15], off, off offset:624
	v_add_f64_e32 v[158:159], v[158:159], v[160:161]
	s_wait_loadcnt_dscnt 0xa00
	v_mul_f64_e32 v[160:161], v[4:5], v[112:113]
	v_add_f64_e32 v[168:169], v[148:149], v[146:147]
	v_mul_f64_e32 v[112:113], v[6:7], v[112:113]
	ds_load_b128 v[146:149], v2 offset:1184
	v_fmac_f64_e32 v[162:163], v[156:157], v[106:107]
	v_fma_f64 v[154:155], v[154:155], v[106:107], -v[108:109]
	scratch_load_b128 v[106:109], off, off offset:640
	v_add_f64_e32 v[158:159], v[158:159], v[164:165]
	v_fmac_f64_e32 v[160:161], v[6:7], v[110:111]
	v_add_f64_e32 v[156:157], v[168:169], v[166:167]
	;; [unrolled: 18-line block ×3, first 2 shown]
	v_fma_f64 v[166:167], v[4:5], v[118:119], -v[120:121]
	ds_load_b128 v[4:7], v2 offset:1232
	s_wait_loadcnt_dscnt 0xa01
	v_mul_f64_e32 v[160:161], v[154:155], v[124:125]
	v_mul_f64_e32 v[124:125], v[156:157], v[124:125]
	scratch_load_b128 v[118:121], off, off offset:688
	v_add_f64_e32 v[158:159], v[158:159], v[164:165]
	s_wait_loadcnt_dscnt 0xa00
	v_mul_f64_e32 v[164:165], v[4:5], v[128:129]
	v_add_f64_e32 v[168:169], v[148:149], v[146:147]
	v_mul_f64_e32 v[128:129], v[6:7], v[128:129]
	ds_load_b128 v[146:149], v2 offset:1248
	v_fmac_f64_e32 v[160:161], v[156:157], v[122:123]
	v_fma_f64 v[122:123], v[154:155], v[122:123], -v[124:125]
	s_wait_loadcnt_dscnt 0x900
	v_mul_f64_e32 v[156:157], v[146:147], v[132:133]
	v_mul_f64_e32 v[132:133], v[148:149], v[132:133]
	v_add_f64_e32 v[154:155], v[158:159], v[162:163]
	v_fmac_f64_e32 v[164:165], v[6:7], v[126:127]
	v_add_f64_e32 v[124:125], v[168:169], v[166:167]
	v_fma_f64 v[126:127], v[4:5], v[126:127], -v[128:129]
	v_fmac_f64_e32 v[156:157], v[148:149], v[130:131]
	v_fma_f64 v[130:131], v[146:147], v[130:131], -v[132:133]
	v_add_f64_e32 v[154:155], v[154:155], v[160:161]
	v_add_f64_e32 v[128:129], v[124:125], v[122:123]
	ds_load_b128 v[4:7], v2 offset:1264
	ds_load_b128 v[122:125], v2 offset:1280
	s_wait_loadcnt_dscnt 0x801
	v_mul_f64_e32 v[158:159], v[4:5], v[140:141]
	v_mul_f64_e32 v[140:141], v[6:7], v[140:141]
	s_wait_loadcnt_dscnt 0x700
	v_mul_f64_e32 v[132:133], v[122:123], v[152:153]
	v_mul_f64_e32 v[146:147], v[124:125], v[152:153]
	v_add_f64_e32 v[126:127], v[128:129], v[126:127]
	v_add_f64_e32 v[128:129], v[154:155], v[164:165]
	v_fmac_f64_e32 v[158:159], v[6:7], v[138:139]
	v_fma_f64 v[138:139], v[4:5], v[138:139], -v[140:141]
	v_fmac_f64_e32 v[132:133], v[124:125], v[150:151]
	v_fma_f64 v[122:123], v[122:123], v[150:151], -v[146:147]
	v_add_f64_e32 v[130:131], v[126:127], v[130:131]
	v_add_f64_e32 v[140:141], v[128:129], v[156:157]
	ds_load_b128 v[4:7], v2 offset:1296
	ds_load_b128 v[126:129], v2 offset:1312
	s_wait_loadcnt_dscnt 0x601
	v_mul_f64_e32 v[148:149], v[4:5], v[136:137]
	v_mul_f64_e32 v[136:137], v[6:7], v[136:137]
	v_add_f64_e32 v[124:125], v[130:131], v[138:139]
	v_add_f64_e32 v[130:131], v[140:141], v[158:159]
	s_wait_loadcnt_dscnt 0x500
	v_mul_f64_e32 v[138:139], v[126:127], v[10:11]
	v_mul_f64_e32 v[10:11], v[128:129], v[10:11]
	v_fmac_f64_e32 v[148:149], v[6:7], v[134:135]
	v_fma_f64 v[134:135], v[4:5], v[134:135], -v[136:137]
	v_add_f64_e32 v[136:137], v[124:125], v[122:123]
	v_add_f64_e32 v[130:131], v[130:131], v[132:133]
	ds_load_b128 v[4:7], v2 offset:1328
	ds_load_b128 v[122:125], v2 offset:1344
	v_fmac_f64_e32 v[138:139], v[128:129], v[8:9]
	v_fma_f64 v[8:9], v[126:127], v[8:9], -v[10:11]
	s_wait_loadcnt_dscnt 0x401
	v_mul_f64_e32 v[132:133], v[4:5], v[14:15]
	v_mul_f64_e32 v[14:15], v[6:7], v[14:15]
	s_wait_loadcnt_dscnt 0x300
	v_mul_f64_e32 v[128:129], v[122:123], v[108:109]
	v_mul_f64_e32 v[108:109], v[124:125], v[108:109]
	v_add_f64_e32 v[10:11], v[136:137], v[134:135]
	v_add_f64_e32 v[126:127], v[130:131], v[148:149]
	v_fmac_f64_e32 v[132:133], v[6:7], v[12:13]
	v_fma_f64 v[12:13], v[4:5], v[12:13], -v[14:15]
	v_fmac_f64_e32 v[128:129], v[124:125], v[106:107]
	v_fma_f64 v[106:107], v[122:123], v[106:107], -v[108:109]
	v_add_f64_e32 v[14:15], v[10:11], v[8:9]
	v_add_f64_e32 v[126:127], v[126:127], v[138:139]
	ds_load_b128 v[4:7], v2 offset:1360
	ds_load_b128 v[8:11], v2 offset:1376
	s_wait_loadcnt_dscnt 0x201
	v_mul_f64_e32 v[130:131], v[4:5], v[112:113]
	v_mul_f64_e32 v[112:113], v[6:7], v[112:113]
	s_wait_loadcnt_dscnt 0x100
	v_mul_f64_e32 v[108:109], v[8:9], v[116:117]
	v_mul_f64_e32 v[116:117], v[10:11], v[116:117]
	v_add_f64_e32 v[12:13], v[14:15], v[12:13]
	v_add_f64_e32 v[14:15], v[126:127], v[132:133]
	v_fmac_f64_e32 v[130:131], v[6:7], v[110:111]
	v_fma_f64 v[110:111], v[4:5], v[110:111], -v[112:113]
	ds_load_b128 v[4:7], v2 offset:1392
	v_fmac_f64_e32 v[108:109], v[10:11], v[114:115]
	v_fma_f64 v[8:9], v[8:9], v[114:115], -v[116:117]
	v_add_f64_e32 v[12:13], v[12:13], v[106:107]
	v_add_f64_e32 v[14:15], v[14:15], v[128:129]
	s_wait_loadcnt_dscnt 0x0
	v_mul_f64_e32 v[106:107], v[4:5], v[120:121]
	v_mul_f64_e32 v[112:113], v[6:7], v[120:121]
	s_delay_alu instid0(VALU_DEP_4) | instskip(NEXT) | instid1(VALU_DEP_4)
	v_add_f64_e32 v[10:11], v[12:13], v[110:111]
	v_add_f64_e32 v[12:13], v[14:15], v[130:131]
	s_delay_alu instid0(VALU_DEP_4) | instskip(NEXT) | instid1(VALU_DEP_4)
	v_fmac_f64_e32 v[106:107], v[6:7], v[118:119]
	v_fma_f64 v[4:5], v[4:5], v[118:119], -v[112:113]
	s_delay_alu instid0(VALU_DEP_4) | instskip(NEXT) | instid1(VALU_DEP_4)
	v_add_f64_e32 v[6:7], v[10:11], v[8:9]
	v_add_f64_e32 v[8:9], v[12:13], v[108:109]
	s_delay_alu instid0(VALU_DEP_2) | instskip(NEXT) | instid1(VALU_DEP_2)
	v_add_f64_e32 v[4:5], v[6:7], v[4:5]
	v_add_f64_e32 v[6:7], v[8:9], v[106:107]
	s_delay_alu instid0(VALU_DEP_2) | instskip(NEXT) | instid1(VALU_DEP_2)
	v_add_f64_e64 v[4:5], v[142:143], -v[4:5]
	v_add_f64_e64 v[6:7], v[144:145], -v[6:7]
	scratch_store_b128 off, v[4:7], off offset:192
	s_wait_xcnt 0x0
	v_cmpx_lt_u32_e32 11, v1
	s_cbranch_execz .LBB107_255
; %bb.254:
	scratch_load_b128 v[6:9], off, s49
	v_dual_mov_b32 v3, v2 :: v_dual_mov_b32 v4, v2
	v_mov_b32_e32 v5, v2
	scratch_store_b128 off, v[2:5], off offset:176
	s_wait_loadcnt 0x0
	ds_store_b128 v104, v[6:9]
.LBB107_255:
	s_wait_xcnt 0x0
	s_or_b32 exec_lo, exec_lo, s2
	s_wait_storecnt_dscnt 0x0
	s_barrier_signal -1
	s_barrier_wait -1
	s_clause 0x9
	scratch_load_b128 v[4:7], off, off offset:192
	scratch_load_b128 v[8:11], off, off offset:208
	;; [unrolled: 1-line block ×10, first 2 shown]
	ds_load_b128 v[134:137], v2 offset:896
	ds_load_b128 v[142:145], v2 offset:912
	s_clause 0x2
	scratch_load_b128 v[138:141], off, off offset:352
	scratch_load_b128 v[146:149], off, off offset:176
	;; [unrolled: 1-line block ×3, first 2 shown]
	s_mov_b32 s2, exec_lo
	s_wait_loadcnt_dscnt 0xc01
	v_mul_f64_e32 v[154:155], v[136:137], v[6:7]
	v_mul_f64_e32 v[158:159], v[134:135], v[6:7]
	s_wait_loadcnt_dscnt 0xb00
	v_mul_f64_e32 v[160:161], v[142:143], v[10:11]
	v_mul_f64_e32 v[10:11], v[144:145], v[10:11]
	s_delay_alu instid0(VALU_DEP_4) | instskip(NEXT) | instid1(VALU_DEP_4)
	v_fma_f64 v[162:163], v[134:135], v[4:5], -v[154:155]
	v_fmac_f64_e32 v[158:159], v[136:137], v[4:5]
	ds_load_b128 v[4:7], v2 offset:928
	ds_load_b128 v[134:137], v2 offset:944
	scratch_load_b128 v[154:157], off, off offset:384
	v_fmac_f64_e32 v[160:161], v[144:145], v[8:9]
	v_fma_f64 v[142:143], v[142:143], v[8:9], -v[10:11]
	scratch_load_b128 v[8:11], off, off offset:400
	s_wait_loadcnt_dscnt 0xc01
	v_mul_f64_e32 v[164:165], v[4:5], v[14:15]
	v_mul_f64_e32 v[14:15], v[6:7], v[14:15]
	v_add_f64_e32 v[144:145], 0, v[162:163]
	v_add_f64_e32 v[158:159], 0, v[158:159]
	s_wait_loadcnt_dscnt 0xb00
	v_mul_f64_e32 v[162:163], v[134:135], v[108:109]
	v_mul_f64_e32 v[108:109], v[136:137], v[108:109]
	v_fmac_f64_e32 v[164:165], v[6:7], v[12:13]
	v_fma_f64 v[166:167], v[4:5], v[12:13], -v[14:15]
	ds_load_b128 v[4:7], v2 offset:960
	ds_load_b128 v[12:15], v2 offset:976
	v_add_f64_e32 v[168:169], v[144:145], v[142:143]
	v_add_f64_e32 v[158:159], v[158:159], v[160:161]
	scratch_load_b128 v[142:145], off, off offset:416
	v_fmac_f64_e32 v[162:163], v[136:137], v[106:107]
	v_fma_f64 v[134:135], v[134:135], v[106:107], -v[108:109]
	scratch_load_b128 v[106:109], off, off offset:432
	s_wait_loadcnt_dscnt 0xc01
	v_mul_f64_e32 v[160:161], v[4:5], v[112:113]
	v_mul_f64_e32 v[112:113], v[6:7], v[112:113]
	v_add_f64_e32 v[136:137], v[168:169], v[166:167]
	v_add_f64_e32 v[158:159], v[158:159], v[164:165]
	s_wait_loadcnt_dscnt 0xb00
	v_mul_f64_e32 v[164:165], v[12:13], v[116:117]
	v_mul_f64_e32 v[116:117], v[14:15], v[116:117]
	v_fmac_f64_e32 v[160:161], v[6:7], v[110:111]
	v_fma_f64 v[166:167], v[4:5], v[110:111], -v[112:113]
	ds_load_b128 v[4:7], v2 offset:992
	ds_load_b128 v[110:113], v2 offset:1008
	v_add_f64_e32 v[168:169], v[136:137], v[134:135]
	v_add_f64_e32 v[158:159], v[158:159], v[162:163]
	scratch_load_b128 v[134:137], off, off offset:448
	s_wait_loadcnt_dscnt 0xb01
	v_mul_f64_e32 v[162:163], v[4:5], v[120:121]
	v_mul_f64_e32 v[120:121], v[6:7], v[120:121]
	v_fmac_f64_e32 v[164:165], v[14:15], v[114:115]
	v_fma_f64 v[114:115], v[12:13], v[114:115], -v[116:117]
	scratch_load_b128 v[12:15], off, off offset:464
	v_add_f64_e32 v[116:117], v[168:169], v[166:167]
	v_add_f64_e32 v[158:159], v[158:159], v[160:161]
	s_wait_loadcnt_dscnt 0xb00
	v_mul_f64_e32 v[160:161], v[110:111], v[124:125]
	v_mul_f64_e32 v[124:125], v[112:113], v[124:125]
	v_fmac_f64_e32 v[162:163], v[6:7], v[118:119]
	v_fma_f64 v[166:167], v[4:5], v[118:119], -v[120:121]
	v_add_f64_e32 v[168:169], v[116:117], v[114:115]
	v_add_f64_e32 v[158:159], v[158:159], v[164:165]
	ds_load_b128 v[4:7], v2 offset:1024
	ds_load_b128 v[114:117], v2 offset:1040
	scratch_load_b128 v[118:121], off, off offset:480
	v_fmac_f64_e32 v[160:161], v[112:113], v[122:123]
	v_fma_f64 v[122:123], v[110:111], v[122:123], -v[124:125]
	scratch_load_b128 v[110:113], off, off offset:496
	s_wait_loadcnt_dscnt 0xc01
	v_mul_f64_e32 v[164:165], v[4:5], v[128:129]
	v_mul_f64_e32 v[128:129], v[6:7], v[128:129]
	v_add_f64_e32 v[124:125], v[168:169], v[166:167]
	v_add_f64_e32 v[158:159], v[158:159], v[162:163]
	s_wait_loadcnt_dscnt 0xb00
	v_mul_f64_e32 v[162:163], v[114:115], v[132:133]
	v_mul_f64_e32 v[132:133], v[116:117], v[132:133]
	v_fmac_f64_e32 v[164:165], v[6:7], v[126:127]
	v_fma_f64 v[166:167], v[4:5], v[126:127], -v[128:129]
	v_add_f64_e32 v[168:169], v[124:125], v[122:123]
	v_add_f64_e32 v[158:159], v[158:159], v[160:161]
	ds_load_b128 v[4:7], v2 offset:1056
	ds_load_b128 v[122:125], v2 offset:1072
	scratch_load_b128 v[126:129], off, off offset:512
	v_fmac_f64_e32 v[162:163], v[116:117], v[130:131]
	v_fma_f64 v[130:131], v[114:115], v[130:131], -v[132:133]
	scratch_load_b128 v[114:117], off, off offset:528
	s_wait_loadcnt_dscnt 0xc01
	v_mul_f64_e32 v[160:161], v[4:5], v[140:141]
	v_mul_f64_e32 v[140:141], v[6:7], v[140:141]
	;; [unrolled: 18-line block ×5, first 2 shown]
	v_add_f64_e32 v[152:153], v[168:169], v[166:167]
	v_add_f64_e32 v[158:159], v[158:159], v[164:165]
	s_wait_loadcnt_dscnt 0xa00
	v_mul_f64_e32 v[164:165], v[130:131], v[14:15]
	v_mul_f64_e32 v[14:15], v[132:133], v[14:15]
	v_fmac_f64_e32 v[160:161], v[6:7], v[134:135]
	v_fma_f64 v[166:167], v[4:5], v[134:135], -v[136:137]
	ds_load_b128 v[4:7], v2 offset:1184
	ds_load_b128 v[134:137], v2 offset:1200
	v_add_f64_e32 v[168:169], v[152:153], v[150:151]
	v_add_f64_e32 v[158:159], v[158:159], v[162:163]
	scratch_load_b128 v[150:153], off, off offset:640
	v_fmac_f64_e32 v[164:165], v[132:133], v[12:13]
	v_fma_f64 v[130:131], v[130:131], v[12:13], -v[14:15]
	scratch_load_b128 v[12:15], off, off offset:656
	s_wait_loadcnt_dscnt 0xb01
	v_mul_f64_e32 v[162:163], v[4:5], v[120:121]
	v_mul_f64_e32 v[120:121], v[6:7], v[120:121]
	v_add_f64_e32 v[132:133], v[168:169], v[166:167]
	v_add_f64_e32 v[158:159], v[158:159], v[160:161]
	s_wait_loadcnt_dscnt 0xa00
	v_mul_f64_e32 v[160:161], v[134:135], v[112:113]
	v_mul_f64_e32 v[112:113], v[136:137], v[112:113]
	v_fmac_f64_e32 v[162:163], v[6:7], v[118:119]
	v_fma_f64 v[166:167], v[4:5], v[118:119], -v[120:121]
	ds_load_b128 v[4:7], v2 offset:1216
	ds_load_b128 v[118:121], v2 offset:1232
	v_add_f64_e32 v[168:169], v[132:133], v[130:131]
	v_add_f64_e32 v[158:159], v[158:159], v[164:165]
	scratch_load_b128 v[130:133], off, off offset:672
	s_wait_loadcnt_dscnt 0xa01
	v_mul_f64_e32 v[164:165], v[4:5], v[128:129]
	v_mul_f64_e32 v[128:129], v[6:7], v[128:129]
	v_fmac_f64_e32 v[160:161], v[136:137], v[110:111]
	v_fma_f64 v[134:135], v[134:135], v[110:111], -v[112:113]
	scratch_load_b128 v[110:113], off, off offset:688
	v_add_f64_e32 v[136:137], v[168:169], v[166:167]
	v_add_f64_e32 v[158:159], v[158:159], v[162:163]
	s_wait_loadcnt_dscnt 0xa00
	v_mul_f64_e32 v[162:163], v[118:119], v[116:117]
	v_mul_f64_e32 v[116:117], v[120:121], v[116:117]
	v_fmac_f64_e32 v[164:165], v[6:7], v[126:127]
	v_fma_f64 v[166:167], v[4:5], v[126:127], -v[128:129]
	ds_load_b128 v[4:7], v2 offset:1248
	ds_load_b128 v[126:129], v2 offset:1264
	v_add_f64_e32 v[134:135], v[136:137], v[134:135]
	v_add_f64_e32 v[136:137], v[158:159], v[160:161]
	v_fmac_f64_e32 v[162:163], v[120:121], v[114:115]
	s_wait_loadcnt_dscnt 0x901
	v_mul_f64_e32 v[158:159], v[4:5], v[140:141]
	v_mul_f64_e32 v[140:141], v[6:7], v[140:141]
	v_fma_f64 v[114:115], v[118:119], v[114:115], -v[116:117]
	s_wait_loadcnt_dscnt 0x800
	v_mul_f64_e32 v[120:121], v[126:127], v[124:125]
	v_mul_f64_e32 v[124:125], v[128:129], v[124:125]
	v_add_f64_e32 v[116:117], v[134:135], v[166:167]
	v_add_f64_e32 v[118:119], v[136:137], v[164:165]
	v_fmac_f64_e32 v[158:159], v[6:7], v[138:139]
	v_fma_f64 v[134:135], v[4:5], v[138:139], -v[140:141]
	v_fmac_f64_e32 v[120:121], v[128:129], v[122:123]
	v_fma_f64 v[122:123], v[126:127], v[122:123], -v[124:125]
	v_add_f64_e32 v[136:137], v[116:117], v[114:115]
	v_add_f64_e32 v[118:119], v[118:119], v[162:163]
	ds_load_b128 v[4:7], v2 offset:1280
	ds_load_b128 v[114:117], v2 offset:1296
	s_wait_loadcnt_dscnt 0x701
	v_mul_f64_e32 v[138:139], v[4:5], v[156:157]
	v_mul_f64_e32 v[140:141], v[6:7], v[156:157]
	s_wait_loadcnt_dscnt 0x600
	v_mul_f64_e32 v[126:127], v[114:115], v[10:11]
	v_mul_f64_e32 v[10:11], v[116:117], v[10:11]
	v_add_f64_e32 v[124:125], v[136:137], v[134:135]
	v_add_f64_e32 v[118:119], v[118:119], v[158:159]
	v_fmac_f64_e32 v[138:139], v[6:7], v[154:155]
	v_fma_f64 v[128:129], v[4:5], v[154:155], -v[140:141]
	v_fmac_f64_e32 v[126:127], v[116:117], v[8:9]
	v_fma_f64 v[8:9], v[114:115], v[8:9], -v[10:11]
	v_add_f64_e32 v[122:123], v[124:125], v[122:123]
	v_add_f64_e32 v[124:125], v[118:119], v[120:121]
	ds_load_b128 v[4:7], v2 offset:1312
	ds_load_b128 v[118:121], v2 offset:1328
	s_wait_loadcnt_dscnt 0x501
	v_mul_f64_e32 v[134:135], v[4:5], v[144:145]
	v_mul_f64_e32 v[136:137], v[6:7], v[144:145]
	;; [unrolled: 16-line block ×4, first 2 shown]
	s_wait_loadcnt_dscnt 0x0
	v_mul_f64_e32 v[14:15], v[106:107], v[112:113]
	v_mul_f64_e32 v[112:113], v[108:109], v[112:113]
	v_add_f64_e32 v[10:11], v[122:123], v[120:121]
	v_add_f64_e32 v[12:13], v[114:115], v[126:127]
	v_fmac_f64_e32 v[2:3], v[6:7], v[130:131]
	v_fma_f64 v[4:5], v[4:5], v[130:131], -v[116:117]
	v_fmac_f64_e32 v[14:15], v[108:109], v[110:111]
	v_add_f64_e32 v[6:7], v[10:11], v[8:9]
	v_add_f64_e32 v[8:9], v[12:13], v[118:119]
	v_fma_f64 v[10:11], v[106:107], v[110:111], -v[112:113]
	s_delay_alu instid0(VALU_DEP_3) | instskip(NEXT) | instid1(VALU_DEP_3)
	v_add_f64_e32 v[4:5], v[6:7], v[4:5]
	v_add_f64_e32 v[2:3], v[8:9], v[2:3]
	s_delay_alu instid0(VALU_DEP_2) | instskip(NEXT) | instid1(VALU_DEP_2)
	v_add_f64_e32 v[4:5], v[4:5], v[10:11]
	v_add_f64_e32 v[6:7], v[2:3], v[14:15]
	s_delay_alu instid0(VALU_DEP_2) | instskip(NEXT) | instid1(VALU_DEP_2)
	v_add_f64_e64 v[2:3], v[146:147], -v[4:5]
	v_add_f64_e64 v[4:5], v[148:149], -v[6:7]
	scratch_store_b128 off, v[2:5], off offset:176
	s_wait_xcnt 0x0
	v_cmpx_lt_u32_e32 10, v1
	s_cbranch_execz .LBB107_257
; %bb.256:
	scratch_load_b128 v[2:5], off, s50
	v_mov_b32_e32 v6, 0
	s_delay_alu instid0(VALU_DEP_1)
	v_dual_mov_b32 v7, v6 :: v_dual_mov_b32 v8, v6
	v_mov_b32_e32 v9, v6
	scratch_store_b128 off, v[6:9], off offset:160
	s_wait_loadcnt 0x0
	ds_store_b128 v104, v[2:5]
.LBB107_257:
	s_wait_xcnt 0x0
	s_or_b32 exec_lo, exec_lo, s2
	s_wait_storecnt_dscnt 0x0
	s_barrier_signal -1
	s_barrier_wait -1
	s_clause 0x9
	scratch_load_b128 v[4:7], off, off offset:176
	scratch_load_b128 v[8:11], off, off offset:192
	;; [unrolled: 1-line block ×10, first 2 shown]
	v_mov_b32_e32 v2, 0
	s_mov_b32 s2, exec_lo
	ds_load_b128 v[134:137], v2 offset:880
	s_clause 0x2
	scratch_load_b128 v[138:141], off, off offset:336
	scratch_load_b128 v[142:145], off, off offset:160
	;; [unrolled: 1-line block ×3, first 2 shown]
	s_wait_loadcnt_dscnt 0xc00
	v_mul_f64_e32 v[154:155], v[136:137], v[6:7]
	v_mul_f64_e32 v[158:159], v[134:135], v[6:7]
	ds_load_b128 v[146:149], v2 offset:896
	v_fma_f64 v[162:163], v[134:135], v[4:5], -v[154:155]
	v_fmac_f64_e32 v[158:159], v[136:137], v[4:5]
	ds_load_b128 v[4:7], v2 offset:912
	s_wait_loadcnt_dscnt 0xb01
	v_mul_f64_e32 v[160:161], v[146:147], v[10:11]
	v_mul_f64_e32 v[10:11], v[148:149], v[10:11]
	scratch_load_b128 v[134:137], off, off offset:368
	ds_load_b128 v[154:157], v2 offset:928
	s_wait_loadcnt_dscnt 0xb01
	v_mul_f64_e32 v[164:165], v[4:5], v[14:15]
	v_mul_f64_e32 v[14:15], v[6:7], v[14:15]
	v_add_f64_e32 v[158:159], 0, v[158:159]
	v_fmac_f64_e32 v[160:161], v[148:149], v[8:9]
	v_fma_f64 v[146:147], v[146:147], v[8:9], -v[10:11]
	v_add_f64_e32 v[148:149], 0, v[162:163]
	scratch_load_b128 v[8:11], off, off offset:384
	v_fmac_f64_e32 v[164:165], v[6:7], v[12:13]
	v_fma_f64 v[166:167], v[4:5], v[12:13], -v[14:15]
	ds_load_b128 v[4:7], v2 offset:944
	s_wait_loadcnt_dscnt 0xb01
	v_mul_f64_e32 v[162:163], v[154:155], v[108:109]
	v_mul_f64_e32 v[108:109], v[156:157], v[108:109]
	scratch_load_b128 v[12:15], off, off offset:400
	v_add_f64_e32 v[158:159], v[158:159], v[160:161]
	v_add_f64_e32 v[168:169], v[148:149], v[146:147]
	ds_load_b128 v[146:149], v2 offset:960
	s_wait_loadcnt_dscnt 0xb01
	v_mul_f64_e32 v[160:161], v[4:5], v[112:113]
	v_mul_f64_e32 v[112:113], v[6:7], v[112:113]
	v_fmac_f64_e32 v[162:163], v[156:157], v[106:107]
	v_fma_f64 v[154:155], v[154:155], v[106:107], -v[108:109]
	scratch_load_b128 v[106:109], off, off offset:416
	v_add_f64_e32 v[158:159], v[158:159], v[164:165]
	v_add_f64_e32 v[156:157], v[168:169], v[166:167]
	v_fmac_f64_e32 v[160:161], v[6:7], v[110:111]
	v_fma_f64 v[166:167], v[4:5], v[110:111], -v[112:113]
	ds_load_b128 v[4:7], v2 offset:976
	s_wait_loadcnt_dscnt 0xb01
	v_mul_f64_e32 v[164:165], v[146:147], v[116:117]
	v_mul_f64_e32 v[116:117], v[148:149], v[116:117]
	scratch_load_b128 v[110:113], off, off offset:432
	v_add_f64_e32 v[158:159], v[158:159], v[162:163]
	s_wait_loadcnt_dscnt 0xb00
	v_mul_f64_e32 v[162:163], v[4:5], v[120:121]
	v_add_f64_e32 v[168:169], v[156:157], v[154:155]
	v_mul_f64_e32 v[120:121], v[6:7], v[120:121]
	ds_load_b128 v[154:157], v2 offset:992
	v_fmac_f64_e32 v[164:165], v[148:149], v[114:115]
	v_fma_f64 v[146:147], v[146:147], v[114:115], -v[116:117]
	scratch_load_b128 v[114:117], off, off offset:448
	v_add_f64_e32 v[158:159], v[158:159], v[160:161]
	v_fmac_f64_e32 v[162:163], v[6:7], v[118:119]
	v_add_f64_e32 v[148:149], v[168:169], v[166:167]
	v_fma_f64 v[166:167], v[4:5], v[118:119], -v[120:121]
	ds_load_b128 v[4:7], v2 offset:1008
	s_wait_loadcnt_dscnt 0xb01
	v_mul_f64_e32 v[160:161], v[154:155], v[124:125]
	v_mul_f64_e32 v[124:125], v[156:157], v[124:125]
	scratch_load_b128 v[118:121], off, off offset:464
	v_add_f64_e32 v[158:159], v[158:159], v[164:165]
	s_wait_loadcnt_dscnt 0xb00
	v_mul_f64_e32 v[164:165], v[4:5], v[128:129]
	v_add_f64_e32 v[168:169], v[148:149], v[146:147]
	v_mul_f64_e32 v[128:129], v[6:7], v[128:129]
	ds_load_b128 v[146:149], v2 offset:1024
	v_fmac_f64_e32 v[160:161], v[156:157], v[122:123]
	v_fma_f64 v[154:155], v[154:155], v[122:123], -v[124:125]
	scratch_load_b128 v[122:125], off, off offset:480
	v_add_f64_e32 v[158:159], v[158:159], v[162:163]
	v_fmac_f64_e32 v[164:165], v[6:7], v[126:127]
	v_add_f64_e32 v[156:157], v[168:169], v[166:167]
	;; [unrolled: 18-line block ×3, first 2 shown]
	v_fma_f64 v[166:167], v[4:5], v[138:139], -v[140:141]
	ds_load_b128 v[4:7], v2 offset:1072
	s_wait_loadcnt_dscnt 0xa01
	v_mul_f64_e32 v[164:165], v[154:155], v[152:153]
	v_mul_f64_e32 v[152:153], v[156:157], v[152:153]
	scratch_load_b128 v[138:141], off, off offset:528
	v_add_f64_e32 v[158:159], v[158:159], v[162:163]
	v_add_f64_e32 v[168:169], v[148:149], v[146:147]
	s_wait_loadcnt_dscnt 0xa00
	v_mul_f64_e32 v[162:163], v[4:5], v[136:137]
	v_mul_f64_e32 v[136:137], v[6:7], v[136:137]
	v_fmac_f64_e32 v[164:165], v[156:157], v[150:151]
	v_fma_f64 v[154:155], v[154:155], v[150:151], -v[152:153]
	ds_load_b128 v[146:149], v2 offset:1088
	scratch_load_b128 v[150:153], off, off offset:544
	v_add_f64_e32 v[158:159], v[158:159], v[160:161]
	v_add_f64_e32 v[156:157], v[168:169], v[166:167]
	v_fmac_f64_e32 v[162:163], v[6:7], v[134:135]
	v_fma_f64 v[166:167], v[4:5], v[134:135], -v[136:137]
	ds_load_b128 v[4:7], v2 offset:1104
	s_wait_loadcnt_dscnt 0xa01
	v_mul_f64_e32 v[160:161], v[146:147], v[10:11]
	v_mul_f64_e32 v[10:11], v[148:149], v[10:11]
	scratch_load_b128 v[134:137], off, off offset:560
	v_add_f64_e32 v[158:159], v[158:159], v[164:165]
	s_wait_loadcnt_dscnt 0xa00
	v_mul_f64_e32 v[164:165], v[4:5], v[14:15]
	v_add_f64_e32 v[168:169], v[156:157], v[154:155]
	v_mul_f64_e32 v[14:15], v[6:7], v[14:15]
	ds_load_b128 v[154:157], v2 offset:1120
	v_fmac_f64_e32 v[160:161], v[148:149], v[8:9]
	v_fma_f64 v[146:147], v[146:147], v[8:9], -v[10:11]
	scratch_load_b128 v[8:11], off, off offset:576
	v_add_f64_e32 v[158:159], v[158:159], v[162:163]
	v_fmac_f64_e32 v[164:165], v[6:7], v[12:13]
	v_add_f64_e32 v[148:149], v[168:169], v[166:167]
	v_fma_f64 v[166:167], v[4:5], v[12:13], -v[14:15]
	ds_load_b128 v[4:7], v2 offset:1136
	s_wait_loadcnt_dscnt 0xa01
	v_mul_f64_e32 v[162:163], v[154:155], v[108:109]
	v_mul_f64_e32 v[108:109], v[156:157], v[108:109]
	scratch_load_b128 v[12:15], off, off offset:592
	v_add_f64_e32 v[158:159], v[158:159], v[160:161]
	s_wait_loadcnt_dscnt 0xa00
	v_mul_f64_e32 v[160:161], v[4:5], v[112:113]
	v_add_f64_e32 v[168:169], v[148:149], v[146:147]
	v_mul_f64_e32 v[112:113], v[6:7], v[112:113]
	ds_load_b128 v[146:149], v2 offset:1152
	v_fmac_f64_e32 v[162:163], v[156:157], v[106:107]
	v_fma_f64 v[154:155], v[154:155], v[106:107], -v[108:109]
	scratch_load_b128 v[106:109], off, off offset:608
	v_add_f64_e32 v[158:159], v[158:159], v[164:165]
	v_fmac_f64_e32 v[160:161], v[6:7], v[110:111]
	v_add_f64_e32 v[156:157], v[168:169], v[166:167]
	;; [unrolled: 18-line block ×4, first 2 shown]
	v_fma_f64 v[166:167], v[4:5], v[126:127], -v[128:129]
	ds_load_b128 v[4:7], v2 offset:1232
	s_wait_loadcnt_dscnt 0xa01
	v_mul_f64_e32 v[162:163], v[146:147], v[132:133]
	v_mul_f64_e32 v[132:133], v[148:149], v[132:133]
	scratch_load_b128 v[126:129], off, off offset:688
	v_add_f64_e32 v[158:159], v[158:159], v[160:161]
	s_wait_loadcnt_dscnt 0xa00
	v_mul_f64_e32 v[160:161], v[4:5], v[140:141]
	v_add_f64_e32 v[168:169], v[156:157], v[154:155]
	v_mul_f64_e32 v[140:141], v[6:7], v[140:141]
	ds_load_b128 v[154:157], v2 offset:1248
	v_fmac_f64_e32 v[162:163], v[148:149], v[130:131]
	v_fma_f64 v[130:131], v[146:147], v[130:131], -v[132:133]
	s_wait_loadcnt_dscnt 0x900
	v_mul_f64_e32 v[148:149], v[154:155], v[152:153]
	v_mul_f64_e32 v[152:153], v[156:157], v[152:153]
	v_add_f64_e32 v[146:147], v[158:159], v[164:165]
	v_fmac_f64_e32 v[160:161], v[6:7], v[138:139]
	v_add_f64_e32 v[132:133], v[168:169], v[166:167]
	v_fma_f64 v[138:139], v[4:5], v[138:139], -v[140:141]
	v_fmac_f64_e32 v[148:149], v[156:157], v[150:151]
	v_fma_f64 v[150:151], v[154:155], v[150:151], -v[152:153]
	v_add_f64_e32 v[146:147], v[146:147], v[162:163]
	v_add_f64_e32 v[140:141], v[132:133], v[130:131]
	ds_load_b128 v[4:7], v2 offset:1264
	ds_load_b128 v[130:133], v2 offset:1280
	s_wait_loadcnt_dscnt 0x801
	v_mul_f64_e32 v[158:159], v[4:5], v[136:137]
	v_mul_f64_e32 v[136:137], v[6:7], v[136:137]
	v_add_f64_e32 v[138:139], v[140:141], v[138:139]
	v_add_f64_e32 v[140:141], v[146:147], v[160:161]
	s_wait_loadcnt_dscnt 0x700
	v_mul_f64_e32 v[146:147], v[130:131], v[10:11]
	v_mul_f64_e32 v[10:11], v[132:133], v[10:11]
	v_fmac_f64_e32 v[158:159], v[6:7], v[134:135]
	v_fma_f64 v[152:153], v[4:5], v[134:135], -v[136:137]
	ds_load_b128 v[4:7], v2 offset:1296
	ds_load_b128 v[134:137], v2 offset:1312
	v_add_f64_e32 v[138:139], v[138:139], v[150:151]
	v_add_f64_e32 v[140:141], v[140:141], v[148:149]
	v_fmac_f64_e32 v[146:147], v[132:133], v[8:9]
	v_fma_f64 v[8:9], v[130:131], v[8:9], -v[10:11]
	s_wait_loadcnt_dscnt 0x601
	v_mul_f64_e32 v[148:149], v[4:5], v[14:15]
	v_mul_f64_e32 v[14:15], v[6:7], v[14:15]
	s_wait_loadcnt_dscnt 0x500
	v_mul_f64_e32 v[132:133], v[134:135], v[108:109]
	v_mul_f64_e32 v[108:109], v[136:137], v[108:109]
	v_add_f64_e32 v[10:11], v[138:139], v[152:153]
	v_add_f64_e32 v[130:131], v[140:141], v[158:159]
	v_fmac_f64_e32 v[148:149], v[6:7], v[12:13]
	v_fma_f64 v[12:13], v[4:5], v[12:13], -v[14:15]
	v_fmac_f64_e32 v[132:133], v[136:137], v[106:107]
	v_fma_f64 v[106:107], v[134:135], v[106:107], -v[108:109]
	v_add_f64_e32 v[14:15], v[10:11], v[8:9]
	v_add_f64_e32 v[130:131], v[130:131], v[146:147]
	ds_load_b128 v[4:7], v2 offset:1328
	ds_load_b128 v[8:11], v2 offset:1344
	s_wait_loadcnt_dscnt 0x401
	v_mul_f64_e32 v[138:139], v[4:5], v[112:113]
	v_mul_f64_e32 v[112:113], v[6:7], v[112:113]
	s_wait_loadcnt_dscnt 0x300
	v_mul_f64_e32 v[108:109], v[8:9], v[116:117]
	v_mul_f64_e32 v[116:117], v[10:11], v[116:117]
	v_add_f64_e32 v[12:13], v[14:15], v[12:13]
	v_add_f64_e32 v[14:15], v[130:131], v[148:149]
	v_fmac_f64_e32 v[138:139], v[6:7], v[110:111]
	v_fma_f64 v[110:111], v[4:5], v[110:111], -v[112:113]
	v_fmac_f64_e32 v[108:109], v[10:11], v[114:115]
	v_fma_f64 v[8:9], v[8:9], v[114:115], -v[116:117]
	v_add_f64_e32 v[106:107], v[12:13], v[106:107]
	v_add_f64_e32 v[112:113], v[14:15], v[132:133]
	ds_load_b128 v[4:7], v2 offset:1360
	ds_load_b128 v[12:15], v2 offset:1376
	s_wait_loadcnt_dscnt 0x201
	v_mul_f64_e32 v[130:131], v[4:5], v[120:121]
	v_mul_f64_e32 v[120:121], v[6:7], v[120:121]
	v_add_f64_e32 v[10:11], v[106:107], v[110:111]
	v_add_f64_e32 v[106:107], v[112:113], v[138:139]
	s_wait_loadcnt_dscnt 0x100
	v_mul_f64_e32 v[110:111], v[12:13], v[124:125]
	v_mul_f64_e32 v[112:113], v[14:15], v[124:125]
	v_fmac_f64_e32 v[130:131], v[6:7], v[118:119]
	v_fma_f64 v[114:115], v[4:5], v[118:119], -v[120:121]
	ds_load_b128 v[4:7], v2 offset:1392
	v_add_f64_e32 v[8:9], v[10:11], v[8:9]
	v_add_f64_e32 v[10:11], v[106:107], v[108:109]
	v_fmac_f64_e32 v[110:111], v[14:15], v[122:123]
	v_fma_f64 v[12:13], v[12:13], v[122:123], -v[112:113]
	s_wait_loadcnt_dscnt 0x0
	v_mul_f64_e32 v[106:107], v[4:5], v[128:129]
	v_mul_f64_e32 v[108:109], v[6:7], v[128:129]
	v_add_f64_e32 v[8:9], v[8:9], v[114:115]
	v_add_f64_e32 v[10:11], v[10:11], v[130:131]
	s_delay_alu instid0(VALU_DEP_4) | instskip(NEXT) | instid1(VALU_DEP_4)
	v_fmac_f64_e32 v[106:107], v[6:7], v[126:127]
	v_fma_f64 v[4:5], v[4:5], v[126:127], -v[108:109]
	s_delay_alu instid0(VALU_DEP_4) | instskip(NEXT) | instid1(VALU_DEP_4)
	v_add_f64_e32 v[6:7], v[8:9], v[12:13]
	v_add_f64_e32 v[8:9], v[10:11], v[110:111]
	s_delay_alu instid0(VALU_DEP_2) | instskip(NEXT) | instid1(VALU_DEP_2)
	v_add_f64_e32 v[4:5], v[6:7], v[4:5]
	v_add_f64_e32 v[6:7], v[8:9], v[106:107]
	s_delay_alu instid0(VALU_DEP_2) | instskip(NEXT) | instid1(VALU_DEP_2)
	v_add_f64_e64 v[4:5], v[142:143], -v[4:5]
	v_add_f64_e64 v[6:7], v[144:145], -v[6:7]
	scratch_store_b128 off, v[4:7], off offset:160
	s_wait_xcnt 0x0
	v_cmpx_lt_u32_e32 9, v1
	s_cbranch_execz .LBB107_259
; %bb.258:
	scratch_load_b128 v[6:9], off, s51
	v_dual_mov_b32 v3, v2 :: v_dual_mov_b32 v4, v2
	v_mov_b32_e32 v5, v2
	scratch_store_b128 off, v[2:5], off offset:144
	s_wait_loadcnt 0x0
	ds_store_b128 v104, v[6:9]
.LBB107_259:
	s_wait_xcnt 0x0
	s_or_b32 exec_lo, exec_lo, s2
	s_wait_storecnt_dscnt 0x0
	s_barrier_signal -1
	s_barrier_wait -1
	s_clause 0x9
	scratch_load_b128 v[4:7], off, off offset:160
	scratch_load_b128 v[8:11], off, off offset:176
	;; [unrolled: 1-line block ×10, first 2 shown]
	ds_load_b128 v[134:137], v2 offset:864
	ds_load_b128 v[142:145], v2 offset:880
	s_clause 0x2
	scratch_load_b128 v[138:141], off, off offset:320
	scratch_load_b128 v[146:149], off, off offset:144
	;; [unrolled: 1-line block ×3, first 2 shown]
	s_mov_b32 s2, exec_lo
	s_wait_loadcnt_dscnt 0xc01
	v_mul_f64_e32 v[154:155], v[136:137], v[6:7]
	v_mul_f64_e32 v[158:159], v[134:135], v[6:7]
	s_wait_loadcnt_dscnt 0xb00
	v_mul_f64_e32 v[160:161], v[142:143], v[10:11]
	v_mul_f64_e32 v[10:11], v[144:145], v[10:11]
	s_delay_alu instid0(VALU_DEP_4) | instskip(NEXT) | instid1(VALU_DEP_4)
	v_fma_f64 v[162:163], v[134:135], v[4:5], -v[154:155]
	v_fmac_f64_e32 v[158:159], v[136:137], v[4:5]
	ds_load_b128 v[4:7], v2 offset:896
	ds_load_b128 v[134:137], v2 offset:912
	scratch_load_b128 v[154:157], off, off offset:352
	v_fmac_f64_e32 v[160:161], v[144:145], v[8:9]
	v_fma_f64 v[142:143], v[142:143], v[8:9], -v[10:11]
	scratch_load_b128 v[8:11], off, off offset:368
	s_wait_loadcnt_dscnt 0xc01
	v_mul_f64_e32 v[164:165], v[4:5], v[14:15]
	v_mul_f64_e32 v[14:15], v[6:7], v[14:15]
	v_add_f64_e32 v[144:145], 0, v[162:163]
	v_add_f64_e32 v[158:159], 0, v[158:159]
	s_wait_loadcnt_dscnt 0xb00
	v_mul_f64_e32 v[162:163], v[134:135], v[108:109]
	v_mul_f64_e32 v[108:109], v[136:137], v[108:109]
	v_fmac_f64_e32 v[164:165], v[6:7], v[12:13]
	v_fma_f64 v[166:167], v[4:5], v[12:13], -v[14:15]
	ds_load_b128 v[4:7], v2 offset:928
	ds_load_b128 v[12:15], v2 offset:944
	v_add_f64_e32 v[168:169], v[144:145], v[142:143]
	v_add_f64_e32 v[158:159], v[158:159], v[160:161]
	scratch_load_b128 v[142:145], off, off offset:384
	v_fmac_f64_e32 v[162:163], v[136:137], v[106:107]
	v_fma_f64 v[134:135], v[134:135], v[106:107], -v[108:109]
	scratch_load_b128 v[106:109], off, off offset:400
	s_wait_loadcnt_dscnt 0xc01
	v_mul_f64_e32 v[160:161], v[4:5], v[112:113]
	v_mul_f64_e32 v[112:113], v[6:7], v[112:113]
	v_add_f64_e32 v[136:137], v[168:169], v[166:167]
	v_add_f64_e32 v[158:159], v[158:159], v[164:165]
	s_wait_loadcnt_dscnt 0xb00
	v_mul_f64_e32 v[164:165], v[12:13], v[116:117]
	v_mul_f64_e32 v[116:117], v[14:15], v[116:117]
	v_fmac_f64_e32 v[160:161], v[6:7], v[110:111]
	v_fma_f64 v[166:167], v[4:5], v[110:111], -v[112:113]
	ds_load_b128 v[4:7], v2 offset:960
	ds_load_b128 v[110:113], v2 offset:976
	v_add_f64_e32 v[168:169], v[136:137], v[134:135]
	v_add_f64_e32 v[158:159], v[158:159], v[162:163]
	scratch_load_b128 v[134:137], off, off offset:416
	s_wait_loadcnt_dscnt 0xb01
	v_mul_f64_e32 v[162:163], v[4:5], v[120:121]
	v_mul_f64_e32 v[120:121], v[6:7], v[120:121]
	v_fmac_f64_e32 v[164:165], v[14:15], v[114:115]
	v_fma_f64 v[114:115], v[12:13], v[114:115], -v[116:117]
	scratch_load_b128 v[12:15], off, off offset:432
	v_add_f64_e32 v[116:117], v[168:169], v[166:167]
	v_add_f64_e32 v[158:159], v[158:159], v[160:161]
	s_wait_loadcnt_dscnt 0xb00
	v_mul_f64_e32 v[160:161], v[110:111], v[124:125]
	v_mul_f64_e32 v[124:125], v[112:113], v[124:125]
	v_fmac_f64_e32 v[162:163], v[6:7], v[118:119]
	v_fma_f64 v[166:167], v[4:5], v[118:119], -v[120:121]
	v_add_f64_e32 v[168:169], v[116:117], v[114:115]
	v_add_f64_e32 v[158:159], v[158:159], v[164:165]
	ds_load_b128 v[4:7], v2 offset:992
	ds_load_b128 v[114:117], v2 offset:1008
	scratch_load_b128 v[118:121], off, off offset:448
	v_fmac_f64_e32 v[160:161], v[112:113], v[122:123]
	v_fma_f64 v[122:123], v[110:111], v[122:123], -v[124:125]
	scratch_load_b128 v[110:113], off, off offset:464
	s_wait_loadcnt_dscnt 0xc01
	v_mul_f64_e32 v[164:165], v[4:5], v[128:129]
	v_mul_f64_e32 v[128:129], v[6:7], v[128:129]
	v_add_f64_e32 v[124:125], v[168:169], v[166:167]
	v_add_f64_e32 v[158:159], v[158:159], v[162:163]
	s_wait_loadcnt_dscnt 0xb00
	v_mul_f64_e32 v[162:163], v[114:115], v[132:133]
	v_mul_f64_e32 v[132:133], v[116:117], v[132:133]
	v_fmac_f64_e32 v[164:165], v[6:7], v[126:127]
	v_fma_f64 v[166:167], v[4:5], v[126:127], -v[128:129]
	v_add_f64_e32 v[168:169], v[124:125], v[122:123]
	v_add_f64_e32 v[158:159], v[158:159], v[160:161]
	ds_load_b128 v[4:7], v2 offset:1024
	ds_load_b128 v[122:125], v2 offset:1040
	scratch_load_b128 v[126:129], off, off offset:480
	v_fmac_f64_e32 v[162:163], v[116:117], v[130:131]
	v_fma_f64 v[130:131], v[114:115], v[130:131], -v[132:133]
	scratch_load_b128 v[114:117], off, off offset:496
	s_wait_loadcnt_dscnt 0xc01
	v_mul_f64_e32 v[160:161], v[4:5], v[140:141]
	v_mul_f64_e32 v[140:141], v[6:7], v[140:141]
	;; [unrolled: 18-line block ×5, first 2 shown]
	v_add_f64_e32 v[152:153], v[168:169], v[166:167]
	v_add_f64_e32 v[158:159], v[158:159], v[164:165]
	s_wait_loadcnt_dscnt 0xa00
	v_mul_f64_e32 v[164:165], v[130:131], v[14:15]
	v_mul_f64_e32 v[14:15], v[132:133], v[14:15]
	v_fmac_f64_e32 v[160:161], v[6:7], v[134:135]
	v_fma_f64 v[166:167], v[4:5], v[134:135], -v[136:137]
	ds_load_b128 v[4:7], v2 offset:1152
	ds_load_b128 v[134:137], v2 offset:1168
	v_add_f64_e32 v[168:169], v[152:153], v[150:151]
	v_add_f64_e32 v[158:159], v[158:159], v[162:163]
	scratch_load_b128 v[150:153], off, off offset:608
	v_fmac_f64_e32 v[164:165], v[132:133], v[12:13]
	v_fma_f64 v[130:131], v[130:131], v[12:13], -v[14:15]
	scratch_load_b128 v[12:15], off, off offset:624
	s_wait_loadcnt_dscnt 0xb01
	v_mul_f64_e32 v[162:163], v[4:5], v[120:121]
	v_mul_f64_e32 v[120:121], v[6:7], v[120:121]
	v_add_f64_e32 v[132:133], v[168:169], v[166:167]
	v_add_f64_e32 v[158:159], v[158:159], v[160:161]
	s_wait_loadcnt_dscnt 0xa00
	v_mul_f64_e32 v[160:161], v[134:135], v[112:113]
	v_mul_f64_e32 v[112:113], v[136:137], v[112:113]
	v_fmac_f64_e32 v[162:163], v[6:7], v[118:119]
	v_fma_f64 v[166:167], v[4:5], v[118:119], -v[120:121]
	ds_load_b128 v[4:7], v2 offset:1184
	ds_load_b128 v[118:121], v2 offset:1200
	v_add_f64_e32 v[168:169], v[132:133], v[130:131]
	v_add_f64_e32 v[158:159], v[158:159], v[164:165]
	scratch_load_b128 v[130:133], off, off offset:640
	s_wait_loadcnt_dscnt 0xa01
	v_mul_f64_e32 v[164:165], v[4:5], v[128:129]
	v_mul_f64_e32 v[128:129], v[6:7], v[128:129]
	v_fmac_f64_e32 v[160:161], v[136:137], v[110:111]
	v_fma_f64 v[134:135], v[134:135], v[110:111], -v[112:113]
	scratch_load_b128 v[110:113], off, off offset:656
	v_add_f64_e32 v[136:137], v[168:169], v[166:167]
	v_add_f64_e32 v[158:159], v[158:159], v[162:163]
	s_wait_loadcnt_dscnt 0xa00
	v_mul_f64_e32 v[162:163], v[118:119], v[116:117]
	v_mul_f64_e32 v[116:117], v[120:121], v[116:117]
	v_fmac_f64_e32 v[164:165], v[6:7], v[126:127]
	v_fma_f64 v[166:167], v[4:5], v[126:127], -v[128:129]
	ds_load_b128 v[4:7], v2 offset:1216
	ds_load_b128 v[126:129], v2 offset:1232
	v_add_f64_e32 v[168:169], v[136:137], v[134:135]
	v_add_f64_e32 v[158:159], v[158:159], v[160:161]
	scratch_load_b128 v[134:137], off, off offset:672
	s_wait_loadcnt_dscnt 0xa01
	v_mul_f64_e32 v[160:161], v[4:5], v[140:141]
	v_mul_f64_e32 v[140:141], v[6:7], v[140:141]
	v_fmac_f64_e32 v[162:163], v[120:121], v[114:115]
	v_fma_f64 v[118:119], v[118:119], v[114:115], -v[116:117]
	scratch_load_b128 v[114:117], off, off offset:688
	v_add_f64_e32 v[120:121], v[168:169], v[166:167]
	v_add_f64_e32 v[158:159], v[158:159], v[164:165]
	s_wait_loadcnt_dscnt 0xa00
	v_mul_f64_e32 v[164:165], v[126:127], v[124:125]
	v_mul_f64_e32 v[124:125], v[128:129], v[124:125]
	v_fmac_f64_e32 v[160:161], v[6:7], v[138:139]
	v_fma_f64 v[138:139], v[4:5], v[138:139], -v[140:141]
	v_add_f64_e32 v[140:141], v[120:121], v[118:119]
	v_add_f64_e32 v[158:159], v[158:159], v[162:163]
	ds_load_b128 v[4:7], v2 offset:1248
	ds_load_b128 v[118:121], v2 offset:1264
	v_fmac_f64_e32 v[164:165], v[128:129], v[122:123]
	v_fma_f64 v[122:123], v[126:127], v[122:123], -v[124:125]
	s_wait_loadcnt_dscnt 0x901
	v_mul_f64_e32 v[162:163], v[4:5], v[156:157]
	v_mul_f64_e32 v[156:157], v[6:7], v[156:157]
	s_wait_loadcnt_dscnt 0x800
	v_mul_f64_e32 v[128:129], v[118:119], v[10:11]
	v_mul_f64_e32 v[10:11], v[120:121], v[10:11]
	v_add_f64_e32 v[124:125], v[140:141], v[138:139]
	v_add_f64_e32 v[126:127], v[158:159], v[160:161]
	v_fmac_f64_e32 v[162:163], v[6:7], v[154:155]
	v_fma_f64 v[138:139], v[4:5], v[154:155], -v[156:157]
	v_fmac_f64_e32 v[128:129], v[120:121], v[8:9]
	v_fma_f64 v[8:9], v[118:119], v[8:9], -v[10:11]
	v_add_f64_e32 v[140:141], v[124:125], v[122:123]
	v_add_f64_e32 v[126:127], v[126:127], v[164:165]
	ds_load_b128 v[4:7], v2 offset:1280
	ds_load_b128 v[122:125], v2 offset:1296
	s_wait_loadcnt_dscnt 0x701
	v_mul_f64_e32 v[154:155], v[4:5], v[144:145]
	v_mul_f64_e32 v[144:145], v[6:7], v[144:145]
	s_wait_loadcnt_dscnt 0x600
	v_mul_f64_e32 v[120:121], v[122:123], v[108:109]
	v_mul_f64_e32 v[108:109], v[124:125], v[108:109]
	v_add_f64_e32 v[10:11], v[140:141], v[138:139]
	v_add_f64_e32 v[118:119], v[126:127], v[162:163]
	v_fmac_f64_e32 v[154:155], v[6:7], v[142:143]
	v_fma_f64 v[126:127], v[4:5], v[142:143], -v[144:145]
	v_fmac_f64_e32 v[120:121], v[124:125], v[106:107]
	v_fma_f64 v[106:107], v[122:123], v[106:107], -v[108:109]
	v_add_f64_e32 v[138:139], v[10:11], v[8:9]
	v_add_f64_e32 v[118:119], v[118:119], v[128:129]
	ds_load_b128 v[4:7], v2 offset:1312
	ds_load_b128 v[8:11], v2 offset:1328
	;; [unrolled: 16-line block ×4, first 2 shown]
	s_wait_loadcnt_dscnt 0x101
	v_mul_f64_e32 v[2:3], v[4:5], v[136:137]
	v_mul_f64_e32 v[122:123], v[6:7], v[136:137]
	s_wait_loadcnt_dscnt 0x0
	v_mul_f64_e32 v[110:111], v[8:9], v[116:117]
	v_mul_f64_e32 v[112:113], v[10:11], v[116:117]
	v_add_f64_e32 v[108:109], v[124:125], v[118:119]
	v_add_f64_e32 v[12:13], v[12:13], v[120:121]
	v_fmac_f64_e32 v[2:3], v[6:7], v[134:135]
	v_fma_f64 v[4:5], v[4:5], v[134:135], -v[122:123]
	v_fmac_f64_e32 v[110:111], v[10:11], v[114:115]
	v_fma_f64 v[8:9], v[8:9], v[114:115], -v[112:113]
	v_add_f64_e32 v[6:7], v[108:109], v[106:107]
	v_add_f64_e32 v[12:13], v[12:13], v[14:15]
	s_delay_alu instid0(VALU_DEP_2) | instskip(NEXT) | instid1(VALU_DEP_2)
	v_add_f64_e32 v[4:5], v[6:7], v[4:5]
	v_add_f64_e32 v[2:3], v[12:13], v[2:3]
	s_delay_alu instid0(VALU_DEP_2) | instskip(NEXT) | instid1(VALU_DEP_2)
	;; [unrolled: 3-line block ×3, first 2 shown]
	v_add_f64_e64 v[2:3], v[146:147], -v[4:5]
	v_add_f64_e64 v[4:5], v[148:149], -v[6:7]
	scratch_store_b128 off, v[2:5], off offset:144
	s_wait_xcnt 0x0
	v_cmpx_lt_u32_e32 8, v1
	s_cbranch_execz .LBB107_261
; %bb.260:
	scratch_load_b128 v[2:5], off, s52
	v_mov_b32_e32 v6, 0
	s_delay_alu instid0(VALU_DEP_1)
	v_dual_mov_b32 v7, v6 :: v_dual_mov_b32 v8, v6
	v_mov_b32_e32 v9, v6
	scratch_store_b128 off, v[6:9], off offset:128
	s_wait_loadcnt 0x0
	ds_store_b128 v104, v[2:5]
.LBB107_261:
	s_wait_xcnt 0x0
	s_or_b32 exec_lo, exec_lo, s2
	s_wait_storecnt_dscnt 0x0
	s_barrier_signal -1
	s_barrier_wait -1
	s_clause 0x9
	scratch_load_b128 v[4:7], off, off offset:144
	scratch_load_b128 v[8:11], off, off offset:160
	;; [unrolled: 1-line block ×10, first 2 shown]
	v_mov_b32_e32 v2, 0
	s_mov_b32 s2, exec_lo
	ds_load_b128 v[134:137], v2 offset:848
	s_clause 0x2
	scratch_load_b128 v[138:141], off, off offset:304
	scratch_load_b128 v[142:145], off, off offset:128
	scratch_load_b128 v[150:153], off, off offset:320
	s_wait_loadcnt_dscnt 0xc00
	v_mul_f64_e32 v[154:155], v[136:137], v[6:7]
	v_mul_f64_e32 v[158:159], v[134:135], v[6:7]
	ds_load_b128 v[146:149], v2 offset:864
	v_fma_f64 v[162:163], v[134:135], v[4:5], -v[154:155]
	v_fmac_f64_e32 v[158:159], v[136:137], v[4:5]
	ds_load_b128 v[4:7], v2 offset:880
	s_wait_loadcnt_dscnt 0xb01
	v_mul_f64_e32 v[160:161], v[146:147], v[10:11]
	v_mul_f64_e32 v[10:11], v[148:149], v[10:11]
	scratch_load_b128 v[134:137], off, off offset:336
	ds_load_b128 v[154:157], v2 offset:896
	s_wait_loadcnt_dscnt 0xb01
	v_mul_f64_e32 v[164:165], v[4:5], v[14:15]
	v_mul_f64_e32 v[14:15], v[6:7], v[14:15]
	v_add_f64_e32 v[158:159], 0, v[158:159]
	v_fmac_f64_e32 v[160:161], v[148:149], v[8:9]
	v_fma_f64 v[146:147], v[146:147], v[8:9], -v[10:11]
	v_add_f64_e32 v[148:149], 0, v[162:163]
	scratch_load_b128 v[8:11], off, off offset:352
	v_fmac_f64_e32 v[164:165], v[6:7], v[12:13]
	v_fma_f64 v[166:167], v[4:5], v[12:13], -v[14:15]
	ds_load_b128 v[4:7], v2 offset:912
	s_wait_loadcnt_dscnt 0xb01
	v_mul_f64_e32 v[162:163], v[154:155], v[108:109]
	v_mul_f64_e32 v[108:109], v[156:157], v[108:109]
	scratch_load_b128 v[12:15], off, off offset:368
	v_add_f64_e32 v[158:159], v[158:159], v[160:161]
	v_add_f64_e32 v[168:169], v[148:149], v[146:147]
	ds_load_b128 v[146:149], v2 offset:928
	s_wait_loadcnt_dscnt 0xb01
	v_mul_f64_e32 v[160:161], v[4:5], v[112:113]
	v_mul_f64_e32 v[112:113], v[6:7], v[112:113]
	v_fmac_f64_e32 v[162:163], v[156:157], v[106:107]
	v_fma_f64 v[154:155], v[154:155], v[106:107], -v[108:109]
	scratch_load_b128 v[106:109], off, off offset:384
	v_add_f64_e32 v[158:159], v[158:159], v[164:165]
	v_add_f64_e32 v[156:157], v[168:169], v[166:167]
	v_fmac_f64_e32 v[160:161], v[6:7], v[110:111]
	v_fma_f64 v[166:167], v[4:5], v[110:111], -v[112:113]
	ds_load_b128 v[4:7], v2 offset:944
	s_wait_loadcnt_dscnt 0xb01
	v_mul_f64_e32 v[164:165], v[146:147], v[116:117]
	v_mul_f64_e32 v[116:117], v[148:149], v[116:117]
	scratch_load_b128 v[110:113], off, off offset:400
	v_add_f64_e32 v[158:159], v[158:159], v[162:163]
	s_wait_loadcnt_dscnt 0xb00
	v_mul_f64_e32 v[162:163], v[4:5], v[120:121]
	v_add_f64_e32 v[168:169], v[156:157], v[154:155]
	v_mul_f64_e32 v[120:121], v[6:7], v[120:121]
	ds_load_b128 v[154:157], v2 offset:960
	v_fmac_f64_e32 v[164:165], v[148:149], v[114:115]
	v_fma_f64 v[146:147], v[146:147], v[114:115], -v[116:117]
	scratch_load_b128 v[114:117], off, off offset:416
	v_add_f64_e32 v[158:159], v[158:159], v[160:161]
	v_fmac_f64_e32 v[162:163], v[6:7], v[118:119]
	v_add_f64_e32 v[148:149], v[168:169], v[166:167]
	v_fma_f64 v[166:167], v[4:5], v[118:119], -v[120:121]
	ds_load_b128 v[4:7], v2 offset:976
	s_wait_loadcnt_dscnt 0xb01
	v_mul_f64_e32 v[160:161], v[154:155], v[124:125]
	v_mul_f64_e32 v[124:125], v[156:157], v[124:125]
	scratch_load_b128 v[118:121], off, off offset:432
	v_add_f64_e32 v[158:159], v[158:159], v[164:165]
	s_wait_loadcnt_dscnt 0xb00
	v_mul_f64_e32 v[164:165], v[4:5], v[128:129]
	v_add_f64_e32 v[168:169], v[148:149], v[146:147]
	v_mul_f64_e32 v[128:129], v[6:7], v[128:129]
	ds_load_b128 v[146:149], v2 offset:992
	v_fmac_f64_e32 v[160:161], v[156:157], v[122:123]
	v_fma_f64 v[154:155], v[154:155], v[122:123], -v[124:125]
	scratch_load_b128 v[122:125], off, off offset:448
	v_add_f64_e32 v[158:159], v[158:159], v[162:163]
	v_fmac_f64_e32 v[164:165], v[6:7], v[126:127]
	v_add_f64_e32 v[156:157], v[168:169], v[166:167]
	;; [unrolled: 18-line block ×3, first 2 shown]
	v_fma_f64 v[166:167], v[4:5], v[138:139], -v[140:141]
	ds_load_b128 v[4:7], v2 offset:1040
	s_wait_loadcnt_dscnt 0xa01
	v_mul_f64_e32 v[164:165], v[154:155], v[152:153]
	v_mul_f64_e32 v[152:153], v[156:157], v[152:153]
	scratch_load_b128 v[138:141], off, off offset:496
	v_add_f64_e32 v[158:159], v[158:159], v[162:163]
	v_add_f64_e32 v[168:169], v[148:149], v[146:147]
	s_wait_loadcnt_dscnt 0xa00
	v_mul_f64_e32 v[162:163], v[4:5], v[136:137]
	v_mul_f64_e32 v[136:137], v[6:7], v[136:137]
	v_fmac_f64_e32 v[164:165], v[156:157], v[150:151]
	v_fma_f64 v[154:155], v[154:155], v[150:151], -v[152:153]
	ds_load_b128 v[146:149], v2 offset:1056
	scratch_load_b128 v[150:153], off, off offset:512
	v_add_f64_e32 v[158:159], v[158:159], v[160:161]
	v_add_f64_e32 v[156:157], v[168:169], v[166:167]
	v_fmac_f64_e32 v[162:163], v[6:7], v[134:135]
	v_fma_f64 v[166:167], v[4:5], v[134:135], -v[136:137]
	ds_load_b128 v[4:7], v2 offset:1072
	s_wait_loadcnt_dscnt 0xa01
	v_mul_f64_e32 v[160:161], v[146:147], v[10:11]
	v_mul_f64_e32 v[10:11], v[148:149], v[10:11]
	scratch_load_b128 v[134:137], off, off offset:528
	v_add_f64_e32 v[158:159], v[158:159], v[164:165]
	s_wait_loadcnt_dscnt 0xa00
	v_mul_f64_e32 v[164:165], v[4:5], v[14:15]
	v_add_f64_e32 v[168:169], v[156:157], v[154:155]
	v_mul_f64_e32 v[14:15], v[6:7], v[14:15]
	ds_load_b128 v[154:157], v2 offset:1088
	v_fmac_f64_e32 v[160:161], v[148:149], v[8:9]
	v_fma_f64 v[146:147], v[146:147], v[8:9], -v[10:11]
	scratch_load_b128 v[8:11], off, off offset:544
	v_add_f64_e32 v[158:159], v[158:159], v[162:163]
	v_fmac_f64_e32 v[164:165], v[6:7], v[12:13]
	v_add_f64_e32 v[148:149], v[168:169], v[166:167]
	v_fma_f64 v[166:167], v[4:5], v[12:13], -v[14:15]
	ds_load_b128 v[4:7], v2 offset:1104
	s_wait_loadcnt_dscnt 0xa01
	v_mul_f64_e32 v[162:163], v[154:155], v[108:109]
	v_mul_f64_e32 v[108:109], v[156:157], v[108:109]
	scratch_load_b128 v[12:15], off, off offset:560
	v_add_f64_e32 v[158:159], v[158:159], v[160:161]
	s_wait_loadcnt_dscnt 0xa00
	v_mul_f64_e32 v[160:161], v[4:5], v[112:113]
	v_add_f64_e32 v[168:169], v[148:149], v[146:147]
	v_mul_f64_e32 v[112:113], v[6:7], v[112:113]
	ds_load_b128 v[146:149], v2 offset:1120
	v_fmac_f64_e32 v[162:163], v[156:157], v[106:107]
	v_fma_f64 v[154:155], v[154:155], v[106:107], -v[108:109]
	scratch_load_b128 v[106:109], off, off offset:576
	v_add_f64_e32 v[158:159], v[158:159], v[164:165]
	v_fmac_f64_e32 v[160:161], v[6:7], v[110:111]
	v_add_f64_e32 v[156:157], v[168:169], v[166:167]
	v_fma_f64 v[166:167], v[4:5], v[110:111], -v[112:113]
	ds_load_b128 v[4:7], v2 offset:1136
	s_wait_loadcnt_dscnt 0xa01
	v_mul_f64_e32 v[164:165], v[146:147], v[116:117]
	v_mul_f64_e32 v[116:117], v[148:149], v[116:117]
	scratch_load_b128 v[110:113], off, off offset:592
	v_add_f64_e32 v[158:159], v[158:159], v[162:163]
	s_wait_loadcnt_dscnt 0xa00
	v_mul_f64_e32 v[162:163], v[4:5], v[120:121]
	v_add_f64_e32 v[168:169], v[156:157], v[154:155]
	v_mul_f64_e32 v[120:121], v[6:7], v[120:121]
	ds_load_b128 v[154:157], v2 offset:1152
	v_fmac_f64_e32 v[164:165], v[148:149], v[114:115]
	v_fma_f64 v[146:147], v[146:147], v[114:115], -v[116:117]
	scratch_load_b128 v[114:117], off, off offset:608
	v_add_f64_e32 v[158:159], v[158:159], v[160:161]
	v_fmac_f64_e32 v[162:163], v[6:7], v[118:119]
	v_add_f64_e32 v[148:149], v[168:169], v[166:167]
	v_fma_f64 v[166:167], v[4:5], v[118:119], -v[120:121]
	ds_load_b128 v[4:7], v2 offset:1168
	s_wait_loadcnt_dscnt 0xa01
	v_mul_f64_e32 v[160:161], v[154:155], v[124:125]
	v_mul_f64_e32 v[124:125], v[156:157], v[124:125]
	scratch_load_b128 v[118:121], off, off offset:624
	v_add_f64_e32 v[158:159], v[158:159], v[164:165]
	s_wait_loadcnt_dscnt 0xa00
	v_mul_f64_e32 v[164:165], v[4:5], v[128:129]
	v_add_f64_e32 v[168:169], v[148:149], v[146:147]
	v_mul_f64_e32 v[128:129], v[6:7], v[128:129]
	ds_load_b128 v[146:149], v2 offset:1184
	v_fmac_f64_e32 v[160:161], v[156:157], v[122:123]
	v_fma_f64 v[154:155], v[154:155], v[122:123], -v[124:125]
	scratch_load_b128 v[122:125], off, off offset:640
	v_add_f64_e32 v[158:159], v[158:159], v[162:163]
	v_fmac_f64_e32 v[164:165], v[6:7], v[126:127]
	v_add_f64_e32 v[156:157], v[168:169], v[166:167]
	v_fma_f64 v[166:167], v[4:5], v[126:127], -v[128:129]
	ds_load_b128 v[4:7], v2 offset:1200
	s_wait_loadcnt_dscnt 0xa01
	v_mul_f64_e32 v[162:163], v[146:147], v[132:133]
	v_mul_f64_e32 v[132:133], v[148:149], v[132:133]
	scratch_load_b128 v[126:129], off, off offset:656
	v_add_f64_e32 v[158:159], v[158:159], v[160:161]
	s_wait_loadcnt_dscnt 0xa00
	v_mul_f64_e32 v[160:161], v[4:5], v[140:141]
	v_add_f64_e32 v[168:169], v[156:157], v[154:155]
	v_mul_f64_e32 v[140:141], v[6:7], v[140:141]
	ds_load_b128 v[154:157], v2 offset:1216
	v_fmac_f64_e32 v[162:163], v[148:149], v[130:131]
	v_fma_f64 v[146:147], v[146:147], v[130:131], -v[132:133]
	scratch_load_b128 v[130:133], off, off offset:672
	v_add_f64_e32 v[158:159], v[158:159], v[164:165]
	v_fmac_f64_e32 v[160:161], v[6:7], v[138:139]
	v_add_f64_e32 v[148:149], v[168:169], v[166:167]
	v_fma_f64 v[166:167], v[4:5], v[138:139], -v[140:141]
	ds_load_b128 v[4:7], v2 offset:1232
	s_wait_loadcnt_dscnt 0xa01
	v_mul_f64_e32 v[164:165], v[154:155], v[152:153]
	v_mul_f64_e32 v[152:153], v[156:157], v[152:153]
	scratch_load_b128 v[138:141], off, off offset:688
	v_add_f64_e32 v[158:159], v[158:159], v[162:163]
	s_wait_loadcnt_dscnt 0xa00
	v_mul_f64_e32 v[162:163], v[4:5], v[136:137]
	v_add_f64_e32 v[168:169], v[148:149], v[146:147]
	v_mul_f64_e32 v[136:137], v[6:7], v[136:137]
	ds_load_b128 v[146:149], v2 offset:1248
	v_fmac_f64_e32 v[164:165], v[156:157], v[150:151]
	v_fma_f64 v[150:151], v[154:155], v[150:151], -v[152:153]
	s_wait_loadcnt_dscnt 0x900
	v_mul_f64_e32 v[156:157], v[146:147], v[10:11]
	v_mul_f64_e32 v[10:11], v[148:149], v[10:11]
	v_add_f64_e32 v[154:155], v[158:159], v[160:161]
	v_fmac_f64_e32 v[162:163], v[6:7], v[134:135]
	v_add_f64_e32 v[152:153], v[168:169], v[166:167]
	v_fma_f64 v[158:159], v[4:5], v[134:135], -v[136:137]
	ds_load_b128 v[4:7], v2 offset:1264
	ds_load_b128 v[134:137], v2 offset:1280
	v_fmac_f64_e32 v[156:157], v[148:149], v[8:9]
	v_fma_f64 v[8:9], v[146:147], v[8:9], -v[10:11]
	v_add_f64_e32 v[150:151], v[152:153], v[150:151]
	v_add_f64_e32 v[152:153], v[154:155], v[164:165]
	s_wait_loadcnt_dscnt 0x801
	v_mul_f64_e32 v[154:155], v[4:5], v[14:15]
	v_mul_f64_e32 v[14:15], v[6:7], v[14:15]
	s_wait_loadcnt_dscnt 0x700
	v_mul_f64_e32 v[148:149], v[134:135], v[108:109]
	v_mul_f64_e32 v[108:109], v[136:137], v[108:109]
	v_add_f64_e32 v[10:11], v[150:151], v[158:159]
	v_add_f64_e32 v[146:147], v[152:153], v[162:163]
	v_fmac_f64_e32 v[154:155], v[6:7], v[12:13]
	v_fma_f64 v[12:13], v[4:5], v[12:13], -v[14:15]
	v_fmac_f64_e32 v[148:149], v[136:137], v[106:107]
	v_fma_f64 v[106:107], v[134:135], v[106:107], -v[108:109]
	v_add_f64_e32 v[14:15], v[10:11], v[8:9]
	v_add_f64_e32 v[146:147], v[146:147], v[156:157]
	ds_load_b128 v[4:7], v2 offset:1296
	ds_load_b128 v[8:11], v2 offset:1312
	s_wait_loadcnt_dscnt 0x601
	v_mul_f64_e32 v[150:151], v[4:5], v[112:113]
	v_mul_f64_e32 v[112:113], v[6:7], v[112:113]
	s_wait_loadcnt_dscnt 0x500
	v_mul_f64_e32 v[108:109], v[8:9], v[116:117]
	v_mul_f64_e32 v[116:117], v[10:11], v[116:117]
	v_add_f64_e32 v[12:13], v[14:15], v[12:13]
	v_add_f64_e32 v[14:15], v[146:147], v[154:155]
	v_fmac_f64_e32 v[150:151], v[6:7], v[110:111]
	v_fma_f64 v[110:111], v[4:5], v[110:111], -v[112:113]
	v_fmac_f64_e32 v[108:109], v[10:11], v[114:115]
	v_fma_f64 v[8:9], v[8:9], v[114:115], -v[116:117]
	v_add_f64_e32 v[106:107], v[12:13], v[106:107]
	v_add_f64_e32 v[112:113], v[14:15], v[148:149]
	ds_load_b128 v[4:7], v2 offset:1328
	ds_load_b128 v[12:15], v2 offset:1344
	s_wait_loadcnt_dscnt 0x401
	v_mul_f64_e32 v[134:135], v[4:5], v[120:121]
	v_mul_f64_e32 v[120:121], v[6:7], v[120:121]
	v_add_f64_e32 v[10:11], v[106:107], v[110:111]
	v_add_f64_e32 v[106:107], v[112:113], v[150:151]
	s_wait_loadcnt_dscnt 0x300
	v_mul_f64_e32 v[110:111], v[12:13], v[124:125]
	v_mul_f64_e32 v[112:113], v[14:15], v[124:125]
	v_fmac_f64_e32 v[134:135], v[6:7], v[118:119]
	v_fma_f64 v[114:115], v[4:5], v[118:119], -v[120:121]
	v_add_f64_e32 v[116:117], v[10:11], v[8:9]
	v_add_f64_e32 v[106:107], v[106:107], v[108:109]
	ds_load_b128 v[4:7], v2 offset:1360
	ds_load_b128 v[8:11], v2 offset:1376
	v_fmac_f64_e32 v[110:111], v[14:15], v[122:123]
	v_fma_f64 v[12:13], v[12:13], v[122:123], -v[112:113]
	s_wait_loadcnt_dscnt 0x201
	v_mul_f64_e32 v[108:109], v[4:5], v[128:129]
	v_mul_f64_e32 v[118:119], v[6:7], v[128:129]
	s_wait_loadcnt_dscnt 0x100
	v_mul_f64_e32 v[112:113], v[8:9], v[132:133]
	v_add_f64_e32 v[14:15], v[116:117], v[114:115]
	v_add_f64_e32 v[106:107], v[106:107], v[134:135]
	v_mul_f64_e32 v[114:115], v[10:11], v[132:133]
	v_fmac_f64_e32 v[108:109], v[6:7], v[126:127]
	v_fma_f64 v[116:117], v[4:5], v[126:127], -v[118:119]
	ds_load_b128 v[4:7], v2 offset:1392
	v_fmac_f64_e32 v[112:113], v[10:11], v[130:131]
	v_add_f64_e32 v[12:13], v[14:15], v[12:13]
	v_add_f64_e32 v[14:15], v[106:107], v[110:111]
	v_fma_f64 v[8:9], v[8:9], v[130:131], -v[114:115]
	s_wait_loadcnt_dscnt 0x0
	v_mul_f64_e32 v[106:107], v[4:5], v[140:141]
	v_mul_f64_e32 v[110:111], v[6:7], v[140:141]
	v_add_f64_e32 v[10:11], v[12:13], v[116:117]
	v_add_f64_e32 v[12:13], v[14:15], v[108:109]
	s_delay_alu instid0(VALU_DEP_4) | instskip(NEXT) | instid1(VALU_DEP_4)
	v_fmac_f64_e32 v[106:107], v[6:7], v[138:139]
	v_fma_f64 v[4:5], v[4:5], v[138:139], -v[110:111]
	s_delay_alu instid0(VALU_DEP_4) | instskip(NEXT) | instid1(VALU_DEP_4)
	v_add_f64_e32 v[6:7], v[10:11], v[8:9]
	v_add_f64_e32 v[8:9], v[12:13], v[112:113]
	s_delay_alu instid0(VALU_DEP_2) | instskip(NEXT) | instid1(VALU_DEP_2)
	v_add_f64_e32 v[4:5], v[6:7], v[4:5]
	v_add_f64_e32 v[6:7], v[8:9], v[106:107]
	s_delay_alu instid0(VALU_DEP_2) | instskip(NEXT) | instid1(VALU_DEP_2)
	v_add_f64_e64 v[4:5], v[142:143], -v[4:5]
	v_add_f64_e64 v[6:7], v[144:145], -v[6:7]
	scratch_store_b128 off, v[4:7], off offset:128
	s_wait_xcnt 0x0
	v_cmpx_lt_u32_e32 7, v1
	s_cbranch_execz .LBB107_263
; %bb.262:
	scratch_load_b128 v[6:9], off, s53
	v_dual_mov_b32 v3, v2 :: v_dual_mov_b32 v4, v2
	v_mov_b32_e32 v5, v2
	scratch_store_b128 off, v[2:5], off offset:112
	s_wait_loadcnt 0x0
	ds_store_b128 v104, v[6:9]
.LBB107_263:
	s_wait_xcnt 0x0
	s_or_b32 exec_lo, exec_lo, s2
	s_wait_storecnt_dscnt 0x0
	s_barrier_signal -1
	s_barrier_wait -1
	s_clause 0x9
	scratch_load_b128 v[4:7], off, off offset:128
	scratch_load_b128 v[8:11], off, off offset:144
	;; [unrolled: 1-line block ×10, first 2 shown]
	ds_load_b128 v[134:137], v2 offset:832
	ds_load_b128 v[142:145], v2 offset:848
	s_clause 0x2
	scratch_load_b128 v[138:141], off, off offset:288
	scratch_load_b128 v[146:149], off, off offset:112
	;; [unrolled: 1-line block ×3, first 2 shown]
	s_mov_b32 s2, exec_lo
	s_wait_loadcnt_dscnt 0xc01
	v_mul_f64_e32 v[154:155], v[136:137], v[6:7]
	v_mul_f64_e32 v[158:159], v[134:135], v[6:7]
	s_wait_loadcnt_dscnt 0xb00
	v_mul_f64_e32 v[160:161], v[142:143], v[10:11]
	v_mul_f64_e32 v[10:11], v[144:145], v[10:11]
	s_delay_alu instid0(VALU_DEP_4) | instskip(NEXT) | instid1(VALU_DEP_4)
	v_fma_f64 v[162:163], v[134:135], v[4:5], -v[154:155]
	v_fmac_f64_e32 v[158:159], v[136:137], v[4:5]
	ds_load_b128 v[4:7], v2 offset:864
	ds_load_b128 v[134:137], v2 offset:880
	scratch_load_b128 v[154:157], off, off offset:320
	v_fmac_f64_e32 v[160:161], v[144:145], v[8:9]
	v_fma_f64 v[142:143], v[142:143], v[8:9], -v[10:11]
	scratch_load_b128 v[8:11], off, off offset:336
	s_wait_loadcnt_dscnt 0xc01
	v_mul_f64_e32 v[164:165], v[4:5], v[14:15]
	v_mul_f64_e32 v[14:15], v[6:7], v[14:15]
	v_add_f64_e32 v[144:145], 0, v[162:163]
	v_add_f64_e32 v[158:159], 0, v[158:159]
	s_wait_loadcnt_dscnt 0xb00
	v_mul_f64_e32 v[162:163], v[134:135], v[108:109]
	v_mul_f64_e32 v[108:109], v[136:137], v[108:109]
	v_fmac_f64_e32 v[164:165], v[6:7], v[12:13]
	v_fma_f64 v[166:167], v[4:5], v[12:13], -v[14:15]
	ds_load_b128 v[4:7], v2 offset:896
	ds_load_b128 v[12:15], v2 offset:912
	v_add_f64_e32 v[168:169], v[144:145], v[142:143]
	v_add_f64_e32 v[158:159], v[158:159], v[160:161]
	scratch_load_b128 v[142:145], off, off offset:352
	v_fmac_f64_e32 v[162:163], v[136:137], v[106:107]
	v_fma_f64 v[134:135], v[134:135], v[106:107], -v[108:109]
	scratch_load_b128 v[106:109], off, off offset:368
	s_wait_loadcnt_dscnt 0xc01
	v_mul_f64_e32 v[160:161], v[4:5], v[112:113]
	v_mul_f64_e32 v[112:113], v[6:7], v[112:113]
	v_add_f64_e32 v[136:137], v[168:169], v[166:167]
	v_add_f64_e32 v[158:159], v[158:159], v[164:165]
	s_wait_loadcnt_dscnt 0xb00
	v_mul_f64_e32 v[164:165], v[12:13], v[116:117]
	v_mul_f64_e32 v[116:117], v[14:15], v[116:117]
	v_fmac_f64_e32 v[160:161], v[6:7], v[110:111]
	v_fma_f64 v[166:167], v[4:5], v[110:111], -v[112:113]
	ds_load_b128 v[4:7], v2 offset:928
	ds_load_b128 v[110:113], v2 offset:944
	v_add_f64_e32 v[168:169], v[136:137], v[134:135]
	v_add_f64_e32 v[158:159], v[158:159], v[162:163]
	scratch_load_b128 v[134:137], off, off offset:384
	s_wait_loadcnt_dscnt 0xb01
	v_mul_f64_e32 v[162:163], v[4:5], v[120:121]
	v_mul_f64_e32 v[120:121], v[6:7], v[120:121]
	v_fmac_f64_e32 v[164:165], v[14:15], v[114:115]
	v_fma_f64 v[114:115], v[12:13], v[114:115], -v[116:117]
	scratch_load_b128 v[12:15], off, off offset:400
	v_add_f64_e32 v[116:117], v[168:169], v[166:167]
	v_add_f64_e32 v[158:159], v[158:159], v[160:161]
	s_wait_loadcnt_dscnt 0xb00
	v_mul_f64_e32 v[160:161], v[110:111], v[124:125]
	v_mul_f64_e32 v[124:125], v[112:113], v[124:125]
	v_fmac_f64_e32 v[162:163], v[6:7], v[118:119]
	v_fma_f64 v[166:167], v[4:5], v[118:119], -v[120:121]
	v_add_f64_e32 v[168:169], v[116:117], v[114:115]
	v_add_f64_e32 v[158:159], v[158:159], v[164:165]
	ds_load_b128 v[4:7], v2 offset:960
	ds_load_b128 v[114:117], v2 offset:976
	scratch_load_b128 v[118:121], off, off offset:416
	v_fmac_f64_e32 v[160:161], v[112:113], v[122:123]
	v_fma_f64 v[122:123], v[110:111], v[122:123], -v[124:125]
	scratch_load_b128 v[110:113], off, off offset:432
	s_wait_loadcnt_dscnt 0xc01
	v_mul_f64_e32 v[164:165], v[4:5], v[128:129]
	v_mul_f64_e32 v[128:129], v[6:7], v[128:129]
	v_add_f64_e32 v[124:125], v[168:169], v[166:167]
	v_add_f64_e32 v[158:159], v[158:159], v[162:163]
	s_wait_loadcnt_dscnt 0xb00
	v_mul_f64_e32 v[162:163], v[114:115], v[132:133]
	v_mul_f64_e32 v[132:133], v[116:117], v[132:133]
	v_fmac_f64_e32 v[164:165], v[6:7], v[126:127]
	v_fma_f64 v[166:167], v[4:5], v[126:127], -v[128:129]
	v_add_f64_e32 v[168:169], v[124:125], v[122:123]
	v_add_f64_e32 v[158:159], v[158:159], v[160:161]
	ds_load_b128 v[4:7], v2 offset:992
	ds_load_b128 v[122:125], v2 offset:1008
	scratch_load_b128 v[126:129], off, off offset:448
	v_fmac_f64_e32 v[162:163], v[116:117], v[130:131]
	v_fma_f64 v[130:131], v[114:115], v[130:131], -v[132:133]
	scratch_load_b128 v[114:117], off, off offset:464
	s_wait_loadcnt_dscnt 0xc01
	v_mul_f64_e32 v[160:161], v[4:5], v[140:141]
	v_mul_f64_e32 v[140:141], v[6:7], v[140:141]
	;; [unrolled: 18-line block ×5, first 2 shown]
	v_add_f64_e32 v[152:153], v[168:169], v[166:167]
	v_add_f64_e32 v[158:159], v[158:159], v[164:165]
	s_wait_loadcnt_dscnt 0xa00
	v_mul_f64_e32 v[164:165], v[130:131], v[14:15]
	v_mul_f64_e32 v[14:15], v[132:133], v[14:15]
	v_fmac_f64_e32 v[160:161], v[6:7], v[134:135]
	v_fma_f64 v[166:167], v[4:5], v[134:135], -v[136:137]
	ds_load_b128 v[4:7], v2 offset:1120
	ds_load_b128 v[134:137], v2 offset:1136
	v_add_f64_e32 v[168:169], v[152:153], v[150:151]
	v_add_f64_e32 v[158:159], v[158:159], v[162:163]
	scratch_load_b128 v[150:153], off, off offset:576
	v_fmac_f64_e32 v[164:165], v[132:133], v[12:13]
	v_fma_f64 v[130:131], v[130:131], v[12:13], -v[14:15]
	scratch_load_b128 v[12:15], off, off offset:592
	s_wait_loadcnt_dscnt 0xb01
	v_mul_f64_e32 v[162:163], v[4:5], v[120:121]
	v_mul_f64_e32 v[120:121], v[6:7], v[120:121]
	v_add_f64_e32 v[132:133], v[168:169], v[166:167]
	v_add_f64_e32 v[158:159], v[158:159], v[160:161]
	s_wait_loadcnt_dscnt 0xa00
	v_mul_f64_e32 v[160:161], v[134:135], v[112:113]
	v_mul_f64_e32 v[112:113], v[136:137], v[112:113]
	v_fmac_f64_e32 v[162:163], v[6:7], v[118:119]
	v_fma_f64 v[166:167], v[4:5], v[118:119], -v[120:121]
	ds_load_b128 v[4:7], v2 offset:1152
	ds_load_b128 v[118:121], v2 offset:1168
	v_add_f64_e32 v[168:169], v[132:133], v[130:131]
	v_add_f64_e32 v[158:159], v[158:159], v[164:165]
	scratch_load_b128 v[130:133], off, off offset:608
	s_wait_loadcnt_dscnt 0xa01
	v_mul_f64_e32 v[164:165], v[4:5], v[128:129]
	v_mul_f64_e32 v[128:129], v[6:7], v[128:129]
	v_fmac_f64_e32 v[160:161], v[136:137], v[110:111]
	v_fma_f64 v[134:135], v[134:135], v[110:111], -v[112:113]
	scratch_load_b128 v[110:113], off, off offset:624
	v_add_f64_e32 v[136:137], v[168:169], v[166:167]
	v_add_f64_e32 v[158:159], v[158:159], v[162:163]
	s_wait_loadcnt_dscnt 0xa00
	v_mul_f64_e32 v[162:163], v[118:119], v[116:117]
	v_mul_f64_e32 v[116:117], v[120:121], v[116:117]
	v_fmac_f64_e32 v[164:165], v[6:7], v[126:127]
	v_fma_f64 v[166:167], v[4:5], v[126:127], -v[128:129]
	ds_load_b128 v[4:7], v2 offset:1184
	ds_load_b128 v[126:129], v2 offset:1200
	v_add_f64_e32 v[168:169], v[136:137], v[134:135]
	v_add_f64_e32 v[158:159], v[158:159], v[160:161]
	scratch_load_b128 v[134:137], off, off offset:640
	s_wait_loadcnt_dscnt 0xa01
	v_mul_f64_e32 v[160:161], v[4:5], v[140:141]
	v_mul_f64_e32 v[140:141], v[6:7], v[140:141]
	v_fmac_f64_e32 v[162:163], v[120:121], v[114:115]
	v_fma_f64 v[118:119], v[118:119], v[114:115], -v[116:117]
	scratch_load_b128 v[114:117], off, off offset:656
	v_add_f64_e32 v[120:121], v[168:169], v[166:167]
	v_add_f64_e32 v[158:159], v[158:159], v[164:165]
	s_wait_loadcnt_dscnt 0xa00
	v_mul_f64_e32 v[164:165], v[126:127], v[124:125]
	v_mul_f64_e32 v[124:125], v[128:129], v[124:125]
	v_fmac_f64_e32 v[160:161], v[6:7], v[138:139]
	v_fma_f64 v[166:167], v[4:5], v[138:139], -v[140:141]
	v_add_f64_e32 v[168:169], v[120:121], v[118:119]
	v_add_f64_e32 v[158:159], v[158:159], v[162:163]
	ds_load_b128 v[4:7], v2 offset:1216
	ds_load_b128 v[118:121], v2 offset:1232
	scratch_load_b128 v[138:141], off, off offset:672
	v_fmac_f64_e32 v[164:165], v[128:129], v[122:123]
	v_fma_f64 v[126:127], v[126:127], v[122:123], -v[124:125]
	scratch_load_b128 v[122:125], off, off offset:688
	s_wait_loadcnt_dscnt 0xb01
	v_mul_f64_e32 v[162:163], v[4:5], v[156:157]
	v_mul_f64_e32 v[156:157], v[6:7], v[156:157]
	v_add_f64_e32 v[128:129], v[168:169], v[166:167]
	v_add_f64_e32 v[158:159], v[158:159], v[160:161]
	s_wait_loadcnt_dscnt 0xa00
	v_mul_f64_e32 v[160:161], v[118:119], v[10:11]
	v_mul_f64_e32 v[10:11], v[120:121], v[10:11]
	v_fmac_f64_e32 v[162:163], v[6:7], v[154:155]
	v_fma_f64 v[154:155], v[4:5], v[154:155], -v[156:157]
	v_add_f64_e32 v[156:157], v[128:129], v[126:127]
	v_add_f64_e32 v[158:159], v[158:159], v[164:165]
	ds_load_b128 v[4:7], v2 offset:1248
	ds_load_b128 v[126:129], v2 offset:1264
	v_fmac_f64_e32 v[160:161], v[120:121], v[8:9]
	v_fma_f64 v[8:9], v[118:119], v[8:9], -v[10:11]
	s_wait_loadcnt_dscnt 0x901
	v_mul_f64_e32 v[164:165], v[4:5], v[144:145]
	v_mul_f64_e32 v[144:145], v[6:7], v[144:145]
	s_wait_loadcnt_dscnt 0x800
	v_mul_f64_e32 v[120:121], v[126:127], v[108:109]
	v_mul_f64_e32 v[108:109], v[128:129], v[108:109]
	v_add_f64_e32 v[10:11], v[156:157], v[154:155]
	v_add_f64_e32 v[118:119], v[158:159], v[162:163]
	v_fmac_f64_e32 v[164:165], v[6:7], v[142:143]
	v_fma_f64 v[142:143], v[4:5], v[142:143], -v[144:145]
	v_fmac_f64_e32 v[120:121], v[128:129], v[106:107]
	v_fma_f64 v[106:107], v[126:127], v[106:107], -v[108:109]
	v_add_f64_e32 v[144:145], v[10:11], v[8:9]
	v_add_f64_e32 v[118:119], v[118:119], v[160:161]
	ds_load_b128 v[4:7], v2 offset:1280
	ds_load_b128 v[8:11], v2 offset:1296
	s_wait_loadcnt_dscnt 0x701
	v_mul_f64_e32 v[154:155], v[4:5], v[152:153]
	v_mul_f64_e32 v[152:153], v[6:7], v[152:153]
	s_wait_loadcnt_dscnt 0x600
	v_mul_f64_e32 v[126:127], v[8:9], v[14:15]
	v_mul_f64_e32 v[14:15], v[10:11], v[14:15]
	v_add_f64_e32 v[108:109], v[144:145], v[142:143]
	v_add_f64_e32 v[118:119], v[118:119], v[164:165]
	v_fmac_f64_e32 v[154:155], v[6:7], v[150:151]
	v_fma_f64 v[128:129], v[4:5], v[150:151], -v[152:153]
	v_fmac_f64_e32 v[126:127], v[10:11], v[12:13]
	v_fma_f64 v[8:9], v[8:9], v[12:13], -v[14:15]
	v_add_f64_e32 v[142:143], v[108:109], v[106:107]
	v_add_f64_e32 v[118:119], v[118:119], v[120:121]
	ds_load_b128 v[4:7], v2 offset:1312
	ds_load_b128 v[106:109], v2 offset:1328
	;; [unrolled: 16-line block ×4, first 2 shown]
	s_wait_loadcnt_dscnt 0x101
	v_mul_f64_e32 v[2:3], v[4:5], v[140:141]
	v_mul_f64_e32 v[118:119], v[6:7], v[140:141]
	s_wait_loadcnt_dscnt 0x0
	v_mul_f64_e32 v[112:113], v[14:15], v[124:125]
	v_add_f64_e32 v[10:11], v[106:107], v[116:117]
	v_add_f64_e32 v[106:107], v[108:109], v[126:127]
	v_mul_f64_e32 v[108:109], v[12:13], v[124:125]
	v_fmac_f64_e32 v[2:3], v[6:7], v[138:139]
	v_fma_f64 v[4:5], v[4:5], v[138:139], -v[118:119]
	v_add_f64_e32 v[6:7], v[10:11], v[8:9]
	v_add_f64_e32 v[8:9], v[106:107], v[110:111]
	v_fmac_f64_e32 v[108:109], v[14:15], v[122:123]
	v_fma_f64 v[10:11], v[12:13], v[122:123], -v[112:113]
	s_delay_alu instid0(VALU_DEP_4) | instskip(NEXT) | instid1(VALU_DEP_4)
	v_add_f64_e32 v[4:5], v[6:7], v[4:5]
	v_add_f64_e32 v[2:3], v[8:9], v[2:3]
	s_delay_alu instid0(VALU_DEP_2) | instskip(NEXT) | instid1(VALU_DEP_2)
	v_add_f64_e32 v[4:5], v[4:5], v[10:11]
	v_add_f64_e32 v[6:7], v[2:3], v[108:109]
	s_delay_alu instid0(VALU_DEP_2) | instskip(NEXT) | instid1(VALU_DEP_2)
	v_add_f64_e64 v[2:3], v[146:147], -v[4:5]
	v_add_f64_e64 v[4:5], v[148:149], -v[6:7]
	scratch_store_b128 off, v[2:5], off offset:112
	s_wait_xcnt 0x0
	v_cmpx_lt_u32_e32 6, v1
	s_cbranch_execz .LBB107_265
; %bb.264:
	scratch_load_b128 v[2:5], off, s54
	v_mov_b32_e32 v6, 0
	s_delay_alu instid0(VALU_DEP_1)
	v_dual_mov_b32 v7, v6 :: v_dual_mov_b32 v8, v6
	v_mov_b32_e32 v9, v6
	scratch_store_b128 off, v[6:9], off offset:96
	s_wait_loadcnt 0x0
	ds_store_b128 v104, v[2:5]
.LBB107_265:
	s_wait_xcnt 0x0
	s_or_b32 exec_lo, exec_lo, s2
	s_wait_storecnt_dscnt 0x0
	s_barrier_signal -1
	s_barrier_wait -1
	s_clause 0x9
	scratch_load_b128 v[4:7], off, off offset:112
	scratch_load_b128 v[8:11], off, off offset:128
	;; [unrolled: 1-line block ×10, first 2 shown]
	v_mov_b32_e32 v2, 0
	s_mov_b32 s2, exec_lo
	ds_load_b128 v[134:137], v2 offset:816
	s_clause 0x2
	scratch_load_b128 v[138:141], off, off offset:272
	scratch_load_b128 v[142:145], off, off offset:96
	;; [unrolled: 1-line block ×3, first 2 shown]
	s_wait_loadcnt_dscnt 0xc00
	v_mul_f64_e32 v[154:155], v[136:137], v[6:7]
	v_mul_f64_e32 v[158:159], v[134:135], v[6:7]
	ds_load_b128 v[146:149], v2 offset:832
	v_fma_f64 v[162:163], v[134:135], v[4:5], -v[154:155]
	v_fmac_f64_e32 v[158:159], v[136:137], v[4:5]
	ds_load_b128 v[4:7], v2 offset:848
	s_wait_loadcnt_dscnt 0xb01
	v_mul_f64_e32 v[160:161], v[146:147], v[10:11]
	v_mul_f64_e32 v[10:11], v[148:149], v[10:11]
	scratch_load_b128 v[134:137], off, off offset:304
	ds_load_b128 v[154:157], v2 offset:864
	s_wait_loadcnt_dscnt 0xb01
	v_mul_f64_e32 v[164:165], v[4:5], v[14:15]
	v_mul_f64_e32 v[14:15], v[6:7], v[14:15]
	v_add_f64_e32 v[158:159], 0, v[158:159]
	v_fmac_f64_e32 v[160:161], v[148:149], v[8:9]
	v_fma_f64 v[146:147], v[146:147], v[8:9], -v[10:11]
	v_add_f64_e32 v[148:149], 0, v[162:163]
	scratch_load_b128 v[8:11], off, off offset:320
	v_fmac_f64_e32 v[164:165], v[6:7], v[12:13]
	v_fma_f64 v[166:167], v[4:5], v[12:13], -v[14:15]
	ds_load_b128 v[4:7], v2 offset:880
	s_wait_loadcnt_dscnt 0xb01
	v_mul_f64_e32 v[162:163], v[154:155], v[108:109]
	v_mul_f64_e32 v[108:109], v[156:157], v[108:109]
	scratch_load_b128 v[12:15], off, off offset:336
	v_add_f64_e32 v[158:159], v[158:159], v[160:161]
	v_add_f64_e32 v[168:169], v[148:149], v[146:147]
	ds_load_b128 v[146:149], v2 offset:896
	s_wait_loadcnt_dscnt 0xb01
	v_mul_f64_e32 v[160:161], v[4:5], v[112:113]
	v_mul_f64_e32 v[112:113], v[6:7], v[112:113]
	v_fmac_f64_e32 v[162:163], v[156:157], v[106:107]
	v_fma_f64 v[154:155], v[154:155], v[106:107], -v[108:109]
	scratch_load_b128 v[106:109], off, off offset:352
	v_add_f64_e32 v[158:159], v[158:159], v[164:165]
	v_add_f64_e32 v[156:157], v[168:169], v[166:167]
	v_fmac_f64_e32 v[160:161], v[6:7], v[110:111]
	v_fma_f64 v[166:167], v[4:5], v[110:111], -v[112:113]
	ds_load_b128 v[4:7], v2 offset:912
	s_wait_loadcnt_dscnt 0xb01
	v_mul_f64_e32 v[164:165], v[146:147], v[116:117]
	v_mul_f64_e32 v[116:117], v[148:149], v[116:117]
	scratch_load_b128 v[110:113], off, off offset:368
	v_add_f64_e32 v[158:159], v[158:159], v[162:163]
	s_wait_loadcnt_dscnt 0xb00
	v_mul_f64_e32 v[162:163], v[4:5], v[120:121]
	v_add_f64_e32 v[168:169], v[156:157], v[154:155]
	v_mul_f64_e32 v[120:121], v[6:7], v[120:121]
	ds_load_b128 v[154:157], v2 offset:928
	v_fmac_f64_e32 v[164:165], v[148:149], v[114:115]
	v_fma_f64 v[146:147], v[146:147], v[114:115], -v[116:117]
	scratch_load_b128 v[114:117], off, off offset:384
	v_add_f64_e32 v[158:159], v[158:159], v[160:161]
	v_fmac_f64_e32 v[162:163], v[6:7], v[118:119]
	v_add_f64_e32 v[148:149], v[168:169], v[166:167]
	v_fma_f64 v[166:167], v[4:5], v[118:119], -v[120:121]
	ds_load_b128 v[4:7], v2 offset:944
	s_wait_loadcnt_dscnt 0xb01
	v_mul_f64_e32 v[160:161], v[154:155], v[124:125]
	v_mul_f64_e32 v[124:125], v[156:157], v[124:125]
	scratch_load_b128 v[118:121], off, off offset:400
	v_add_f64_e32 v[158:159], v[158:159], v[164:165]
	s_wait_loadcnt_dscnt 0xb00
	v_mul_f64_e32 v[164:165], v[4:5], v[128:129]
	v_add_f64_e32 v[168:169], v[148:149], v[146:147]
	v_mul_f64_e32 v[128:129], v[6:7], v[128:129]
	ds_load_b128 v[146:149], v2 offset:960
	v_fmac_f64_e32 v[160:161], v[156:157], v[122:123]
	v_fma_f64 v[154:155], v[154:155], v[122:123], -v[124:125]
	scratch_load_b128 v[122:125], off, off offset:416
	v_add_f64_e32 v[158:159], v[158:159], v[162:163]
	v_fmac_f64_e32 v[164:165], v[6:7], v[126:127]
	v_add_f64_e32 v[156:157], v[168:169], v[166:167]
	;; [unrolled: 18-line block ×3, first 2 shown]
	v_fma_f64 v[166:167], v[4:5], v[138:139], -v[140:141]
	ds_load_b128 v[4:7], v2 offset:1008
	s_wait_loadcnt_dscnt 0xa01
	v_mul_f64_e32 v[164:165], v[154:155], v[152:153]
	v_mul_f64_e32 v[152:153], v[156:157], v[152:153]
	scratch_load_b128 v[138:141], off, off offset:464
	v_add_f64_e32 v[158:159], v[158:159], v[162:163]
	v_add_f64_e32 v[168:169], v[148:149], v[146:147]
	s_wait_loadcnt_dscnt 0xa00
	v_mul_f64_e32 v[162:163], v[4:5], v[136:137]
	v_mul_f64_e32 v[136:137], v[6:7], v[136:137]
	v_fmac_f64_e32 v[164:165], v[156:157], v[150:151]
	v_fma_f64 v[154:155], v[154:155], v[150:151], -v[152:153]
	ds_load_b128 v[146:149], v2 offset:1024
	scratch_load_b128 v[150:153], off, off offset:480
	v_add_f64_e32 v[158:159], v[158:159], v[160:161]
	v_add_f64_e32 v[156:157], v[168:169], v[166:167]
	v_fmac_f64_e32 v[162:163], v[6:7], v[134:135]
	v_fma_f64 v[166:167], v[4:5], v[134:135], -v[136:137]
	ds_load_b128 v[4:7], v2 offset:1040
	s_wait_loadcnt_dscnt 0xa01
	v_mul_f64_e32 v[160:161], v[146:147], v[10:11]
	v_mul_f64_e32 v[10:11], v[148:149], v[10:11]
	scratch_load_b128 v[134:137], off, off offset:496
	v_add_f64_e32 v[158:159], v[158:159], v[164:165]
	s_wait_loadcnt_dscnt 0xa00
	v_mul_f64_e32 v[164:165], v[4:5], v[14:15]
	v_add_f64_e32 v[168:169], v[156:157], v[154:155]
	v_mul_f64_e32 v[14:15], v[6:7], v[14:15]
	ds_load_b128 v[154:157], v2 offset:1056
	v_fmac_f64_e32 v[160:161], v[148:149], v[8:9]
	v_fma_f64 v[146:147], v[146:147], v[8:9], -v[10:11]
	scratch_load_b128 v[8:11], off, off offset:512
	v_add_f64_e32 v[158:159], v[158:159], v[162:163]
	v_fmac_f64_e32 v[164:165], v[6:7], v[12:13]
	v_add_f64_e32 v[148:149], v[168:169], v[166:167]
	v_fma_f64 v[166:167], v[4:5], v[12:13], -v[14:15]
	ds_load_b128 v[4:7], v2 offset:1072
	s_wait_loadcnt_dscnt 0xa01
	v_mul_f64_e32 v[162:163], v[154:155], v[108:109]
	v_mul_f64_e32 v[108:109], v[156:157], v[108:109]
	scratch_load_b128 v[12:15], off, off offset:528
	v_add_f64_e32 v[158:159], v[158:159], v[160:161]
	s_wait_loadcnt_dscnt 0xa00
	v_mul_f64_e32 v[160:161], v[4:5], v[112:113]
	v_add_f64_e32 v[168:169], v[148:149], v[146:147]
	v_mul_f64_e32 v[112:113], v[6:7], v[112:113]
	ds_load_b128 v[146:149], v2 offset:1088
	v_fmac_f64_e32 v[162:163], v[156:157], v[106:107]
	v_fma_f64 v[154:155], v[154:155], v[106:107], -v[108:109]
	scratch_load_b128 v[106:109], off, off offset:544
	v_add_f64_e32 v[158:159], v[158:159], v[164:165]
	v_fmac_f64_e32 v[160:161], v[6:7], v[110:111]
	v_add_f64_e32 v[156:157], v[168:169], v[166:167]
	;; [unrolled: 18-line block ×6, first 2 shown]
	v_fma_f64 v[166:167], v[4:5], v[134:135], -v[136:137]
	ds_load_b128 v[4:7], v2 offset:1232
	s_wait_loadcnt_dscnt 0xa01
	v_mul_f64_e32 v[160:161], v[146:147], v[10:11]
	v_mul_f64_e32 v[10:11], v[148:149], v[10:11]
	scratch_load_b128 v[134:137], off, off offset:688
	v_add_f64_e32 v[158:159], v[158:159], v[164:165]
	s_wait_loadcnt_dscnt 0xa00
	v_mul_f64_e32 v[164:165], v[4:5], v[14:15]
	v_add_f64_e32 v[168:169], v[156:157], v[154:155]
	v_mul_f64_e32 v[14:15], v[6:7], v[14:15]
	ds_load_b128 v[154:157], v2 offset:1248
	v_fmac_f64_e32 v[160:161], v[148:149], v[8:9]
	v_fma_f64 v[8:9], v[146:147], v[8:9], -v[10:11]
	s_wait_loadcnt_dscnt 0x900
	v_mul_f64_e32 v[148:149], v[154:155], v[108:109]
	v_mul_f64_e32 v[108:109], v[156:157], v[108:109]
	v_add_f64_e32 v[146:147], v[158:159], v[162:163]
	v_fmac_f64_e32 v[164:165], v[6:7], v[12:13]
	v_add_f64_e32 v[10:11], v[168:169], v[166:167]
	v_fma_f64 v[12:13], v[4:5], v[12:13], -v[14:15]
	v_fmac_f64_e32 v[148:149], v[156:157], v[106:107]
	v_fma_f64 v[106:107], v[154:155], v[106:107], -v[108:109]
	v_add_f64_e32 v[146:147], v[146:147], v[160:161]
	v_add_f64_e32 v[14:15], v[10:11], v[8:9]
	ds_load_b128 v[4:7], v2 offset:1264
	ds_load_b128 v[8:11], v2 offset:1280
	s_wait_loadcnt_dscnt 0x801
	v_mul_f64_e32 v[158:159], v[4:5], v[112:113]
	v_mul_f64_e32 v[112:113], v[6:7], v[112:113]
	s_wait_loadcnt_dscnt 0x700
	v_mul_f64_e32 v[108:109], v[8:9], v[116:117]
	v_mul_f64_e32 v[116:117], v[10:11], v[116:117]
	v_add_f64_e32 v[12:13], v[14:15], v[12:13]
	v_add_f64_e32 v[14:15], v[146:147], v[164:165]
	v_fmac_f64_e32 v[158:159], v[6:7], v[110:111]
	v_fma_f64 v[110:111], v[4:5], v[110:111], -v[112:113]
	v_fmac_f64_e32 v[108:109], v[10:11], v[114:115]
	v_fma_f64 v[8:9], v[8:9], v[114:115], -v[116:117]
	v_add_f64_e32 v[106:107], v[12:13], v[106:107]
	v_add_f64_e32 v[112:113], v[14:15], v[148:149]
	ds_load_b128 v[4:7], v2 offset:1296
	ds_load_b128 v[12:15], v2 offset:1312
	s_wait_loadcnt_dscnt 0x601
	v_mul_f64_e32 v[146:147], v[4:5], v[120:121]
	v_mul_f64_e32 v[120:121], v[6:7], v[120:121]
	v_add_f64_e32 v[10:11], v[106:107], v[110:111]
	v_add_f64_e32 v[106:107], v[112:113], v[158:159]
	s_wait_loadcnt_dscnt 0x500
	v_mul_f64_e32 v[110:111], v[12:13], v[124:125]
	v_mul_f64_e32 v[112:113], v[14:15], v[124:125]
	v_fmac_f64_e32 v[146:147], v[6:7], v[118:119]
	v_fma_f64 v[114:115], v[4:5], v[118:119], -v[120:121]
	v_add_f64_e32 v[116:117], v[10:11], v[8:9]
	v_add_f64_e32 v[106:107], v[106:107], v[108:109]
	ds_load_b128 v[4:7], v2 offset:1328
	ds_load_b128 v[8:11], v2 offset:1344
	v_fmac_f64_e32 v[110:111], v[14:15], v[122:123]
	v_fma_f64 v[12:13], v[12:13], v[122:123], -v[112:113]
	s_wait_loadcnt_dscnt 0x401
	v_mul_f64_e32 v[108:109], v[4:5], v[128:129]
	v_mul_f64_e32 v[118:119], v[6:7], v[128:129]
	s_wait_loadcnt_dscnt 0x300
	v_mul_f64_e32 v[112:113], v[8:9], v[132:133]
	v_add_f64_e32 v[14:15], v[116:117], v[114:115]
	v_add_f64_e32 v[106:107], v[106:107], v[146:147]
	v_mul_f64_e32 v[114:115], v[10:11], v[132:133]
	v_fmac_f64_e32 v[108:109], v[6:7], v[126:127]
	v_fma_f64 v[116:117], v[4:5], v[126:127], -v[118:119]
	v_fmac_f64_e32 v[112:113], v[10:11], v[130:131]
	v_add_f64_e32 v[118:119], v[14:15], v[12:13]
	v_add_f64_e32 v[106:107], v[106:107], v[110:111]
	ds_load_b128 v[4:7], v2 offset:1360
	ds_load_b128 v[12:15], v2 offset:1376
	v_fma_f64 v[8:9], v[8:9], v[130:131], -v[114:115]
	s_wait_loadcnt_dscnt 0x201
	v_mul_f64_e32 v[110:111], v[4:5], v[140:141]
	v_mul_f64_e32 v[120:121], v[6:7], v[140:141]
	s_wait_loadcnt_dscnt 0x100
	v_mul_f64_e32 v[114:115], v[14:15], v[152:153]
	v_add_f64_e32 v[10:11], v[118:119], v[116:117]
	v_add_f64_e32 v[106:107], v[106:107], v[108:109]
	v_mul_f64_e32 v[108:109], v[12:13], v[152:153]
	v_fmac_f64_e32 v[110:111], v[6:7], v[138:139]
	v_fma_f64 v[116:117], v[4:5], v[138:139], -v[120:121]
	ds_load_b128 v[4:7], v2 offset:1392
	v_fma_f64 v[12:13], v[12:13], v[150:151], -v[114:115]
	v_add_f64_e32 v[8:9], v[10:11], v[8:9]
	v_add_f64_e32 v[10:11], v[106:107], v[112:113]
	v_fmac_f64_e32 v[108:109], v[14:15], v[150:151]
	s_wait_loadcnt_dscnt 0x0
	v_mul_f64_e32 v[106:107], v[4:5], v[136:137]
	v_mul_f64_e32 v[112:113], v[6:7], v[136:137]
	v_add_f64_e32 v[8:9], v[8:9], v[116:117]
	v_add_f64_e32 v[10:11], v[10:11], v[110:111]
	s_delay_alu instid0(VALU_DEP_4) | instskip(NEXT) | instid1(VALU_DEP_4)
	v_fmac_f64_e32 v[106:107], v[6:7], v[134:135]
	v_fma_f64 v[4:5], v[4:5], v[134:135], -v[112:113]
	s_delay_alu instid0(VALU_DEP_4) | instskip(NEXT) | instid1(VALU_DEP_4)
	v_add_f64_e32 v[6:7], v[8:9], v[12:13]
	v_add_f64_e32 v[8:9], v[10:11], v[108:109]
	s_delay_alu instid0(VALU_DEP_2) | instskip(NEXT) | instid1(VALU_DEP_2)
	v_add_f64_e32 v[4:5], v[6:7], v[4:5]
	v_add_f64_e32 v[6:7], v[8:9], v[106:107]
	s_delay_alu instid0(VALU_DEP_2) | instskip(NEXT) | instid1(VALU_DEP_2)
	v_add_f64_e64 v[4:5], v[142:143], -v[4:5]
	v_add_f64_e64 v[6:7], v[144:145], -v[6:7]
	scratch_store_b128 off, v[4:7], off offset:96
	s_wait_xcnt 0x0
	v_cmpx_lt_u32_e32 5, v1
	s_cbranch_execz .LBB107_267
; %bb.266:
	scratch_load_b128 v[6:9], off, s55
	v_dual_mov_b32 v3, v2 :: v_dual_mov_b32 v4, v2
	v_mov_b32_e32 v5, v2
	scratch_store_b128 off, v[2:5], off offset:80
	s_wait_loadcnt 0x0
	ds_store_b128 v104, v[6:9]
.LBB107_267:
	s_wait_xcnt 0x0
	s_or_b32 exec_lo, exec_lo, s2
	s_wait_storecnt_dscnt 0x0
	s_barrier_signal -1
	s_barrier_wait -1
	s_clause 0x9
	scratch_load_b128 v[4:7], off, off offset:96
	scratch_load_b128 v[8:11], off, off offset:112
	;; [unrolled: 1-line block ×10, first 2 shown]
	ds_load_b128 v[134:137], v2 offset:800
	ds_load_b128 v[142:145], v2 offset:816
	s_clause 0x2
	scratch_load_b128 v[138:141], off, off offset:256
	scratch_load_b128 v[146:149], off, off offset:80
	;; [unrolled: 1-line block ×3, first 2 shown]
	s_mov_b32 s2, exec_lo
	s_wait_loadcnt_dscnt 0xc01
	v_mul_f64_e32 v[154:155], v[136:137], v[6:7]
	v_mul_f64_e32 v[158:159], v[134:135], v[6:7]
	s_wait_loadcnt_dscnt 0xb00
	v_mul_f64_e32 v[160:161], v[142:143], v[10:11]
	v_mul_f64_e32 v[10:11], v[144:145], v[10:11]
	s_delay_alu instid0(VALU_DEP_4) | instskip(NEXT) | instid1(VALU_DEP_4)
	v_fma_f64 v[162:163], v[134:135], v[4:5], -v[154:155]
	v_fmac_f64_e32 v[158:159], v[136:137], v[4:5]
	ds_load_b128 v[4:7], v2 offset:832
	ds_load_b128 v[134:137], v2 offset:848
	scratch_load_b128 v[154:157], off, off offset:288
	v_fmac_f64_e32 v[160:161], v[144:145], v[8:9]
	v_fma_f64 v[142:143], v[142:143], v[8:9], -v[10:11]
	scratch_load_b128 v[8:11], off, off offset:304
	s_wait_loadcnt_dscnt 0xc01
	v_mul_f64_e32 v[164:165], v[4:5], v[14:15]
	v_mul_f64_e32 v[14:15], v[6:7], v[14:15]
	v_add_f64_e32 v[144:145], 0, v[162:163]
	v_add_f64_e32 v[158:159], 0, v[158:159]
	s_wait_loadcnt_dscnt 0xb00
	v_mul_f64_e32 v[162:163], v[134:135], v[108:109]
	v_mul_f64_e32 v[108:109], v[136:137], v[108:109]
	v_fmac_f64_e32 v[164:165], v[6:7], v[12:13]
	v_fma_f64 v[166:167], v[4:5], v[12:13], -v[14:15]
	ds_load_b128 v[4:7], v2 offset:864
	ds_load_b128 v[12:15], v2 offset:880
	v_add_f64_e32 v[168:169], v[144:145], v[142:143]
	v_add_f64_e32 v[158:159], v[158:159], v[160:161]
	scratch_load_b128 v[142:145], off, off offset:320
	v_fmac_f64_e32 v[162:163], v[136:137], v[106:107]
	v_fma_f64 v[134:135], v[134:135], v[106:107], -v[108:109]
	scratch_load_b128 v[106:109], off, off offset:336
	s_wait_loadcnt_dscnt 0xc01
	v_mul_f64_e32 v[160:161], v[4:5], v[112:113]
	v_mul_f64_e32 v[112:113], v[6:7], v[112:113]
	v_add_f64_e32 v[136:137], v[168:169], v[166:167]
	v_add_f64_e32 v[158:159], v[158:159], v[164:165]
	s_wait_loadcnt_dscnt 0xb00
	v_mul_f64_e32 v[164:165], v[12:13], v[116:117]
	v_mul_f64_e32 v[116:117], v[14:15], v[116:117]
	v_fmac_f64_e32 v[160:161], v[6:7], v[110:111]
	v_fma_f64 v[166:167], v[4:5], v[110:111], -v[112:113]
	ds_load_b128 v[4:7], v2 offset:896
	ds_load_b128 v[110:113], v2 offset:912
	v_add_f64_e32 v[168:169], v[136:137], v[134:135]
	v_add_f64_e32 v[158:159], v[158:159], v[162:163]
	scratch_load_b128 v[134:137], off, off offset:352
	s_wait_loadcnt_dscnt 0xb01
	v_mul_f64_e32 v[162:163], v[4:5], v[120:121]
	v_mul_f64_e32 v[120:121], v[6:7], v[120:121]
	v_fmac_f64_e32 v[164:165], v[14:15], v[114:115]
	v_fma_f64 v[114:115], v[12:13], v[114:115], -v[116:117]
	scratch_load_b128 v[12:15], off, off offset:368
	v_add_f64_e32 v[116:117], v[168:169], v[166:167]
	v_add_f64_e32 v[158:159], v[158:159], v[160:161]
	s_wait_loadcnt_dscnt 0xb00
	v_mul_f64_e32 v[160:161], v[110:111], v[124:125]
	v_mul_f64_e32 v[124:125], v[112:113], v[124:125]
	v_fmac_f64_e32 v[162:163], v[6:7], v[118:119]
	v_fma_f64 v[166:167], v[4:5], v[118:119], -v[120:121]
	v_add_f64_e32 v[168:169], v[116:117], v[114:115]
	v_add_f64_e32 v[158:159], v[158:159], v[164:165]
	ds_load_b128 v[4:7], v2 offset:928
	ds_load_b128 v[114:117], v2 offset:944
	scratch_load_b128 v[118:121], off, off offset:384
	v_fmac_f64_e32 v[160:161], v[112:113], v[122:123]
	v_fma_f64 v[122:123], v[110:111], v[122:123], -v[124:125]
	scratch_load_b128 v[110:113], off, off offset:400
	s_wait_loadcnt_dscnt 0xc01
	v_mul_f64_e32 v[164:165], v[4:5], v[128:129]
	v_mul_f64_e32 v[128:129], v[6:7], v[128:129]
	v_add_f64_e32 v[124:125], v[168:169], v[166:167]
	v_add_f64_e32 v[158:159], v[158:159], v[162:163]
	s_wait_loadcnt_dscnt 0xb00
	v_mul_f64_e32 v[162:163], v[114:115], v[132:133]
	v_mul_f64_e32 v[132:133], v[116:117], v[132:133]
	v_fmac_f64_e32 v[164:165], v[6:7], v[126:127]
	v_fma_f64 v[166:167], v[4:5], v[126:127], -v[128:129]
	v_add_f64_e32 v[168:169], v[124:125], v[122:123]
	v_add_f64_e32 v[158:159], v[158:159], v[160:161]
	ds_load_b128 v[4:7], v2 offset:960
	ds_load_b128 v[122:125], v2 offset:976
	scratch_load_b128 v[126:129], off, off offset:416
	v_fmac_f64_e32 v[162:163], v[116:117], v[130:131]
	v_fma_f64 v[130:131], v[114:115], v[130:131], -v[132:133]
	scratch_load_b128 v[114:117], off, off offset:432
	s_wait_loadcnt_dscnt 0xc01
	v_mul_f64_e32 v[160:161], v[4:5], v[140:141]
	v_mul_f64_e32 v[140:141], v[6:7], v[140:141]
	;; [unrolled: 18-line block ×5, first 2 shown]
	v_add_f64_e32 v[152:153], v[168:169], v[166:167]
	v_add_f64_e32 v[158:159], v[158:159], v[164:165]
	s_wait_loadcnt_dscnt 0xa00
	v_mul_f64_e32 v[164:165], v[130:131], v[14:15]
	v_mul_f64_e32 v[14:15], v[132:133], v[14:15]
	v_fmac_f64_e32 v[160:161], v[6:7], v[134:135]
	v_fma_f64 v[166:167], v[4:5], v[134:135], -v[136:137]
	ds_load_b128 v[4:7], v2 offset:1088
	ds_load_b128 v[134:137], v2 offset:1104
	v_add_f64_e32 v[168:169], v[152:153], v[150:151]
	v_add_f64_e32 v[158:159], v[158:159], v[162:163]
	scratch_load_b128 v[150:153], off, off offset:544
	v_fmac_f64_e32 v[164:165], v[132:133], v[12:13]
	v_fma_f64 v[130:131], v[130:131], v[12:13], -v[14:15]
	scratch_load_b128 v[12:15], off, off offset:560
	s_wait_loadcnt_dscnt 0xb01
	v_mul_f64_e32 v[162:163], v[4:5], v[120:121]
	v_mul_f64_e32 v[120:121], v[6:7], v[120:121]
	v_add_f64_e32 v[132:133], v[168:169], v[166:167]
	v_add_f64_e32 v[158:159], v[158:159], v[160:161]
	s_wait_loadcnt_dscnt 0xa00
	v_mul_f64_e32 v[160:161], v[134:135], v[112:113]
	v_mul_f64_e32 v[112:113], v[136:137], v[112:113]
	v_fmac_f64_e32 v[162:163], v[6:7], v[118:119]
	v_fma_f64 v[166:167], v[4:5], v[118:119], -v[120:121]
	ds_load_b128 v[4:7], v2 offset:1120
	ds_load_b128 v[118:121], v2 offset:1136
	v_add_f64_e32 v[168:169], v[132:133], v[130:131]
	v_add_f64_e32 v[158:159], v[158:159], v[164:165]
	scratch_load_b128 v[130:133], off, off offset:576
	s_wait_loadcnt_dscnt 0xa01
	v_mul_f64_e32 v[164:165], v[4:5], v[128:129]
	v_mul_f64_e32 v[128:129], v[6:7], v[128:129]
	v_fmac_f64_e32 v[160:161], v[136:137], v[110:111]
	v_fma_f64 v[134:135], v[134:135], v[110:111], -v[112:113]
	scratch_load_b128 v[110:113], off, off offset:592
	v_add_f64_e32 v[136:137], v[168:169], v[166:167]
	v_add_f64_e32 v[158:159], v[158:159], v[162:163]
	s_wait_loadcnt_dscnt 0xa00
	v_mul_f64_e32 v[162:163], v[118:119], v[116:117]
	v_mul_f64_e32 v[116:117], v[120:121], v[116:117]
	v_fmac_f64_e32 v[164:165], v[6:7], v[126:127]
	v_fma_f64 v[166:167], v[4:5], v[126:127], -v[128:129]
	ds_load_b128 v[4:7], v2 offset:1152
	ds_load_b128 v[126:129], v2 offset:1168
	v_add_f64_e32 v[168:169], v[136:137], v[134:135]
	v_add_f64_e32 v[158:159], v[158:159], v[160:161]
	scratch_load_b128 v[134:137], off, off offset:608
	s_wait_loadcnt_dscnt 0xa01
	v_mul_f64_e32 v[160:161], v[4:5], v[140:141]
	v_mul_f64_e32 v[140:141], v[6:7], v[140:141]
	v_fmac_f64_e32 v[162:163], v[120:121], v[114:115]
	v_fma_f64 v[118:119], v[118:119], v[114:115], -v[116:117]
	scratch_load_b128 v[114:117], off, off offset:624
	v_add_f64_e32 v[120:121], v[168:169], v[166:167]
	v_add_f64_e32 v[158:159], v[158:159], v[164:165]
	s_wait_loadcnt_dscnt 0xa00
	v_mul_f64_e32 v[164:165], v[126:127], v[124:125]
	v_mul_f64_e32 v[124:125], v[128:129], v[124:125]
	v_fmac_f64_e32 v[160:161], v[6:7], v[138:139]
	v_fma_f64 v[166:167], v[4:5], v[138:139], -v[140:141]
	v_add_f64_e32 v[168:169], v[120:121], v[118:119]
	v_add_f64_e32 v[158:159], v[158:159], v[162:163]
	ds_load_b128 v[4:7], v2 offset:1184
	ds_load_b128 v[118:121], v2 offset:1200
	scratch_load_b128 v[138:141], off, off offset:640
	v_fmac_f64_e32 v[164:165], v[128:129], v[122:123]
	v_fma_f64 v[126:127], v[126:127], v[122:123], -v[124:125]
	scratch_load_b128 v[122:125], off, off offset:656
	s_wait_loadcnt_dscnt 0xb01
	v_mul_f64_e32 v[162:163], v[4:5], v[156:157]
	v_mul_f64_e32 v[156:157], v[6:7], v[156:157]
	v_add_f64_e32 v[128:129], v[168:169], v[166:167]
	v_add_f64_e32 v[158:159], v[158:159], v[160:161]
	s_wait_loadcnt_dscnt 0xa00
	v_mul_f64_e32 v[160:161], v[118:119], v[10:11]
	v_mul_f64_e32 v[10:11], v[120:121], v[10:11]
	v_fmac_f64_e32 v[162:163], v[6:7], v[154:155]
	v_fma_f64 v[166:167], v[4:5], v[154:155], -v[156:157]
	v_add_f64_e32 v[168:169], v[128:129], v[126:127]
	v_add_f64_e32 v[158:159], v[158:159], v[164:165]
	ds_load_b128 v[4:7], v2 offset:1216
	ds_load_b128 v[126:129], v2 offset:1232
	scratch_load_b128 v[154:157], off, off offset:672
	v_fmac_f64_e32 v[160:161], v[120:121], v[8:9]
	v_fma_f64 v[118:119], v[118:119], v[8:9], -v[10:11]
	scratch_load_b128 v[8:11], off, off offset:688
	s_wait_loadcnt_dscnt 0xb01
	v_mul_f64_e32 v[164:165], v[4:5], v[144:145]
	v_mul_f64_e32 v[144:145], v[6:7], v[144:145]
	v_add_f64_e32 v[120:121], v[168:169], v[166:167]
	v_add_f64_e32 v[158:159], v[158:159], v[162:163]
	s_wait_loadcnt_dscnt 0xa00
	v_mul_f64_e32 v[162:163], v[126:127], v[108:109]
	v_mul_f64_e32 v[108:109], v[128:129], v[108:109]
	v_fmac_f64_e32 v[164:165], v[6:7], v[142:143]
	v_fma_f64 v[142:143], v[4:5], v[142:143], -v[144:145]
	v_add_f64_e32 v[144:145], v[120:121], v[118:119]
	v_add_f64_e32 v[158:159], v[158:159], v[160:161]
	ds_load_b128 v[4:7], v2 offset:1248
	ds_load_b128 v[118:121], v2 offset:1264
	v_fmac_f64_e32 v[162:163], v[128:129], v[106:107]
	v_fma_f64 v[106:107], v[126:127], v[106:107], -v[108:109]
	s_wait_loadcnt_dscnt 0x901
	v_mul_f64_e32 v[160:161], v[4:5], v[152:153]
	v_mul_f64_e32 v[152:153], v[6:7], v[152:153]
	s_wait_loadcnt_dscnt 0x800
	v_mul_f64_e32 v[128:129], v[118:119], v[14:15]
	v_mul_f64_e32 v[14:15], v[120:121], v[14:15]
	v_add_f64_e32 v[108:109], v[144:145], v[142:143]
	v_add_f64_e32 v[126:127], v[158:159], v[164:165]
	v_fmac_f64_e32 v[160:161], v[6:7], v[150:151]
	v_fma_f64 v[142:143], v[4:5], v[150:151], -v[152:153]
	v_fmac_f64_e32 v[128:129], v[120:121], v[12:13]
	v_fma_f64 v[12:13], v[118:119], v[12:13], -v[14:15]
	v_add_f64_e32 v[144:145], v[108:109], v[106:107]
	v_add_f64_e32 v[126:127], v[126:127], v[162:163]
	ds_load_b128 v[4:7], v2 offset:1280
	ds_load_b128 v[106:109], v2 offset:1296
	s_wait_loadcnt_dscnt 0x701
	v_mul_f64_e32 v[150:151], v[4:5], v[132:133]
	v_mul_f64_e32 v[132:133], v[6:7], v[132:133]
	s_wait_loadcnt_dscnt 0x600
	v_mul_f64_e32 v[120:121], v[106:107], v[112:113]
	v_mul_f64_e32 v[112:113], v[108:109], v[112:113]
	v_add_f64_e32 v[14:15], v[144:145], v[142:143]
	v_add_f64_e32 v[118:119], v[126:127], v[160:161]
	v_fmac_f64_e32 v[150:151], v[6:7], v[130:131]
	v_fma_f64 v[126:127], v[4:5], v[130:131], -v[132:133]
	v_fmac_f64_e32 v[120:121], v[108:109], v[110:111]
	v_fma_f64 v[106:107], v[106:107], v[110:111], -v[112:113]
	v_add_f64_e32 v[130:131], v[14:15], v[12:13]
	v_add_f64_e32 v[118:119], v[118:119], v[128:129]
	ds_load_b128 v[4:7], v2 offset:1312
	ds_load_b128 v[12:15], v2 offset:1328
	;; [unrolled: 16-line block ×4, first 2 shown]
	s_wait_loadcnt_dscnt 0x101
	v_mul_f64_e32 v[2:3], v[4:5], v[156:157]
	v_mul_f64_e32 v[112:113], v[6:7], v[156:157]
	s_wait_loadcnt_dscnt 0x0
	v_mul_f64_e32 v[116:117], v[12:13], v[10:11]
	v_mul_f64_e32 v[10:11], v[14:15], v[10:11]
	v_add_f64_e32 v[108:109], v[124:125], v[118:119]
	v_add_f64_e32 v[110:111], v[110:111], v[120:121]
	v_fmac_f64_e32 v[2:3], v[6:7], v[154:155]
	v_fma_f64 v[4:5], v[4:5], v[154:155], -v[112:113]
	v_fmac_f64_e32 v[116:117], v[14:15], v[8:9]
	v_fma_f64 v[8:9], v[12:13], v[8:9], -v[10:11]
	v_add_f64_e32 v[6:7], v[108:109], v[106:107]
	v_add_f64_e32 v[106:107], v[110:111], v[114:115]
	s_delay_alu instid0(VALU_DEP_2) | instskip(NEXT) | instid1(VALU_DEP_2)
	v_add_f64_e32 v[4:5], v[6:7], v[4:5]
	v_add_f64_e32 v[2:3], v[106:107], v[2:3]
	s_delay_alu instid0(VALU_DEP_2) | instskip(NEXT) | instid1(VALU_DEP_2)
	;; [unrolled: 3-line block ×3, first 2 shown]
	v_add_f64_e64 v[2:3], v[146:147], -v[4:5]
	v_add_f64_e64 v[4:5], v[148:149], -v[6:7]
	scratch_store_b128 off, v[2:5], off offset:80
	s_wait_xcnt 0x0
	v_cmpx_lt_u32_e32 4, v1
	s_cbranch_execz .LBB107_269
; %bb.268:
	scratch_load_b128 v[2:5], off, s12
	v_mov_b32_e32 v6, 0
	s_delay_alu instid0(VALU_DEP_1)
	v_dual_mov_b32 v7, v6 :: v_dual_mov_b32 v8, v6
	v_mov_b32_e32 v9, v6
	scratch_store_b128 off, v[6:9], off offset:64
	s_wait_loadcnt 0x0
	ds_store_b128 v104, v[2:5]
.LBB107_269:
	s_wait_xcnt 0x0
	s_or_b32 exec_lo, exec_lo, s2
	s_wait_storecnt_dscnt 0x0
	s_barrier_signal -1
	s_barrier_wait -1
	s_clause 0x9
	scratch_load_b128 v[4:7], off, off offset:80
	scratch_load_b128 v[8:11], off, off offset:96
	;; [unrolled: 1-line block ×10, first 2 shown]
	v_mov_b32_e32 v2, 0
	s_mov_b32 s2, exec_lo
	ds_load_b128 v[134:137], v2 offset:784
	s_clause 0x2
	scratch_load_b128 v[138:141], off, off offset:240
	scratch_load_b128 v[142:145], off, off offset:64
	;; [unrolled: 1-line block ×3, first 2 shown]
	s_wait_loadcnt_dscnt 0xc00
	v_mul_f64_e32 v[154:155], v[136:137], v[6:7]
	v_mul_f64_e32 v[158:159], v[134:135], v[6:7]
	ds_load_b128 v[146:149], v2 offset:800
	v_fma_f64 v[162:163], v[134:135], v[4:5], -v[154:155]
	v_fmac_f64_e32 v[158:159], v[136:137], v[4:5]
	ds_load_b128 v[4:7], v2 offset:816
	s_wait_loadcnt_dscnt 0xb01
	v_mul_f64_e32 v[160:161], v[146:147], v[10:11]
	v_mul_f64_e32 v[10:11], v[148:149], v[10:11]
	scratch_load_b128 v[134:137], off, off offset:272
	ds_load_b128 v[154:157], v2 offset:832
	s_wait_loadcnt_dscnt 0xb01
	v_mul_f64_e32 v[164:165], v[4:5], v[14:15]
	v_mul_f64_e32 v[14:15], v[6:7], v[14:15]
	v_add_f64_e32 v[158:159], 0, v[158:159]
	v_fmac_f64_e32 v[160:161], v[148:149], v[8:9]
	v_fma_f64 v[146:147], v[146:147], v[8:9], -v[10:11]
	v_add_f64_e32 v[148:149], 0, v[162:163]
	scratch_load_b128 v[8:11], off, off offset:288
	v_fmac_f64_e32 v[164:165], v[6:7], v[12:13]
	v_fma_f64 v[166:167], v[4:5], v[12:13], -v[14:15]
	ds_load_b128 v[4:7], v2 offset:848
	s_wait_loadcnt_dscnt 0xb01
	v_mul_f64_e32 v[162:163], v[154:155], v[108:109]
	v_mul_f64_e32 v[108:109], v[156:157], v[108:109]
	scratch_load_b128 v[12:15], off, off offset:304
	v_add_f64_e32 v[158:159], v[158:159], v[160:161]
	v_add_f64_e32 v[168:169], v[148:149], v[146:147]
	ds_load_b128 v[146:149], v2 offset:864
	s_wait_loadcnt_dscnt 0xb01
	v_mul_f64_e32 v[160:161], v[4:5], v[112:113]
	v_mul_f64_e32 v[112:113], v[6:7], v[112:113]
	v_fmac_f64_e32 v[162:163], v[156:157], v[106:107]
	v_fma_f64 v[154:155], v[154:155], v[106:107], -v[108:109]
	scratch_load_b128 v[106:109], off, off offset:320
	v_add_f64_e32 v[158:159], v[158:159], v[164:165]
	v_add_f64_e32 v[156:157], v[168:169], v[166:167]
	v_fmac_f64_e32 v[160:161], v[6:7], v[110:111]
	v_fma_f64 v[166:167], v[4:5], v[110:111], -v[112:113]
	ds_load_b128 v[4:7], v2 offset:880
	s_wait_loadcnt_dscnt 0xb01
	v_mul_f64_e32 v[164:165], v[146:147], v[116:117]
	v_mul_f64_e32 v[116:117], v[148:149], v[116:117]
	scratch_load_b128 v[110:113], off, off offset:336
	v_add_f64_e32 v[158:159], v[158:159], v[162:163]
	s_wait_loadcnt_dscnt 0xb00
	v_mul_f64_e32 v[162:163], v[4:5], v[120:121]
	v_add_f64_e32 v[168:169], v[156:157], v[154:155]
	v_mul_f64_e32 v[120:121], v[6:7], v[120:121]
	ds_load_b128 v[154:157], v2 offset:896
	v_fmac_f64_e32 v[164:165], v[148:149], v[114:115]
	v_fma_f64 v[146:147], v[146:147], v[114:115], -v[116:117]
	scratch_load_b128 v[114:117], off, off offset:352
	v_add_f64_e32 v[158:159], v[158:159], v[160:161]
	v_fmac_f64_e32 v[162:163], v[6:7], v[118:119]
	v_add_f64_e32 v[148:149], v[168:169], v[166:167]
	v_fma_f64 v[166:167], v[4:5], v[118:119], -v[120:121]
	ds_load_b128 v[4:7], v2 offset:912
	s_wait_loadcnt_dscnt 0xb01
	v_mul_f64_e32 v[160:161], v[154:155], v[124:125]
	v_mul_f64_e32 v[124:125], v[156:157], v[124:125]
	scratch_load_b128 v[118:121], off, off offset:368
	v_add_f64_e32 v[158:159], v[158:159], v[164:165]
	s_wait_loadcnt_dscnt 0xb00
	v_mul_f64_e32 v[164:165], v[4:5], v[128:129]
	v_add_f64_e32 v[168:169], v[148:149], v[146:147]
	v_mul_f64_e32 v[128:129], v[6:7], v[128:129]
	ds_load_b128 v[146:149], v2 offset:928
	v_fmac_f64_e32 v[160:161], v[156:157], v[122:123]
	v_fma_f64 v[154:155], v[154:155], v[122:123], -v[124:125]
	scratch_load_b128 v[122:125], off, off offset:384
	v_add_f64_e32 v[158:159], v[158:159], v[162:163]
	v_fmac_f64_e32 v[164:165], v[6:7], v[126:127]
	v_add_f64_e32 v[156:157], v[168:169], v[166:167]
	;; [unrolled: 18-line block ×3, first 2 shown]
	v_fma_f64 v[166:167], v[4:5], v[138:139], -v[140:141]
	ds_load_b128 v[4:7], v2 offset:976
	s_wait_loadcnt_dscnt 0xa01
	v_mul_f64_e32 v[164:165], v[154:155], v[152:153]
	v_mul_f64_e32 v[152:153], v[156:157], v[152:153]
	scratch_load_b128 v[138:141], off, off offset:432
	v_add_f64_e32 v[158:159], v[158:159], v[162:163]
	v_add_f64_e32 v[168:169], v[148:149], v[146:147]
	s_wait_loadcnt_dscnt 0xa00
	v_mul_f64_e32 v[162:163], v[4:5], v[136:137]
	v_mul_f64_e32 v[136:137], v[6:7], v[136:137]
	v_fmac_f64_e32 v[164:165], v[156:157], v[150:151]
	v_fma_f64 v[154:155], v[154:155], v[150:151], -v[152:153]
	ds_load_b128 v[146:149], v2 offset:992
	scratch_load_b128 v[150:153], off, off offset:448
	v_add_f64_e32 v[158:159], v[158:159], v[160:161]
	v_add_f64_e32 v[156:157], v[168:169], v[166:167]
	v_fmac_f64_e32 v[162:163], v[6:7], v[134:135]
	v_fma_f64 v[166:167], v[4:5], v[134:135], -v[136:137]
	ds_load_b128 v[4:7], v2 offset:1008
	s_wait_loadcnt_dscnt 0xa01
	v_mul_f64_e32 v[160:161], v[146:147], v[10:11]
	v_mul_f64_e32 v[10:11], v[148:149], v[10:11]
	scratch_load_b128 v[134:137], off, off offset:464
	v_add_f64_e32 v[158:159], v[158:159], v[164:165]
	s_wait_loadcnt_dscnt 0xa00
	v_mul_f64_e32 v[164:165], v[4:5], v[14:15]
	v_add_f64_e32 v[168:169], v[156:157], v[154:155]
	v_mul_f64_e32 v[14:15], v[6:7], v[14:15]
	ds_load_b128 v[154:157], v2 offset:1024
	v_fmac_f64_e32 v[160:161], v[148:149], v[8:9]
	v_fma_f64 v[146:147], v[146:147], v[8:9], -v[10:11]
	scratch_load_b128 v[8:11], off, off offset:480
	v_add_f64_e32 v[158:159], v[158:159], v[162:163]
	v_fmac_f64_e32 v[164:165], v[6:7], v[12:13]
	v_add_f64_e32 v[148:149], v[168:169], v[166:167]
	v_fma_f64 v[166:167], v[4:5], v[12:13], -v[14:15]
	ds_load_b128 v[4:7], v2 offset:1040
	s_wait_loadcnt_dscnt 0xa01
	v_mul_f64_e32 v[162:163], v[154:155], v[108:109]
	v_mul_f64_e32 v[108:109], v[156:157], v[108:109]
	scratch_load_b128 v[12:15], off, off offset:496
	v_add_f64_e32 v[158:159], v[158:159], v[160:161]
	s_wait_loadcnt_dscnt 0xa00
	v_mul_f64_e32 v[160:161], v[4:5], v[112:113]
	v_add_f64_e32 v[168:169], v[148:149], v[146:147]
	v_mul_f64_e32 v[112:113], v[6:7], v[112:113]
	ds_load_b128 v[146:149], v2 offset:1056
	v_fmac_f64_e32 v[162:163], v[156:157], v[106:107]
	v_fma_f64 v[154:155], v[154:155], v[106:107], -v[108:109]
	scratch_load_b128 v[106:109], off, off offset:512
	v_add_f64_e32 v[158:159], v[158:159], v[164:165]
	v_fmac_f64_e32 v[160:161], v[6:7], v[110:111]
	v_add_f64_e32 v[156:157], v[168:169], v[166:167]
	v_fma_f64 v[166:167], v[4:5], v[110:111], -v[112:113]
	ds_load_b128 v[4:7], v2 offset:1072
	s_wait_loadcnt_dscnt 0xa01
	v_mul_f64_e32 v[164:165], v[146:147], v[116:117]
	v_mul_f64_e32 v[116:117], v[148:149], v[116:117]
	scratch_load_b128 v[110:113], off, off offset:528
	v_add_f64_e32 v[158:159], v[158:159], v[162:163]
	s_wait_loadcnt_dscnt 0xa00
	v_mul_f64_e32 v[162:163], v[4:5], v[120:121]
	v_add_f64_e32 v[168:169], v[156:157], v[154:155]
	v_mul_f64_e32 v[120:121], v[6:7], v[120:121]
	ds_load_b128 v[154:157], v2 offset:1088
	v_fmac_f64_e32 v[164:165], v[148:149], v[114:115]
	v_fma_f64 v[146:147], v[146:147], v[114:115], -v[116:117]
	scratch_load_b128 v[114:117], off, off offset:544
	v_add_f64_e32 v[158:159], v[158:159], v[160:161]
	v_fmac_f64_e32 v[162:163], v[6:7], v[118:119]
	v_add_f64_e32 v[148:149], v[168:169], v[166:167]
	v_fma_f64 v[166:167], v[4:5], v[118:119], -v[120:121]
	ds_load_b128 v[4:7], v2 offset:1104
	s_wait_loadcnt_dscnt 0xa01
	v_mul_f64_e32 v[160:161], v[154:155], v[124:125]
	v_mul_f64_e32 v[124:125], v[156:157], v[124:125]
	scratch_load_b128 v[118:121], off, off offset:560
	v_add_f64_e32 v[158:159], v[158:159], v[164:165]
	s_wait_loadcnt_dscnt 0xa00
	v_mul_f64_e32 v[164:165], v[4:5], v[128:129]
	v_add_f64_e32 v[168:169], v[148:149], v[146:147]
	v_mul_f64_e32 v[128:129], v[6:7], v[128:129]
	ds_load_b128 v[146:149], v2 offset:1120
	v_fmac_f64_e32 v[160:161], v[156:157], v[122:123]
	v_fma_f64 v[154:155], v[154:155], v[122:123], -v[124:125]
	scratch_load_b128 v[122:125], off, off offset:576
	v_add_f64_e32 v[158:159], v[158:159], v[162:163]
	v_fmac_f64_e32 v[164:165], v[6:7], v[126:127]
	v_add_f64_e32 v[156:157], v[168:169], v[166:167]
	v_fma_f64 v[166:167], v[4:5], v[126:127], -v[128:129]
	ds_load_b128 v[4:7], v2 offset:1136
	s_wait_loadcnt_dscnt 0xa01
	v_mul_f64_e32 v[162:163], v[146:147], v[132:133]
	v_mul_f64_e32 v[132:133], v[148:149], v[132:133]
	scratch_load_b128 v[126:129], off, off offset:592
	v_add_f64_e32 v[158:159], v[158:159], v[160:161]
	s_wait_loadcnt_dscnt 0xa00
	v_mul_f64_e32 v[160:161], v[4:5], v[140:141]
	v_add_f64_e32 v[168:169], v[156:157], v[154:155]
	v_mul_f64_e32 v[140:141], v[6:7], v[140:141]
	ds_load_b128 v[154:157], v2 offset:1152
	v_fmac_f64_e32 v[162:163], v[148:149], v[130:131]
	v_fma_f64 v[146:147], v[146:147], v[130:131], -v[132:133]
	scratch_load_b128 v[130:133], off, off offset:608
	v_add_f64_e32 v[158:159], v[158:159], v[164:165]
	v_fmac_f64_e32 v[160:161], v[6:7], v[138:139]
	v_add_f64_e32 v[148:149], v[168:169], v[166:167]
	v_fma_f64 v[166:167], v[4:5], v[138:139], -v[140:141]
	ds_load_b128 v[4:7], v2 offset:1168
	s_wait_loadcnt_dscnt 0xa01
	v_mul_f64_e32 v[164:165], v[154:155], v[152:153]
	v_mul_f64_e32 v[152:153], v[156:157], v[152:153]
	scratch_load_b128 v[138:141], off, off offset:624
	v_add_f64_e32 v[158:159], v[158:159], v[162:163]
	s_wait_loadcnt_dscnt 0xa00
	v_mul_f64_e32 v[162:163], v[4:5], v[136:137]
	v_add_f64_e32 v[168:169], v[148:149], v[146:147]
	v_mul_f64_e32 v[136:137], v[6:7], v[136:137]
	ds_load_b128 v[146:149], v2 offset:1184
	v_fmac_f64_e32 v[164:165], v[156:157], v[150:151]
	v_fma_f64 v[154:155], v[154:155], v[150:151], -v[152:153]
	scratch_load_b128 v[150:153], off, off offset:640
	v_add_f64_e32 v[158:159], v[158:159], v[160:161]
	v_fmac_f64_e32 v[162:163], v[6:7], v[134:135]
	v_add_f64_e32 v[156:157], v[168:169], v[166:167]
	v_fma_f64 v[166:167], v[4:5], v[134:135], -v[136:137]
	ds_load_b128 v[4:7], v2 offset:1200
	s_wait_loadcnt_dscnt 0xa01
	v_mul_f64_e32 v[160:161], v[146:147], v[10:11]
	v_mul_f64_e32 v[10:11], v[148:149], v[10:11]
	scratch_load_b128 v[134:137], off, off offset:656
	v_add_f64_e32 v[158:159], v[158:159], v[164:165]
	s_wait_loadcnt_dscnt 0xa00
	v_mul_f64_e32 v[164:165], v[4:5], v[14:15]
	v_add_f64_e32 v[168:169], v[156:157], v[154:155]
	v_mul_f64_e32 v[14:15], v[6:7], v[14:15]
	ds_load_b128 v[154:157], v2 offset:1216
	v_fmac_f64_e32 v[160:161], v[148:149], v[8:9]
	v_fma_f64 v[146:147], v[146:147], v[8:9], -v[10:11]
	scratch_load_b128 v[8:11], off, off offset:672
	v_add_f64_e32 v[158:159], v[158:159], v[162:163]
	v_fmac_f64_e32 v[164:165], v[6:7], v[12:13]
	v_add_f64_e32 v[148:149], v[168:169], v[166:167]
	v_fma_f64 v[166:167], v[4:5], v[12:13], -v[14:15]
	ds_load_b128 v[4:7], v2 offset:1232
	s_wait_loadcnt_dscnt 0xa01
	v_mul_f64_e32 v[162:163], v[154:155], v[108:109]
	v_mul_f64_e32 v[108:109], v[156:157], v[108:109]
	scratch_load_b128 v[12:15], off, off offset:688
	v_add_f64_e32 v[158:159], v[158:159], v[160:161]
	s_wait_loadcnt_dscnt 0xa00
	v_mul_f64_e32 v[160:161], v[4:5], v[112:113]
	v_add_f64_e32 v[168:169], v[148:149], v[146:147]
	v_mul_f64_e32 v[112:113], v[6:7], v[112:113]
	ds_load_b128 v[146:149], v2 offset:1248
	v_fmac_f64_e32 v[162:163], v[156:157], v[106:107]
	v_fma_f64 v[106:107], v[154:155], v[106:107], -v[108:109]
	s_wait_loadcnt_dscnt 0x900
	v_mul_f64_e32 v[156:157], v[146:147], v[116:117]
	v_mul_f64_e32 v[116:117], v[148:149], v[116:117]
	v_add_f64_e32 v[154:155], v[158:159], v[164:165]
	v_fmac_f64_e32 v[160:161], v[6:7], v[110:111]
	v_add_f64_e32 v[108:109], v[168:169], v[166:167]
	v_fma_f64 v[110:111], v[4:5], v[110:111], -v[112:113]
	v_fmac_f64_e32 v[156:157], v[148:149], v[114:115]
	v_fma_f64 v[114:115], v[146:147], v[114:115], -v[116:117]
	v_add_f64_e32 v[154:155], v[154:155], v[162:163]
	v_add_f64_e32 v[112:113], v[108:109], v[106:107]
	ds_load_b128 v[4:7], v2 offset:1264
	ds_load_b128 v[106:109], v2 offset:1280
	s_wait_loadcnt_dscnt 0x801
	v_mul_f64_e32 v[158:159], v[4:5], v[120:121]
	v_mul_f64_e32 v[120:121], v[6:7], v[120:121]
	s_wait_loadcnt_dscnt 0x700
	v_mul_f64_e32 v[116:117], v[106:107], v[124:125]
	v_mul_f64_e32 v[124:125], v[108:109], v[124:125]
	v_add_f64_e32 v[110:111], v[112:113], v[110:111]
	v_add_f64_e32 v[112:113], v[154:155], v[160:161]
	v_fmac_f64_e32 v[158:159], v[6:7], v[118:119]
	v_fma_f64 v[118:119], v[4:5], v[118:119], -v[120:121]
	v_fmac_f64_e32 v[116:117], v[108:109], v[122:123]
	v_fma_f64 v[106:107], v[106:107], v[122:123], -v[124:125]
	v_add_f64_e32 v[114:115], v[110:111], v[114:115]
	v_add_f64_e32 v[120:121], v[112:113], v[156:157]
	ds_load_b128 v[4:7], v2 offset:1296
	ds_load_b128 v[110:113], v2 offset:1312
	s_wait_loadcnt_dscnt 0x601
	v_mul_f64_e32 v[146:147], v[4:5], v[128:129]
	v_mul_f64_e32 v[128:129], v[6:7], v[128:129]
	v_add_f64_e32 v[108:109], v[114:115], v[118:119]
	v_add_f64_e32 v[114:115], v[120:121], v[158:159]
	s_wait_loadcnt_dscnt 0x500
	v_mul_f64_e32 v[118:119], v[110:111], v[132:133]
	v_mul_f64_e32 v[120:121], v[112:113], v[132:133]
	v_fmac_f64_e32 v[146:147], v[6:7], v[126:127]
	v_fma_f64 v[122:123], v[4:5], v[126:127], -v[128:129]
	v_add_f64_e32 v[124:125], v[108:109], v[106:107]
	v_add_f64_e32 v[114:115], v[114:115], v[116:117]
	ds_load_b128 v[4:7], v2 offset:1328
	ds_load_b128 v[106:109], v2 offset:1344
	v_fmac_f64_e32 v[118:119], v[112:113], v[130:131]
	v_fma_f64 v[110:111], v[110:111], v[130:131], -v[120:121]
	s_wait_loadcnt_dscnt 0x401
	v_mul_f64_e32 v[116:117], v[4:5], v[140:141]
	v_mul_f64_e32 v[126:127], v[6:7], v[140:141]
	s_wait_loadcnt_dscnt 0x300
	v_mul_f64_e32 v[120:121], v[106:107], v[152:153]
	v_add_f64_e32 v[112:113], v[124:125], v[122:123]
	v_add_f64_e32 v[114:115], v[114:115], v[146:147]
	v_mul_f64_e32 v[122:123], v[108:109], v[152:153]
	v_fmac_f64_e32 v[116:117], v[6:7], v[138:139]
	v_fma_f64 v[124:125], v[4:5], v[138:139], -v[126:127]
	v_fmac_f64_e32 v[120:121], v[108:109], v[150:151]
	v_add_f64_e32 v[126:127], v[112:113], v[110:111]
	v_add_f64_e32 v[114:115], v[114:115], v[118:119]
	ds_load_b128 v[4:7], v2 offset:1360
	ds_load_b128 v[110:113], v2 offset:1376
	v_fma_f64 v[106:107], v[106:107], v[150:151], -v[122:123]
	s_wait_loadcnt_dscnt 0x201
	v_mul_f64_e32 v[118:119], v[4:5], v[136:137]
	v_mul_f64_e32 v[128:129], v[6:7], v[136:137]
	v_add_f64_e32 v[108:109], v[126:127], v[124:125]
	v_add_f64_e32 v[114:115], v[114:115], v[116:117]
	s_wait_loadcnt_dscnt 0x100
	v_mul_f64_e32 v[116:117], v[110:111], v[10:11]
	v_mul_f64_e32 v[10:11], v[112:113], v[10:11]
	v_fmac_f64_e32 v[118:119], v[6:7], v[134:135]
	v_fma_f64 v[122:123], v[4:5], v[134:135], -v[128:129]
	ds_load_b128 v[4:7], v2 offset:1392
	v_add_f64_e32 v[106:107], v[108:109], v[106:107]
	v_add_f64_e32 v[108:109], v[114:115], v[120:121]
	v_fmac_f64_e32 v[116:117], v[112:113], v[8:9]
	v_fma_f64 v[8:9], v[110:111], v[8:9], -v[10:11]
	s_wait_loadcnt_dscnt 0x0
	v_mul_f64_e32 v[114:115], v[4:5], v[14:15]
	v_mul_f64_e32 v[14:15], v[6:7], v[14:15]
	v_add_f64_e32 v[10:11], v[106:107], v[122:123]
	v_add_f64_e32 v[106:107], v[108:109], v[118:119]
	s_delay_alu instid0(VALU_DEP_4) | instskip(NEXT) | instid1(VALU_DEP_4)
	v_fmac_f64_e32 v[114:115], v[6:7], v[12:13]
	v_fma_f64 v[4:5], v[4:5], v[12:13], -v[14:15]
	s_delay_alu instid0(VALU_DEP_4) | instskip(NEXT) | instid1(VALU_DEP_4)
	v_add_f64_e32 v[6:7], v[10:11], v[8:9]
	v_add_f64_e32 v[8:9], v[106:107], v[116:117]
	s_delay_alu instid0(VALU_DEP_2) | instskip(NEXT) | instid1(VALU_DEP_2)
	v_add_f64_e32 v[4:5], v[6:7], v[4:5]
	v_add_f64_e32 v[6:7], v[8:9], v[114:115]
	s_delay_alu instid0(VALU_DEP_2) | instskip(NEXT) | instid1(VALU_DEP_2)
	v_add_f64_e64 v[4:5], v[142:143], -v[4:5]
	v_add_f64_e64 v[6:7], v[144:145], -v[6:7]
	scratch_store_b128 off, v[4:7], off offset:64
	s_wait_xcnt 0x0
	v_cmpx_lt_u32_e32 3, v1
	s_cbranch_execz .LBB107_271
; %bb.270:
	scratch_load_b128 v[6:9], off, s14
	v_dual_mov_b32 v3, v2 :: v_dual_mov_b32 v4, v2
	v_mov_b32_e32 v5, v2
	scratch_store_b128 off, v[2:5], off offset:48
	s_wait_loadcnt 0x0
	ds_store_b128 v104, v[6:9]
.LBB107_271:
	s_wait_xcnt 0x0
	s_or_b32 exec_lo, exec_lo, s2
	s_wait_storecnt_dscnt 0x0
	s_barrier_signal -1
	s_barrier_wait -1
	s_clause 0x9
	scratch_load_b128 v[4:7], off, off offset:64
	scratch_load_b128 v[8:11], off, off offset:80
	;; [unrolled: 1-line block ×10, first 2 shown]
	ds_load_b128 v[134:137], v2 offset:768
	ds_load_b128 v[142:145], v2 offset:784
	s_clause 0x2
	scratch_load_b128 v[138:141], off, off offset:224
	scratch_load_b128 v[146:149], off, off offset:48
	scratch_load_b128 v[150:153], off, off offset:240
	s_mov_b32 s2, exec_lo
	s_wait_loadcnt_dscnt 0xc01
	v_mul_f64_e32 v[154:155], v[136:137], v[6:7]
	v_mul_f64_e32 v[158:159], v[134:135], v[6:7]
	s_wait_loadcnt_dscnt 0xb00
	v_mul_f64_e32 v[160:161], v[142:143], v[10:11]
	v_mul_f64_e32 v[10:11], v[144:145], v[10:11]
	s_delay_alu instid0(VALU_DEP_4) | instskip(NEXT) | instid1(VALU_DEP_4)
	v_fma_f64 v[162:163], v[134:135], v[4:5], -v[154:155]
	v_fmac_f64_e32 v[158:159], v[136:137], v[4:5]
	ds_load_b128 v[4:7], v2 offset:800
	ds_load_b128 v[134:137], v2 offset:816
	scratch_load_b128 v[154:157], off, off offset:256
	v_fmac_f64_e32 v[160:161], v[144:145], v[8:9]
	v_fma_f64 v[142:143], v[142:143], v[8:9], -v[10:11]
	scratch_load_b128 v[8:11], off, off offset:272
	s_wait_loadcnt_dscnt 0xc01
	v_mul_f64_e32 v[164:165], v[4:5], v[14:15]
	v_mul_f64_e32 v[14:15], v[6:7], v[14:15]
	v_add_f64_e32 v[144:145], 0, v[162:163]
	v_add_f64_e32 v[158:159], 0, v[158:159]
	s_wait_loadcnt_dscnt 0xb00
	v_mul_f64_e32 v[162:163], v[134:135], v[108:109]
	v_mul_f64_e32 v[108:109], v[136:137], v[108:109]
	v_fmac_f64_e32 v[164:165], v[6:7], v[12:13]
	v_fma_f64 v[166:167], v[4:5], v[12:13], -v[14:15]
	ds_load_b128 v[4:7], v2 offset:832
	ds_load_b128 v[12:15], v2 offset:848
	v_add_f64_e32 v[168:169], v[144:145], v[142:143]
	v_add_f64_e32 v[158:159], v[158:159], v[160:161]
	scratch_load_b128 v[142:145], off, off offset:288
	v_fmac_f64_e32 v[162:163], v[136:137], v[106:107]
	v_fma_f64 v[134:135], v[134:135], v[106:107], -v[108:109]
	scratch_load_b128 v[106:109], off, off offset:304
	s_wait_loadcnt_dscnt 0xc01
	v_mul_f64_e32 v[160:161], v[4:5], v[112:113]
	v_mul_f64_e32 v[112:113], v[6:7], v[112:113]
	v_add_f64_e32 v[136:137], v[168:169], v[166:167]
	v_add_f64_e32 v[158:159], v[158:159], v[164:165]
	s_wait_loadcnt_dscnt 0xb00
	v_mul_f64_e32 v[164:165], v[12:13], v[116:117]
	v_mul_f64_e32 v[116:117], v[14:15], v[116:117]
	v_fmac_f64_e32 v[160:161], v[6:7], v[110:111]
	v_fma_f64 v[166:167], v[4:5], v[110:111], -v[112:113]
	ds_load_b128 v[4:7], v2 offset:864
	ds_load_b128 v[110:113], v2 offset:880
	v_add_f64_e32 v[168:169], v[136:137], v[134:135]
	v_add_f64_e32 v[158:159], v[158:159], v[162:163]
	scratch_load_b128 v[134:137], off, off offset:320
	s_wait_loadcnt_dscnt 0xb01
	v_mul_f64_e32 v[162:163], v[4:5], v[120:121]
	v_mul_f64_e32 v[120:121], v[6:7], v[120:121]
	v_fmac_f64_e32 v[164:165], v[14:15], v[114:115]
	v_fma_f64 v[114:115], v[12:13], v[114:115], -v[116:117]
	scratch_load_b128 v[12:15], off, off offset:336
	v_add_f64_e32 v[116:117], v[168:169], v[166:167]
	v_add_f64_e32 v[158:159], v[158:159], v[160:161]
	s_wait_loadcnt_dscnt 0xb00
	v_mul_f64_e32 v[160:161], v[110:111], v[124:125]
	v_mul_f64_e32 v[124:125], v[112:113], v[124:125]
	v_fmac_f64_e32 v[162:163], v[6:7], v[118:119]
	v_fma_f64 v[166:167], v[4:5], v[118:119], -v[120:121]
	v_add_f64_e32 v[168:169], v[116:117], v[114:115]
	v_add_f64_e32 v[158:159], v[158:159], v[164:165]
	ds_load_b128 v[4:7], v2 offset:896
	ds_load_b128 v[114:117], v2 offset:912
	scratch_load_b128 v[118:121], off, off offset:352
	v_fmac_f64_e32 v[160:161], v[112:113], v[122:123]
	v_fma_f64 v[122:123], v[110:111], v[122:123], -v[124:125]
	scratch_load_b128 v[110:113], off, off offset:368
	s_wait_loadcnt_dscnt 0xc01
	v_mul_f64_e32 v[164:165], v[4:5], v[128:129]
	v_mul_f64_e32 v[128:129], v[6:7], v[128:129]
	v_add_f64_e32 v[124:125], v[168:169], v[166:167]
	v_add_f64_e32 v[158:159], v[158:159], v[162:163]
	s_wait_loadcnt_dscnt 0xb00
	v_mul_f64_e32 v[162:163], v[114:115], v[132:133]
	v_mul_f64_e32 v[132:133], v[116:117], v[132:133]
	v_fmac_f64_e32 v[164:165], v[6:7], v[126:127]
	v_fma_f64 v[166:167], v[4:5], v[126:127], -v[128:129]
	v_add_f64_e32 v[168:169], v[124:125], v[122:123]
	v_add_f64_e32 v[158:159], v[158:159], v[160:161]
	ds_load_b128 v[4:7], v2 offset:928
	ds_load_b128 v[122:125], v2 offset:944
	scratch_load_b128 v[126:129], off, off offset:384
	v_fmac_f64_e32 v[162:163], v[116:117], v[130:131]
	v_fma_f64 v[130:131], v[114:115], v[130:131], -v[132:133]
	scratch_load_b128 v[114:117], off, off offset:400
	s_wait_loadcnt_dscnt 0xc01
	v_mul_f64_e32 v[160:161], v[4:5], v[140:141]
	v_mul_f64_e32 v[140:141], v[6:7], v[140:141]
	;; [unrolled: 18-line block ×5, first 2 shown]
	v_add_f64_e32 v[152:153], v[168:169], v[166:167]
	v_add_f64_e32 v[158:159], v[158:159], v[164:165]
	s_wait_loadcnt_dscnt 0xa00
	v_mul_f64_e32 v[164:165], v[130:131], v[14:15]
	v_mul_f64_e32 v[14:15], v[132:133], v[14:15]
	v_fmac_f64_e32 v[160:161], v[6:7], v[134:135]
	v_fma_f64 v[166:167], v[4:5], v[134:135], -v[136:137]
	ds_load_b128 v[4:7], v2 offset:1056
	ds_load_b128 v[134:137], v2 offset:1072
	v_add_f64_e32 v[168:169], v[152:153], v[150:151]
	v_add_f64_e32 v[158:159], v[158:159], v[162:163]
	scratch_load_b128 v[150:153], off, off offset:512
	v_fmac_f64_e32 v[164:165], v[132:133], v[12:13]
	v_fma_f64 v[130:131], v[130:131], v[12:13], -v[14:15]
	scratch_load_b128 v[12:15], off, off offset:528
	s_wait_loadcnt_dscnt 0xb01
	v_mul_f64_e32 v[162:163], v[4:5], v[120:121]
	v_mul_f64_e32 v[120:121], v[6:7], v[120:121]
	v_add_f64_e32 v[132:133], v[168:169], v[166:167]
	v_add_f64_e32 v[158:159], v[158:159], v[160:161]
	s_wait_loadcnt_dscnt 0xa00
	v_mul_f64_e32 v[160:161], v[134:135], v[112:113]
	v_mul_f64_e32 v[112:113], v[136:137], v[112:113]
	v_fmac_f64_e32 v[162:163], v[6:7], v[118:119]
	v_fma_f64 v[166:167], v[4:5], v[118:119], -v[120:121]
	ds_load_b128 v[4:7], v2 offset:1088
	ds_load_b128 v[118:121], v2 offset:1104
	v_add_f64_e32 v[168:169], v[132:133], v[130:131]
	v_add_f64_e32 v[158:159], v[158:159], v[164:165]
	scratch_load_b128 v[130:133], off, off offset:544
	s_wait_loadcnt_dscnt 0xa01
	v_mul_f64_e32 v[164:165], v[4:5], v[128:129]
	v_mul_f64_e32 v[128:129], v[6:7], v[128:129]
	v_fmac_f64_e32 v[160:161], v[136:137], v[110:111]
	v_fma_f64 v[134:135], v[134:135], v[110:111], -v[112:113]
	scratch_load_b128 v[110:113], off, off offset:560
	v_add_f64_e32 v[136:137], v[168:169], v[166:167]
	v_add_f64_e32 v[158:159], v[158:159], v[162:163]
	s_wait_loadcnt_dscnt 0xa00
	v_mul_f64_e32 v[162:163], v[118:119], v[116:117]
	v_mul_f64_e32 v[116:117], v[120:121], v[116:117]
	v_fmac_f64_e32 v[164:165], v[6:7], v[126:127]
	v_fma_f64 v[166:167], v[4:5], v[126:127], -v[128:129]
	ds_load_b128 v[4:7], v2 offset:1120
	ds_load_b128 v[126:129], v2 offset:1136
	v_add_f64_e32 v[168:169], v[136:137], v[134:135]
	v_add_f64_e32 v[158:159], v[158:159], v[160:161]
	scratch_load_b128 v[134:137], off, off offset:576
	s_wait_loadcnt_dscnt 0xa01
	v_mul_f64_e32 v[160:161], v[4:5], v[140:141]
	v_mul_f64_e32 v[140:141], v[6:7], v[140:141]
	v_fmac_f64_e32 v[162:163], v[120:121], v[114:115]
	v_fma_f64 v[118:119], v[118:119], v[114:115], -v[116:117]
	scratch_load_b128 v[114:117], off, off offset:592
	v_add_f64_e32 v[120:121], v[168:169], v[166:167]
	v_add_f64_e32 v[158:159], v[158:159], v[164:165]
	s_wait_loadcnt_dscnt 0xa00
	v_mul_f64_e32 v[164:165], v[126:127], v[124:125]
	v_mul_f64_e32 v[124:125], v[128:129], v[124:125]
	v_fmac_f64_e32 v[160:161], v[6:7], v[138:139]
	v_fma_f64 v[166:167], v[4:5], v[138:139], -v[140:141]
	v_add_f64_e32 v[168:169], v[120:121], v[118:119]
	v_add_f64_e32 v[158:159], v[158:159], v[162:163]
	ds_load_b128 v[4:7], v2 offset:1152
	ds_load_b128 v[118:121], v2 offset:1168
	scratch_load_b128 v[138:141], off, off offset:608
	v_fmac_f64_e32 v[164:165], v[128:129], v[122:123]
	v_fma_f64 v[126:127], v[126:127], v[122:123], -v[124:125]
	scratch_load_b128 v[122:125], off, off offset:624
	s_wait_loadcnt_dscnt 0xb01
	v_mul_f64_e32 v[162:163], v[4:5], v[156:157]
	v_mul_f64_e32 v[156:157], v[6:7], v[156:157]
	v_add_f64_e32 v[128:129], v[168:169], v[166:167]
	v_add_f64_e32 v[158:159], v[158:159], v[160:161]
	s_wait_loadcnt_dscnt 0xa00
	v_mul_f64_e32 v[160:161], v[118:119], v[10:11]
	v_mul_f64_e32 v[10:11], v[120:121], v[10:11]
	v_fmac_f64_e32 v[162:163], v[6:7], v[154:155]
	v_fma_f64 v[166:167], v[4:5], v[154:155], -v[156:157]
	v_add_f64_e32 v[168:169], v[128:129], v[126:127]
	v_add_f64_e32 v[158:159], v[158:159], v[164:165]
	ds_load_b128 v[4:7], v2 offset:1184
	ds_load_b128 v[126:129], v2 offset:1200
	scratch_load_b128 v[154:157], off, off offset:640
	v_fmac_f64_e32 v[160:161], v[120:121], v[8:9]
	v_fma_f64 v[118:119], v[118:119], v[8:9], -v[10:11]
	scratch_load_b128 v[8:11], off, off offset:656
	s_wait_loadcnt_dscnt 0xb01
	v_mul_f64_e32 v[164:165], v[4:5], v[144:145]
	v_mul_f64_e32 v[144:145], v[6:7], v[144:145]
	;; [unrolled: 18-line block ×3, first 2 shown]
	v_add_f64_e32 v[128:129], v[168:169], v[166:167]
	v_add_f64_e32 v[158:159], v[158:159], v[164:165]
	s_wait_loadcnt_dscnt 0xa00
	v_mul_f64_e32 v[164:165], v[118:119], v[14:15]
	v_mul_f64_e32 v[14:15], v[120:121], v[14:15]
	v_fmac_f64_e32 v[160:161], v[6:7], v[150:151]
	v_fma_f64 v[150:151], v[4:5], v[150:151], -v[152:153]
	v_add_f64_e32 v[152:153], v[128:129], v[126:127]
	v_add_f64_e32 v[158:159], v[158:159], v[162:163]
	ds_load_b128 v[4:7], v2 offset:1248
	ds_load_b128 v[126:129], v2 offset:1264
	v_fmac_f64_e32 v[164:165], v[120:121], v[12:13]
	v_fma_f64 v[12:13], v[118:119], v[12:13], -v[14:15]
	s_wait_loadcnt_dscnt 0x901
	v_mul_f64_e32 v[162:163], v[4:5], v[132:133]
	v_mul_f64_e32 v[132:133], v[6:7], v[132:133]
	s_wait_loadcnt_dscnt 0x800
	v_mul_f64_e32 v[120:121], v[126:127], v[112:113]
	v_mul_f64_e32 v[112:113], v[128:129], v[112:113]
	v_add_f64_e32 v[14:15], v[152:153], v[150:151]
	v_add_f64_e32 v[118:119], v[158:159], v[160:161]
	v_fmac_f64_e32 v[162:163], v[6:7], v[130:131]
	v_fma_f64 v[130:131], v[4:5], v[130:131], -v[132:133]
	v_fmac_f64_e32 v[120:121], v[128:129], v[110:111]
	v_fma_f64 v[110:111], v[126:127], v[110:111], -v[112:113]
	v_add_f64_e32 v[132:133], v[14:15], v[12:13]
	v_add_f64_e32 v[118:119], v[118:119], v[164:165]
	ds_load_b128 v[4:7], v2 offset:1280
	ds_load_b128 v[12:15], v2 offset:1296
	s_wait_loadcnt_dscnt 0x701
	v_mul_f64_e32 v[150:151], v[4:5], v[136:137]
	v_mul_f64_e32 v[136:137], v[6:7], v[136:137]
	s_wait_loadcnt_dscnt 0x600
	v_mul_f64_e32 v[126:127], v[12:13], v[116:117]
	v_mul_f64_e32 v[116:117], v[14:15], v[116:117]
	v_add_f64_e32 v[112:113], v[132:133], v[130:131]
	v_add_f64_e32 v[118:119], v[118:119], v[162:163]
	v_fmac_f64_e32 v[150:151], v[6:7], v[134:135]
	v_fma_f64 v[128:129], v[4:5], v[134:135], -v[136:137]
	v_fmac_f64_e32 v[126:127], v[14:15], v[114:115]
	v_fma_f64 v[12:13], v[12:13], v[114:115], -v[116:117]
	v_add_f64_e32 v[130:131], v[112:113], v[110:111]
	v_add_f64_e32 v[118:119], v[118:119], v[120:121]
	ds_load_b128 v[4:7], v2 offset:1312
	ds_load_b128 v[110:113], v2 offset:1328
	s_wait_loadcnt_dscnt 0x501
	v_mul_f64_e32 v[120:121], v[4:5], v[140:141]
	v_mul_f64_e32 v[132:133], v[6:7], v[140:141]
	s_wait_loadcnt_dscnt 0x400
	v_mul_f64_e32 v[116:117], v[110:111], v[124:125]
	v_add_f64_e32 v[14:15], v[130:131], v[128:129]
	v_add_f64_e32 v[114:115], v[118:119], v[150:151]
	v_mul_f64_e32 v[118:119], v[112:113], v[124:125]
	v_fmac_f64_e32 v[120:121], v[6:7], v[138:139]
	v_fma_f64 v[124:125], v[4:5], v[138:139], -v[132:133]
	v_fmac_f64_e32 v[116:117], v[112:113], v[122:123]
	v_add_f64_e32 v[128:129], v[14:15], v[12:13]
	v_add_f64_e32 v[114:115], v[114:115], v[126:127]
	ds_load_b128 v[4:7], v2 offset:1344
	ds_load_b128 v[12:15], v2 offset:1360
	v_fma_f64 v[110:111], v[110:111], v[122:123], -v[118:119]
	s_wait_loadcnt_dscnt 0x301
	v_mul_f64_e32 v[126:127], v[4:5], v[156:157]
	v_mul_f64_e32 v[130:131], v[6:7], v[156:157]
	s_wait_loadcnt_dscnt 0x200
	v_mul_f64_e32 v[118:119], v[12:13], v[10:11]
	v_mul_f64_e32 v[10:11], v[14:15], v[10:11]
	v_add_f64_e32 v[112:113], v[128:129], v[124:125]
	v_add_f64_e32 v[114:115], v[114:115], v[120:121]
	v_fmac_f64_e32 v[126:127], v[6:7], v[154:155]
	v_fma_f64 v[120:121], v[4:5], v[154:155], -v[130:131]
	v_fmac_f64_e32 v[118:119], v[14:15], v[8:9]
	v_fma_f64 v[8:9], v[12:13], v[8:9], -v[10:11]
	v_add_f64_e32 v[122:123], v[112:113], v[110:111]
	v_add_f64_e32 v[114:115], v[114:115], v[116:117]
	ds_load_b128 v[4:7], v2 offset:1376
	ds_load_b128 v[110:113], v2 offset:1392
	s_wait_loadcnt_dscnt 0x101
	v_mul_f64_e32 v[2:3], v[4:5], v[144:145]
	v_mul_f64_e32 v[116:117], v[6:7], v[144:145]
	s_wait_loadcnt_dscnt 0x0
	v_mul_f64_e32 v[14:15], v[110:111], v[108:109]
	v_mul_f64_e32 v[108:109], v[112:113], v[108:109]
	v_add_f64_e32 v[10:11], v[122:123], v[120:121]
	v_add_f64_e32 v[12:13], v[114:115], v[126:127]
	v_fmac_f64_e32 v[2:3], v[6:7], v[142:143]
	v_fma_f64 v[4:5], v[4:5], v[142:143], -v[116:117]
	v_fmac_f64_e32 v[14:15], v[112:113], v[106:107]
	v_add_f64_e32 v[6:7], v[10:11], v[8:9]
	v_add_f64_e32 v[8:9], v[12:13], v[118:119]
	v_fma_f64 v[10:11], v[110:111], v[106:107], -v[108:109]
	s_delay_alu instid0(VALU_DEP_3) | instskip(NEXT) | instid1(VALU_DEP_3)
	v_add_f64_e32 v[4:5], v[6:7], v[4:5]
	v_add_f64_e32 v[2:3], v[8:9], v[2:3]
	s_delay_alu instid0(VALU_DEP_2) | instskip(NEXT) | instid1(VALU_DEP_2)
	v_add_f64_e32 v[4:5], v[4:5], v[10:11]
	v_add_f64_e32 v[6:7], v[2:3], v[14:15]
	s_delay_alu instid0(VALU_DEP_2) | instskip(NEXT) | instid1(VALU_DEP_2)
	v_add_f64_e64 v[2:3], v[146:147], -v[4:5]
	v_add_f64_e64 v[4:5], v[148:149], -v[6:7]
	scratch_store_b128 off, v[2:5], off offset:48
	s_wait_xcnt 0x0
	v_cmpx_lt_u32_e32 2, v1
	s_cbranch_execz .LBB107_273
; %bb.272:
	scratch_load_b128 v[2:5], off, s16
	v_mov_b32_e32 v6, 0
	s_delay_alu instid0(VALU_DEP_1)
	v_dual_mov_b32 v7, v6 :: v_dual_mov_b32 v8, v6
	v_mov_b32_e32 v9, v6
	scratch_store_b128 off, v[6:9], off offset:32
	s_wait_loadcnt 0x0
	ds_store_b128 v104, v[2:5]
.LBB107_273:
	s_wait_xcnt 0x0
	s_or_b32 exec_lo, exec_lo, s2
	s_wait_storecnt_dscnt 0x0
	s_barrier_signal -1
	s_barrier_wait -1
	s_clause 0x9
	scratch_load_b128 v[4:7], off, off offset:48
	scratch_load_b128 v[8:11], off, off offset:64
	;; [unrolled: 1-line block ×10, first 2 shown]
	v_mov_b32_e32 v2, 0
	s_mov_b32 s2, exec_lo
	v_dual_ashrrev_i32 v21, 31, v20 :: v_dual_ashrrev_i32 v23, 31, v22
	v_ashrrev_i32_e32 v25, 31, v24
	ds_load_b128 v[134:137], v2 offset:752
	s_clause 0x2
	scratch_load_b128 v[138:141], off, off offset:208
	scratch_load_b128 v[142:145], off, off offset:32
	;; [unrolled: 1-line block ×3, first 2 shown]
	v_ashrrev_i32_e32 v29, 31, v28
	v_ashrrev_i32_e32 v33, 31, v32
	v_dual_ashrrev_i32 v37, 31, v36 :: v_dual_ashrrev_i32 v27, 31, v26
	v_ashrrev_i32_e32 v41, 31, v40
	v_dual_ashrrev_i32 v45, 31, v44 :: v_dual_ashrrev_i32 v31, 31, v30
	v_ashrrev_i32_e32 v35, 31, v34
	v_ashrrev_i32_e32 v39, 31, v38
	v_dual_ashrrev_i32 v43, 31, v42 :: v_dual_ashrrev_i32 v49, 31, v48
	v_ashrrev_i32_e32 v47, 31, v46
	v_dual_ashrrev_i32 v51, 31, v50 :: v_dual_ashrrev_i32 v53, 31, v52
	v_dual_ashrrev_i32 v55, 31, v54 :: v_dual_ashrrev_i32 v57, 31, v56
	;; [unrolled: 1-line block ×10, first 2 shown]
	v_ashrrev_i32_e32 v91, 31, v90
	v_dual_ashrrev_i32 v95, 31, v94 :: v_dual_ashrrev_i32 v93, 31, v92
	v_dual_ashrrev_i32 v97, 31, v96 :: v_dual_ashrrev_i32 v99, 31, v98
	;; [unrolled: 1-line block ×3, first 2 shown]
	s_wait_loadcnt_dscnt 0xc00
	v_mul_f64_e32 v[154:155], v[136:137], v[6:7]
	v_mul_f64_e32 v[158:159], v[134:135], v[6:7]
	ds_load_b128 v[146:149], v2 offset:768
	v_fma_f64 v[162:163], v[134:135], v[4:5], -v[154:155]
	v_fmac_f64_e32 v[158:159], v[136:137], v[4:5]
	ds_load_b128 v[4:7], v2 offset:784
	s_wait_loadcnt_dscnt 0xb01
	v_mul_f64_e32 v[160:161], v[146:147], v[10:11]
	v_mul_f64_e32 v[10:11], v[148:149], v[10:11]
	scratch_load_b128 v[134:137], off, off offset:240
	ds_load_b128 v[154:157], v2 offset:800
	s_wait_loadcnt_dscnt 0xb01
	v_mul_f64_e32 v[164:165], v[4:5], v[14:15]
	v_mul_f64_e32 v[14:15], v[6:7], v[14:15]
	v_add_f64_e32 v[158:159], 0, v[158:159]
	v_fmac_f64_e32 v[160:161], v[148:149], v[8:9]
	v_fma_f64 v[146:147], v[146:147], v[8:9], -v[10:11]
	v_add_f64_e32 v[148:149], 0, v[162:163]
	scratch_load_b128 v[8:11], off, off offset:256
	v_fmac_f64_e32 v[164:165], v[6:7], v[12:13]
	v_fma_f64 v[166:167], v[4:5], v[12:13], -v[14:15]
	ds_load_b128 v[4:7], v2 offset:816
	s_wait_loadcnt_dscnt 0xb01
	v_mul_f64_e32 v[162:163], v[154:155], v[108:109]
	v_mul_f64_e32 v[108:109], v[156:157], v[108:109]
	scratch_load_b128 v[12:15], off, off offset:272
	v_add_f64_e32 v[158:159], v[158:159], v[160:161]
	v_add_f64_e32 v[168:169], v[148:149], v[146:147]
	ds_load_b128 v[146:149], v2 offset:832
	s_wait_loadcnt_dscnt 0xb01
	v_mul_f64_e32 v[160:161], v[4:5], v[112:113]
	v_mul_f64_e32 v[112:113], v[6:7], v[112:113]
	v_fmac_f64_e32 v[162:163], v[156:157], v[106:107]
	v_fma_f64 v[154:155], v[154:155], v[106:107], -v[108:109]
	scratch_load_b128 v[106:109], off, off offset:288
	v_add_f64_e32 v[158:159], v[158:159], v[164:165]
	v_add_f64_e32 v[156:157], v[168:169], v[166:167]
	v_fmac_f64_e32 v[160:161], v[6:7], v[110:111]
	v_fma_f64 v[166:167], v[4:5], v[110:111], -v[112:113]
	ds_load_b128 v[4:7], v2 offset:848
	s_wait_loadcnt_dscnt 0xb01
	v_mul_f64_e32 v[164:165], v[146:147], v[116:117]
	v_mul_f64_e32 v[116:117], v[148:149], v[116:117]
	scratch_load_b128 v[110:113], off, off offset:304
	v_add_f64_e32 v[158:159], v[158:159], v[162:163]
	s_wait_loadcnt_dscnt 0xb00
	v_mul_f64_e32 v[162:163], v[4:5], v[120:121]
	v_add_f64_e32 v[168:169], v[156:157], v[154:155]
	v_mul_f64_e32 v[120:121], v[6:7], v[120:121]
	ds_load_b128 v[154:157], v2 offset:864
	v_fmac_f64_e32 v[164:165], v[148:149], v[114:115]
	v_fma_f64 v[146:147], v[146:147], v[114:115], -v[116:117]
	scratch_load_b128 v[114:117], off, off offset:320
	v_add_f64_e32 v[158:159], v[158:159], v[160:161]
	v_fmac_f64_e32 v[162:163], v[6:7], v[118:119]
	v_add_f64_e32 v[148:149], v[168:169], v[166:167]
	v_fma_f64 v[166:167], v[4:5], v[118:119], -v[120:121]
	ds_load_b128 v[4:7], v2 offset:880
	s_wait_loadcnt_dscnt 0xb01
	v_mul_f64_e32 v[160:161], v[154:155], v[124:125]
	v_mul_f64_e32 v[124:125], v[156:157], v[124:125]
	scratch_load_b128 v[118:121], off, off offset:336
	v_add_f64_e32 v[158:159], v[158:159], v[164:165]
	s_wait_loadcnt_dscnt 0xb00
	v_mul_f64_e32 v[164:165], v[4:5], v[128:129]
	v_add_f64_e32 v[168:169], v[148:149], v[146:147]
	v_mul_f64_e32 v[128:129], v[6:7], v[128:129]
	ds_load_b128 v[146:149], v2 offset:896
	v_fmac_f64_e32 v[160:161], v[156:157], v[122:123]
	v_fma_f64 v[154:155], v[154:155], v[122:123], -v[124:125]
	scratch_load_b128 v[122:125], off, off offset:352
	v_add_f64_e32 v[158:159], v[158:159], v[162:163]
	v_fmac_f64_e32 v[164:165], v[6:7], v[126:127]
	v_add_f64_e32 v[156:157], v[168:169], v[166:167]
	;; [unrolled: 18-line block ×3, first 2 shown]
	v_fma_f64 v[166:167], v[4:5], v[138:139], -v[140:141]
	ds_load_b128 v[4:7], v2 offset:944
	s_wait_loadcnt_dscnt 0xa01
	v_mul_f64_e32 v[164:165], v[154:155], v[152:153]
	v_mul_f64_e32 v[152:153], v[156:157], v[152:153]
	scratch_load_b128 v[138:141], off, off offset:400
	v_add_f64_e32 v[158:159], v[158:159], v[162:163]
	v_add_f64_e32 v[168:169], v[148:149], v[146:147]
	s_wait_loadcnt_dscnt 0xa00
	v_mul_f64_e32 v[162:163], v[4:5], v[136:137]
	v_mul_f64_e32 v[136:137], v[6:7], v[136:137]
	v_fmac_f64_e32 v[164:165], v[156:157], v[150:151]
	v_fma_f64 v[154:155], v[154:155], v[150:151], -v[152:153]
	ds_load_b128 v[146:149], v2 offset:960
	scratch_load_b128 v[150:153], off, off offset:416
	v_add_f64_e32 v[158:159], v[158:159], v[160:161]
	v_add_f64_e32 v[156:157], v[168:169], v[166:167]
	v_fmac_f64_e32 v[162:163], v[6:7], v[134:135]
	v_fma_f64 v[166:167], v[4:5], v[134:135], -v[136:137]
	ds_load_b128 v[4:7], v2 offset:976
	s_wait_loadcnt_dscnt 0xa01
	v_mul_f64_e32 v[160:161], v[146:147], v[10:11]
	v_mul_f64_e32 v[10:11], v[148:149], v[10:11]
	scratch_load_b128 v[134:137], off, off offset:432
	v_add_f64_e32 v[158:159], v[158:159], v[164:165]
	s_wait_loadcnt_dscnt 0xa00
	v_mul_f64_e32 v[164:165], v[4:5], v[14:15]
	v_add_f64_e32 v[168:169], v[156:157], v[154:155]
	v_mul_f64_e32 v[14:15], v[6:7], v[14:15]
	ds_load_b128 v[154:157], v2 offset:992
	v_fmac_f64_e32 v[160:161], v[148:149], v[8:9]
	v_fma_f64 v[146:147], v[146:147], v[8:9], -v[10:11]
	scratch_load_b128 v[8:11], off, off offset:448
	v_add_f64_e32 v[158:159], v[158:159], v[162:163]
	v_fmac_f64_e32 v[164:165], v[6:7], v[12:13]
	v_add_f64_e32 v[148:149], v[168:169], v[166:167]
	v_fma_f64 v[166:167], v[4:5], v[12:13], -v[14:15]
	ds_load_b128 v[4:7], v2 offset:1008
	s_wait_loadcnt_dscnt 0xa01
	v_mul_f64_e32 v[162:163], v[154:155], v[108:109]
	v_mul_f64_e32 v[108:109], v[156:157], v[108:109]
	scratch_load_b128 v[12:15], off, off offset:464
	v_add_f64_e32 v[158:159], v[158:159], v[160:161]
	s_wait_loadcnt_dscnt 0xa00
	v_mul_f64_e32 v[160:161], v[4:5], v[112:113]
	v_add_f64_e32 v[168:169], v[148:149], v[146:147]
	v_mul_f64_e32 v[112:113], v[6:7], v[112:113]
	ds_load_b128 v[146:149], v2 offset:1024
	v_fmac_f64_e32 v[162:163], v[156:157], v[106:107]
	v_fma_f64 v[154:155], v[154:155], v[106:107], -v[108:109]
	scratch_load_b128 v[106:109], off, off offset:480
	v_add_f64_e32 v[158:159], v[158:159], v[164:165]
	v_fmac_f64_e32 v[160:161], v[6:7], v[110:111]
	v_add_f64_e32 v[156:157], v[168:169], v[166:167]
	;; [unrolled: 18-line block ×8, first 2 shown]
	v_fma_f64 v[166:167], v[4:5], v[110:111], -v[112:113]
	ds_load_b128 v[4:7], v2 offset:1232
	s_wait_loadcnt_dscnt 0xa01
	v_mul_f64_e32 v[164:165], v[146:147], v[116:117]
	v_mul_f64_e32 v[116:117], v[148:149], v[116:117]
	scratch_load_b128 v[110:113], off, off offset:688
	v_add_f64_e32 v[158:159], v[158:159], v[162:163]
	s_wait_loadcnt_dscnt 0xa00
	v_mul_f64_e32 v[162:163], v[4:5], v[120:121]
	v_add_f64_e32 v[168:169], v[156:157], v[154:155]
	v_mul_f64_e32 v[120:121], v[6:7], v[120:121]
	ds_load_b128 v[154:157], v2 offset:1248
	v_fmac_f64_e32 v[164:165], v[148:149], v[114:115]
	v_fma_f64 v[114:115], v[146:147], v[114:115], -v[116:117]
	s_wait_loadcnt_dscnt 0x900
	v_mul_f64_e32 v[148:149], v[154:155], v[124:125]
	v_mul_f64_e32 v[124:125], v[156:157], v[124:125]
	v_add_f64_e32 v[146:147], v[158:159], v[160:161]
	v_fmac_f64_e32 v[162:163], v[6:7], v[118:119]
	v_add_f64_e32 v[116:117], v[168:169], v[166:167]
	v_fma_f64 v[118:119], v[4:5], v[118:119], -v[120:121]
	v_fmac_f64_e32 v[148:149], v[156:157], v[122:123]
	v_fma_f64 v[122:123], v[154:155], v[122:123], -v[124:125]
	v_add_f64_e32 v[146:147], v[146:147], v[164:165]
	v_add_f64_e32 v[120:121], v[116:117], v[114:115]
	ds_load_b128 v[4:7], v2 offset:1264
	ds_load_b128 v[114:117], v2 offset:1280
	s_wait_loadcnt_dscnt 0x801
	v_mul_f64_e32 v[158:159], v[4:5], v[128:129]
	v_mul_f64_e32 v[128:129], v[6:7], v[128:129]
	s_wait_loadcnt_dscnt 0x700
	v_mul_f64_e32 v[124:125], v[114:115], v[132:133]
	v_mul_f64_e32 v[132:133], v[116:117], v[132:133]
	v_add_f64_e32 v[118:119], v[120:121], v[118:119]
	v_add_f64_e32 v[120:121], v[146:147], v[162:163]
	v_fmac_f64_e32 v[158:159], v[6:7], v[126:127]
	v_fma_f64 v[126:127], v[4:5], v[126:127], -v[128:129]
	v_fmac_f64_e32 v[124:125], v[116:117], v[130:131]
	v_fma_f64 v[114:115], v[114:115], v[130:131], -v[132:133]
	v_add_f64_e32 v[122:123], v[118:119], v[122:123]
	v_add_f64_e32 v[128:129], v[120:121], v[148:149]
	ds_load_b128 v[4:7], v2 offset:1296
	ds_load_b128 v[118:121], v2 offset:1312
	s_wait_loadcnt_dscnt 0x601
	v_mul_f64_e32 v[146:147], v[4:5], v[140:141]
	v_mul_f64_e32 v[140:141], v[6:7], v[140:141]
	v_add_f64_e32 v[116:117], v[122:123], v[126:127]
	v_add_f64_e32 v[122:123], v[128:129], v[158:159]
	s_wait_loadcnt_dscnt 0x500
	v_mul_f64_e32 v[126:127], v[118:119], v[152:153]
	v_mul_f64_e32 v[128:129], v[120:121], v[152:153]
	v_fmac_f64_e32 v[146:147], v[6:7], v[138:139]
	v_fma_f64 v[130:131], v[4:5], v[138:139], -v[140:141]
	v_add_f64_e32 v[132:133], v[116:117], v[114:115]
	v_add_f64_e32 v[122:123], v[122:123], v[124:125]
	ds_load_b128 v[4:7], v2 offset:1328
	ds_load_b128 v[114:117], v2 offset:1344
	v_fmac_f64_e32 v[126:127], v[120:121], v[150:151]
	v_fma_f64 v[118:119], v[118:119], v[150:151], -v[128:129]
	s_wait_loadcnt_dscnt 0x401
	v_mul_f64_e32 v[124:125], v[4:5], v[136:137]
	v_mul_f64_e32 v[136:137], v[6:7], v[136:137]
	s_wait_loadcnt_dscnt 0x300
	v_mul_f64_e32 v[128:129], v[114:115], v[10:11]
	v_mul_f64_e32 v[10:11], v[116:117], v[10:11]
	v_add_f64_e32 v[120:121], v[132:133], v[130:131]
	v_add_f64_e32 v[122:123], v[122:123], v[146:147]
	v_fmac_f64_e32 v[124:125], v[6:7], v[134:135]
	v_fma_f64 v[130:131], v[4:5], v[134:135], -v[136:137]
	v_fmac_f64_e32 v[128:129], v[116:117], v[8:9]
	v_fma_f64 v[8:9], v[114:115], v[8:9], -v[10:11]
	v_add_f64_e32 v[132:133], v[120:121], v[118:119]
	v_add_f64_e32 v[122:123], v[122:123], v[126:127]
	ds_load_b128 v[4:7], v2 offset:1360
	ds_load_b128 v[118:121], v2 offset:1376
	s_wait_loadcnt_dscnt 0x201
	v_mul_f64_e32 v[126:127], v[4:5], v[14:15]
	v_mul_f64_e32 v[14:15], v[6:7], v[14:15]
	s_wait_loadcnt_dscnt 0x100
	v_mul_f64_e32 v[116:117], v[118:119], v[108:109]
	v_mul_f64_e32 v[108:109], v[120:121], v[108:109]
	v_add_f64_e32 v[10:11], v[132:133], v[130:131]
	v_add_f64_e32 v[114:115], v[122:123], v[124:125]
	v_fmac_f64_e32 v[126:127], v[6:7], v[12:13]
	v_fma_f64 v[12:13], v[4:5], v[12:13], -v[14:15]
	ds_load_b128 v[4:7], v2 offset:1392
	v_fmac_f64_e32 v[116:117], v[120:121], v[106:107]
	v_fma_f64 v[106:107], v[118:119], v[106:107], -v[108:109]
	v_add_f64_e32 v[8:9], v[10:11], v[8:9]
	v_add_f64_e32 v[10:11], v[114:115], v[128:129]
	s_wait_loadcnt_dscnt 0x0
	v_mul_f64_e32 v[14:15], v[4:5], v[112:113]
	v_mul_f64_e32 v[112:113], v[6:7], v[112:113]
	s_delay_alu instid0(VALU_DEP_4) | instskip(NEXT) | instid1(VALU_DEP_4)
	v_add_f64_e32 v[8:9], v[8:9], v[12:13]
	v_add_f64_e32 v[10:11], v[10:11], v[126:127]
	s_delay_alu instid0(VALU_DEP_4) | instskip(NEXT) | instid1(VALU_DEP_4)
	v_fmac_f64_e32 v[14:15], v[6:7], v[110:111]
	v_fma_f64 v[4:5], v[4:5], v[110:111], -v[112:113]
	s_delay_alu instid0(VALU_DEP_4) | instskip(NEXT) | instid1(VALU_DEP_4)
	v_add_f64_e32 v[6:7], v[8:9], v[106:107]
	v_add_f64_e32 v[8:9], v[10:11], v[116:117]
	s_delay_alu instid0(VALU_DEP_2) | instskip(NEXT) | instid1(VALU_DEP_2)
	v_add_f64_e32 v[4:5], v[6:7], v[4:5]
	v_add_f64_e32 v[6:7], v[8:9], v[14:15]
	s_delay_alu instid0(VALU_DEP_2) | instskip(NEXT) | instid1(VALU_DEP_2)
	v_add_f64_e64 v[4:5], v[142:143], -v[4:5]
	v_add_f64_e64 v[6:7], v[144:145], -v[6:7]
	scratch_store_b128 off, v[4:7], off offset:32
	s_wait_xcnt 0x0
	v_cmpx_lt_u32_e32 1, v1
	s_cbranch_execz .LBB107_275
; %bb.274:
	scratch_load_b128 v[6:9], off, s18
	v_dual_mov_b32 v3, v2 :: v_dual_mov_b32 v4, v2
	v_mov_b32_e32 v5, v2
	scratch_store_b128 off, v[2:5], off offset:16
	s_wait_loadcnt 0x0
	ds_store_b128 v104, v[6:9]
.LBB107_275:
	s_wait_xcnt 0x0
	s_or_b32 exec_lo, exec_lo, s2
	s_wait_storecnt_dscnt 0x0
	s_barrier_signal -1
	s_barrier_wait -1
	s_clause 0x9
	scratch_load_b128 v[4:7], off, off offset:32
	scratch_load_b128 v[8:11], off, off offset:48
	scratch_load_b128 v[12:15], off, off offset:64
	scratch_load_b128 v[106:109], off, off offset:80
	scratch_load_b128 v[110:113], off, off offset:96
	scratch_load_b128 v[114:117], off, off offset:112
	scratch_load_b128 v[118:121], off, off offset:128
	scratch_load_b128 v[122:125], off, off offset:144
	scratch_load_b128 v[126:129], off, off offset:160
	scratch_load_b128 v[130:133], off, off offset:176
	ds_load_b128 v[134:137], v2 offset:736
	ds_load_b128 v[142:145], v2 offset:752
	s_clause 0x2
	scratch_load_b128 v[138:141], off, off offset:192
	scratch_load_b128 v[146:149], off, off offset:16
	;; [unrolled: 1-line block ×3, first 2 shown]
	s_mov_b32 s2, exec_lo
	s_wait_loadcnt_dscnt 0xc01
	v_mul_f64_e32 v[154:155], v[136:137], v[6:7]
	v_mul_f64_e32 v[158:159], v[134:135], v[6:7]
	s_wait_loadcnt_dscnt 0xb00
	v_mul_f64_e32 v[160:161], v[142:143], v[10:11]
	v_mul_f64_e32 v[10:11], v[144:145], v[10:11]
	s_delay_alu instid0(VALU_DEP_4) | instskip(NEXT) | instid1(VALU_DEP_4)
	v_fma_f64 v[162:163], v[134:135], v[4:5], -v[154:155]
	v_fmac_f64_e32 v[158:159], v[136:137], v[4:5]
	ds_load_b128 v[4:7], v2 offset:768
	ds_load_b128 v[134:137], v2 offset:784
	scratch_load_b128 v[154:157], off, off offset:224
	v_fmac_f64_e32 v[160:161], v[144:145], v[8:9]
	v_fma_f64 v[142:143], v[142:143], v[8:9], -v[10:11]
	scratch_load_b128 v[8:11], off, off offset:240
	s_wait_loadcnt_dscnt 0xc01
	v_mul_f64_e32 v[164:165], v[4:5], v[14:15]
	v_mul_f64_e32 v[14:15], v[6:7], v[14:15]
	v_add_f64_e32 v[144:145], 0, v[162:163]
	v_add_f64_e32 v[158:159], 0, v[158:159]
	s_wait_loadcnt_dscnt 0xb00
	v_mul_f64_e32 v[162:163], v[134:135], v[108:109]
	v_mul_f64_e32 v[108:109], v[136:137], v[108:109]
	v_fmac_f64_e32 v[164:165], v[6:7], v[12:13]
	v_fma_f64 v[166:167], v[4:5], v[12:13], -v[14:15]
	ds_load_b128 v[4:7], v2 offset:800
	ds_load_b128 v[12:15], v2 offset:816
	v_add_f64_e32 v[168:169], v[144:145], v[142:143]
	v_add_f64_e32 v[158:159], v[158:159], v[160:161]
	scratch_load_b128 v[142:145], off, off offset:256
	v_fmac_f64_e32 v[162:163], v[136:137], v[106:107]
	v_fma_f64 v[134:135], v[134:135], v[106:107], -v[108:109]
	scratch_load_b128 v[106:109], off, off offset:272
	s_wait_loadcnt_dscnt 0xc01
	v_mul_f64_e32 v[160:161], v[4:5], v[112:113]
	v_mul_f64_e32 v[112:113], v[6:7], v[112:113]
	v_add_f64_e32 v[136:137], v[168:169], v[166:167]
	v_add_f64_e32 v[158:159], v[158:159], v[164:165]
	s_wait_loadcnt_dscnt 0xb00
	v_mul_f64_e32 v[164:165], v[12:13], v[116:117]
	v_mul_f64_e32 v[116:117], v[14:15], v[116:117]
	v_fmac_f64_e32 v[160:161], v[6:7], v[110:111]
	v_fma_f64 v[166:167], v[4:5], v[110:111], -v[112:113]
	ds_load_b128 v[4:7], v2 offset:832
	ds_load_b128 v[110:113], v2 offset:848
	v_add_f64_e32 v[168:169], v[136:137], v[134:135]
	v_add_f64_e32 v[158:159], v[158:159], v[162:163]
	scratch_load_b128 v[134:137], off, off offset:288
	s_wait_loadcnt_dscnt 0xb01
	v_mul_f64_e32 v[162:163], v[4:5], v[120:121]
	v_mul_f64_e32 v[120:121], v[6:7], v[120:121]
	v_fmac_f64_e32 v[164:165], v[14:15], v[114:115]
	v_fma_f64 v[114:115], v[12:13], v[114:115], -v[116:117]
	scratch_load_b128 v[12:15], off, off offset:304
	v_add_f64_e32 v[116:117], v[168:169], v[166:167]
	v_add_f64_e32 v[158:159], v[158:159], v[160:161]
	s_wait_loadcnt_dscnt 0xb00
	v_mul_f64_e32 v[160:161], v[110:111], v[124:125]
	v_mul_f64_e32 v[124:125], v[112:113], v[124:125]
	v_fmac_f64_e32 v[162:163], v[6:7], v[118:119]
	v_fma_f64 v[166:167], v[4:5], v[118:119], -v[120:121]
	v_add_f64_e32 v[168:169], v[116:117], v[114:115]
	v_add_f64_e32 v[158:159], v[158:159], v[164:165]
	ds_load_b128 v[4:7], v2 offset:864
	ds_load_b128 v[114:117], v2 offset:880
	scratch_load_b128 v[118:121], off, off offset:320
	v_fmac_f64_e32 v[160:161], v[112:113], v[122:123]
	v_fma_f64 v[122:123], v[110:111], v[122:123], -v[124:125]
	scratch_load_b128 v[110:113], off, off offset:336
	s_wait_loadcnt_dscnt 0xc01
	v_mul_f64_e32 v[164:165], v[4:5], v[128:129]
	v_mul_f64_e32 v[128:129], v[6:7], v[128:129]
	v_add_f64_e32 v[124:125], v[168:169], v[166:167]
	v_add_f64_e32 v[158:159], v[158:159], v[162:163]
	s_wait_loadcnt_dscnt 0xb00
	v_mul_f64_e32 v[162:163], v[114:115], v[132:133]
	v_mul_f64_e32 v[132:133], v[116:117], v[132:133]
	v_fmac_f64_e32 v[164:165], v[6:7], v[126:127]
	v_fma_f64 v[166:167], v[4:5], v[126:127], -v[128:129]
	v_add_f64_e32 v[168:169], v[124:125], v[122:123]
	v_add_f64_e32 v[158:159], v[158:159], v[160:161]
	ds_load_b128 v[4:7], v2 offset:896
	ds_load_b128 v[122:125], v2 offset:912
	scratch_load_b128 v[126:129], off, off offset:352
	v_fmac_f64_e32 v[162:163], v[116:117], v[130:131]
	v_fma_f64 v[130:131], v[114:115], v[130:131], -v[132:133]
	scratch_load_b128 v[114:117], off, off offset:368
	s_wait_loadcnt_dscnt 0xc01
	v_mul_f64_e32 v[160:161], v[4:5], v[140:141]
	v_mul_f64_e32 v[140:141], v[6:7], v[140:141]
	;; [unrolled: 18-line block ×5, first 2 shown]
	v_add_f64_e32 v[152:153], v[168:169], v[166:167]
	v_add_f64_e32 v[158:159], v[158:159], v[164:165]
	s_wait_loadcnt_dscnt 0xa00
	v_mul_f64_e32 v[164:165], v[130:131], v[14:15]
	v_mul_f64_e32 v[14:15], v[132:133], v[14:15]
	v_fmac_f64_e32 v[160:161], v[6:7], v[134:135]
	v_fma_f64 v[166:167], v[4:5], v[134:135], -v[136:137]
	ds_load_b128 v[4:7], v2 offset:1024
	ds_load_b128 v[134:137], v2 offset:1040
	v_add_f64_e32 v[168:169], v[152:153], v[150:151]
	v_add_f64_e32 v[158:159], v[158:159], v[162:163]
	scratch_load_b128 v[150:153], off, off offset:480
	v_fmac_f64_e32 v[164:165], v[132:133], v[12:13]
	v_fma_f64 v[130:131], v[130:131], v[12:13], -v[14:15]
	scratch_load_b128 v[12:15], off, off offset:496
	s_wait_loadcnt_dscnt 0xb01
	v_mul_f64_e32 v[162:163], v[4:5], v[120:121]
	v_mul_f64_e32 v[120:121], v[6:7], v[120:121]
	v_add_f64_e32 v[132:133], v[168:169], v[166:167]
	v_add_f64_e32 v[158:159], v[158:159], v[160:161]
	s_wait_loadcnt_dscnt 0xa00
	v_mul_f64_e32 v[160:161], v[134:135], v[112:113]
	v_mul_f64_e32 v[112:113], v[136:137], v[112:113]
	v_fmac_f64_e32 v[162:163], v[6:7], v[118:119]
	v_fma_f64 v[166:167], v[4:5], v[118:119], -v[120:121]
	ds_load_b128 v[4:7], v2 offset:1056
	ds_load_b128 v[118:121], v2 offset:1072
	v_add_f64_e32 v[168:169], v[132:133], v[130:131]
	v_add_f64_e32 v[158:159], v[158:159], v[164:165]
	scratch_load_b128 v[130:133], off, off offset:512
	s_wait_loadcnt_dscnt 0xa01
	v_mul_f64_e32 v[164:165], v[4:5], v[128:129]
	v_mul_f64_e32 v[128:129], v[6:7], v[128:129]
	v_fmac_f64_e32 v[160:161], v[136:137], v[110:111]
	v_fma_f64 v[134:135], v[134:135], v[110:111], -v[112:113]
	scratch_load_b128 v[110:113], off, off offset:528
	v_add_f64_e32 v[136:137], v[168:169], v[166:167]
	v_add_f64_e32 v[158:159], v[158:159], v[162:163]
	s_wait_loadcnt_dscnt 0xa00
	v_mul_f64_e32 v[162:163], v[118:119], v[116:117]
	v_mul_f64_e32 v[116:117], v[120:121], v[116:117]
	v_fmac_f64_e32 v[164:165], v[6:7], v[126:127]
	v_fma_f64 v[166:167], v[4:5], v[126:127], -v[128:129]
	ds_load_b128 v[4:7], v2 offset:1088
	ds_load_b128 v[126:129], v2 offset:1104
	v_add_f64_e32 v[168:169], v[136:137], v[134:135]
	v_add_f64_e32 v[158:159], v[158:159], v[160:161]
	scratch_load_b128 v[134:137], off, off offset:544
	s_wait_loadcnt_dscnt 0xa01
	v_mul_f64_e32 v[160:161], v[4:5], v[140:141]
	v_mul_f64_e32 v[140:141], v[6:7], v[140:141]
	v_fmac_f64_e32 v[162:163], v[120:121], v[114:115]
	v_fma_f64 v[118:119], v[118:119], v[114:115], -v[116:117]
	scratch_load_b128 v[114:117], off, off offset:560
	v_add_f64_e32 v[120:121], v[168:169], v[166:167]
	v_add_f64_e32 v[158:159], v[158:159], v[164:165]
	s_wait_loadcnt_dscnt 0xa00
	v_mul_f64_e32 v[164:165], v[126:127], v[124:125]
	v_mul_f64_e32 v[124:125], v[128:129], v[124:125]
	v_fmac_f64_e32 v[160:161], v[6:7], v[138:139]
	v_fma_f64 v[166:167], v[4:5], v[138:139], -v[140:141]
	v_add_f64_e32 v[168:169], v[120:121], v[118:119]
	v_add_f64_e32 v[158:159], v[158:159], v[162:163]
	ds_load_b128 v[4:7], v2 offset:1120
	ds_load_b128 v[118:121], v2 offset:1136
	scratch_load_b128 v[138:141], off, off offset:576
	v_fmac_f64_e32 v[164:165], v[128:129], v[122:123]
	v_fma_f64 v[126:127], v[126:127], v[122:123], -v[124:125]
	scratch_load_b128 v[122:125], off, off offset:592
	s_wait_loadcnt_dscnt 0xb01
	v_mul_f64_e32 v[162:163], v[4:5], v[156:157]
	v_mul_f64_e32 v[156:157], v[6:7], v[156:157]
	v_add_f64_e32 v[128:129], v[168:169], v[166:167]
	v_add_f64_e32 v[158:159], v[158:159], v[160:161]
	s_wait_loadcnt_dscnt 0xa00
	v_mul_f64_e32 v[160:161], v[118:119], v[10:11]
	v_mul_f64_e32 v[10:11], v[120:121], v[10:11]
	v_fmac_f64_e32 v[162:163], v[6:7], v[154:155]
	v_fma_f64 v[166:167], v[4:5], v[154:155], -v[156:157]
	v_add_f64_e32 v[168:169], v[128:129], v[126:127]
	v_add_f64_e32 v[158:159], v[158:159], v[164:165]
	ds_load_b128 v[4:7], v2 offset:1152
	ds_load_b128 v[126:129], v2 offset:1168
	scratch_load_b128 v[154:157], off, off offset:608
	v_fmac_f64_e32 v[160:161], v[120:121], v[8:9]
	v_fma_f64 v[118:119], v[118:119], v[8:9], -v[10:11]
	scratch_load_b128 v[8:11], off, off offset:624
	s_wait_loadcnt_dscnt 0xb01
	v_mul_f64_e32 v[164:165], v[4:5], v[144:145]
	v_mul_f64_e32 v[144:145], v[6:7], v[144:145]
	;; [unrolled: 18-line block ×4, first 2 shown]
	v_add_f64_e32 v[120:121], v[168:169], v[166:167]
	v_add_f64_e32 v[158:159], v[158:159], v[160:161]
	s_wait_loadcnt_dscnt 0xa00
	v_mul_f64_e32 v[160:161], v[126:127], v[112:113]
	v_mul_f64_e32 v[112:113], v[128:129], v[112:113]
	v_fmac_f64_e32 v[162:163], v[6:7], v[130:131]
	v_fma_f64 v[130:131], v[4:5], v[130:131], -v[132:133]
	v_add_f64_e32 v[132:133], v[120:121], v[118:119]
	v_add_f64_e32 v[158:159], v[158:159], v[164:165]
	ds_load_b128 v[4:7], v2 offset:1248
	ds_load_b128 v[118:121], v2 offset:1264
	v_fmac_f64_e32 v[160:161], v[128:129], v[110:111]
	v_fma_f64 v[110:111], v[126:127], v[110:111], -v[112:113]
	s_wait_loadcnt_dscnt 0x901
	v_mul_f64_e32 v[164:165], v[4:5], v[136:137]
	v_mul_f64_e32 v[136:137], v[6:7], v[136:137]
	s_wait_loadcnt_dscnt 0x800
	v_mul_f64_e32 v[128:129], v[118:119], v[116:117]
	v_mul_f64_e32 v[116:117], v[120:121], v[116:117]
	v_add_f64_e32 v[112:113], v[132:133], v[130:131]
	v_add_f64_e32 v[126:127], v[158:159], v[162:163]
	v_fmac_f64_e32 v[164:165], v[6:7], v[134:135]
	v_fma_f64 v[130:131], v[4:5], v[134:135], -v[136:137]
	v_fmac_f64_e32 v[128:129], v[120:121], v[114:115]
	v_fma_f64 v[114:115], v[118:119], v[114:115], -v[116:117]
	v_add_f64_e32 v[132:133], v[112:113], v[110:111]
	v_add_f64_e32 v[126:127], v[126:127], v[160:161]
	ds_load_b128 v[4:7], v2 offset:1280
	ds_load_b128 v[110:113], v2 offset:1296
	s_wait_loadcnt_dscnt 0x701
	v_mul_f64_e32 v[134:135], v[4:5], v[140:141]
	v_mul_f64_e32 v[136:137], v[6:7], v[140:141]
	s_wait_loadcnt_dscnt 0x600
	v_mul_f64_e32 v[120:121], v[110:111], v[124:125]
	v_mul_f64_e32 v[124:125], v[112:113], v[124:125]
	v_add_f64_e32 v[116:117], v[132:133], v[130:131]
	v_add_f64_e32 v[118:119], v[126:127], v[164:165]
	v_fmac_f64_e32 v[134:135], v[6:7], v[138:139]
	v_fma_f64 v[126:127], v[4:5], v[138:139], -v[136:137]
	v_fmac_f64_e32 v[120:121], v[112:113], v[122:123]
	v_fma_f64 v[110:111], v[110:111], v[122:123], -v[124:125]
	v_add_f64_e32 v[130:131], v[116:117], v[114:115]
	v_add_f64_e32 v[118:119], v[118:119], v[128:129]
	ds_load_b128 v[4:7], v2 offset:1312
	ds_load_b128 v[114:117], v2 offset:1328
	;; [unrolled: 16-line block ×4, first 2 shown]
	s_wait_loadcnt_dscnt 0x101
	v_mul_f64_e32 v[2:3], v[4:5], v[152:153]
	v_mul_f64_e32 v[122:123], v[6:7], v[152:153]
	s_wait_loadcnt_dscnt 0x0
	v_mul_f64_e32 v[112:113], v[8:9], v[14:15]
	v_mul_f64_e32 v[14:15], v[10:11], v[14:15]
	v_add_f64_e32 v[108:109], v[124:125], v[118:119]
	v_add_f64_e32 v[110:111], v[114:115], v[120:121]
	v_fmac_f64_e32 v[2:3], v[6:7], v[150:151]
	v_fma_f64 v[4:5], v[4:5], v[150:151], -v[122:123]
	v_fmac_f64_e32 v[112:113], v[10:11], v[12:13]
	v_fma_f64 v[8:9], v[8:9], v[12:13], -v[14:15]
	v_add_f64_e32 v[6:7], v[108:109], v[106:107]
	v_add_f64_e32 v[106:107], v[110:111], v[116:117]
	s_delay_alu instid0(VALU_DEP_2) | instskip(NEXT) | instid1(VALU_DEP_2)
	v_add_f64_e32 v[4:5], v[6:7], v[4:5]
	v_add_f64_e32 v[2:3], v[106:107], v[2:3]
	s_delay_alu instid0(VALU_DEP_2) | instskip(NEXT) | instid1(VALU_DEP_2)
	;; [unrolled: 3-line block ×3, first 2 shown]
	v_add_f64_e64 v[2:3], v[146:147], -v[4:5]
	v_add_f64_e64 v[4:5], v[148:149], -v[6:7]
	scratch_store_b128 off, v[2:5], off offset:16
	s_wait_xcnt 0x0
	v_cmpx_ne_u32_e32 0, v1
	s_cbranch_execz .LBB107_277
; %bb.276:
	scratch_load_b128 v[2:5], off, off
	v_mov_b32_e32 v6, 0
	s_delay_alu instid0(VALU_DEP_1)
	v_dual_mov_b32 v7, v6 :: v_dual_mov_b32 v8, v6
	v_mov_b32_e32 v9, v6
	scratch_store_b128 off, v[6:9], off
	s_wait_loadcnt 0x0
	ds_store_b128 v104, v[2:5]
.LBB107_277:
	s_wait_xcnt 0x0
	s_or_b32 exec_lo, exec_lo, s2
	s_wait_storecnt_dscnt 0x0
	s_barrier_signal -1
	s_barrier_wait -1
	s_clause 0x9
	scratch_load_b128 v[2:5], off, off offset:16
	scratch_load_b128 v[6:9], off, off offset:32
	;; [unrolled: 1-line block ×10, first 2 shown]
	v_mov_b32_e32 v138, 0
	v_lshl_add_u64 v[54:55], v[54:55], 4, s[4:5]
	s_and_b32 vcc_lo, exec_lo, s56
	ds_load_b128 v[132:135], v138 offset:720
	s_clause 0x2
	scratch_load_b128 v[140:143], off, off offset:176
	scratch_load_b128 v[144:147], off, off
	scratch_load_b128 v[152:155], off, off offset:192
	s_wait_loadcnt_dscnt 0xc00
	v_mul_f64_e32 v[14:15], v[134:135], v[4:5]
	v_mul_f64_e32 v[136:137], v[132:133], v[4:5]
	ds_load_b128 v[148:151], v138 offset:736
	ds_load_b128 v[156:159], v138 offset:768
	v_fma_f64 v[14:15], v[132:133], v[2:3], -v[14:15]
	v_fmac_f64_e32 v[136:137], v[134:135], v[2:3]
	ds_load_b128 v[2:5], v138 offset:752
	s_wait_loadcnt_dscnt 0xb02
	v_mul_f64_e32 v[160:161], v[148:149], v[8:9]
	v_mul_f64_e32 v[8:9], v[150:151], v[8:9]
	scratch_load_b128 v[132:135], off, off offset:208
	s_wait_loadcnt_dscnt 0xb00
	v_mul_f64_e32 v[162:163], v[2:3], v[12:13]
	v_mul_f64_e32 v[12:13], v[4:5], v[12:13]
	v_add_f64_e32 v[14:15], 0, v[14:15]
	v_add_f64_e32 v[136:137], 0, v[136:137]
	v_fmac_f64_e32 v[160:161], v[150:151], v[6:7]
	v_fma_f64 v[148:149], v[148:149], v[6:7], -v[8:9]
	scratch_load_b128 v[6:9], off, off offset:224
	v_fmac_f64_e32 v[162:163], v[4:5], v[10:11]
	v_fma_f64 v[166:167], v[2:3], v[10:11], -v[12:13]
	ds_load_b128 v[2:5], v138 offset:784
	s_wait_loadcnt 0xb
	v_mul_f64_e32 v[164:165], v[156:157], v[106:107]
	v_mul_f64_e32 v[106:107], v[158:159], v[106:107]
	scratch_load_b128 v[10:13], off, off offset:240
	v_add_f64_e32 v[136:137], v[136:137], v[160:161]
	v_add_f64_e32 v[14:15], v[14:15], v[148:149]
	ds_load_b128 v[148:151], v138 offset:800
	s_wait_loadcnt_dscnt 0xb01
	v_mul_f64_e32 v[160:161], v[2:3], v[110:111]
	v_mul_f64_e32 v[110:111], v[4:5], v[110:111]
	v_fmac_f64_e32 v[164:165], v[158:159], v[104:105]
	v_fma_f64 v[156:157], v[156:157], v[104:105], -v[106:107]
	scratch_load_b128 v[104:107], off, off offset:256
	v_add_f64_e32 v[136:137], v[136:137], v[162:163]
	v_add_f64_e32 v[14:15], v[14:15], v[166:167]
	v_fmac_f64_e32 v[160:161], v[4:5], v[108:109]
	v_fma_f64 v[166:167], v[2:3], v[108:109], -v[110:111]
	ds_load_b128 v[2:5], v138 offset:816
	s_wait_loadcnt_dscnt 0xb01
	v_mul_f64_e32 v[162:163], v[148:149], v[114:115]
	v_mul_f64_e32 v[114:115], v[150:151], v[114:115]
	scratch_load_b128 v[108:111], off, off offset:272
	v_add_f64_e32 v[136:137], v[136:137], v[164:165]
	v_add_f64_e32 v[14:15], v[14:15], v[156:157]
	s_wait_loadcnt_dscnt 0xb00
	v_mul_f64_e32 v[164:165], v[2:3], v[118:119]
	v_mul_f64_e32 v[118:119], v[4:5], v[118:119]
	ds_load_b128 v[156:159], v138 offset:832
	v_fmac_f64_e32 v[162:163], v[150:151], v[112:113]
	v_fma_f64 v[148:149], v[148:149], v[112:113], -v[114:115]
	scratch_load_b128 v[112:115], off, off offset:288
	v_add_f64_e32 v[136:137], v[136:137], v[160:161]
	v_add_f64_e32 v[14:15], v[14:15], v[166:167]
	v_fmac_f64_e32 v[164:165], v[4:5], v[116:117]
	v_fma_f64 v[166:167], v[2:3], v[116:117], -v[118:119]
	ds_load_b128 v[2:5], v138 offset:848
	s_wait_loadcnt_dscnt 0xb01
	v_mul_f64_e32 v[160:161], v[156:157], v[122:123]
	v_mul_f64_e32 v[122:123], v[158:159], v[122:123]
	scratch_load_b128 v[116:119], off, off offset:304
	v_add_f64_e32 v[136:137], v[136:137], v[162:163]
	v_add_f64_e32 v[14:15], v[14:15], v[148:149]
	s_wait_loadcnt_dscnt 0xb00
	v_mul_f64_e32 v[162:163], v[2:3], v[126:127]
	v_mul_f64_e32 v[126:127], v[4:5], v[126:127]
	ds_load_b128 v[148:151], v138 offset:864
	;; [unrolled: 18-line block ×4, first 2 shown]
	v_fmac_f64_e32 v[162:163], v[158:159], v[152:153]
	v_fma_f64 v[152:153], v[156:157], v[152:153], -v[154:155]
	ds_load_b128 v[156:159], v138 offset:960
	v_add_f64_e32 v[154:155], v[136:137], v[160:161]
	v_add_f64_e32 v[14:15], v[14:15], v[166:167]
	scratch_load_b128 v[134:137], off, off offset:384
	v_fmac_f64_e32 v[164:165], v[4:5], v[132:133]
	v_fma_f64 v[132:133], v[2:3], v[132:133], -v[168:169]
	ds_load_b128 v[2:5], v138 offset:944
	s_wait_loadcnt_dscnt 0xa02
	v_mul_f64_e32 v[160:161], v[148:149], v[8:9]
	v_mul_f64_e32 v[8:9], v[150:151], v[8:9]
	s_wait_loadcnt_dscnt 0x900
	v_mul_f64_e32 v[166:167], v[2:3], v[12:13]
	v_mul_f64_e32 v[12:13], v[4:5], v[12:13]
	v_add_f64_e32 v[162:163], v[154:155], v[162:163]
	v_add_f64_e32 v[14:15], v[14:15], v[152:153]
	scratch_load_b128 v[152:155], off, off offset:400
	v_fmac_f64_e32 v[160:161], v[150:151], v[6:7]
	v_fma_f64 v[148:149], v[148:149], v[6:7], -v[8:9]
	scratch_load_b128 v[6:9], off, off offset:416
	v_fmac_f64_e32 v[166:167], v[4:5], v[10:11]
	v_add_f64_e32 v[14:15], v[14:15], v[132:133]
	v_add_f64_e32 v[132:133], v[162:163], v[164:165]
	v_fma_f64 v[164:165], v[2:3], v[10:11], -v[12:13]
	ds_load_b128 v[2:5], v138 offset:976
	s_wait_loadcnt 0xa
	v_mul_f64_e32 v[162:163], v[156:157], v[106:107]
	v_mul_f64_e32 v[106:107], v[158:159], v[106:107]
	scratch_load_b128 v[10:13], off, off offset:432
	v_add_f64_e32 v[14:15], v[14:15], v[148:149]
	v_add_f64_e32 v[132:133], v[132:133], v[160:161]
	s_wait_loadcnt_dscnt 0xa00
	v_mul_f64_e32 v[160:161], v[2:3], v[110:111]
	v_mul_f64_e32 v[110:111], v[4:5], v[110:111]
	v_fmac_f64_e32 v[162:163], v[158:159], v[104:105]
	v_fma_f64 v[156:157], v[156:157], v[104:105], -v[106:107]
	ds_load_b128 v[148:151], v138 offset:992
	scratch_load_b128 v[104:107], off, off offset:448
	v_add_f64_e32 v[14:15], v[14:15], v[164:165]
	v_add_f64_e32 v[132:133], v[132:133], v[166:167]
	v_fmac_f64_e32 v[160:161], v[4:5], v[108:109]
	v_fma_f64 v[166:167], v[2:3], v[108:109], -v[110:111]
	ds_load_b128 v[2:5], v138 offset:1008
	s_wait_loadcnt_dscnt 0xa01
	v_mul_f64_e32 v[164:165], v[148:149], v[114:115]
	v_mul_f64_e32 v[114:115], v[150:151], v[114:115]
	scratch_load_b128 v[108:111], off, off offset:464
	v_add_f64_e32 v[14:15], v[14:15], v[156:157]
	v_add_f64_e32 v[132:133], v[132:133], v[162:163]
	s_wait_loadcnt_dscnt 0xa00
	v_mul_f64_e32 v[162:163], v[2:3], v[118:119]
	v_mul_f64_e32 v[118:119], v[4:5], v[118:119]
	ds_load_b128 v[156:159], v138 offset:1024
	v_fmac_f64_e32 v[164:165], v[150:151], v[112:113]
	v_fma_f64 v[148:149], v[148:149], v[112:113], -v[114:115]
	scratch_load_b128 v[112:115], off, off offset:480
	v_add_f64_e32 v[14:15], v[14:15], v[166:167]
	v_add_f64_e32 v[132:133], v[132:133], v[160:161]
	v_fmac_f64_e32 v[162:163], v[4:5], v[116:117]
	v_fma_f64 v[166:167], v[2:3], v[116:117], -v[118:119]
	ds_load_b128 v[2:5], v138 offset:1040
	s_wait_loadcnt_dscnt 0xa01
	v_mul_f64_e32 v[160:161], v[156:157], v[122:123]
	v_mul_f64_e32 v[122:123], v[158:159], v[122:123]
	scratch_load_b128 v[116:119], off, off offset:496
	v_add_f64_e32 v[14:15], v[14:15], v[148:149]
	v_add_f64_e32 v[132:133], v[132:133], v[164:165]
	s_wait_loadcnt_dscnt 0xa00
	v_mul_f64_e32 v[164:165], v[2:3], v[126:127]
	v_mul_f64_e32 v[126:127], v[4:5], v[126:127]
	ds_load_b128 v[148:151], v138 offset:1056
	v_fmac_f64_e32 v[160:161], v[158:159], v[120:121]
	v_fma_f64 v[156:157], v[156:157], v[120:121], -v[122:123]
	;; [unrolled: 18-line block ×4, first 2 shown]
	v_add_f64_e32 v[14:15], v[14:15], v[164:165]
	v_add_f64_e32 v[134:135], v[128:129], v[160:161]
	scratch_load_b128 v[128:131], off, off offset:576
	v_fmac_f64_e32 v[166:167], v[4:5], v[152:153]
	v_fma_f64 v[160:161], v[2:3], v[152:153], -v[154:155]
	ds_load_b128 v[2:5], v138 offset:1136
	s_wait_loadcnt_dscnt 0xa01
	v_mul_f64_e32 v[136:137], v[156:157], v[8:9]
	v_mul_f64_e32 v[8:9], v[158:159], v[8:9]
	ds_load_b128 v[152:155], v138 offset:1152
	s_wait_loadcnt_dscnt 0x901
	v_mul_f64_e32 v[164:165], v[2:3], v[12:13]
	v_mul_f64_e32 v[12:13], v[4:5], v[12:13]
	v_add_f64_e32 v[14:15], v[14:15], v[132:133]
	v_add_f64_e32 v[162:163], v[134:135], v[162:163]
	scratch_load_b128 v[132:135], off, off offset:592
	v_fmac_f64_e32 v[136:137], v[158:159], v[6:7]
	v_fma_f64 v[156:157], v[156:157], v[6:7], -v[8:9]
	scratch_load_b128 v[6:9], off, off offset:608
	v_fmac_f64_e32 v[164:165], v[4:5], v[10:11]
	v_add_f64_e32 v[14:15], v[14:15], v[160:161]
	v_add_f64_e32 v[158:159], v[162:163], v[166:167]
	v_fma_f64 v[162:163], v[2:3], v[10:11], -v[12:13]
	ds_load_b128 v[2:5], v138 offset:1168
	s_wait_loadcnt_dscnt 0xa01
	v_mul_f64_e32 v[160:161], v[152:153], v[106:107]
	v_mul_f64_e32 v[106:107], v[154:155], v[106:107]
	scratch_load_b128 v[10:13], off, off offset:624
	s_wait_loadcnt_dscnt 0xa00
	v_mul_f64_e32 v[166:167], v[2:3], v[110:111]
	v_mul_f64_e32 v[110:111], v[4:5], v[110:111]
	v_add_f64_e32 v[14:15], v[14:15], v[156:157]
	v_add_f64_e32 v[136:137], v[158:159], v[136:137]
	ds_load_b128 v[156:159], v138 offset:1184
	v_fmac_f64_e32 v[160:161], v[154:155], v[104:105]
	v_fma_f64 v[152:153], v[152:153], v[104:105], -v[106:107]
	scratch_load_b128 v[104:107], off, off offset:640
	v_fmac_f64_e32 v[166:167], v[4:5], v[108:109]
	v_add_f64_e32 v[14:15], v[14:15], v[162:163]
	v_add_f64_e32 v[136:137], v[136:137], v[164:165]
	v_fma_f64 v[164:165], v[2:3], v[108:109], -v[110:111]
	ds_load_b128 v[2:5], v138 offset:1200
	s_wait_loadcnt_dscnt 0xa01
	v_mul_f64_e32 v[162:163], v[156:157], v[114:115]
	v_mul_f64_e32 v[114:115], v[158:159], v[114:115]
	scratch_load_b128 v[108:111], off, off offset:656
	v_add_f64_e32 v[14:15], v[14:15], v[152:153]
	v_add_f64_e32 v[136:137], v[136:137], v[160:161]
	s_wait_loadcnt_dscnt 0xa00
	v_mul_f64_e32 v[160:161], v[2:3], v[118:119]
	v_mul_f64_e32 v[118:119], v[4:5], v[118:119]
	v_fmac_f64_e32 v[162:163], v[158:159], v[112:113]
	v_fma_f64 v[156:157], v[156:157], v[112:113], -v[114:115]
	ds_load_b128 v[152:155], v138 offset:1216
	scratch_load_b128 v[112:115], off, off offset:672
	v_add_f64_e32 v[14:15], v[14:15], v[164:165]
	v_add_f64_e32 v[136:137], v[136:137], v[166:167]
	v_fmac_f64_e32 v[160:161], v[4:5], v[116:117]
	v_fma_f64 v[166:167], v[2:3], v[116:117], -v[118:119]
	ds_load_b128 v[2:5], v138 offset:1232
	s_wait_loadcnt_dscnt 0xa01
	v_mul_f64_e32 v[164:165], v[152:153], v[122:123]
	v_mul_f64_e32 v[122:123], v[154:155], v[122:123]
	scratch_load_b128 v[116:119], off, off offset:688
	v_add_f64_e32 v[14:15], v[14:15], v[156:157]
	v_add_f64_e32 v[136:137], v[136:137], v[162:163]
	s_wait_loadcnt_dscnt 0xa00
	v_mul_f64_e32 v[162:163], v[2:3], v[126:127]
	v_mul_f64_e32 v[126:127], v[4:5], v[126:127]
	ds_load_b128 v[156:159], v138 offset:1248
	v_fmac_f64_e32 v[164:165], v[154:155], v[120:121]
	v_fma_f64 v[120:121], v[152:153], v[120:121], -v[122:123]
	v_add_f64_e32 v[14:15], v[14:15], v[166:167]
	v_add_f64_e32 v[122:123], v[136:137], v[160:161]
	s_wait_loadcnt_dscnt 0x900
	v_mul_f64_e32 v[136:137], v[156:157], v[150:151]
	v_mul_f64_e32 v[150:151], v[158:159], v[150:151]
	v_fmac_f64_e32 v[162:163], v[4:5], v[124:125]
	v_fma_f64 v[124:125], v[2:3], v[124:125], -v[126:127]
	v_add_f64_e32 v[14:15], v[14:15], v[120:121]
	v_add_f64_e32 v[126:127], v[122:123], v[164:165]
	ds_load_b128 v[2:5], v138 offset:1264
	ds_load_b128 v[120:123], v138 offset:1280
	v_fmac_f64_e32 v[136:137], v[158:159], v[148:149]
	v_fma_f64 v[148:149], v[156:157], v[148:149], -v[150:151]
	s_wait_loadcnt_dscnt 0x801
	v_mul_f64_e32 v[152:153], v[2:3], v[142:143]
	v_mul_f64_e32 v[142:143], v[4:5], v[142:143]
	v_add_f64_e32 v[14:15], v[14:15], v[124:125]
	v_add_f64_e32 v[124:125], v[126:127], v[162:163]
	s_wait_loadcnt_dscnt 0x700
	v_mul_f64_e32 v[150:151], v[120:121], v[130:131]
	v_mul_f64_e32 v[130:131], v[122:123], v[130:131]
	v_fmac_f64_e32 v[152:153], v[4:5], v[140:141]
	v_fma_f64 v[140:141], v[2:3], v[140:141], -v[142:143]
	v_add_f64_e32 v[14:15], v[14:15], v[148:149]
	v_add_f64_e32 v[136:137], v[124:125], v[136:137]
	ds_load_b128 v[2:5], v138 offset:1296
	ds_load_b128 v[124:127], v138 offset:1312
	v_fmac_f64_e32 v[150:151], v[122:123], v[128:129]
	v_fma_f64 v[120:121], v[120:121], v[128:129], -v[130:131]
	s_wait_loadcnt_dscnt 0x601
	v_mul_f64_e32 v[142:143], v[2:3], v[134:135]
	v_mul_f64_e32 v[134:135], v[4:5], v[134:135]
	s_wait_loadcnt_dscnt 0x500
	v_mul_f64_e32 v[128:129], v[124:125], v[8:9]
	v_mul_f64_e32 v[8:9], v[126:127], v[8:9]
	v_add_f64_e32 v[14:15], v[14:15], v[140:141]
	v_add_f64_e32 v[122:123], v[136:137], v[152:153]
	v_lshl_add_u64 v[136:137], v[20:21], 4, s[4:5]
	v_lshl_add_u64 v[20:21], v[88:89], 4, s[4:5]
	v_fmac_f64_e32 v[142:143], v[4:5], v[132:133]
	v_fma_f64 v[130:131], v[2:3], v[132:133], -v[134:135]
	v_fmac_f64_e32 v[128:129], v[126:127], v[6:7]
	v_fma_f64 v[6:7], v[124:125], v[6:7], -v[8:9]
	v_add_f64_e32 v[14:15], v[14:15], v[120:121]
	v_add_f64_e32 v[132:133], v[122:123], v[150:151]
	ds_load_b128 v[2:5], v138 offset:1328
	ds_load_b128 v[120:123], v138 offset:1344
	s_wait_loadcnt_dscnt 0x401
	v_mul_f64_e32 v[134:135], v[2:3], v[12:13]
	v_mul_f64_e32 v[12:13], v[4:5], v[12:13]
	s_wait_loadcnt_dscnt 0x300
	v_mul_f64_e32 v[124:125], v[120:121], v[106:107]
	v_mul_f64_e32 v[106:107], v[122:123], v[106:107]
	v_add_f64_e32 v[8:9], v[14:15], v[130:131]
	v_add_f64_e32 v[14:15], v[132:133], v[142:143]
	v_lshl_add_u64 v[132:133], v[24:25], 4, s[4:5]
	v_lshl_add_u64 v[130:131], v[26:27], 4, s[4:5]
	;; [unrolled: 1-line block ×4, first 2 shown]
	v_fmac_f64_e32 v[134:135], v[4:5], v[10:11]
	v_fma_f64 v[10:11], v[2:3], v[10:11], -v[12:13]
	v_fmac_f64_e32 v[124:125], v[122:123], v[104:105]
	v_fma_f64 v[104:105], v[120:121], v[104:105], -v[106:107]
	v_lshl_add_u64 v[122:123], v[32:33], 4, s[4:5]
	v_lshl_add_u64 v[120:121], v[46:47], 4, s[4:5]
	v_lshl_add_u64 v[46:47], v[62:63], 4, s[4:5]
	v_lshl_add_u64 v[32:33], v[76:77], 4, s[4:5]
	v_add_f64_e32 v[12:13], v[8:9], v[6:7]
	v_add_f64_e32 v[14:15], v[14:15], v[128:129]
	ds_load_b128 v[2:5], v138 offset:1360
	ds_load_b128 v[6:9], v138 offset:1376
	v_lshl_add_u64 v[128:129], v[28:29], 4, s[4:5]
	v_lshl_add_u64 v[28:29], v[80:81], 4, s[4:5]
	s_wait_loadcnt_dscnt 0x201
	v_mul_f64_e32 v[126:127], v[2:3], v[110:111]
	v_mul_f64_e32 v[110:111], v[4:5], v[110:111]
	s_wait_loadcnt_dscnt 0x100
	v_mul_f64_e32 v[106:107], v[8:9], v[114:115]
	v_add_f64_e32 v[10:11], v[12:13], v[10:11]
	v_add_f64_e32 v[12:13], v[14:15], v[134:135]
	v_mul_f64_e32 v[14:15], v[6:7], v[114:115]
	v_lshl_add_u64 v[134:135], v[22:23], 4, s[4:5]
	v_lshl_add_u64 v[114:115], v[36:37], 4, s[4:5]
	v_lshl_add_u64 v[36:37], v[72:73], 4, s[4:5]
	v_lshl_add_u64 v[22:23], v[86:87], 4, s[4:5]
	v_fmac_f64_e32 v[126:127], v[4:5], v[108:109]
	v_fma_f64 v[108:109], v[2:3], v[108:109], -v[110:111]
	ds_load_b128 v[2:5], v138 offset:1392
	v_fma_f64 v[6:7], v[6:7], v[112:113], -v[106:107]
	v_lshl_add_u64 v[106:107], v[40:41], 4, s[4:5]
	v_lshl_add_u64 v[40:41], v[68:69], 4, s[4:5]
	v_add_f64_e32 v[10:11], v[10:11], v[104:105]
	v_add_f64_e32 v[12:13], v[12:13], v[124:125]
	v_fmac_f64_e32 v[14:15], v[8:9], v[112:113]
	v_lshl_add_u64 v[124:125], v[42:43], 4, s[4:5]
	v_lshl_add_u64 v[112:113], v[50:51], 4, s[4:5]
	;; [unrolled: 1-line block ×4, first 2 shown]
	s_wait_loadcnt_dscnt 0x0
	v_mul_f64_e32 v[104:105], v[2:3], v[118:119]
	v_mul_f64_e32 v[110:111], v[4:5], v[118:119]
	v_lshl_add_u64 v[118:119], v[34:35], 4, s[4:5]
	v_lshl_add_u64 v[34:35], v[74:75], 4, s[4:5]
	v_add_f64_e32 v[8:9], v[10:11], v[108:109]
	v_add_f64_e32 v[10:11], v[12:13], v[126:127]
	v_lshl_add_u64 v[126:127], v[30:31], 4, s[4:5]
	v_lshl_add_u64 v[108:109], v[52:53], 4, s[4:5]
	;; [unrolled: 1-line block ×5, first 2 shown]
	v_fmac_f64_e32 v[104:105], v[4:5], v[116:117]
	v_fma_f64 v[2:3], v[2:3], v[116:117], -v[110:111]
	v_lshl_add_u64 v[110:111], v[38:39], 4, s[4:5]
	v_lshl_add_u64 v[116:117], v[48:49], 4, s[4:5]
	v_lshl_add_u64 v[48:49], v[60:61], 4, s[4:5]
	v_lshl_add_u64 v[38:39], v[70:71], 4, s[4:5]
	v_add_f64_e32 v[4:5], v[8:9], v[6:7]
	v_add_f64_e32 v[6:7], v[10:11], v[14:15]
	v_lshl_add_u64 v[14:15], v[90:91], 4, s[4:5]
	v_lshl_add_u64 v[10:11], v[94:95], 4, s[4:5]
	;; [unrolled: 1-line block ×3, first 2 shown]
	v_add_f64_e32 v[2:3], v[4:5], v[2:3]
	v_add_f64_e32 v[4:5], v[6:7], v[104:105]
	v_lshl_add_u64 v[104:105], v[44:45], 4, s[4:5]
	v_lshl_add_u64 v[44:45], v[64:65], 4, s[4:5]
	v_lshl_add_u64 v[6:7], v[98:99], 4, s[4:5]
	v_add_f64_e64 v[140:141], v[144:145], -v[2:3]
	v_add_f64_e64 v[142:143], v[146:147], -v[4:5]
	v_lshl_add_u64 v[4:5], v[100:101], 4, s[4:5]
	v_lshl_add_u64 v[2:3], v[102:103], 4, s[4:5]
	scratch_store_b128 off, v[140:143], off
	s_cbranch_vccz .LBB107_364
; %bb.278:
	global_load_b32 v56, v138, s[8:9] offset:168
	s_load_b64 s[2:3], s[0:1], 0x4
	v_bfe_u32 v57, v0, 10, 10
	v_bfe_u32 v0, v0, 20, 10
	s_wait_kmcnt 0x0
	s_lshr_b32 s0, s2, 16
	s_delay_alu instid0(VALU_DEP_2) | instskip(SKIP_1) | instid1(SALU_CYCLE_1)
	v_mul_u32_u24_e32 v57, s3, v57
	s_mul_i32 s0, s0, s3
	v_mul_u32_u24_e32 v1, s0, v1
	s_delay_alu instid0(VALU_DEP_1) | instskip(NEXT) | instid1(VALU_DEP_1)
	v_add3_u32 v0, v1, v57, v0
	v_lshl_add_u32 v0, v0, 4, 0x588
	s_wait_loadcnt 0x0
	v_cmp_ne_u32_e32 vcc_lo, 43, v56
	s_cbranch_vccz .LBB107_280
; %bb.279:
	v_lshlrev_b32_e32 v1, 4, v56
	s_clause 0x1
	scratch_load_b128 v[56:59], off, s15
	scratch_load_b128 v[60:63], v1, off offset:-16
	s_wait_loadcnt 0x1
	ds_store_2addr_b64 v0, v[56:57], v[58:59] offset1:1
	s_wait_loadcnt 0x0
	s_clause 0x1
	scratch_store_b128 off, v[60:63], s15
	scratch_store_b128 v1, v[56:59], off offset:-16
.LBB107_280:
	s_wait_xcnt 0x0
	v_mov_b32_e32 v1, 0
	global_load_b32 v56, v1, s[8:9] offset:164
	s_wait_loadcnt 0x0
	v_cmp_eq_u32_e32 vcc_lo, 42, v56
	s_cbranch_vccnz .LBB107_282
; %bb.281:
	v_lshlrev_b32_e32 v56, 4, v56
	s_delay_alu instid0(VALU_DEP_1)
	v_mov_b32_e32 v64, v56
	s_clause 0x1
	scratch_load_b128 v[56:59], off, s17
	scratch_load_b128 v[60:63], v64, off offset:-16
	s_wait_loadcnt 0x1
	ds_store_2addr_b64 v0, v[56:57], v[58:59] offset1:1
	s_wait_loadcnt 0x0
	s_clause 0x1
	scratch_store_b128 off, v[60:63], s17
	scratch_store_b128 v64, v[56:59], off offset:-16
.LBB107_282:
	global_load_b32 v1, v1, s[8:9] offset:160
	s_wait_loadcnt 0x0
	v_cmp_eq_u32_e32 vcc_lo, 41, v1
	s_cbranch_vccnz .LBB107_284
; %bb.283:
	s_wait_xcnt 0x0
	v_lshlrev_b32_e32 v1, 4, v1
	s_clause 0x1
	scratch_load_b128 v[56:59], off, s19
	scratch_load_b128 v[60:63], v1, off offset:-16
	s_wait_loadcnt 0x1
	ds_store_2addr_b64 v0, v[56:57], v[58:59] offset1:1
	s_wait_loadcnt 0x0
	s_clause 0x1
	scratch_store_b128 off, v[60:63], s19
	scratch_store_b128 v1, v[56:59], off offset:-16
.LBB107_284:
	s_wait_xcnt 0x0
	v_mov_b32_e32 v1, 0
	global_load_b32 v56, v1, s[8:9] offset:156
	s_wait_loadcnt 0x0
	v_cmp_eq_u32_e32 vcc_lo, 40, v56
	s_cbranch_vccnz .LBB107_286
; %bb.285:
	v_lshlrev_b32_e32 v56, 4, v56
	s_delay_alu instid0(VALU_DEP_1)
	v_mov_b32_e32 v64, v56
	s_clause 0x1
	scratch_load_b128 v[56:59], off, s20
	scratch_load_b128 v[60:63], v64, off offset:-16
	s_wait_loadcnt 0x1
	ds_store_2addr_b64 v0, v[56:57], v[58:59] offset1:1
	s_wait_loadcnt 0x0
	s_clause 0x1
	scratch_store_b128 off, v[60:63], s20
	scratch_store_b128 v64, v[56:59], off offset:-16
.LBB107_286:
	global_load_b32 v1, v1, s[8:9] offset:152
	s_wait_loadcnt 0x0
	v_cmp_eq_u32_e32 vcc_lo, 39, v1
	s_cbranch_vccnz .LBB107_288
; %bb.287:
	s_wait_xcnt 0x0
	v_lshlrev_b32_e32 v1, 4, v1
	s_clause 0x1
	scratch_load_b128 v[56:59], off, s21
	scratch_load_b128 v[60:63], v1, off offset:-16
	s_wait_loadcnt 0x1
	ds_store_2addr_b64 v0, v[56:57], v[58:59] offset1:1
	s_wait_loadcnt 0x0
	s_clause 0x1
	scratch_store_b128 off, v[60:63], s21
	scratch_store_b128 v1, v[56:59], off offset:-16
.LBB107_288:
	s_wait_xcnt 0x0
	v_mov_b32_e32 v1, 0
	global_load_b32 v56, v1, s[8:9] offset:148
	s_wait_loadcnt 0x0
	v_cmp_eq_u32_e32 vcc_lo, 38, v56
	s_cbranch_vccnz .LBB107_290
; %bb.289:
	v_lshlrev_b32_e32 v56, 4, v56
	s_delay_alu instid0(VALU_DEP_1)
	v_mov_b32_e32 v64, v56
	s_clause 0x1
	scratch_load_b128 v[56:59], off, s22
	scratch_load_b128 v[60:63], v64, off offset:-16
	s_wait_loadcnt 0x1
	ds_store_2addr_b64 v0, v[56:57], v[58:59] offset1:1
	s_wait_loadcnt 0x0
	s_clause 0x1
	scratch_store_b128 off, v[60:63], s22
	scratch_store_b128 v64, v[56:59], off offset:-16
.LBB107_290:
	global_load_b32 v1, v1, s[8:9] offset:144
	s_wait_loadcnt 0x0
	v_cmp_eq_u32_e32 vcc_lo, 37, v1
	s_cbranch_vccnz .LBB107_292
; %bb.291:
	s_wait_xcnt 0x0
	v_lshlrev_b32_e32 v1, 4, v1
	s_clause 0x1
	scratch_load_b128 v[56:59], off, s23
	scratch_load_b128 v[60:63], v1, off offset:-16
	s_wait_loadcnt 0x1
	ds_store_2addr_b64 v0, v[56:57], v[58:59] offset1:1
	s_wait_loadcnt 0x0
	s_clause 0x1
	scratch_store_b128 off, v[60:63], s23
	scratch_store_b128 v1, v[56:59], off offset:-16
.LBB107_292:
	s_wait_xcnt 0x0
	v_mov_b32_e32 v1, 0
	global_load_b32 v56, v1, s[8:9] offset:140
	s_wait_loadcnt 0x0
	v_cmp_eq_u32_e32 vcc_lo, 36, v56
	s_cbranch_vccnz .LBB107_294
; %bb.293:
	v_lshlrev_b32_e32 v56, 4, v56
	s_delay_alu instid0(VALU_DEP_1)
	v_mov_b32_e32 v64, v56
	s_clause 0x1
	scratch_load_b128 v[56:59], off, s24
	scratch_load_b128 v[60:63], v64, off offset:-16
	s_wait_loadcnt 0x1
	ds_store_2addr_b64 v0, v[56:57], v[58:59] offset1:1
	s_wait_loadcnt 0x0
	s_clause 0x1
	scratch_store_b128 off, v[60:63], s24
	scratch_store_b128 v64, v[56:59], off offset:-16
.LBB107_294:
	global_load_b32 v1, v1, s[8:9] offset:136
	s_wait_loadcnt 0x0
	v_cmp_eq_u32_e32 vcc_lo, 35, v1
	s_cbranch_vccnz .LBB107_296
; %bb.295:
	s_wait_xcnt 0x0
	v_lshlrev_b32_e32 v1, 4, v1
	s_clause 0x1
	scratch_load_b128 v[56:59], off, s25
	scratch_load_b128 v[60:63], v1, off offset:-16
	s_wait_loadcnt 0x1
	ds_store_2addr_b64 v0, v[56:57], v[58:59] offset1:1
	s_wait_loadcnt 0x0
	s_clause 0x1
	scratch_store_b128 off, v[60:63], s25
	scratch_store_b128 v1, v[56:59], off offset:-16
.LBB107_296:
	s_wait_xcnt 0x0
	v_mov_b32_e32 v1, 0
	global_load_b32 v56, v1, s[8:9] offset:132
	s_wait_loadcnt 0x0
	v_cmp_eq_u32_e32 vcc_lo, 34, v56
	s_cbranch_vccnz .LBB107_298
; %bb.297:
	v_lshlrev_b32_e32 v56, 4, v56
	s_delay_alu instid0(VALU_DEP_1)
	v_mov_b32_e32 v64, v56
	s_clause 0x1
	scratch_load_b128 v[56:59], off, s26
	scratch_load_b128 v[60:63], v64, off offset:-16
	s_wait_loadcnt 0x1
	ds_store_2addr_b64 v0, v[56:57], v[58:59] offset1:1
	s_wait_loadcnt 0x0
	s_clause 0x1
	scratch_store_b128 off, v[60:63], s26
	scratch_store_b128 v64, v[56:59], off offset:-16
.LBB107_298:
	global_load_b32 v1, v1, s[8:9] offset:128
	s_wait_loadcnt 0x0
	v_cmp_eq_u32_e32 vcc_lo, 33, v1
	s_cbranch_vccnz .LBB107_300
; %bb.299:
	s_wait_xcnt 0x0
	v_lshlrev_b32_e32 v1, 4, v1
	s_clause 0x1
	scratch_load_b128 v[56:59], off, s27
	scratch_load_b128 v[60:63], v1, off offset:-16
	s_wait_loadcnt 0x1
	ds_store_2addr_b64 v0, v[56:57], v[58:59] offset1:1
	s_wait_loadcnt 0x0
	s_clause 0x1
	scratch_store_b128 off, v[60:63], s27
	scratch_store_b128 v1, v[56:59], off offset:-16
.LBB107_300:
	s_wait_xcnt 0x0
	v_mov_b32_e32 v1, 0
	global_load_b32 v56, v1, s[8:9] offset:124
	s_wait_loadcnt 0x0
	v_cmp_eq_u32_e32 vcc_lo, 32, v56
	s_cbranch_vccnz .LBB107_302
; %bb.301:
	v_lshlrev_b32_e32 v56, 4, v56
	s_delay_alu instid0(VALU_DEP_1)
	v_mov_b32_e32 v64, v56
	s_clause 0x1
	scratch_load_b128 v[56:59], off, s28
	scratch_load_b128 v[60:63], v64, off offset:-16
	s_wait_loadcnt 0x1
	ds_store_2addr_b64 v0, v[56:57], v[58:59] offset1:1
	s_wait_loadcnt 0x0
	s_clause 0x1
	scratch_store_b128 off, v[60:63], s28
	scratch_store_b128 v64, v[56:59], off offset:-16
.LBB107_302:
	global_load_b32 v1, v1, s[8:9] offset:120
	s_wait_loadcnt 0x0
	v_cmp_eq_u32_e32 vcc_lo, 31, v1
	s_cbranch_vccnz .LBB107_304
; %bb.303:
	s_wait_xcnt 0x0
	v_lshlrev_b32_e32 v1, 4, v1
	s_clause 0x1
	scratch_load_b128 v[56:59], off, s29
	scratch_load_b128 v[60:63], v1, off offset:-16
	s_wait_loadcnt 0x1
	ds_store_2addr_b64 v0, v[56:57], v[58:59] offset1:1
	s_wait_loadcnt 0x0
	s_clause 0x1
	scratch_store_b128 off, v[60:63], s29
	scratch_store_b128 v1, v[56:59], off offset:-16
.LBB107_304:
	s_wait_xcnt 0x0
	v_mov_b32_e32 v1, 0
	global_load_b32 v56, v1, s[8:9] offset:116
	s_wait_loadcnt 0x0
	v_cmp_eq_u32_e32 vcc_lo, 30, v56
	s_cbranch_vccnz .LBB107_306
; %bb.305:
	v_lshlrev_b32_e32 v56, 4, v56
	s_delay_alu instid0(VALU_DEP_1)
	v_mov_b32_e32 v64, v56
	s_clause 0x1
	scratch_load_b128 v[56:59], off, s30
	scratch_load_b128 v[60:63], v64, off offset:-16
	s_wait_loadcnt 0x1
	ds_store_2addr_b64 v0, v[56:57], v[58:59] offset1:1
	s_wait_loadcnt 0x0
	s_clause 0x1
	scratch_store_b128 off, v[60:63], s30
	scratch_store_b128 v64, v[56:59], off offset:-16
.LBB107_306:
	global_load_b32 v1, v1, s[8:9] offset:112
	s_wait_loadcnt 0x0
	v_cmp_eq_u32_e32 vcc_lo, 29, v1
	s_cbranch_vccnz .LBB107_308
; %bb.307:
	s_wait_xcnt 0x0
	v_lshlrev_b32_e32 v1, 4, v1
	s_clause 0x1
	scratch_load_b128 v[56:59], off, s31
	scratch_load_b128 v[60:63], v1, off offset:-16
	s_wait_loadcnt 0x1
	ds_store_2addr_b64 v0, v[56:57], v[58:59] offset1:1
	s_wait_loadcnt 0x0
	s_clause 0x1
	scratch_store_b128 off, v[60:63], s31
	scratch_store_b128 v1, v[56:59], off offset:-16
.LBB107_308:
	s_wait_xcnt 0x0
	v_mov_b32_e32 v1, 0
	global_load_b32 v56, v1, s[8:9] offset:108
	s_wait_loadcnt 0x0
	v_cmp_eq_u32_e32 vcc_lo, 28, v56
	s_cbranch_vccnz .LBB107_310
; %bb.309:
	v_lshlrev_b32_e32 v56, 4, v56
	s_delay_alu instid0(VALU_DEP_1)
	v_mov_b32_e32 v64, v56
	s_clause 0x1
	scratch_load_b128 v[56:59], off, s33
	scratch_load_b128 v[60:63], v64, off offset:-16
	s_wait_loadcnt 0x1
	ds_store_2addr_b64 v0, v[56:57], v[58:59] offset1:1
	s_wait_loadcnt 0x0
	s_clause 0x1
	scratch_store_b128 off, v[60:63], s33
	scratch_store_b128 v64, v[56:59], off offset:-16
.LBB107_310:
	global_load_b32 v1, v1, s[8:9] offset:104
	s_wait_loadcnt 0x0
	v_cmp_eq_u32_e32 vcc_lo, 27, v1
	s_cbranch_vccnz .LBB107_312
; %bb.311:
	s_wait_xcnt 0x0
	v_lshlrev_b32_e32 v1, 4, v1
	s_clause 0x1
	scratch_load_b128 v[56:59], off, s34
	scratch_load_b128 v[60:63], v1, off offset:-16
	s_wait_loadcnt 0x1
	ds_store_2addr_b64 v0, v[56:57], v[58:59] offset1:1
	s_wait_loadcnt 0x0
	s_clause 0x1
	scratch_store_b128 off, v[60:63], s34
	scratch_store_b128 v1, v[56:59], off offset:-16
.LBB107_312:
	s_wait_xcnt 0x0
	v_mov_b32_e32 v1, 0
	global_load_b32 v56, v1, s[8:9] offset:100
	s_wait_loadcnt 0x0
	v_cmp_eq_u32_e32 vcc_lo, 26, v56
	s_cbranch_vccnz .LBB107_314
; %bb.313:
	v_lshlrev_b32_e32 v56, 4, v56
	s_delay_alu instid0(VALU_DEP_1)
	v_mov_b32_e32 v64, v56
	s_clause 0x1
	scratch_load_b128 v[56:59], off, s35
	scratch_load_b128 v[60:63], v64, off offset:-16
	s_wait_loadcnt 0x1
	ds_store_2addr_b64 v0, v[56:57], v[58:59] offset1:1
	s_wait_loadcnt 0x0
	s_clause 0x1
	scratch_store_b128 off, v[60:63], s35
	scratch_store_b128 v64, v[56:59], off offset:-16
.LBB107_314:
	global_load_b32 v1, v1, s[8:9] offset:96
	s_wait_loadcnt 0x0
	v_cmp_eq_u32_e32 vcc_lo, 25, v1
	s_cbranch_vccnz .LBB107_316
; %bb.315:
	s_wait_xcnt 0x0
	v_lshlrev_b32_e32 v1, 4, v1
	s_clause 0x1
	scratch_load_b128 v[56:59], off, s36
	scratch_load_b128 v[60:63], v1, off offset:-16
	s_wait_loadcnt 0x1
	ds_store_2addr_b64 v0, v[56:57], v[58:59] offset1:1
	s_wait_loadcnt 0x0
	s_clause 0x1
	scratch_store_b128 off, v[60:63], s36
	scratch_store_b128 v1, v[56:59], off offset:-16
.LBB107_316:
	s_wait_xcnt 0x0
	v_mov_b32_e32 v1, 0
	global_load_b32 v56, v1, s[8:9] offset:92
	s_wait_loadcnt 0x0
	v_cmp_eq_u32_e32 vcc_lo, 24, v56
	s_cbranch_vccnz .LBB107_318
; %bb.317:
	v_lshlrev_b32_e32 v56, 4, v56
	s_delay_alu instid0(VALU_DEP_1)
	v_mov_b32_e32 v64, v56
	s_clause 0x1
	scratch_load_b128 v[56:59], off, s37
	scratch_load_b128 v[60:63], v64, off offset:-16
	s_wait_loadcnt 0x1
	ds_store_2addr_b64 v0, v[56:57], v[58:59] offset1:1
	s_wait_loadcnt 0x0
	s_clause 0x1
	scratch_store_b128 off, v[60:63], s37
	scratch_store_b128 v64, v[56:59], off offset:-16
.LBB107_318:
	global_load_b32 v1, v1, s[8:9] offset:88
	s_wait_loadcnt 0x0
	v_cmp_eq_u32_e32 vcc_lo, 23, v1
	s_cbranch_vccnz .LBB107_320
; %bb.319:
	s_wait_xcnt 0x0
	v_lshlrev_b32_e32 v1, 4, v1
	s_clause 0x1
	scratch_load_b128 v[56:59], off, s38
	scratch_load_b128 v[60:63], v1, off offset:-16
	s_wait_loadcnt 0x1
	ds_store_2addr_b64 v0, v[56:57], v[58:59] offset1:1
	s_wait_loadcnt 0x0
	s_clause 0x1
	scratch_store_b128 off, v[60:63], s38
	scratch_store_b128 v1, v[56:59], off offset:-16
.LBB107_320:
	s_wait_xcnt 0x0
	v_mov_b32_e32 v1, 0
	global_load_b32 v56, v1, s[8:9] offset:84
	s_wait_loadcnt 0x0
	v_cmp_eq_u32_e32 vcc_lo, 22, v56
	s_cbranch_vccnz .LBB107_322
; %bb.321:
	v_lshlrev_b32_e32 v56, 4, v56
	s_delay_alu instid0(VALU_DEP_1)
	v_mov_b32_e32 v64, v56
	s_clause 0x1
	scratch_load_b128 v[56:59], off, s39
	scratch_load_b128 v[60:63], v64, off offset:-16
	s_wait_loadcnt 0x1
	ds_store_2addr_b64 v0, v[56:57], v[58:59] offset1:1
	s_wait_loadcnt 0x0
	s_clause 0x1
	scratch_store_b128 off, v[60:63], s39
	scratch_store_b128 v64, v[56:59], off offset:-16
.LBB107_322:
	global_load_b32 v1, v1, s[8:9] offset:80
	s_wait_loadcnt 0x0
	v_cmp_eq_u32_e32 vcc_lo, 21, v1
	s_cbranch_vccnz .LBB107_324
; %bb.323:
	s_wait_xcnt 0x0
	v_lshlrev_b32_e32 v1, 4, v1
	s_clause 0x1
	scratch_load_b128 v[56:59], off, s40
	scratch_load_b128 v[60:63], v1, off offset:-16
	s_wait_loadcnt 0x1
	ds_store_2addr_b64 v0, v[56:57], v[58:59] offset1:1
	s_wait_loadcnt 0x0
	s_clause 0x1
	scratch_store_b128 off, v[60:63], s40
	scratch_store_b128 v1, v[56:59], off offset:-16
.LBB107_324:
	s_wait_xcnt 0x0
	v_mov_b32_e32 v1, 0
	global_load_b32 v56, v1, s[8:9] offset:76
	s_wait_loadcnt 0x0
	v_cmp_eq_u32_e32 vcc_lo, 20, v56
	s_cbranch_vccnz .LBB107_326
; %bb.325:
	v_lshlrev_b32_e32 v56, 4, v56
	s_delay_alu instid0(VALU_DEP_1)
	v_mov_b32_e32 v64, v56
	s_clause 0x1
	scratch_load_b128 v[56:59], off, s41
	scratch_load_b128 v[60:63], v64, off offset:-16
	s_wait_loadcnt 0x1
	ds_store_2addr_b64 v0, v[56:57], v[58:59] offset1:1
	s_wait_loadcnt 0x0
	s_clause 0x1
	scratch_store_b128 off, v[60:63], s41
	scratch_store_b128 v64, v[56:59], off offset:-16
.LBB107_326:
	global_load_b32 v1, v1, s[8:9] offset:72
	s_wait_loadcnt 0x0
	v_cmp_eq_u32_e32 vcc_lo, 19, v1
	s_cbranch_vccnz .LBB107_328
; %bb.327:
	s_wait_xcnt 0x0
	v_lshlrev_b32_e32 v1, 4, v1
	s_clause 0x1
	scratch_load_b128 v[56:59], off, s42
	scratch_load_b128 v[60:63], v1, off offset:-16
	s_wait_loadcnt 0x1
	ds_store_2addr_b64 v0, v[56:57], v[58:59] offset1:1
	s_wait_loadcnt 0x0
	s_clause 0x1
	scratch_store_b128 off, v[60:63], s42
	scratch_store_b128 v1, v[56:59], off offset:-16
.LBB107_328:
	s_wait_xcnt 0x0
	v_mov_b32_e32 v1, 0
	global_load_b32 v56, v1, s[8:9] offset:68
	s_wait_loadcnt 0x0
	v_cmp_eq_u32_e32 vcc_lo, 18, v56
	s_cbranch_vccnz .LBB107_330
; %bb.329:
	v_lshlrev_b32_e32 v56, 4, v56
	s_delay_alu instid0(VALU_DEP_1)
	v_mov_b32_e32 v64, v56
	s_clause 0x1
	scratch_load_b128 v[56:59], off, s43
	scratch_load_b128 v[60:63], v64, off offset:-16
	s_wait_loadcnt 0x1
	ds_store_2addr_b64 v0, v[56:57], v[58:59] offset1:1
	s_wait_loadcnt 0x0
	s_clause 0x1
	scratch_store_b128 off, v[60:63], s43
	scratch_store_b128 v64, v[56:59], off offset:-16
.LBB107_330:
	global_load_b32 v1, v1, s[8:9] offset:64
	s_wait_loadcnt 0x0
	v_cmp_eq_u32_e32 vcc_lo, 17, v1
	s_cbranch_vccnz .LBB107_332
; %bb.331:
	s_wait_xcnt 0x0
	v_lshlrev_b32_e32 v1, 4, v1
	s_clause 0x1
	scratch_load_b128 v[56:59], off, s44
	scratch_load_b128 v[60:63], v1, off offset:-16
	s_wait_loadcnt 0x1
	ds_store_2addr_b64 v0, v[56:57], v[58:59] offset1:1
	s_wait_loadcnt 0x0
	s_clause 0x1
	scratch_store_b128 off, v[60:63], s44
	scratch_store_b128 v1, v[56:59], off offset:-16
.LBB107_332:
	s_wait_xcnt 0x0
	v_mov_b32_e32 v1, 0
	global_load_b32 v56, v1, s[8:9] offset:60
	s_wait_loadcnt 0x0
	v_cmp_eq_u32_e32 vcc_lo, 16, v56
	s_cbranch_vccnz .LBB107_334
; %bb.333:
	v_lshlrev_b32_e32 v56, 4, v56
	s_delay_alu instid0(VALU_DEP_1)
	v_mov_b32_e32 v64, v56
	s_clause 0x1
	scratch_load_b128 v[56:59], off, s45
	scratch_load_b128 v[60:63], v64, off offset:-16
	s_wait_loadcnt 0x1
	ds_store_2addr_b64 v0, v[56:57], v[58:59] offset1:1
	s_wait_loadcnt 0x0
	s_clause 0x1
	scratch_store_b128 off, v[60:63], s45
	scratch_store_b128 v64, v[56:59], off offset:-16
.LBB107_334:
	global_load_b32 v1, v1, s[8:9] offset:56
	s_wait_loadcnt 0x0
	v_cmp_eq_u32_e32 vcc_lo, 15, v1
	s_cbranch_vccnz .LBB107_336
; %bb.335:
	s_wait_xcnt 0x0
	v_lshlrev_b32_e32 v1, 4, v1
	s_clause 0x1
	scratch_load_b128 v[56:59], off, s46
	scratch_load_b128 v[60:63], v1, off offset:-16
	s_wait_loadcnt 0x1
	ds_store_2addr_b64 v0, v[56:57], v[58:59] offset1:1
	s_wait_loadcnt 0x0
	s_clause 0x1
	scratch_store_b128 off, v[60:63], s46
	scratch_store_b128 v1, v[56:59], off offset:-16
.LBB107_336:
	s_wait_xcnt 0x0
	v_mov_b32_e32 v1, 0
	global_load_b32 v56, v1, s[8:9] offset:52
	s_wait_loadcnt 0x0
	v_cmp_eq_u32_e32 vcc_lo, 14, v56
	s_cbranch_vccnz .LBB107_338
; %bb.337:
	v_lshlrev_b32_e32 v56, 4, v56
	s_delay_alu instid0(VALU_DEP_1)
	v_mov_b32_e32 v64, v56
	s_clause 0x1
	scratch_load_b128 v[56:59], off, s47
	scratch_load_b128 v[60:63], v64, off offset:-16
	s_wait_loadcnt 0x1
	ds_store_2addr_b64 v0, v[56:57], v[58:59] offset1:1
	s_wait_loadcnt 0x0
	s_clause 0x1
	scratch_store_b128 off, v[60:63], s47
	scratch_store_b128 v64, v[56:59], off offset:-16
.LBB107_338:
	global_load_b32 v1, v1, s[8:9] offset:48
	s_wait_loadcnt 0x0
	v_cmp_eq_u32_e32 vcc_lo, 13, v1
	s_cbranch_vccnz .LBB107_340
; %bb.339:
	s_wait_xcnt 0x0
	v_lshlrev_b32_e32 v1, 4, v1
	s_clause 0x1
	scratch_load_b128 v[56:59], off, s48
	scratch_load_b128 v[60:63], v1, off offset:-16
	s_wait_loadcnt 0x1
	ds_store_2addr_b64 v0, v[56:57], v[58:59] offset1:1
	s_wait_loadcnt 0x0
	s_clause 0x1
	scratch_store_b128 off, v[60:63], s48
	scratch_store_b128 v1, v[56:59], off offset:-16
.LBB107_340:
	s_wait_xcnt 0x0
	v_mov_b32_e32 v1, 0
	global_load_b32 v56, v1, s[8:9] offset:44
	s_wait_loadcnt 0x0
	v_cmp_eq_u32_e32 vcc_lo, 12, v56
	s_cbranch_vccnz .LBB107_342
; %bb.341:
	v_lshlrev_b32_e32 v56, 4, v56
	s_delay_alu instid0(VALU_DEP_1)
	v_mov_b32_e32 v64, v56
	s_clause 0x1
	scratch_load_b128 v[56:59], off, s49
	scratch_load_b128 v[60:63], v64, off offset:-16
	s_wait_loadcnt 0x1
	ds_store_2addr_b64 v0, v[56:57], v[58:59] offset1:1
	s_wait_loadcnt 0x0
	s_clause 0x1
	scratch_store_b128 off, v[60:63], s49
	scratch_store_b128 v64, v[56:59], off offset:-16
.LBB107_342:
	global_load_b32 v1, v1, s[8:9] offset:40
	s_wait_loadcnt 0x0
	v_cmp_eq_u32_e32 vcc_lo, 11, v1
	s_cbranch_vccnz .LBB107_344
; %bb.343:
	s_wait_xcnt 0x0
	v_lshlrev_b32_e32 v1, 4, v1
	s_clause 0x1
	scratch_load_b128 v[56:59], off, s50
	scratch_load_b128 v[60:63], v1, off offset:-16
	s_wait_loadcnt 0x1
	ds_store_2addr_b64 v0, v[56:57], v[58:59] offset1:1
	s_wait_loadcnt 0x0
	s_clause 0x1
	scratch_store_b128 off, v[60:63], s50
	scratch_store_b128 v1, v[56:59], off offset:-16
.LBB107_344:
	s_wait_xcnt 0x0
	v_mov_b32_e32 v1, 0
	global_load_b32 v56, v1, s[8:9] offset:36
	s_wait_loadcnt 0x0
	v_cmp_eq_u32_e32 vcc_lo, 10, v56
	s_cbranch_vccnz .LBB107_346
; %bb.345:
	v_lshlrev_b32_e32 v56, 4, v56
	s_delay_alu instid0(VALU_DEP_1)
	v_mov_b32_e32 v64, v56
	s_clause 0x1
	scratch_load_b128 v[56:59], off, s51
	scratch_load_b128 v[60:63], v64, off offset:-16
	s_wait_loadcnt 0x1
	ds_store_2addr_b64 v0, v[56:57], v[58:59] offset1:1
	s_wait_loadcnt 0x0
	s_clause 0x1
	scratch_store_b128 off, v[60:63], s51
	scratch_store_b128 v64, v[56:59], off offset:-16
.LBB107_346:
	global_load_b32 v1, v1, s[8:9] offset:32
	s_wait_loadcnt 0x0
	v_cmp_eq_u32_e32 vcc_lo, 9, v1
	s_cbranch_vccnz .LBB107_348
; %bb.347:
	s_wait_xcnt 0x0
	v_lshlrev_b32_e32 v1, 4, v1
	s_clause 0x1
	scratch_load_b128 v[56:59], off, s52
	scratch_load_b128 v[60:63], v1, off offset:-16
	s_wait_loadcnt 0x1
	ds_store_2addr_b64 v0, v[56:57], v[58:59] offset1:1
	s_wait_loadcnt 0x0
	s_clause 0x1
	scratch_store_b128 off, v[60:63], s52
	scratch_store_b128 v1, v[56:59], off offset:-16
.LBB107_348:
	s_wait_xcnt 0x0
	v_mov_b32_e32 v1, 0
	global_load_b32 v56, v1, s[8:9] offset:28
	s_wait_loadcnt 0x0
	v_cmp_eq_u32_e32 vcc_lo, 8, v56
	s_cbranch_vccnz .LBB107_350
; %bb.349:
	v_lshlrev_b32_e32 v56, 4, v56
	s_delay_alu instid0(VALU_DEP_1)
	v_mov_b32_e32 v64, v56
	s_clause 0x1
	scratch_load_b128 v[56:59], off, s53
	scratch_load_b128 v[60:63], v64, off offset:-16
	s_wait_loadcnt 0x1
	ds_store_2addr_b64 v0, v[56:57], v[58:59] offset1:1
	s_wait_loadcnt 0x0
	s_clause 0x1
	scratch_store_b128 off, v[60:63], s53
	scratch_store_b128 v64, v[56:59], off offset:-16
.LBB107_350:
	global_load_b32 v1, v1, s[8:9] offset:24
	s_wait_loadcnt 0x0
	v_cmp_eq_u32_e32 vcc_lo, 7, v1
	s_cbranch_vccnz .LBB107_352
; %bb.351:
	s_wait_xcnt 0x0
	v_lshlrev_b32_e32 v1, 4, v1
	s_clause 0x1
	scratch_load_b128 v[56:59], off, s54
	scratch_load_b128 v[60:63], v1, off offset:-16
	s_wait_loadcnt 0x1
	ds_store_2addr_b64 v0, v[56:57], v[58:59] offset1:1
	s_wait_loadcnt 0x0
	s_clause 0x1
	scratch_store_b128 off, v[60:63], s54
	scratch_store_b128 v1, v[56:59], off offset:-16
.LBB107_352:
	s_wait_xcnt 0x0
	v_mov_b32_e32 v1, 0
	global_load_b32 v56, v1, s[8:9] offset:20
	s_wait_loadcnt 0x0
	v_cmp_eq_u32_e32 vcc_lo, 6, v56
	s_cbranch_vccnz .LBB107_354
; %bb.353:
	v_lshlrev_b32_e32 v56, 4, v56
	s_delay_alu instid0(VALU_DEP_1)
	v_mov_b32_e32 v64, v56
	s_clause 0x1
	scratch_load_b128 v[56:59], off, s55
	scratch_load_b128 v[60:63], v64, off offset:-16
	s_wait_loadcnt 0x1
	ds_store_2addr_b64 v0, v[56:57], v[58:59] offset1:1
	s_wait_loadcnt 0x0
	s_clause 0x1
	scratch_store_b128 off, v[60:63], s55
	scratch_store_b128 v64, v[56:59], off offset:-16
.LBB107_354:
	global_load_b32 v1, v1, s[8:9] offset:16
	s_wait_loadcnt 0x0
	v_cmp_eq_u32_e32 vcc_lo, 5, v1
	s_cbranch_vccnz .LBB107_356
; %bb.355:
	s_wait_xcnt 0x0
	v_lshlrev_b32_e32 v1, 4, v1
	s_clause 0x1
	scratch_load_b128 v[56:59], off, s12
	scratch_load_b128 v[60:63], v1, off offset:-16
	s_wait_loadcnt 0x1
	ds_store_2addr_b64 v0, v[56:57], v[58:59] offset1:1
	s_wait_loadcnt 0x0
	s_clause 0x1
	scratch_store_b128 off, v[60:63], s12
	scratch_store_b128 v1, v[56:59], off offset:-16
.LBB107_356:
	s_wait_xcnt 0x0
	v_mov_b32_e32 v1, 0
	global_load_b32 v56, v1, s[8:9] offset:12
	s_wait_loadcnt 0x0
	v_cmp_eq_u32_e32 vcc_lo, 4, v56
	s_cbranch_vccnz .LBB107_358
; %bb.357:
	v_lshlrev_b32_e32 v56, 4, v56
	s_delay_alu instid0(VALU_DEP_1)
	v_mov_b32_e32 v64, v56
	s_clause 0x1
	scratch_load_b128 v[56:59], off, s14
	scratch_load_b128 v[60:63], v64, off offset:-16
	s_wait_loadcnt 0x1
	ds_store_2addr_b64 v0, v[56:57], v[58:59] offset1:1
	s_wait_loadcnt 0x0
	s_clause 0x1
	scratch_store_b128 off, v[60:63], s14
	scratch_store_b128 v64, v[56:59], off offset:-16
.LBB107_358:
	global_load_b32 v1, v1, s[8:9] offset:8
	s_wait_loadcnt 0x0
	v_cmp_eq_u32_e32 vcc_lo, 3, v1
	s_cbranch_vccnz .LBB107_360
; %bb.359:
	s_wait_xcnt 0x0
	v_lshlrev_b32_e32 v1, 4, v1
	s_clause 0x1
	scratch_load_b128 v[56:59], off, s16
	scratch_load_b128 v[60:63], v1, off offset:-16
	s_wait_loadcnt 0x1
	ds_store_2addr_b64 v0, v[56:57], v[58:59] offset1:1
	s_wait_loadcnt 0x0
	s_clause 0x1
	scratch_store_b128 off, v[60:63], s16
	scratch_store_b128 v1, v[56:59], off offset:-16
.LBB107_360:
	s_wait_xcnt 0x0
	v_mov_b32_e32 v1, 0
	global_load_b32 v56, v1, s[8:9] offset:4
	s_wait_loadcnt 0x0
	v_cmp_eq_u32_e32 vcc_lo, 2, v56
	s_cbranch_vccnz .LBB107_362
; %bb.361:
	v_lshlrev_b32_e32 v56, 4, v56
	s_delay_alu instid0(VALU_DEP_1)
	v_mov_b32_e32 v64, v56
	s_clause 0x1
	scratch_load_b128 v[56:59], off, s18
	scratch_load_b128 v[60:63], v64, off offset:-16
	s_wait_loadcnt 0x1
	ds_store_2addr_b64 v0, v[56:57], v[58:59] offset1:1
	s_wait_loadcnt 0x0
	s_clause 0x1
	scratch_store_b128 off, v[60:63], s18
	scratch_store_b128 v64, v[56:59], off offset:-16
.LBB107_362:
	global_load_b32 v1, v1, s[8:9]
	s_wait_loadcnt 0x0
	v_cmp_eq_u32_e32 vcc_lo, 1, v1
	s_cbranch_vccnz .LBB107_364
; %bb.363:
	s_wait_xcnt 0x0
	v_lshlrev_b32_e32 v1, 4, v1
	scratch_load_b128 v[56:59], off, off
	scratch_load_b128 v[60:63], v1, off offset:-16
	s_wait_loadcnt 0x1
	ds_store_2addr_b64 v0, v[56:57], v[58:59] offset1:1
	s_wait_loadcnt 0x0
	scratch_store_b128 off, v[60:63], off
	scratch_store_b128 v1, v[56:59], off offset:-16
.LBB107_364:
	scratch_load_b128 v[56:59], off, off
	s_wait_loadcnt 0x0
	flat_store_b128 v[16:17], v[56:59]
	scratch_load_b128 v[56:59], off, s18
	s_wait_loadcnt 0x0
	flat_store_b128 v[18:19], v[56:59]
	scratch_load_b128 v[16:19], off, s16
	;; [unrolled: 3-line block ×43, first 2 shown]
	s_wait_loadcnt 0x0
	flat_store_b128 v[2:3], v[4:7]
	s_sendmsg sendmsg(MSG_DEALLOC_VGPRS)
	s_endpgm
	.section	.rodata,"a",@progbits
	.p2align	6, 0x0
	.amdhsa_kernel _ZN9rocsolver6v33100L18getri_kernel_smallILi44E19rocblas_complex_numIdEPKPS3_EEvT1_iilPiilS8_bb
		.amdhsa_group_segment_fixed_size 2440
		.amdhsa_private_segment_fixed_size 720
		.amdhsa_kernarg_size 60
		.amdhsa_user_sgpr_count 4
		.amdhsa_user_sgpr_dispatch_ptr 1
		.amdhsa_user_sgpr_queue_ptr 0
		.amdhsa_user_sgpr_kernarg_segment_ptr 1
		.amdhsa_user_sgpr_dispatch_id 0
		.amdhsa_user_sgpr_kernarg_preload_length 0
		.amdhsa_user_sgpr_kernarg_preload_offset 0
		.amdhsa_user_sgpr_private_segment_size 0
		.amdhsa_wavefront_size32 1
		.amdhsa_uses_dynamic_stack 0
		.amdhsa_enable_private_segment 1
		.amdhsa_system_sgpr_workgroup_id_x 1
		.amdhsa_system_sgpr_workgroup_id_y 0
		.amdhsa_system_sgpr_workgroup_id_z 0
		.amdhsa_system_sgpr_workgroup_info 0
		.amdhsa_system_vgpr_workitem_id 2
		.amdhsa_next_free_vgpr 170
		.amdhsa_next_free_sgpr 76
		.amdhsa_named_barrier_count 0
		.amdhsa_reserve_vcc 1
		.amdhsa_float_round_mode_32 0
		.amdhsa_float_round_mode_16_64 0
		.amdhsa_float_denorm_mode_32 3
		.amdhsa_float_denorm_mode_16_64 3
		.amdhsa_fp16_overflow 0
		.amdhsa_memory_ordered 1
		.amdhsa_forward_progress 1
		.amdhsa_inst_pref_size 255
		.amdhsa_round_robin_scheduling 0
		.amdhsa_exception_fp_ieee_invalid_op 0
		.amdhsa_exception_fp_denorm_src 0
		.amdhsa_exception_fp_ieee_div_zero 0
		.amdhsa_exception_fp_ieee_overflow 0
		.amdhsa_exception_fp_ieee_underflow 0
		.amdhsa_exception_fp_ieee_inexact 0
		.amdhsa_exception_int_div_zero 0
	.end_amdhsa_kernel
	.section	.text._ZN9rocsolver6v33100L18getri_kernel_smallILi44E19rocblas_complex_numIdEPKPS3_EEvT1_iilPiilS8_bb,"axG",@progbits,_ZN9rocsolver6v33100L18getri_kernel_smallILi44E19rocblas_complex_numIdEPKPS3_EEvT1_iilPiilS8_bb,comdat
.Lfunc_end107:
	.size	_ZN9rocsolver6v33100L18getri_kernel_smallILi44E19rocblas_complex_numIdEPKPS3_EEvT1_iilPiilS8_bb, .Lfunc_end107-_ZN9rocsolver6v33100L18getri_kernel_smallILi44E19rocblas_complex_numIdEPKPS3_EEvT1_iilPiilS8_bb
                                        ; -- End function
	.set _ZN9rocsolver6v33100L18getri_kernel_smallILi44E19rocblas_complex_numIdEPKPS3_EEvT1_iilPiilS8_bb.num_vgpr, 170
	.set _ZN9rocsolver6v33100L18getri_kernel_smallILi44E19rocblas_complex_numIdEPKPS3_EEvT1_iilPiilS8_bb.num_agpr, 0
	.set _ZN9rocsolver6v33100L18getri_kernel_smallILi44E19rocblas_complex_numIdEPKPS3_EEvT1_iilPiilS8_bb.numbered_sgpr, 76
	.set _ZN9rocsolver6v33100L18getri_kernel_smallILi44E19rocblas_complex_numIdEPKPS3_EEvT1_iilPiilS8_bb.num_named_barrier, 0
	.set _ZN9rocsolver6v33100L18getri_kernel_smallILi44E19rocblas_complex_numIdEPKPS3_EEvT1_iilPiilS8_bb.private_seg_size, 720
	.set _ZN9rocsolver6v33100L18getri_kernel_smallILi44E19rocblas_complex_numIdEPKPS3_EEvT1_iilPiilS8_bb.uses_vcc, 1
	.set _ZN9rocsolver6v33100L18getri_kernel_smallILi44E19rocblas_complex_numIdEPKPS3_EEvT1_iilPiilS8_bb.uses_flat_scratch, 1
	.set _ZN9rocsolver6v33100L18getri_kernel_smallILi44E19rocblas_complex_numIdEPKPS3_EEvT1_iilPiilS8_bb.has_dyn_sized_stack, 0
	.set _ZN9rocsolver6v33100L18getri_kernel_smallILi44E19rocblas_complex_numIdEPKPS3_EEvT1_iilPiilS8_bb.has_recursion, 0
	.set _ZN9rocsolver6v33100L18getri_kernel_smallILi44E19rocblas_complex_numIdEPKPS3_EEvT1_iilPiilS8_bb.has_indirect_call, 0
	.section	.AMDGPU.csdata,"",@progbits
; Kernel info:
; codeLenInByte = 76616
; TotalNumSgprs: 78
; NumVgprs: 170
; ScratchSize: 720
; MemoryBound: 0
; FloatMode: 240
; IeeeMode: 1
; LDSByteSize: 2440 bytes/workgroup (compile time only)
; SGPRBlocks: 0
; VGPRBlocks: 10
; NumSGPRsForWavesPerEU: 78
; NumVGPRsForWavesPerEU: 170
; NamedBarCnt: 0
; Occupancy: 5
; WaveLimiterHint : 1
; COMPUTE_PGM_RSRC2:SCRATCH_EN: 1
; COMPUTE_PGM_RSRC2:USER_SGPR: 4
; COMPUTE_PGM_RSRC2:TRAP_HANDLER: 0
; COMPUTE_PGM_RSRC2:TGID_X_EN: 1
; COMPUTE_PGM_RSRC2:TGID_Y_EN: 0
; COMPUTE_PGM_RSRC2:TGID_Z_EN: 0
; COMPUTE_PGM_RSRC2:TIDIG_COMP_CNT: 2
	.section	.text._ZN9rocsolver6v33100L18getri_kernel_smallILi45E19rocblas_complex_numIdEPKPS3_EEvT1_iilPiilS8_bb,"axG",@progbits,_ZN9rocsolver6v33100L18getri_kernel_smallILi45E19rocblas_complex_numIdEPKPS3_EEvT1_iilPiilS8_bb,comdat
	.globl	_ZN9rocsolver6v33100L18getri_kernel_smallILi45E19rocblas_complex_numIdEPKPS3_EEvT1_iilPiilS8_bb ; -- Begin function _ZN9rocsolver6v33100L18getri_kernel_smallILi45E19rocblas_complex_numIdEPKPS3_EEvT1_iilPiilS8_bb
	.p2align	8
	.type	_ZN9rocsolver6v33100L18getri_kernel_smallILi45E19rocblas_complex_numIdEPKPS3_EEvT1_iilPiilS8_bb,@function
_ZN9rocsolver6v33100L18getri_kernel_smallILi45E19rocblas_complex_numIdEPKPS3_EEvT1_iilPiilS8_bb: ; @_ZN9rocsolver6v33100L18getri_kernel_smallILi45E19rocblas_complex_numIdEPKPS3_EEvT1_iilPiilS8_bb
; %bb.0:
	v_and_b32_e32 v1, 0x3ff, v0
	s_mov_b32 s4, exec_lo
	s_delay_alu instid0(VALU_DEP_1)
	v_cmpx_gt_u32_e32 45, v1
	s_cbranch_execz .LBB108_194
; %bb.1:
	s_clause 0x1
	s_load_b32 s16, s[2:3], 0x38
	s_load_b64 s[8:9], s[2:3], 0x0
	s_getreg_b32 s6, hwreg(HW_REG_IB_STS2, 6, 4)
	s_wait_kmcnt 0x0
	s_bitcmp1_b32 s16, 8
	s_cselect_b32 s57, -1, 0
	s_bfe_u32 s4, ttmp6, 0x4000c
	s_and_b32 s5, ttmp6, 15
	s_add_co_i32 s4, s4, 1
	s_delay_alu instid0(SALU_CYCLE_1) | instskip(NEXT) | instid1(SALU_CYCLE_1)
	s_mul_i32 s4, ttmp9, s4
	s_add_co_i32 s5, s5, s4
	s_cmp_eq_u32 s6, 0
	s_cselect_b32 s10, ttmp9, s5
	s_load_b128 s[4:7], s[2:3], 0x28
	s_ashr_i32 s11, s10, 31
	s_delay_alu instid0(SALU_CYCLE_1) | instskip(NEXT) | instid1(SALU_CYCLE_1)
	s_lshl_b64 s[12:13], s[10:11], 3
	s_add_nc_u64 s[8:9], s[8:9], s[12:13]
	s_load_b64 s[14:15], s[8:9], 0x0
	s_wait_xcnt 0x0
	s_bfe_u32 s8, s16, 0x10008
	s_delay_alu instid0(SALU_CYCLE_1)
	s_cmp_eq_u32 s8, 0
                                        ; implicit-def: $sgpr8_sgpr9
	s_cbranch_scc1 .LBB108_3
; %bb.2:
	s_load_b96 s[16:18], s[2:3], 0x18
	s_wait_kmcnt 0x0
	s_mul_u64 s[4:5], s[4:5], s[10:11]
	s_delay_alu instid0(SALU_CYCLE_1) | instskip(SKIP_4) | instid1(SALU_CYCLE_1)
	s_lshl_b64 s[4:5], s[4:5], 2
	s_ashr_i32 s9, s18, 31
	s_mov_b32 s8, s18
	s_add_nc_u64 s[4:5], s[16:17], s[4:5]
	s_lshl_b64 s[8:9], s[8:9], 2
	s_add_nc_u64 s[8:9], s[4:5], s[8:9]
.LBB108_3:
	s_clause 0x1
	s_load_b64 s[12:13], s[2:3], 0x8
	s_load_b32 s58, s[2:3], 0x38
	v_dual_mov_b32 v15, 0 :: v_dual_lshlrev_b32 v14, 4, v1
	s_movk_i32 s59, 0x1a0
	s_movk_i32 s60, 0x1b0
	;; [unrolled: 1-line block ×16, first 2 shown]
	s_wait_kmcnt 0x0
	s_ashr_i32 s3, s12, 31
	s_mov_b32 s2, s12
	v_add3_u32 v36, s13, s13, v1
	s_lshl_b64 s[2:3], s[2:3], 4
	s_movk_i32 s75, 0x2a0
	s_add_nc_u64 s[4:5], s[14:15], s[2:3]
	s_ashr_i32 s3, s13, 31
	flat_load_b128 v[2:5], v1, s[4:5] scale_offset
	v_add_nc_u64_e32 v[32:33], s[4:5], v[14:15]
	s_mov_b32 s2, s13
	v_add_nc_u32_e32 v38, s13, v36
	s_movk_i32 s76, 0x2b0
	s_movk_i32 s77, 0x2c0
	s_mov_b32 s18, 16
	s_mov_b32 s16, 32
	v_lshl_add_u64 v[34:35], s[2:3], 4, v[32:33]
	v_add_nc_u32_e32 v40, s13, v38
	s_mov_b32 s14, 48
	s_mov_b32 s12, 64
	s_movk_i32 s56, 0x50
	s_movk_i32 s55, 0x60
	v_add_nc_u32_e32 v42, s13, v40
	s_movk_i32 s54, 0x70
	s_movk_i32 s53, 0x80
	s_movk_i32 s52, 0x90
	s_movk_i32 s51, 0xa0
	v_add_nc_u32_e32 v44, s13, v42
	s_movk_i32 s50, 0xb0
	s_movk_i32 s49, 0xc0
	;; [unrolled: 5-line block ×5, first 2 shown]
	s_movk_i32 s36, 0x190
	s_mov_b32 s35, s59
	v_add_nc_u32_e32 v52, s13, v50
	s_mov_b32 s34, s60
	s_mov_b32 s33, s61
	s_mov_b32 s31, s62
	s_mov_b32 s30, s63
	v_add_nc_u32_e32 v54, s13, v52
	s_mov_b32 s29, s64
	s_mov_b32 s28, s65
	s_mov_b32 s27, s66
	;; [unrolled: 5-line block ×4, first 2 shown]
	s_mov_b32 s17, s75
	v_add_nc_u32_e32 v62, s13, v58
	s_mov_b32 s15, s76
	s_bitcmp0_b32 s58, 0
	s_mov_b32 s3, -1
	s_delay_alu instid0(VALU_DEP_1) | instskip(NEXT) | instid1(VALU_DEP_1)
	v_add_nc_u32_e32 v60, s13, v62
	v_add_nc_u32_e32 v64, s13, v60
	s_delay_alu instid0(VALU_DEP_1) | instskip(NEXT) | instid1(VALU_DEP_1)
	v_add_nc_u32_e32 v66, s13, v64
	v_add_nc_u32_e32 v68, s13, v66
	s_delay_alu instid0(VALU_DEP_1) | instskip(NEXT) | instid1(VALU_DEP_1)
	v_add_nc_u32_e32 v70, s13, v68
	v_add_nc_u32_e32 v72, s13, v70
	s_delay_alu instid0(VALU_DEP_1) | instskip(NEXT) | instid1(VALU_DEP_1)
	v_add_nc_u32_e32 v74, s13, v72
	v_add_nc_u32_e32 v76, s13, v74
	s_delay_alu instid0(VALU_DEP_1) | instskip(NEXT) | instid1(VALU_DEP_1)
	v_add_nc_u32_e32 v78, s13, v76
	v_add_nc_u32_e32 v80, s13, v78
	s_delay_alu instid0(VALU_DEP_1) | instskip(NEXT) | instid1(VALU_DEP_1)
	v_add_nc_u32_e32 v82, s13, v80
	v_add_nc_u32_e32 v84, s13, v82
	s_delay_alu instid0(VALU_DEP_1) | instskip(NEXT) | instid1(VALU_DEP_1)
	v_add_nc_u32_e32 v86, s13, v84
	v_add_nc_u32_e32 v88, s13, v86
	s_delay_alu instid0(VALU_DEP_1) | instskip(NEXT) | instid1(VALU_DEP_1)
	v_add_nc_u32_e32 v90, s13, v88
	v_add_nc_u32_e32 v92, s13, v90
	s_delay_alu instid0(VALU_DEP_1) | instskip(NEXT) | instid1(VALU_DEP_1)
	v_add_nc_u32_e32 v94, s13, v92
	v_add_nc_u32_e32 v96, s13, v94
	s_delay_alu instid0(VALU_DEP_1) | instskip(NEXT) | instid1(VALU_DEP_1)
	v_add_nc_u32_e32 v98, s13, v96
	v_add_nc_u32_e32 v100, s13, v98
	s_delay_alu instid0(VALU_DEP_1) | instskip(NEXT) | instid1(VALU_DEP_1)
	v_add_nc_u32_e32 v102, s13, v100
	v_add_nc_u32_e32 v104, s13, v102
	s_delay_alu instid0(VALU_DEP_1) | instskip(NEXT) | instid1(VALU_DEP_1)
	v_add_nc_u32_e32 v106, s13, v104
	v_add_nc_u32_e32 v108, s13, v106
	s_delay_alu instid0(VALU_DEP_1) | instskip(NEXT) | instid1(VALU_DEP_1)
	v_add_nc_u32_e32 v110, s13, v108
	v_add_nc_u32_e32 v112, s13, v110
	s_delay_alu instid0(VALU_DEP_1) | instskip(NEXT) | instid1(VALU_DEP_1)
	v_add_nc_u32_e32 v114, s13, v112
	v_add_nc_u32_e32 v116, s13, v114
	s_delay_alu instid0(VALU_DEP_1) | instskip(NEXT) | instid1(VALU_DEP_1)
	v_add_nc_u32_e32 v118, s13, v116
	v_add_nc_u32_e32 v120, s13, v118
	s_mov_b32 s13, s77
	s_wait_loadcnt_dscnt 0x0
	scratch_store_b128 off, v[2:5], off
	flat_load_b128 v[2:5], v[34:35]
	s_wait_loadcnt_dscnt 0x0
	scratch_store_b128 off, v[2:5], off offset:16
	flat_load_b128 v[2:5], v36, s[4:5] scale_offset
	s_wait_loadcnt_dscnt 0x0
	scratch_store_b128 off, v[2:5], off offset:32
	flat_load_b128 v[2:5], v38, s[4:5] scale_offset
	;; [unrolled: 3-line block ×43, first 2 shown]
	s_wait_loadcnt_dscnt 0x0
	scratch_store_b128 off, v[2:5], off offset:704
	s_cbranch_scc1 .LBB108_192
; %bb.4:
	v_cmp_eq_u32_e64 s2, 0, v1
	s_wait_xcnt 0x0
	s_and_saveexec_b32 s3, s2
; %bb.5:
	v_mov_b32_e32 v2, 0
	ds_store_b32 v2, v2 offset:1440
; %bb.6:
	s_or_b32 exec_lo, exec_lo, s3
	s_wait_storecnt_dscnt 0x0
	s_barrier_signal -1
	s_barrier_wait -1
	scratch_load_b128 v[2:5], v1, off scale_offset
	s_wait_loadcnt 0x0
	v_cmp_eq_f64_e32 vcc_lo, 0, v[2:3]
	v_cmp_eq_f64_e64 s3, 0, v[4:5]
	s_and_b32 s3, vcc_lo, s3
	s_delay_alu instid0(SALU_CYCLE_1)
	s_and_saveexec_b32 s58, s3
	s_cbranch_execz .LBB108_10
; %bb.7:
	v_mov_b32_e32 v2, 0
	s_mov_b32 s59, 0
	ds_load_b32 v3, v2 offset:1440
	s_wait_dscnt 0x0
	v_readfirstlane_b32 s3, v3
	v_add_nc_u32_e32 v3, 1, v1
	s_cmp_eq_u32 s3, 0
	s_delay_alu instid0(VALU_DEP_1) | instskip(SKIP_1) | instid1(SALU_CYCLE_1)
	v_cmp_gt_i32_e32 vcc_lo, s3, v3
	s_cselect_b32 s60, -1, 0
	s_or_b32 s60, s60, vcc_lo
	s_delay_alu instid0(SALU_CYCLE_1)
	s_and_b32 exec_lo, exec_lo, s60
	s_cbranch_execz .LBB108_10
; %bb.8:
	v_mov_b32_e32 v4, s3
.LBB108_9:                              ; =>This Inner Loop Header: Depth=1
	ds_cmpstore_rtn_b32 v4, v2, v3, v4 offset:1440
	s_wait_dscnt 0x0
	v_cmp_ne_u32_e32 vcc_lo, 0, v4
	v_cmp_le_i32_e64 s3, v4, v3
	s_and_b32 s3, vcc_lo, s3
	s_delay_alu instid0(SALU_CYCLE_1) | instskip(NEXT) | instid1(SALU_CYCLE_1)
	s_and_b32 s3, exec_lo, s3
	s_or_b32 s59, s3, s59
	s_delay_alu instid0(SALU_CYCLE_1)
	s_and_not1_b32 exec_lo, exec_lo, s59
	s_cbranch_execnz .LBB108_9
.LBB108_10:
	s_or_b32 exec_lo, exec_lo, s58
	v_mov_b32_e32 v2, 0
	s_barrier_signal -1
	s_barrier_wait -1
	ds_load_b32 v3, v2 offset:1440
	s_and_saveexec_b32 s3, s2
	s_cbranch_execz .LBB108_12
; %bb.11:
	s_lshl_b64 s[58:59], s[10:11], 2
	s_delay_alu instid0(SALU_CYCLE_1)
	s_add_nc_u64 s[58:59], s[6:7], s[58:59]
	s_wait_dscnt 0x0
	global_store_b32 v2, v3, s[58:59]
.LBB108_12:
	s_wait_xcnt 0x0
	s_or_b32 exec_lo, exec_lo, s3
	s_wait_dscnt 0x0
	v_cmp_ne_u32_e32 vcc_lo, 0, v3
	s_mov_b32 s3, 0
	s_cbranch_vccnz .LBB108_192
; %bb.13:
	v_lshl_add_u32 v15, v1, 4, 0
                                        ; implicit-def: $vgpr6_vgpr7
                                        ; implicit-def: $vgpr10_vgpr11
	scratch_load_b128 v[2:5], v15, off
	s_wait_loadcnt 0x0
	v_cmp_ngt_f64_e64 s3, |v[2:3]|, |v[4:5]|
	s_wait_xcnt 0x0
	s_and_saveexec_b32 s58, s3
	s_delay_alu instid0(SALU_CYCLE_1)
	s_xor_b32 s3, exec_lo, s58
	s_cbranch_execz .LBB108_15
; %bb.14:
	v_div_scale_f64 v[6:7], null, v[4:5], v[4:5], v[2:3]
	v_div_scale_f64 v[12:13], vcc_lo, v[2:3], v[4:5], v[2:3]
	s_delay_alu instid0(VALU_DEP_2) | instskip(SKIP_1) | instid1(TRANS32_DEP_1)
	v_rcp_f64_e32 v[8:9], v[6:7]
	v_nop
	v_fma_f64 v[10:11], -v[6:7], v[8:9], 1.0
	s_delay_alu instid0(VALU_DEP_1) | instskip(NEXT) | instid1(VALU_DEP_1)
	v_fmac_f64_e32 v[8:9], v[8:9], v[10:11]
	v_fma_f64 v[10:11], -v[6:7], v[8:9], 1.0
	s_delay_alu instid0(VALU_DEP_1) | instskip(NEXT) | instid1(VALU_DEP_1)
	v_fmac_f64_e32 v[8:9], v[8:9], v[10:11]
	v_mul_f64_e32 v[10:11], v[12:13], v[8:9]
	s_delay_alu instid0(VALU_DEP_1) | instskip(NEXT) | instid1(VALU_DEP_1)
	v_fma_f64 v[6:7], -v[6:7], v[10:11], v[12:13]
	v_div_fmas_f64 v[6:7], v[6:7], v[8:9], v[10:11]
	s_delay_alu instid0(VALU_DEP_1) | instskip(NEXT) | instid1(VALU_DEP_1)
	v_div_fixup_f64 v[6:7], v[6:7], v[4:5], v[2:3]
	v_fmac_f64_e32 v[4:5], v[2:3], v[6:7]
	s_delay_alu instid0(VALU_DEP_1) | instskip(SKIP_1) | instid1(VALU_DEP_2)
	v_div_scale_f64 v[2:3], null, v[4:5], v[4:5], 1.0
	v_div_scale_f64 v[12:13], vcc_lo, 1.0, v[4:5], 1.0
	v_rcp_f64_e32 v[8:9], v[2:3]
	v_nop
	s_delay_alu instid0(TRANS32_DEP_1) | instskip(NEXT) | instid1(VALU_DEP_1)
	v_fma_f64 v[10:11], -v[2:3], v[8:9], 1.0
	v_fmac_f64_e32 v[8:9], v[8:9], v[10:11]
	s_delay_alu instid0(VALU_DEP_1) | instskip(NEXT) | instid1(VALU_DEP_1)
	v_fma_f64 v[10:11], -v[2:3], v[8:9], 1.0
	v_fmac_f64_e32 v[8:9], v[8:9], v[10:11]
	s_delay_alu instid0(VALU_DEP_1) | instskip(NEXT) | instid1(VALU_DEP_1)
	v_mul_f64_e32 v[10:11], v[12:13], v[8:9]
	v_fma_f64 v[2:3], -v[2:3], v[10:11], v[12:13]
	s_delay_alu instid0(VALU_DEP_1) | instskip(NEXT) | instid1(VALU_DEP_1)
	v_div_fmas_f64 v[2:3], v[2:3], v[8:9], v[10:11]
	v_div_fixup_f64 v[8:9], v[2:3], v[4:5], 1.0
                                        ; implicit-def: $vgpr2_vgpr3
	s_delay_alu instid0(VALU_DEP_1) | instskip(SKIP_1) | instid1(VALU_DEP_2)
	v_mul_f64_e32 v[6:7], v[6:7], v[8:9]
	v_xor_b32_e32 v9, 0x80000000, v9
	v_xor_b32_e32 v11, 0x80000000, v7
	s_delay_alu instid0(VALU_DEP_3)
	v_mov_b32_e32 v10, v6
.LBB108_15:
	s_and_not1_saveexec_b32 s3, s3
	s_cbranch_execz .LBB108_17
; %bb.16:
	v_div_scale_f64 v[6:7], null, v[2:3], v[2:3], v[4:5]
	v_div_scale_f64 v[12:13], vcc_lo, v[4:5], v[2:3], v[4:5]
	s_delay_alu instid0(VALU_DEP_2) | instskip(SKIP_1) | instid1(TRANS32_DEP_1)
	v_rcp_f64_e32 v[8:9], v[6:7]
	v_nop
	v_fma_f64 v[10:11], -v[6:7], v[8:9], 1.0
	s_delay_alu instid0(VALU_DEP_1) | instskip(NEXT) | instid1(VALU_DEP_1)
	v_fmac_f64_e32 v[8:9], v[8:9], v[10:11]
	v_fma_f64 v[10:11], -v[6:7], v[8:9], 1.0
	s_delay_alu instid0(VALU_DEP_1) | instskip(NEXT) | instid1(VALU_DEP_1)
	v_fmac_f64_e32 v[8:9], v[8:9], v[10:11]
	v_mul_f64_e32 v[10:11], v[12:13], v[8:9]
	s_delay_alu instid0(VALU_DEP_1) | instskip(NEXT) | instid1(VALU_DEP_1)
	v_fma_f64 v[6:7], -v[6:7], v[10:11], v[12:13]
	v_div_fmas_f64 v[6:7], v[6:7], v[8:9], v[10:11]
	s_delay_alu instid0(VALU_DEP_1) | instskip(NEXT) | instid1(VALU_DEP_1)
	v_div_fixup_f64 v[8:9], v[6:7], v[2:3], v[4:5]
	v_fmac_f64_e32 v[2:3], v[4:5], v[8:9]
	s_delay_alu instid0(VALU_DEP_1) | instskip(NEXT) | instid1(VALU_DEP_1)
	v_div_scale_f64 v[4:5], null, v[2:3], v[2:3], 1.0
	v_rcp_f64_e32 v[6:7], v[4:5]
	v_nop
	s_delay_alu instid0(TRANS32_DEP_1) | instskip(NEXT) | instid1(VALU_DEP_1)
	v_fma_f64 v[10:11], -v[4:5], v[6:7], 1.0
	v_fmac_f64_e32 v[6:7], v[6:7], v[10:11]
	s_delay_alu instid0(VALU_DEP_1) | instskip(NEXT) | instid1(VALU_DEP_1)
	v_fma_f64 v[10:11], -v[4:5], v[6:7], 1.0
	v_fmac_f64_e32 v[6:7], v[6:7], v[10:11]
	v_div_scale_f64 v[10:11], vcc_lo, 1.0, v[2:3], 1.0
	s_delay_alu instid0(VALU_DEP_1) | instskip(NEXT) | instid1(VALU_DEP_1)
	v_mul_f64_e32 v[12:13], v[10:11], v[6:7]
	v_fma_f64 v[4:5], -v[4:5], v[12:13], v[10:11]
	s_delay_alu instid0(VALU_DEP_1) | instskip(NEXT) | instid1(VALU_DEP_1)
	v_div_fmas_f64 v[4:5], v[4:5], v[6:7], v[12:13]
	v_div_fixup_f64 v[6:7], v[4:5], v[2:3], 1.0
	s_delay_alu instid0(VALU_DEP_1)
	v_mul_f64_e64 v[8:9], v[8:9], -v[6:7]
	v_xor_b32_e32 v11, 0x80000000, v7
	v_mov_b32_e32 v10, v6
.LBB108_17:
	s_or_b32 exec_lo, exec_lo, s3
	s_clause 0x1
	scratch_store_b128 v15, v[6:9], off
	scratch_load_b128 v[2:5], off, s18
	v_xor_b32_e32 v13, 0x80000000, v9
	v_mov_b32_e32 v12, v8
	s_wait_xcnt 0x1
	v_add_nc_u32_e32 v6, 0x2d0, v14
	ds_store_b128 v14, v[10:13]
	s_wait_loadcnt 0x0
	ds_store_b128 v14, v[2:5] offset:720
	s_wait_storecnt_dscnt 0x0
	s_barrier_signal -1
	s_barrier_wait -1
	s_wait_xcnt 0x0
	s_and_saveexec_b32 s3, s2
	s_cbranch_execz .LBB108_19
; %bb.18:
	scratch_load_b128 v[2:5], v15, off
	ds_load_b128 v[8:11], v6
	v_mov_b32_e32 v7, 0
	ds_load_b128 v[16:19], v7 offset:16
	s_wait_loadcnt_dscnt 0x1
	v_mul_f64_e32 v[12:13], v[8:9], v[4:5]
	v_mul_f64_e32 v[4:5], v[10:11], v[4:5]
	s_delay_alu instid0(VALU_DEP_2) | instskip(NEXT) | instid1(VALU_DEP_2)
	v_fmac_f64_e32 v[12:13], v[10:11], v[2:3]
	v_fma_f64 v[2:3], v[8:9], v[2:3], -v[4:5]
	s_delay_alu instid0(VALU_DEP_2) | instskip(NEXT) | instid1(VALU_DEP_2)
	v_add_f64_e32 v[8:9], 0, v[12:13]
	v_add_f64_e32 v[2:3], 0, v[2:3]
	s_wait_dscnt 0x0
	s_delay_alu instid0(VALU_DEP_2) | instskip(NEXT) | instid1(VALU_DEP_2)
	v_mul_f64_e32 v[10:11], v[8:9], v[18:19]
	v_mul_f64_e32 v[4:5], v[2:3], v[18:19]
	s_delay_alu instid0(VALU_DEP_2) | instskip(NEXT) | instid1(VALU_DEP_2)
	v_fma_f64 v[2:3], v[2:3], v[16:17], -v[10:11]
	v_fmac_f64_e32 v[4:5], v[8:9], v[16:17]
	scratch_store_b128 off, v[2:5], off offset:16
.LBB108_19:
	s_wait_xcnt 0x0
	s_or_b32 exec_lo, exec_lo, s3
	s_wait_storecnt 0x0
	s_barrier_signal -1
	s_barrier_wait -1
	scratch_load_b128 v[2:5], off, s16
	s_mov_b32 s3, exec_lo
	s_wait_loadcnt 0x0
	ds_store_b128 v6, v[2:5]
	s_wait_dscnt 0x0
	s_barrier_signal -1
	s_barrier_wait -1
	v_cmpx_gt_u32_e32 2, v1
	s_cbranch_execz .LBB108_23
; %bb.20:
	scratch_load_b128 v[2:5], v15, off
	ds_load_b128 v[8:11], v6
	s_wait_loadcnt_dscnt 0x0
	v_mul_f64_e32 v[12:13], v[10:11], v[4:5]
	v_mul_f64_e32 v[16:17], v[8:9], v[4:5]
	s_delay_alu instid0(VALU_DEP_2) | instskip(NEXT) | instid1(VALU_DEP_2)
	v_fma_f64 v[4:5], v[8:9], v[2:3], -v[12:13]
	v_fmac_f64_e32 v[16:17], v[10:11], v[2:3]
	s_delay_alu instid0(VALU_DEP_2) | instskip(NEXT) | instid1(VALU_DEP_2)
	v_add_f64_e32 v[4:5], 0, v[4:5]
	v_add_f64_e32 v[2:3], 0, v[16:17]
	s_and_saveexec_b32 s58, s2
	s_cbranch_execz .LBB108_22
; %bb.21:
	scratch_load_b128 v[8:11], off, off offset:16
	v_mov_b32_e32 v7, 0
	ds_load_b128 v[16:19], v7 offset:736
	s_wait_loadcnt_dscnt 0x0
	v_mul_f64_e32 v[12:13], v[16:17], v[10:11]
	v_mul_f64_e32 v[10:11], v[18:19], v[10:11]
	s_delay_alu instid0(VALU_DEP_2) | instskip(NEXT) | instid1(VALU_DEP_2)
	v_fmac_f64_e32 v[12:13], v[18:19], v[8:9]
	v_fma_f64 v[8:9], v[16:17], v[8:9], -v[10:11]
	s_delay_alu instid0(VALU_DEP_2) | instskip(NEXT) | instid1(VALU_DEP_2)
	v_add_f64_e32 v[2:3], v[2:3], v[12:13]
	v_add_f64_e32 v[4:5], v[4:5], v[8:9]
.LBB108_22:
	s_or_b32 exec_lo, exec_lo, s58
	v_mov_b32_e32 v7, 0
	ds_load_b128 v[8:11], v7 offset:32
	s_wait_dscnt 0x0
	v_mul_f64_e32 v[16:17], v[2:3], v[10:11]
	v_mul_f64_e32 v[12:13], v[4:5], v[10:11]
	s_delay_alu instid0(VALU_DEP_2) | instskip(NEXT) | instid1(VALU_DEP_2)
	v_fma_f64 v[10:11], v[4:5], v[8:9], -v[16:17]
	v_fmac_f64_e32 v[12:13], v[2:3], v[8:9]
	scratch_store_b128 off, v[10:13], off offset:32
.LBB108_23:
	s_wait_xcnt 0x0
	s_or_b32 exec_lo, exec_lo, s3
	s_wait_storecnt 0x0
	s_barrier_signal -1
	s_barrier_wait -1
	scratch_load_b128 v[2:5], off, s14
	v_add_nc_u32_e32 v7, -1, v1
	s_mov_b32 s2, exec_lo
	s_wait_loadcnt 0x0
	ds_store_b128 v6, v[2:5]
	s_wait_dscnt 0x0
	s_barrier_signal -1
	s_barrier_wait -1
	v_cmpx_gt_u32_e32 3, v1
	s_cbranch_execz .LBB108_27
; %bb.24:
	v_dual_mov_b32 v10, v14 :: v_dual_add_nc_u32 v8, -1, v1
	v_mov_b64_e32 v[2:3], 0
	v_mov_b64_e32 v[4:5], 0
	v_add_nc_u32_e32 v9, 0x2d0, v14
	s_delay_alu instid0(VALU_DEP_4)
	v_or_b32_e32 v10, 8, v10
	s_mov_b32 s3, 0
.LBB108_25:                             ; =>This Inner Loop Header: Depth=1
	scratch_load_b128 v[16:19], v10, off offset:-8
	ds_load_b128 v[20:23], v9
	v_dual_add_nc_u32 v8, 1, v8 :: v_dual_add_nc_u32 v9, 16, v9
	s_wait_xcnt 0x0
	v_add_nc_u32_e32 v10, 16, v10
	s_delay_alu instid0(VALU_DEP_2) | instskip(SKIP_4) | instid1(VALU_DEP_2)
	v_cmp_lt_u32_e32 vcc_lo, 1, v8
	s_or_b32 s3, vcc_lo, s3
	s_wait_loadcnt_dscnt 0x0
	v_mul_f64_e32 v[12:13], v[22:23], v[18:19]
	v_mul_f64_e32 v[18:19], v[20:21], v[18:19]
	v_fma_f64 v[12:13], v[20:21], v[16:17], -v[12:13]
	s_delay_alu instid0(VALU_DEP_2) | instskip(NEXT) | instid1(VALU_DEP_2)
	v_fmac_f64_e32 v[18:19], v[22:23], v[16:17]
	v_add_f64_e32 v[4:5], v[4:5], v[12:13]
	s_delay_alu instid0(VALU_DEP_2)
	v_add_f64_e32 v[2:3], v[2:3], v[18:19]
	s_and_not1_b32 exec_lo, exec_lo, s3
	s_cbranch_execnz .LBB108_25
; %bb.26:
	s_or_b32 exec_lo, exec_lo, s3
	v_mov_b32_e32 v8, 0
	ds_load_b128 v[8:11], v8 offset:48
	s_wait_dscnt 0x0
	v_mul_f64_e32 v[16:17], v[2:3], v[10:11]
	v_mul_f64_e32 v[12:13], v[4:5], v[10:11]
	s_delay_alu instid0(VALU_DEP_2) | instskip(NEXT) | instid1(VALU_DEP_2)
	v_fma_f64 v[10:11], v[4:5], v[8:9], -v[16:17]
	v_fmac_f64_e32 v[12:13], v[2:3], v[8:9]
	scratch_store_b128 off, v[10:13], off offset:48
.LBB108_27:
	s_wait_xcnt 0x0
	s_or_b32 exec_lo, exec_lo, s2
	s_wait_storecnt 0x0
	s_barrier_signal -1
	s_barrier_wait -1
	scratch_load_b128 v[2:5], off, s12
	s_mov_b32 s2, exec_lo
	s_wait_loadcnt 0x0
	ds_store_b128 v6, v[2:5]
	s_wait_dscnt 0x0
	s_barrier_signal -1
	s_barrier_wait -1
	v_cmpx_gt_u32_e32 4, v1
	s_cbranch_execz .LBB108_31
; %bb.28:
	v_dual_mov_b32 v10, v14 :: v_dual_add_nc_u32 v8, -1, v1
	v_mov_b64_e32 v[2:3], 0
	v_mov_b64_e32 v[4:5], 0
	v_add_nc_u32_e32 v9, 0x2d0, v14
	s_delay_alu instid0(VALU_DEP_4)
	v_or_b32_e32 v10, 8, v10
	s_mov_b32 s3, 0
.LBB108_29:                             ; =>This Inner Loop Header: Depth=1
	scratch_load_b128 v[16:19], v10, off offset:-8
	ds_load_b128 v[20:23], v9
	v_dual_add_nc_u32 v8, 1, v8 :: v_dual_add_nc_u32 v9, 16, v9
	s_wait_xcnt 0x0
	v_add_nc_u32_e32 v10, 16, v10
	s_delay_alu instid0(VALU_DEP_2) | instskip(SKIP_4) | instid1(VALU_DEP_2)
	v_cmp_lt_u32_e32 vcc_lo, 2, v8
	s_or_b32 s3, vcc_lo, s3
	s_wait_loadcnt_dscnt 0x0
	v_mul_f64_e32 v[12:13], v[22:23], v[18:19]
	v_mul_f64_e32 v[18:19], v[20:21], v[18:19]
	v_fma_f64 v[12:13], v[20:21], v[16:17], -v[12:13]
	s_delay_alu instid0(VALU_DEP_2) | instskip(NEXT) | instid1(VALU_DEP_2)
	v_fmac_f64_e32 v[18:19], v[22:23], v[16:17]
	v_add_f64_e32 v[4:5], v[4:5], v[12:13]
	s_delay_alu instid0(VALU_DEP_2)
	v_add_f64_e32 v[2:3], v[2:3], v[18:19]
	s_and_not1_b32 exec_lo, exec_lo, s3
	s_cbranch_execnz .LBB108_29
; %bb.30:
	s_or_b32 exec_lo, exec_lo, s3
	v_mov_b32_e32 v8, 0
	ds_load_b128 v[8:11], v8 offset:64
	s_wait_dscnt 0x0
	v_mul_f64_e32 v[16:17], v[2:3], v[10:11]
	v_mul_f64_e32 v[12:13], v[4:5], v[10:11]
	s_delay_alu instid0(VALU_DEP_2) | instskip(NEXT) | instid1(VALU_DEP_2)
	v_fma_f64 v[10:11], v[4:5], v[8:9], -v[16:17]
	v_fmac_f64_e32 v[12:13], v[2:3], v[8:9]
	scratch_store_b128 off, v[10:13], off offset:64
.LBB108_31:
	s_wait_xcnt 0x0
	s_or_b32 exec_lo, exec_lo, s2
	s_wait_storecnt 0x0
	s_barrier_signal -1
	s_barrier_wait -1
	scratch_load_b128 v[2:5], off, s56
	;; [unrolled: 54-line block ×19, first 2 shown]
	s_mov_b32 s2, exec_lo
	s_wait_loadcnt 0x0
	ds_store_b128 v6, v[2:5]
	s_wait_dscnt 0x0
	s_barrier_signal -1
	s_barrier_wait -1
	v_cmpx_gt_u32_e32 22, v1
	s_cbranch_execz .LBB108_103
; %bb.100:
	v_dual_mov_b32 v10, v14 :: v_dual_add_nc_u32 v8, -1, v1
	v_mov_b64_e32 v[2:3], 0
	v_mov_b64_e32 v[4:5], 0
	v_add_nc_u32_e32 v9, 0x2d0, v14
	s_delay_alu instid0(VALU_DEP_4)
	v_or_b32_e32 v10, 8, v10
	s_mov_b32 s3, 0
.LBB108_101:                            ; =>This Inner Loop Header: Depth=1
	scratch_load_b128 v[16:19], v10, off offset:-8
	ds_load_b128 v[20:23], v9
	v_dual_add_nc_u32 v8, 1, v8 :: v_dual_add_nc_u32 v9, 16, v9
	s_wait_xcnt 0x0
	v_add_nc_u32_e32 v10, 16, v10
	s_delay_alu instid0(VALU_DEP_2) | instskip(SKIP_4) | instid1(VALU_DEP_2)
	v_cmp_lt_u32_e32 vcc_lo, 20, v8
	s_or_b32 s3, vcc_lo, s3
	s_wait_loadcnt_dscnt 0x0
	v_mul_f64_e32 v[12:13], v[22:23], v[18:19]
	v_mul_f64_e32 v[18:19], v[20:21], v[18:19]
	v_fma_f64 v[12:13], v[20:21], v[16:17], -v[12:13]
	s_delay_alu instid0(VALU_DEP_2) | instskip(NEXT) | instid1(VALU_DEP_2)
	v_fmac_f64_e32 v[18:19], v[22:23], v[16:17]
	v_add_f64_e32 v[4:5], v[4:5], v[12:13]
	s_delay_alu instid0(VALU_DEP_2)
	v_add_f64_e32 v[2:3], v[2:3], v[18:19]
	s_and_not1_b32 exec_lo, exec_lo, s3
	s_cbranch_execnz .LBB108_101
; %bb.102:
	s_or_b32 exec_lo, exec_lo, s3
	v_mov_b32_e32 v8, 0
	ds_load_b128 v[8:11], v8 offset:352
	s_wait_dscnt 0x0
	v_mul_f64_e32 v[16:17], v[2:3], v[10:11]
	v_mul_f64_e32 v[12:13], v[4:5], v[10:11]
	s_delay_alu instid0(VALU_DEP_2) | instskip(NEXT) | instid1(VALU_DEP_2)
	v_fma_f64 v[10:11], v[4:5], v[8:9], -v[16:17]
	v_fmac_f64_e32 v[12:13], v[2:3], v[8:9]
	scratch_store_b128 off, v[10:13], off offset:352
.LBB108_103:
	s_wait_xcnt 0x0
	s_or_b32 exec_lo, exec_lo, s2
	s_wait_storecnt 0x0
	s_barrier_signal -1
	s_barrier_wait -1
	scratch_load_b128 v[2:5], off, s38
	s_mov_b32 s2, exec_lo
	s_wait_loadcnt 0x0
	ds_store_b128 v6, v[2:5]
	s_wait_dscnt 0x0
	s_barrier_signal -1
	s_barrier_wait -1
	v_cmpx_gt_u32_e32 23, v1
	s_cbranch_execz .LBB108_107
; %bb.104:
	v_dual_mov_b32 v10, v14 :: v_dual_add_nc_u32 v8, -1, v1
	v_mov_b64_e32 v[2:3], 0
	v_mov_b64_e32 v[4:5], 0
	v_add_nc_u32_e32 v9, 0x2d0, v14
	s_delay_alu instid0(VALU_DEP_4)
	v_or_b32_e32 v10, 8, v10
	s_mov_b32 s3, 0
.LBB108_105:                            ; =>This Inner Loop Header: Depth=1
	scratch_load_b128 v[16:19], v10, off offset:-8
	ds_load_b128 v[20:23], v9
	v_dual_add_nc_u32 v8, 1, v8 :: v_dual_add_nc_u32 v9, 16, v9
	s_wait_xcnt 0x0
	v_add_nc_u32_e32 v10, 16, v10
	s_delay_alu instid0(VALU_DEP_2) | instskip(SKIP_4) | instid1(VALU_DEP_2)
	v_cmp_lt_u32_e32 vcc_lo, 21, v8
	s_or_b32 s3, vcc_lo, s3
	s_wait_loadcnt_dscnt 0x0
	v_mul_f64_e32 v[12:13], v[22:23], v[18:19]
	v_mul_f64_e32 v[18:19], v[20:21], v[18:19]
	v_fma_f64 v[12:13], v[20:21], v[16:17], -v[12:13]
	s_delay_alu instid0(VALU_DEP_2) | instskip(NEXT) | instid1(VALU_DEP_2)
	v_fmac_f64_e32 v[18:19], v[22:23], v[16:17]
	v_add_f64_e32 v[4:5], v[4:5], v[12:13]
	s_delay_alu instid0(VALU_DEP_2)
	v_add_f64_e32 v[2:3], v[2:3], v[18:19]
	s_and_not1_b32 exec_lo, exec_lo, s3
	s_cbranch_execnz .LBB108_105
; %bb.106:
	s_or_b32 exec_lo, exec_lo, s3
	v_mov_b32_e32 v8, 0
	ds_load_b128 v[8:11], v8 offset:368
	s_wait_dscnt 0x0
	v_mul_f64_e32 v[16:17], v[2:3], v[10:11]
	v_mul_f64_e32 v[12:13], v[4:5], v[10:11]
	s_delay_alu instid0(VALU_DEP_2) | instskip(NEXT) | instid1(VALU_DEP_2)
	v_fma_f64 v[10:11], v[4:5], v[8:9], -v[16:17]
	v_fmac_f64_e32 v[12:13], v[2:3], v[8:9]
	scratch_store_b128 off, v[10:13], off offset:368
.LBB108_107:
	s_wait_xcnt 0x0
	s_or_b32 exec_lo, exec_lo, s2
	s_wait_storecnt 0x0
	s_barrier_signal -1
	s_barrier_wait -1
	scratch_load_b128 v[2:5], off, s37
	;; [unrolled: 54-line block ×22, first 2 shown]
	s_mov_b32 s2, exec_lo
	s_wait_loadcnt 0x0
	ds_store_b128 v6, v[2:5]
	s_wait_dscnt 0x0
	s_barrier_signal -1
	s_barrier_wait -1
	v_cmpx_ne_u32_e32 44, v1
	s_cbranch_execz .LBB108_191
; %bb.188:
	v_mov_b32_e32 v8, v14
	v_mov_b64_e32 v[2:3], 0
	v_mov_b64_e32 v[4:5], 0
	s_mov_b32 s3, 0
	s_delay_alu instid0(VALU_DEP_3)
	v_or_b32_e32 v8, 8, v8
.LBB108_189:                            ; =>This Inner Loop Header: Depth=1
	scratch_load_b128 v[10:13], v8, off offset:-8
	ds_load_b128 v[14:17], v6
	v_dual_add_nc_u32 v7, 1, v7 :: v_dual_add_nc_u32 v6, 16, v6
	s_wait_xcnt 0x0
	v_add_nc_u32_e32 v8, 16, v8
	s_delay_alu instid0(VALU_DEP_2) | instskip(SKIP_4) | instid1(VALU_DEP_2)
	v_cmp_lt_u32_e32 vcc_lo, 42, v7
	s_or_b32 s3, vcc_lo, s3
	s_wait_loadcnt_dscnt 0x0
	v_mul_f64_e32 v[18:19], v[16:17], v[12:13]
	v_mul_f64_e32 v[12:13], v[14:15], v[12:13]
	v_fma_f64 v[14:15], v[14:15], v[10:11], -v[18:19]
	s_delay_alu instid0(VALU_DEP_2) | instskip(NEXT) | instid1(VALU_DEP_2)
	v_fmac_f64_e32 v[12:13], v[16:17], v[10:11]
	v_add_f64_e32 v[4:5], v[4:5], v[14:15]
	s_delay_alu instid0(VALU_DEP_2)
	v_add_f64_e32 v[2:3], v[2:3], v[12:13]
	s_and_not1_b32 exec_lo, exec_lo, s3
	s_cbranch_execnz .LBB108_189
; %bb.190:
	s_or_b32 exec_lo, exec_lo, s3
	v_mov_b32_e32 v6, 0
	ds_load_b128 v[6:9], v6 offset:704
	s_wait_dscnt 0x0
	v_mul_f64_e32 v[12:13], v[2:3], v[8:9]
	v_mul_f64_e32 v[10:11], v[4:5], v[8:9]
	s_delay_alu instid0(VALU_DEP_2) | instskip(NEXT) | instid1(VALU_DEP_2)
	v_fma_f64 v[8:9], v[4:5], v[6:7], -v[12:13]
	v_fmac_f64_e32 v[10:11], v[2:3], v[6:7]
	scratch_store_b128 off, v[8:11], off offset:704
.LBB108_191:
	s_wait_xcnt 0x0
	s_or_b32 exec_lo, exec_lo, s2
	s_mov_b32 s3, -1
	s_wait_storecnt 0x0
	s_barrier_signal -1
	s_barrier_wait -1
.LBB108_192:
	s_and_b32 vcc_lo, exec_lo, s3
	s_cbranch_vccz .LBB108_194
; %bb.193:
	s_wait_xcnt 0x0
	v_mov_b32_e32 v2, 0
	s_lshl_b64 s[2:3], s[10:11], 2
	s_delay_alu instid0(SALU_CYCLE_1)
	s_add_nc_u64 s[2:3], s[6:7], s[2:3]
	global_load_b32 v2, v2, s[2:3]
	s_wait_loadcnt 0x0
	v_cmp_ne_u32_e32 vcc_lo, 0, v2
	s_cbranch_vccz .LBB108_195
.LBB108_194:
	s_sendmsg sendmsg(MSG_DEALLOC_VGPRS)
	s_endpgm
.LBB108_195:
	v_lshl_add_u32 v122, v1, 4, 0x2d0
	s_wait_xcnt 0x0
	s_mov_b32 s2, exec_lo
	v_cmpx_eq_u32_e32 44, v1
	s_cbranch_execz .LBB108_197
; %bb.196:
	scratch_load_b128 v[2:5], off, s15
	v_mov_b32_e32 v6, 0
	s_delay_alu instid0(VALU_DEP_1)
	v_dual_mov_b32 v7, v6 :: v_dual_mov_b32 v8, v6
	v_mov_b32_e32 v9, v6
	scratch_store_b128 off, v[6:9], off offset:688
	s_wait_loadcnt 0x0
	ds_store_b128 v122, v[2:5]
.LBB108_197:
	s_wait_xcnt 0x0
	s_or_b32 exec_lo, exec_lo, s2
	s_wait_storecnt_dscnt 0x0
	s_barrier_signal -1
	s_barrier_wait -1
	s_clause 0x1
	scratch_load_b128 v[4:7], off, off offset:704
	scratch_load_b128 v[8:11], off, off offset:688
	v_mov_b32_e32 v2, 0
	s_mov_b32 s2, exec_lo
	ds_load_b128 v[12:15], v2 offset:1424
	s_wait_loadcnt_dscnt 0x100
	v_mul_f64_e32 v[16:17], v[14:15], v[6:7]
	v_mul_f64_e32 v[6:7], v[12:13], v[6:7]
	s_delay_alu instid0(VALU_DEP_2) | instskip(NEXT) | instid1(VALU_DEP_2)
	v_fma_f64 v[12:13], v[12:13], v[4:5], -v[16:17]
	v_fmac_f64_e32 v[6:7], v[14:15], v[4:5]
	s_delay_alu instid0(VALU_DEP_2) | instskip(NEXT) | instid1(VALU_DEP_2)
	v_add_f64_e32 v[4:5], 0, v[12:13]
	v_add_f64_e32 v[6:7], 0, v[6:7]
	s_wait_loadcnt 0x0
	s_delay_alu instid0(VALU_DEP_2) | instskip(NEXT) | instid1(VALU_DEP_2)
	v_add_f64_e64 v[4:5], v[8:9], -v[4:5]
	v_add_f64_e64 v[6:7], v[10:11], -v[6:7]
	scratch_store_b128 off, v[4:7], off offset:688
	s_wait_xcnt 0x0
	v_cmpx_lt_u32_e32 42, v1
	s_cbranch_execz .LBB108_199
; %bb.198:
	scratch_load_b128 v[6:9], off, s17
	v_dual_mov_b32 v3, v2 :: v_dual_mov_b32 v4, v2
	v_mov_b32_e32 v5, v2
	scratch_store_b128 off, v[2:5], off offset:672
	s_wait_loadcnt 0x0
	ds_store_b128 v122, v[6:9]
.LBB108_199:
	s_wait_xcnt 0x0
	s_or_b32 exec_lo, exec_lo, s2
	s_wait_storecnt_dscnt 0x0
	s_barrier_signal -1
	s_barrier_wait -1
	s_clause 0x2
	scratch_load_b128 v[4:7], off, off offset:688
	scratch_load_b128 v[8:11], off, off offset:704
	;; [unrolled: 1-line block ×3, first 2 shown]
	ds_load_b128 v[16:19], v2 offset:1408
	ds_load_b128 v[20:23], v2 offset:1424
	s_mov_b32 s2, exec_lo
	s_wait_loadcnt_dscnt 0x201
	v_mul_f64_e32 v[2:3], v[18:19], v[6:7]
	v_mul_f64_e32 v[6:7], v[16:17], v[6:7]
	s_wait_loadcnt_dscnt 0x100
	v_mul_f64_e32 v[24:25], v[20:21], v[10:11]
	v_mul_f64_e32 v[10:11], v[22:23], v[10:11]
	s_delay_alu instid0(VALU_DEP_4) | instskip(NEXT) | instid1(VALU_DEP_4)
	v_fma_f64 v[2:3], v[16:17], v[4:5], -v[2:3]
	v_fmac_f64_e32 v[6:7], v[18:19], v[4:5]
	s_delay_alu instid0(VALU_DEP_4) | instskip(NEXT) | instid1(VALU_DEP_4)
	v_fmac_f64_e32 v[24:25], v[22:23], v[8:9]
	v_fma_f64 v[4:5], v[20:21], v[8:9], -v[10:11]
	s_delay_alu instid0(VALU_DEP_4) | instskip(NEXT) | instid1(VALU_DEP_4)
	v_add_f64_e32 v[2:3], 0, v[2:3]
	v_add_f64_e32 v[6:7], 0, v[6:7]
	s_delay_alu instid0(VALU_DEP_2) | instskip(NEXT) | instid1(VALU_DEP_2)
	v_add_f64_e32 v[2:3], v[2:3], v[4:5]
	v_add_f64_e32 v[4:5], v[6:7], v[24:25]
	s_wait_loadcnt 0x0
	s_delay_alu instid0(VALU_DEP_2) | instskip(NEXT) | instid1(VALU_DEP_2)
	v_add_f64_e64 v[2:3], v[12:13], -v[2:3]
	v_add_f64_e64 v[4:5], v[14:15], -v[4:5]
	scratch_store_b128 off, v[2:5], off offset:672
	s_wait_xcnt 0x0
	v_cmpx_lt_u32_e32 41, v1
	s_cbranch_execz .LBB108_201
; %bb.200:
	scratch_load_b128 v[2:5], off, s19
	v_mov_b32_e32 v6, 0
	s_delay_alu instid0(VALU_DEP_1)
	v_dual_mov_b32 v7, v6 :: v_dual_mov_b32 v8, v6
	v_mov_b32_e32 v9, v6
	scratch_store_b128 off, v[6:9], off offset:656
	s_wait_loadcnt 0x0
	ds_store_b128 v122, v[2:5]
.LBB108_201:
	s_wait_xcnt 0x0
	s_or_b32 exec_lo, exec_lo, s2
	s_wait_storecnt_dscnt 0x0
	s_barrier_signal -1
	s_barrier_wait -1
	s_clause 0x3
	scratch_load_b128 v[4:7], off, off offset:672
	scratch_load_b128 v[8:11], off, off offset:688
	;; [unrolled: 1-line block ×4, first 2 shown]
	v_mov_b32_e32 v2, 0
	ds_load_b128 v[20:23], v2 offset:1392
	ds_load_b128 v[24:27], v2 offset:1408
	s_mov_b32 s2, exec_lo
	s_wait_loadcnt_dscnt 0x301
	v_mul_f64_e32 v[28:29], v[22:23], v[6:7]
	v_mul_f64_e32 v[30:31], v[20:21], v[6:7]
	s_wait_loadcnt_dscnt 0x200
	v_mul_f64_e32 v[124:125], v[24:25], v[10:11]
	v_mul_f64_e32 v[10:11], v[26:27], v[10:11]
	s_delay_alu instid0(VALU_DEP_4) | instskip(NEXT) | instid1(VALU_DEP_4)
	v_fma_f64 v[20:21], v[20:21], v[4:5], -v[28:29]
	v_fmac_f64_e32 v[30:31], v[22:23], v[4:5]
	ds_load_b128 v[4:7], v2 offset:1424
	v_fmac_f64_e32 v[124:125], v[26:27], v[8:9]
	v_fma_f64 v[8:9], v[24:25], v[8:9], -v[10:11]
	s_wait_loadcnt_dscnt 0x100
	v_mul_f64_e32 v[22:23], v[4:5], v[14:15]
	v_mul_f64_e32 v[14:15], v[6:7], v[14:15]
	v_add_f64_e32 v[10:11], 0, v[20:21]
	v_add_f64_e32 v[20:21], 0, v[30:31]
	s_delay_alu instid0(VALU_DEP_4) | instskip(NEXT) | instid1(VALU_DEP_4)
	v_fmac_f64_e32 v[22:23], v[6:7], v[12:13]
	v_fma_f64 v[4:5], v[4:5], v[12:13], -v[14:15]
	s_delay_alu instid0(VALU_DEP_4) | instskip(NEXT) | instid1(VALU_DEP_4)
	v_add_f64_e32 v[6:7], v[10:11], v[8:9]
	v_add_f64_e32 v[8:9], v[20:21], v[124:125]
	s_delay_alu instid0(VALU_DEP_2) | instskip(NEXT) | instid1(VALU_DEP_2)
	v_add_f64_e32 v[4:5], v[6:7], v[4:5]
	v_add_f64_e32 v[6:7], v[8:9], v[22:23]
	s_wait_loadcnt 0x0
	s_delay_alu instid0(VALU_DEP_2) | instskip(NEXT) | instid1(VALU_DEP_2)
	v_add_f64_e64 v[4:5], v[16:17], -v[4:5]
	v_add_f64_e64 v[6:7], v[18:19], -v[6:7]
	scratch_store_b128 off, v[4:7], off offset:656
	s_wait_xcnt 0x0
	v_cmpx_lt_u32_e32 40, v1
	s_cbranch_execz .LBB108_203
; %bb.202:
	scratch_load_b128 v[6:9], off, s20
	v_dual_mov_b32 v3, v2 :: v_dual_mov_b32 v4, v2
	v_mov_b32_e32 v5, v2
	scratch_store_b128 off, v[2:5], off offset:640
	s_wait_loadcnt 0x0
	ds_store_b128 v122, v[6:9]
.LBB108_203:
	s_wait_xcnt 0x0
	s_or_b32 exec_lo, exec_lo, s2
	s_wait_storecnt_dscnt 0x0
	s_barrier_signal -1
	s_barrier_wait -1
	s_clause 0x4
	scratch_load_b128 v[4:7], off, off offset:656
	scratch_load_b128 v[8:11], off, off offset:672
	;; [unrolled: 1-line block ×5, first 2 shown]
	ds_load_b128 v[24:27], v2 offset:1376
	ds_load_b128 v[28:31], v2 offset:1392
	s_mov_b32 s2, exec_lo
	s_wait_loadcnt_dscnt 0x401
	v_mul_f64_e32 v[124:125], v[26:27], v[6:7]
	v_mul_f64_e32 v[126:127], v[24:25], v[6:7]
	s_wait_loadcnt_dscnt 0x300
	v_mul_f64_e32 v[128:129], v[28:29], v[10:11]
	v_mul_f64_e32 v[10:11], v[30:31], v[10:11]
	s_delay_alu instid0(VALU_DEP_4) | instskip(NEXT) | instid1(VALU_DEP_4)
	v_fma_f64 v[124:125], v[24:25], v[4:5], -v[124:125]
	v_fmac_f64_e32 v[126:127], v[26:27], v[4:5]
	ds_load_b128 v[4:7], v2 offset:1408
	ds_load_b128 v[24:27], v2 offset:1424
	v_fmac_f64_e32 v[128:129], v[30:31], v[8:9]
	v_fma_f64 v[8:9], v[28:29], v[8:9], -v[10:11]
	s_wait_loadcnt_dscnt 0x201
	v_mul_f64_e32 v[2:3], v[4:5], v[14:15]
	v_mul_f64_e32 v[14:15], v[6:7], v[14:15]
	s_wait_loadcnt_dscnt 0x100
	v_mul_f64_e32 v[30:31], v[24:25], v[18:19]
	v_mul_f64_e32 v[18:19], v[26:27], v[18:19]
	v_add_f64_e32 v[10:11], 0, v[124:125]
	v_add_f64_e32 v[28:29], 0, v[126:127]
	v_fmac_f64_e32 v[2:3], v[6:7], v[12:13]
	v_fma_f64 v[4:5], v[4:5], v[12:13], -v[14:15]
	v_fmac_f64_e32 v[30:31], v[26:27], v[16:17]
	v_add_f64_e32 v[6:7], v[10:11], v[8:9]
	v_add_f64_e32 v[8:9], v[28:29], v[128:129]
	v_fma_f64 v[10:11], v[24:25], v[16:17], -v[18:19]
	s_delay_alu instid0(VALU_DEP_3) | instskip(NEXT) | instid1(VALU_DEP_3)
	v_add_f64_e32 v[4:5], v[6:7], v[4:5]
	v_add_f64_e32 v[2:3], v[8:9], v[2:3]
	s_delay_alu instid0(VALU_DEP_2) | instskip(NEXT) | instid1(VALU_DEP_2)
	v_add_f64_e32 v[4:5], v[4:5], v[10:11]
	v_add_f64_e32 v[6:7], v[2:3], v[30:31]
	s_wait_loadcnt 0x0
	s_delay_alu instid0(VALU_DEP_2) | instskip(NEXT) | instid1(VALU_DEP_2)
	v_add_f64_e64 v[2:3], v[20:21], -v[4:5]
	v_add_f64_e64 v[4:5], v[22:23], -v[6:7]
	scratch_store_b128 off, v[2:5], off offset:640
	s_wait_xcnt 0x0
	v_cmpx_lt_u32_e32 39, v1
	s_cbranch_execz .LBB108_205
; %bb.204:
	scratch_load_b128 v[2:5], off, s21
	v_mov_b32_e32 v6, 0
	s_delay_alu instid0(VALU_DEP_1)
	v_dual_mov_b32 v7, v6 :: v_dual_mov_b32 v8, v6
	v_mov_b32_e32 v9, v6
	scratch_store_b128 off, v[6:9], off offset:624
	s_wait_loadcnt 0x0
	ds_store_b128 v122, v[2:5]
.LBB108_205:
	s_wait_xcnt 0x0
	s_or_b32 exec_lo, exec_lo, s2
	s_wait_storecnt_dscnt 0x0
	s_barrier_signal -1
	s_barrier_wait -1
	s_clause 0x5
	scratch_load_b128 v[4:7], off, off offset:640
	scratch_load_b128 v[8:11], off, off offset:656
	;; [unrolled: 1-line block ×6, first 2 shown]
	v_mov_b32_e32 v2, 0
	ds_load_b128 v[28:31], v2 offset:1360
	ds_load_b128 v[124:127], v2 offset:1376
	s_mov_b32 s2, exec_lo
	s_wait_loadcnt_dscnt 0x501
	v_mul_f64_e32 v[128:129], v[30:31], v[6:7]
	v_mul_f64_e32 v[130:131], v[28:29], v[6:7]
	s_wait_loadcnt_dscnt 0x400
	v_mul_f64_e32 v[132:133], v[124:125], v[10:11]
	v_mul_f64_e32 v[10:11], v[126:127], v[10:11]
	s_delay_alu instid0(VALU_DEP_4) | instskip(NEXT) | instid1(VALU_DEP_4)
	v_fma_f64 v[128:129], v[28:29], v[4:5], -v[128:129]
	v_fmac_f64_e32 v[130:131], v[30:31], v[4:5]
	ds_load_b128 v[4:7], v2 offset:1392
	ds_load_b128 v[28:31], v2 offset:1408
	v_fmac_f64_e32 v[132:133], v[126:127], v[8:9]
	v_fma_f64 v[8:9], v[124:125], v[8:9], -v[10:11]
	s_wait_loadcnt_dscnt 0x301
	v_mul_f64_e32 v[134:135], v[4:5], v[14:15]
	v_mul_f64_e32 v[14:15], v[6:7], v[14:15]
	s_wait_loadcnt_dscnt 0x200
	v_mul_f64_e32 v[126:127], v[28:29], v[18:19]
	v_mul_f64_e32 v[18:19], v[30:31], v[18:19]
	v_add_f64_e32 v[10:11], 0, v[128:129]
	v_add_f64_e32 v[124:125], 0, v[130:131]
	v_fmac_f64_e32 v[134:135], v[6:7], v[12:13]
	v_fma_f64 v[12:13], v[4:5], v[12:13], -v[14:15]
	ds_load_b128 v[4:7], v2 offset:1424
	v_fmac_f64_e32 v[126:127], v[30:31], v[16:17]
	v_fma_f64 v[16:17], v[28:29], v[16:17], -v[18:19]
	v_add_f64_e32 v[8:9], v[10:11], v[8:9]
	v_add_f64_e32 v[10:11], v[124:125], v[132:133]
	s_wait_loadcnt_dscnt 0x100
	v_mul_f64_e32 v[14:15], v[4:5], v[22:23]
	v_mul_f64_e32 v[22:23], v[6:7], v[22:23]
	s_delay_alu instid0(VALU_DEP_4) | instskip(NEXT) | instid1(VALU_DEP_4)
	v_add_f64_e32 v[8:9], v[8:9], v[12:13]
	v_add_f64_e32 v[10:11], v[10:11], v[134:135]
	s_delay_alu instid0(VALU_DEP_4) | instskip(NEXT) | instid1(VALU_DEP_4)
	v_fmac_f64_e32 v[14:15], v[6:7], v[20:21]
	v_fma_f64 v[4:5], v[4:5], v[20:21], -v[22:23]
	s_delay_alu instid0(VALU_DEP_4) | instskip(NEXT) | instid1(VALU_DEP_4)
	v_add_f64_e32 v[6:7], v[8:9], v[16:17]
	v_add_f64_e32 v[8:9], v[10:11], v[126:127]
	s_delay_alu instid0(VALU_DEP_2) | instskip(NEXT) | instid1(VALU_DEP_2)
	v_add_f64_e32 v[4:5], v[6:7], v[4:5]
	v_add_f64_e32 v[6:7], v[8:9], v[14:15]
	s_wait_loadcnt 0x0
	s_delay_alu instid0(VALU_DEP_2) | instskip(NEXT) | instid1(VALU_DEP_2)
	v_add_f64_e64 v[4:5], v[24:25], -v[4:5]
	v_add_f64_e64 v[6:7], v[26:27], -v[6:7]
	scratch_store_b128 off, v[4:7], off offset:624
	s_wait_xcnt 0x0
	v_cmpx_lt_u32_e32 38, v1
	s_cbranch_execz .LBB108_207
; %bb.206:
	scratch_load_b128 v[6:9], off, s22
	v_dual_mov_b32 v3, v2 :: v_dual_mov_b32 v4, v2
	v_mov_b32_e32 v5, v2
	scratch_store_b128 off, v[2:5], off offset:608
	s_wait_loadcnt 0x0
	ds_store_b128 v122, v[6:9]
.LBB108_207:
	s_wait_xcnt 0x0
	s_or_b32 exec_lo, exec_lo, s2
	s_wait_storecnt_dscnt 0x0
	s_barrier_signal -1
	s_barrier_wait -1
	s_clause 0x6
	scratch_load_b128 v[4:7], off, off offset:624
	scratch_load_b128 v[8:11], off, off offset:640
	;; [unrolled: 1-line block ×7, first 2 shown]
	ds_load_b128 v[124:127], v2 offset:1344
	ds_load_b128 v[128:131], v2 offset:1360
	s_mov_b32 s2, exec_lo
	s_wait_loadcnt_dscnt 0x601
	v_mul_f64_e32 v[132:133], v[126:127], v[6:7]
	v_mul_f64_e32 v[134:135], v[124:125], v[6:7]
	s_wait_loadcnt_dscnt 0x500
	v_mul_f64_e32 v[136:137], v[128:129], v[10:11]
	v_mul_f64_e32 v[10:11], v[130:131], v[10:11]
	s_delay_alu instid0(VALU_DEP_4) | instskip(NEXT) | instid1(VALU_DEP_4)
	v_fma_f64 v[132:133], v[124:125], v[4:5], -v[132:133]
	v_fmac_f64_e32 v[134:135], v[126:127], v[4:5]
	ds_load_b128 v[4:7], v2 offset:1376
	ds_load_b128 v[124:127], v2 offset:1392
	v_fmac_f64_e32 v[136:137], v[130:131], v[8:9]
	v_fma_f64 v[8:9], v[128:129], v[8:9], -v[10:11]
	s_wait_loadcnt_dscnt 0x401
	v_mul_f64_e32 v[138:139], v[4:5], v[14:15]
	v_mul_f64_e32 v[14:15], v[6:7], v[14:15]
	s_wait_loadcnt_dscnt 0x300
	v_mul_f64_e32 v[130:131], v[124:125], v[18:19]
	v_mul_f64_e32 v[18:19], v[126:127], v[18:19]
	v_add_f64_e32 v[10:11], 0, v[132:133]
	v_add_f64_e32 v[128:129], 0, v[134:135]
	v_fmac_f64_e32 v[138:139], v[6:7], v[12:13]
	v_fma_f64 v[12:13], v[4:5], v[12:13], -v[14:15]
	v_fmac_f64_e32 v[130:131], v[126:127], v[16:17]
	v_fma_f64 v[16:17], v[124:125], v[16:17], -v[18:19]
	v_add_f64_e32 v[14:15], v[10:11], v[8:9]
	v_add_f64_e32 v[128:129], v[128:129], v[136:137]
	ds_load_b128 v[4:7], v2 offset:1408
	ds_load_b128 v[8:11], v2 offset:1424
	s_wait_loadcnt_dscnt 0x201
	v_mul_f64_e32 v[2:3], v[4:5], v[22:23]
	v_mul_f64_e32 v[22:23], v[6:7], v[22:23]
	s_wait_loadcnt_dscnt 0x100
	v_mul_f64_e32 v[18:19], v[8:9], v[26:27]
	v_mul_f64_e32 v[26:27], v[10:11], v[26:27]
	v_add_f64_e32 v[12:13], v[14:15], v[12:13]
	v_add_f64_e32 v[14:15], v[128:129], v[138:139]
	v_fmac_f64_e32 v[2:3], v[6:7], v[20:21]
	v_fma_f64 v[4:5], v[4:5], v[20:21], -v[22:23]
	v_fmac_f64_e32 v[18:19], v[10:11], v[24:25]
	v_fma_f64 v[8:9], v[8:9], v[24:25], -v[26:27]
	v_add_f64_e32 v[6:7], v[12:13], v[16:17]
	v_add_f64_e32 v[12:13], v[14:15], v[130:131]
	s_delay_alu instid0(VALU_DEP_2) | instskip(NEXT) | instid1(VALU_DEP_2)
	v_add_f64_e32 v[4:5], v[6:7], v[4:5]
	v_add_f64_e32 v[2:3], v[12:13], v[2:3]
	s_delay_alu instid0(VALU_DEP_2) | instskip(NEXT) | instid1(VALU_DEP_2)
	v_add_f64_e32 v[4:5], v[4:5], v[8:9]
	v_add_f64_e32 v[6:7], v[2:3], v[18:19]
	s_wait_loadcnt 0x0
	s_delay_alu instid0(VALU_DEP_2) | instskip(NEXT) | instid1(VALU_DEP_2)
	v_add_f64_e64 v[2:3], v[28:29], -v[4:5]
	v_add_f64_e64 v[4:5], v[30:31], -v[6:7]
	scratch_store_b128 off, v[2:5], off offset:608
	s_wait_xcnt 0x0
	v_cmpx_lt_u32_e32 37, v1
	s_cbranch_execz .LBB108_209
; %bb.208:
	scratch_load_b128 v[2:5], off, s23
	v_mov_b32_e32 v6, 0
	s_delay_alu instid0(VALU_DEP_1)
	v_dual_mov_b32 v7, v6 :: v_dual_mov_b32 v8, v6
	v_mov_b32_e32 v9, v6
	scratch_store_b128 off, v[6:9], off offset:592
	s_wait_loadcnt 0x0
	ds_store_b128 v122, v[2:5]
.LBB108_209:
	s_wait_xcnt 0x0
	s_or_b32 exec_lo, exec_lo, s2
	s_wait_storecnt_dscnt 0x0
	s_barrier_signal -1
	s_barrier_wait -1
	s_clause 0x7
	scratch_load_b128 v[4:7], off, off offset:608
	scratch_load_b128 v[8:11], off, off offset:624
	;; [unrolled: 1-line block ×8, first 2 shown]
	v_mov_b32_e32 v2, 0
	ds_load_b128 v[128:131], v2 offset:1328
	ds_load_b128 v[132:135], v2 offset:1344
	s_mov_b32 s2, exec_lo
	s_wait_loadcnt_dscnt 0x701
	v_mul_f64_e32 v[136:137], v[130:131], v[6:7]
	v_mul_f64_e32 v[138:139], v[128:129], v[6:7]
	s_wait_loadcnt_dscnt 0x600
	v_mul_f64_e32 v[140:141], v[132:133], v[10:11]
	v_mul_f64_e32 v[10:11], v[134:135], v[10:11]
	s_delay_alu instid0(VALU_DEP_4) | instskip(NEXT) | instid1(VALU_DEP_4)
	v_fma_f64 v[136:137], v[128:129], v[4:5], -v[136:137]
	v_fmac_f64_e32 v[138:139], v[130:131], v[4:5]
	ds_load_b128 v[4:7], v2 offset:1360
	ds_load_b128 v[128:131], v2 offset:1376
	v_fmac_f64_e32 v[140:141], v[134:135], v[8:9]
	v_fma_f64 v[8:9], v[132:133], v[8:9], -v[10:11]
	s_wait_loadcnt_dscnt 0x501
	v_mul_f64_e32 v[142:143], v[4:5], v[14:15]
	v_mul_f64_e32 v[14:15], v[6:7], v[14:15]
	s_wait_loadcnt_dscnt 0x400
	v_mul_f64_e32 v[134:135], v[128:129], v[18:19]
	v_mul_f64_e32 v[18:19], v[130:131], v[18:19]
	v_add_f64_e32 v[10:11], 0, v[136:137]
	v_add_f64_e32 v[132:133], 0, v[138:139]
	v_fmac_f64_e32 v[142:143], v[6:7], v[12:13]
	v_fma_f64 v[12:13], v[4:5], v[12:13], -v[14:15]
	v_fmac_f64_e32 v[134:135], v[130:131], v[16:17]
	v_fma_f64 v[16:17], v[128:129], v[16:17], -v[18:19]
	v_add_f64_e32 v[14:15], v[10:11], v[8:9]
	v_add_f64_e32 v[132:133], v[132:133], v[140:141]
	ds_load_b128 v[4:7], v2 offset:1392
	ds_load_b128 v[8:11], v2 offset:1408
	s_wait_loadcnt_dscnt 0x301
	v_mul_f64_e32 v[136:137], v[4:5], v[22:23]
	v_mul_f64_e32 v[22:23], v[6:7], v[22:23]
	s_wait_loadcnt_dscnt 0x200
	v_mul_f64_e32 v[18:19], v[8:9], v[26:27]
	v_mul_f64_e32 v[26:27], v[10:11], v[26:27]
	v_add_f64_e32 v[12:13], v[14:15], v[12:13]
	v_add_f64_e32 v[14:15], v[132:133], v[142:143]
	v_fmac_f64_e32 v[136:137], v[6:7], v[20:21]
	v_fma_f64 v[20:21], v[4:5], v[20:21], -v[22:23]
	ds_load_b128 v[4:7], v2 offset:1424
	v_fmac_f64_e32 v[18:19], v[10:11], v[24:25]
	v_fma_f64 v[8:9], v[8:9], v[24:25], -v[26:27]
	v_add_f64_e32 v[12:13], v[12:13], v[16:17]
	v_add_f64_e32 v[14:15], v[14:15], v[134:135]
	s_wait_loadcnt_dscnt 0x100
	v_mul_f64_e32 v[16:17], v[4:5], v[30:31]
	v_mul_f64_e32 v[22:23], v[6:7], v[30:31]
	s_delay_alu instid0(VALU_DEP_4) | instskip(NEXT) | instid1(VALU_DEP_4)
	v_add_f64_e32 v[10:11], v[12:13], v[20:21]
	v_add_f64_e32 v[12:13], v[14:15], v[136:137]
	s_delay_alu instid0(VALU_DEP_4) | instskip(NEXT) | instid1(VALU_DEP_4)
	v_fmac_f64_e32 v[16:17], v[6:7], v[28:29]
	v_fma_f64 v[4:5], v[4:5], v[28:29], -v[22:23]
	s_delay_alu instid0(VALU_DEP_4) | instskip(NEXT) | instid1(VALU_DEP_4)
	v_add_f64_e32 v[6:7], v[10:11], v[8:9]
	v_add_f64_e32 v[8:9], v[12:13], v[18:19]
	s_delay_alu instid0(VALU_DEP_2) | instskip(NEXT) | instid1(VALU_DEP_2)
	v_add_f64_e32 v[4:5], v[6:7], v[4:5]
	v_add_f64_e32 v[6:7], v[8:9], v[16:17]
	s_wait_loadcnt 0x0
	s_delay_alu instid0(VALU_DEP_2) | instskip(NEXT) | instid1(VALU_DEP_2)
	v_add_f64_e64 v[4:5], v[124:125], -v[4:5]
	v_add_f64_e64 v[6:7], v[126:127], -v[6:7]
	scratch_store_b128 off, v[4:7], off offset:592
	s_wait_xcnt 0x0
	v_cmpx_lt_u32_e32 36, v1
	s_cbranch_execz .LBB108_211
; %bb.210:
	scratch_load_b128 v[6:9], off, s24
	v_dual_mov_b32 v3, v2 :: v_dual_mov_b32 v4, v2
	v_mov_b32_e32 v5, v2
	scratch_store_b128 off, v[2:5], off offset:576
	s_wait_loadcnt 0x0
	ds_store_b128 v122, v[6:9]
.LBB108_211:
	s_wait_xcnt 0x0
	s_or_b32 exec_lo, exec_lo, s2
	s_wait_storecnt_dscnt 0x0
	s_barrier_signal -1
	s_barrier_wait -1
	s_clause 0x7
	scratch_load_b128 v[4:7], off, off offset:592
	scratch_load_b128 v[8:11], off, off offset:608
	;; [unrolled: 1-line block ×8, first 2 shown]
	ds_load_b128 v[128:131], v2 offset:1312
	ds_load_b128 v[132:135], v2 offset:1328
	scratch_load_b128 v[136:139], off, off offset:576
	s_mov_b32 s2, exec_lo
	s_wait_loadcnt_dscnt 0x801
	v_mul_f64_e32 v[140:141], v[130:131], v[6:7]
	v_mul_f64_e32 v[142:143], v[128:129], v[6:7]
	s_wait_loadcnt_dscnt 0x700
	v_mul_f64_e32 v[144:145], v[132:133], v[10:11]
	v_mul_f64_e32 v[10:11], v[134:135], v[10:11]
	s_delay_alu instid0(VALU_DEP_4) | instskip(NEXT) | instid1(VALU_DEP_4)
	v_fma_f64 v[140:141], v[128:129], v[4:5], -v[140:141]
	v_fmac_f64_e32 v[142:143], v[130:131], v[4:5]
	ds_load_b128 v[4:7], v2 offset:1344
	ds_load_b128 v[128:131], v2 offset:1360
	v_fmac_f64_e32 v[144:145], v[134:135], v[8:9]
	v_fma_f64 v[8:9], v[132:133], v[8:9], -v[10:11]
	s_wait_loadcnt_dscnt 0x601
	v_mul_f64_e32 v[146:147], v[4:5], v[14:15]
	v_mul_f64_e32 v[14:15], v[6:7], v[14:15]
	s_wait_loadcnt_dscnt 0x500
	v_mul_f64_e32 v[134:135], v[128:129], v[18:19]
	v_mul_f64_e32 v[18:19], v[130:131], v[18:19]
	v_add_f64_e32 v[10:11], 0, v[140:141]
	v_add_f64_e32 v[132:133], 0, v[142:143]
	v_fmac_f64_e32 v[146:147], v[6:7], v[12:13]
	v_fma_f64 v[12:13], v[4:5], v[12:13], -v[14:15]
	v_fmac_f64_e32 v[134:135], v[130:131], v[16:17]
	v_fma_f64 v[16:17], v[128:129], v[16:17], -v[18:19]
	v_add_f64_e32 v[14:15], v[10:11], v[8:9]
	v_add_f64_e32 v[132:133], v[132:133], v[144:145]
	ds_load_b128 v[4:7], v2 offset:1376
	ds_load_b128 v[8:11], v2 offset:1392
	s_wait_loadcnt_dscnt 0x401
	v_mul_f64_e32 v[140:141], v[4:5], v[22:23]
	v_mul_f64_e32 v[22:23], v[6:7], v[22:23]
	s_wait_loadcnt_dscnt 0x300
	v_mul_f64_e32 v[18:19], v[8:9], v[26:27]
	v_mul_f64_e32 v[26:27], v[10:11], v[26:27]
	v_add_f64_e32 v[12:13], v[14:15], v[12:13]
	v_add_f64_e32 v[14:15], v[132:133], v[146:147]
	v_fmac_f64_e32 v[140:141], v[6:7], v[20:21]
	v_fma_f64 v[20:21], v[4:5], v[20:21], -v[22:23]
	v_fmac_f64_e32 v[18:19], v[10:11], v[24:25]
	v_fma_f64 v[8:9], v[8:9], v[24:25], -v[26:27]
	v_add_f64_e32 v[16:17], v[12:13], v[16:17]
	v_add_f64_e32 v[22:23], v[14:15], v[134:135]
	ds_load_b128 v[4:7], v2 offset:1408
	ds_load_b128 v[12:15], v2 offset:1424
	s_wait_loadcnt_dscnt 0x201
	v_mul_f64_e32 v[2:3], v[4:5], v[30:31]
	v_mul_f64_e32 v[30:31], v[6:7], v[30:31]
	v_add_f64_e32 v[10:11], v[16:17], v[20:21]
	v_add_f64_e32 v[16:17], v[22:23], v[140:141]
	s_wait_loadcnt_dscnt 0x100
	v_mul_f64_e32 v[20:21], v[12:13], v[126:127]
	v_mul_f64_e32 v[22:23], v[14:15], v[126:127]
	v_fmac_f64_e32 v[2:3], v[6:7], v[28:29]
	v_fma_f64 v[4:5], v[4:5], v[28:29], -v[30:31]
	v_add_f64_e32 v[6:7], v[10:11], v[8:9]
	v_add_f64_e32 v[8:9], v[16:17], v[18:19]
	v_fmac_f64_e32 v[20:21], v[14:15], v[124:125]
	v_fma_f64 v[10:11], v[12:13], v[124:125], -v[22:23]
	s_delay_alu instid0(VALU_DEP_4) | instskip(NEXT) | instid1(VALU_DEP_4)
	v_add_f64_e32 v[4:5], v[6:7], v[4:5]
	v_add_f64_e32 v[2:3], v[8:9], v[2:3]
	s_delay_alu instid0(VALU_DEP_2) | instskip(NEXT) | instid1(VALU_DEP_2)
	v_add_f64_e32 v[4:5], v[4:5], v[10:11]
	v_add_f64_e32 v[6:7], v[2:3], v[20:21]
	s_wait_loadcnt 0x0
	s_delay_alu instid0(VALU_DEP_2) | instskip(NEXT) | instid1(VALU_DEP_2)
	v_add_f64_e64 v[2:3], v[136:137], -v[4:5]
	v_add_f64_e64 v[4:5], v[138:139], -v[6:7]
	scratch_store_b128 off, v[2:5], off offset:576
	s_wait_xcnt 0x0
	v_cmpx_lt_u32_e32 35, v1
	s_cbranch_execz .LBB108_213
; %bb.212:
	scratch_load_b128 v[2:5], off, s25
	v_mov_b32_e32 v6, 0
	s_delay_alu instid0(VALU_DEP_1)
	v_dual_mov_b32 v7, v6 :: v_dual_mov_b32 v8, v6
	v_mov_b32_e32 v9, v6
	scratch_store_b128 off, v[6:9], off offset:560
	s_wait_loadcnt 0x0
	ds_store_b128 v122, v[2:5]
.LBB108_213:
	s_wait_xcnt 0x0
	s_or_b32 exec_lo, exec_lo, s2
	s_wait_storecnt_dscnt 0x0
	s_barrier_signal -1
	s_barrier_wait -1
	s_clause 0x8
	scratch_load_b128 v[4:7], off, off offset:576
	scratch_load_b128 v[8:11], off, off offset:592
	;; [unrolled: 1-line block ×9, first 2 shown]
	v_mov_b32_e32 v2, 0
	scratch_load_b128 v[136:139], off, off offset:560
	s_mov_b32 s2, exec_lo
	ds_load_b128 v[132:135], v2 offset:1296
	ds_load_b128 v[140:143], v2 offset:1312
	s_wait_loadcnt_dscnt 0x901
	v_mul_f64_e32 v[144:145], v[134:135], v[6:7]
	v_mul_f64_e32 v[146:147], v[132:133], v[6:7]
	s_wait_loadcnt_dscnt 0x800
	v_mul_f64_e32 v[148:149], v[140:141], v[10:11]
	v_mul_f64_e32 v[10:11], v[142:143], v[10:11]
	s_delay_alu instid0(VALU_DEP_4) | instskip(NEXT) | instid1(VALU_DEP_4)
	v_fma_f64 v[144:145], v[132:133], v[4:5], -v[144:145]
	v_fmac_f64_e32 v[146:147], v[134:135], v[4:5]
	ds_load_b128 v[4:7], v2 offset:1328
	ds_load_b128 v[132:135], v2 offset:1344
	v_fmac_f64_e32 v[148:149], v[142:143], v[8:9]
	v_fma_f64 v[8:9], v[140:141], v[8:9], -v[10:11]
	s_wait_loadcnt_dscnt 0x701
	v_mul_f64_e32 v[150:151], v[4:5], v[14:15]
	v_mul_f64_e32 v[14:15], v[6:7], v[14:15]
	s_wait_loadcnt_dscnt 0x600
	v_mul_f64_e32 v[142:143], v[132:133], v[18:19]
	v_mul_f64_e32 v[18:19], v[134:135], v[18:19]
	v_add_f64_e32 v[10:11], 0, v[144:145]
	v_add_f64_e32 v[140:141], 0, v[146:147]
	v_fmac_f64_e32 v[150:151], v[6:7], v[12:13]
	v_fma_f64 v[12:13], v[4:5], v[12:13], -v[14:15]
	v_fmac_f64_e32 v[142:143], v[134:135], v[16:17]
	v_fma_f64 v[16:17], v[132:133], v[16:17], -v[18:19]
	v_add_f64_e32 v[14:15], v[10:11], v[8:9]
	v_add_f64_e32 v[140:141], v[140:141], v[148:149]
	ds_load_b128 v[4:7], v2 offset:1360
	ds_load_b128 v[8:11], v2 offset:1376
	s_wait_loadcnt_dscnt 0x501
	v_mul_f64_e32 v[144:145], v[4:5], v[22:23]
	v_mul_f64_e32 v[22:23], v[6:7], v[22:23]
	s_wait_loadcnt_dscnt 0x400
	v_mul_f64_e32 v[18:19], v[8:9], v[26:27]
	v_mul_f64_e32 v[26:27], v[10:11], v[26:27]
	v_add_f64_e32 v[12:13], v[14:15], v[12:13]
	v_add_f64_e32 v[14:15], v[140:141], v[150:151]
	v_fmac_f64_e32 v[144:145], v[6:7], v[20:21]
	v_fma_f64 v[20:21], v[4:5], v[20:21], -v[22:23]
	v_fmac_f64_e32 v[18:19], v[10:11], v[24:25]
	v_fma_f64 v[8:9], v[8:9], v[24:25], -v[26:27]
	v_add_f64_e32 v[16:17], v[12:13], v[16:17]
	v_add_f64_e32 v[22:23], v[14:15], v[142:143]
	ds_load_b128 v[4:7], v2 offset:1392
	ds_load_b128 v[12:15], v2 offset:1408
	s_wait_loadcnt_dscnt 0x301
	v_mul_f64_e32 v[132:133], v[4:5], v[30:31]
	v_mul_f64_e32 v[30:31], v[6:7], v[30:31]
	v_add_f64_e32 v[10:11], v[16:17], v[20:21]
	v_add_f64_e32 v[16:17], v[22:23], v[144:145]
	s_wait_loadcnt_dscnt 0x200
	v_mul_f64_e32 v[20:21], v[12:13], v[126:127]
	v_mul_f64_e32 v[22:23], v[14:15], v[126:127]
	v_fmac_f64_e32 v[132:133], v[6:7], v[28:29]
	v_fma_f64 v[24:25], v[4:5], v[28:29], -v[30:31]
	ds_load_b128 v[4:7], v2 offset:1424
	v_add_f64_e32 v[8:9], v[10:11], v[8:9]
	v_add_f64_e32 v[10:11], v[16:17], v[18:19]
	v_fmac_f64_e32 v[20:21], v[14:15], v[124:125]
	v_fma_f64 v[12:13], v[12:13], v[124:125], -v[22:23]
	s_wait_loadcnt_dscnt 0x100
	v_mul_f64_e32 v[16:17], v[4:5], v[130:131]
	v_mul_f64_e32 v[18:19], v[6:7], v[130:131]
	v_add_f64_e32 v[8:9], v[8:9], v[24:25]
	v_add_f64_e32 v[10:11], v[10:11], v[132:133]
	s_delay_alu instid0(VALU_DEP_4) | instskip(NEXT) | instid1(VALU_DEP_4)
	v_fmac_f64_e32 v[16:17], v[6:7], v[128:129]
	v_fma_f64 v[4:5], v[4:5], v[128:129], -v[18:19]
	s_delay_alu instid0(VALU_DEP_4) | instskip(NEXT) | instid1(VALU_DEP_4)
	v_add_f64_e32 v[6:7], v[8:9], v[12:13]
	v_add_f64_e32 v[8:9], v[10:11], v[20:21]
	s_delay_alu instid0(VALU_DEP_2) | instskip(NEXT) | instid1(VALU_DEP_2)
	v_add_f64_e32 v[4:5], v[6:7], v[4:5]
	v_add_f64_e32 v[6:7], v[8:9], v[16:17]
	s_wait_loadcnt 0x0
	s_delay_alu instid0(VALU_DEP_2) | instskip(NEXT) | instid1(VALU_DEP_2)
	v_add_f64_e64 v[4:5], v[136:137], -v[4:5]
	v_add_f64_e64 v[6:7], v[138:139], -v[6:7]
	scratch_store_b128 off, v[4:7], off offset:560
	s_wait_xcnt 0x0
	v_cmpx_lt_u32_e32 34, v1
	s_cbranch_execz .LBB108_215
; %bb.214:
	scratch_load_b128 v[6:9], off, s26
	v_dual_mov_b32 v3, v2 :: v_dual_mov_b32 v4, v2
	v_mov_b32_e32 v5, v2
	scratch_store_b128 off, v[2:5], off offset:544
	s_wait_loadcnt 0x0
	ds_store_b128 v122, v[6:9]
.LBB108_215:
	s_wait_xcnt 0x0
	s_or_b32 exec_lo, exec_lo, s2
	s_wait_storecnt_dscnt 0x0
	s_barrier_signal -1
	s_barrier_wait -1
	s_clause 0x9
	scratch_load_b128 v[4:7], off, off offset:560
	scratch_load_b128 v[8:11], off, off offset:576
	;; [unrolled: 1-line block ×10, first 2 shown]
	ds_load_b128 v[136:139], v2 offset:1280
	ds_load_b128 v[140:143], v2 offset:1296
	scratch_load_b128 v[144:147], off, off offset:544
	s_mov_b32 s2, exec_lo
	s_wait_loadcnt_dscnt 0xa01
	v_mul_f64_e32 v[148:149], v[138:139], v[6:7]
	v_mul_f64_e32 v[150:151], v[136:137], v[6:7]
	s_wait_loadcnt_dscnt 0x900
	v_mul_f64_e32 v[152:153], v[140:141], v[10:11]
	v_mul_f64_e32 v[10:11], v[142:143], v[10:11]
	s_delay_alu instid0(VALU_DEP_4) | instskip(NEXT) | instid1(VALU_DEP_4)
	v_fma_f64 v[148:149], v[136:137], v[4:5], -v[148:149]
	v_fmac_f64_e32 v[150:151], v[138:139], v[4:5]
	ds_load_b128 v[4:7], v2 offset:1312
	ds_load_b128 v[136:139], v2 offset:1328
	v_fmac_f64_e32 v[152:153], v[142:143], v[8:9]
	v_fma_f64 v[8:9], v[140:141], v[8:9], -v[10:11]
	s_wait_loadcnt_dscnt 0x801
	v_mul_f64_e32 v[154:155], v[4:5], v[14:15]
	v_mul_f64_e32 v[14:15], v[6:7], v[14:15]
	s_wait_loadcnt_dscnt 0x700
	v_mul_f64_e32 v[142:143], v[136:137], v[18:19]
	v_mul_f64_e32 v[18:19], v[138:139], v[18:19]
	v_add_f64_e32 v[10:11], 0, v[148:149]
	v_add_f64_e32 v[140:141], 0, v[150:151]
	v_fmac_f64_e32 v[154:155], v[6:7], v[12:13]
	v_fma_f64 v[12:13], v[4:5], v[12:13], -v[14:15]
	v_fmac_f64_e32 v[142:143], v[138:139], v[16:17]
	v_fma_f64 v[16:17], v[136:137], v[16:17], -v[18:19]
	v_add_f64_e32 v[14:15], v[10:11], v[8:9]
	v_add_f64_e32 v[140:141], v[140:141], v[152:153]
	ds_load_b128 v[4:7], v2 offset:1344
	ds_load_b128 v[8:11], v2 offset:1360
	s_wait_loadcnt_dscnt 0x601
	v_mul_f64_e32 v[148:149], v[4:5], v[22:23]
	v_mul_f64_e32 v[22:23], v[6:7], v[22:23]
	s_wait_loadcnt_dscnt 0x500
	v_mul_f64_e32 v[18:19], v[8:9], v[26:27]
	v_mul_f64_e32 v[26:27], v[10:11], v[26:27]
	v_add_f64_e32 v[12:13], v[14:15], v[12:13]
	v_add_f64_e32 v[14:15], v[140:141], v[154:155]
	v_fmac_f64_e32 v[148:149], v[6:7], v[20:21]
	v_fma_f64 v[20:21], v[4:5], v[20:21], -v[22:23]
	v_fmac_f64_e32 v[18:19], v[10:11], v[24:25]
	v_fma_f64 v[8:9], v[8:9], v[24:25], -v[26:27]
	v_add_f64_e32 v[16:17], v[12:13], v[16:17]
	v_add_f64_e32 v[22:23], v[14:15], v[142:143]
	ds_load_b128 v[4:7], v2 offset:1376
	ds_load_b128 v[12:15], v2 offset:1392
	s_wait_loadcnt_dscnt 0x401
	v_mul_f64_e32 v[136:137], v[4:5], v[30:31]
	v_mul_f64_e32 v[30:31], v[6:7], v[30:31]
	v_add_f64_e32 v[10:11], v[16:17], v[20:21]
	v_add_f64_e32 v[16:17], v[22:23], v[148:149]
	s_wait_loadcnt_dscnt 0x300
	v_mul_f64_e32 v[20:21], v[12:13], v[126:127]
	v_mul_f64_e32 v[22:23], v[14:15], v[126:127]
	v_fmac_f64_e32 v[136:137], v[6:7], v[28:29]
	v_fma_f64 v[24:25], v[4:5], v[28:29], -v[30:31]
	v_add_f64_e32 v[26:27], v[10:11], v[8:9]
	v_add_f64_e32 v[16:17], v[16:17], v[18:19]
	ds_load_b128 v[4:7], v2 offset:1408
	ds_load_b128 v[8:11], v2 offset:1424
	v_fmac_f64_e32 v[20:21], v[14:15], v[124:125]
	v_fma_f64 v[12:13], v[12:13], v[124:125], -v[22:23]
	s_wait_loadcnt_dscnt 0x201
	v_mul_f64_e32 v[2:3], v[4:5], v[130:131]
	v_mul_f64_e32 v[18:19], v[6:7], v[130:131]
	s_wait_loadcnt_dscnt 0x100
	v_mul_f64_e32 v[22:23], v[8:9], v[134:135]
	v_add_f64_e32 v[14:15], v[26:27], v[24:25]
	v_add_f64_e32 v[16:17], v[16:17], v[136:137]
	v_mul_f64_e32 v[24:25], v[10:11], v[134:135]
	v_fmac_f64_e32 v[2:3], v[6:7], v[128:129]
	v_fma_f64 v[4:5], v[4:5], v[128:129], -v[18:19]
	v_fmac_f64_e32 v[22:23], v[10:11], v[132:133]
	v_add_f64_e32 v[6:7], v[14:15], v[12:13]
	v_add_f64_e32 v[12:13], v[16:17], v[20:21]
	v_fma_f64 v[8:9], v[8:9], v[132:133], -v[24:25]
	s_delay_alu instid0(VALU_DEP_3) | instskip(NEXT) | instid1(VALU_DEP_3)
	v_add_f64_e32 v[4:5], v[6:7], v[4:5]
	v_add_f64_e32 v[2:3], v[12:13], v[2:3]
	s_delay_alu instid0(VALU_DEP_2) | instskip(NEXT) | instid1(VALU_DEP_2)
	v_add_f64_e32 v[4:5], v[4:5], v[8:9]
	v_add_f64_e32 v[6:7], v[2:3], v[22:23]
	s_wait_loadcnt 0x0
	s_delay_alu instid0(VALU_DEP_2) | instskip(NEXT) | instid1(VALU_DEP_2)
	v_add_f64_e64 v[2:3], v[144:145], -v[4:5]
	v_add_f64_e64 v[4:5], v[146:147], -v[6:7]
	scratch_store_b128 off, v[2:5], off offset:544
	s_wait_xcnt 0x0
	v_cmpx_lt_u32_e32 33, v1
	s_cbranch_execz .LBB108_217
; %bb.216:
	scratch_load_b128 v[2:5], off, s27
	v_mov_b32_e32 v6, 0
	s_delay_alu instid0(VALU_DEP_1)
	v_dual_mov_b32 v7, v6 :: v_dual_mov_b32 v8, v6
	v_mov_b32_e32 v9, v6
	scratch_store_b128 off, v[6:9], off offset:528
	s_wait_loadcnt 0x0
	ds_store_b128 v122, v[2:5]
.LBB108_217:
	s_wait_xcnt 0x0
	s_or_b32 exec_lo, exec_lo, s2
	s_wait_storecnt_dscnt 0x0
	s_barrier_signal -1
	s_barrier_wait -1
	s_clause 0x9
	scratch_load_b128 v[4:7], off, off offset:544
	scratch_load_b128 v[8:11], off, off offset:560
	;; [unrolled: 1-line block ×10, first 2 shown]
	v_mov_b32_e32 v2, 0
	s_mov_b32 s2, exec_lo
	ds_load_b128 v[136:139], v2 offset:1264
	s_clause 0x1
	scratch_load_b128 v[140:143], off, off offset:704
	scratch_load_b128 v[144:147], off, off offset:528
	s_wait_loadcnt_dscnt 0xb00
	v_mul_f64_e32 v[152:153], v[138:139], v[6:7]
	v_mul_f64_e32 v[154:155], v[136:137], v[6:7]
	ds_load_b128 v[148:151], v2 offset:1280
	s_wait_loadcnt_dscnt 0xa00
	v_mul_f64_e32 v[156:157], v[148:149], v[10:11]
	v_mul_f64_e32 v[10:11], v[150:151], v[10:11]
	v_fma_f64 v[152:153], v[136:137], v[4:5], -v[152:153]
	v_fmac_f64_e32 v[154:155], v[138:139], v[4:5]
	ds_load_b128 v[4:7], v2 offset:1296
	ds_load_b128 v[136:139], v2 offset:1312
	s_wait_loadcnt_dscnt 0x901
	v_mul_f64_e32 v[158:159], v[4:5], v[14:15]
	v_mul_f64_e32 v[14:15], v[6:7], v[14:15]
	v_fmac_f64_e32 v[156:157], v[150:151], v[8:9]
	v_fma_f64 v[8:9], v[148:149], v[8:9], -v[10:11]
	s_wait_loadcnt_dscnt 0x800
	v_mul_f64_e32 v[150:151], v[136:137], v[18:19]
	v_mul_f64_e32 v[18:19], v[138:139], v[18:19]
	v_add_f64_e32 v[10:11], 0, v[152:153]
	v_add_f64_e32 v[148:149], 0, v[154:155]
	v_fmac_f64_e32 v[158:159], v[6:7], v[12:13]
	v_fma_f64 v[12:13], v[4:5], v[12:13], -v[14:15]
	v_fmac_f64_e32 v[150:151], v[138:139], v[16:17]
	v_fma_f64 v[16:17], v[136:137], v[16:17], -v[18:19]
	v_add_f64_e32 v[14:15], v[10:11], v[8:9]
	v_add_f64_e32 v[148:149], v[148:149], v[156:157]
	ds_load_b128 v[4:7], v2 offset:1328
	ds_load_b128 v[8:11], v2 offset:1344
	s_wait_loadcnt_dscnt 0x701
	v_mul_f64_e32 v[152:153], v[4:5], v[22:23]
	v_mul_f64_e32 v[22:23], v[6:7], v[22:23]
	s_wait_loadcnt_dscnt 0x600
	v_mul_f64_e32 v[18:19], v[8:9], v[26:27]
	v_mul_f64_e32 v[26:27], v[10:11], v[26:27]
	v_add_f64_e32 v[12:13], v[14:15], v[12:13]
	v_add_f64_e32 v[14:15], v[148:149], v[158:159]
	v_fmac_f64_e32 v[152:153], v[6:7], v[20:21]
	v_fma_f64 v[20:21], v[4:5], v[20:21], -v[22:23]
	v_fmac_f64_e32 v[18:19], v[10:11], v[24:25]
	v_fma_f64 v[8:9], v[8:9], v[24:25], -v[26:27]
	v_add_f64_e32 v[16:17], v[12:13], v[16:17]
	v_add_f64_e32 v[22:23], v[14:15], v[150:151]
	ds_load_b128 v[4:7], v2 offset:1360
	ds_load_b128 v[12:15], v2 offset:1376
	s_wait_loadcnt_dscnt 0x501
	v_mul_f64_e32 v[136:137], v[4:5], v[30:31]
	v_mul_f64_e32 v[30:31], v[6:7], v[30:31]
	v_add_f64_e32 v[10:11], v[16:17], v[20:21]
	v_add_f64_e32 v[16:17], v[22:23], v[152:153]
	s_wait_loadcnt_dscnt 0x400
	v_mul_f64_e32 v[20:21], v[12:13], v[126:127]
	v_mul_f64_e32 v[22:23], v[14:15], v[126:127]
	v_fmac_f64_e32 v[136:137], v[6:7], v[28:29]
	v_fma_f64 v[24:25], v[4:5], v[28:29], -v[30:31]
	v_add_f64_e32 v[26:27], v[10:11], v[8:9]
	v_add_f64_e32 v[16:17], v[16:17], v[18:19]
	ds_load_b128 v[4:7], v2 offset:1392
	ds_load_b128 v[8:11], v2 offset:1408
	v_fmac_f64_e32 v[20:21], v[14:15], v[124:125]
	v_fma_f64 v[12:13], v[12:13], v[124:125], -v[22:23]
	s_wait_loadcnt_dscnt 0x301
	v_mul_f64_e32 v[18:19], v[4:5], v[130:131]
	v_mul_f64_e32 v[28:29], v[6:7], v[130:131]
	s_wait_loadcnt_dscnt 0x200
	v_mul_f64_e32 v[22:23], v[8:9], v[134:135]
	v_add_f64_e32 v[14:15], v[26:27], v[24:25]
	v_add_f64_e32 v[16:17], v[16:17], v[136:137]
	v_mul_f64_e32 v[24:25], v[10:11], v[134:135]
	v_fmac_f64_e32 v[18:19], v[6:7], v[128:129]
	v_fma_f64 v[26:27], v[4:5], v[128:129], -v[28:29]
	ds_load_b128 v[4:7], v2 offset:1424
	v_fmac_f64_e32 v[22:23], v[10:11], v[132:133]
	v_add_f64_e32 v[12:13], v[14:15], v[12:13]
	v_add_f64_e32 v[14:15], v[16:17], v[20:21]
	v_fma_f64 v[8:9], v[8:9], v[132:133], -v[24:25]
	s_wait_loadcnt_dscnt 0x100
	v_mul_f64_e32 v[16:17], v[4:5], v[142:143]
	v_mul_f64_e32 v[20:21], v[6:7], v[142:143]
	v_add_f64_e32 v[10:11], v[12:13], v[26:27]
	v_add_f64_e32 v[12:13], v[14:15], v[18:19]
	s_delay_alu instid0(VALU_DEP_4) | instskip(NEXT) | instid1(VALU_DEP_4)
	v_fmac_f64_e32 v[16:17], v[6:7], v[140:141]
	v_fma_f64 v[4:5], v[4:5], v[140:141], -v[20:21]
	s_delay_alu instid0(VALU_DEP_4) | instskip(NEXT) | instid1(VALU_DEP_4)
	v_add_f64_e32 v[6:7], v[10:11], v[8:9]
	v_add_f64_e32 v[8:9], v[12:13], v[22:23]
	s_delay_alu instid0(VALU_DEP_2) | instskip(NEXT) | instid1(VALU_DEP_2)
	v_add_f64_e32 v[4:5], v[6:7], v[4:5]
	v_add_f64_e32 v[6:7], v[8:9], v[16:17]
	s_wait_loadcnt 0x0
	s_delay_alu instid0(VALU_DEP_2) | instskip(NEXT) | instid1(VALU_DEP_2)
	v_add_f64_e64 v[4:5], v[144:145], -v[4:5]
	v_add_f64_e64 v[6:7], v[146:147], -v[6:7]
	scratch_store_b128 off, v[4:7], off offset:528
	s_wait_xcnt 0x0
	v_cmpx_lt_u32_e32 32, v1
	s_cbranch_execz .LBB108_219
; %bb.218:
	scratch_load_b128 v[6:9], off, s28
	v_dual_mov_b32 v3, v2 :: v_dual_mov_b32 v4, v2
	v_mov_b32_e32 v5, v2
	scratch_store_b128 off, v[2:5], off offset:512
	s_wait_loadcnt 0x0
	ds_store_b128 v122, v[6:9]
.LBB108_219:
	s_wait_xcnt 0x0
	s_or_b32 exec_lo, exec_lo, s2
	s_wait_storecnt_dscnt 0x0
	s_barrier_signal -1
	s_barrier_wait -1
	s_clause 0x9
	scratch_load_b128 v[4:7], off, off offset:528
	scratch_load_b128 v[8:11], off, off offset:544
	scratch_load_b128 v[12:15], off, off offset:560
	scratch_load_b128 v[16:19], off, off offset:576
	scratch_load_b128 v[20:23], off, off offset:592
	scratch_load_b128 v[24:27], off, off offset:608
	scratch_load_b128 v[28:31], off, off offset:624
	scratch_load_b128 v[124:127], off, off offset:640
	scratch_load_b128 v[128:131], off, off offset:656
	scratch_load_b128 v[132:135], off, off offset:672
	ds_load_b128 v[136:139], v2 offset:1248
	ds_load_b128 v[144:147], v2 offset:1264
	s_clause 0x2
	scratch_load_b128 v[140:143], off, off offset:688
	scratch_load_b128 v[148:151], off, off offset:512
	;; [unrolled: 1-line block ×3, first 2 shown]
	s_mov_b32 s2, exec_lo
	s_wait_loadcnt_dscnt 0xc01
	v_mul_f64_e32 v[156:157], v[138:139], v[6:7]
	v_mul_f64_e32 v[158:159], v[136:137], v[6:7]
	s_wait_loadcnt_dscnt 0xb00
	v_mul_f64_e32 v[160:161], v[144:145], v[10:11]
	v_mul_f64_e32 v[10:11], v[146:147], v[10:11]
	s_delay_alu instid0(VALU_DEP_4) | instskip(NEXT) | instid1(VALU_DEP_4)
	v_fma_f64 v[156:157], v[136:137], v[4:5], -v[156:157]
	v_fmac_f64_e32 v[158:159], v[138:139], v[4:5]
	ds_load_b128 v[4:7], v2 offset:1280
	ds_load_b128 v[136:139], v2 offset:1296
	v_fmac_f64_e32 v[160:161], v[146:147], v[8:9]
	v_fma_f64 v[8:9], v[144:145], v[8:9], -v[10:11]
	s_wait_loadcnt_dscnt 0xa01
	v_mul_f64_e32 v[162:163], v[4:5], v[14:15]
	v_mul_f64_e32 v[14:15], v[6:7], v[14:15]
	s_wait_loadcnt_dscnt 0x900
	v_mul_f64_e32 v[146:147], v[136:137], v[18:19]
	v_mul_f64_e32 v[18:19], v[138:139], v[18:19]
	v_add_f64_e32 v[10:11], 0, v[156:157]
	v_add_f64_e32 v[144:145], 0, v[158:159]
	v_fmac_f64_e32 v[162:163], v[6:7], v[12:13]
	v_fma_f64 v[12:13], v[4:5], v[12:13], -v[14:15]
	v_fmac_f64_e32 v[146:147], v[138:139], v[16:17]
	v_fma_f64 v[16:17], v[136:137], v[16:17], -v[18:19]
	v_add_f64_e32 v[14:15], v[10:11], v[8:9]
	v_add_f64_e32 v[144:145], v[144:145], v[160:161]
	ds_load_b128 v[4:7], v2 offset:1312
	ds_load_b128 v[8:11], v2 offset:1328
	s_wait_loadcnt_dscnt 0x801
	v_mul_f64_e32 v[156:157], v[4:5], v[22:23]
	v_mul_f64_e32 v[22:23], v[6:7], v[22:23]
	s_wait_loadcnt_dscnt 0x700
	v_mul_f64_e32 v[18:19], v[8:9], v[26:27]
	v_mul_f64_e32 v[26:27], v[10:11], v[26:27]
	v_add_f64_e32 v[12:13], v[14:15], v[12:13]
	v_add_f64_e32 v[14:15], v[144:145], v[162:163]
	v_fmac_f64_e32 v[156:157], v[6:7], v[20:21]
	v_fma_f64 v[20:21], v[4:5], v[20:21], -v[22:23]
	v_fmac_f64_e32 v[18:19], v[10:11], v[24:25]
	v_fma_f64 v[8:9], v[8:9], v[24:25], -v[26:27]
	v_add_f64_e32 v[16:17], v[12:13], v[16:17]
	v_add_f64_e32 v[22:23], v[14:15], v[146:147]
	ds_load_b128 v[4:7], v2 offset:1344
	ds_load_b128 v[12:15], v2 offset:1360
	s_wait_loadcnt_dscnt 0x601
	v_mul_f64_e32 v[136:137], v[4:5], v[30:31]
	v_mul_f64_e32 v[30:31], v[6:7], v[30:31]
	v_add_f64_e32 v[10:11], v[16:17], v[20:21]
	v_add_f64_e32 v[16:17], v[22:23], v[156:157]
	s_wait_loadcnt_dscnt 0x500
	v_mul_f64_e32 v[20:21], v[12:13], v[126:127]
	v_mul_f64_e32 v[22:23], v[14:15], v[126:127]
	v_fmac_f64_e32 v[136:137], v[6:7], v[28:29]
	v_fma_f64 v[24:25], v[4:5], v[28:29], -v[30:31]
	v_add_f64_e32 v[26:27], v[10:11], v[8:9]
	v_add_f64_e32 v[16:17], v[16:17], v[18:19]
	ds_load_b128 v[4:7], v2 offset:1376
	ds_load_b128 v[8:11], v2 offset:1392
	v_fmac_f64_e32 v[20:21], v[14:15], v[124:125]
	v_fma_f64 v[12:13], v[12:13], v[124:125], -v[22:23]
	s_wait_loadcnt_dscnt 0x401
	v_mul_f64_e32 v[18:19], v[4:5], v[130:131]
	v_mul_f64_e32 v[28:29], v[6:7], v[130:131]
	s_wait_loadcnt_dscnt 0x300
	v_mul_f64_e32 v[22:23], v[8:9], v[134:135]
	v_add_f64_e32 v[14:15], v[26:27], v[24:25]
	v_add_f64_e32 v[16:17], v[16:17], v[136:137]
	v_mul_f64_e32 v[24:25], v[10:11], v[134:135]
	v_fmac_f64_e32 v[18:19], v[6:7], v[128:129]
	v_fma_f64 v[26:27], v[4:5], v[128:129], -v[28:29]
	v_fmac_f64_e32 v[22:23], v[10:11], v[132:133]
	v_add_f64_e32 v[28:29], v[14:15], v[12:13]
	v_add_f64_e32 v[16:17], v[16:17], v[20:21]
	ds_load_b128 v[4:7], v2 offset:1408
	ds_load_b128 v[12:15], v2 offset:1424
	v_fma_f64 v[8:9], v[8:9], v[132:133], -v[24:25]
	s_wait_loadcnt_dscnt 0x201
	v_mul_f64_e32 v[2:3], v[4:5], v[142:143]
	v_mul_f64_e32 v[20:21], v[6:7], v[142:143]
	s_wait_loadcnt_dscnt 0x0
	v_mul_f64_e32 v[24:25], v[14:15], v[154:155]
	v_add_f64_e32 v[10:11], v[28:29], v[26:27]
	v_add_f64_e32 v[16:17], v[16:17], v[18:19]
	v_mul_f64_e32 v[18:19], v[12:13], v[154:155]
	v_fmac_f64_e32 v[2:3], v[6:7], v[140:141]
	v_fma_f64 v[4:5], v[4:5], v[140:141], -v[20:21]
	v_add_f64_e32 v[6:7], v[10:11], v[8:9]
	v_add_f64_e32 v[8:9], v[16:17], v[22:23]
	v_fmac_f64_e32 v[18:19], v[14:15], v[152:153]
	v_fma_f64 v[10:11], v[12:13], v[152:153], -v[24:25]
	s_delay_alu instid0(VALU_DEP_4) | instskip(NEXT) | instid1(VALU_DEP_4)
	v_add_f64_e32 v[4:5], v[6:7], v[4:5]
	v_add_f64_e32 v[2:3], v[8:9], v[2:3]
	s_delay_alu instid0(VALU_DEP_2) | instskip(NEXT) | instid1(VALU_DEP_2)
	v_add_f64_e32 v[4:5], v[4:5], v[10:11]
	v_add_f64_e32 v[6:7], v[2:3], v[18:19]
	s_delay_alu instid0(VALU_DEP_2) | instskip(NEXT) | instid1(VALU_DEP_2)
	v_add_f64_e64 v[2:3], v[148:149], -v[4:5]
	v_add_f64_e64 v[4:5], v[150:151], -v[6:7]
	scratch_store_b128 off, v[2:5], off offset:512
	s_wait_xcnt 0x0
	v_cmpx_lt_u32_e32 31, v1
	s_cbranch_execz .LBB108_221
; %bb.220:
	scratch_load_b128 v[2:5], off, s29
	v_mov_b32_e32 v6, 0
	s_delay_alu instid0(VALU_DEP_1)
	v_dual_mov_b32 v7, v6 :: v_dual_mov_b32 v8, v6
	v_mov_b32_e32 v9, v6
	scratch_store_b128 off, v[6:9], off offset:496
	s_wait_loadcnt 0x0
	ds_store_b128 v122, v[2:5]
.LBB108_221:
	s_wait_xcnt 0x0
	s_or_b32 exec_lo, exec_lo, s2
	s_wait_storecnt_dscnt 0x0
	s_barrier_signal -1
	s_barrier_wait -1
	s_clause 0x9
	scratch_load_b128 v[4:7], off, off offset:512
	scratch_load_b128 v[8:11], off, off offset:528
	;; [unrolled: 1-line block ×10, first 2 shown]
	v_mov_b32_e32 v2, 0
	s_mov_b32 s2, exec_lo
	ds_load_b128 v[136:139], v2 offset:1232
	s_clause 0x2
	scratch_load_b128 v[140:143], off, off offset:672
	scratch_load_b128 v[144:147], off, off offset:496
	;; [unrolled: 1-line block ×3, first 2 shown]
	s_wait_loadcnt_dscnt 0xc00
	v_mul_f64_e32 v[156:157], v[138:139], v[6:7]
	v_mul_f64_e32 v[160:161], v[136:137], v[6:7]
	ds_load_b128 v[148:151], v2 offset:1248
	v_fma_f64 v[164:165], v[136:137], v[4:5], -v[156:157]
	v_fmac_f64_e32 v[160:161], v[138:139], v[4:5]
	ds_load_b128 v[4:7], v2 offset:1264
	s_wait_loadcnt_dscnt 0xb01
	v_mul_f64_e32 v[162:163], v[148:149], v[10:11]
	v_mul_f64_e32 v[10:11], v[150:151], v[10:11]
	scratch_load_b128 v[136:139], off, off offset:704
	ds_load_b128 v[156:159], v2 offset:1280
	s_wait_loadcnt_dscnt 0xb01
	v_mul_f64_e32 v[166:167], v[4:5], v[14:15]
	v_mul_f64_e32 v[14:15], v[6:7], v[14:15]
	v_fmac_f64_e32 v[162:163], v[150:151], v[8:9]
	v_fma_f64 v[8:9], v[148:149], v[8:9], -v[10:11]
	v_add_f64_e32 v[10:11], 0, v[164:165]
	v_add_f64_e32 v[148:149], 0, v[160:161]
	s_wait_loadcnt_dscnt 0xa00
	v_mul_f64_e32 v[150:151], v[156:157], v[18:19]
	v_mul_f64_e32 v[18:19], v[158:159], v[18:19]
	v_fmac_f64_e32 v[166:167], v[6:7], v[12:13]
	v_fma_f64 v[12:13], v[4:5], v[12:13], -v[14:15]
	v_add_f64_e32 v[14:15], v[10:11], v[8:9]
	v_add_f64_e32 v[148:149], v[148:149], v[162:163]
	ds_load_b128 v[4:7], v2 offset:1296
	ds_load_b128 v[8:11], v2 offset:1312
	v_fmac_f64_e32 v[150:151], v[158:159], v[16:17]
	v_fma_f64 v[16:17], v[156:157], v[16:17], -v[18:19]
	s_wait_loadcnt_dscnt 0x901
	v_mul_f64_e32 v[160:161], v[4:5], v[22:23]
	v_mul_f64_e32 v[22:23], v[6:7], v[22:23]
	s_wait_loadcnt_dscnt 0x800
	v_mul_f64_e32 v[18:19], v[8:9], v[26:27]
	v_mul_f64_e32 v[26:27], v[10:11], v[26:27]
	v_add_f64_e32 v[12:13], v[14:15], v[12:13]
	v_add_f64_e32 v[14:15], v[148:149], v[166:167]
	v_fmac_f64_e32 v[160:161], v[6:7], v[20:21]
	v_fma_f64 v[20:21], v[4:5], v[20:21], -v[22:23]
	v_fmac_f64_e32 v[18:19], v[10:11], v[24:25]
	v_fma_f64 v[8:9], v[8:9], v[24:25], -v[26:27]
	v_add_f64_e32 v[16:17], v[12:13], v[16:17]
	v_add_f64_e32 v[22:23], v[14:15], v[150:151]
	ds_load_b128 v[4:7], v2 offset:1328
	ds_load_b128 v[12:15], v2 offset:1344
	s_wait_loadcnt_dscnt 0x701
	v_mul_f64_e32 v[148:149], v[4:5], v[30:31]
	v_mul_f64_e32 v[30:31], v[6:7], v[30:31]
	v_add_f64_e32 v[10:11], v[16:17], v[20:21]
	v_add_f64_e32 v[16:17], v[22:23], v[160:161]
	s_wait_loadcnt_dscnt 0x600
	v_mul_f64_e32 v[20:21], v[12:13], v[126:127]
	v_mul_f64_e32 v[22:23], v[14:15], v[126:127]
	v_fmac_f64_e32 v[148:149], v[6:7], v[28:29]
	v_fma_f64 v[24:25], v[4:5], v[28:29], -v[30:31]
	v_add_f64_e32 v[26:27], v[10:11], v[8:9]
	v_add_f64_e32 v[16:17], v[16:17], v[18:19]
	ds_load_b128 v[4:7], v2 offset:1360
	ds_load_b128 v[8:11], v2 offset:1376
	v_fmac_f64_e32 v[20:21], v[14:15], v[124:125]
	v_fma_f64 v[12:13], v[12:13], v[124:125], -v[22:23]
	s_wait_loadcnt_dscnt 0x501
	v_mul_f64_e32 v[18:19], v[4:5], v[130:131]
	v_mul_f64_e32 v[28:29], v[6:7], v[130:131]
	s_wait_loadcnt_dscnt 0x400
	v_mul_f64_e32 v[22:23], v[8:9], v[134:135]
	v_add_f64_e32 v[14:15], v[26:27], v[24:25]
	v_add_f64_e32 v[16:17], v[16:17], v[148:149]
	v_mul_f64_e32 v[24:25], v[10:11], v[134:135]
	v_fmac_f64_e32 v[18:19], v[6:7], v[128:129]
	v_fma_f64 v[26:27], v[4:5], v[128:129], -v[28:29]
	v_fmac_f64_e32 v[22:23], v[10:11], v[132:133]
	v_add_f64_e32 v[28:29], v[14:15], v[12:13]
	v_add_f64_e32 v[16:17], v[16:17], v[20:21]
	ds_load_b128 v[4:7], v2 offset:1392
	ds_load_b128 v[12:15], v2 offset:1408
	v_fma_f64 v[8:9], v[8:9], v[132:133], -v[24:25]
	s_wait_loadcnt_dscnt 0x301
	v_mul_f64_e32 v[20:21], v[4:5], v[142:143]
	v_mul_f64_e32 v[30:31], v[6:7], v[142:143]
	s_wait_loadcnt_dscnt 0x100
	v_mul_f64_e32 v[24:25], v[14:15], v[154:155]
	v_add_f64_e32 v[10:11], v[28:29], v[26:27]
	v_add_f64_e32 v[16:17], v[16:17], v[18:19]
	v_mul_f64_e32 v[18:19], v[12:13], v[154:155]
	v_fmac_f64_e32 v[20:21], v[6:7], v[140:141]
	v_fma_f64 v[26:27], v[4:5], v[140:141], -v[30:31]
	ds_load_b128 v[4:7], v2 offset:1424
	v_fma_f64 v[12:13], v[12:13], v[152:153], -v[24:25]
	v_add_f64_e32 v[8:9], v[10:11], v[8:9]
	v_add_f64_e32 v[10:11], v[16:17], v[22:23]
	v_fmac_f64_e32 v[18:19], v[14:15], v[152:153]
	s_wait_loadcnt_dscnt 0x0
	v_mul_f64_e32 v[16:17], v[4:5], v[138:139]
	v_mul_f64_e32 v[22:23], v[6:7], v[138:139]
	v_add_f64_e32 v[8:9], v[8:9], v[26:27]
	v_add_f64_e32 v[10:11], v[10:11], v[20:21]
	s_delay_alu instid0(VALU_DEP_4) | instskip(NEXT) | instid1(VALU_DEP_4)
	v_fmac_f64_e32 v[16:17], v[6:7], v[136:137]
	v_fma_f64 v[4:5], v[4:5], v[136:137], -v[22:23]
	s_delay_alu instid0(VALU_DEP_4) | instskip(NEXT) | instid1(VALU_DEP_4)
	v_add_f64_e32 v[6:7], v[8:9], v[12:13]
	v_add_f64_e32 v[8:9], v[10:11], v[18:19]
	s_delay_alu instid0(VALU_DEP_2) | instskip(NEXT) | instid1(VALU_DEP_2)
	v_add_f64_e32 v[4:5], v[6:7], v[4:5]
	v_add_f64_e32 v[6:7], v[8:9], v[16:17]
	s_delay_alu instid0(VALU_DEP_2) | instskip(NEXT) | instid1(VALU_DEP_2)
	v_add_f64_e64 v[4:5], v[144:145], -v[4:5]
	v_add_f64_e64 v[6:7], v[146:147], -v[6:7]
	scratch_store_b128 off, v[4:7], off offset:496
	s_wait_xcnt 0x0
	v_cmpx_lt_u32_e32 30, v1
	s_cbranch_execz .LBB108_223
; %bb.222:
	scratch_load_b128 v[6:9], off, s30
	v_dual_mov_b32 v3, v2 :: v_dual_mov_b32 v4, v2
	v_mov_b32_e32 v5, v2
	scratch_store_b128 off, v[2:5], off offset:480
	s_wait_loadcnt 0x0
	ds_store_b128 v122, v[6:9]
.LBB108_223:
	s_wait_xcnt 0x0
	s_or_b32 exec_lo, exec_lo, s2
	s_wait_storecnt_dscnt 0x0
	s_barrier_signal -1
	s_barrier_wait -1
	s_clause 0x9
	scratch_load_b128 v[4:7], off, off offset:496
	scratch_load_b128 v[8:11], off, off offset:512
	;; [unrolled: 1-line block ×10, first 2 shown]
	ds_load_b128 v[136:139], v2 offset:1216
	ds_load_b128 v[144:147], v2 offset:1232
	s_clause 0x2
	scratch_load_b128 v[140:143], off, off offset:656
	scratch_load_b128 v[148:151], off, off offset:480
	;; [unrolled: 1-line block ×3, first 2 shown]
	s_mov_b32 s2, exec_lo
	s_wait_loadcnt_dscnt 0xc01
	v_mul_f64_e32 v[156:157], v[138:139], v[6:7]
	v_mul_f64_e32 v[160:161], v[136:137], v[6:7]
	s_wait_loadcnt_dscnt 0xb00
	v_mul_f64_e32 v[162:163], v[144:145], v[10:11]
	v_mul_f64_e32 v[10:11], v[146:147], v[10:11]
	s_delay_alu instid0(VALU_DEP_4) | instskip(NEXT) | instid1(VALU_DEP_4)
	v_fma_f64 v[164:165], v[136:137], v[4:5], -v[156:157]
	v_fmac_f64_e32 v[160:161], v[138:139], v[4:5]
	ds_load_b128 v[4:7], v2 offset:1248
	ds_load_b128 v[136:139], v2 offset:1264
	scratch_load_b128 v[156:159], off, off offset:688
	v_fmac_f64_e32 v[162:163], v[146:147], v[8:9]
	v_fma_f64 v[144:145], v[144:145], v[8:9], -v[10:11]
	scratch_load_b128 v[8:11], off, off offset:704
	s_wait_loadcnt_dscnt 0xc01
	v_mul_f64_e32 v[166:167], v[4:5], v[14:15]
	v_mul_f64_e32 v[14:15], v[6:7], v[14:15]
	v_add_f64_e32 v[146:147], 0, v[164:165]
	v_add_f64_e32 v[160:161], 0, v[160:161]
	s_wait_loadcnt_dscnt 0xb00
	v_mul_f64_e32 v[164:165], v[136:137], v[18:19]
	v_mul_f64_e32 v[18:19], v[138:139], v[18:19]
	v_fmac_f64_e32 v[166:167], v[6:7], v[12:13]
	v_fma_f64 v[168:169], v[4:5], v[12:13], -v[14:15]
	ds_load_b128 v[4:7], v2 offset:1280
	ds_load_b128 v[12:15], v2 offset:1296
	v_add_f64_e32 v[144:145], v[146:147], v[144:145]
	v_add_f64_e32 v[146:147], v[160:161], v[162:163]
	v_fmac_f64_e32 v[164:165], v[138:139], v[16:17]
	v_fma_f64 v[16:17], v[136:137], v[16:17], -v[18:19]
	s_wait_loadcnt_dscnt 0xa01
	v_mul_f64_e32 v[160:161], v[4:5], v[22:23]
	v_mul_f64_e32 v[22:23], v[6:7], v[22:23]
	s_wait_loadcnt_dscnt 0x900
	v_mul_f64_e32 v[138:139], v[12:13], v[26:27]
	v_mul_f64_e32 v[26:27], v[14:15], v[26:27]
	v_add_f64_e32 v[18:19], v[144:145], v[168:169]
	v_add_f64_e32 v[136:137], v[146:147], v[166:167]
	v_fmac_f64_e32 v[160:161], v[6:7], v[20:21]
	v_fma_f64 v[20:21], v[4:5], v[20:21], -v[22:23]
	v_fmac_f64_e32 v[138:139], v[14:15], v[24:25]
	v_fma_f64 v[12:13], v[12:13], v[24:25], -v[26:27]
	v_add_f64_e32 v[22:23], v[18:19], v[16:17]
	v_add_f64_e32 v[136:137], v[136:137], v[164:165]
	ds_load_b128 v[4:7], v2 offset:1312
	ds_load_b128 v[16:19], v2 offset:1328
	s_wait_loadcnt_dscnt 0x801
	v_mul_f64_e32 v[144:145], v[4:5], v[30:31]
	v_mul_f64_e32 v[30:31], v[6:7], v[30:31]
	s_wait_loadcnt_dscnt 0x700
	v_mul_f64_e32 v[24:25], v[18:19], v[126:127]
	v_add_f64_e32 v[14:15], v[22:23], v[20:21]
	v_add_f64_e32 v[20:21], v[136:137], v[160:161]
	v_mul_f64_e32 v[22:23], v[16:17], v[126:127]
	v_fmac_f64_e32 v[144:145], v[6:7], v[28:29]
	v_fma_f64 v[26:27], v[4:5], v[28:29], -v[30:31]
	v_fma_f64 v[16:17], v[16:17], v[124:125], -v[24:25]
	v_add_f64_e32 v[28:29], v[14:15], v[12:13]
	v_add_f64_e32 v[20:21], v[20:21], v[138:139]
	ds_load_b128 v[4:7], v2 offset:1344
	ds_load_b128 v[12:15], v2 offset:1360
	v_fmac_f64_e32 v[22:23], v[18:19], v[124:125]
	s_wait_loadcnt_dscnt 0x601
	v_mul_f64_e32 v[30:31], v[4:5], v[130:131]
	v_mul_f64_e32 v[126:127], v[6:7], v[130:131]
	s_wait_loadcnt_dscnt 0x500
	v_mul_f64_e32 v[24:25], v[12:13], v[134:135]
	v_add_f64_e32 v[18:19], v[28:29], v[26:27]
	v_add_f64_e32 v[20:21], v[20:21], v[144:145]
	v_mul_f64_e32 v[26:27], v[14:15], v[134:135]
	v_fmac_f64_e32 v[30:31], v[6:7], v[128:129]
	v_fma_f64 v[28:29], v[4:5], v[128:129], -v[126:127]
	v_fmac_f64_e32 v[24:25], v[14:15], v[132:133]
	v_add_f64_e32 v[124:125], v[18:19], v[16:17]
	v_add_f64_e32 v[20:21], v[20:21], v[22:23]
	ds_load_b128 v[4:7], v2 offset:1376
	ds_load_b128 v[16:19], v2 offset:1392
	v_fma_f64 v[12:13], v[12:13], v[132:133], -v[26:27]
	s_wait_loadcnt_dscnt 0x401
	v_mul_f64_e32 v[22:23], v[4:5], v[142:143]
	v_mul_f64_e32 v[126:127], v[6:7], v[142:143]
	s_wait_loadcnt_dscnt 0x200
	v_mul_f64_e32 v[26:27], v[16:17], v[154:155]
	v_add_f64_e32 v[14:15], v[124:125], v[28:29]
	v_add_f64_e32 v[20:21], v[20:21], v[30:31]
	v_mul_f64_e32 v[28:29], v[18:19], v[154:155]
	v_fmac_f64_e32 v[22:23], v[6:7], v[140:141]
	v_fma_f64 v[30:31], v[4:5], v[140:141], -v[126:127]
	v_fmac_f64_e32 v[26:27], v[18:19], v[152:153]
	v_add_f64_e32 v[124:125], v[14:15], v[12:13]
	v_add_f64_e32 v[20:21], v[20:21], v[24:25]
	ds_load_b128 v[4:7], v2 offset:1408
	ds_load_b128 v[12:15], v2 offset:1424
	v_fma_f64 v[16:17], v[16:17], v[152:153], -v[28:29]
	s_wait_loadcnt_dscnt 0x101
	v_mul_f64_e32 v[2:3], v[4:5], v[158:159]
	v_mul_f64_e32 v[24:25], v[6:7], v[158:159]
	v_add_f64_e32 v[18:19], v[124:125], v[30:31]
	v_add_f64_e32 v[20:21], v[20:21], v[22:23]
	s_wait_loadcnt_dscnt 0x0
	v_mul_f64_e32 v[22:23], v[12:13], v[10:11]
	v_mul_f64_e32 v[10:11], v[14:15], v[10:11]
	v_fmac_f64_e32 v[2:3], v[6:7], v[156:157]
	v_fma_f64 v[4:5], v[4:5], v[156:157], -v[24:25]
	v_add_f64_e32 v[6:7], v[18:19], v[16:17]
	v_add_f64_e32 v[16:17], v[20:21], v[26:27]
	v_fmac_f64_e32 v[22:23], v[14:15], v[8:9]
	v_fma_f64 v[8:9], v[12:13], v[8:9], -v[10:11]
	s_delay_alu instid0(VALU_DEP_4) | instskip(NEXT) | instid1(VALU_DEP_4)
	v_add_f64_e32 v[4:5], v[6:7], v[4:5]
	v_add_f64_e32 v[2:3], v[16:17], v[2:3]
	s_delay_alu instid0(VALU_DEP_2) | instskip(NEXT) | instid1(VALU_DEP_2)
	v_add_f64_e32 v[4:5], v[4:5], v[8:9]
	v_add_f64_e32 v[6:7], v[2:3], v[22:23]
	s_delay_alu instid0(VALU_DEP_2) | instskip(NEXT) | instid1(VALU_DEP_2)
	v_add_f64_e64 v[2:3], v[148:149], -v[4:5]
	v_add_f64_e64 v[4:5], v[150:151], -v[6:7]
	scratch_store_b128 off, v[2:5], off offset:480
	s_wait_xcnt 0x0
	v_cmpx_lt_u32_e32 29, v1
	s_cbranch_execz .LBB108_225
; %bb.224:
	scratch_load_b128 v[2:5], off, s31
	v_mov_b32_e32 v6, 0
	s_delay_alu instid0(VALU_DEP_1)
	v_dual_mov_b32 v7, v6 :: v_dual_mov_b32 v8, v6
	v_mov_b32_e32 v9, v6
	scratch_store_b128 off, v[6:9], off offset:464
	s_wait_loadcnt 0x0
	ds_store_b128 v122, v[2:5]
.LBB108_225:
	s_wait_xcnt 0x0
	s_or_b32 exec_lo, exec_lo, s2
	s_wait_storecnt_dscnt 0x0
	s_barrier_signal -1
	s_barrier_wait -1
	s_clause 0x9
	scratch_load_b128 v[4:7], off, off offset:480
	scratch_load_b128 v[8:11], off, off offset:496
	;; [unrolled: 1-line block ×10, first 2 shown]
	v_mov_b32_e32 v2, 0
	s_mov_b32 s2, exec_lo
	ds_load_b128 v[136:139], v2 offset:1200
	s_clause 0x2
	scratch_load_b128 v[140:143], off, off offset:640
	scratch_load_b128 v[144:147], off, off offset:464
	;; [unrolled: 1-line block ×3, first 2 shown]
	s_wait_loadcnt_dscnt 0xc00
	v_mul_f64_e32 v[156:157], v[138:139], v[6:7]
	v_mul_f64_e32 v[160:161], v[136:137], v[6:7]
	ds_load_b128 v[148:151], v2 offset:1216
	v_fma_f64 v[164:165], v[136:137], v[4:5], -v[156:157]
	v_fmac_f64_e32 v[160:161], v[138:139], v[4:5]
	ds_load_b128 v[4:7], v2 offset:1232
	s_wait_loadcnt_dscnt 0xb01
	v_mul_f64_e32 v[162:163], v[148:149], v[10:11]
	v_mul_f64_e32 v[10:11], v[150:151], v[10:11]
	scratch_load_b128 v[136:139], off, off offset:672
	ds_load_b128 v[156:159], v2 offset:1248
	s_wait_loadcnt_dscnt 0xb01
	v_mul_f64_e32 v[166:167], v[4:5], v[14:15]
	v_mul_f64_e32 v[14:15], v[6:7], v[14:15]
	v_add_f64_e32 v[160:161], 0, v[160:161]
	v_fmac_f64_e32 v[162:163], v[150:151], v[8:9]
	v_fma_f64 v[148:149], v[148:149], v[8:9], -v[10:11]
	v_add_f64_e32 v[150:151], 0, v[164:165]
	scratch_load_b128 v[8:11], off, off offset:688
	v_fmac_f64_e32 v[166:167], v[6:7], v[12:13]
	v_fma_f64 v[168:169], v[4:5], v[12:13], -v[14:15]
	ds_load_b128 v[4:7], v2 offset:1264
	s_wait_loadcnt_dscnt 0xb01
	v_mul_f64_e32 v[164:165], v[156:157], v[18:19]
	v_mul_f64_e32 v[18:19], v[158:159], v[18:19]
	scratch_load_b128 v[12:15], off, off offset:704
	v_add_f64_e32 v[160:161], v[160:161], v[162:163]
	v_add_f64_e32 v[170:171], v[150:151], v[148:149]
	ds_load_b128 v[148:151], v2 offset:1280
	s_wait_loadcnt_dscnt 0xb01
	v_mul_f64_e32 v[162:163], v[4:5], v[22:23]
	v_mul_f64_e32 v[22:23], v[6:7], v[22:23]
	v_fmac_f64_e32 v[164:165], v[158:159], v[16:17]
	v_fma_f64 v[16:17], v[156:157], v[16:17], -v[18:19]
	s_wait_loadcnt_dscnt 0xa00
	v_mul_f64_e32 v[158:159], v[148:149], v[26:27]
	v_mul_f64_e32 v[26:27], v[150:151], v[26:27]
	v_add_f64_e32 v[156:157], v[160:161], v[166:167]
	v_add_f64_e32 v[18:19], v[170:171], v[168:169]
	v_fmac_f64_e32 v[162:163], v[6:7], v[20:21]
	v_fma_f64 v[20:21], v[4:5], v[20:21], -v[22:23]
	v_fmac_f64_e32 v[158:159], v[150:151], v[24:25]
	v_fma_f64 v[24:25], v[148:149], v[24:25], -v[26:27]
	v_add_f64_e32 v[156:157], v[156:157], v[164:165]
	v_add_f64_e32 v[22:23], v[18:19], v[16:17]
	ds_load_b128 v[4:7], v2 offset:1296
	ds_load_b128 v[16:19], v2 offset:1312
	s_wait_loadcnt_dscnt 0x901
	v_mul_f64_e32 v[160:161], v[4:5], v[30:31]
	v_mul_f64_e32 v[30:31], v[6:7], v[30:31]
	s_wait_loadcnt_dscnt 0x800
	v_mul_f64_e32 v[26:27], v[16:17], v[126:127]
	v_mul_f64_e32 v[126:127], v[18:19], v[126:127]
	v_add_f64_e32 v[20:21], v[22:23], v[20:21]
	v_add_f64_e32 v[22:23], v[156:157], v[162:163]
	v_fmac_f64_e32 v[160:161], v[6:7], v[28:29]
	v_fma_f64 v[28:29], v[4:5], v[28:29], -v[30:31]
	v_fmac_f64_e32 v[26:27], v[18:19], v[124:125]
	v_fma_f64 v[16:17], v[16:17], v[124:125], -v[126:127]
	v_add_f64_e32 v[24:25], v[20:21], v[24:25]
	v_add_f64_e32 v[30:31], v[22:23], v[158:159]
	ds_load_b128 v[4:7], v2 offset:1328
	ds_load_b128 v[20:23], v2 offset:1344
	s_wait_loadcnt_dscnt 0x701
	v_mul_f64_e32 v[148:149], v[4:5], v[130:131]
	v_mul_f64_e32 v[130:131], v[6:7], v[130:131]
	v_add_f64_e32 v[18:19], v[24:25], v[28:29]
	v_add_f64_e32 v[24:25], v[30:31], v[160:161]
	s_wait_loadcnt_dscnt 0x600
	v_mul_f64_e32 v[28:29], v[20:21], v[134:135]
	v_mul_f64_e32 v[30:31], v[22:23], v[134:135]
	v_fmac_f64_e32 v[148:149], v[6:7], v[128:129]
	v_fma_f64 v[124:125], v[4:5], v[128:129], -v[130:131]
	v_add_f64_e32 v[126:127], v[18:19], v[16:17]
	v_add_f64_e32 v[24:25], v[24:25], v[26:27]
	ds_load_b128 v[4:7], v2 offset:1360
	ds_load_b128 v[16:19], v2 offset:1376
	v_fmac_f64_e32 v[28:29], v[22:23], v[132:133]
	v_fma_f64 v[20:21], v[20:21], v[132:133], -v[30:31]
	s_wait_loadcnt_dscnt 0x501
	v_mul_f64_e32 v[26:27], v[4:5], v[142:143]
	v_mul_f64_e32 v[128:129], v[6:7], v[142:143]
	s_wait_loadcnt_dscnt 0x300
	v_mul_f64_e32 v[30:31], v[16:17], v[154:155]
	v_add_f64_e32 v[22:23], v[126:127], v[124:125]
	v_add_f64_e32 v[24:25], v[24:25], v[148:149]
	v_mul_f64_e32 v[124:125], v[18:19], v[154:155]
	v_fmac_f64_e32 v[26:27], v[6:7], v[140:141]
	v_fma_f64 v[126:127], v[4:5], v[140:141], -v[128:129]
	v_fmac_f64_e32 v[30:31], v[18:19], v[152:153]
	v_add_f64_e32 v[128:129], v[22:23], v[20:21]
	v_add_f64_e32 v[24:25], v[24:25], v[28:29]
	ds_load_b128 v[4:7], v2 offset:1392
	ds_load_b128 v[20:23], v2 offset:1408
	v_fma_f64 v[16:17], v[16:17], v[152:153], -v[124:125]
	s_wait_loadcnt_dscnt 0x201
	v_mul_f64_e32 v[28:29], v[4:5], v[138:139]
	v_mul_f64_e32 v[130:131], v[6:7], v[138:139]
	v_add_f64_e32 v[18:19], v[128:129], v[126:127]
	v_add_f64_e32 v[24:25], v[24:25], v[26:27]
	s_wait_loadcnt_dscnt 0x100
	v_mul_f64_e32 v[26:27], v[20:21], v[10:11]
	v_mul_f64_e32 v[10:11], v[22:23], v[10:11]
	v_fmac_f64_e32 v[28:29], v[6:7], v[136:137]
	v_fma_f64 v[124:125], v[4:5], v[136:137], -v[130:131]
	ds_load_b128 v[4:7], v2 offset:1424
	v_add_f64_e32 v[16:17], v[18:19], v[16:17]
	v_add_f64_e32 v[18:19], v[24:25], v[30:31]
	v_fmac_f64_e32 v[26:27], v[22:23], v[8:9]
	v_fma_f64 v[8:9], v[20:21], v[8:9], -v[10:11]
	s_wait_loadcnt_dscnt 0x0
	v_mul_f64_e32 v[24:25], v[4:5], v[14:15]
	v_mul_f64_e32 v[14:15], v[6:7], v[14:15]
	v_add_f64_e32 v[10:11], v[16:17], v[124:125]
	v_add_f64_e32 v[16:17], v[18:19], v[28:29]
	s_delay_alu instid0(VALU_DEP_4) | instskip(NEXT) | instid1(VALU_DEP_4)
	v_fmac_f64_e32 v[24:25], v[6:7], v[12:13]
	v_fma_f64 v[4:5], v[4:5], v[12:13], -v[14:15]
	s_delay_alu instid0(VALU_DEP_4) | instskip(NEXT) | instid1(VALU_DEP_4)
	v_add_f64_e32 v[6:7], v[10:11], v[8:9]
	v_add_f64_e32 v[8:9], v[16:17], v[26:27]
	s_delay_alu instid0(VALU_DEP_2) | instskip(NEXT) | instid1(VALU_DEP_2)
	v_add_f64_e32 v[4:5], v[6:7], v[4:5]
	v_add_f64_e32 v[6:7], v[8:9], v[24:25]
	s_delay_alu instid0(VALU_DEP_2) | instskip(NEXT) | instid1(VALU_DEP_2)
	v_add_f64_e64 v[4:5], v[144:145], -v[4:5]
	v_add_f64_e64 v[6:7], v[146:147], -v[6:7]
	scratch_store_b128 off, v[4:7], off offset:464
	s_wait_xcnt 0x0
	v_cmpx_lt_u32_e32 28, v1
	s_cbranch_execz .LBB108_227
; %bb.226:
	scratch_load_b128 v[6:9], off, s33
	v_dual_mov_b32 v3, v2 :: v_dual_mov_b32 v4, v2
	v_mov_b32_e32 v5, v2
	scratch_store_b128 off, v[2:5], off offset:448
	s_wait_loadcnt 0x0
	ds_store_b128 v122, v[6:9]
.LBB108_227:
	s_wait_xcnt 0x0
	s_or_b32 exec_lo, exec_lo, s2
	s_wait_storecnt_dscnt 0x0
	s_barrier_signal -1
	s_barrier_wait -1
	s_clause 0x9
	scratch_load_b128 v[4:7], off, off offset:464
	scratch_load_b128 v[8:11], off, off offset:480
	;; [unrolled: 1-line block ×10, first 2 shown]
	ds_load_b128 v[136:139], v2 offset:1184
	ds_load_b128 v[144:147], v2 offset:1200
	s_clause 0x2
	scratch_load_b128 v[140:143], off, off offset:624
	scratch_load_b128 v[148:151], off, off offset:448
	;; [unrolled: 1-line block ×3, first 2 shown]
	s_mov_b32 s2, exec_lo
	s_wait_loadcnt_dscnt 0xc01
	v_mul_f64_e32 v[156:157], v[138:139], v[6:7]
	v_mul_f64_e32 v[160:161], v[136:137], v[6:7]
	s_wait_loadcnt_dscnt 0xb00
	v_mul_f64_e32 v[162:163], v[144:145], v[10:11]
	v_mul_f64_e32 v[10:11], v[146:147], v[10:11]
	s_delay_alu instid0(VALU_DEP_4) | instskip(NEXT) | instid1(VALU_DEP_4)
	v_fma_f64 v[164:165], v[136:137], v[4:5], -v[156:157]
	v_fmac_f64_e32 v[160:161], v[138:139], v[4:5]
	ds_load_b128 v[4:7], v2 offset:1216
	ds_load_b128 v[136:139], v2 offset:1232
	scratch_load_b128 v[156:159], off, off offset:656
	v_fmac_f64_e32 v[162:163], v[146:147], v[8:9]
	v_fma_f64 v[144:145], v[144:145], v[8:9], -v[10:11]
	scratch_load_b128 v[8:11], off, off offset:672
	s_wait_loadcnt_dscnt 0xc01
	v_mul_f64_e32 v[166:167], v[4:5], v[14:15]
	v_mul_f64_e32 v[14:15], v[6:7], v[14:15]
	v_add_f64_e32 v[146:147], 0, v[164:165]
	v_add_f64_e32 v[160:161], 0, v[160:161]
	s_wait_loadcnt_dscnt 0xb00
	v_mul_f64_e32 v[164:165], v[136:137], v[18:19]
	v_mul_f64_e32 v[18:19], v[138:139], v[18:19]
	v_fmac_f64_e32 v[166:167], v[6:7], v[12:13]
	v_fma_f64 v[168:169], v[4:5], v[12:13], -v[14:15]
	ds_load_b128 v[4:7], v2 offset:1248
	ds_load_b128 v[12:15], v2 offset:1264
	v_add_f64_e32 v[170:171], v[146:147], v[144:145]
	v_add_f64_e32 v[160:161], v[160:161], v[162:163]
	scratch_load_b128 v[144:147], off, off offset:688
	v_fmac_f64_e32 v[164:165], v[138:139], v[16:17]
	v_fma_f64 v[136:137], v[136:137], v[16:17], -v[18:19]
	scratch_load_b128 v[16:19], off, off offset:704
	s_wait_loadcnt_dscnt 0xc01
	v_mul_f64_e32 v[162:163], v[4:5], v[22:23]
	v_mul_f64_e32 v[22:23], v[6:7], v[22:23]
	v_add_f64_e32 v[138:139], v[170:171], v[168:169]
	v_add_f64_e32 v[160:161], v[160:161], v[166:167]
	s_wait_loadcnt_dscnt 0xb00
	v_mul_f64_e32 v[166:167], v[12:13], v[26:27]
	v_mul_f64_e32 v[26:27], v[14:15], v[26:27]
	v_fmac_f64_e32 v[162:163], v[6:7], v[20:21]
	v_fma_f64 v[168:169], v[4:5], v[20:21], -v[22:23]
	ds_load_b128 v[4:7], v2 offset:1280
	ds_load_b128 v[20:23], v2 offset:1296
	v_add_f64_e32 v[136:137], v[138:139], v[136:137]
	v_add_f64_e32 v[138:139], v[160:161], v[164:165]
	s_wait_loadcnt_dscnt 0xa01
	v_mul_f64_e32 v[160:161], v[4:5], v[30:31]
	v_mul_f64_e32 v[30:31], v[6:7], v[30:31]
	v_fmac_f64_e32 v[166:167], v[14:15], v[24:25]
	v_fma_f64 v[12:13], v[12:13], v[24:25], -v[26:27]
	s_wait_loadcnt_dscnt 0x900
	v_mul_f64_e32 v[26:27], v[20:21], v[126:127]
	v_mul_f64_e32 v[126:127], v[22:23], v[126:127]
	v_add_f64_e32 v[14:15], v[136:137], v[168:169]
	v_add_f64_e32 v[24:25], v[138:139], v[162:163]
	v_fmac_f64_e32 v[160:161], v[6:7], v[28:29]
	v_fma_f64 v[28:29], v[4:5], v[28:29], -v[30:31]
	v_fmac_f64_e32 v[26:27], v[22:23], v[124:125]
	v_fma_f64 v[20:21], v[20:21], v[124:125], -v[126:127]
	v_add_f64_e32 v[30:31], v[14:15], v[12:13]
	v_add_f64_e32 v[24:25], v[24:25], v[166:167]
	ds_load_b128 v[4:7], v2 offset:1312
	ds_load_b128 v[12:15], v2 offset:1328
	s_wait_loadcnt_dscnt 0x801
	v_mul_f64_e32 v[136:137], v[4:5], v[130:131]
	v_mul_f64_e32 v[130:131], v[6:7], v[130:131]
	v_add_f64_e32 v[22:23], v[30:31], v[28:29]
	v_add_f64_e32 v[24:25], v[24:25], v[160:161]
	s_wait_loadcnt_dscnt 0x700
	v_mul_f64_e32 v[28:29], v[12:13], v[134:135]
	v_mul_f64_e32 v[30:31], v[14:15], v[134:135]
	v_fmac_f64_e32 v[136:137], v[6:7], v[128:129]
	v_fma_f64 v[124:125], v[4:5], v[128:129], -v[130:131]
	v_add_f64_e32 v[126:127], v[22:23], v[20:21]
	v_add_f64_e32 v[24:25], v[24:25], v[26:27]
	ds_load_b128 v[4:7], v2 offset:1344
	ds_load_b128 v[20:23], v2 offset:1360
	v_fmac_f64_e32 v[28:29], v[14:15], v[132:133]
	v_fma_f64 v[12:13], v[12:13], v[132:133], -v[30:31]
	s_wait_loadcnt_dscnt 0x601
	v_mul_f64_e32 v[26:27], v[4:5], v[142:143]
	v_mul_f64_e32 v[128:129], v[6:7], v[142:143]
	s_wait_loadcnt_dscnt 0x400
	v_mul_f64_e32 v[30:31], v[20:21], v[154:155]
	v_add_f64_e32 v[14:15], v[126:127], v[124:125]
	v_add_f64_e32 v[24:25], v[24:25], v[136:137]
	v_mul_f64_e32 v[124:125], v[22:23], v[154:155]
	v_fmac_f64_e32 v[26:27], v[6:7], v[140:141]
	v_fma_f64 v[126:127], v[4:5], v[140:141], -v[128:129]
	v_fmac_f64_e32 v[30:31], v[22:23], v[152:153]
	v_add_f64_e32 v[128:129], v[14:15], v[12:13]
	v_add_f64_e32 v[24:25], v[24:25], v[28:29]
	ds_load_b128 v[4:7], v2 offset:1376
	ds_load_b128 v[12:15], v2 offset:1392
	v_fma_f64 v[20:21], v[20:21], v[152:153], -v[124:125]
	s_wait_loadcnt_dscnt 0x301
	v_mul_f64_e32 v[28:29], v[4:5], v[158:159]
	v_mul_f64_e32 v[130:131], v[6:7], v[158:159]
	v_add_f64_e32 v[22:23], v[128:129], v[126:127]
	v_add_f64_e32 v[24:25], v[24:25], v[26:27]
	s_wait_loadcnt_dscnt 0x200
	v_mul_f64_e32 v[26:27], v[12:13], v[10:11]
	v_mul_f64_e32 v[10:11], v[14:15], v[10:11]
	v_fmac_f64_e32 v[28:29], v[6:7], v[156:157]
	v_fma_f64 v[124:125], v[4:5], v[156:157], -v[130:131]
	v_add_f64_e32 v[126:127], v[22:23], v[20:21]
	v_add_f64_e32 v[24:25], v[24:25], v[30:31]
	ds_load_b128 v[4:7], v2 offset:1408
	ds_load_b128 v[20:23], v2 offset:1424
	v_fmac_f64_e32 v[26:27], v[14:15], v[8:9]
	v_fma_f64 v[8:9], v[12:13], v[8:9], -v[10:11]
	s_wait_loadcnt_dscnt 0x101
	v_mul_f64_e32 v[2:3], v[4:5], v[146:147]
	v_mul_f64_e32 v[30:31], v[6:7], v[146:147]
	s_wait_loadcnt_dscnt 0x0
	v_mul_f64_e32 v[14:15], v[20:21], v[18:19]
	v_mul_f64_e32 v[18:19], v[22:23], v[18:19]
	v_add_f64_e32 v[10:11], v[126:127], v[124:125]
	v_add_f64_e32 v[12:13], v[24:25], v[28:29]
	v_fmac_f64_e32 v[2:3], v[6:7], v[144:145]
	v_fma_f64 v[4:5], v[4:5], v[144:145], -v[30:31]
	v_fmac_f64_e32 v[14:15], v[22:23], v[16:17]
	v_add_f64_e32 v[6:7], v[10:11], v[8:9]
	v_add_f64_e32 v[8:9], v[12:13], v[26:27]
	v_fma_f64 v[10:11], v[20:21], v[16:17], -v[18:19]
	s_delay_alu instid0(VALU_DEP_3) | instskip(NEXT) | instid1(VALU_DEP_3)
	v_add_f64_e32 v[4:5], v[6:7], v[4:5]
	v_add_f64_e32 v[2:3], v[8:9], v[2:3]
	s_delay_alu instid0(VALU_DEP_2) | instskip(NEXT) | instid1(VALU_DEP_2)
	v_add_f64_e32 v[4:5], v[4:5], v[10:11]
	v_add_f64_e32 v[6:7], v[2:3], v[14:15]
	s_delay_alu instid0(VALU_DEP_2) | instskip(NEXT) | instid1(VALU_DEP_2)
	v_add_f64_e64 v[2:3], v[148:149], -v[4:5]
	v_add_f64_e64 v[4:5], v[150:151], -v[6:7]
	scratch_store_b128 off, v[2:5], off offset:448
	s_wait_xcnt 0x0
	v_cmpx_lt_u32_e32 27, v1
	s_cbranch_execz .LBB108_229
; %bb.228:
	scratch_load_b128 v[2:5], off, s34
	v_mov_b32_e32 v6, 0
	s_delay_alu instid0(VALU_DEP_1)
	v_dual_mov_b32 v7, v6 :: v_dual_mov_b32 v8, v6
	v_mov_b32_e32 v9, v6
	scratch_store_b128 off, v[6:9], off offset:432
	s_wait_loadcnt 0x0
	ds_store_b128 v122, v[2:5]
.LBB108_229:
	s_wait_xcnt 0x0
	s_or_b32 exec_lo, exec_lo, s2
	s_wait_storecnt_dscnt 0x0
	s_barrier_signal -1
	s_barrier_wait -1
	s_clause 0x9
	scratch_load_b128 v[4:7], off, off offset:448
	scratch_load_b128 v[8:11], off, off offset:464
	;; [unrolled: 1-line block ×10, first 2 shown]
	v_mov_b32_e32 v2, 0
	s_mov_b32 s2, exec_lo
	ds_load_b128 v[136:139], v2 offset:1168
	s_clause 0x2
	scratch_load_b128 v[140:143], off, off offset:608
	scratch_load_b128 v[144:147], off, off offset:432
	;; [unrolled: 1-line block ×3, first 2 shown]
	s_wait_loadcnt_dscnt 0xc00
	v_mul_f64_e32 v[156:157], v[138:139], v[6:7]
	v_mul_f64_e32 v[160:161], v[136:137], v[6:7]
	ds_load_b128 v[148:151], v2 offset:1184
	v_fma_f64 v[164:165], v[136:137], v[4:5], -v[156:157]
	v_fmac_f64_e32 v[160:161], v[138:139], v[4:5]
	ds_load_b128 v[4:7], v2 offset:1200
	s_wait_loadcnt_dscnt 0xb01
	v_mul_f64_e32 v[162:163], v[148:149], v[10:11]
	v_mul_f64_e32 v[10:11], v[150:151], v[10:11]
	scratch_load_b128 v[136:139], off, off offset:640
	ds_load_b128 v[156:159], v2 offset:1216
	s_wait_loadcnt_dscnt 0xb01
	v_mul_f64_e32 v[166:167], v[4:5], v[14:15]
	v_mul_f64_e32 v[14:15], v[6:7], v[14:15]
	v_add_f64_e32 v[160:161], 0, v[160:161]
	v_fmac_f64_e32 v[162:163], v[150:151], v[8:9]
	v_fma_f64 v[148:149], v[148:149], v[8:9], -v[10:11]
	v_add_f64_e32 v[150:151], 0, v[164:165]
	scratch_load_b128 v[8:11], off, off offset:656
	v_fmac_f64_e32 v[166:167], v[6:7], v[12:13]
	v_fma_f64 v[168:169], v[4:5], v[12:13], -v[14:15]
	ds_load_b128 v[4:7], v2 offset:1232
	s_wait_loadcnt_dscnt 0xb01
	v_mul_f64_e32 v[164:165], v[156:157], v[18:19]
	v_mul_f64_e32 v[18:19], v[158:159], v[18:19]
	scratch_load_b128 v[12:15], off, off offset:672
	v_add_f64_e32 v[160:161], v[160:161], v[162:163]
	v_add_f64_e32 v[170:171], v[150:151], v[148:149]
	ds_load_b128 v[148:151], v2 offset:1248
	s_wait_loadcnt_dscnt 0xb01
	v_mul_f64_e32 v[162:163], v[4:5], v[22:23]
	v_mul_f64_e32 v[22:23], v[6:7], v[22:23]
	v_fmac_f64_e32 v[164:165], v[158:159], v[16:17]
	v_fma_f64 v[156:157], v[156:157], v[16:17], -v[18:19]
	scratch_load_b128 v[16:19], off, off offset:688
	v_add_f64_e32 v[160:161], v[160:161], v[166:167]
	v_add_f64_e32 v[158:159], v[170:171], v[168:169]
	v_fmac_f64_e32 v[162:163], v[6:7], v[20:21]
	v_fma_f64 v[168:169], v[4:5], v[20:21], -v[22:23]
	ds_load_b128 v[4:7], v2 offset:1264
	s_wait_loadcnt_dscnt 0xb01
	v_mul_f64_e32 v[166:167], v[148:149], v[26:27]
	v_mul_f64_e32 v[26:27], v[150:151], v[26:27]
	scratch_load_b128 v[20:23], off, off offset:704
	v_add_f64_e32 v[160:161], v[160:161], v[164:165]
	s_wait_loadcnt_dscnt 0xb00
	v_mul_f64_e32 v[164:165], v[4:5], v[30:31]
	v_add_f64_e32 v[170:171], v[158:159], v[156:157]
	v_mul_f64_e32 v[30:31], v[6:7], v[30:31]
	ds_load_b128 v[156:159], v2 offset:1280
	v_fmac_f64_e32 v[166:167], v[150:151], v[24:25]
	v_fma_f64 v[24:25], v[148:149], v[24:25], -v[26:27]
	s_wait_loadcnt_dscnt 0xa00
	v_mul_f64_e32 v[150:151], v[156:157], v[126:127]
	v_mul_f64_e32 v[126:127], v[158:159], v[126:127]
	v_add_f64_e32 v[148:149], v[160:161], v[162:163]
	v_fmac_f64_e32 v[164:165], v[6:7], v[28:29]
	v_add_f64_e32 v[26:27], v[170:171], v[168:169]
	v_fma_f64 v[28:29], v[4:5], v[28:29], -v[30:31]
	v_fmac_f64_e32 v[150:151], v[158:159], v[124:125]
	v_fma_f64 v[124:125], v[156:157], v[124:125], -v[126:127]
	v_add_f64_e32 v[148:149], v[148:149], v[166:167]
	v_add_f64_e32 v[30:31], v[26:27], v[24:25]
	ds_load_b128 v[4:7], v2 offset:1296
	ds_load_b128 v[24:27], v2 offset:1312
	s_wait_loadcnt_dscnt 0x901
	v_mul_f64_e32 v[160:161], v[4:5], v[130:131]
	v_mul_f64_e32 v[130:131], v[6:7], v[130:131]
	s_wait_loadcnt_dscnt 0x800
	v_mul_f64_e32 v[126:127], v[24:25], v[134:135]
	v_mul_f64_e32 v[134:135], v[26:27], v[134:135]
	v_add_f64_e32 v[28:29], v[30:31], v[28:29]
	v_add_f64_e32 v[30:31], v[148:149], v[164:165]
	v_fmac_f64_e32 v[160:161], v[6:7], v[128:129]
	v_fma_f64 v[128:129], v[4:5], v[128:129], -v[130:131]
	v_fmac_f64_e32 v[126:127], v[26:27], v[132:133]
	v_fma_f64 v[24:25], v[24:25], v[132:133], -v[134:135]
	v_add_f64_e32 v[124:125], v[28:29], v[124:125]
	v_add_f64_e32 v[130:131], v[30:31], v[150:151]
	ds_load_b128 v[4:7], v2 offset:1328
	ds_load_b128 v[28:31], v2 offset:1344
	s_wait_loadcnt_dscnt 0x701
	v_mul_f64_e32 v[148:149], v[4:5], v[142:143]
	v_mul_f64_e32 v[142:143], v[6:7], v[142:143]
	v_add_f64_e32 v[26:27], v[124:125], v[128:129]
	v_add_f64_e32 v[124:125], v[130:131], v[160:161]
	s_wait_loadcnt_dscnt 0x500
	v_mul_f64_e32 v[128:129], v[28:29], v[154:155]
	v_mul_f64_e32 v[130:131], v[30:31], v[154:155]
	v_fmac_f64_e32 v[148:149], v[6:7], v[140:141]
	v_fma_f64 v[132:133], v[4:5], v[140:141], -v[142:143]
	v_add_f64_e32 v[134:135], v[26:27], v[24:25]
	v_add_f64_e32 v[124:125], v[124:125], v[126:127]
	ds_load_b128 v[4:7], v2 offset:1360
	ds_load_b128 v[24:27], v2 offset:1376
	v_fmac_f64_e32 v[128:129], v[30:31], v[152:153]
	v_fma_f64 v[28:29], v[28:29], v[152:153], -v[130:131]
	s_wait_loadcnt_dscnt 0x401
	v_mul_f64_e32 v[126:127], v[4:5], v[138:139]
	v_mul_f64_e32 v[138:139], v[6:7], v[138:139]
	v_add_f64_e32 v[30:31], v[134:135], v[132:133]
	v_add_f64_e32 v[124:125], v[124:125], v[148:149]
	s_wait_loadcnt_dscnt 0x300
	v_mul_f64_e32 v[130:131], v[24:25], v[10:11]
	v_mul_f64_e32 v[10:11], v[26:27], v[10:11]
	v_fmac_f64_e32 v[126:127], v[6:7], v[136:137]
	v_fma_f64 v[132:133], v[4:5], v[136:137], -v[138:139]
	v_add_f64_e32 v[134:135], v[30:31], v[28:29]
	v_add_f64_e32 v[124:125], v[124:125], v[128:129]
	ds_load_b128 v[4:7], v2 offset:1392
	ds_load_b128 v[28:31], v2 offset:1408
	v_fmac_f64_e32 v[130:131], v[26:27], v[8:9]
	v_fma_f64 v[8:9], v[24:25], v[8:9], -v[10:11]
	s_wait_loadcnt_dscnt 0x201
	v_mul_f64_e32 v[128:129], v[4:5], v[14:15]
	v_mul_f64_e32 v[14:15], v[6:7], v[14:15]
	s_wait_loadcnt_dscnt 0x100
	v_mul_f64_e32 v[26:27], v[28:29], v[18:19]
	v_mul_f64_e32 v[18:19], v[30:31], v[18:19]
	v_add_f64_e32 v[10:11], v[134:135], v[132:133]
	v_add_f64_e32 v[24:25], v[124:125], v[126:127]
	v_fmac_f64_e32 v[128:129], v[6:7], v[12:13]
	v_fma_f64 v[12:13], v[4:5], v[12:13], -v[14:15]
	ds_load_b128 v[4:7], v2 offset:1424
	v_fmac_f64_e32 v[26:27], v[30:31], v[16:17]
	v_fma_f64 v[16:17], v[28:29], v[16:17], -v[18:19]
	v_add_f64_e32 v[8:9], v[10:11], v[8:9]
	v_add_f64_e32 v[10:11], v[24:25], v[130:131]
	s_wait_loadcnt_dscnt 0x0
	v_mul_f64_e32 v[14:15], v[4:5], v[22:23]
	v_mul_f64_e32 v[22:23], v[6:7], v[22:23]
	s_delay_alu instid0(VALU_DEP_4) | instskip(NEXT) | instid1(VALU_DEP_4)
	v_add_f64_e32 v[8:9], v[8:9], v[12:13]
	v_add_f64_e32 v[10:11], v[10:11], v[128:129]
	s_delay_alu instid0(VALU_DEP_4) | instskip(NEXT) | instid1(VALU_DEP_4)
	v_fmac_f64_e32 v[14:15], v[6:7], v[20:21]
	v_fma_f64 v[4:5], v[4:5], v[20:21], -v[22:23]
	s_delay_alu instid0(VALU_DEP_4) | instskip(NEXT) | instid1(VALU_DEP_4)
	v_add_f64_e32 v[6:7], v[8:9], v[16:17]
	v_add_f64_e32 v[8:9], v[10:11], v[26:27]
	s_delay_alu instid0(VALU_DEP_2) | instskip(NEXT) | instid1(VALU_DEP_2)
	v_add_f64_e32 v[4:5], v[6:7], v[4:5]
	v_add_f64_e32 v[6:7], v[8:9], v[14:15]
	s_delay_alu instid0(VALU_DEP_2) | instskip(NEXT) | instid1(VALU_DEP_2)
	v_add_f64_e64 v[4:5], v[144:145], -v[4:5]
	v_add_f64_e64 v[6:7], v[146:147], -v[6:7]
	scratch_store_b128 off, v[4:7], off offset:432
	s_wait_xcnt 0x0
	v_cmpx_lt_u32_e32 26, v1
	s_cbranch_execz .LBB108_231
; %bb.230:
	scratch_load_b128 v[6:9], off, s35
	v_dual_mov_b32 v3, v2 :: v_dual_mov_b32 v4, v2
	v_mov_b32_e32 v5, v2
	scratch_store_b128 off, v[2:5], off offset:416
	s_wait_loadcnt 0x0
	ds_store_b128 v122, v[6:9]
.LBB108_231:
	s_wait_xcnt 0x0
	s_or_b32 exec_lo, exec_lo, s2
	s_wait_storecnt_dscnt 0x0
	s_barrier_signal -1
	s_barrier_wait -1
	s_clause 0x9
	scratch_load_b128 v[4:7], off, off offset:432
	scratch_load_b128 v[8:11], off, off offset:448
	scratch_load_b128 v[12:15], off, off offset:464
	scratch_load_b128 v[16:19], off, off offset:480
	scratch_load_b128 v[20:23], off, off offset:496
	scratch_load_b128 v[24:27], off, off offset:512
	scratch_load_b128 v[28:31], off, off offset:528
	scratch_load_b128 v[124:127], off, off offset:544
	scratch_load_b128 v[128:131], off, off offset:560
	scratch_load_b128 v[132:135], off, off offset:576
	ds_load_b128 v[136:139], v2 offset:1152
	ds_load_b128 v[144:147], v2 offset:1168
	s_clause 0x2
	scratch_load_b128 v[140:143], off, off offset:592
	scratch_load_b128 v[148:151], off, off offset:416
	;; [unrolled: 1-line block ×3, first 2 shown]
	s_mov_b32 s2, exec_lo
	s_wait_loadcnt_dscnt 0xc01
	v_mul_f64_e32 v[156:157], v[138:139], v[6:7]
	v_mul_f64_e32 v[160:161], v[136:137], v[6:7]
	s_wait_loadcnt_dscnt 0xb00
	v_mul_f64_e32 v[162:163], v[144:145], v[10:11]
	v_mul_f64_e32 v[10:11], v[146:147], v[10:11]
	s_delay_alu instid0(VALU_DEP_4) | instskip(NEXT) | instid1(VALU_DEP_4)
	v_fma_f64 v[164:165], v[136:137], v[4:5], -v[156:157]
	v_fmac_f64_e32 v[160:161], v[138:139], v[4:5]
	ds_load_b128 v[4:7], v2 offset:1184
	ds_load_b128 v[136:139], v2 offset:1200
	scratch_load_b128 v[156:159], off, off offset:624
	v_fmac_f64_e32 v[162:163], v[146:147], v[8:9]
	v_fma_f64 v[144:145], v[144:145], v[8:9], -v[10:11]
	scratch_load_b128 v[8:11], off, off offset:640
	s_wait_loadcnt_dscnt 0xc01
	v_mul_f64_e32 v[166:167], v[4:5], v[14:15]
	v_mul_f64_e32 v[14:15], v[6:7], v[14:15]
	v_add_f64_e32 v[146:147], 0, v[164:165]
	v_add_f64_e32 v[160:161], 0, v[160:161]
	s_wait_loadcnt_dscnt 0xb00
	v_mul_f64_e32 v[164:165], v[136:137], v[18:19]
	v_mul_f64_e32 v[18:19], v[138:139], v[18:19]
	v_fmac_f64_e32 v[166:167], v[6:7], v[12:13]
	v_fma_f64 v[168:169], v[4:5], v[12:13], -v[14:15]
	ds_load_b128 v[4:7], v2 offset:1216
	ds_load_b128 v[12:15], v2 offset:1232
	v_add_f64_e32 v[170:171], v[146:147], v[144:145]
	v_add_f64_e32 v[160:161], v[160:161], v[162:163]
	scratch_load_b128 v[144:147], off, off offset:656
	v_fmac_f64_e32 v[164:165], v[138:139], v[16:17]
	v_fma_f64 v[136:137], v[136:137], v[16:17], -v[18:19]
	scratch_load_b128 v[16:19], off, off offset:672
	s_wait_loadcnt_dscnt 0xc01
	v_mul_f64_e32 v[162:163], v[4:5], v[22:23]
	v_mul_f64_e32 v[22:23], v[6:7], v[22:23]
	v_add_f64_e32 v[138:139], v[170:171], v[168:169]
	v_add_f64_e32 v[160:161], v[160:161], v[166:167]
	s_wait_loadcnt_dscnt 0xb00
	v_mul_f64_e32 v[166:167], v[12:13], v[26:27]
	v_mul_f64_e32 v[26:27], v[14:15], v[26:27]
	v_fmac_f64_e32 v[162:163], v[6:7], v[20:21]
	v_fma_f64 v[168:169], v[4:5], v[20:21], -v[22:23]
	ds_load_b128 v[4:7], v2 offset:1248
	ds_load_b128 v[20:23], v2 offset:1264
	v_add_f64_e32 v[170:171], v[138:139], v[136:137]
	v_add_f64_e32 v[160:161], v[160:161], v[164:165]
	scratch_load_b128 v[136:139], off, off offset:688
	s_wait_loadcnt_dscnt 0xb01
	v_mul_f64_e32 v[164:165], v[4:5], v[30:31]
	v_mul_f64_e32 v[30:31], v[6:7], v[30:31]
	v_fmac_f64_e32 v[166:167], v[14:15], v[24:25]
	v_fma_f64 v[24:25], v[12:13], v[24:25], -v[26:27]
	scratch_load_b128 v[12:15], off, off offset:704
	v_add_f64_e32 v[26:27], v[170:171], v[168:169]
	v_add_f64_e32 v[160:161], v[160:161], v[162:163]
	s_wait_loadcnt_dscnt 0xb00
	v_mul_f64_e32 v[162:163], v[20:21], v[126:127]
	v_mul_f64_e32 v[126:127], v[22:23], v[126:127]
	v_fmac_f64_e32 v[164:165], v[6:7], v[28:29]
	v_fma_f64 v[28:29], v[4:5], v[28:29], -v[30:31]
	v_add_f64_e32 v[30:31], v[26:27], v[24:25]
	v_add_f64_e32 v[160:161], v[160:161], v[166:167]
	ds_load_b128 v[4:7], v2 offset:1280
	ds_load_b128 v[24:27], v2 offset:1296
	v_fmac_f64_e32 v[162:163], v[22:23], v[124:125]
	v_fma_f64 v[20:21], v[20:21], v[124:125], -v[126:127]
	s_wait_loadcnt_dscnt 0xa01
	v_mul_f64_e32 v[166:167], v[4:5], v[130:131]
	v_mul_f64_e32 v[130:131], v[6:7], v[130:131]
	s_wait_loadcnt_dscnt 0x900
	v_mul_f64_e32 v[124:125], v[26:27], v[134:135]
	v_add_f64_e32 v[22:23], v[30:31], v[28:29]
	v_add_f64_e32 v[28:29], v[160:161], v[164:165]
	v_mul_f64_e32 v[30:31], v[24:25], v[134:135]
	v_fmac_f64_e32 v[166:167], v[6:7], v[128:129]
	v_fma_f64 v[126:127], v[4:5], v[128:129], -v[130:131]
	v_fma_f64 v[24:25], v[24:25], v[132:133], -v[124:125]
	v_add_f64_e32 v[128:129], v[22:23], v[20:21]
	v_add_f64_e32 v[28:29], v[28:29], v[162:163]
	ds_load_b128 v[4:7], v2 offset:1312
	ds_load_b128 v[20:23], v2 offset:1328
	v_fmac_f64_e32 v[30:31], v[26:27], v[132:133]
	s_wait_loadcnt_dscnt 0x801
	v_mul_f64_e32 v[130:131], v[4:5], v[142:143]
	v_mul_f64_e32 v[134:135], v[6:7], v[142:143]
	s_wait_loadcnt_dscnt 0x600
	v_mul_f64_e32 v[124:125], v[20:21], v[154:155]
	v_add_f64_e32 v[26:27], v[128:129], v[126:127]
	v_add_f64_e32 v[28:29], v[28:29], v[166:167]
	v_mul_f64_e32 v[126:127], v[22:23], v[154:155]
	v_fmac_f64_e32 v[130:131], v[6:7], v[140:141]
	v_fma_f64 v[128:129], v[4:5], v[140:141], -v[134:135]
	v_fmac_f64_e32 v[124:125], v[22:23], v[152:153]
	v_add_f64_e32 v[132:133], v[26:27], v[24:25]
	v_add_f64_e32 v[28:29], v[28:29], v[30:31]
	ds_load_b128 v[4:7], v2 offset:1344
	ds_load_b128 v[24:27], v2 offset:1360
	v_fma_f64 v[20:21], v[20:21], v[152:153], -v[126:127]
	s_wait_loadcnt_dscnt 0x501
	v_mul_f64_e32 v[30:31], v[4:5], v[158:159]
	v_mul_f64_e32 v[134:135], v[6:7], v[158:159]
	s_wait_loadcnt_dscnt 0x400
	v_mul_f64_e32 v[126:127], v[24:25], v[10:11]
	v_mul_f64_e32 v[10:11], v[26:27], v[10:11]
	v_add_f64_e32 v[22:23], v[132:133], v[128:129]
	v_add_f64_e32 v[28:29], v[28:29], v[130:131]
	v_fmac_f64_e32 v[30:31], v[6:7], v[156:157]
	v_fma_f64 v[128:129], v[4:5], v[156:157], -v[134:135]
	v_fmac_f64_e32 v[126:127], v[26:27], v[8:9]
	v_fma_f64 v[8:9], v[24:25], v[8:9], -v[10:11]
	v_add_f64_e32 v[130:131], v[22:23], v[20:21]
	v_add_f64_e32 v[28:29], v[28:29], v[124:125]
	ds_load_b128 v[4:7], v2 offset:1376
	ds_load_b128 v[20:23], v2 offset:1392
	s_wait_loadcnt_dscnt 0x301
	v_mul_f64_e32 v[124:125], v[4:5], v[146:147]
	v_mul_f64_e32 v[132:133], v[6:7], v[146:147]
	s_wait_loadcnt_dscnt 0x200
	v_mul_f64_e32 v[26:27], v[20:21], v[18:19]
	v_mul_f64_e32 v[18:19], v[22:23], v[18:19]
	v_add_f64_e32 v[10:11], v[130:131], v[128:129]
	v_add_f64_e32 v[24:25], v[28:29], v[30:31]
	v_fmac_f64_e32 v[124:125], v[6:7], v[144:145]
	v_fma_f64 v[28:29], v[4:5], v[144:145], -v[132:133]
	v_fmac_f64_e32 v[26:27], v[22:23], v[16:17]
	v_fma_f64 v[16:17], v[20:21], v[16:17], -v[18:19]
	v_add_f64_e32 v[30:31], v[10:11], v[8:9]
	v_add_f64_e32 v[24:25], v[24:25], v[126:127]
	ds_load_b128 v[4:7], v2 offset:1408
	ds_load_b128 v[8:11], v2 offset:1424
	s_wait_loadcnt_dscnt 0x101
	v_mul_f64_e32 v[2:3], v[4:5], v[138:139]
	v_mul_f64_e32 v[126:127], v[6:7], v[138:139]
	s_wait_loadcnt_dscnt 0x0
	v_mul_f64_e32 v[22:23], v[8:9], v[14:15]
	v_mul_f64_e32 v[14:15], v[10:11], v[14:15]
	v_add_f64_e32 v[18:19], v[30:31], v[28:29]
	v_add_f64_e32 v[20:21], v[24:25], v[124:125]
	v_fmac_f64_e32 v[2:3], v[6:7], v[136:137]
	v_fma_f64 v[4:5], v[4:5], v[136:137], -v[126:127]
	v_fmac_f64_e32 v[22:23], v[10:11], v[12:13]
	v_fma_f64 v[8:9], v[8:9], v[12:13], -v[14:15]
	v_add_f64_e32 v[6:7], v[18:19], v[16:17]
	v_add_f64_e32 v[16:17], v[20:21], v[26:27]
	s_delay_alu instid0(VALU_DEP_2) | instskip(NEXT) | instid1(VALU_DEP_2)
	v_add_f64_e32 v[4:5], v[6:7], v[4:5]
	v_add_f64_e32 v[2:3], v[16:17], v[2:3]
	s_delay_alu instid0(VALU_DEP_2) | instskip(NEXT) | instid1(VALU_DEP_2)
	;; [unrolled: 3-line block ×3, first 2 shown]
	v_add_f64_e64 v[2:3], v[148:149], -v[4:5]
	v_add_f64_e64 v[4:5], v[150:151], -v[6:7]
	scratch_store_b128 off, v[2:5], off offset:416
	s_wait_xcnt 0x0
	v_cmpx_lt_u32_e32 25, v1
	s_cbranch_execz .LBB108_233
; %bb.232:
	scratch_load_b128 v[2:5], off, s36
	v_mov_b32_e32 v6, 0
	s_delay_alu instid0(VALU_DEP_1)
	v_dual_mov_b32 v7, v6 :: v_dual_mov_b32 v8, v6
	v_mov_b32_e32 v9, v6
	scratch_store_b128 off, v[6:9], off offset:400
	s_wait_loadcnt 0x0
	ds_store_b128 v122, v[2:5]
.LBB108_233:
	s_wait_xcnt 0x0
	s_or_b32 exec_lo, exec_lo, s2
	s_wait_storecnt_dscnt 0x0
	s_barrier_signal -1
	s_barrier_wait -1
	s_clause 0x9
	scratch_load_b128 v[4:7], off, off offset:416
	scratch_load_b128 v[8:11], off, off offset:432
	scratch_load_b128 v[12:15], off, off offset:448
	scratch_load_b128 v[16:19], off, off offset:464
	scratch_load_b128 v[20:23], off, off offset:480
	scratch_load_b128 v[24:27], off, off offset:496
	scratch_load_b128 v[28:31], off, off offset:512
	scratch_load_b128 v[124:127], off, off offset:528
	scratch_load_b128 v[128:131], off, off offset:544
	scratch_load_b128 v[132:135], off, off offset:560
	v_mov_b32_e32 v2, 0
	s_mov_b32 s2, exec_lo
	ds_load_b128 v[136:139], v2 offset:1136
	s_clause 0x2
	scratch_load_b128 v[140:143], off, off offset:576
	scratch_load_b128 v[144:147], off, off offset:400
	;; [unrolled: 1-line block ×3, first 2 shown]
	s_wait_loadcnt_dscnt 0xc00
	v_mul_f64_e32 v[156:157], v[138:139], v[6:7]
	v_mul_f64_e32 v[160:161], v[136:137], v[6:7]
	ds_load_b128 v[148:151], v2 offset:1152
	v_fma_f64 v[164:165], v[136:137], v[4:5], -v[156:157]
	v_fmac_f64_e32 v[160:161], v[138:139], v[4:5]
	ds_load_b128 v[4:7], v2 offset:1168
	s_wait_loadcnt_dscnt 0xb01
	v_mul_f64_e32 v[162:163], v[148:149], v[10:11]
	v_mul_f64_e32 v[10:11], v[150:151], v[10:11]
	scratch_load_b128 v[136:139], off, off offset:608
	ds_load_b128 v[156:159], v2 offset:1184
	s_wait_loadcnt_dscnt 0xb01
	v_mul_f64_e32 v[166:167], v[4:5], v[14:15]
	v_mul_f64_e32 v[14:15], v[6:7], v[14:15]
	v_add_f64_e32 v[160:161], 0, v[160:161]
	v_fmac_f64_e32 v[162:163], v[150:151], v[8:9]
	v_fma_f64 v[148:149], v[148:149], v[8:9], -v[10:11]
	v_add_f64_e32 v[150:151], 0, v[164:165]
	scratch_load_b128 v[8:11], off, off offset:624
	v_fmac_f64_e32 v[166:167], v[6:7], v[12:13]
	v_fma_f64 v[168:169], v[4:5], v[12:13], -v[14:15]
	ds_load_b128 v[4:7], v2 offset:1200
	s_wait_loadcnt_dscnt 0xb01
	v_mul_f64_e32 v[164:165], v[156:157], v[18:19]
	v_mul_f64_e32 v[18:19], v[158:159], v[18:19]
	scratch_load_b128 v[12:15], off, off offset:640
	v_add_f64_e32 v[160:161], v[160:161], v[162:163]
	v_add_f64_e32 v[170:171], v[150:151], v[148:149]
	ds_load_b128 v[148:151], v2 offset:1216
	s_wait_loadcnt_dscnt 0xb01
	v_mul_f64_e32 v[162:163], v[4:5], v[22:23]
	v_mul_f64_e32 v[22:23], v[6:7], v[22:23]
	v_fmac_f64_e32 v[164:165], v[158:159], v[16:17]
	v_fma_f64 v[156:157], v[156:157], v[16:17], -v[18:19]
	scratch_load_b128 v[16:19], off, off offset:656
	v_add_f64_e32 v[160:161], v[160:161], v[166:167]
	v_add_f64_e32 v[158:159], v[170:171], v[168:169]
	v_fmac_f64_e32 v[162:163], v[6:7], v[20:21]
	v_fma_f64 v[168:169], v[4:5], v[20:21], -v[22:23]
	ds_load_b128 v[4:7], v2 offset:1232
	s_wait_loadcnt_dscnt 0xb01
	v_mul_f64_e32 v[166:167], v[148:149], v[26:27]
	v_mul_f64_e32 v[26:27], v[150:151], v[26:27]
	scratch_load_b128 v[20:23], off, off offset:672
	v_add_f64_e32 v[160:161], v[160:161], v[164:165]
	s_wait_loadcnt_dscnt 0xb00
	v_mul_f64_e32 v[164:165], v[4:5], v[30:31]
	v_add_f64_e32 v[170:171], v[158:159], v[156:157]
	v_mul_f64_e32 v[30:31], v[6:7], v[30:31]
	ds_load_b128 v[156:159], v2 offset:1248
	v_fmac_f64_e32 v[166:167], v[150:151], v[24:25]
	v_fma_f64 v[148:149], v[148:149], v[24:25], -v[26:27]
	scratch_load_b128 v[24:27], off, off offset:688
	v_add_f64_e32 v[160:161], v[160:161], v[162:163]
	v_fmac_f64_e32 v[164:165], v[6:7], v[28:29]
	v_add_f64_e32 v[150:151], v[170:171], v[168:169]
	v_fma_f64 v[168:169], v[4:5], v[28:29], -v[30:31]
	ds_load_b128 v[4:7], v2 offset:1264
	s_wait_loadcnt_dscnt 0xb01
	v_mul_f64_e32 v[162:163], v[156:157], v[126:127]
	v_mul_f64_e32 v[126:127], v[158:159], v[126:127]
	scratch_load_b128 v[28:31], off, off offset:704
	v_add_f64_e32 v[160:161], v[160:161], v[166:167]
	s_wait_loadcnt_dscnt 0xb00
	v_mul_f64_e32 v[166:167], v[4:5], v[130:131]
	v_add_f64_e32 v[170:171], v[150:151], v[148:149]
	v_mul_f64_e32 v[130:131], v[6:7], v[130:131]
	ds_load_b128 v[148:151], v2 offset:1280
	v_fmac_f64_e32 v[162:163], v[158:159], v[124:125]
	v_fma_f64 v[124:125], v[156:157], v[124:125], -v[126:127]
	s_wait_loadcnt_dscnt 0xa00
	v_mul_f64_e32 v[158:159], v[148:149], v[134:135]
	v_mul_f64_e32 v[134:135], v[150:151], v[134:135]
	v_add_f64_e32 v[156:157], v[160:161], v[164:165]
	v_fmac_f64_e32 v[166:167], v[6:7], v[128:129]
	v_add_f64_e32 v[126:127], v[170:171], v[168:169]
	v_fma_f64 v[128:129], v[4:5], v[128:129], -v[130:131]
	v_fmac_f64_e32 v[158:159], v[150:151], v[132:133]
	v_fma_f64 v[132:133], v[148:149], v[132:133], -v[134:135]
	v_add_f64_e32 v[156:157], v[156:157], v[162:163]
	v_add_f64_e32 v[130:131], v[126:127], v[124:125]
	ds_load_b128 v[4:7], v2 offset:1296
	ds_load_b128 v[124:127], v2 offset:1312
	s_wait_loadcnt_dscnt 0x901
	v_mul_f64_e32 v[160:161], v[4:5], v[142:143]
	v_mul_f64_e32 v[142:143], v[6:7], v[142:143]
	s_wait_loadcnt_dscnt 0x700
	v_mul_f64_e32 v[134:135], v[124:125], v[154:155]
	v_mul_f64_e32 v[148:149], v[126:127], v[154:155]
	v_add_f64_e32 v[128:129], v[130:131], v[128:129]
	v_add_f64_e32 v[130:131], v[156:157], v[166:167]
	v_fmac_f64_e32 v[160:161], v[6:7], v[140:141]
	v_fma_f64 v[140:141], v[4:5], v[140:141], -v[142:143]
	v_fmac_f64_e32 v[134:135], v[126:127], v[152:153]
	v_fma_f64 v[124:125], v[124:125], v[152:153], -v[148:149]
	v_add_f64_e32 v[132:133], v[128:129], v[132:133]
	v_add_f64_e32 v[142:143], v[130:131], v[158:159]
	ds_load_b128 v[4:7], v2 offset:1328
	ds_load_b128 v[128:131], v2 offset:1344
	s_wait_loadcnt_dscnt 0x601
	v_mul_f64_e32 v[150:151], v[4:5], v[138:139]
	v_mul_f64_e32 v[138:139], v[6:7], v[138:139]
	v_add_f64_e32 v[126:127], v[132:133], v[140:141]
	v_add_f64_e32 v[132:133], v[142:143], v[160:161]
	s_wait_loadcnt_dscnt 0x500
	v_mul_f64_e32 v[140:141], v[128:129], v[10:11]
	v_mul_f64_e32 v[10:11], v[130:131], v[10:11]
	v_fmac_f64_e32 v[150:151], v[6:7], v[136:137]
	v_fma_f64 v[136:137], v[4:5], v[136:137], -v[138:139]
	v_add_f64_e32 v[138:139], v[126:127], v[124:125]
	v_add_f64_e32 v[132:133], v[132:133], v[134:135]
	ds_load_b128 v[4:7], v2 offset:1360
	ds_load_b128 v[124:127], v2 offset:1376
	v_fmac_f64_e32 v[140:141], v[130:131], v[8:9]
	v_fma_f64 v[8:9], v[128:129], v[8:9], -v[10:11]
	s_wait_loadcnt_dscnt 0x401
	v_mul_f64_e32 v[134:135], v[4:5], v[14:15]
	v_mul_f64_e32 v[14:15], v[6:7], v[14:15]
	s_wait_loadcnt_dscnt 0x300
	v_mul_f64_e32 v[130:131], v[124:125], v[18:19]
	v_mul_f64_e32 v[18:19], v[126:127], v[18:19]
	v_add_f64_e32 v[10:11], v[138:139], v[136:137]
	v_add_f64_e32 v[128:129], v[132:133], v[150:151]
	v_fmac_f64_e32 v[134:135], v[6:7], v[12:13]
	v_fma_f64 v[12:13], v[4:5], v[12:13], -v[14:15]
	v_fmac_f64_e32 v[130:131], v[126:127], v[16:17]
	v_fma_f64 v[16:17], v[124:125], v[16:17], -v[18:19]
	v_add_f64_e32 v[14:15], v[10:11], v[8:9]
	v_add_f64_e32 v[128:129], v[128:129], v[140:141]
	ds_load_b128 v[4:7], v2 offset:1392
	ds_load_b128 v[8:11], v2 offset:1408
	s_wait_loadcnt_dscnt 0x201
	v_mul_f64_e32 v[132:133], v[4:5], v[22:23]
	v_mul_f64_e32 v[22:23], v[6:7], v[22:23]
	s_wait_loadcnt_dscnt 0x100
	v_mul_f64_e32 v[18:19], v[8:9], v[26:27]
	v_mul_f64_e32 v[26:27], v[10:11], v[26:27]
	v_add_f64_e32 v[12:13], v[14:15], v[12:13]
	v_add_f64_e32 v[14:15], v[128:129], v[134:135]
	v_fmac_f64_e32 v[132:133], v[6:7], v[20:21]
	v_fma_f64 v[20:21], v[4:5], v[20:21], -v[22:23]
	ds_load_b128 v[4:7], v2 offset:1424
	v_fmac_f64_e32 v[18:19], v[10:11], v[24:25]
	v_fma_f64 v[8:9], v[8:9], v[24:25], -v[26:27]
	v_add_f64_e32 v[12:13], v[12:13], v[16:17]
	v_add_f64_e32 v[14:15], v[14:15], v[130:131]
	s_wait_loadcnt_dscnt 0x0
	v_mul_f64_e32 v[16:17], v[4:5], v[30:31]
	v_mul_f64_e32 v[22:23], v[6:7], v[30:31]
	s_delay_alu instid0(VALU_DEP_4) | instskip(NEXT) | instid1(VALU_DEP_4)
	v_add_f64_e32 v[10:11], v[12:13], v[20:21]
	v_add_f64_e32 v[12:13], v[14:15], v[132:133]
	s_delay_alu instid0(VALU_DEP_4) | instskip(NEXT) | instid1(VALU_DEP_4)
	v_fmac_f64_e32 v[16:17], v[6:7], v[28:29]
	v_fma_f64 v[4:5], v[4:5], v[28:29], -v[22:23]
	s_delay_alu instid0(VALU_DEP_4) | instskip(NEXT) | instid1(VALU_DEP_4)
	v_add_f64_e32 v[6:7], v[10:11], v[8:9]
	v_add_f64_e32 v[8:9], v[12:13], v[18:19]
	s_delay_alu instid0(VALU_DEP_2) | instskip(NEXT) | instid1(VALU_DEP_2)
	v_add_f64_e32 v[4:5], v[6:7], v[4:5]
	v_add_f64_e32 v[6:7], v[8:9], v[16:17]
	s_delay_alu instid0(VALU_DEP_2) | instskip(NEXT) | instid1(VALU_DEP_2)
	v_add_f64_e64 v[4:5], v[144:145], -v[4:5]
	v_add_f64_e64 v[6:7], v[146:147], -v[6:7]
	scratch_store_b128 off, v[4:7], off offset:400
	s_wait_xcnt 0x0
	v_cmpx_lt_u32_e32 24, v1
	s_cbranch_execz .LBB108_235
; %bb.234:
	scratch_load_b128 v[6:9], off, s37
	v_dual_mov_b32 v3, v2 :: v_dual_mov_b32 v4, v2
	v_mov_b32_e32 v5, v2
	scratch_store_b128 off, v[2:5], off offset:384
	s_wait_loadcnt 0x0
	ds_store_b128 v122, v[6:9]
.LBB108_235:
	s_wait_xcnt 0x0
	s_or_b32 exec_lo, exec_lo, s2
	s_wait_storecnt_dscnt 0x0
	s_barrier_signal -1
	s_barrier_wait -1
	s_clause 0x9
	scratch_load_b128 v[4:7], off, off offset:400
	scratch_load_b128 v[8:11], off, off offset:416
	;; [unrolled: 1-line block ×10, first 2 shown]
	ds_load_b128 v[136:139], v2 offset:1120
	ds_load_b128 v[144:147], v2 offset:1136
	s_clause 0x2
	scratch_load_b128 v[140:143], off, off offset:560
	scratch_load_b128 v[148:151], off, off offset:384
	;; [unrolled: 1-line block ×3, first 2 shown]
	s_mov_b32 s2, exec_lo
	s_wait_loadcnt_dscnt 0xc01
	v_mul_f64_e32 v[156:157], v[138:139], v[6:7]
	v_mul_f64_e32 v[160:161], v[136:137], v[6:7]
	s_wait_loadcnt_dscnt 0xb00
	v_mul_f64_e32 v[162:163], v[144:145], v[10:11]
	v_mul_f64_e32 v[10:11], v[146:147], v[10:11]
	s_delay_alu instid0(VALU_DEP_4) | instskip(NEXT) | instid1(VALU_DEP_4)
	v_fma_f64 v[164:165], v[136:137], v[4:5], -v[156:157]
	v_fmac_f64_e32 v[160:161], v[138:139], v[4:5]
	ds_load_b128 v[4:7], v2 offset:1152
	ds_load_b128 v[136:139], v2 offset:1168
	scratch_load_b128 v[156:159], off, off offset:592
	v_fmac_f64_e32 v[162:163], v[146:147], v[8:9]
	v_fma_f64 v[144:145], v[144:145], v[8:9], -v[10:11]
	scratch_load_b128 v[8:11], off, off offset:608
	s_wait_loadcnt_dscnt 0xc01
	v_mul_f64_e32 v[166:167], v[4:5], v[14:15]
	v_mul_f64_e32 v[14:15], v[6:7], v[14:15]
	v_add_f64_e32 v[146:147], 0, v[164:165]
	v_add_f64_e32 v[160:161], 0, v[160:161]
	s_wait_loadcnt_dscnt 0xb00
	v_mul_f64_e32 v[164:165], v[136:137], v[18:19]
	v_mul_f64_e32 v[18:19], v[138:139], v[18:19]
	v_fmac_f64_e32 v[166:167], v[6:7], v[12:13]
	v_fma_f64 v[168:169], v[4:5], v[12:13], -v[14:15]
	ds_load_b128 v[4:7], v2 offset:1184
	ds_load_b128 v[12:15], v2 offset:1200
	v_add_f64_e32 v[170:171], v[146:147], v[144:145]
	v_add_f64_e32 v[160:161], v[160:161], v[162:163]
	scratch_load_b128 v[144:147], off, off offset:624
	v_fmac_f64_e32 v[164:165], v[138:139], v[16:17]
	v_fma_f64 v[136:137], v[136:137], v[16:17], -v[18:19]
	scratch_load_b128 v[16:19], off, off offset:640
	s_wait_loadcnt_dscnt 0xc01
	v_mul_f64_e32 v[162:163], v[4:5], v[22:23]
	v_mul_f64_e32 v[22:23], v[6:7], v[22:23]
	v_add_f64_e32 v[138:139], v[170:171], v[168:169]
	v_add_f64_e32 v[160:161], v[160:161], v[166:167]
	s_wait_loadcnt_dscnt 0xb00
	v_mul_f64_e32 v[166:167], v[12:13], v[26:27]
	v_mul_f64_e32 v[26:27], v[14:15], v[26:27]
	v_fmac_f64_e32 v[162:163], v[6:7], v[20:21]
	v_fma_f64 v[168:169], v[4:5], v[20:21], -v[22:23]
	ds_load_b128 v[4:7], v2 offset:1216
	ds_load_b128 v[20:23], v2 offset:1232
	v_add_f64_e32 v[170:171], v[138:139], v[136:137]
	v_add_f64_e32 v[160:161], v[160:161], v[164:165]
	scratch_load_b128 v[136:139], off, off offset:656
	s_wait_loadcnt_dscnt 0xb01
	v_mul_f64_e32 v[164:165], v[4:5], v[30:31]
	v_mul_f64_e32 v[30:31], v[6:7], v[30:31]
	v_fmac_f64_e32 v[166:167], v[14:15], v[24:25]
	v_fma_f64 v[24:25], v[12:13], v[24:25], -v[26:27]
	scratch_load_b128 v[12:15], off, off offset:672
	v_add_f64_e32 v[26:27], v[170:171], v[168:169]
	v_add_f64_e32 v[160:161], v[160:161], v[162:163]
	s_wait_loadcnt_dscnt 0xb00
	v_mul_f64_e32 v[162:163], v[20:21], v[126:127]
	v_mul_f64_e32 v[126:127], v[22:23], v[126:127]
	v_fmac_f64_e32 v[164:165], v[6:7], v[28:29]
	v_fma_f64 v[168:169], v[4:5], v[28:29], -v[30:31]
	v_add_f64_e32 v[170:171], v[26:27], v[24:25]
	v_add_f64_e32 v[160:161], v[160:161], v[166:167]
	ds_load_b128 v[4:7], v2 offset:1248
	ds_load_b128 v[24:27], v2 offset:1264
	scratch_load_b128 v[28:31], off, off offset:688
	v_fmac_f64_e32 v[162:163], v[22:23], v[124:125]
	v_fma_f64 v[124:125], v[20:21], v[124:125], -v[126:127]
	scratch_load_b128 v[20:23], off, off offset:704
	s_wait_loadcnt_dscnt 0xc01
	v_mul_f64_e32 v[166:167], v[4:5], v[130:131]
	v_mul_f64_e32 v[130:131], v[6:7], v[130:131]
	v_add_f64_e32 v[126:127], v[170:171], v[168:169]
	v_add_f64_e32 v[160:161], v[160:161], v[164:165]
	s_wait_loadcnt_dscnt 0xb00
	v_mul_f64_e32 v[164:165], v[24:25], v[134:135]
	v_mul_f64_e32 v[134:135], v[26:27], v[134:135]
	v_fmac_f64_e32 v[166:167], v[6:7], v[128:129]
	v_fma_f64 v[128:129], v[4:5], v[128:129], -v[130:131]
	v_add_f64_e32 v[130:131], v[126:127], v[124:125]
	v_add_f64_e32 v[160:161], v[160:161], v[162:163]
	ds_load_b128 v[4:7], v2 offset:1280
	ds_load_b128 v[124:127], v2 offset:1296
	v_fmac_f64_e32 v[164:165], v[26:27], v[132:133]
	v_fma_f64 v[24:25], v[24:25], v[132:133], -v[134:135]
	s_wait_loadcnt_dscnt 0xa01
	v_mul_f64_e32 v[162:163], v[4:5], v[142:143]
	v_mul_f64_e32 v[142:143], v[6:7], v[142:143]
	s_wait_loadcnt_dscnt 0x800
	v_mul_f64_e32 v[132:133], v[126:127], v[154:155]
	v_add_f64_e32 v[26:27], v[130:131], v[128:129]
	v_add_f64_e32 v[128:129], v[160:161], v[166:167]
	v_mul_f64_e32 v[130:131], v[124:125], v[154:155]
	v_fmac_f64_e32 v[162:163], v[6:7], v[140:141]
	v_fma_f64 v[134:135], v[4:5], v[140:141], -v[142:143]
	v_fma_f64 v[124:125], v[124:125], v[152:153], -v[132:133]
	v_add_f64_e32 v[140:141], v[26:27], v[24:25]
	v_add_f64_e32 v[128:129], v[128:129], v[164:165]
	ds_load_b128 v[4:7], v2 offset:1312
	ds_load_b128 v[24:27], v2 offset:1328
	v_fmac_f64_e32 v[130:131], v[126:127], v[152:153]
	s_wait_loadcnt_dscnt 0x701
	v_mul_f64_e32 v[142:143], v[4:5], v[158:159]
	v_mul_f64_e32 v[154:155], v[6:7], v[158:159]
	s_wait_loadcnt_dscnt 0x600
	v_mul_f64_e32 v[132:133], v[24:25], v[10:11]
	v_mul_f64_e32 v[10:11], v[26:27], v[10:11]
	v_add_f64_e32 v[126:127], v[140:141], v[134:135]
	v_add_f64_e32 v[128:129], v[128:129], v[162:163]
	v_fmac_f64_e32 v[142:143], v[6:7], v[156:157]
	v_fma_f64 v[134:135], v[4:5], v[156:157], -v[154:155]
	v_fmac_f64_e32 v[132:133], v[26:27], v[8:9]
	v_fma_f64 v[8:9], v[24:25], v[8:9], -v[10:11]
	v_add_f64_e32 v[140:141], v[126:127], v[124:125]
	v_add_f64_e32 v[128:129], v[128:129], v[130:131]
	ds_load_b128 v[4:7], v2 offset:1344
	ds_load_b128 v[124:127], v2 offset:1360
	s_wait_loadcnt_dscnt 0x501
	v_mul_f64_e32 v[130:131], v[4:5], v[146:147]
	v_mul_f64_e32 v[146:147], v[6:7], v[146:147]
	s_wait_loadcnt_dscnt 0x400
	v_mul_f64_e32 v[26:27], v[124:125], v[18:19]
	v_mul_f64_e32 v[18:19], v[126:127], v[18:19]
	v_add_f64_e32 v[10:11], v[140:141], v[134:135]
	v_add_f64_e32 v[24:25], v[128:129], v[142:143]
	v_fmac_f64_e32 v[130:131], v[6:7], v[144:145]
	v_fma_f64 v[128:129], v[4:5], v[144:145], -v[146:147]
	v_fmac_f64_e32 v[26:27], v[126:127], v[16:17]
	v_fma_f64 v[16:17], v[124:125], v[16:17], -v[18:19]
	v_add_f64_e32 v[134:135], v[10:11], v[8:9]
	v_add_f64_e32 v[24:25], v[24:25], v[132:133]
	ds_load_b128 v[4:7], v2 offset:1376
	ds_load_b128 v[8:11], v2 offset:1392
	;; [unrolled: 16-line block ×3, first 2 shown]
	s_wait_loadcnt_dscnt 0x101
	v_mul_f64_e32 v[2:3], v[4:5], v[30:31]
	v_mul_f64_e32 v[26:27], v[6:7], v[30:31]
	v_add_f64_e32 v[10:11], v[18:19], v[128:129]
	v_add_f64_e32 v[12:13], v[24:25], v[132:133]
	s_wait_loadcnt_dscnt 0x0
	v_mul_f64_e32 v[18:19], v[14:15], v[22:23]
	v_mul_f64_e32 v[22:23], v[16:17], v[22:23]
	v_fmac_f64_e32 v[2:3], v[6:7], v[28:29]
	v_fma_f64 v[4:5], v[4:5], v[28:29], -v[26:27]
	v_add_f64_e32 v[6:7], v[10:11], v[8:9]
	v_add_f64_e32 v[8:9], v[12:13], v[124:125]
	v_fmac_f64_e32 v[18:19], v[16:17], v[20:21]
	v_fma_f64 v[10:11], v[14:15], v[20:21], -v[22:23]
	s_delay_alu instid0(VALU_DEP_4) | instskip(NEXT) | instid1(VALU_DEP_4)
	v_add_f64_e32 v[4:5], v[6:7], v[4:5]
	v_add_f64_e32 v[2:3], v[8:9], v[2:3]
	s_delay_alu instid0(VALU_DEP_2) | instskip(NEXT) | instid1(VALU_DEP_2)
	v_add_f64_e32 v[4:5], v[4:5], v[10:11]
	v_add_f64_e32 v[6:7], v[2:3], v[18:19]
	s_delay_alu instid0(VALU_DEP_2) | instskip(NEXT) | instid1(VALU_DEP_2)
	v_add_f64_e64 v[2:3], v[148:149], -v[4:5]
	v_add_f64_e64 v[4:5], v[150:151], -v[6:7]
	scratch_store_b128 off, v[2:5], off offset:384
	s_wait_xcnt 0x0
	v_cmpx_lt_u32_e32 23, v1
	s_cbranch_execz .LBB108_237
; %bb.236:
	scratch_load_b128 v[2:5], off, s38
	v_mov_b32_e32 v6, 0
	s_delay_alu instid0(VALU_DEP_1)
	v_dual_mov_b32 v7, v6 :: v_dual_mov_b32 v8, v6
	v_mov_b32_e32 v9, v6
	scratch_store_b128 off, v[6:9], off offset:368
	s_wait_loadcnt 0x0
	ds_store_b128 v122, v[2:5]
.LBB108_237:
	s_wait_xcnt 0x0
	s_or_b32 exec_lo, exec_lo, s2
	s_wait_storecnt_dscnt 0x0
	s_barrier_signal -1
	s_barrier_wait -1
	s_clause 0x9
	scratch_load_b128 v[4:7], off, off offset:384
	scratch_load_b128 v[8:11], off, off offset:400
	;; [unrolled: 1-line block ×10, first 2 shown]
	v_mov_b32_e32 v2, 0
	s_mov_b32 s2, exec_lo
	ds_load_b128 v[136:139], v2 offset:1104
	s_clause 0x2
	scratch_load_b128 v[140:143], off, off offset:544
	scratch_load_b128 v[144:147], off, off offset:368
	;; [unrolled: 1-line block ×3, first 2 shown]
	s_wait_loadcnt_dscnt 0xc00
	v_mul_f64_e32 v[156:157], v[138:139], v[6:7]
	v_mul_f64_e32 v[160:161], v[136:137], v[6:7]
	ds_load_b128 v[148:151], v2 offset:1120
	v_fma_f64 v[164:165], v[136:137], v[4:5], -v[156:157]
	v_fmac_f64_e32 v[160:161], v[138:139], v[4:5]
	ds_load_b128 v[4:7], v2 offset:1136
	s_wait_loadcnt_dscnt 0xb01
	v_mul_f64_e32 v[162:163], v[148:149], v[10:11]
	v_mul_f64_e32 v[10:11], v[150:151], v[10:11]
	scratch_load_b128 v[136:139], off, off offset:576
	ds_load_b128 v[156:159], v2 offset:1152
	s_wait_loadcnt_dscnt 0xb01
	v_mul_f64_e32 v[166:167], v[4:5], v[14:15]
	v_mul_f64_e32 v[14:15], v[6:7], v[14:15]
	v_add_f64_e32 v[160:161], 0, v[160:161]
	v_fmac_f64_e32 v[162:163], v[150:151], v[8:9]
	v_fma_f64 v[148:149], v[148:149], v[8:9], -v[10:11]
	v_add_f64_e32 v[150:151], 0, v[164:165]
	scratch_load_b128 v[8:11], off, off offset:592
	v_fmac_f64_e32 v[166:167], v[6:7], v[12:13]
	v_fma_f64 v[168:169], v[4:5], v[12:13], -v[14:15]
	ds_load_b128 v[4:7], v2 offset:1168
	s_wait_loadcnt_dscnt 0xb01
	v_mul_f64_e32 v[164:165], v[156:157], v[18:19]
	v_mul_f64_e32 v[18:19], v[158:159], v[18:19]
	scratch_load_b128 v[12:15], off, off offset:608
	v_add_f64_e32 v[160:161], v[160:161], v[162:163]
	v_add_f64_e32 v[170:171], v[150:151], v[148:149]
	ds_load_b128 v[148:151], v2 offset:1184
	s_wait_loadcnt_dscnt 0xb01
	v_mul_f64_e32 v[162:163], v[4:5], v[22:23]
	v_mul_f64_e32 v[22:23], v[6:7], v[22:23]
	v_fmac_f64_e32 v[164:165], v[158:159], v[16:17]
	v_fma_f64 v[156:157], v[156:157], v[16:17], -v[18:19]
	scratch_load_b128 v[16:19], off, off offset:624
	v_add_f64_e32 v[160:161], v[160:161], v[166:167]
	v_add_f64_e32 v[158:159], v[170:171], v[168:169]
	v_fmac_f64_e32 v[162:163], v[6:7], v[20:21]
	v_fma_f64 v[168:169], v[4:5], v[20:21], -v[22:23]
	ds_load_b128 v[4:7], v2 offset:1200
	s_wait_loadcnt_dscnt 0xb01
	v_mul_f64_e32 v[166:167], v[148:149], v[26:27]
	v_mul_f64_e32 v[26:27], v[150:151], v[26:27]
	scratch_load_b128 v[20:23], off, off offset:640
	v_add_f64_e32 v[160:161], v[160:161], v[164:165]
	s_wait_loadcnt_dscnt 0xb00
	v_mul_f64_e32 v[164:165], v[4:5], v[30:31]
	v_add_f64_e32 v[170:171], v[158:159], v[156:157]
	v_mul_f64_e32 v[30:31], v[6:7], v[30:31]
	ds_load_b128 v[156:159], v2 offset:1216
	v_fmac_f64_e32 v[166:167], v[150:151], v[24:25]
	v_fma_f64 v[148:149], v[148:149], v[24:25], -v[26:27]
	scratch_load_b128 v[24:27], off, off offset:656
	v_add_f64_e32 v[160:161], v[160:161], v[162:163]
	v_fmac_f64_e32 v[164:165], v[6:7], v[28:29]
	v_add_f64_e32 v[150:151], v[170:171], v[168:169]
	v_fma_f64 v[168:169], v[4:5], v[28:29], -v[30:31]
	ds_load_b128 v[4:7], v2 offset:1232
	s_wait_loadcnt_dscnt 0xb01
	v_mul_f64_e32 v[162:163], v[156:157], v[126:127]
	v_mul_f64_e32 v[126:127], v[158:159], v[126:127]
	scratch_load_b128 v[28:31], off, off offset:672
	v_add_f64_e32 v[160:161], v[160:161], v[166:167]
	s_wait_loadcnt_dscnt 0xb00
	v_mul_f64_e32 v[166:167], v[4:5], v[130:131]
	v_add_f64_e32 v[170:171], v[150:151], v[148:149]
	v_mul_f64_e32 v[130:131], v[6:7], v[130:131]
	ds_load_b128 v[148:151], v2 offset:1248
	v_fmac_f64_e32 v[162:163], v[158:159], v[124:125]
	v_fma_f64 v[156:157], v[156:157], v[124:125], -v[126:127]
	scratch_load_b128 v[124:127], off, off offset:688
	v_add_f64_e32 v[160:161], v[160:161], v[164:165]
	v_fmac_f64_e32 v[166:167], v[6:7], v[128:129]
	v_add_f64_e32 v[158:159], v[170:171], v[168:169]
	v_fma_f64 v[168:169], v[4:5], v[128:129], -v[130:131]
	ds_load_b128 v[4:7], v2 offset:1264
	s_wait_loadcnt_dscnt 0xb01
	v_mul_f64_e32 v[164:165], v[148:149], v[134:135]
	v_mul_f64_e32 v[134:135], v[150:151], v[134:135]
	scratch_load_b128 v[128:131], off, off offset:704
	v_add_f64_e32 v[160:161], v[160:161], v[162:163]
	s_wait_loadcnt_dscnt 0xb00
	v_mul_f64_e32 v[162:163], v[4:5], v[142:143]
	v_add_f64_e32 v[170:171], v[158:159], v[156:157]
	v_mul_f64_e32 v[142:143], v[6:7], v[142:143]
	ds_load_b128 v[156:159], v2 offset:1280
	v_fmac_f64_e32 v[164:165], v[150:151], v[132:133]
	v_fma_f64 v[132:133], v[148:149], v[132:133], -v[134:135]
	s_wait_loadcnt_dscnt 0x900
	v_mul_f64_e32 v[150:151], v[156:157], v[154:155]
	v_mul_f64_e32 v[154:155], v[158:159], v[154:155]
	v_add_f64_e32 v[148:149], v[160:161], v[166:167]
	v_fmac_f64_e32 v[162:163], v[6:7], v[140:141]
	v_add_f64_e32 v[134:135], v[170:171], v[168:169]
	v_fma_f64 v[140:141], v[4:5], v[140:141], -v[142:143]
	v_fmac_f64_e32 v[150:151], v[158:159], v[152:153]
	v_fma_f64 v[152:153], v[156:157], v[152:153], -v[154:155]
	v_add_f64_e32 v[148:149], v[148:149], v[164:165]
	v_add_f64_e32 v[142:143], v[134:135], v[132:133]
	ds_load_b128 v[4:7], v2 offset:1296
	ds_load_b128 v[132:135], v2 offset:1312
	s_wait_loadcnt_dscnt 0x801
	v_mul_f64_e32 v[160:161], v[4:5], v[138:139]
	v_mul_f64_e32 v[138:139], v[6:7], v[138:139]
	v_add_f64_e32 v[140:141], v[142:143], v[140:141]
	v_add_f64_e32 v[142:143], v[148:149], v[162:163]
	s_wait_loadcnt_dscnt 0x700
	v_mul_f64_e32 v[148:149], v[132:133], v[10:11]
	v_mul_f64_e32 v[10:11], v[134:135], v[10:11]
	v_fmac_f64_e32 v[160:161], v[6:7], v[136:137]
	v_fma_f64 v[154:155], v[4:5], v[136:137], -v[138:139]
	ds_load_b128 v[4:7], v2 offset:1328
	ds_load_b128 v[136:139], v2 offset:1344
	v_add_f64_e32 v[140:141], v[140:141], v[152:153]
	v_add_f64_e32 v[142:143], v[142:143], v[150:151]
	v_fmac_f64_e32 v[148:149], v[134:135], v[8:9]
	v_fma_f64 v[8:9], v[132:133], v[8:9], -v[10:11]
	s_wait_loadcnt_dscnt 0x601
	v_mul_f64_e32 v[150:151], v[4:5], v[14:15]
	v_mul_f64_e32 v[14:15], v[6:7], v[14:15]
	s_wait_loadcnt_dscnt 0x500
	v_mul_f64_e32 v[134:135], v[136:137], v[18:19]
	v_mul_f64_e32 v[18:19], v[138:139], v[18:19]
	v_add_f64_e32 v[10:11], v[140:141], v[154:155]
	v_add_f64_e32 v[132:133], v[142:143], v[160:161]
	v_fmac_f64_e32 v[150:151], v[6:7], v[12:13]
	v_fma_f64 v[12:13], v[4:5], v[12:13], -v[14:15]
	v_fmac_f64_e32 v[134:135], v[138:139], v[16:17]
	v_fma_f64 v[16:17], v[136:137], v[16:17], -v[18:19]
	v_add_f64_e32 v[14:15], v[10:11], v[8:9]
	v_add_f64_e32 v[132:133], v[132:133], v[148:149]
	ds_load_b128 v[4:7], v2 offset:1360
	ds_load_b128 v[8:11], v2 offset:1376
	s_wait_loadcnt_dscnt 0x401
	v_mul_f64_e32 v[140:141], v[4:5], v[22:23]
	v_mul_f64_e32 v[22:23], v[6:7], v[22:23]
	s_wait_loadcnt_dscnt 0x300
	v_mul_f64_e32 v[18:19], v[8:9], v[26:27]
	v_mul_f64_e32 v[26:27], v[10:11], v[26:27]
	v_add_f64_e32 v[12:13], v[14:15], v[12:13]
	v_add_f64_e32 v[14:15], v[132:133], v[150:151]
	v_fmac_f64_e32 v[140:141], v[6:7], v[20:21]
	v_fma_f64 v[20:21], v[4:5], v[20:21], -v[22:23]
	v_fmac_f64_e32 v[18:19], v[10:11], v[24:25]
	v_fma_f64 v[8:9], v[8:9], v[24:25], -v[26:27]
	v_add_f64_e32 v[16:17], v[12:13], v[16:17]
	v_add_f64_e32 v[22:23], v[14:15], v[134:135]
	ds_load_b128 v[4:7], v2 offset:1392
	ds_load_b128 v[12:15], v2 offset:1408
	s_wait_loadcnt_dscnt 0x201
	v_mul_f64_e32 v[132:133], v[4:5], v[30:31]
	v_mul_f64_e32 v[30:31], v[6:7], v[30:31]
	v_add_f64_e32 v[10:11], v[16:17], v[20:21]
	v_add_f64_e32 v[16:17], v[22:23], v[140:141]
	s_wait_loadcnt_dscnt 0x100
	v_mul_f64_e32 v[20:21], v[12:13], v[126:127]
	v_mul_f64_e32 v[22:23], v[14:15], v[126:127]
	v_fmac_f64_e32 v[132:133], v[6:7], v[28:29]
	v_fma_f64 v[24:25], v[4:5], v[28:29], -v[30:31]
	ds_load_b128 v[4:7], v2 offset:1424
	v_add_f64_e32 v[8:9], v[10:11], v[8:9]
	v_add_f64_e32 v[10:11], v[16:17], v[18:19]
	v_fmac_f64_e32 v[20:21], v[14:15], v[124:125]
	v_fma_f64 v[12:13], v[12:13], v[124:125], -v[22:23]
	s_wait_loadcnt_dscnt 0x0
	v_mul_f64_e32 v[16:17], v[4:5], v[130:131]
	v_mul_f64_e32 v[18:19], v[6:7], v[130:131]
	v_add_f64_e32 v[8:9], v[8:9], v[24:25]
	v_add_f64_e32 v[10:11], v[10:11], v[132:133]
	s_delay_alu instid0(VALU_DEP_4) | instskip(NEXT) | instid1(VALU_DEP_4)
	v_fmac_f64_e32 v[16:17], v[6:7], v[128:129]
	v_fma_f64 v[4:5], v[4:5], v[128:129], -v[18:19]
	s_delay_alu instid0(VALU_DEP_4) | instskip(NEXT) | instid1(VALU_DEP_4)
	v_add_f64_e32 v[6:7], v[8:9], v[12:13]
	v_add_f64_e32 v[8:9], v[10:11], v[20:21]
	s_delay_alu instid0(VALU_DEP_2) | instskip(NEXT) | instid1(VALU_DEP_2)
	v_add_f64_e32 v[4:5], v[6:7], v[4:5]
	v_add_f64_e32 v[6:7], v[8:9], v[16:17]
	s_delay_alu instid0(VALU_DEP_2) | instskip(NEXT) | instid1(VALU_DEP_2)
	v_add_f64_e64 v[4:5], v[144:145], -v[4:5]
	v_add_f64_e64 v[6:7], v[146:147], -v[6:7]
	scratch_store_b128 off, v[4:7], off offset:368
	s_wait_xcnt 0x0
	v_cmpx_lt_u32_e32 22, v1
	s_cbranch_execz .LBB108_239
; %bb.238:
	scratch_load_b128 v[6:9], off, s39
	v_dual_mov_b32 v3, v2 :: v_dual_mov_b32 v4, v2
	v_mov_b32_e32 v5, v2
	scratch_store_b128 off, v[2:5], off offset:352
	s_wait_loadcnt 0x0
	ds_store_b128 v122, v[6:9]
.LBB108_239:
	s_wait_xcnt 0x0
	s_or_b32 exec_lo, exec_lo, s2
	s_wait_storecnt_dscnt 0x0
	s_barrier_signal -1
	s_barrier_wait -1
	s_clause 0x9
	scratch_load_b128 v[4:7], off, off offset:368
	scratch_load_b128 v[8:11], off, off offset:384
	scratch_load_b128 v[12:15], off, off offset:400
	scratch_load_b128 v[16:19], off, off offset:416
	scratch_load_b128 v[20:23], off, off offset:432
	scratch_load_b128 v[24:27], off, off offset:448
	scratch_load_b128 v[28:31], off, off offset:464
	scratch_load_b128 v[124:127], off, off offset:480
	scratch_load_b128 v[128:131], off, off offset:496
	scratch_load_b128 v[132:135], off, off offset:512
	ds_load_b128 v[136:139], v2 offset:1088
	ds_load_b128 v[144:147], v2 offset:1104
	s_clause 0x2
	scratch_load_b128 v[140:143], off, off offset:528
	scratch_load_b128 v[148:151], off, off offset:352
	;; [unrolled: 1-line block ×3, first 2 shown]
	s_mov_b32 s2, exec_lo
	s_wait_loadcnt_dscnt 0xc01
	v_mul_f64_e32 v[156:157], v[138:139], v[6:7]
	v_mul_f64_e32 v[160:161], v[136:137], v[6:7]
	s_wait_loadcnt_dscnt 0xb00
	v_mul_f64_e32 v[162:163], v[144:145], v[10:11]
	v_mul_f64_e32 v[10:11], v[146:147], v[10:11]
	s_delay_alu instid0(VALU_DEP_4) | instskip(NEXT) | instid1(VALU_DEP_4)
	v_fma_f64 v[164:165], v[136:137], v[4:5], -v[156:157]
	v_fmac_f64_e32 v[160:161], v[138:139], v[4:5]
	ds_load_b128 v[4:7], v2 offset:1120
	ds_load_b128 v[136:139], v2 offset:1136
	scratch_load_b128 v[156:159], off, off offset:560
	v_fmac_f64_e32 v[162:163], v[146:147], v[8:9]
	v_fma_f64 v[144:145], v[144:145], v[8:9], -v[10:11]
	scratch_load_b128 v[8:11], off, off offset:576
	s_wait_loadcnt_dscnt 0xc01
	v_mul_f64_e32 v[166:167], v[4:5], v[14:15]
	v_mul_f64_e32 v[14:15], v[6:7], v[14:15]
	v_add_f64_e32 v[146:147], 0, v[164:165]
	v_add_f64_e32 v[160:161], 0, v[160:161]
	s_wait_loadcnt_dscnt 0xb00
	v_mul_f64_e32 v[164:165], v[136:137], v[18:19]
	v_mul_f64_e32 v[18:19], v[138:139], v[18:19]
	v_fmac_f64_e32 v[166:167], v[6:7], v[12:13]
	v_fma_f64 v[168:169], v[4:5], v[12:13], -v[14:15]
	ds_load_b128 v[4:7], v2 offset:1152
	ds_load_b128 v[12:15], v2 offset:1168
	v_add_f64_e32 v[170:171], v[146:147], v[144:145]
	v_add_f64_e32 v[160:161], v[160:161], v[162:163]
	scratch_load_b128 v[144:147], off, off offset:592
	v_fmac_f64_e32 v[164:165], v[138:139], v[16:17]
	v_fma_f64 v[136:137], v[136:137], v[16:17], -v[18:19]
	scratch_load_b128 v[16:19], off, off offset:608
	s_wait_loadcnt_dscnt 0xc01
	v_mul_f64_e32 v[162:163], v[4:5], v[22:23]
	v_mul_f64_e32 v[22:23], v[6:7], v[22:23]
	v_add_f64_e32 v[138:139], v[170:171], v[168:169]
	v_add_f64_e32 v[160:161], v[160:161], v[166:167]
	s_wait_loadcnt_dscnt 0xb00
	v_mul_f64_e32 v[166:167], v[12:13], v[26:27]
	v_mul_f64_e32 v[26:27], v[14:15], v[26:27]
	v_fmac_f64_e32 v[162:163], v[6:7], v[20:21]
	v_fma_f64 v[168:169], v[4:5], v[20:21], -v[22:23]
	ds_load_b128 v[4:7], v2 offset:1184
	ds_load_b128 v[20:23], v2 offset:1200
	v_add_f64_e32 v[170:171], v[138:139], v[136:137]
	v_add_f64_e32 v[160:161], v[160:161], v[164:165]
	scratch_load_b128 v[136:139], off, off offset:624
	s_wait_loadcnt_dscnt 0xb01
	v_mul_f64_e32 v[164:165], v[4:5], v[30:31]
	v_mul_f64_e32 v[30:31], v[6:7], v[30:31]
	v_fmac_f64_e32 v[166:167], v[14:15], v[24:25]
	v_fma_f64 v[24:25], v[12:13], v[24:25], -v[26:27]
	scratch_load_b128 v[12:15], off, off offset:640
	v_add_f64_e32 v[26:27], v[170:171], v[168:169]
	v_add_f64_e32 v[160:161], v[160:161], v[162:163]
	s_wait_loadcnt_dscnt 0xb00
	v_mul_f64_e32 v[162:163], v[20:21], v[126:127]
	v_mul_f64_e32 v[126:127], v[22:23], v[126:127]
	v_fmac_f64_e32 v[164:165], v[6:7], v[28:29]
	v_fma_f64 v[168:169], v[4:5], v[28:29], -v[30:31]
	v_add_f64_e32 v[170:171], v[26:27], v[24:25]
	v_add_f64_e32 v[160:161], v[160:161], v[166:167]
	ds_load_b128 v[4:7], v2 offset:1216
	ds_load_b128 v[24:27], v2 offset:1232
	scratch_load_b128 v[28:31], off, off offset:656
	v_fmac_f64_e32 v[162:163], v[22:23], v[124:125]
	v_fma_f64 v[124:125], v[20:21], v[124:125], -v[126:127]
	scratch_load_b128 v[20:23], off, off offset:672
	s_wait_loadcnt_dscnt 0xc01
	v_mul_f64_e32 v[166:167], v[4:5], v[130:131]
	v_mul_f64_e32 v[130:131], v[6:7], v[130:131]
	v_add_f64_e32 v[126:127], v[170:171], v[168:169]
	v_add_f64_e32 v[160:161], v[160:161], v[164:165]
	s_wait_loadcnt_dscnt 0xb00
	v_mul_f64_e32 v[164:165], v[24:25], v[134:135]
	v_mul_f64_e32 v[134:135], v[26:27], v[134:135]
	v_fmac_f64_e32 v[166:167], v[6:7], v[128:129]
	v_fma_f64 v[168:169], v[4:5], v[128:129], -v[130:131]
	v_add_f64_e32 v[170:171], v[126:127], v[124:125]
	v_add_f64_e32 v[160:161], v[160:161], v[162:163]
	ds_load_b128 v[4:7], v2 offset:1248
	ds_load_b128 v[124:127], v2 offset:1264
	scratch_load_b128 v[128:131], off, off offset:688
	v_fmac_f64_e32 v[164:165], v[26:27], v[132:133]
	v_fma_f64 v[132:133], v[24:25], v[132:133], -v[134:135]
	scratch_load_b128 v[24:27], off, off offset:704
	s_wait_loadcnt_dscnt 0xc01
	v_mul_f64_e32 v[162:163], v[4:5], v[142:143]
	v_mul_f64_e32 v[142:143], v[6:7], v[142:143]
	v_add_f64_e32 v[134:135], v[170:171], v[168:169]
	v_add_f64_e32 v[160:161], v[160:161], v[166:167]
	s_wait_loadcnt_dscnt 0xa00
	v_mul_f64_e32 v[166:167], v[124:125], v[154:155]
	v_mul_f64_e32 v[154:155], v[126:127], v[154:155]
	v_fmac_f64_e32 v[162:163], v[6:7], v[140:141]
	v_fma_f64 v[140:141], v[4:5], v[140:141], -v[142:143]
	v_add_f64_e32 v[142:143], v[134:135], v[132:133]
	v_add_f64_e32 v[160:161], v[160:161], v[164:165]
	ds_load_b128 v[4:7], v2 offset:1280
	ds_load_b128 v[132:135], v2 offset:1296
	v_fmac_f64_e32 v[166:167], v[126:127], v[152:153]
	v_fma_f64 v[124:125], v[124:125], v[152:153], -v[154:155]
	s_wait_loadcnt_dscnt 0x901
	v_mul_f64_e32 v[164:165], v[4:5], v[158:159]
	v_mul_f64_e32 v[158:159], v[6:7], v[158:159]
	v_add_f64_e32 v[126:127], v[142:143], v[140:141]
	v_add_f64_e32 v[140:141], v[160:161], v[162:163]
	s_wait_loadcnt_dscnt 0x800
	v_mul_f64_e32 v[142:143], v[132:133], v[10:11]
	v_mul_f64_e32 v[10:11], v[134:135], v[10:11]
	v_fmac_f64_e32 v[164:165], v[6:7], v[156:157]
	v_fma_f64 v[152:153], v[4:5], v[156:157], -v[158:159]
	v_add_f64_e32 v[154:155], v[126:127], v[124:125]
	v_add_f64_e32 v[140:141], v[140:141], v[166:167]
	ds_load_b128 v[4:7], v2 offset:1312
	ds_load_b128 v[124:127], v2 offset:1328
	v_fmac_f64_e32 v[142:143], v[134:135], v[8:9]
	v_fma_f64 v[8:9], v[132:133], v[8:9], -v[10:11]
	s_wait_loadcnt_dscnt 0x701
	v_mul_f64_e32 v[156:157], v[4:5], v[146:147]
	v_mul_f64_e32 v[146:147], v[6:7], v[146:147]
	s_wait_loadcnt_dscnt 0x600
	v_mul_f64_e32 v[134:135], v[124:125], v[18:19]
	v_mul_f64_e32 v[18:19], v[126:127], v[18:19]
	v_add_f64_e32 v[10:11], v[154:155], v[152:153]
	v_add_f64_e32 v[132:133], v[140:141], v[164:165]
	v_fmac_f64_e32 v[156:157], v[6:7], v[144:145]
	v_fma_f64 v[140:141], v[4:5], v[144:145], -v[146:147]
	v_fmac_f64_e32 v[134:135], v[126:127], v[16:17]
	v_fma_f64 v[16:17], v[124:125], v[16:17], -v[18:19]
	v_add_f64_e32 v[144:145], v[10:11], v[8:9]
	v_add_f64_e32 v[132:133], v[132:133], v[142:143]
	ds_load_b128 v[4:7], v2 offset:1344
	ds_load_b128 v[8:11], v2 offset:1360
	s_wait_loadcnt_dscnt 0x501
	v_mul_f64_e32 v[142:143], v[4:5], v[138:139]
	v_mul_f64_e32 v[138:139], v[6:7], v[138:139]
	s_wait_loadcnt_dscnt 0x400
	v_mul_f64_e32 v[126:127], v[8:9], v[14:15]
	v_add_f64_e32 v[18:19], v[144:145], v[140:141]
	v_add_f64_e32 v[124:125], v[132:133], v[156:157]
	v_mul_f64_e32 v[132:133], v[10:11], v[14:15]
	v_fmac_f64_e32 v[142:143], v[6:7], v[136:137]
	v_fma_f64 v[136:137], v[4:5], v[136:137], -v[138:139]
	v_fmac_f64_e32 v[126:127], v[10:11], v[12:13]
	v_add_f64_e32 v[18:19], v[18:19], v[16:17]
	v_add_f64_e32 v[124:125], v[124:125], v[134:135]
	ds_load_b128 v[4:7], v2 offset:1376
	ds_load_b128 v[14:17], v2 offset:1392
	v_fma_f64 v[8:9], v[8:9], v[12:13], -v[132:133]
	s_wait_loadcnt_dscnt 0x301
	v_mul_f64_e32 v[134:135], v[4:5], v[30:31]
	v_mul_f64_e32 v[30:31], v[6:7], v[30:31]
	v_add_f64_e32 v[10:11], v[18:19], v[136:137]
	v_add_f64_e32 v[12:13], v[124:125], v[142:143]
	s_wait_loadcnt_dscnt 0x200
	v_mul_f64_e32 v[18:19], v[14:15], v[22:23]
	v_mul_f64_e32 v[22:23], v[16:17], v[22:23]
	v_fmac_f64_e32 v[134:135], v[6:7], v[28:29]
	v_fma_f64 v[28:29], v[4:5], v[28:29], -v[30:31]
	v_add_f64_e32 v[30:31], v[10:11], v[8:9]
	v_add_f64_e32 v[12:13], v[12:13], v[126:127]
	ds_load_b128 v[4:7], v2 offset:1408
	ds_load_b128 v[8:11], v2 offset:1424
	v_fmac_f64_e32 v[18:19], v[16:17], v[20:21]
	v_fma_f64 v[14:15], v[14:15], v[20:21], -v[22:23]
	s_wait_loadcnt_dscnt 0x101
	v_mul_f64_e32 v[2:3], v[4:5], v[130:131]
	v_mul_f64_e32 v[124:125], v[6:7], v[130:131]
	s_wait_loadcnt_dscnt 0x0
	v_mul_f64_e32 v[20:21], v[8:9], v[26:27]
	v_mul_f64_e32 v[22:23], v[10:11], v[26:27]
	v_add_f64_e32 v[16:17], v[30:31], v[28:29]
	v_add_f64_e32 v[12:13], v[12:13], v[134:135]
	v_fmac_f64_e32 v[2:3], v[6:7], v[128:129]
	v_fma_f64 v[4:5], v[4:5], v[128:129], -v[124:125]
	v_fmac_f64_e32 v[20:21], v[10:11], v[24:25]
	v_fma_f64 v[8:9], v[8:9], v[24:25], -v[22:23]
	v_add_f64_e32 v[6:7], v[16:17], v[14:15]
	v_add_f64_e32 v[12:13], v[12:13], v[18:19]
	s_delay_alu instid0(VALU_DEP_2) | instskip(NEXT) | instid1(VALU_DEP_2)
	v_add_f64_e32 v[4:5], v[6:7], v[4:5]
	v_add_f64_e32 v[2:3], v[12:13], v[2:3]
	s_delay_alu instid0(VALU_DEP_2) | instskip(NEXT) | instid1(VALU_DEP_2)
	;; [unrolled: 3-line block ×3, first 2 shown]
	v_add_f64_e64 v[2:3], v[148:149], -v[4:5]
	v_add_f64_e64 v[4:5], v[150:151], -v[6:7]
	scratch_store_b128 off, v[2:5], off offset:352
	s_wait_xcnt 0x0
	v_cmpx_lt_u32_e32 21, v1
	s_cbranch_execz .LBB108_241
; %bb.240:
	scratch_load_b128 v[2:5], off, s40
	v_mov_b32_e32 v6, 0
	s_delay_alu instid0(VALU_DEP_1)
	v_dual_mov_b32 v7, v6 :: v_dual_mov_b32 v8, v6
	v_mov_b32_e32 v9, v6
	scratch_store_b128 off, v[6:9], off offset:336
	s_wait_loadcnt 0x0
	ds_store_b128 v122, v[2:5]
.LBB108_241:
	s_wait_xcnt 0x0
	s_or_b32 exec_lo, exec_lo, s2
	s_wait_storecnt_dscnt 0x0
	s_barrier_signal -1
	s_barrier_wait -1
	s_clause 0x9
	scratch_load_b128 v[4:7], off, off offset:352
	scratch_load_b128 v[8:11], off, off offset:368
	;; [unrolled: 1-line block ×10, first 2 shown]
	v_mov_b32_e32 v2, 0
	s_mov_b32 s2, exec_lo
	ds_load_b128 v[136:139], v2 offset:1072
	s_clause 0x2
	scratch_load_b128 v[140:143], off, off offset:512
	scratch_load_b128 v[144:147], off, off offset:336
	scratch_load_b128 v[152:155], off, off offset:528
	s_wait_loadcnt_dscnt 0xc00
	v_mul_f64_e32 v[156:157], v[138:139], v[6:7]
	v_mul_f64_e32 v[160:161], v[136:137], v[6:7]
	ds_load_b128 v[148:151], v2 offset:1088
	v_fma_f64 v[164:165], v[136:137], v[4:5], -v[156:157]
	v_fmac_f64_e32 v[160:161], v[138:139], v[4:5]
	ds_load_b128 v[4:7], v2 offset:1104
	s_wait_loadcnt_dscnt 0xb01
	v_mul_f64_e32 v[162:163], v[148:149], v[10:11]
	v_mul_f64_e32 v[10:11], v[150:151], v[10:11]
	scratch_load_b128 v[136:139], off, off offset:544
	ds_load_b128 v[156:159], v2 offset:1120
	s_wait_loadcnt_dscnt 0xb01
	v_mul_f64_e32 v[166:167], v[4:5], v[14:15]
	v_mul_f64_e32 v[14:15], v[6:7], v[14:15]
	v_add_f64_e32 v[160:161], 0, v[160:161]
	v_fmac_f64_e32 v[162:163], v[150:151], v[8:9]
	v_fma_f64 v[148:149], v[148:149], v[8:9], -v[10:11]
	v_add_f64_e32 v[150:151], 0, v[164:165]
	scratch_load_b128 v[8:11], off, off offset:560
	v_fmac_f64_e32 v[166:167], v[6:7], v[12:13]
	v_fma_f64 v[168:169], v[4:5], v[12:13], -v[14:15]
	ds_load_b128 v[4:7], v2 offset:1136
	s_wait_loadcnt_dscnt 0xb01
	v_mul_f64_e32 v[164:165], v[156:157], v[18:19]
	v_mul_f64_e32 v[18:19], v[158:159], v[18:19]
	scratch_load_b128 v[12:15], off, off offset:576
	v_add_f64_e32 v[160:161], v[160:161], v[162:163]
	v_add_f64_e32 v[170:171], v[150:151], v[148:149]
	ds_load_b128 v[148:151], v2 offset:1152
	s_wait_loadcnt_dscnt 0xb01
	v_mul_f64_e32 v[162:163], v[4:5], v[22:23]
	v_mul_f64_e32 v[22:23], v[6:7], v[22:23]
	v_fmac_f64_e32 v[164:165], v[158:159], v[16:17]
	v_fma_f64 v[156:157], v[156:157], v[16:17], -v[18:19]
	scratch_load_b128 v[16:19], off, off offset:592
	v_add_f64_e32 v[160:161], v[160:161], v[166:167]
	v_add_f64_e32 v[158:159], v[170:171], v[168:169]
	v_fmac_f64_e32 v[162:163], v[6:7], v[20:21]
	v_fma_f64 v[168:169], v[4:5], v[20:21], -v[22:23]
	ds_load_b128 v[4:7], v2 offset:1168
	s_wait_loadcnt_dscnt 0xb01
	v_mul_f64_e32 v[166:167], v[148:149], v[26:27]
	v_mul_f64_e32 v[26:27], v[150:151], v[26:27]
	scratch_load_b128 v[20:23], off, off offset:608
	v_add_f64_e32 v[160:161], v[160:161], v[164:165]
	s_wait_loadcnt_dscnt 0xb00
	v_mul_f64_e32 v[164:165], v[4:5], v[30:31]
	v_add_f64_e32 v[170:171], v[158:159], v[156:157]
	v_mul_f64_e32 v[30:31], v[6:7], v[30:31]
	ds_load_b128 v[156:159], v2 offset:1184
	v_fmac_f64_e32 v[166:167], v[150:151], v[24:25]
	v_fma_f64 v[148:149], v[148:149], v[24:25], -v[26:27]
	scratch_load_b128 v[24:27], off, off offset:624
	v_add_f64_e32 v[160:161], v[160:161], v[162:163]
	v_fmac_f64_e32 v[164:165], v[6:7], v[28:29]
	v_add_f64_e32 v[150:151], v[170:171], v[168:169]
	v_fma_f64 v[168:169], v[4:5], v[28:29], -v[30:31]
	ds_load_b128 v[4:7], v2 offset:1200
	s_wait_loadcnt_dscnt 0xb01
	v_mul_f64_e32 v[162:163], v[156:157], v[126:127]
	v_mul_f64_e32 v[126:127], v[158:159], v[126:127]
	scratch_load_b128 v[28:31], off, off offset:640
	v_add_f64_e32 v[160:161], v[160:161], v[166:167]
	s_wait_loadcnt_dscnt 0xb00
	v_mul_f64_e32 v[166:167], v[4:5], v[130:131]
	v_add_f64_e32 v[170:171], v[150:151], v[148:149]
	v_mul_f64_e32 v[130:131], v[6:7], v[130:131]
	ds_load_b128 v[148:151], v2 offset:1216
	v_fmac_f64_e32 v[162:163], v[158:159], v[124:125]
	v_fma_f64 v[156:157], v[156:157], v[124:125], -v[126:127]
	scratch_load_b128 v[124:127], off, off offset:656
	v_add_f64_e32 v[160:161], v[160:161], v[164:165]
	v_fmac_f64_e32 v[166:167], v[6:7], v[128:129]
	v_add_f64_e32 v[158:159], v[170:171], v[168:169]
	;; [unrolled: 18-line block ×3, first 2 shown]
	v_fma_f64 v[168:169], v[4:5], v[140:141], -v[142:143]
	ds_load_b128 v[4:7], v2 offset:1264
	s_wait_loadcnt_dscnt 0xa01
	v_mul_f64_e32 v[166:167], v[156:157], v[154:155]
	v_mul_f64_e32 v[154:155], v[158:159], v[154:155]
	scratch_load_b128 v[140:143], off, off offset:704
	v_add_f64_e32 v[160:161], v[160:161], v[164:165]
	v_add_f64_e32 v[170:171], v[150:151], v[148:149]
	s_wait_loadcnt_dscnt 0xa00
	v_mul_f64_e32 v[164:165], v[4:5], v[138:139]
	v_mul_f64_e32 v[138:139], v[6:7], v[138:139]
	v_fmac_f64_e32 v[166:167], v[158:159], v[152:153]
	v_fma_f64 v[152:153], v[156:157], v[152:153], -v[154:155]
	ds_load_b128 v[148:151], v2 offset:1280
	v_add_f64_e32 v[156:157], v[160:161], v[162:163]
	v_add_f64_e32 v[154:155], v[170:171], v[168:169]
	s_wait_loadcnt_dscnt 0x900
	v_mul_f64_e32 v[158:159], v[148:149], v[10:11]
	v_mul_f64_e32 v[10:11], v[150:151], v[10:11]
	v_fmac_f64_e32 v[164:165], v[6:7], v[136:137]
	v_fma_f64 v[160:161], v[4:5], v[136:137], -v[138:139]
	ds_load_b128 v[4:7], v2 offset:1296
	ds_load_b128 v[136:139], v2 offset:1312
	v_add_f64_e32 v[152:153], v[154:155], v[152:153]
	v_add_f64_e32 v[154:155], v[156:157], v[166:167]
	s_wait_loadcnt_dscnt 0x801
	v_mul_f64_e32 v[156:157], v[4:5], v[14:15]
	v_mul_f64_e32 v[14:15], v[6:7], v[14:15]
	v_fmac_f64_e32 v[158:159], v[150:151], v[8:9]
	v_fma_f64 v[8:9], v[148:149], v[8:9], -v[10:11]
	s_wait_loadcnt_dscnt 0x700
	v_mul_f64_e32 v[150:151], v[136:137], v[18:19]
	v_mul_f64_e32 v[18:19], v[138:139], v[18:19]
	v_add_f64_e32 v[10:11], v[152:153], v[160:161]
	v_add_f64_e32 v[148:149], v[154:155], v[164:165]
	v_fmac_f64_e32 v[156:157], v[6:7], v[12:13]
	v_fma_f64 v[12:13], v[4:5], v[12:13], -v[14:15]
	v_fmac_f64_e32 v[150:151], v[138:139], v[16:17]
	v_fma_f64 v[16:17], v[136:137], v[16:17], -v[18:19]
	v_add_f64_e32 v[14:15], v[10:11], v[8:9]
	v_add_f64_e32 v[148:149], v[148:149], v[158:159]
	ds_load_b128 v[4:7], v2 offset:1328
	ds_load_b128 v[8:11], v2 offset:1344
	s_wait_loadcnt_dscnt 0x601
	v_mul_f64_e32 v[152:153], v[4:5], v[22:23]
	v_mul_f64_e32 v[22:23], v[6:7], v[22:23]
	s_wait_loadcnt_dscnt 0x500
	v_mul_f64_e32 v[18:19], v[8:9], v[26:27]
	v_mul_f64_e32 v[26:27], v[10:11], v[26:27]
	v_add_f64_e32 v[12:13], v[14:15], v[12:13]
	v_add_f64_e32 v[14:15], v[148:149], v[156:157]
	v_fmac_f64_e32 v[152:153], v[6:7], v[20:21]
	v_fma_f64 v[20:21], v[4:5], v[20:21], -v[22:23]
	v_fmac_f64_e32 v[18:19], v[10:11], v[24:25]
	v_fma_f64 v[8:9], v[8:9], v[24:25], -v[26:27]
	v_add_f64_e32 v[16:17], v[12:13], v[16:17]
	v_add_f64_e32 v[22:23], v[14:15], v[150:151]
	ds_load_b128 v[4:7], v2 offset:1360
	ds_load_b128 v[12:15], v2 offset:1376
	s_wait_loadcnt_dscnt 0x401
	v_mul_f64_e32 v[136:137], v[4:5], v[30:31]
	v_mul_f64_e32 v[30:31], v[6:7], v[30:31]
	v_add_f64_e32 v[10:11], v[16:17], v[20:21]
	v_add_f64_e32 v[16:17], v[22:23], v[152:153]
	s_wait_loadcnt_dscnt 0x300
	v_mul_f64_e32 v[20:21], v[12:13], v[126:127]
	v_mul_f64_e32 v[22:23], v[14:15], v[126:127]
	v_fmac_f64_e32 v[136:137], v[6:7], v[28:29]
	v_fma_f64 v[24:25], v[4:5], v[28:29], -v[30:31]
	v_add_f64_e32 v[26:27], v[10:11], v[8:9]
	v_add_f64_e32 v[16:17], v[16:17], v[18:19]
	ds_load_b128 v[4:7], v2 offset:1392
	ds_load_b128 v[8:11], v2 offset:1408
	v_fmac_f64_e32 v[20:21], v[14:15], v[124:125]
	v_fma_f64 v[12:13], v[12:13], v[124:125], -v[22:23]
	s_wait_loadcnt_dscnt 0x201
	v_mul_f64_e32 v[18:19], v[4:5], v[130:131]
	v_mul_f64_e32 v[28:29], v[6:7], v[130:131]
	s_wait_loadcnt_dscnt 0x100
	v_mul_f64_e32 v[22:23], v[8:9], v[134:135]
	v_add_f64_e32 v[14:15], v[26:27], v[24:25]
	v_add_f64_e32 v[16:17], v[16:17], v[136:137]
	v_mul_f64_e32 v[24:25], v[10:11], v[134:135]
	v_fmac_f64_e32 v[18:19], v[6:7], v[128:129]
	v_fma_f64 v[26:27], v[4:5], v[128:129], -v[28:29]
	ds_load_b128 v[4:7], v2 offset:1424
	v_fmac_f64_e32 v[22:23], v[10:11], v[132:133]
	v_add_f64_e32 v[12:13], v[14:15], v[12:13]
	v_add_f64_e32 v[14:15], v[16:17], v[20:21]
	v_fma_f64 v[8:9], v[8:9], v[132:133], -v[24:25]
	s_wait_loadcnt_dscnt 0x0
	v_mul_f64_e32 v[16:17], v[4:5], v[142:143]
	v_mul_f64_e32 v[20:21], v[6:7], v[142:143]
	v_add_f64_e32 v[10:11], v[12:13], v[26:27]
	v_add_f64_e32 v[12:13], v[14:15], v[18:19]
	s_delay_alu instid0(VALU_DEP_4) | instskip(NEXT) | instid1(VALU_DEP_4)
	v_fmac_f64_e32 v[16:17], v[6:7], v[140:141]
	v_fma_f64 v[4:5], v[4:5], v[140:141], -v[20:21]
	s_delay_alu instid0(VALU_DEP_4) | instskip(NEXT) | instid1(VALU_DEP_4)
	v_add_f64_e32 v[6:7], v[10:11], v[8:9]
	v_add_f64_e32 v[8:9], v[12:13], v[22:23]
	s_delay_alu instid0(VALU_DEP_2) | instskip(NEXT) | instid1(VALU_DEP_2)
	v_add_f64_e32 v[4:5], v[6:7], v[4:5]
	v_add_f64_e32 v[6:7], v[8:9], v[16:17]
	s_delay_alu instid0(VALU_DEP_2) | instskip(NEXT) | instid1(VALU_DEP_2)
	v_add_f64_e64 v[4:5], v[144:145], -v[4:5]
	v_add_f64_e64 v[6:7], v[146:147], -v[6:7]
	scratch_store_b128 off, v[4:7], off offset:336
	s_wait_xcnt 0x0
	v_cmpx_lt_u32_e32 20, v1
	s_cbranch_execz .LBB108_243
; %bb.242:
	scratch_load_b128 v[6:9], off, s41
	v_dual_mov_b32 v3, v2 :: v_dual_mov_b32 v4, v2
	v_mov_b32_e32 v5, v2
	scratch_store_b128 off, v[2:5], off offset:320
	s_wait_loadcnt 0x0
	ds_store_b128 v122, v[6:9]
.LBB108_243:
	s_wait_xcnt 0x0
	s_or_b32 exec_lo, exec_lo, s2
	s_wait_storecnt_dscnt 0x0
	s_barrier_signal -1
	s_barrier_wait -1
	s_clause 0x9
	scratch_load_b128 v[4:7], off, off offset:336
	scratch_load_b128 v[8:11], off, off offset:352
	;; [unrolled: 1-line block ×10, first 2 shown]
	ds_load_b128 v[136:139], v2 offset:1056
	ds_load_b128 v[144:147], v2 offset:1072
	s_clause 0x2
	scratch_load_b128 v[140:143], off, off offset:496
	scratch_load_b128 v[148:151], off, off offset:320
	;; [unrolled: 1-line block ×3, first 2 shown]
	s_mov_b32 s2, exec_lo
	s_wait_loadcnt_dscnt 0xc01
	v_mul_f64_e32 v[156:157], v[138:139], v[6:7]
	v_mul_f64_e32 v[160:161], v[136:137], v[6:7]
	s_wait_loadcnt_dscnt 0xb00
	v_mul_f64_e32 v[162:163], v[144:145], v[10:11]
	v_mul_f64_e32 v[10:11], v[146:147], v[10:11]
	s_delay_alu instid0(VALU_DEP_4) | instskip(NEXT) | instid1(VALU_DEP_4)
	v_fma_f64 v[164:165], v[136:137], v[4:5], -v[156:157]
	v_fmac_f64_e32 v[160:161], v[138:139], v[4:5]
	ds_load_b128 v[4:7], v2 offset:1088
	ds_load_b128 v[136:139], v2 offset:1104
	scratch_load_b128 v[156:159], off, off offset:528
	v_fmac_f64_e32 v[162:163], v[146:147], v[8:9]
	v_fma_f64 v[144:145], v[144:145], v[8:9], -v[10:11]
	scratch_load_b128 v[8:11], off, off offset:544
	s_wait_loadcnt_dscnt 0xc01
	v_mul_f64_e32 v[166:167], v[4:5], v[14:15]
	v_mul_f64_e32 v[14:15], v[6:7], v[14:15]
	v_add_f64_e32 v[146:147], 0, v[164:165]
	v_add_f64_e32 v[160:161], 0, v[160:161]
	s_wait_loadcnt_dscnt 0xb00
	v_mul_f64_e32 v[164:165], v[136:137], v[18:19]
	v_mul_f64_e32 v[18:19], v[138:139], v[18:19]
	v_fmac_f64_e32 v[166:167], v[6:7], v[12:13]
	v_fma_f64 v[168:169], v[4:5], v[12:13], -v[14:15]
	ds_load_b128 v[4:7], v2 offset:1120
	ds_load_b128 v[12:15], v2 offset:1136
	v_add_f64_e32 v[170:171], v[146:147], v[144:145]
	v_add_f64_e32 v[160:161], v[160:161], v[162:163]
	scratch_load_b128 v[144:147], off, off offset:560
	v_fmac_f64_e32 v[164:165], v[138:139], v[16:17]
	v_fma_f64 v[136:137], v[136:137], v[16:17], -v[18:19]
	scratch_load_b128 v[16:19], off, off offset:576
	s_wait_loadcnt_dscnt 0xc01
	v_mul_f64_e32 v[162:163], v[4:5], v[22:23]
	v_mul_f64_e32 v[22:23], v[6:7], v[22:23]
	v_add_f64_e32 v[138:139], v[170:171], v[168:169]
	v_add_f64_e32 v[160:161], v[160:161], v[166:167]
	s_wait_loadcnt_dscnt 0xb00
	v_mul_f64_e32 v[166:167], v[12:13], v[26:27]
	v_mul_f64_e32 v[26:27], v[14:15], v[26:27]
	v_fmac_f64_e32 v[162:163], v[6:7], v[20:21]
	v_fma_f64 v[168:169], v[4:5], v[20:21], -v[22:23]
	ds_load_b128 v[4:7], v2 offset:1152
	ds_load_b128 v[20:23], v2 offset:1168
	v_add_f64_e32 v[170:171], v[138:139], v[136:137]
	v_add_f64_e32 v[160:161], v[160:161], v[164:165]
	scratch_load_b128 v[136:139], off, off offset:592
	s_wait_loadcnt_dscnt 0xb01
	v_mul_f64_e32 v[164:165], v[4:5], v[30:31]
	v_mul_f64_e32 v[30:31], v[6:7], v[30:31]
	v_fmac_f64_e32 v[166:167], v[14:15], v[24:25]
	v_fma_f64 v[24:25], v[12:13], v[24:25], -v[26:27]
	scratch_load_b128 v[12:15], off, off offset:608
	v_add_f64_e32 v[26:27], v[170:171], v[168:169]
	v_add_f64_e32 v[160:161], v[160:161], v[162:163]
	s_wait_loadcnt_dscnt 0xb00
	v_mul_f64_e32 v[162:163], v[20:21], v[126:127]
	v_mul_f64_e32 v[126:127], v[22:23], v[126:127]
	v_fmac_f64_e32 v[164:165], v[6:7], v[28:29]
	v_fma_f64 v[168:169], v[4:5], v[28:29], -v[30:31]
	v_add_f64_e32 v[170:171], v[26:27], v[24:25]
	v_add_f64_e32 v[160:161], v[160:161], v[166:167]
	ds_load_b128 v[4:7], v2 offset:1184
	ds_load_b128 v[24:27], v2 offset:1200
	scratch_load_b128 v[28:31], off, off offset:624
	v_fmac_f64_e32 v[162:163], v[22:23], v[124:125]
	v_fma_f64 v[124:125], v[20:21], v[124:125], -v[126:127]
	scratch_load_b128 v[20:23], off, off offset:640
	s_wait_loadcnt_dscnt 0xc01
	v_mul_f64_e32 v[166:167], v[4:5], v[130:131]
	v_mul_f64_e32 v[130:131], v[6:7], v[130:131]
	v_add_f64_e32 v[126:127], v[170:171], v[168:169]
	v_add_f64_e32 v[160:161], v[160:161], v[164:165]
	s_wait_loadcnt_dscnt 0xb00
	v_mul_f64_e32 v[164:165], v[24:25], v[134:135]
	v_mul_f64_e32 v[134:135], v[26:27], v[134:135]
	v_fmac_f64_e32 v[166:167], v[6:7], v[128:129]
	v_fma_f64 v[168:169], v[4:5], v[128:129], -v[130:131]
	v_add_f64_e32 v[170:171], v[126:127], v[124:125]
	v_add_f64_e32 v[160:161], v[160:161], v[162:163]
	ds_load_b128 v[4:7], v2 offset:1216
	ds_load_b128 v[124:127], v2 offset:1232
	scratch_load_b128 v[128:131], off, off offset:656
	v_fmac_f64_e32 v[164:165], v[26:27], v[132:133]
	v_fma_f64 v[132:133], v[24:25], v[132:133], -v[134:135]
	scratch_load_b128 v[24:27], off, off offset:672
	s_wait_loadcnt_dscnt 0xc01
	v_mul_f64_e32 v[162:163], v[4:5], v[142:143]
	v_mul_f64_e32 v[142:143], v[6:7], v[142:143]
	;; [unrolled: 18-line block ×3, first 2 shown]
	v_add_f64_e32 v[154:155], v[170:171], v[168:169]
	v_add_f64_e32 v[160:161], v[160:161], v[162:163]
	s_wait_loadcnt_dscnt 0xa00
	v_mul_f64_e32 v[162:163], v[132:133], v[10:11]
	v_mul_f64_e32 v[10:11], v[134:135], v[10:11]
	v_fmac_f64_e32 v[164:165], v[6:7], v[156:157]
	v_fma_f64 v[156:157], v[4:5], v[156:157], -v[158:159]
	v_add_f64_e32 v[158:159], v[154:155], v[152:153]
	v_add_f64_e32 v[160:161], v[160:161], v[166:167]
	ds_load_b128 v[4:7], v2 offset:1280
	ds_load_b128 v[152:155], v2 offset:1296
	v_fmac_f64_e32 v[162:163], v[134:135], v[8:9]
	v_fma_f64 v[8:9], v[132:133], v[8:9], -v[10:11]
	s_wait_loadcnt_dscnt 0x901
	v_mul_f64_e32 v[166:167], v[4:5], v[146:147]
	v_mul_f64_e32 v[146:147], v[6:7], v[146:147]
	s_wait_loadcnt_dscnt 0x800
	v_mul_f64_e32 v[134:135], v[152:153], v[18:19]
	v_mul_f64_e32 v[18:19], v[154:155], v[18:19]
	v_add_f64_e32 v[10:11], v[158:159], v[156:157]
	v_add_f64_e32 v[132:133], v[160:161], v[164:165]
	v_fmac_f64_e32 v[166:167], v[6:7], v[144:145]
	v_fma_f64 v[144:145], v[4:5], v[144:145], -v[146:147]
	v_fmac_f64_e32 v[134:135], v[154:155], v[16:17]
	v_fma_f64 v[16:17], v[152:153], v[16:17], -v[18:19]
	v_add_f64_e32 v[146:147], v[10:11], v[8:9]
	v_add_f64_e32 v[132:133], v[132:133], v[162:163]
	ds_load_b128 v[4:7], v2 offset:1312
	ds_load_b128 v[8:11], v2 offset:1328
	s_wait_loadcnt_dscnt 0x701
	v_mul_f64_e32 v[156:157], v[4:5], v[138:139]
	v_mul_f64_e32 v[138:139], v[6:7], v[138:139]
	v_add_f64_e32 v[18:19], v[146:147], v[144:145]
	v_add_f64_e32 v[132:133], v[132:133], v[166:167]
	s_wait_loadcnt_dscnt 0x600
	v_mul_f64_e32 v[144:145], v[8:9], v[14:15]
	v_mul_f64_e32 v[146:147], v[10:11], v[14:15]
	v_fmac_f64_e32 v[156:157], v[6:7], v[136:137]
	v_fma_f64 v[136:137], v[4:5], v[136:137], -v[138:139]
	v_add_f64_e32 v[18:19], v[18:19], v[16:17]
	v_add_f64_e32 v[132:133], v[132:133], v[134:135]
	ds_load_b128 v[4:7], v2 offset:1344
	ds_load_b128 v[14:17], v2 offset:1360
	v_fmac_f64_e32 v[144:145], v[10:11], v[12:13]
	v_fma_f64 v[8:9], v[8:9], v[12:13], -v[146:147]
	s_wait_loadcnt_dscnt 0x501
	v_mul_f64_e32 v[134:135], v[4:5], v[30:31]
	v_mul_f64_e32 v[30:31], v[6:7], v[30:31]
	v_add_f64_e32 v[10:11], v[18:19], v[136:137]
	v_add_f64_e32 v[12:13], v[132:133], v[156:157]
	s_wait_loadcnt_dscnt 0x400
	v_mul_f64_e32 v[18:19], v[14:15], v[22:23]
	v_mul_f64_e32 v[22:23], v[16:17], v[22:23]
	v_fmac_f64_e32 v[134:135], v[6:7], v[28:29]
	v_fma_f64 v[28:29], v[4:5], v[28:29], -v[30:31]
	v_add_f64_e32 v[30:31], v[10:11], v[8:9]
	v_add_f64_e32 v[12:13], v[12:13], v[144:145]
	ds_load_b128 v[4:7], v2 offset:1376
	ds_load_b128 v[8:11], v2 offset:1392
	v_fmac_f64_e32 v[18:19], v[16:17], v[20:21]
	v_fma_f64 v[14:15], v[14:15], v[20:21], -v[22:23]
	s_wait_loadcnt_dscnt 0x301
	v_mul_f64_e32 v[132:133], v[4:5], v[130:131]
	v_mul_f64_e32 v[130:131], v[6:7], v[130:131]
	s_wait_loadcnt_dscnt 0x200
	v_mul_f64_e32 v[20:21], v[8:9], v[26:27]
	v_mul_f64_e32 v[22:23], v[10:11], v[26:27]
	v_add_f64_e32 v[16:17], v[30:31], v[28:29]
	v_add_f64_e32 v[12:13], v[12:13], v[134:135]
	v_fmac_f64_e32 v[132:133], v[6:7], v[128:129]
	v_fma_f64 v[26:27], v[4:5], v[128:129], -v[130:131]
	v_fmac_f64_e32 v[20:21], v[10:11], v[24:25]
	v_fma_f64 v[8:9], v[8:9], v[24:25], -v[22:23]
	v_add_f64_e32 v[16:17], v[16:17], v[14:15]
	v_add_f64_e32 v[18:19], v[12:13], v[18:19]
	ds_load_b128 v[4:7], v2 offset:1408
	ds_load_b128 v[12:15], v2 offset:1424
	s_wait_loadcnt_dscnt 0x101
	v_mul_f64_e32 v[2:3], v[4:5], v[142:143]
	v_mul_f64_e32 v[28:29], v[6:7], v[142:143]
	s_wait_loadcnt_dscnt 0x0
	v_mul_f64_e32 v[22:23], v[14:15], v[126:127]
	v_add_f64_e32 v[10:11], v[16:17], v[26:27]
	v_add_f64_e32 v[16:17], v[18:19], v[132:133]
	v_mul_f64_e32 v[18:19], v[12:13], v[126:127]
	v_fmac_f64_e32 v[2:3], v[6:7], v[140:141]
	v_fma_f64 v[4:5], v[4:5], v[140:141], -v[28:29]
	v_add_f64_e32 v[6:7], v[10:11], v[8:9]
	v_add_f64_e32 v[8:9], v[16:17], v[20:21]
	v_fmac_f64_e32 v[18:19], v[14:15], v[124:125]
	v_fma_f64 v[10:11], v[12:13], v[124:125], -v[22:23]
	s_delay_alu instid0(VALU_DEP_4) | instskip(NEXT) | instid1(VALU_DEP_4)
	v_add_f64_e32 v[4:5], v[6:7], v[4:5]
	v_add_f64_e32 v[2:3], v[8:9], v[2:3]
	s_delay_alu instid0(VALU_DEP_2) | instskip(NEXT) | instid1(VALU_DEP_2)
	v_add_f64_e32 v[4:5], v[4:5], v[10:11]
	v_add_f64_e32 v[6:7], v[2:3], v[18:19]
	s_delay_alu instid0(VALU_DEP_2) | instskip(NEXT) | instid1(VALU_DEP_2)
	v_add_f64_e64 v[2:3], v[148:149], -v[4:5]
	v_add_f64_e64 v[4:5], v[150:151], -v[6:7]
	scratch_store_b128 off, v[2:5], off offset:320
	s_wait_xcnt 0x0
	v_cmpx_lt_u32_e32 19, v1
	s_cbranch_execz .LBB108_245
; %bb.244:
	scratch_load_b128 v[2:5], off, s42
	v_mov_b32_e32 v6, 0
	s_delay_alu instid0(VALU_DEP_1)
	v_dual_mov_b32 v7, v6 :: v_dual_mov_b32 v8, v6
	v_mov_b32_e32 v9, v6
	scratch_store_b128 off, v[6:9], off offset:304
	s_wait_loadcnt 0x0
	ds_store_b128 v122, v[2:5]
.LBB108_245:
	s_wait_xcnt 0x0
	s_or_b32 exec_lo, exec_lo, s2
	s_wait_storecnt_dscnt 0x0
	s_barrier_signal -1
	s_barrier_wait -1
	s_clause 0x9
	scratch_load_b128 v[4:7], off, off offset:320
	scratch_load_b128 v[8:11], off, off offset:336
	;; [unrolled: 1-line block ×10, first 2 shown]
	v_mov_b32_e32 v2, 0
	s_mov_b32 s2, exec_lo
	ds_load_b128 v[136:139], v2 offset:1040
	s_clause 0x2
	scratch_load_b128 v[140:143], off, off offset:480
	scratch_load_b128 v[144:147], off, off offset:304
	scratch_load_b128 v[152:155], off, off offset:496
	s_wait_loadcnt_dscnt 0xc00
	v_mul_f64_e32 v[156:157], v[138:139], v[6:7]
	v_mul_f64_e32 v[160:161], v[136:137], v[6:7]
	ds_load_b128 v[148:151], v2 offset:1056
	v_fma_f64 v[164:165], v[136:137], v[4:5], -v[156:157]
	v_fmac_f64_e32 v[160:161], v[138:139], v[4:5]
	ds_load_b128 v[4:7], v2 offset:1072
	s_wait_loadcnt_dscnt 0xb01
	v_mul_f64_e32 v[162:163], v[148:149], v[10:11]
	v_mul_f64_e32 v[10:11], v[150:151], v[10:11]
	scratch_load_b128 v[136:139], off, off offset:512
	ds_load_b128 v[156:159], v2 offset:1088
	s_wait_loadcnt_dscnt 0xb01
	v_mul_f64_e32 v[166:167], v[4:5], v[14:15]
	v_mul_f64_e32 v[14:15], v[6:7], v[14:15]
	v_add_f64_e32 v[160:161], 0, v[160:161]
	v_fmac_f64_e32 v[162:163], v[150:151], v[8:9]
	v_fma_f64 v[148:149], v[148:149], v[8:9], -v[10:11]
	v_add_f64_e32 v[150:151], 0, v[164:165]
	scratch_load_b128 v[8:11], off, off offset:528
	v_fmac_f64_e32 v[166:167], v[6:7], v[12:13]
	v_fma_f64 v[168:169], v[4:5], v[12:13], -v[14:15]
	ds_load_b128 v[4:7], v2 offset:1104
	s_wait_loadcnt_dscnt 0xb01
	v_mul_f64_e32 v[164:165], v[156:157], v[18:19]
	v_mul_f64_e32 v[18:19], v[158:159], v[18:19]
	scratch_load_b128 v[12:15], off, off offset:544
	v_add_f64_e32 v[160:161], v[160:161], v[162:163]
	v_add_f64_e32 v[170:171], v[150:151], v[148:149]
	ds_load_b128 v[148:151], v2 offset:1120
	s_wait_loadcnt_dscnt 0xb01
	v_mul_f64_e32 v[162:163], v[4:5], v[22:23]
	v_mul_f64_e32 v[22:23], v[6:7], v[22:23]
	v_fmac_f64_e32 v[164:165], v[158:159], v[16:17]
	v_fma_f64 v[156:157], v[156:157], v[16:17], -v[18:19]
	scratch_load_b128 v[16:19], off, off offset:560
	v_add_f64_e32 v[160:161], v[160:161], v[166:167]
	v_add_f64_e32 v[158:159], v[170:171], v[168:169]
	v_fmac_f64_e32 v[162:163], v[6:7], v[20:21]
	v_fma_f64 v[168:169], v[4:5], v[20:21], -v[22:23]
	ds_load_b128 v[4:7], v2 offset:1136
	s_wait_loadcnt_dscnt 0xb01
	v_mul_f64_e32 v[166:167], v[148:149], v[26:27]
	v_mul_f64_e32 v[26:27], v[150:151], v[26:27]
	scratch_load_b128 v[20:23], off, off offset:576
	v_add_f64_e32 v[160:161], v[160:161], v[164:165]
	s_wait_loadcnt_dscnt 0xb00
	v_mul_f64_e32 v[164:165], v[4:5], v[30:31]
	v_add_f64_e32 v[170:171], v[158:159], v[156:157]
	v_mul_f64_e32 v[30:31], v[6:7], v[30:31]
	ds_load_b128 v[156:159], v2 offset:1152
	v_fmac_f64_e32 v[166:167], v[150:151], v[24:25]
	v_fma_f64 v[148:149], v[148:149], v[24:25], -v[26:27]
	scratch_load_b128 v[24:27], off, off offset:592
	v_add_f64_e32 v[160:161], v[160:161], v[162:163]
	v_fmac_f64_e32 v[164:165], v[6:7], v[28:29]
	v_add_f64_e32 v[150:151], v[170:171], v[168:169]
	v_fma_f64 v[168:169], v[4:5], v[28:29], -v[30:31]
	ds_load_b128 v[4:7], v2 offset:1168
	s_wait_loadcnt_dscnt 0xb01
	v_mul_f64_e32 v[162:163], v[156:157], v[126:127]
	v_mul_f64_e32 v[126:127], v[158:159], v[126:127]
	scratch_load_b128 v[28:31], off, off offset:608
	v_add_f64_e32 v[160:161], v[160:161], v[166:167]
	s_wait_loadcnt_dscnt 0xb00
	v_mul_f64_e32 v[166:167], v[4:5], v[130:131]
	v_add_f64_e32 v[170:171], v[150:151], v[148:149]
	v_mul_f64_e32 v[130:131], v[6:7], v[130:131]
	ds_load_b128 v[148:151], v2 offset:1184
	v_fmac_f64_e32 v[162:163], v[158:159], v[124:125]
	v_fma_f64 v[156:157], v[156:157], v[124:125], -v[126:127]
	scratch_load_b128 v[124:127], off, off offset:624
	v_add_f64_e32 v[160:161], v[160:161], v[164:165]
	v_fmac_f64_e32 v[166:167], v[6:7], v[128:129]
	v_add_f64_e32 v[158:159], v[170:171], v[168:169]
	;; [unrolled: 18-line block ×3, first 2 shown]
	v_fma_f64 v[168:169], v[4:5], v[140:141], -v[142:143]
	ds_load_b128 v[4:7], v2 offset:1232
	s_wait_loadcnt_dscnt 0xa01
	v_mul_f64_e32 v[166:167], v[156:157], v[154:155]
	v_mul_f64_e32 v[154:155], v[158:159], v[154:155]
	scratch_load_b128 v[140:143], off, off offset:672
	v_add_f64_e32 v[160:161], v[160:161], v[164:165]
	v_add_f64_e32 v[170:171], v[150:151], v[148:149]
	s_wait_loadcnt_dscnt 0xa00
	v_mul_f64_e32 v[164:165], v[4:5], v[138:139]
	v_mul_f64_e32 v[138:139], v[6:7], v[138:139]
	v_fmac_f64_e32 v[166:167], v[158:159], v[152:153]
	v_fma_f64 v[156:157], v[156:157], v[152:153], -v[154:155]
	ds_load_b128 v[148:151], v2 offset:1248
	scratch_load_b128 v[152:155], off, off offset:688
	v_add_f64_e32 v[160:161], v[160:161], v[162:163]
	v_add_f64_e32 v[158:159], v[170:171], v[168:169]
	v_fmac_f64_e32 v[164:165], v[6:7], v[136:137]
	v_fma_f64 v[168:169], v[4:5], v[136:137], -v[138:139]
	ds_load_b128 v[4:7], v2 offset:1264
	s_wait_loadcnt_dscnt 0xa01
	v_mul_f64_e32 v[162:163], v[148:149], v[10:11]
	v_mul_f64_e32 v[10:11], v[150:151], v[10:11]
	scratch_load_b128 v[136:139], off, off offset:704
	v_add_f64_e32 v[160:161], v[160:161], v[166:167]
	s_wait_loadcnt_dscnt 0xa00
	v_mul_f64_e32 v[166:167], v[4:5], v[14:15]
	v_add_f64_e32 v[170:171], v[158:159], v[156:157]
	v_mul_f64_e32 v[14:15], v[6:7], v[14:15]
	ds_load_b128 v[156:159], v2 offset:1280
	v_fmac_f64_e32 v[162:163], v[150:151], v[8:9]
	v_fma_f64 v[8:9], v[148:149], v[8:9], -v[10:11]
	s_wait_loadcnt_dscnt 0x900
	v_mul_f64_e32 v[150:151], v[156:157], v[18:19]
	v_mul_f64_e32 v[18:19], v[158:159], v[18:19]
	v_add_f64_e32 v[148:149], v[160:161], v[164:165]
	v_fmac_f64_e32 v[166:167], v[6:7], v[12:13]
	v_add_f64_e32 v[10:11], v[170:171], v[168:169]
	v_fma_f64 v[12:13], v[4:5], v[12:13], -v[14:15]
	v_fmac_f64_e32 v[150:151], v[158:159], v[16:17]
	v_fma_f64 v[16:17], v[156:157], v[16:17], -v[18:19]
	v_add_f64_e32 v[148:149], v[148:149], v[162:163]
	v_add_f64_e32 v[14:15], v[10:11], v[8:9]
	ds_load_b128 v[4:7], v2 offset:1296
	ds_load_b128 v[8:11], v2 offset:1312
	s_wait_loadcnt_dscnt 0x801
	v_mul_f64_e32 v[160:161], v[4:5], v[22:23]
	v_mul_f64_e32 v[22:23], v[6:7], v[22:23]
	s_wait_loadcnt_dscnt 0x700
	v_mul_f64_e32 v[18:19], v[8:9], v[26:27]
	v_mul_f64_e32 v[26:27], v[10:11], v[26:27]
	v_add_f64_e32 v[12:13], v[14:15], v[12:13]
	v_add_f64_e32 v[14:15], v[148:149], v[166:167]
	v_fmac_f64_e32 v[160:161], v[6:7], v[20:21]
	v_fma_f64 v[20:21], v[4:5], v[20:21], -v[22:23]
	v_fmac_f64_e32 v[18:19], v[10:11], v[24:25]
	v_fma_f64 v[8:9], v[8:9], v[24:25], -v[26:27]
	v_add_f64_e32 v[16:17], v[12:13], v[16:17]
	v_add_f64_e32 v[22:23], v[14:15], v[150:151]
	ds_load_b128 v[4:7], v2 offset:1328
	ds_load_b128 v[12:15], v2 offset:1344
	s_wait_loadcnt_dscnt 0x601
	v_mul_f64_e32 v[148:149], v[4:5], v[30:31]
	v_mul_f64_e32 v[30:31], v[6:7], v[30:31]
	v_add_f64_e32 v[10:11], v[16:17], v[20:21]
	v_add_f64_e32 v[16:17], v[22:23], v[160:161]
	s_wait_loadcnt_dscnt 0x500
	v_mul_f64_e32 v[20:21], v[12:13], v[126:127]
	v_mul_f64_e32 v[22:23], v[14:15], v[126:127]
	v_fmac_f64_e32 v[148:149], v[6:7], v[28:29]
	v_fma_f64 v[24:25], v[4:5], v[28:29], -v[30:31]
	v_add_f64_e32 v[26:27], v[10:11], v[8:9]
	v_add_f64_e32 v[16:17], v[16:17], v[18:19]
	ds_load_b128 v[4:7], v2 offset:1360
	ds_load_b128 v[8:11], v2 offset:1376
	v_fmac_f64_e32 v[20:21], v[14:15], v[124:125]
	v_fma_f64 v[12:13], v[12:13], v[124:125], -v[22:23]
	s_wait_loadcnt_dscnt 0x401
	v_mul_f64_e32 v[18:19], v[4:5], v[130:131]
	v_mul_f64_e32 v[28:29], v[6:7], v[130:131]
	s_wait_loadcnt_dscnt 0x300
	v_mul_f64_e32 v[22:23], v[8:9], v[134:135]
	v_add_f64_e32 v[14:15], v[26:27], v[24:25]
	v_add_f64_e32 v[16:17], v[16:17], v[148:149]
	v_mul_f64_e32 v[24:25], v[10:11], v[134:135]
	v_fmac_f64_e32 v[18:19], v[6:7], v[128:129]
	v_fma_f64 v[26:27], v[4:5], v[128:129], -v[28:29]
	v_fmac_f64_e32 v[22:23], v[10:11], v[132:133]
	v_add_f64_e32 v[28:29], v[14:15], v[12:13]
	v_add_f64_e32 v[16:17], v[16:17], v[20:21]
	ds_load_b128 v[4:7], v2 offset:1392
	ds_load_b128 v[12:15], v2 offset:1408
	v_fma_f64 v[8:9], v[8:9], v[132:133], -v[24:25]
	s_wait_loadcnt_dscnt 0x201
	v_mul_f64_e32 v[20:21], v[4:5], v[142:143]
	v_mul_f64_e32 v[30:31], v[6:7], v[142:143]
	s_wait_loadcnt_dscnt 0x100
	v_mul_f64_e32 v[24:25], v[14:15], v[154:155]
	v_add_f64_e32 v[10:11], v[28:29], v[26:27]
	v_add_f64_e32 v[16:17], v[16:17], v[18:19]
	v_mul_f64_e32 v[18:19], v[12:13], v[154:155]
	v_fmac_f64_e32 v[20:21], v[6:7], v[140:141]
	v_fma_f64 v[26:27], v[4:5], v[140:141], -v[30:31]
	ds_load_b128 v[4:7], v2 offset:1424
	v_fma_f64 v[12:13], v[12:13], v[152:153], -v[24:25]
	v_add_f64_e32 v[8:9], v[10:11], v[8:9]
	v_add_f64_e32 v[10:11], v[16:17], v[22:23]
	v_fmac_f64_e32 v[18:19], v[14:15], v[152:153]
	s_wait_loadcnt_dscnt 0x0
	v_mul_f64_e32 v[16:17], v[4:5], v[138:139]
	v_mul_f64_e32 v[22:23], v[6:7], v[138:139]
	v_add_f64_e32 v[8:9], v[8:9], v[26:27]
	v_add_f64_e32 v[10:11], v[10:11], v[20:21]
	s_delay_alu instid0(VALU_DEP_4) | instskip(NEXT) | instid1(VALU_DEP_4)
	v_fmac_f64_e32 v[16:17], v[6:7], v[136:137]
	v_fma_f64 v[4:5], v[4:5], v[136:137], -v[22:23]
	s_delay_alu instid0(VALU_DEP_4) | instskip(NEXT) | instid1(VALU_DEP_4)
	v_add_f64_e32 v[6:7], v[8:9], v[12:13]
	v_add_f64_e32 v[8:9], v[10:11], v[18:19]
	s_delay_alu instid0(VALU_DEP_2) | instskip(NEXT) | instid1(VALU_DEP_2)
	v_add_f64_e32 v[4:5], v[6:7], v[4:5]
	v_add_f64_e32 v[6:7], v[8:9], v[16:17]
	s_delay_alu instid0(VALU_DEP_2) | instskip(NEXT) | instid1(VALU_DEP_2)
	v_add_f64_e64 v[4:5], v[144:145], -v[4:5]
	v_add_f64_e64 v[6:7], v[146:147], -v[6:7]
	scratch_store_b128 off, v[4:7], off offset:304
	s_wait_xcnt 0x0
	v_cmpx_lt_u32_e32 18, v1
	s_cbranch_execz .LBB108_247
; %bb.246:
	scratch_load_b128 v[6:9], off, s43
	v_dual_mov_b32 v3, v2 :: v_dual_mov_b32 v4, v2
	v_mov_b32_e32 v5, v2
	scratch_store_b128 off, v[2:5], off offset:288
	s_wait_loadcnt 0x0
	ds_store_b128 v122, v[6:9]
.LBB108_247:
	s_wait_xcnt 0x0
	s_or_b32 exec_lo, exec_lo, s2
	s_wait_storecnt_dscnt 0x0
	s_barrier_signal -1
	s_barrier_wait -1
	s_clause 0x9
	scratch_load_b128 v[4:7], off, off offset:304
	scratch_load_b128 v[8:11], off, off offset:320
	;; [unrolled: 1-line block ×10, first 2 shown]
	ds_load_b128 v[136:139], v2 offset:1024
	ds_load_b128 v[144:147], v2 offset:1040
	s_clause 0x2
	scratch_load_b128 v[140:143], off, off offset:464
	scratch_load_b128 v[148:151], off, off offset:288
	;; [unrolled: 1-line block ×3, first 2 shown]
	s_mov_b32 s2, exec_lo
	s_wait_loadcnt_dscnt 0xc01
	v_mul_f64_e32 v[156:157], v[138:139], v[6:7]
	v_mul_f64_e32 v[160:161], v[136:137], v[6:7]
	s_wait_loadcnt_dscnt 0xb00
	v_mul_f64_e32 v[162:163], v[144:145], v[10:11]
	v_mul_f64_e32 v[10:11], v[146:147], v[10:11]
	s_delay_alu instid0(VALU_DEP_4) | instskip(NEXT) | instid1(VALU_DEP_4)
	v_fma_f64 v[164:165], v[136:137], v[4:5], -v[156:157]
	v_fmac_f64_e32 v[160:161], v[138:139], v[4:5]
	ds_load_b128 v[4:7], v2 offset:1056
	ds_load_b128 v[136:139], v2 offset:1072
	scratch_load_b128 v[156:159], off, off offset:496
	v_fmac_f64_e32 v[162:163], v[146:147], v[8:9]
	v_fma_f64 v[144:145], v[144:145], v[8:9], -v[10:11]
	scratch_load_b128 v[8:11], off, off offset:512
	s_wait_loadcnt_dscnt 0xc01
	v_mul_f64_e32 v[166:167], v[4:5], v[14:15]
	v_mul_f64_e32 v[14:15], v[6:7], v[14:15]
	v_add_f64_e32 v[146:147], 0, v[164:165]
	v_add_f64_e32 v[160:161], 0, v[160:161]
	s_wait_loadcnt_dscnt 0xb00
	v_mul_f64_e32 v[164:165], v[136:137], v[18:19]
	v_mul_f64_e32 v[18:19], v[138:139], v[18:19]
	v_fmac_f64_e32 v[166:167], v[6:7], v[12:13]
	v_fma_f64 v[168:169], v[4:5], v[12:13], -v[14:15]
	ds_load_b128 v[4:7], v2 offset:1088
	ds_load_b128 v[12:15], v2 offset:1104
	v_add_f64_e32 v[170:171], v[146:147], v[144:145]
	v_add_f64_e32 v[160:161], v[160:161], v[162:163]
	scratch_load_b128 v[144:147], off, off offset:528
	v_fmac_f64_e32 v[164:165], v[138:139], v[16:17]
	v_fma_f64 v[136:137], v[136:137], v[16:17], -v[18:19]
	scratch_load_b128 v[16:19], off, off offset:544
	s_wait_loadcnt_dscnt 0xc01
	v_mul_f64_e32 v[162:163], v[4:5], v[22:23]
	v_mul_f64_e32 v[22:23], v[6:7], v[22:23]
	v_add_f64_e32 v[138:139], v[170:171], v[168:169]
	v_add_f64_e32 v[160:161], v[160:161], v[166:167]
	s_wait_loadcnt_dscnt 0xb00
	v_mul_f64_e32 v[166:167], v[12:13], v[26:27]
	v_mul_f64_e32 v[26:27], v[14:15], v[26:27]
	v_fmac_f64_e32 v[162:163], v[6:7], v[20:21]
	v_fma_f64 v[168:169], v[4:5], v[20:21], -v[22:23]
	ds_load_b128 v[4:7], v2 offset:1120
	ds_load_b128 v[20:23], v2 offset:1136
	v_add_f64_e32 v[170:171], v[138:139], v[136:137]
	v_add_f64_e32 v[160:161], v[160:161], v[164:165]
	scratch_load_b128 v[136:139], off, off offset:560
	s_wait_loadcnt_dscnt 0xb01
	v_mul_f64_e32 v[164:165], v[4:5], v[30:31]
	v_mul_f64_e32 v[30:31], v[6:7], v[30:31]
	v_fmac_f64_e32 v[166:167], v[14:15], v[24:25]
	v_fma_f64 v[24:25], v[12:13], v[24:25], -v[26:27]
	scratch_load_b128 v[12:15], off, off offset:576
	v_add_f64_e32 v[26:27], v[170:171], v[168:169]
	v_add_f64_e32 v[160:161], v[160:161], v[162:163]
	s_wait_loadcnt_dscnt 0xb00
	v_mul_f64_e32 v[162:163], v[20:21], v[126:127]
	v_mul_f64_e32 v[126:127], v[22:23], v[126:127]
	v_fmac_f64_e32 v[164:165], v[6:7], v[28:29]
	v_fma_f64 v[168:169], v[4:5], v[28:29], -v[30:31]
	v_add_f64_e32 v[170:171], v[26:27], v[24:25]
	v_add_f64_e32 v[160:161], v[160:161], v[166:167]
	ds_load_b128 v[4:7], v2 offset:1152
	ds_load_b128 v[24:27], v2 offset:1168
	scratch_load_b128 v[28:31], off, off offset:592
	v_fmac_f64_e32 v[162:163], v[22:23], v[124:125]
	v_fma_f64 v[124:125], v[20:21], v[124:125], -v[126:127]
	scratch_load_b128 v[20:23], off, off offset:608
	s_wait_loadcnt_dscnt 0xc01
	v_mul_f64_e32 v[166:167], v[4:5], v[130:131]
	v_mul_f64_e32 v[130:131], v[6:7], v[130:131]
	v_add_f64_e32 v[126:127], v[170:171], v[168:169]
	v_add_f64_e32 v[160:161], v[160:161], v[164:165]
	s_wait_loadcnt_dscnt 0xb00
	v_mul_f64_e32 v[164:165], v[24:25], v[134:135]
	v_mul_f64_e32 v[134:135], v[26:27], v[134:135]
	v_fmac_f64_e32 v[166:167], v[6:7], v[128:129]
	v_fma_f64 v[168:169], v[4:5], v[128:129], -v[130:131]
	v_add_f64_e32 v[170:171], v[126:127], v[124:125]
	v_add_f64_e32 v[160:161], v[160:161], v[162:163]
	ds_load_b128 v[4:7], v2 offset:1184
	ds_load_b128 v[124:127], v2 offset:1200
	scratch_load_b128 v[128:131], off, off offset:624
	v_fmac_f64_e32 v[164:165], v[26:27], v[132:133]
	v_fma_f64 v[132:133], v[24:25], v[132:133], -v[134:135]
	scratch_load_b128 v[24:27], off, off offset:640
	s_wait_loadcnt_dscnt 0xc01
	v_mul_f64_e32 v[162:163], v[4:5], v[142:143]
	v_mul_f64_e32 v[142:143], v[6:7], v[142:143]
	;; [unrolled: 18-line block ×4, first 2 shown]
	v_add_f64_e32 v[134:135], v[170:171], v[168:169]
	v_add_f64_e32 v[160:161], v[160:161], v[164:165]
	s_wait_loadcnt_dscnt 0xa00
	v_mul_f64_e32 v[164:165], v[152:153], v[18:19]
	v_mul_f64_e32 v[18:19], v[154:155], v[18:19]
	v_fmac_f64_e32 v[166:167], v[6:7], v[144:145]
	v_fma_f64 v[144:145], v[4:5], v[144:145], -v[146:147]
	v_add_f64_e32 v[146:147], v[134:135], v[132:133]
	v_add_f64_e32 v[160:161], v[160:161], v[162:163]
	ds_load_b128 v[4:7], v2 offset:1280
	ds_load_b128 v[132:135], v2 offset:1296
	v_fmac_f64_e32 v[164:165], v[154:155], v[16:17]
	v_fma_f64 v[16:17], v[152:153], v[16:17], -v[18:19]
	s_wait_loadcnt_dscnt 0x901
	v_mul_f64_e32 v[162:163], v[4:5], v[138:139]
	v_mul_f64_e32 v[138:139], v[6:7], v[138:139]
	s_wait_loadcnt_dscnt 0x800
	v_mul_f64_e32 v[152:153], v[134:135], v[14:15]
	v_add_f64_e32 v[18:19], v[146:147], v[144:145]
	v_add_f64_e32 v[144:145], v[160:161], v[166:167]
	v_mul_f64_e32 v[146:147], v[132:133], v[14:15]
	v_fmac_f64_e32 v[162:163], v[6:7], v[136:137]
	v_fma_f64 v[136:137], v[4:5], v[136:137], -v[138:139]
	v_add_f64_e32 v[18:19], v[18:19], v[16:17]
	v_add_f64_e32 v[138:139], v[144:145], v[164:165]
	ds_load_b128 v[4:7], v2 offset:1312
	ds_load_b128 v[14:17], v2 offset:1328
	v_fmac_f64_e32 v[146:147], v[134:135], v[12:13]
	v_fma_f64 v[12:13], v[132:133], v[12:13], -v[152:153]
	s_wait_loadcnt_dscnt 0x701
	v_mul_f64_e32 v[144:145], v[4:5], v[30:31]
	v_mul_f64_e32 v[30:31], v[6:7], v[30:31]
	s_wait_loadcnt_dscnt 0x600
	v_mul_f64_e32 v[134:135], v[14:15], v[22:23]
	v_mul_f64_e32 v[22:23], v[16:17], v[22:23]
	v_add_f64_e32 v[18:19], v[18:19], v[136:137]
	v_add_f64_e32 v[132:133], v[138:139], v[162:163]
	v_fmac_f64_e32 v[144:145], v[6:7], v[28:29]
	v_fma_f64 v[136:137], v[4:5], v[28:29], -v[30:31]
	ds_load_b128 v[4:7], v2 offset:1344
	ds_load_b128 v[28:31], v2 offset:1360
	v_fmac_f64_e32 v[134:135], v[16:17], v[20:21]
	v_fma_f64 v[14:15], v[14:15], v[20:21], -v[22:23]
	v_add_f64_e32 v[12:13], v[18:19], v[12:13]
	v_add_f64_e32 v[18:19], v[132:133], v[146:147]
	s_wait_loadcnt_dscnt 0x501
	v_mul_f64_e32 v[132:133], v[4:5], v[130:131]
	v_mul_f64_e32 v[130:131], v[6:7], v[130:131]
	s_wait_loadcnt_dscnt 0x400
	v_mul_f64_e32 v[20:21], v[30:31], v[26:27]
	v_add_f64_e32 v[12:13], v[12:13], v[136:137]
	v_add_f64_e32 v[16:17], v[18:19], v[144:145]
	v_mul_f64_e32 v[18:19], v[28:29], v[26:27]
	v_fmac_f64_e32 v[132:133], v[6:7], v[128:129]
	v_fma_f64 v[22:23], v[4:5], v[128:129], -v[130:131]
	v_fma_f64 v[20:21], v[28:29], v[24:25], -v[20:21]
	v_add_f64_e32 v[26:27], v[12:13], v[14:15]
	v_add_f64_e32 v[16:17], v[16:17], v[134:135]
	ds_load_b128 v[4:7], v2 offset:1376
	ds_load_b128 v[12:15], v2 offset:1392
	v_fmac_f64_e32 v[18:19], v[30:31], v[24:25]
	s_wait_loadcnt_dscnt 0x301
	v_mul_f64_e32 v[128:129], v[4:5], v[142:143]
	v_mul_f64_e32 v[130:131], v[6:7], v[142:143]
	s_wait_loadcnt_dscnt 0x200
	v_mul_f64_e32 v[24:25], v[12:13], v[126:127]
	v_add_f64_e32 v[22:23], v[26:27], v[22:23]
	v_add_f64_e32 v[16:17], v[16:17], v[132:133]
	v_mul_f64_e32 v[26:27], v[14:15], v[126:127]
	v_fmac_f64_e32 v[128:129], v[6:7], v[140:141]
	v_fma_f64 v[28:29], v[4:5], v[140:141], -v[130:131]
	v_fmac_f64_e32 v[24:25], v[14:15], v[124:125]
	v_add_f64_e32 v[20:21], v[22:23], v[20:21]
	v_add_f64_e32 v[22:23], v[16:17], v[18:19]
	ds_load_b128 v[4:7], v2 offset:1408
	ds_load_b128 v[16:19], v2 offset:1424
	v_fma_f64 v[12:13], v[12:13], v[124:125], -v[26:27]
	s_wait_loadcnt_dscnt 0x101
	v_mul_f64_e32 v[2:3], v[4:5], v[158:159]
	v_mul_f64_e32 v[30:31], v[6:7], v[158:159]
	v_add_f64_e32 v[14:15], v[20:21], v[28:29]
	v_add_f64_e32 v[20:21], v[22:23], v[128:129]
	s_wait_loadcnt_dscnt 0x0
	v_mul_f64_e32 v[22:23], v[16:17], v[10:11]
	v_mul_f64_e32 v[10:11], v[18:19], v[10:11]
	v_fmac_f64_e32 v[2:3], v[6:7], v[156:157]
	v_fma_f64 v[4:5], v[4:5], v[156:157], -v[30:31]
	v_add_f64_e32 v[6:7], v[14:15], v[12:13]
	v_add_f64_e32 v[12:13], v[20:21], v[24:25]
	v_fmac_f64_e32 v[22:23], v[18:19], v[8:9]
	v_fma_f64 v[8:9], v[16:17], v[8:9], -v[10:11]
	s_delay_alu instid0(VALU_DEP_4) | instskip(NEXT) | instid1(VALU_DEP_4)
	v_add_f64_e32 v[4:5], v[6:7], v[4:5]
	v_add_f64_e32 v[2:3], v[12:13], v[2:3]
	s_delay_alu instid0(VALU_DEP_2) | instskip(NEXT) | instid1(VALU_DEP_2)
	v_add_f64_e32 v[4:5], v[4:5], v[8:9]
	v_add_f64_e32 v[6:7], v[2:3], v[22:23]
	s_delay_alu instid0(VALU_DEP_2) | instskip(NEXT) | instid1(VALU_DEP_2)
	v_add_f64_e64 v[2:3], v[148:149], -v[4:5]
	v_add_f64_e64 v[4:5], v[150:151], -v[6:7]
	scratch_store_b128 off, v[2:5], off offset:288
	s_wait_xcnt 0x0
	v_cmpx_lt_u32_e32 17, v1
	s_cbranch_execz .LBB108_249
; %bb.248:
	scratch_load_b128 v[2:5], off, s44
	v_mov_b32_e32 v6, 0
	s_delay_alu instid0(VALU_DEP_1)
	v_dual_mov_b32 v7, v6 :: v_dual_mov_b32 v8, v6
	v_mov_b32_e32 v9, v6
	scratch_store_b128 off, v[6:9], off offset:272
	s_wait_loadcnt 0x0
	ds_store_b128 v122, v[2:5]
.LBB108_249:
	s_wait_xcnt 0x0
	s_or_b32 exec_lo, exec_lo, s2
	s_wait_storecnt_dscnt 0x0
	s_barrier_signal -1
	s_barrier_wait -1
	s_clause 0x9
	scratch_load_b128 v[4:7], off, off offset:288
	scratch_load_b128 v[8:11], off, off offset:304
	;; [unrolled: 1-line block ×10, first 2 shown]
	v_mov_b32_e32 v2, 0
	s_mov_b32 s2, exec_lo
	ds_load_b128 v[136:139], v2 offset:1008
	s_clause 0x2
	scratch_load_b128 v[140:143], off, off offset:448
	scratch_load_b128 v[144:147], off, off offset:272
	;; [unrolled: 1-line block ×3, first 2 shown]
	s_wait_loadcnt_dscnt 0xc00
	v_mul_f64_e32 v[156:157], v[138:139], v[6:7]
	v_mul_f64_e32 v[160:161], v[136:137], v[6:7]
	ds_load_b128 v[148:151], v2 offset:1024
	v_fma_f64 v[164:165], v[136:137], v[4:5], -v[156:157]
	v_fmac_f64_e32 v[160:161], v[138:139], v[4:5]
	ds_load_b128 v[4:7], v2 offset:1040
	s_wait_loadcnt_dscnt 0xb01
	v_mul_f64_e32 v[162:163], v[148:149], v[10:11]
	v_mul_f64_e32 v[10:11], v[150:151], v[10:11]
	scratch_load_b128 v[136:139], off, off offset:480
	ds_load_b128 v[156:159], v2 offset:1056
	s_wait_loadcnt_dscnt 0xb01
	v_mul_f64_e32 v[166:167], v[4:5], v[14:15]
	v_mul_f64_e32 v[14:15], v[6:7], v[14:15]
	v_add_f64_e32 v[160:161], 0, v[160:161]
	v_fmac_f64_e32 v[162:163], v[150:151], v[8:9]
	v_fma_f64 v[148:149], v[148:149], v[8:9], -v[10:11]
	v_add_f64_e32 v[150:151], 0, v[164:165]
	scratch_load_b128 v[8:11], off, off offset:496
	v_fmac_f64_e32 v[166:167], v[6:7], v[12:13]
	v_fma_f64 v[168:169], v[4:5], v[12:13], -v[14:15]
	ds_load_b128 v[4:7], v2 offset:1072
	s_wait_loadcnt_dscnt 0xb01
	v_mul_f64_e32 v[164:165], v[156:157], v[18:19]
	v_mul_f64_e32 v[18:19], v[158:159], v[18:19]
	scratch_load_b128 v[12:15], off, off offset:512
	v_add_f64_e32 v[160:161], v[160:161], v[162:163]
	v_add_f64_e32 v[170:171], v[150:151], v[148:149]
	ds_load_b128 v[148:151], v2 offset:1088
	s_wait_loadcnt_dscnt 0xb01
	v_mul_f64_e32 v[162:163], v[4:5], v[22:23]
	v_mul_f64_e32 v[22:23], v[6:7], v[22:23]
	v_fmac_f64_e32 v[164:165], v[158:159], v[16:17]
	v_fma_f64 v[156:157], v[156:157], v[16:17], -v[18:19]
	scratch_load_b128 v[16:19], off, off offset:528
	v_add_f64_e32 v[160:161], v[160:161], v[166:167]
	v_add_f64_e32 v[158:159], v[170:171], v[168:169]
	v_fmac_f64_e32 v[162:163], v[6:7], v[20:21]
	v_fma_f64 v[168:169], v[4:5], v[20:21], -v[22:23]
	ds_load_b128 v[4:7], v2 offset:1104
	s_wait_loadcnt_dscnt 0xb01
	v_mul_f64_e32 v[166:167], v[148:149], v[26:27]
	v_mul_f64_e32 v[26:27], v[150:151], v[26:27]
	scratch_load_b128 v[20:23], off, off offset:544
	v_add_f64_e32 v[160:161], v[160:161], v[164:165]
	s_wait_loadcnt_dscnt 0xb00
	v_mul_f64_e32 v[164:165], v[4:5], v[30:31]
	v_add_f64_e32 v[170:171], v[158:159], v[156:157]
	v_mul_f64_e32 v[30:31], v[6:7], v[30:31]
	ds_load_b128 v[156:159], v2 offset:1120
	v_fmac_f64_e32 v[166:167], v[150:151], v[24:25]
	v_fma_f64 v[148:149], v[148:149], v[24:25], -v[26:27]
	scratch_load_b128 v[24:27], off, off offset:560
	v_add_f64_e32 v[160:161], v[160:161], v[162:163]
	v_fmac_f64_e32 v[164:165], v[6:7], v[28:29]
	v_add_f64_e32 v[150:151], v[170:171], v[168:169]
	v_fma_f64 v[168:169], v[4:5], v[28:29], -v[30:31]
	ds_load_b128 v[4:7], v2 offset:1136
	s_wait_loadcnt_dscnt 0xb01
	v_mul_f64_e32 v[162:163], v[156:157], v[126:127]
	v_mul_f64_e32 v[126:127], v[158:159], v[126:127]
	scratch_load_b128 v[28:31], off, off offset:576
	v_add_f64_e32 v[160:161], v[160:161], v[166:167]
	s_wait_loadcnt_dscnt 0xb00
	v_mul_f64_e32 v[166:167], v[4:5], v[130:131]
	v_add_f64_e32 v[170:171], v[150:151], v[148:149]
	v_mul_f64_e32 v[130:131], v[6:7], v[130:131]
	ds_load_b128 v[148:151], v2 offset:1152
	v_fmac_f64_e32 v[162:163], v[158:159], v[124:125]
	v_fma_f64 v[156:157], v[156:157], v[124:125], -v[126:127]
	scratch_load_b128 v[124:127], off, off offset:592
	v_add_f64_e32 v[160:161], v[160:161], v[164:165]
	v_fmac_f64_e32 v[166:167], v[6:7], v[128:129]
	v_add_f64_e32 v[158:159], v[170:171], v[168:169]
	;; [unrolled: 18-line block ×3, first 2 shown]
	v_fma_f64 v[168:169], v[4:5], v[140:141], -v[142:143]
	ds_load_b128 v[4:7], v2 offset:1200
	s_wait_loadcnt_dscnt 0xa01
	v_mul_f64_e32 v[166:167], v[156:157], v[154:155]
	v_mul_f64_e32 v[154:155], v[158:159], v[154:155]
	scratch_load_b128 v[140:143], off, off offset:640
	v_add_f64_e32 v[160:161], v[160:161], v[164:165]
	v_add_f64_e32 v[170:171], v[150:151], v[148:149]
	s_wait_loadcnt_dscnt 0xa00
	v_mul_f64_e32 v[164:165], v[4:5], v[138:139]
	v_mul_f64_e32 v[138:139], v[6:7], v[138:139]
	v_fmac_f64_e32 v[166:167], v[158:159], v[152:153]
	v_fma_f64 v[156:157], v[156:157], v[152:153], -v[154:155]
	ds_load_b128 v[148:151], v2 offset:1216
	scratch_load_b128 v[152:155], off, off offset:656
	v_add_f64_e32 v[160:161], v[160:161], v[162:163]
	v_add_f64_e32 v[158:159], v[170:171], v[168:169]
	v_fmac_f64_e32 v[164:165], v[6:7], v[136:137]
	v_fma_f64 v[168:169], v[4:5], v[136:137], -v[138:139]
	ds_load_b128 v[4:7], v2 offset:1232
	s_wait_loadcnt_dscnt 0xa01
	v_mul_f64_e32 v[162:163], v[148:149], v[10:11]
	v_mul_f64_e32 v[10:11], v[150:151], v[10:11]
	scratch_load_b128 v[136:139], off, off offset:672
	v_add_f64_e32 v[160:161], v[160:161], v[166:167]
	s_wait_loadcnt_dscnt 0xa00
	v_mul_f64_e32 v[166:167], v[4:5], v[14:15]
	v_add_f64_e32 v[170:171], v[158:159], v[156:157]
	v_mul_f64_e32 v[14:15], v[6:7], v[14:15]
	ds_load_b128 v[156:159], v2 offset:1248
	v_fmac_f64_e32 v[162:163], v[150:151], v[8:9]
	v_fma_f64 v[148:149], v[148:149], v[8:9], -v[10:11]
	scratch_load_b128 v[8:11], off, off offset:688
	v_add_f64_e32 v[160:161], v[160:161], v[164:165]
	v_fmac_f64_e32 v[166:167], v[6:7], v[12:13]
	v_add_f64_e32 v[150:151], v[170:171], v[168:169]
	v_fma_f64 v[168:169], v[4:5], v[12:13], -v[14:15]
	ds_load_b128 v[4:7], v2 offset:1264
	s_wait_loadcnt_dscnt 0xa01
	v_mul_f64_e32 v[164:165], v[156:157], v[18:19]
	v_mul_f64_e32 v[18:19], v[158:159], v[18:19]
	scratch_load_b128 v[12:15], off, off offset:704
	v_add_f64_e32 v[160:161], v[160:161], v[162:163]
	s_wait_loadcnt_dscnt 0xa00
	v_mul_f64_e32 v[162:163], v[4:5], v[22:23]
	v_add_f64_e32 v[170:171], v[150:151], v[148:149]
	v_mul_f64_e32 v[22:23], v[6:7], v[22:23]
	ds_load_b128 v[148:151], v2 offset:1280
	v_fmac_f64_e32 v[164:165], v[158:159], v[16:17]
	v_fma_f64 v[16:17], v[156:157], v[16:17], -v[18:19]
	s_wait_loadcnt_dscnt 0x900
	v_mul_f64_e32 v[158:159], v[148:149], v[26:27]
	v_mul_f64_e32 v[26:27], v[150:151], v[26:27]
	v_add_f64_e32 v[156:157], v[160:161], v[166:167]
	v_fmac_f64_e32 v[162:163], v[6:7], v[20:21]
	v_add_f64_e32 v[18:19], v[170:171], v[168:169]
	v_fma_f64 v[20:21], v[4:5], v[20:21], -v[22:23]
	v_fmac_f64_e32 v[158:159], v[150:151], v[24:25]
	v_fma_f64 v[24:25], v[148:149], v[24:25], -v[26:27]
	v_add_f64_e32 v[156:157], v[156:157], v[164:165]
	v_add_f64_e32 v[22:23], v[18:19], v[16:17]
	ds_load_b128 v[4:7], v2 offset:1296
	ds_load_b128 v[16:19], v2 offset:1312
	s_wait_loadcnt_dscnt 0x801
	v_mul_f64_e32 v[160:161], v[4:5], v[30:31]
	v_mul_f64_e32 v[30:31], v[6:7], v[30:31]
	s_wait_loadcnt_dscnt 0x700
	v_mul_f64_e32 v[26:27], v[16:17], v[126:127]
	v_mul_f64_e32 v[126:127], v[18:19], v[126:127]
	v_add_f64_e32 v[20:21], v[22:23], v[20:21]
	v_add_f64_e32 v[22:23], v[156:157], v[162:163]
	v_fmac_f64_e32 v[160:161], v[6:7], v[28:29]
	v_fma_f64 v[28:29], v[4:5], v[28:29], -v[30:31]
	v_fmac_f64_e32 v[26:27], v[18:19], v[124:125]
	v_fma_f64 v[16:17], v[16:17], v[124:125], -v[126:127]
	v_add_f64_e32 v[24:25], v[20:21], v[24:25]
	v_add_f64_e32 v[30:31], v[22:23], v[158:159]
	ds_load_b128 v[4:7], v2 offset:1328
	ds_load_b128 v[20:23], v2 offset:1344
	s_wait_loadcnt_dscnt 0x601
	v_mul_f64_e32 v[148:149], v[4:5], v[130:131]
	v_mul_f64_e32 v[130:131], v[6:7], v[130:131]
	v_add_f64_e32 v[18:19], v[24:25], v[28:29]
	v_add_f64_e32 v[24:25], v[30:31], v[160:161]
	s_wait_loadcnt_dscnt 0x500
	v_mul_f64_e32 v[28:29], v[20:21], v[134:135]
	v_mul_f64_e32 v[30:31], v[22:23], v[134:135]
	v_fmac_f64_e32 v[148:149], v[6:7], v[128:129]
	v_fma_f64 v[124:125], v[4:5], v[128:129], -v[130:131]
	v_add_f64_e32 v[126:127], v[18:19], v[16:17]
	v_add_f64_e32 v[24:25], v[24:25], v[26:27]
	ds_load_b128 v[4:7], v2 offset:1360
	ds_load_b128 v[16:19], v2 offset:1376
	v_fmac_f64_e32 v[28:29], v[22:23], v[132:133]
	v_fma_f64 v[20:21], v[20:21], v[132:133], -v[30:31]
	s_wait_loadcnt_dscnt 0x401
	v_mul_f64_e32 v[26:27], v[4:5], v[142:143]
	v_mul_f64_e32 v[128:129], v[6:7], v[142:143]
	s_wait_loadcnt_dscnt 0x300
	v_mul_f64_e32 v[30:31], v[16:17], v[154:155]
	v_add_f64_e32 v[22:23], v[126:127], v[124:125]
	v_add_f64_e32 v[24:25], v[24:25], v[148:149]
	v_mul_f64_e32 v[124:125], v[18:19], v[154:155]
	v_fmac_f64_e32 v[26:27], v[6:7], v[140:141]
	v_fma_f64 v[126:127], v[4:5], v[140:141], -v[128:129]
	v_fmac_f64_e32 v[30:31], v[18:19], v[152:153]
	v_add_f64_e32 v[128:129], v[22:23], v[20:21]
	v_add_f64_e32 v[24:25], v[24:25], v[28:29]
	ds_load_b128 v[4:7], v2 offset:1392
	ds_load_b128 v[20:23], v2 offset:1408
	v_fma_f64 v[16:17], v[16:17], v[152:153], -v[124:125]
	s_wait_loadcnt_dscnt 0x201
	v_mul_f64_e32 v[28:29], v[4:5], v[138:139]
	v_mul_f64_e32 v[130:131], v[6:7], v[138:139]
	v_add_f64_e32 v[18:19], v[128:129], v[126:127]
	v_add_f64_e32 v[24:25], v[24:25], v[26:27]
	s_wait_loadcnt_dscnt 0x100
	v_mul_f64_e32 v[26:27], v[20:21], v[10:11]
	v_mul_f64_e32 v[10:11], v[22:23], v[10:11]
	v_fmac_f64_e32 v[28:29], v[6:7], v[136:137]
	v_fma_f64 v[124:125], v[4:5], v[136:137], -v[130:131]
	ds_load_b128 v[4:7], v2 offset:1424
	v_add_f64_e32 v[16:17], v[18:19], v[16:17]
	v_add_f64_e32 v[18:19], v[24:25], v[30:31]
	v_fmac_f64_e32 v[26:27], v[22:23], v[8:9]
	v_fma_f64 v[8:9], v[20:21], v[8:9], -v[10:11]
	s_wait_loadcnt_dscnt 0x0
	v_mul_f64_e32 v[24:25], v[4:5], v[14:15]
	v_mul_f64_e32 v[14:15], v[6:7], v[14:15]
	v_add_f64_e32 v[10:11], v[16:17], v[124:125]
	v_add_f64_e32 v[16:17], v[18:19], v[28:29]
	s_delay_alu instid0(VALU_DEP_4) | instskip(NEXT) | instid1(VALU_DEP_4)
	v_fmac_f64_e32 v[24:25], v[6:7], v[12:13]
	v_fma_f64 v[4:5], v[4:5], v[12:13], -v[14:15]
	s_delay_alu instid0(VALU_DEP_4) | instskip(NEXT) | instid1(VALU_DEP_4)
	v_add_f64_e32 v[6:7], v[10:11], v[8:9]
	v_add_f64_e32 v[8:9], v[16:17], v[26:27]
	s_delay_alu instid0(VALU_DEP_2) | instskip(NEXT) | instid1(VALU_DEP_2)
	v_add_f64_e32 v[4:5], v[6:7], v[4:5]
	v_add_f64_e32 v[6:7], v[8:9], v[24:25]
	s_delay_alu instid0(VALU_DEP_2) | instskip(NEXT) | instid1(VALU_DEP_2)
	v_add_f64_e64 v[4:5], v[144:145], -v[4:5]
	v_add_f64_e64 v[6:7], v[146:147], -v[6:7]
	scratch_store_b128 off, v[4:7], off offset:272
	s_wait_xcnt 0x0
	v_cmpx_lt_u32_e32 16, v1
	s_cbranch_execz .LBB108_251
; %bb.250:
	scratch_load_b128 v[6:9], off, s45
	v_dual_mov_b32 v3, v2 :: v_dual_mov_b32 v4, v2
	v_mov_b32_e32 v5, v2
	scratch_store_b128 off, v[2:5], off offset:256
	s_wait_loadcnt 0x0
	ds_store_b128 v122, v[6:9]
.LBB108_251:
	s_wait_xcnt 0x0
	s_or_b32 exec_lo, exec_lo, s2
	s_wait_storecnt_dscnt 0x0
	s_barrier_signal -1
	s_barrier_wait -1
	s_clause 0x9
	scratch_load_b128 v[4:7], off, off offset:272
	scratch_load_b128 v[8:11], off, off offset:288
	;; [unrolled: 1-line block ×10, first 2 shown]
	ds_load_b128 v[136:139], v2 offset:992
	ds_load_b128 v[144:147], v2 offset:1008
	s_clause 0x2
	scratch_load_b128 v[140:143], off, off offset:432
	scratch_load_b128 v[148:151], off, off offset:256
	;; [unrolled: 1-line block ×3, first 2 shown]
	s_mov_b32 s2, exec_lo
	s_wait_loadcnt_dscnt 0xc01
	v_mul_f64_e32 v[156:157], v[138:139], v[6:7]
	v_mul_f64_e32 v[160:161], v[136:137], v[6:7]
	s_wait_loadcnt_dscnt 0xb00
	v_mul_f64_e32 v[162:163], v[144:145], v[10:11]
	v_mul_f64_e32 v[10:11], v[146:147], v[10:11]
	s_delay_alu instid0(VALU_DEP_4) | instskip(NEXT) | instid1(VALU_DEP_4)
	v_fma_f64 v[164:165], v[136:137], v[4:5], -v[156:157]
	v_fmac_f64_e32 v[160:161], v[138:139], v[4:5]
	ds_load_b128 v[4:7], v2 offset:1024
	ds_load_b128 v[136:139], v2 offset:1040
	scratch_load_b128 v[156:159], off, off offset:464
	v_fmac_f64_e32 v[162:163], v[146:147], v[8:9]
	v_fma_f64 v[144:145], v[144:145], v[8:9], -v[10:11]
	scratch_load_b128 v[8:11], off, off offset:480
	s_wait_loadcnt_dscnt 0xc01
	v_mul_f64_e32 v[166:167], v[4:5], v[14:15]
	v_mul_f64_e32 v[14:15], v[6:7], v[14:15]
	v_add_f64_e32 v[146:147], 0, v[164:165]
	v_add_f64_e32 v[160:161], 0, v[160:161]
	s_wait_loadcnt_dscnt 0xb00
	v_mul_f64_e32 v[164:165], v[136:137], v[18:19]
	v_mul_f64_e32 v[18:19], v[138:139], v[18:19]
	v_fmac_f64_e32 v[166:167], v[6:7], v[12:13]
	v_fma_f64 v[168:169], v[4:5], v[12:13], -v[14:15]
	ds_load_b128 v[4:7], v2 offset:1056
	ds_load_b128 v[12:15], v2 offset:1072
	v_add_f64_e32 v[170:171], v[146:147], v[144:145]
	v_add_f64_e32 v[160:161], v[160:161], v[162:163]
	scratch_load_b128 v[144:147], off, off offset:496
	v_fmac_f64_e32 v[164:165], v[138:139], v[16:17]
	v_fma_f64 v[136:137], v[136:137], v[16:17], -v[18:19]
	scratch_load_b128 v[16:19], off, off offset:512
	s_wait_loadcnt_dscnt 0xc01
	v_mul_f64_e32 v[162:163], v[4:5], v[22:23]
	v_mul_f64_e32 v[22:23], v[6:7], v[22:23]
	v_add_f64_e32 v[138:139], v[170:171], v[168:169]
	v_add_f64_e32 v[160:161], v[160:161], v[166:167]
	s_wait_loadcnt_dscnt 0xb00
	v_mul_f64_e32 v[166:167], v[12:13], v[26:27]
	v_mul_f64_e32 v[26:27], v[14:15], v[26:27]
	v_fmac_f64_e32 v[162:163], v[6:7], v[20:21]
	v_fma_f64 v[168:169], v[4:5], v[20:21], -v[22:23]
	ds_load_b128 v[4:7], v2 offset:1088
	ds_load_b128 v[20:23], v2 offset:1104
	v_add_f64_e32 v[170:171], v[138:139], v[136:137]
	v_add_f64_e32 v[160:161], v[160:161], v[164:165]
	scratch_load_b128 v[136:139], off, off offset:528
	s_wait_loadcnt_dscnt 0xb01
	v_mul_f64_e32 v[164:165], v[4:5], v[30:31]
	v_mul_f64_e32 v[30:31], v[6:7], v[30:31]
	v_fmac_f64_e32 v[166:167], v[14:15], v[24:25]
	v_fma_f64 v[24:25], v[12:13], v[24:25], -v[26:27]
	scratch_load_b128 v[12:15], off, off offset:544
	v_add_f64_e32 v[26:27], v[170:171], v[168:169]
	v_add_f64_e32 v[160:161], v[160:161], v[162:163]
	s_wait_loadcnt_dscnt 0xb00
	v_mul_f64_e32 v[162:163], v[20:21], v[126:127]
	v_mul_f64_e32 v[126:127], v[22:23], v[126:127]
	v_fmac_f64_e32 v[164:165], v[6:7], v[28:29]
	v_fma_f64 v[168:169], v[4:5], v[28:29], -v[30:31]
	v_add_f64_e32 v[170:171], v[26:27], v[24:25]
	v_add_f64_e32 v[160:161], v[160:161], v[166:167]
	ds_load_b128 v[4:7], v2 offset:1120
	ds_load_b128 v[24:27], v2 offset:1136
	scratch_load_b128 v[28:31], off, off offset:560
	v_fmac_f64_e32 v[162:163], v[22:23], v[124:125]
	v_fma_f64 v[124:125], v[20:21], v[124:125], -v[126:127]
	scratch_load_b128 v[20:23], off, off offset:576
	s_wait_loadcnt_dscnt 0xc01
	v_mul_f64_e32 v[166:167], v[4:5], v[130:131]
	v_mul_f64_e32 v[130:131], v[6:7], v[130:131]
	v_add_f64_e32 v[126:127], v[170:171], v[168:169]
	v_add_f64_e32 v[160:161], v[160:161], v[164:165]
	s_wait_loadcnt_dscnt 0xb00
	v_mul_f64_e32 v[164:165], v[24:25], v[134:135]
	v_mul_f64_e32 v[134:135], v[26:27], v[134:135]
	v_fmac_f64_e32 v[166:167], v[6:7], v[128:129]
	v_fma_f64 v[168:169], v[4:5], v[128:129], -v[130:131]
	v_add_f64_e32 v[170:171], v[126:127], v[124:125]
	v_add_f64_e32 v[160:161], v[160:161], v[162:163]
	ds_load_b128 v[4:7], v2 offset:1152
	ds_load_b128 v[124:127], v2 offset:1168
	scratch_load_b128 v[128:131], off, off offset:592
	v_fmac_f64_e32 v[164:165], v[26:27], v[132:133]
	v_fma_f64 v[132:133], v[24:25], v[132:133], -v[134:135]
	scratch_load_b128 v[24:27], off, off offset:608
	s_wait_loadcnt_dscnt 0xc01
	v_mul_f64_e32 v[162:163], v[4:5], v[142:143]
	v_mul_f64_e32 v[142:143], v[6:7], v[142:143]
	;; [unrolled: 18-line block ×5, first 2 shown]
	v_add_f64_e32 v[154:155], v[170:171], v[168:169]
	v_add_f64_e32 v[160:161], v[160:161], v[166:167]
	s_wait_loadcnt_dscnt 0xa00
	v_mul_f64_e32 v[166:167], v[132:133], v[14:15]
	v_mul_f64_e32 v[14:15], v[134:135], v[14:15]
	v_fmac_f64_e32 v[162:163], v[6:7], v[136:137]
	v_fma_f64 v[168:169], v[4:5], v[136:137], -v[138:139]
	ds_load_b128 v[4:7], v2 offset:1280
	ds_load_b128 v[136:139], v2 offset:1296
	v_add_f64_e32 v[152:153], v[154:155], v[152:153]
	v_add_f64_e32 v[154:155], v[160:161], v[164:165]
	v_fmac_f64_e32 v[166:167], v[134:135], v[12:13]
	v_fma_f64 v[12:13], v[132:133], v[12:13], -v[14:15]
	s_wait_loadcnt_dscnt 0x901
	v_mul_f64_e32 v[160:161], v[4:5], v[30:31]
	v_mul_f64_e32 v[30:31], v[6:7], v[30:31]
	s_wait_loadcnt_dscnt 0x800
	v_mul_f64_e32 v[134:135], v[136:137], v[22:23]
	v_mul_f64_e32 v[22:23], v[138:139], v[22:23]
	v_add_f64_e32 v[14:15], v[152:153], v[168:169]
	v_add_f64_e32 v[132:133], v[154:155], v[162:163]
	v_fmac_f64_e32 v[160:161], v[6:7], v[28:29]
	v_fma_f64 v[28:29], v[4:5], v[28:29], -v[30:31]
	v_fmac_f64_e32 v[134:135], v[138:139], v[20:21]
	v_fma_f64 v[20:21], v[136:137], v[20:21], -v[22:23]
	v_add_f64_e32 v[30:31], v[14:15], v[12:13]
	v_add_f64_e32 v[132:133], v[132:133], v[166:167]
	ds_load_b128 v[4:7], v2 offset:1312
	ds_load_b128 v[12:15], v2 offset:1328
	s_wait_loadcnt_dscnt 0x701
	v_mul_f64_e32 v[152:153], v[4:5], v[130:131]
	v_mul_f64_e32 v[130:131], v[6:7], v[130:131]
	v_add_f64_e32 v[22:23], v[30:31], v[28:29]
	v_add_f64_e32 v[28:29], v[132:133], v[160:161]
	s_wait_loadcnt_dscnt 0x600
	v_mul_f64_e32 v[30:31], v[12:13], v[26:27]
	v_mul_f64_e32 v[26:27], v[14:15], v[26:27]
	v_fmac_f64_e32 v[152:153], v[6:7], v[128:129]
	v_fma_f64 v[128:129], v[4:5], v[128:129], -v[130:131]
	v_add_f64_e32 v[130:131], v[22:23], v[20:21]
	v_add_f64_e32 v[28:29], v[28:29], v[134:135]
	ds_load_b128 v[4:7], v2 offset:1344
	ds_load_b128 v[20:23], v2 offset:1360
	v_fmac_f64_e32 v[30:31], v[14:15], v[24:25]
	v_fma_f64 v[12:13], v[12:13], v[24:25], -v[26:27]
	s_wait_loadcnt_dscnt 0x501
	v_mul_f64_e32 v[132:133], v[4:5], v[142:143]
	v_mul_f64_e32 v[134:135], v[6:7], v[142:143]
	s_wait_loadcnt_dscnt 0x400
	v_mul_f64_e32 v[26:27], v[20:21], v[126:127]
	v_add_f64_e32 v[14:15], v[130:131], v[128:129]
	v_add_f64_e32 v[24:25], v[28:29], v[152:153]
	v_mul_f64_e32 v[28:29], v[22:23], v[126:127]
	v_fmac_f64_e32 v[132:133], v[6:7], v[140:141]
	v_fma_f64 v[126:127], v[4:5], v[140:141], -v[134:135]
	v_fmac_f64_e32 v[26:27], v[22:23], v[124:125]
	v_add_f64_e32 v[128:129], v[14:15], v[12:13]
	v_add_f64_e32 v[24:25], v[24:25], v[30:31]
	ds_load_b128 v[4:7], v2 offset:1376
	ds_load_b128 v[12:15], v2 offset:1392
	v_fma_f64 v[20:21], v[20:21], v[124:125], -v[28:29]
	s_wait_loadcnt_dscnt 0x301
	v_mul_f64_e32 v[30:31], v[4:5], v[158:159]
	v_mul_f64_e32 v[130:131], v[6:7], v[158:159]
	s_wait_loadcnt_dscnt 0x200
	v_mul_f64_e32 v[28:29], v[12:13], v[10:11]
	v_mul_f64_e32 v[10:11], v[14:15], v[10:11]
	v_add_f64_e32 v[22:23], v[128:129], v[126:127]
	v_add_f64_e32 v[24:25], v[24:25], v[132:133]
	v_fmac_f64_e32 v[30:31], v[6:7], v[156:157]
	v_fma_f64 v[124:125], v[4:5], v[156:157], -v[130:131]
	v_fmac_f64_e32 v[28:29], v[14:15], v[8:9]
	v_fma_f64 v[8:9], v[12:13], v[8:9], -v[10:11]
	v_add_f64_e32 v[126:127], v[22:23], v[20:21]
	v_add_f64_e32 v[24:25], v[24:25], v[26:27]
	ds_load_b128 v[4:7], v2 offset:1408
	ds_load_b128 v[20:23], v2 offset:1424
	s_wait_loadcnt_dscnt 0x101
	v_mul_f64_e32 v[2:3], v[4:5], v[146:147]
	v_mul_f64_e32 v[26:27], v[6:7], v[146:147]
	s_wait_loadcnt_dscnt 0x0
	v_mul_f64_e32 v[14:15], v[20:21], v[18:19]
	v_mul_f64_e32 v[18:19], v[22:23], v[18:19]
	v_add_f64_e32 v[10:11], v[126:127], v[124:125]
	v_add_f64_e32 v[12:13], v[24:25], v[30:31]
	v_fmac_f64_e32 v[2:3], v[6:7], v[144:145]
	v_fma_f64 v[4:5], v[4:5], v[144:145], -v[26:27]
	v_fmac_f64_e32 v[14:15], v[22:23], v[16:17]
	v_add_f64_e32 v[6:7], v[10:11], v[8:9]
	v_add_f64_e32 v[8:9], v[12:13], v[28:29]
	v_fma_f64 v[10:11], v[20:21], v[16:17], -v[18:19]
	s_delay_alu instid0(VALU_DEP_3) | instskip(NEXT) | instid1(VALU_DEP_3)
	v_add_f64_e32 v[4:5], v[6:7], v[4:5]
	v_add_f64_e32 v[2:3], v[8:9], v[2:3]
	s_delay_alu instid0(VALU_DEP_2) | instskip(NEXT) | instid1(VALU_DEP_2)
	v_add_f64_e32 v[4:5], v[4:5], v[10:11]
	v_add_f64_e32 v[6:7], v[2:3], v[14:15]
	s_delay_alu instid0(VALU_DEP_2) | instskip(NEXT) | instid1(VALU_DEP_2)
	v_add_f64_e64 v[2:3], v[148:149], -v[4:5]
	v_add_f64_e64 v[4:5], v[150:151], -v[6:7]
	scratch_store_b128 off, v[2:5], off offset:256
	s_wait_xcnt 0x0
	v_cmpx_lt_u32_e32 15, v1
	s_cbranch_execz .LBB108_253
; %bb.252:
	scratch_load_b128 v[2:5], off, s46
	v_mov_b32_e32 v6, 0
	s_delay_alu instid0(VALU_DEP_1)
	v_dual_mov_b32 v7, v6 :: v_dual_mov_b32 v8, v6
	v_mov_b32_e32 v9, v6
	scratch_store_b128 off, v[6:9], off offset:240
	s_wait_loadcnt 0x0
	ds_store_b128 v122, v[2:5]
.LBB108_253:
	s_wait_xcnt 0x0
	s_or_b32 exec_lo, exec_lo, s2
	s_wait_storecnt_dscnt 0x0
	s_barrier_signal -1
	s_barrier_wait -1
	s_clause 0x9
	scratch_load_b128 v[4:7], off, off offset:256
	scratch_load_b128 v[8:11], off, off offset:272
	;; [unrolled: 1-line block ×10, first 2 shown]
	v_mov_b32_e32 v2, 0
	s_mov_b32 s2, exec_lo
	ds_load_b128 v[136:139], v2 offset:976
	s_clause 0x2
	scratch_load_b128 v[140:143], off, off offset:416
	scratch_load_b128 v[144:147], off, off offset:240
	;; [unrolled: 1-line block ×3, first 2 shown]
	s_wait_loadcnt_dscnt 0xc00
	v_mul_f64_e32 v[156:157], v[138:139], v[6:7]
	v_mul_f64_e32 v[160:161], v[136:137], v[6:7]
	ds_load_b128 v[148:151], v2 offset:992
	v_fma_f64 v[164:165], v[136:137], v[4:5], -v[156:157]
	v_fmac_f64_e32 v[160:161], v[138:139], v[4:5]
	ds_load_b128 v[4:7], v2 offset:1008
	s_wait_loadcnt_dscnt 0xb01
	v_mul_f64_e32 v[162:163], v[148:149], v[10:11]
	v_mul_f64_e32 v[10:11], v[150:151], v[10:11]
	scratch_load_b128 v[136:139], off, off offset:448
	ds_load_b128 v[156:159], v2 offset:1024
	s_wait_loadcnt_dscnt 0xb01
	v_mul_f64_e32 v[166:167], v[4:5], v[14:15]
	v_mul_f64_e32 v[14:15], v[6:7], v[14:15]
	v_add_f64_e32 v[160:161], 0, v[160:161]
	v_fmac_f64_e32 v[162:163], v[150:151], v[8:9]
	v_fma_f64 v[148:149], v[148:149], v[8:9], -v[10:11]
	v_add_f64_e32 v[150:151], 0, v[164:165]
	scratch_load_b128 v[8:11], off, off offset:464
	v_fmac_f64_e32 v[166:167], v[6:7], v[12:13]
	v_fma_f64 v[168:169], v[4:5], v[12:13], -v[14:15]
	ds_load_b128 v[4:7], v2 offset:1040
	s_wait_loadcnt_dscnt 0xb01
	v_mul_f64_e32 v[164:165], v[156:157], v[18:19]
	v_mul_f64_e32 v[18:19], v[158:159], v[18:19]
	scratch_load_b128 v[12:15], off, off offset:480
	v_add_f64_e32 v[160:161], v[160:161], v[162:163]
	v_add_f64_e32 v[170:171], v[150:151], v[148:149]
	ds_load_b128 v[148:151], v2 offset:1056
	s_wait_loadcnt_dscnt 0xb01
	v_mul_f64_e32 v[162:163], v[4:5], v[22:23]
	v_mul_f64_e32 v[22:23], v[6:7], v[22:23]
	v_fmac_f64_e32 v[164:165], v[158:159], v[16:17]
	v_fma_f64 v[156:157], v[156:157], v[16:17], -v[18:19]
	scratch_load_b128 v[16:19], off, off offset:496
	v_add_f64_e32 v[160:161], v[160:161], v[166:167]
	v_add_f64_e32 v[158:159], v[170:171], v[168:169]
	v_fmac_f64_e32 v[162:163], v[6:7], v[20:21]
	v_fma_f64 v[168:169], v[4:5], v[20:21], -v[22:23]
	ds_load_b128 v[4:7], v2 offset:1072
	s_wait_loadcnt_dscnt 0xb01
	v_mul_f64_e32 v[166:167], v[148:149], v[26:27]
	v_mul_f64_e32 v[26:27], v[150:151], v[26:27]
	scratch_load_b128 v[20:23], off, off offset:512
	v_add_f64_e32 v[160:161], v[160:161], v[164:165]
	s_wait_loadcnt_dscnt 0xb00
	v_mul_f64_e32 v[164:165], v[4:5], v[30:31]
	v_add_f64_e32 v[170:171], v[158:159], v[156:157]
	v_mul_f64_e32 v[30:31], v[6:7], v[30:31]
	ds_load_b128 v[156:159], v2 offset:1088
	v_fmac_f64_e32 v[166:167], v[150:151], v[24:25]
	v_fma_f64 v[148:149], v[148:149], v[24:25], -v[26:27]
	scratch_load_b128 v[24:27], off, off offset:528
	v_add_f64_e32 v[160:161], v[160:161], v[162:163]
	v_fmac_f64_e32 v[164:165], v[6:7], v[28:29]
	v_add_f64_e32 v[150:151], v[170:171], v[168:169]
	v_fma_f64 v[168:169], v[4:5], v[28:29], -v[30:31]
	ds_load_b128 v[4:7], v2 offset:1104
	s_wait_loadcnt_dscnt 0xb01
	v_mul_f64_e32 v[162:163], v[156:157], v[126:127]
	v_mul_f64_e32 v[126:127], v[158:159], v[126:127]
	scratch_load_b128 v[28:31], off, off offset:544
	v_add_f64_e32 v[160:161], v[160:161], v[166:167]
	s_wait_loadcnt_dscnt 0xb00
	v_mul_f64_e32 v[166:167], v[4:5], v[130:131]
	v_add_f64_e32 v[170:171], v[150:151], v[148:149]
	v_mul_f64_e32 v[130:131], v[6:7], v[130:131]
	ds_load_b128 v[148:151], v2 offset:1120
	v_fmac_f64_e32 v[162:163], v[158:159], v[124:125]
	v_fma_f64 v[156:157], v[156:157], v[124:125], -v[126:127]
	scratch_load_b128 v[124:127], off, off offset:560
	v_add_f64_e32 v[160:161], v[160:161], v[164:165]
	v_fmac_f64_e32 v[166:167], v[6:7], v[128:129]
	v_add_f64_e32 v[158:159], v[170:171], v[168:169]
	;; [unrolled: 18-line block ×3, first 2 shown]
	v_fma_f64 v[168:169], v[4:5], v[140:141], -v[142:143]
	ds_load_b128 v[4:7], v2 offset:1168
	s_wait_loadcnt_dscnt 0xa01
	v_mul_f64_e32 v[166:167], v[156:157], v[154:155]
	v_mul_f64_e32 v[154:155], v[158:159], v[154:155]
	scratch_load_b128 v[140:143], off, off offset:608
	v_add_f64_e32 v[160:161], v[160:161], v[164:165]
	v_add_f64_e32 v[170:171], v[150:151], v[148:149]
	s_wait_loadcnt_dscnt 0xa00
	v_mul_f64_e32 v[164:165], v[4:5], v[138:139]
	v_mul_f64_e32 v[138:139], v[6:7], v[138:139]
	v_fmac_f64_e32 v[166:167], v[158:159], v[152:153]
	v_fma_f64 v[156:157], v[156:157], v[152:153], -v[154:155]
	ds_load_b128 v[148:151], v2 offset:1184
	scratch_load_b128 v[152:155], off, off offset:624
	v_add_f64_e32 v[160:161], v[160:161], v[162:163]
	v_add_f64_e32 v[158:159], v[170:171], v[168:169]
	v_fmac_f64_e32 v[164:165], v[6:7], v[136:137]
	v_fma_f64 v[168:169], v[4:5], v[136:137], -v[138:139]
	ds_load_b128 v[4:7], v2 offset:1200
	s_wait_loadcnt_dscnt 0xa01
	v_mul_f64_e32 v[162:163], v[148:149], v[10:11]
	v_mul_f64_e32 v[10:11], v[150:151], v[10:11]
	scratch_load_b128 v[136:139], off, off offset:640
	v_add_f64_e32 v[160:161], v[160:161], v[166:167]
	s_wait_loadcnt_dscnt 0xa00
	v_mul_f64_e32 v[166:167], v[4:5], v[14:15]
	v_add_f64_e32 v[170:171], v[158:159], v[156:157]
	v_mul_f64_e32 v[14:15], v[6:7], v[14:15]
	ds_load_b128 v[156:159], v2 offset:1216
	v_fmac_f64_e32 v[162:163], v[150:151], v[8:9]
	v_fma_f64 v[148:149], v[148:149], v[8:9], -v[10:11]
	scratch_load_b128 v[8:11], off, off offset:656
	v_add_f64_e32 v[160:161], v[160:161], v[164:165]
	v_fmac_f64_e32 v[166:167], v[6:7], v[12:13]
	v_add_f64_e32 v[150:151], v[170:171], v[168:169]
	v_fma_f64 v[168:169], v[4:5], v[12:13], -v[14:15]
	ds_load_b128 v[4:7], v2 offset:1232
	s_wait_loadcnt_dscnt 0xa01
	v_mul_f64_e32 v[164:165], v[156:157], v[18:19]
	v_mul_f64_e32 v[18:19], v[158:159], v[18:19]
	scratch_load_b128 v[12:15], off, off offset:672
	v_add_f64_e32 v[160:161], v[160:161], v[162:163]
	s_wait_loadcnt_dscnt 0xa00
	v_mul_f64_e32 v[162:163], v[4:5], v[22:23]
	v_add_f64_e32 v[170:171], v[150:151], v[148:149]
	v_mul_f64_e32 v[22:23], v[6:7], v[22:23]
	ds_load_b128 v[148:151], v2 offset:1248
	v_fmac_f64_e32 v[164:165], v[158:159], v[16:17]
	v_fma_f64 v[156:157], v[156:157], v[16:17], -v[18:19]
	scratch_load_b128 v[16:19], off, off offset:688
	v_add_f64_e32 v[160:161], v[160:161], v[166:167]
	v_fmac_f64_e32 v[162:163], v[6:7], v[20:21]
	v_add_f64_e32 v[158:159], v[170:171], v[168:169]
	v_fma_f64 v[168:169], v[4:5], v[20:21], -v[22:23]
	ds_load_b128 v[4:7], v2 offset:1264
	s_wait_loadcnt_dscnt 0xa01
	v_mul_f64_e32 v[166:167], v[148:149], v[26:27]
	v_mul_f64_e32 v[26:27], v[150:151], v[26:27]
	scratch_load_b128 v[20:23], off, off offset:704
	v_add_f64_e32 v[160:161], v[160:161], v[164:165]
	s_wait_loadcnt_dscnt 0xa00
	v_mul_f64_e32 v[164:165], v[4:5], v[30:31]
	v_add_f64_e32 v[170:171], v[158:159], v[156:157]
	v_mul_f64_e32 v[30:31], v[6:7], v[30:31]
	ds_load_b128 v[156:159], v2 offset:1280
	v_fmac_f64_e32 v[166:167], v[150:151], v[24:25]
	v_fma_f64 v[24:25], v[148:149], v[24:25], -v[26:27]
	s_wait_loadcnt_dscnt 0x900
	v_mul_f64_e32 v[150:151], v[156:157], v[126:127]
	v_mul_f64_e32 v[126:127], v[158:159], v[126:127]
	v_add_f64_e32 v[148:149], v[160:161], v[162:163]
	v_fmac_f64_e32 v[164:165], v[6:7], v[28:29]
	v_add_f64_e32 v[26:27], v[170:171], v[168:169]
	v_fma_f64 v[28:29], v[4:5], v[28:29], -v[30:31]
	v_fmac_f64_e32 v[150:151], v[158:159], v[124:125]
	v_fma_f64 v[124:125], v[156:157], v[124:125], -v[126:127]
	v_add_f64_e32 v[148:149], v[148:149], v[166:167]
	v_add_f64_e32 v[30:31], v[26:27], v[24:25]
	ds_load_b128 v[4:7], v2 offset:1296
	ds_load_b128 v[24:27], v2 offset:1312
	s_wait_loadcnt_dscnt 0x801
	v_mul_f64_e32 v[160:161], v[4:5], v[130:131]
	v_mul_f64_e32 v[130:131], v[6:7], v[130:131]
	s_wait_loadcnt_dscnt 0x700
	v_mul_f64_e32 v[126:127], v[24:25], v[134:135]
	v_mul_f64_e32 v[134:135], v[26:27], v[134:135]
	v_add_f64_e32 v[28:29], v[30:31], v[28:29]
	v_add_f64_e32 v[30:31], v[148:149], v[164:165]
	v_fmac_f64_e32 v[160:161], v[6:7], v[128:129]
	v_fma_f64 v[128:129], v[4:5], v[128:129], -v[130:131]
	v_fmac_f64_e32 v[126:127], v[26:27], v[132:133]
	v_fma_f64 v[24:25], v[24:25], v[132:133], -v[134:135]
	v_add_f64_e32 v[124:125], v[28:29], v[124:125]
	v_add_f64_e32 v[130:131], v[30:31], v[150:151]
	ds_load_b128 v[4:7], v2 offset:1328
	ds_load_b128 v[28:31], v2 offset:1344
	s_wait_loadcnt_dscnt 0x601
	v_mul_f64_e32 v[148:149], v[4:5], v[142:143]
	v_mul_f64_e32 v[142:143], v[6:7], v[142:143]
	v_add_f64_e32 v[26:27], v[124:125], v[128:129]
	v_add_f64_e32 v[124:125], v[130:131], v[160:161]
	s_wait_loadcnt_dscnt 0x500
	v_mul_f64_e32 v[128:129], v[28:29], v[154:155]
	v_mul_f64_e32 v[130:131], v[30:31], v[154:155]
	v_fmac_f64_e32 v[148:149], v[6:7], v[140:141]
	v_fma_f64 v[132:133], v[4:5], v[140:141], -v[142:143]
	v_add_f64_e32 v[134:135], v[26:27], v[24:25]
	v_add_f64_e32 v[124:125], v[124:125], v[126:127]
	ds_load_b128 v[4:7], v2 offset:1360
	ds_load_b128 v[24:27], v2 offset:1376
	v_fmac_f64_e32 v[128:129], v[30:31], v[152:153]
	v_fma_f64 v[28:29], v[28:29], v[152:153], -v[130:131]
	s_wait_loadcnt_dscnt 0x401
	v_mul_f64_e32 v[126:127], v[4:5], v[138:139]
	v_mul_f64_e32 v[138:139], v[6:7], v[138:139]
	s_wait_loadcnt_dscnt 0x300
	v_mul_f64_e32 v[130:131], v[24:25], v[10:11]
	v_mul_f64_e32 v[10:11], v[26:27], v[10:11]
	v_add_f64_e32 v[30:31], v[134:135], v[132:133]
	v_add_f64_e32 v[124:125], v[124:125], v[148:149]
	v_fmac_f64_e32 v[126:127], v[6:7], v[136:137]
	v_fma_f64 v[132:133], v[4:5], v[136:137], -v[138:139]
	v_fmac_f64_e32 v[130:131], v[26:27], v[8:9]
	v_fma_f64 v[8:9], v[24:25], v[8:9], -v[10:11]
	v_add_f64_e32 v[134:135], v[30:31], v[28:29]
	v_add_f64_e32 v[124:125], v[124:125], v[128:129]
	ds_load_b128 v[4:7], v2 offset:1392
	ds_load_b128 v[28:31], v2 offset:1408
	s_wait_loadcnt_dscnt 0x201
	v_mul_f64_e32 v[128:129], v[4:5], v[14:15]
	v_mul_f64_e32 v[14:15], v[6:7], v[14:15]
	s_wait_loadcnt_dscnt 0x100
	v_mul_f64_e32 v[26:27], v[28:29], v[18:19]
	v_mul_f64_e32 v[18:19], v[30:31], v[18:19]
	v_add_f64_e32 v[10:11], v[134:135], v[132:133]
	v_add_f64_e32 v[24:25], v[124:125], v[126:127]
	v_fmac_f64_e32 v[128:129], v[6:7], v[12:13]
	v_fma_f64 v[12:13], v[4:5], v[12:13], -v[14:15]
	ds_load_b128 v[4:7], v2 offset:1424
	v_fmac_f64_e32 v[26:27], v[30:31], v[16:17]
	v_fma_f64 v[16:17], v[28:29], v[16:17], -v[18:19]
	v_add_f64_e32 v[8:9], v[10:11], v[8:9]
	v_add_f64_e32 v[10:11], v[24:25], v[130:131]
	s_wait_loadcnt_dscnt 0x0
	v_mul_f64_e32 v[14:15], v[4:5], v[22:23]
	v_mul_f64_e32 v[22:23], v[6:7], v[22:23]
	s_delay_alu instid0(VALU_DEP_4) | instskip(NEXT) | instid1(VALU_DEP_4)
	v_add_f64_e32 v[8:9], v[8:9], v[12:13]
	v_add_f64_e32 v[10:11], v[10:11], v[128:129]
	s_delay_alu instid0(VALU_DEP_4) | instskip(NEXT) | instid1(VALU_DEP_4)
	v_fmac_f64_e32 v[14:15], v[6:7], v[20:21]
	v_fma_f64 v[4:5], v[4:5], v[20:21], -v[22:23]
	s_delay_alu instid0(VALU_DEP_4) | instskip(NEXT) | instid1(VALU_DEP_4)
	v_add_f64_e32 v[6:7], v[8:9], v[16:17]
	v_add_f64_e32 v[8:9], v[10:11], v[26:27]
	s_delay_alu instid0(VALU_DEP_2) | instskip(NEXT) | instid1(VALU_DEP_2)
	v_add_f64_e32 v[4:5], v[6:7], v[4:5]
	v_add_f64_e32 v[6:7], v[8:9], v[14:15]
	s_delay_alu instid0(VALU_DEP_2) | instskip(NEXT) | instid1(VALU_DEP_2)
	v_add_f64_e64 v[4:5], v[144:145], -v[4:5]
	v_add_f64_e64 v[6:7], v[146:147], -v[6:7]
	scratch_store_b128 off, v[4:7], off offset:240
	s_wait_xcnt 0x0
	v_cmpx_lt_u32_e32 14, v1
	s_cbranch_execz .LBB108_255
; %bb.254:
	scratch_load_b128 v[6:9], off, s47
	v_dual_mov_b32 v3, v2 :: v_dual_mov_b32 v4, v2
	v_mov_b32_e32 v5, v2
	scratch_store_b128 off, v[2:5], off offset:224
	s_wait_loadcnt 0x0
	ds_store_b128 v122, v[6:9]
.LBB108_255:
	s_wait_xcnt 0x0
	s_or_b32 exec_lo, exec_lo, s2
	s_wait_storecnt_dscnt 0x0
	s_barrier_signal -1
	s_barrier_wait -1
	s_clause 0x9
	scratch_load_b128 v[4:7], off, off offset:240
	scratch_load_b128 v[8:11], off, off offset:256
	;; [unrolled: 1-line block ×10, first 2 shown]
	ds_load_b128 v[136:139], v2 offset:960
	ds_load_b128 v[144:147], v2 offset:976
	s_clause 0x2
	scratch_load_b128 v[140:143], off, off offset:400
	scratch_load_b128 v[148:151], off, off offset:224
	;; [unrolled: 1-line block ×3, first 2 shown]
	s_mov_b32 s2, exec_lo
	s_wait_loadcnt_dscnt 0xc01
	v_mul_f64_e32 v[156:157], v[138:139], v[6:7]
	v_mul_f64_e32 v[160:161], v[136:137], v[6:7]
	s_wait_loadcnt_dscnt 0xb00
	v_mul_f64_e32 v[162:163], v[144:145], v[10:11]
	v_mul_f64_e32 v[10:11], v[146:147], v[10:11]
	s_delay_alu instid0(VALU_DEP_4) | instskip(NEXT) | instid1(VALU_DEP_4)
	v_fma_f64 v[164:165], v[136:137], v[4:5], -v[156:157]
	v_fmac_f64_e32 v[160:161], v[138:139], v[4:5]
	ds_load_b128 v[4:7], v2 offset:992
	ds_load_b128 v[136:139], v2 offset:1008
	scratch_load_b128 v[156:159], off, off offset:432
	v_fmac_f64_e32 v[162:163], v[146:147], v[8:9]
	v_fma_f64 v[144:145], v[144:145], v[8:9], -v[10:11]
	scratch_load_b128 v[8:11], off, off offset:448
	s_wait_loadcnt_dscnt 0xc01
	v_mul_f64_e32 v[166:167], v[4:5], v[14:15]
	v_mul_f64_e32 v[14:15], v[6:7], v[14:15]
	v_add_f64_e32 v[146:147], 0, v[164:165]
	v_add_f64_e32 v[160:161], 0, v[160:161]
	s_wait_loadcnt_dscnt 0xb00
	v_mul_f64_e32 v[164:165], v[136:137], v[18:19]
	v_mul_f64_e32 v[18:19], v[138:139], v[18:19]
	v_fmac_f64_e32 v[166:167], v[6:7], v[12:13]
	v_fma_f64 v[168:169], v[4:5], v[12:13], -v[14:15]
	ds_load_b128 v[4:7], v2 offset:1024
	ds_load_b128 v[12:15], v2 offset:1040
	v_add_f64_e32 v[170:171], v[146:147], v[144:145]
	v_add_f64_e32 v[160:161], v[160:161], v[162:163]
	scratch_load_b128 v[144:147], off, off offset:464
	v_fmac_f64_e32 v[164:165], v[138:139], v[16:17]
	v_fma_f64 v[136:137], v[136:137], v[16:17], -v[18:19]
	scratch_load_b128 v[16:19], off, off offset:480
	s_wait_loadcnt_dscnt 0xc01
	v_mul_f64_e32 v[162:163], v[4:5], v[22:23]
	v_mul_f64_e32 v[22:23], v[6:7], v[22:23]
	v_add_f64_e32 v[138:139], v[170:171], v[168:169]
	v_add_f64_e32 v[160:161], v[160:161], v[166:167]
	s_wait_loadcnt_dscnt 0xb00
	v_mul_f64_e32 v[166:167], v[12:13], v[26:27]
	v_mul_f64_e32 v[26:27], v[14:15], v[26:27]
	v_fmac_f64_e32 v[162:163], v[6:7], v[20:21]
	v_fma_f64 v[168:169], v[4:5], v[20:21], -v[22:23]
	ds_load_b128 v[4:7], v2 offset:1056
	ds_load_b128 v[20:23], v2 offset:1072
	v_add_f64_e32 v[170:171], v[138:139], v[136:137]
	v_add_f64_e32 v[160:161], v[160:161], v[164:165]
	scratch_load_b128 v[136:139], off, off offset:496
	s_wait_loadcnt_dscnt 0xb01
	v_mul_f64_e32 v[164:165], v[4:5], v[30:31]
	v_mul_f64_e32 v[30:31], v[6:7], v[30:31]
	v_fmac_f64_e32 v[166:167], v[14:15], v[24:25]
	v_fma_f64 v[24:25], v[12:13], v[24:25], -v[26:27]
	scratch_load_b128 v[12:15], off, off offset:512
	v_add_f64_e32 v[26:27], v[170:171], v[168:169]
	v_add_f64_e32 v[160:161], v[160:161], v[162:163]
	s_wait_loadcnt_dscnt 0xb00
	v_mul_f64_e32 v[162:163], v[20:21], v[126:127]
	v_mul_f64_e32 v[126:127], v[22:23], v[126:127]
	v_fmac_f64_e32 v[164:165], v[6:7], v[28:29]
	v_fma_f64 v[168:169], v[4:5], v[28:29], -v[30:31]
	v_add_f64_e32 v[170:171], v[26:27], v[24:25]
	v_add_f64_e32 v[160:161], v[160:161], v[166:167]
	ds_load_b128 v[4:7], v2 offset:1088
	ds_load_b128 v[24:27], v2 offset:1104
	scratch_load_b128 v[28:31], off, off offset:528
	v_fmac_f64_e32 v[162:163], v[22:23], v[124:125]
	v_fma_f64 v[124:125], v[20:21], v[124:125], -v[126:127]
	scratch_load_b128 v[20:23], off, off offset:544
	s_wait_loadcnt_dscnt 0xc01
	v_mul_f64_e32 v[166:167], v[4:5], v[130:131]
	v_mul_f64_e32 v[130:131], v[6:7], v[130:131]
	v_add_f64_e32 v[126:127], v[170:171], v[168:169]
	v_add_f64_e32 v[160:161], v[160:161], v[164:165]
	s_wait_loadcnt_dscnt 0xb00
	v_mul_f64_e32 v[164:165], v[24:25], v[134:135]
	v_mul_f64_e32 v[134:135], v[26:27], v[134:135]
	v_fmac_f64_e32 v[166:167], v[6:7], v[128:129]
	v_fma_f64 v[168:169], v[4:5], v[128:129], -v[130:131]
	v_add_f64_e32 v[170:171], v[126:127], v[124:125]
	v_add_f64_e32 v[160:161], v[160:161], v[162:163]
	ds_load_b128 v[4:7], v2 offset:1120
	ds_load_b128 v[124:127], v2 offset:1136
	scratch_load_b128 v[128:131], off, off offset:560
	v_fmac_f64_e32 v[164:165], v[26:27], v[132:133]
	v_fma_f64 v[132:133], v[24:25], v[132:133], -v[134:135]
	scratch_load_b128 v[24:27], off, off offset:576
	s_wait_loadcnt_dscnt 0xc01
	v_mul_f64_e32 v[162:163], v[4:5], v[142:143]
	v_mul_f64_e32 v[142:143], v[6:7], v[142:143]
	;; [unrolled: 18-line block ×5, first 2 shown]
	v_add_f64_e32 v[154:155], v[170:171], v[168:169]
	v_add_f64_e32 v[160:161], v[160:161], v[166:167]
	s_wait_loadcnt_dscnt 0xa00
	v_mul_f64_e32 v[166:167], v[132:133], v[14:15]
	v_mul_f64_e32 v[14:15], v[134:135], v[14:15]
	v_fmac_f64_e32 v[162:163], v[6:7], v[136:137]
	v_fma_f64 v[168:169], v[4:5], v[136:137], -v[138:139]
	ds_load_b128 v[4:7], v2 offset:1248
	ds_load_b128 v[136:139], v2 offset:1264
	v_add_f64_e32 v[170:171], v[154:155], v[152:153]
	v_add_f64_e32 v[160:161], v[160:161], v[164:165]
	scratch_load_b128 v[152:155], off, off offset:688
	v_fmac_f64_e32 v[166:167], v[134:135], v[12:13]
	v_fma_f64 v[132:133], v[132:133], v[12:13], -v[14:15]
	scratch_load_b128 v[12:15], off, off offset:704
	s_wait_loadcnt_dscnt 0xb01
	v_mul_f64_e32 v[164:165], v[4:5], v[30:31]
	v_mul_f64_e32 v[30:31], v[6:7], v[30:31]
	v_add_f64_e32 v[134:135], v[170:171], v[168:169]
	v_add_f64_e32 v[160:161], v[160:161], v[162:163]
	s_wait_loadcnt_dscnt 0xa00
	v_mul_f64_e32 v[162:163], v[136:137], v[22:23]
	v_mul_f64_e32 v[22:23], v[138:139], v[22:23]
	v_fmac_f64_e32 v[164:165], v[6:7], v[28:29]
	v_fma_f64 v[168:169], v[4:5], v[28:29], -v[30:31]
	ds_load_b128 v[4:7], v2 offset:1280
	ds_load_b128 v[28:31], v2 offset:1296
	v_add_f64_e32 v[132:133], v[134:135], v[132:133]
	v_add_f64_e32 v[134:135], v[160:161], v[166:167]
	v_fmac_f64_e32 v[162:163], v[138:139], v[20:21]
	s_wait_loadcnt_dscnt 0x901
	v_mul_f64_e32 v[160:161], v[4:5], v[130:131]
	v_mul_f64_e32 v[130:131], v[6:7], v[130:131]
	v_fma_f64 v[20:21], v[136:137], v[20:21], -v[22:23]
	v_add_f64_e32 v[22:23], v[132:133], v[168:169]
	v_add_f64_e32 v[132:133], v[134:135], v[164:165]
	s_wait_loadcnt_dscnt 0x800
	v_mul_f64_e32 v[134:135], v[28:29], v[26:27]
	v_mul_f64_e32 v[26:27], v[30:31], v[26:27]
	v_fmac_f64_e32 v[160:161], v[6:7], v[128:129]
	v_fma_f64 v[128:129], v[4:5], v[128:129], -v[130:131]
	v_add_f64_e32 v[130:131], v[22:23], v[20:21]
	v_add_f64_e32 v[132:133], v[132:133], v[162:163]
	ds_load_b128 v[4:7], v2 offset:1312
	ds_load_b128 v[20:23], v2 offset:1328
	v_fmac_f64_e32 v[134:135], v[30:31], v[24:25]
	v_fma_f64 v[24:25], v[28:29], v[24:25], -v[26:27]
	s_wait_loadcnt_dscnt 0x701
	v_mul_f64_e32 v[136:137], v[4:5], v[142:143]
	v_mul_f64_e32 v[138:139], v[6:7], v[142:143]
	s_wait_loadcnt_dscnt 0x600
	v_mul_f64_e32 v[30:31], v[20:21], v[126:127]
	v_mul_f64_e32 v[126:127], v[22:23], v[126:127]
	v_add_f64_e32 v[26:27], v[130:131], v[128:129]
	v_add_f64_e32 v[28:29], v[132:133], v[160:161]
	v_fmac_f64_e32 v[136:137], v[6:7], v[140:141]
	v_fma_f64 v[128:129], v[4:5], v[140:141], -v[138:139]
	v_fmac_f64_e32 v[30:31], v[22:23], v[124:125]
	v_fma_f64 v[20:21], v[20:21], v[124:125], -v[126:127]
	v_add_f64_e32 v[130:131], v[26:27], v[24:25]
	v_add_f64_e32 v[28:29], v[28:29], v[134:135]
	ds_load_b128 v[4:7], v2 offset:1344
	ds_load_b128 v[24:27], v2 offset:1360
	s_wait_loadcnt_dscnt 0x501
	v_mul_f64_e32 v[132:133], v[4:5], v[158:159]
	v_mul_f64_e32 v[134:135], v[6:7], v[158:159]
	s_wait_loadcnt_dscnt 0x400
	v_mul_f64_e32 v[124:125], v[24:25], v[10:11]
	v_mul_f64_e32 v[10:11], v[26:27], v[10:11]
	v_add_f64_e32 v[22:23], v[130:131], v[128:129]
	v_add_f64_e32 v[28:29], v[28:29], v[136:137]
	v_fmac_f64_e32 v[132:133], v[6:7], v[156:157]
	v_fma_f64 v[126:127], v[4:5], v[156:157], -v[134:135]
	v_fmac_f64_e32 v[124:125], v[26:27], v[8:9]
	v_fma_f64 v[8:9], v[24:25], v[8:9], -v[10:11]
	v_add_f64_e32 v[128:129], v[22:23], v[20:21]
	v_add_f64_e32 v[28:29], v[28:29], v[30:31]
	ds_load_b128 v[4:7], v2 offset:1376
	ds_load_b128 v[20:23], v2 offset:1392
	;; [unrolled: 16-line block ×3, first 2 shown]
	s_wait_loadcnt_dscnt 0x101
	v_mul_f64_e32 v[2:3], v[4:5], v[154:155]
	v_mul_f64_e32 v[124:125], v[6:7], v[154:155]
	s_wait_loadcnt_dscnt 0x0
	v_mul_f64_e32 v[22:23], v[8:9], v[14:15]
	v_mul_f64_e32 v[14:15], v[10:11], v[14:15]
	v_add_f64_e32 v[18:19], v[126:127], v[28:29]
	v_add_f64_e32 v[20:21], v[24:25], v[30:31]
	v_fmac_f64_e32 v[2:3], v[6:7], v[152:153]
	v_fma_f64 v[4:5], v[4:5], v[152:153], -v[124:125]
	v_fmac_f64_e32 v[22:23], v[10:11], v[12:13]
	v_fma_f64 v[8:9], v[8:9], v[12:13], -v[14:15]
	v_add_f64_e32 v[6:7], v[18:19], v[16:17]
	v_add_f64_e32 v[16:17], v[20:21], v[26:27]
	s_delay_alu instid0(VALU_DEP_2) | instskip(NEXT) | instid1(VALU_DEP_2)
	v_add_f64_e32 v[4:5], v[6:7], v[4:5]
	v_add_f64_e32 v[2:3], v[16:17], v[2:3]
	s_delay_alu instid0(VALU_DEP_2) | instskip(NEXT) | instid1(VALU_DEP_2)
	;; [unrolled: 3-line block ×3, first 2 shown]
	v_add_f64_e64 v[2:3], v[148:149], -v[4:5]
	v_add_f64_e64 v[4:5], v[150:151], -v[6:7]
	scratch_store_b128 off, v[2:5], off offset:224
	s_wait_xcnt 0x0
	v_cmpx_lt_u32_e32 13, v1
	s_cbranch_execz .LBB108_257
; %bb.256:
	scratch_load_b128 v[2:5], off, s48
	v_mov_b32_e32 v6, 0
	s_delay_alu instid0(VALU_DEP_1)
	v_dual_mov_b32 v7, v6 :: v_dual_mov_b32 v8, v6
	v_mov_b32_e32 v9, v6
	scratch_store_b128 off, v[6:9], off offset:208
	s_wait_loadcnt 0x0
	ds_store_b128 v122, v[2:5]
.LBB108_257:
	s_wait_xcnt 0x0
	s_or_b32 exec_lo, exec_lo, s2
	s_wait_storecnt_dscnt 0x0
	s_barrier_signal -1
	s_barrier_wait -1
	s_clause 0x9
	scratch_load_b128 v[4:7], off, off offset:224
	scratch_load_b128 v[8:11], off, off offset:240
	;; [unrolled: 1-line block ×10, first 2 shown]
	v_mov_b32_e32 v2, 0
	s_mov_b32 s2, exec_lo
	ds_load_b128 v[136:139], v2 offset:944
	s_clause 0x2
	scratch_load_b128 v[140:143], off, off offset:384
	scratch_load_b128 v[144:147], off, off offset:208
	;; [unrolled: 1-line block ×3, first 2 shown]
	s_wait_loadcnt_dscnt 0xc00
	v_mul_f64_e32 v[156:157], v[138:139], v[6:7]
	v_mul_f64_e32 v[160:161], v[136:137], v[6:7]
	ds_load_b128 v[148:151], v2 offset:960
	v_fma_f64 v[164:165], v[136:137], v[4:5], -v[156:157]
	v_fmac_f64_e32 v[160:161], v[138:139], v[4:5]
	ds_load_b128 v[4:7], v2 offset:976
	s_wait_loadcnt_dscnt 0xb01
	v_mul_f64_e32 v[162:163], v[148:149], v[10:11]
	v_mul_f64_e32 v[10:11], v[150:151], v[10:11]
	scratch_load_b128 v[136:139], off, off offset:416
	ds_load_b128 v[156:159], v2 offset:992
	s_wait_loadcnt_dscnt 0xb01
	v_mul_f64_e32 v[166:167], v[4:5], v[14:15]
	v_mul_f64_e32 v[14:15], v[6:7], v[14:15]
	v_add_f64_e32 v[160:161], 0, v[160:161]
	v_fmac_f64_e32 v[162:163], v[150:151], v[8:9]
	v_fma_f64 v[148:149], v[148:149], v[8:9], -v[10:11]
	v_add_f64_e32 v[150:151], 0, v[164:165]
	scratch_load_b128 v[8:11], off, off offset:432
	v_fmac_f64_e32 v[166:167], v[6:7], v[12:13]
	v_fma_f64 v[168:169], v[4:5], v[12:13], -v[14:15]
	ds_load_b128 v[4:7], v2 offset:1008
	s_wait_loadcnt_dscnt 0xb01
	v_mul_f64_e32 v[164:165], v[156:157], v[18:19]
	v_mul_f64_e32 v[18:19], v[158:159], v[18:19]
	scratch_load_b128 v[12:15], off, off offset:448
	v_add_f64_e32 v[160:161], v[160:161], v[162:163]
	v_add_f64_e32 v[170:171], v[150:151], v[148:149]
	ds_load_b128 v[148:151], v2 offset:1024
	s_wait_loadcnt_dscnt 0xb01
	v_mul_f64_e32 v[162:163], v[4:5], v[22:23]
	v_mul_f64_e32 v[22:23], v[6:7], v[22:23]
	v_fmac_f64_e32 v[164:165], v[158:159], v[16:17]
	v_fma_f64 v[156:157], v[156:157], v[16:17], -v[18:19]
	scratch_load_b128 v[16:19], off, off offset:464
	v_add_f64_e32 v[160:161], v[160:161], v[166:167]
	v_add_f64_e32 v[158:159], v[170:171], v[168:169]
	v_fmac_f64_e32 v[162:163], v[6:7], v[20:21]
	v_fma_f64 v[168:169], v[4:5], v[20:21], -v[22:23]
	ds_load_b128 v[4:7], v2 offset:1040
	s_wait_loadcnt_dscnt 0xb01
	v_mul_f64_e32 v[166:167], v[148:149], v[26:27]
	v_mul_f64_e32 v[26:27], v[150:151], v[26:27]
	scratch_load_b128 v[20:23], off, off offset:480
	v_add_f64_e32 v[160:161], v[160:161], v[164:165]
	s_wait_loadcnt_dscnt 0xb00
	v_mul_f64_e32 v[164:165], v[4:5], v[30:31]
	v_add_f64_e32 v[170:171], v[158:159], v[156:157]
	v_mul_f64_e32 v[30:31], v[6:7], v[30:31]
	ds_load_b128 v[156:159], v2 offset:1056
	v_fmac_f64_e32 v[166:167], v[150:151], v[24:25]
	v_fma_f64 v[148:149], v[148:149], v[24:25], -v[26:27]
	scratch_load_b128 v[24:27], off, off offset:496
	v_add_f64_e32 v[160:161], v[160:161], v[162:163]
	v_fmac_f64_e32 v[164:165], v[6:7], v[28:29]
	v_add_f64_e32 v[150:151], v[170:171], v[168:169]
	v_fma_f64 v[168:169], v[4:5], v[28:29], -v[30:31]
	ds_load_b128 v[4:7], v2 offset:1072
	s_wait_loadcnt_dscnt 0xb01
	v_mul_f64_e32 v[162:163], v[156:157], v[126:127]
	v_mul_f64_e32 v[126:127], v[158:159], v[126:127]
	scratch_load_b128 v[28:31], off, off offset:512
	v_add_f64_e32 v[160:161], v[160:161], v[166:167]
	s_wait_loadcnt_dscnt 0xb00
	v_mul_f64_e32 v[166:167], v[4:5], v[130:131]
	v_add_f64_e32 v[170:171], v[150:151], v[148:149]
	v_mul_f64_e32 v[130:131], v[6:7], v[130:131]
	ds_load_b128 v[148:151], v2 offset:1088
	v_fmac_f64_e32 v[162:163], v[158:159], v[124:125]
	v_fma_f64 v[156:157], v[156:157], v[124:125], -v[126:127]
	scratch_load_b128 v[124:127], off, off offset:528
	v_add_f64_e32 v[160:161], v[160:161], v[164:165]
	v_fmac_f64_e32 v[166:167], v[6:7], v[128:129]
	v_add_f64_e32 v[158:159], v[170:171], v[168:169]
	;; [unrolled: 18-line block ×3, first 2 shown]
	v_fma_f64 v[168:169], v[4:5], v[140:141], -v[142:143]
	ds_load_b128 v[4:7], v2 offset:1136
	s_wait_loadcnt_dscnt 0xa01
	v_mul_f64_e32 v[166:167], v[156:157], v[154:155]
	v_mul_f64_e32 v[154:155], v[158:159], v[154:155]
	scratch_load_b128 v[140:143], off, off offset:576
	v_add_f64_e32 v[160:161], v[160:161], v[164:165]
	v_add_f64_e32 v[170:171], v[150:151], v[148:149]
	s_wait_loadcnt_dscnt 0xa00
	v_mul_f64_e32 v[164:165], v[4:5], v[138:139]
	v_mul_f64_e32 v[138:139], v[6:7], v[138:139]
	v_fmac_f64_e32 v[166:167], v[158:159], v[152:153]
	v_fma_f64 v[156:157], v[156:157], v[152:153], -v[154:155]
	ds_load_b128 v[148:151], v2 offset:1152
	scratch_load_b128 v[152:155], off, off offset:592
	v_add_f64_e32 v[160:161], v[160:161], v[162:163]
	v_add_f64_e32 v[158:159], v[170:171], v[168:169]
	v_fmac_f64_e32 v[164:165], v[6:7], v[136:137]
	v_fma_f64 v[168:169], v[4:5], v[136:137], -v[138:139]
	ds_load_b128 v[4:7], v2 offset:1168
	s_wait_loadcnt_dscnt 0xa01
	v_mul_f64_e32 v[162:163], v[148:149], v[10:11]
	v_mul_f64_e32 v[10:11], v[150:151], v[10:11]
	scratch_load_b128 v[136:139], off, off offset:608
	v_add_f64_e32 v[160:161], v[160:161], v[166:167]
	s_wait_loadcnt_dscnt 0xa00
	v_mul_f64_e32 v[166:167], v[4:5], v[14:15]
	v_add_f64_e32 v[170:171], v[158:159], v[156:157]
	v_mul_f64_e32 v[14:15], v[6:7], v[14:15]
	ds_load_b128 v[156:159], v2 offset:1184
	v_fmac_f64_e32 v[162:163], v[150:151], v[8:9]
	v_fma_f64 v[148:149], v[148:149], v[8:9], -v[10:11]
	scratch_load_b128 v[8:11], off, off offset:624
	v_add_f64_e32 v[160:161], v[160:161], v[164:165]
	v_fmac_f64_e32 v[166:167], v[6:7], v[12:13]
	v_add_f64_e32 v[150:151], v[170:171], v[168:169]
	v_fma_f64 v[168:169], v[4:5], v[12:13], -v[14:15]
	ds_load_b128 v[4:7], v2 offset:1200
	s_wait_loadcnt_dscnt 0xa01
	v_mul_f64_e32 v[164:165], v[156:157], v[18:19]
	v_mul_f64_e32 v[18:19], v[158:159], v[18:19]
	scratch_load_b128 v[12:15], off, off offset:640
	v_add_f64_e32 v[160:161], v[160:161], v[162:163]
	s_wait_loadcnt_dscnt 0xa00
	v_mul_f64_e32 v[162:163], v[4:5], v[22:23]
	v_add_f64_e32 v[170:171], v[150:151], v[148:149]
	v_mul_f64_e32 v[22:23], v[6:7], v[22:23]
	ds_load_b128 v[148:151], v2 offset:1216
	v_fmac_f64_e32 v[164:165], v[158:159], v[16:17]
	v_fma_f64 v[156:157], v[156:157], v[16:17], -v[18:19]
	scratch_load_b128 v[16:19], off, off offset:656
	v_add_f64_e32 v[160:161], v[160:161], v[166:167]
	v_fmac_f64_e32 v[162:163], v[6:7], v[20:21]
	v_add_f64_e32 v[158:159], v[170:171], v[168:169]
	;; [unrolled: 18-line block ×3, first 2 shown]
	v_fma_f64 v[168:169], v[4:5], v[28:29], -v[30:31]
	ds_load_b128 v[4:7], v2 offset:1264
	s_wait_loadcnt_dscnt 0xa01
	v_mul_f64_e32 v[162:163], v[156:157], v[126:127]
	v_mul_f64_e32 v[126:127], v[158:159], v[126:127]
	scratch_load_b128 v[28:31], off, off offset:704
	v_add_f64_e32 v[160:161], v[160:161], v[166:167]
	s_wait_loadcnt_dscnt 0xa00
	v_mul_f64_e32 v[166:167], v[4:5], v[130:131]
	v_add_f64_e32 v[170:171], v[150:151], v[148:149]
	v_mul_f64_e32 v[130:131], v[6:7], v[130:131]
	ds_load_b128 v[148:151], v2 offset:1280
	v_fmac_f64_e32 v[162:163], v[158:159], v[124:125]
	v_fma_f64 v[124:125], v[156:157], v[124:125], -v[126:127]
	s_wait_loadcnt_dscnt 0x900
	v_mul_f64_e32 v[158:159], v[148:149], v[134:135]
	v_mul_f64_e32 v[134:135], v[150:151], v[134:135]
	v_add_f64_e32 v[156:157], v[160:161], v[164:165]
	v_fmac_f64_e32 v[166:167], v[6:7], v[128:129]
	v_add_f64_e32 v[126:127], v[170:171], v[168:169]
	v_fma_f64 v[128:129], v[4:5], v[128:129], -v[130:131]
	v_fmac_f64_e32 v[158:159], v[150:151], v[132:133]
	v_fma_f64 v[132:133], v[148:149], v[132:133], -v[134:135]
	v_add_f64_e32 v[156:157], v[156:157], v[162:163]
	v_add_f64_e32 v[130:131], v[126:127], v[124:125]
	ds_load_b128 v[4:7], v2 offset:1296
	ds_load_b128 v[124:127], v2 offset:1312
	s_wait_loadcnt_dscnt 0x801
	v_mul_f64_e32 v[160:161], v[4:5], v[142:143]
	v_mul_f64_e32 v[142:143], v[6:7], v[142:143]
	s_wait_loadcnt_dscnt 0x700
	v_mul_f64_e32 v[134:135], v[124:125], v[154:155]
	v_mul_f64_e32 v[148:149], v[126:127], v[154:155]
	v_add_f64_e32 v[128:129], v[130:131], v[128:129]
	v_add_f64_e32 v[130:131], v[156:157], v[166:167]
	v_fmac_f64_e32 v[160:161], v[6:7], v[140:141]
	v_fma_f64 v[140:141], v[4:5], v[140:141], -v[142:143]
	v_fmac_f64_e32 v[134:135], v[126:127], v[152:153]
	v_fma_f64 v[124:125], v[124:125], v[152:153], -v[148:149]
	v_add_f64_e32 v[132:133], v[128:129], v[132:133]
	v_add_f64_e32 v[142:143], v[130:131], v[158:159]
	ds_load_b128 v[4:7], v2 offset:1328
	ds_load_b128 v[128:131], v2 offset:1344
	s_wait_loadcnt_dscnt 0x601
	v_mul_f64_e32 v[150:151], v[4:5], v[138:139]
	v_mul_f64_e32 v[138:139], v[6:7], v[138:139]
	v_add_f64_e32 v[126:127], v[132:133], v[140:141]
	v_add_f64_e32 v[132:133], v[142:143], v[160:161]
	s_wait_loadcnt_dscnt 0x500
	v_mul_f64_e32 v[140:141], v[128:129], v[10:11]
	v_mul_f64_e32 v[10:11], v[130:131], v[10:11]
	v_fmac_f64_e32 v[150:151], v[6:7], v[136:137]
	v_fma_f64 v[136:137], v[4:5], v[136:137], -v[138:139]
	v_add_f64_e32 v[138:139], v[126:127], v[124:125]
	v_add_f64_e32 v[132:133], v[132:133], v[134:135]
	ds_load_b128 v[4:7], v2 offset:1360
	ds_load_b128 v[124:127], v2 offset:1376
	v_fmac_f64_e32 v[140:141], v[130:131], v[8:9]
	v_fma_f64 v[8:9], v[128:129], v[8:9], -v[10:11]
	s_wait_loadcnt_dscnt 0x401
	v_mul_f64_e32 v[134:135], v[4:5], v[14:15]
	v_mul_f64_e32 v[14:15], v[6:7], v[14:15]
	s_wait_loadcnt_dscnt 0x300
	v_mul_f64_e32 v[130:131], v[124:125], v[18:19]
	v_mul_f64_e32 v[18:19], v[126:127], v[18:19]
	v_add_f64_e32 v[10:11], v[138:139], v[136:137]
	v_add_f64_e32 v[128:129], v[132:133], v[150:151]
	v_fmac_f64_e32 v[134:135], v[6:7], v[12:13]
	v_fma_f64 v[12:13], v[4:5], v[12:13], -v[14:15]
	v_fmac_f64_e32 v[130:131], v[126:127], v[16:17]
	v_fma_f64 v[16:17], v[124:125], v[16:17], -v[18:19]
	v_add_f64_e32 v[14:15], v[10:11], v[8:9]
	v_add_f64_e32 v[128:129], v[128:129], v[140:141]
	ds_load_b128 v[4:7], v2 offset:1392
	ds_load_b128 v[8:11], v2 offset:1408
	s_wait_loadcnt_dscnt 0x201
	v_mul_f64_e32 v[132:133], v[4:5], v[22:23]
	v_mul_f64_e32 v[22:23], v[6:7], v[22:23]
	s_wait_loadcnt_dscnt 0x100
	v_mul_f64_e32 v[18:19], v[8:9], v[26:27]
	v_mul_f64_e32 v[26:27], v[10:11], v[26:27]
	v_add_f64_e32 v[12:13], v[14:15], v[12:13]
	v_add_f64_e32 v[14:15], v[128:129], v[134:135]
	v_fmac_f64_e32 v[132:133], v[6:7], v[20:21]
	v_fma_f64 v[20:21], v[4:5], v[20:21], -v[22:23]
	ds_load_b128 v[4:7], v2 offset:1424
	v_fmac_f64_e32 v[18:19], v[10:11], v[24:25]
	v_fma_f64 v[8:9], v[8:9], v[24:25], -v[26:27]
	v_add_f64_e32 v[12:13], v[12:13], v[16:17]
	v_add_f64_e32 v[14:15], v[14:15], v[130:131]
	s_wait_loadcnt_dscnt 0x0
	v_mul_f64_e32 v[16:17], v[4:5], v[30:31]
	v_mul_f64_e32 v[22:23], v[6:7], v[30:31]
	s_delay_alu instid0(VALU_DEP_4) | instskip(NEXT) | instid1(VALU_DEP_4)
	v_add_f64_e32 v[10:11], v[12:13], v[20:21]
	v_add_f64_e32 v[12:13], v[14:15], v[132:133]
	s_delay_alu instid0(VALU_DEP_4) | instskip(NEXT) | instid1(VALU_DEP_4)
	v_fmac_f64_e32 v[16:17], v[6:7], v[28:29]
	v_fma_f64 v[4:5], v[4:5], v[28:29], -v[22:23]
	s_delay_alu instid0(VALU_DEP_4) | instskip(NEXT) | instid1(VALU_DEP_4)
	v_add_f64_e32 v[6:7], v[10:11], v[8:9]
	v_add_f64_e32 v[8:9], v[12:13], v[18:19]
	s_delay_alu instid0(VALU_DEP_2) | instskip(NEXT) | instid1(VALU_DEP_2)
	v_add_f64_e32 v[4:5], v[6:7], v[4:5]
	v_add_f64_e32 v[6:7], v[8:9], v[16:17]
	s_delay_alu instid0(VALU_DEP_2) | instskip(NEXT) | instid1(VALU_DEP_2)
	v_add_f64_e64 v[4:5], v[144:145], -v[4:5]
	v_add_f64_e64 v[6:7], v[146:147], -v[6:7]
	scratch_store_b128 off, v[4:7], off offset:208
	s_wait_xcnt 0x0
	v_cmpx_lt_u32_e32 12, v1
	s_cbranch_execz .LBB108_259
; %bb.258:
	scratch_load_b128 v[6:9], off, s49
	v_dual_mov_b32 v3, v2 :: v_dual_mov_b32 v4, v2
	v_mov_b32_e32 v5, v2
	scratch_store_b128 off, v[2:5], off offset:192
	s_wait_loadcnt 0x0
	ds_store_b128 v122, v[6:9]
.LBB108_259:
	s_wait_xcnt 0x0
	s_or_b32 exec_lo, exec_lo, s2
	s_wait_storecnt_dscnt 0x0
	s_barrier_signal -1
	s_barrier_wait -1
	s_clause 0x9
	scratch_load_b128 v[4:7], off, off offset:208
	scratch_load_b128 v[8:11], off, off offset:224
	scratch_load_b128 v[12:15], off, off offset:240
	scratch_load_b128 v[16:19], off, off offset:256
	scratch_load_b128 v[20:23], off, off offset:272
	scratch_load_b128 v[24:27], off, off offset:288
	scratch_load_b128 v[28:31], off, off offset:304
	scratch_load_b128 v[124:127], off, off offset:320
	scratch_load_b128 v[128:131], off, off offset:336
	scratch_load_b128 v[132:135], off, off offset:352
	ds_load_b128 v[136:139], v2 offset:928
	ds_load_b128 v[144:147], v2 offset:944
	s_clause 0x2
	scratch_load_b128 v[140:143], off, off offset:368
	scratch_load_b128 v[148:151], off, off offset:192
	;; [unrolled: 1-line block ×3, first 2 shown]
	s_mov_b32 s2, exec_lo
	s_wait_loadcnt_dscnt 0xc01
	v_mul_f64_e32 v[156:157], v[138:139], v[6:7]
	v_mul_f64_e32 v[160:161], v[136:137], v[6:7]
	s_wait_loadcnt_dscnt 0xb00
	v_mul_f64_e32 v[162:163], v[144:145], v[10:11]
	v_mul_f64_e32 v[10:11], v[146:147], v[10:11]
	s_delay_alu instid0(VALU_DEP_4) | instskip(NEXT) | instid1(VALU_DEP_4)
	v_fma_f64 v[164:165], v[136:137], v[4:5], -v[156:157]
	v_fmac_f64_e32 v[160:161], v[138:139], v[4:5]
	ds_load_b128 v[4:7], v2 offset:960
	ds_load_b128 v[136:139], v2 offset:976
	scratch_load_b128 v[156:159], off, off offset:400
	v_fmac_f64_e32 v[162:163], v[146:147], v[8:9]
	v_fma_f64 v[144:145], v[144:145], v[8:9], -v[10:11]
	scratch_load_b128 v[8:11], off, off offset:416
	s_wait_loadcnt_dscnt 0xc01
	v_mul_f64_e32 v[166:167], v[4:5], v[14:15]
	v_mul_f64_e32 v[14:15], v[6:7], v[14:15]
	v_add_f64_e32 v[146:147], 0, v[164:165]
	v_add_f64_e32 v[160:161], 0, v[160:161]
	s_wait_loadcnt_dscnt 0xb00
	v_mul_f64_e32 v[164:165], v[136:137], v[18:19]
	v_mul_f64_e32 v[18:19], v[138:139], v[18:19]
	v_fmac_f64_e32 v[166:167], v[6:7], v[12:13]
	v_fma_f64 v[168:169], v[4:5], v[12:13], -v[14:15]
	ds_load_b128 v[4:7], v2 offset:992
	ds_load_b128 v[12:15], v2 offset:1008
	v_add_f64_e32 v[170:171], v[146:147], v[144:145]
	v_add_f64_e32 v[160:161], v[160:161], v[162:163]
	scratch_load_b128 v[144:147], off, off offset:432
	v_fmac_f64_e32 v[164:165], v[138:139], v[16:17]
	v_fma_f64 v[136:137], v[136:137], v[16:17], -v[18:19]
	scratch_load_b128 v[16:19], off, off offset:448
	s_wait_loadcnt_dscnt 0xc01
	v_mul_f64_e32 v[162:163], v[4:5], v[22:23]
	v_mul_f64_e32 v[22:23], v[6:7], v[22:23]
	v_add_f64_e32 v[138:139], v[170:171], v[168:169]
	v_add_f64_e32 v[160:161], v[160:161], v[166:167]
	s_wait_loadcnt_dscnt 0xb00
	v_mul_f64_e32 v[166:167], v[12:13], v[26:27]
	v_mul_f64_e32 v[26:27], v[14:15], v[26:27]
	v_fmac_f64_e32 v[162:163], v[6:7], v[20:21]
	v_fma_f64 v[168:169], v[4:5], v[20:21], -v[22:23]
	ds_load_b128 v[4:7], v2 offset:1024
	ds_load_b128 v[20:23], v2 offset:1040
	v_add_f64_e32 v[170:171], v[138:139], v[136:137]
	v_add_f64_e32 v[160:161], v[160:161], v[164:165]
	scratch_load_b128 v[136:139], off, off offset:464
	s_wait_loadcnt_dscnt 0xb01
	v_mul_f64_e32 v[164:165], v[4:5], v[30:31]
	v_mul_f64_e32 v[30:31], v[6:7], v[30:31]
	v_fmac_f64_e32 v[166:167], v[14:15], v[24:25]
	v_fma_f64 v[24:25], v[12:13], v[24:25], -v[26:27]
	scratch_load_b128 v[12:15], off, off offset:480
	v_add_f64_e32 v[26:27], v[170:171], v[168:169]
	v_add_f64_e32 v[160:161], v[160:161], v[162:163]
	s_wait_loadcnt_dscnt 0xb00
	v_mul_f64_e32 v[162:163], v[20:21], v[126:127]
	v_mul_f64_e32 v[126:127], v[22:23], v[126:127]
	v_fmac_f64_e32 v[164:165], v[6:7], v[28:29]
	v_fma_f64 v[168:169], v[4:5], v[28:29], -v[30:31]
	v_add_f64_e32 v[170:171], v[26:27], v[24:25]
	v_add_f64_e32 v[160:161], v[160:161], v[166:167]
	ds_load_b128 v[4:7], v2 offset:1056
	ds_load_b128 v[24:27], v2 offset:1072
	scratch_load_b128 v[28:31], off, off offset:496
	v_fmac_f64_e32 v[162:163], v[22:23], v[124:125]
	v_fma_f64 v[124:125], v[20:21], v[124:125], -v[126:127]
	scratch_load_b128 v[20:23], off, off offset:512
	s_wait_loadcnt_dscnt 0xc01
	v_mul_f64_e32 v[166:167], v[4:5], v[130:131]
	v_mul_f64_e32 v[130:131], v[6:7], v[130:131]
	v_add_f64_e32 v[126:127], v[170:171], v[168:169]
	v_add_f64_e32 v[160:161], v[160:161], v[164:165]
	s_wait_loadcnt_dscnt 0xb00
	v_mul_f64_e32 v[164:165], v[24:25], v[134:135]
	v_mul_f64_e32 v[134:135], v[26:27], v[134:135]
	v_fmac_f64_e32 v[166:167], v[6:7], v[128:129]
	v_fma_f64 v[168:169], v[4:5], v[128:129], -v[130:131]
	v_add_f64_e32 v[170:171], v[126:127], v[124:125]
	v_add_f64_e32 v[160:161], v[160:161], v[162:163]
	ds_load_b128 v[4:7], v2 offset:1088
	ds_load_b128 v[124:127], v2 offset:1104
	scratch_load_b128 v[128:131], off, off offset:528
	v_fmac_f64_e32 v[164:165], v[26:27], v[132:133]
	v_fma_f64 v[132:133], v[24:25], v[132:133], -v[134:135]
	scratch_load_b128 v[24:27], off, off offset:544
	s_wait_loadcnt_dscnt 0xc01
	v_mul_f64_e32 v[162:163], v[4:5], v[142:143]
	v_mul_f64_e32 v[142:143], v[6:7], v[142:143]
	;; [unrolled: 18-line block ×5, first 2 shown]
	v_add_f64_e32 v[154:155], v[170:171], v[168:169]
	v_add_f64_e32 v[160:161], v[160:161], v[166:167]
	s_wait_loadcnt_dscnt 0xa00
	v_mul_f64_e32 v[166:167], v[132:133], v[14:15]
	v_mul_f64_e32 v[14:15], v[134:135], v[14:15]
	v_fmac_f64_e32 v[162:163], v[6:7], v[136:137]
	v_fma_f64 v[168:169], v[4:5], v[136:137], -v[138:139]
	ds_load_b128 v[4:7], v2 offset:1216
	ds_load_b128 v[136:139], v2 offset:1232
	v_add_f64_e32 v[170:171], v[154:155], v[152:153]
	v_add_f64_e32 v[160:161], v[160:161], v[164:165]
	scratch_load_b128 v[152:155], off, off offset:656
	v_fmac_f64_e32 v[166:167], v[134:135], v[12:13]
	v_fma_f64 v[132:133], v[132:133], v[12:13], -v[14:15]
	scratch_load_b128 v[12:15], off, off offset:672
	s_wait_loadcnt_dscnt 0xb01
	v_mul_f64_e32 v[164:165], v[4:5], v[30:31]
	v_mul_f64_e32 v[30:31], v[6:7], v[30:31]
	v_add_f64_e32 v[134:135], v[170:171], v[168:169]
	v_add_f64_e32 v[160:161], v[160:161], v[162:163]
	s_wait_loadcnt_dscnt 0xa00
	v_mul_f64_e32 v[162:163], v[136:137], v[22:23]
	v_mul_f64_e32 v[22:23], v[138:139], v[22:23]
	v_fmac_f64_e32 v[164:165], v[6:7], v[28:29]
	v_fma_f64 v[168:169], v[4:5], v[28:29], -v[30:31]
	ds_load_b128 v[4:7], v2 offset:1248
	ds_load_b128 v[28:31], v2 offset:1264
	v_add_f64_e32 v[170:171], v[134:135], v[132:133]
	v_add_f64_e32 v[160:161], v[160:161], v[166:167]
	scratch_load_b128 v[132:135], off, off offset:688
	s_wait_loadcnt_dscnt 0xa01
	v_mul_f64_e32 v[166:167], v[4:5], v[130:131]
	v_mul_f64_e32 v[130:131], v[6:7], v[130:131]
	v_fmac_f64_e32 v[162:163], v[138:139], v[20:21]
	v_fma_f64 v[136:137], v[136:137], v[20:21], -v[22:23]
	scratch_load_b128 v[20:23], off, off offset:704
	v_add_f64_e32 v[138:139], v[170:171], v[168:169]
	v_add_f64_e32 v[160:161], v[160:161], v[164:165]
	s_wait_loadcnt_dscnt 0xa00
	v_mul_f64_e32 v[164:165], v[28:29], v[26:27]
	v_mul_f64_e32 v[26:27], v[30:31], v[26:27]
	v_fmac_f64_e32 v[166:167], v[6:7], v[128:129]
	v_fma_f64 v[168:169], v[4:5], v[128:129], -v[130:131]
	ds_load_b128 v[4:7], v2 offset:1280
	ds_load_b128 v[128:131], v2 offset:1296
	v_add_f64_e32 v[136:137], v[138:139], v[136:137]
	v_add_f64_e32 v[138:139], v[160:161], v[162:163]
	v_fmac_f64_e32 v[164:165], v[30:31], v[24:25]
	s_wait_loadcnt_dscnt 0x901
	v_mul_f64_e32 v[160:161], v[4:5], v[142:143]
	v_mul_f64_e32 v[142:143], v[6:7], v[142:143]
	v_fma_f64 v[24:25], v[28:29], v[24:25], -v[26:27]
	s_wait_loadcnt_dscnt 0x800
	v_mul_f64_e32 v[30:31], v[128:129], v[126:127]
	v_mul_f64_e32 v[126:127], v[130:131], v[126:127]
	v_add_f64_e32 v[26:27], v[136:137], v[168:169]
	v_add_f64_e32 v[28:29], v[138:139], v[166:167]
	v_fmac_f64_e32 v[160:161], v[6:7], v[140:141]
	v_fma_f64 v[136:137], v[4:5], v[140:141], -v[142:143]
	v_fmac_f64_e32 v[30:31], v[130:131], v[124:125]
	v_fma_f64 v[124:125], v[128:129], v[124:125], -v[126:127]
	v_add_f64_e32 v[138:139], v[26:27], v[24:25]
	v_add_f64_e32 v[28:29], v[28:29], v[164:165]
	ds_load_b128 v[4:7], v2 offset:1312
	ds_load_b128 v[24:27], v2 offset:1328
	s_wait_loadcnt_dscnt 0x701
	v_mul_f64_e32 v[140:141], v[4:5], v[158:159]
	v_mul_f64_e32 v[142:143], v[6:7], v[158:159]
	s_wait_loadcnt_dscnt 0x600
	v_mul_f64_e32 v[128:129], v[24:25], v[10:11]
	v_mul_f64_e32 v[10:11], v[26:27], v[10:11]
	v_add_f64_e32 v[126:127], v[138:139], v[136:137]
	v_add_f64_e32 v[28:29], v[28:29], v[160:161]
	v_fmac_f64_e32 v[140:141], v[6:7], v[156:157]
	v_fma_f64 v[130:131], v[4:5], v[156:157], -v[142:143]
	v_fmac_f64_e32 v[128:129], v[26:27], v[8:9]
	v_fma_f64 v[8:9], v[24:25], v[8:9], -v[10:11]
	v_add_f64_e32 v[124:125], v[126:127], v[124:125]
	v_add_f64_e32 v[126:127], v[28:29], v[30:31]
	ds_load_b128 v[4:7], v2 offset:1344
	ds_load_b128 v[28:31], v2 offset:1360
	s_wait_loadcnt_dscnt 0x501
	v_mul_f64_e32 v[136:137], v[4:5], v[146:147]
	v_mul_f64_e32 v[138:139], v[6:7], v[146:147]
	;; [unrolled: 16-line block ×4, first 2 shown]
	v_add_f64_e32 v[10:11], v[18:19], v[124:125]
	v_add_f64_e32 v[12:13], v[24:25], v[128:129]
	s_wait_loadcnt_dscnt 0x0
	v_mul_f64_e32 v[18:19], v[14:15], v[22:23]
	v_mul_f64_e32 v[22:23], v[16:17], v[22:23]
	v_fmac_f64_e32 v[2:3], v[6:7], v[132:133]
	v_fma_f64 v[4:5], v[4:5], v[132:133], -v[26:27]
	v_add_f64_e32 v[6:7], v[10:11], v[8:9]
	v_add_f64_e32 v[8:9], v[12:13], v[28:29]
	v_fmac_f64_e32 v[18:19], v[16:17], v[20:21]
	v_fma_f64 v[10:11], v[14:15], v[20:21], -v[22:23]
	s_delay_alu instid0(VALU_DEP_4) | instskip(NEXT) | instid1(VALU_DEP_4)
	v_add_f64_e32 v[4:5], v[6:7], v[4:5]
	v_add_f64_e32 v[2:3], v[8:9], v[2:3]
	s_delay_alu instid0(VALU_DEP_2) | instskip(NEXT) | instid1(VALU_DEP_2)
	v_add_f64_e32 v[4:5], v[4:5], v[10:11]
	v_add_f64_e32 v[6:7], v[2:3], v[18:19]
	s_delay_alu instid0(VALU_DEP_2) | instskip(NEXT) | instid1(VALU_DEP_2)
	v_add_f64_e64 v[2:3], v[148:149], -v[4:5]
	v_add_f64_e64 v[4:5], v[150:151], -v[6:7]
	scratch_store_b128 off, v[2:5], off offset:192
	s_wait_xcnt 0x0
	v_cmpx_lt_u32_e32 11, v1
	s_cbranch_execz .LBB108_261
; %bb.260:
	scratch_load_b128 v[2:5], off, s50
	v_mov_b32_e32 v6, 0
	s_delay_alu instid0(VALU_DEP_1)
	v_dual_mov_b32 v7, v6 :: v_dual_mov_b32 v8, v6
	v_mov_b32_e32 v9, v6
	scratch_store_b128 off, v[6:9], off offset:176
	s_wait_loadcnt 0x0
	ds_store_b128 v122, v[2:5]
.LBB108_261:
	s_wait_xcnt 0x0
	s_or_b32 exec_lo, exec_lo, s2
	s_wait_storecnt_dscnt 0x0
	s_barrier_signal -1
	s_barrier_wait -1
	s_clause 0x9
	scratch_load_b128 v[4:7], off, off offset:192
	scratch_load_b128 v[8:11], off, off offset:208
	;; [unrolled: 1-line block ×10, first 2 shown]
	v_mov_b32_e32 v2, 0
	s_mov_b32 s2, exec_lo
	ds_load_b128 v[136:139], v2 offset:912
	s_clause 0x2
	scratch_load_b128 v[140:143], off, off offset:352
	scratch_load_b128 v[144:147], off, off offset:176
	scratch_load_b128 v[152:155], off, off offset:368
	s_wait_loadcnt_dscnt 0xc00
	v_mul_f64_e32 v[156:157], v[138:139], v[6:7]
	v_mul_f64_e32 v[160:161], v[136:137], v[6:7]
	ds_load_b128 v[148:151], v2 offset:928
	v_fma_f64 v[164:165], v[136:137], v[4:5], -v[156:157]
	v_fmac_f64_e32 v[160:161], v[138:139], v[4:5]
	ds_load_b128 v[4:7], v2 offset:944
	s_wait_loadcnt_dscnt 0xb01
	v_mul_f64_e32 v[162:163], v[148:149], v[10:11]
	v_mul_f64_e32 v[10:11], v[150:151], v[10:11]
	scratch_load_b128 v[136:139], off, off offset:384
	ds_load_b128 v[156:159], v2 offset:960
	s_wait_loadcnt_dscnt 0xb01
	v_mul_f64_e32 v[166:167], v[4:5], v[14:15]
	v_mul_f64_e32 v[14:15], v[6:7], v[14:15]
	v_add_f64_e32 v[160:161], 0, v[160:161]
	v_fmac_f64_e32 v[162:163], v[150:151], v[8:9]
	v_fma_f64 v[148:149], v[148:149], v[8:9], -v[10:11]
	v_add_f64_e32 v[150:151], 0, v[164:165]
	scratch_load_b128 v[8:11], off, off offset:400
	v_fmac_f64_e32 v[166:167], v[6:7], v[12:13]
	v_fma_f64 v[168:169], v[4:5], v[12:13], -v[14:15]
	ds_load_b128 v[4:7], v2 offset:976
	s_wait_loadcnt_dscnt 0xb01
	v_mul_f64_e32 v[164:165], v[156:157], v[18:19]
	v_mul_f64_e32 v[18:19], v[158:159], v[18:19]
	scratch_load_b128 v[12:15], off, off offset:416
	v_add_f64_e32 v[160:161], v[160:161], v[162:163]
	v_add_f64_e32 v[170:171], v[150:151], v[148:149]
	ds_load_b128 v[148:151], v2 offset:992
	s_wait_loadcnt_dscnt 0xb01
	v_mul_f64_e32 v[162:163], v[4:5], v[22:23]
	v_mul_f64_e32 v[22:23], v[6:7], v[22:23]
	v_fmac_f64_e32 v[164:165], v[158:159], v[16:17]
	v_fma_f64 v[156:157], v[156:157], v[16:17], -v[18:19]
	scratch_load_b128 v[16:19], off, off offset:432
	v_add_f64_e32 v[160:161], v[160:161], v[166:167]
	v_add_f64_e32 v[158:159], v[170:171], v[168:169]
	v_fmac_f64_e32 v[162:163], v[6:7], v[20:21]
	v_fma_f64 v[168:169], v[4:5], v[20:21], -v[22:23]
	ds_load_b128 v[4:7], v2 offset:1008
	s_wait_loadcnt_dscnt 0xb01
	v_mul_f64_e32 v[166:167], v[148:149], v[26:27]
	v_mul_f64_e32 v[26:27], v[150:151], v[26:27]
	scratch_load_b128 v[20:23], off, off offset:448
	v_add_f64_e32 v[160:161], v[160:161], v[164:165]
	s_wait_loadcnt_dscnt 0xb00
	v_mul_f64_e32 v[164:165], v[4:5], v[30:31]
	v_add_f64_e32 v[170:171], v[158:159], v[156:157]
	v_mul_f64_e32 v[30:31], v[6:7], v[30:31]
	ds_load_b128 v[156:159], v2 offset:1024
	v_fmac_f64_e32 v[166:167], v[150:151], v[24:25]
	v_fma_f64 v[148:149], v[148:149], v[24:25], -v[26:27]
	scratch_load_b128 v[24:27], off, off offset:464
	v_add_f64_e32 v[160:161], v[160:161], v[162:163]
	v_fmac_f64_e32 v[164:165], v[6:7], v[28:29]
	v_add_f64_e32 v[150:151], v[170:171], v[168:169]
	v_fma_f64 v[168:169], v[4:5], v[28:29], -v[30:31]
	ds_load_b128 v[4:7], v2 offset:1040
	s_wait_loadcnt_dscnt 0xb01
	v_mul_f64_e32 v[162:163], v[156:157], v[126:127]
	v_mul_f64_e32 v[126:127], v[158:159], v[126:127]
	scratch_load_b128 v[28:31], off, off offset:480
	v_add_f64_e32 v[160:161], v[160:161], v[166:167]
	s_wait_loadcnt_dscnt 0xb00
	v_mul_f64_e32 v[166:167], v[4:5], v[130:131]
	v_add_f64_e32 v[170:171], v[150:151], v[148:149]
	v_mul_f64_e32 v[130:131], v[6:7], v[130:131]
	ds_load_b128 v[148:151], v2 offset:1056
	v_fmac_f64_e32 v[162:163], v[158:159], v[124:125]
	v_fma_f64 v[156:157], v[156:157], v[124:125], -v[126:127]
	scratch_load_b128 v[124:127], off, off offset:496
	v_add_f64_e32 v[160:161], v[160:161], v[164:165]
	v_fmac_f64_e32 v[166:167], v[6:7], v[128:129]
	v_add_f64_e32 v[158:159], v[170:171], v[168:169]
	;; [unrolled: 18-line block ×3, first 2 shown]
	v_fma_f64 v[168:169], v[4:5], v[140:141], -v[142:143]
	ds_load_b128 v[4:7], v2 offset:1104
	s_wait_loadcnt_dscnt 0xa01
	v_mul_f64_e32 v[166:167], v[156:157], v[154:155]
	v_mul_f64_e32 v[154:155], v[158:159], v[154:155]
	scratch_load_b128 v[140:143], off, off offset:544
	v_add_f64_e32 v[160:161], v[160:161], v[164:165]
	v_add_f64_e32 v[170:171], v[150:151], v[148:149]
	s_wait_loadcnt_dscnt 0xa00
	v_mul_f64_e32 v[164:165], v[4:5], v[138:139]
	v_mul_f64_e32 v[138:139], v[6:7], v[138:139]
	v_fmac_f64_e32 v[166:167], v[158:159], v[152:153]
	v_fma_f64 v[156:157], v[156:157], v[152:153], -v[154:155]
	ds_load_b128 v[148:151], v2 offset:1120
	scratch_load_b128 v[152:155], off, off offset:560
	v_add_f64_e32 v[160:161], v[160:161], v[162:163]
	v_add_f64_e32 v[158:159], v[170:171], v[168:169]
	v_fmac_f64_e32 v[164:165], v[6:7], v[136:137]
	v_fma_f64 v[168:169], v[4:5], v[136:137], -v[138:139]
	ds_load_b128 v[4:7], v2 offset:1136
	s_wait_loadcnt_dscnt 0xa01
	v_mul_f64_e32 v[162:163], v[148:149], v[10:11]
	v_mul_f64_e32 v[10:11], v[150:151], v[10:11]
	scratch_load_b128 v[136:139], off, off offset:576
	v_add_f64_e32 v[160:161], v[160:161], v[166:167]
	s_wait_loadcnt_dscnt 0xa00
	v_mul_f64_e32 v[166:167], v[4:5], v[14:15]
	v_add_f64_e32 v[170:171], v[158:159], v[156:157]
	v_mul_f64_e32 v[14:15], v[6:7], v[14:15]
	ds_load_b128 v[156:159], v2 offset:1152
	v_fmac_f64_e32 v[162:163], v[150:151], v[8:9]
	v_fma_f64 v[148:149], v[148:149], v[8:9], -v[10:11]
	scratch_load_b128 v[8:11], off, off offset:592
	v_add_f64_e32 v[160:161], v[160:161], v[164:165]
	v_fmac_f64_e32 v[166:167], v[6:7], v[12:13]
	v_add_f64_e32 v[150:151], v[170:171], v[168:169]
	v_fma_f64 v[168:169], v[4:5], v[12:13], -v[14:15]
	ds_load_b128 v[4:7], v2 offset:1168
	s_wait_loadcnt_dscnt 0xa01
	v_mul_f64_e32 v[164:165], v[156:157], v[18:19]
	v_mul_f64_e32 v[18:19], v[158:159], v[18:19]
	scratch_load_b128 v[12:15], off, off offset:608
	v_add_f64_e32 v[160:161], v[160:161], v[162:163]
	s_wait_loadcnt_dscnt 0xa00
	v_mul_f64_e32 v[162:163], v[4:5], v[22:23]
	v_add_f64_e32 v[170:171], v[150:151], v[148:149]
	v_mul_f64_e32 v[22:23], v[6:7], v[22:23]
	ds_load_b128 v[148:151], v2 offset:1184
	v_fmac_f64_e32 v[164:165], v[158:159], v[16:17]
	v_fma_f64 v[156:157], v[156:157], v[16:17], -v[18:19]
	scratch_load_b128 v[16:19], off, off offset:624
	v_add_f64_e32 v[160:161], v[160:161], v[166:167]
	v_fmac_f64_e32 v[162:163], v[6:7], v[20:21]
	v_add_f64_e32 v[158:159], v[170:171], v[168:169]
	v_fma_f64 v[168:169], v[4:5], v[20:21], -v[22:23]
	ds_load_b128 v[4:7], v2 offset:1200
	s_wait_loadcnt_dscnt 0xa01
	v_mul_f64_e32 v[166:167], v[148:149], v[26:27]
	v_mul_f64_e32 v[26:27], v[150:151], v[26:27]
	scratch_load_b128 v[20:23], off, off offset:640
	v_add_f64_e32 v[160:161], v[160:161], v[164:165]
	s_wait_loadcnt_dscnt 0xa00
	v_mul_f64_e32 v[164:165], v[4:5], v[30:31]
	v_add_f64_e32 v[170:171], v[158:159], v[156:157]
	v_mul_f64_e32 v[30:31], v[6:7], v[30:31]
	ds_load_b128 v[156:159], v2 offset:1216
	v_fmac_f64_e32 v[166:167], v[150:151], v[24:25]
	v_fma_f64 v[148:149], v[148:149], v[24:25], -v[26:27]
	scratch_load_b128 v[24:27], off, off offset:656
	v_add_f64_e32 v[160:161], v[160:161], v[162:163]
	v_fmac_f64_e32 v[164:165], v[6:7], v[28:29]
	v_add_f64_e32 v[150:151], v[170:171], v[168:169]
	v_fma_f64 v[168:169], v[4:5], v[28:29], -v[30:31]
	ds_load_b128 v[4:7], v2 offset:1232
	s_wait_loadcnt_dscnt 0xa01
	v_mul_f64_e32 v[162:163], v[156:157], v[126:127]
	v_mul_f64_e32 v[126:127], v[158:159], v[126:127]
	scratch_load_b128 v[28:31], off, off offset:672
	v_add_f64_e32 v[160:161], v[160:161], v[166:167]
	s_wait_loadcnt_dscnt 0xa00
	v_mul_f64_e32 v[166:167], v[4:5], v[130:131]
	v_add_f64_e32 v[170:171], v[150:151], v[148:149]
	v_mul_f64_e32 v[130:131], v[6:7], v[130:131]
	ds_load_b128 v[148:151], v2 offset:1248
	v_fmac_f64_e32 v[162:163], v[158:159], v[124:125]
	v_fma_f64 v[156:157], v[156:157], v[124:125], -v[126:127]
	scratch_load_b128 v[124:127], off, off offset:688
	v_add_f64_e32 v[160:161], v[160:161], v[164:165]
	v_fmac_f64_e32 v[166:167], v[6:7], v[128:129]
	v_add_f64_e32 v[158:159], v[170:171], v[168:169]
	v_fma_f64 v[168:169], v[4:5], v[128:129], -v[130:131]
	ds_load_b128 v[4:7], v2 offset:1264
	s_wait_loadcnt_dscnt 0xa01
	v_mul_f64_e32 v[164:165], v[148:149], v[134:135]
	v_mul_f64_e32 v[134:135], v[150:151], v[134:135]
	scratch_load_b128 v[128:131], off, off offset:704
	v_add_f64_e32 v[160:161], v[160:161], v[162:163]
	s_wait_loadcnt_dscnt 0xa00
	v_mul_f64_e32 v[162:163], v[4:5], v[142:143]
	v_add_f64_e32 v[170:171], v[158:159], v[156:157]
	v_mul_f64_e32 v[142:143], v[6:7], v[142:143]
	ds_load_b128 v[156:159], v2 offset:1280
	v_fmac_f64_e32 v[164:165], v[150:151], v[132:133]
	v_fma_f64 v[132:133], v[148:149], v[132:133], -v[134:135]
	s_wait_loadcnt_dscnt 0x900
	v_mul_f64_e32 v[150:151], v[156:157], v[154:155]
	v_mul_f64_e32 v[154:155], v[158:159], v[154:155]
	v_add_f64_e32 v[148:149], v[160:161], v[166:167]
	v_fmac_f64_e32 v[162:163], v[6:7], v[140:141]
	v_add_f64_e32 v[134:135], v[170:171], v[168:169]
	v_fma_f64 v[140:141], v[4:5], v[140:141], -v[142:143]
	v_fmac_f64_e32 v[150:151], v[158:159], v[152:153]
	v_fma_f64 v[152:153], v[156:157], v[152:153], -v[154:155]
	v_add_f64_e32 v[148:149], v[148:149], v[164:165]
	v_add_f64_e32 v[142:143], v[134:135], v[132:133]
	ds_load_b128 v[4:7], v2 offset:1296
	ds_load_b128 v[132:135], v2 offset:1312
	s_wait_loadcnt_dscnt 0x801
	v_mul_f64_e32 v[160:161], v[4:5], v[138:139]
	v_mul_f64_e32 v[138:139], v[6:7], v[138:139]
	v_add_f64_e32 v[140:141], v[142:143], v[140:141]
	v_add_f64_e32 v[142:143], v[148:149], v[162:163]
	s_wait_loadcnt_dscnt 0x700
	v_mul_f64_e32 v[148:149], v[132:133], v[10:11]
	v_mul_f64_e32 v[10:11], v[134:135], v[10:11]
	v_fmac_f64_e32 v[160:161], v[6:7], v[136:137]
	v_fma_f64 v[154:155], v[4:5], v[136:137], -v[138:139]
	ds_load_b128 v[4:7], v2 offset:1328
	ds_load_b128 v[136:139], v2 offset:1344
	v_add_f64_e32 v[140:141], v[140:141], v[152:153]
	v_add_f64_e32 v[142:143], v[142:143], v[150:151]
	v_fmac_f64_e32 v[148:149], v[134:135], v[8:9]
	v_fma_f64 v[8:9], v[132:133], v[8:9], -v[10:11]
	s_wait_loadcnt_dscnt 0x601
	v_mul_f64_e32 v[150:151], v[4:5], v[14:15]
	v_mul_f64_e32 v[14:15], v[6:7], v[14:15]
	s_wait_loadcnt_dscnt 0x500
	v_mul_f64_e32 v[134:135], v[136:137], v[18:19]
	v_mul_f64_e32 v[18:19], v[138:139], v[18:19]
	v_add_f64_e32 v[10:11], v[140:141], v[154:155]
	v_add_f64_e32 v[132:133], v[142:143], v[160:161]
	v_fmac_f64_e32 v[150:151], v[6:7], v[12:13]
	v_fma_f64 v[12:13], v[4:5], v[12:13], -v[14:15]
	v_fmac_f64_e32 v[134:135], v[138:139], v[16:17]
	v_fma_f64 v[16:17], v[136:137], v[16:17], -v[18:19]
	v_add_f64_e32 v[14:15], v[10:11], v[8:9]
	v_add_f64_e32 v[132:133], v[132:133], v[148:149]
	ds_load_b128 v[4:7], v2 offset:1360
	ds_load_b128 v[8:11], v2 offset:1376
	s_wait_loadcnt_dscnt 0x401
	v_mul_f64_e32 v[140:141], v[4:5], v[22:23]
	v_mul_f64_e32 v[22:23], v[6:7], v[22:23]
	s_wait_loadcnt_dscnt 0x300
	v_mul_f64_e32 v[18:19], v[8:9], v[26:27]
	v_mul_f64_e32 v[26:27], v[10:11], v[26:27]
	v_add_f64_e32 v[12:13], v[14:15], v[12:13]
	v_add_f64_e32 v[14:15], v[132:133], v[150:151]
	v_fmac_f64_e32 v[140:141], v[6:7], v[20:21]
	v_fma_f64 v[20:21], v[4:5], v[20:21], -v[22:23]
	v_fmac_f64_e32 v[18:19], v[10:11], v[24:25]
	v_fma_f64 v[8:9], v[8:9], v[24:25], -v[26:27]
	v_add_f64_e32 v[16:17], v[12:13], v[16:17]
	v_add_f64_e32 v[22:23], v[14:15], v[134:135]
	ds_load_b128 v[4:7], v2 offset:1392
	ds_load_b128 v[12:15], v2 offset:1408
	s_wait_loadcnt_dscnt 0x201
	v_mul_f64_e32 v[132:133], v[4:5], v[30:31]
	v_mul_f64_e32 v[30:31], v[6:7], v[30:31]
	v_add_f64_e32 v[10:11], v[16:17], v[20:21]
	v_add_f64_e32 v[16:17], v[22:23], v[140:141]
	s_wait_loadcnt_dscnt 0x100
	v_mul_f64_e32 v[20:21], v[12:13], v[126:127]
	v_mul_f64_e32 v[22:23], v[14:15], v[126:127]
	v_fmac_f64_e32 v[132:133], v[6:7], v[28:29]
	v_fma_f64 v[24:25], v[4:5], v[28:29], -v[30:31]
	ds_load_b128 v[4:7], v2 offset:1424
	v_add_f64_e32 v[8:9], v[10:11], v[8:9]
	v_add_f64_e32 v[10:11], v[16:17], v[18:19]
	v_fmac_f64_e32 v[20:21], v[14:15], v[124:125]
	v_fma_f64 v[12:13], v[12:13], v[124:125], -v[22:23]
	s_wait_loadcnt_dscnt 0x0
	v_mul_f64_e32 v[16:17], v[4:5], v[130:131]
	v_mul_f64_e32 v[18:19], v[6:7], v[130:131]
	v_add_f64_e32 v[8:9], v[8:9], v[24:25]
	v_add_f64_e32 v[10:11], v[10:11], v[132:133]
	s_delay_alu instid0(VALU_DEP_4) | instskip(NEXT) | instid1(VALU_DEP_4)
	v_fmac_f64_e32 v[16:17], v[6:7], v[128:129]
	v_fma_f64 v[4:5], v[4:5], v[128:129], -v[18:19]
	s_delay_alu instid0(VALU_DEP_4) | instskip(NEXT) | instid1(VALU_DEP_4)
	v_add_f64_e32 v[6:7], v[8:9], v[12:13]
	v_add_f64_e32 v[8:9], v[10:11], v[20:21]
	s_delay_alu instid0(VALU_DEP_2) | instskip(NEXT) | instid1(VALU_DEP_2)
	v_add_f64_e32 v[4:5], v[6:7], v[4:5]
	v_add_f64_e32 v[6:7], v[8:9], v[16:17]
	s_delay_alu instid0(VALU_DEP_2) | instskip(NEXT) | instid1(VALU_DEP_2)
	v_add_f64_e64 v[4:5], v[144:145], -v[4:5]
	v_add_f64_e64 v[6:7], v[146:147], -v[6:7]
	scratch_store_b128 off, v[4:7], off offset:176
	s_wait_xcnt 0x0
	v_cmpx_lt_u32_e32 10, v1
	s_cbranch_execz .LBB108_263
; %bb.262:
	scratch_load_b128 v[6:9], off, s51
	v_dual_mov_b32 v3, v2 :: v_dual_mov_b32 v4, v2
	v_mov_b32_e32 v5, v2
	scratch_store_b128 off, v[2:5], off offset:160
	s_wait_loadcnt 0x0
	ds_store_b128 v122, v[6:9]
.LBB108_263:
	s_wait_xcnt 0x0
	s_or_b32 exec_lo, exec_lo, s2
	s_wait_storecnt_dscnt 0x0
	s_barrier_signal -1
	s_barrier_wait -1
	s_clause 0x9
	scratch_load_b128 v[4:7], off, off offset:176
	scratch_load_b128 v[8:11], off, off offset:192
	;; [unrolled: 1-line block ×10, first 2 shown]
	ds_load_b128 v[136:139], v2 offset:896
	ds_load_b128 v[144:147], v2 offset:912
	s_clause 0x2
	scratch_load_b128 v[140:143], off, off offset:336
	scratch_load_b128 v[148:151], off, off offset:160
	;; [unrolled: 1-line block ×3, first 2 shown]
	s_mov_b32 s2, exec_lo
	s_wait_loadcnt_dscnt 0xc01
	v_mul_f64_e32 v[156:157], v[138:139], v[6:7]
	v_mul_f64_e32 v[160:161], v[136:137], v[6:7]
	s_wait_loadcnt_dscnt 0xb00
	v_mul_f64_e32 v[162:163], v[144:145], v[10:11]
	v_mul_f64_e32 v[10:11], v[146:147], v[10:11]
	s_delay_alu instid0(VALU_DEP_4) | instskip(NEXT) | instid1(VALU_DEP_4)
	v_fma_f64 v[164:165], v[136:137], v[4:5], -v[156:157]
	v_fmac_f64_e32 v[160:161], v[138:139], v[4:5]
	ds_load_b128 v[4:7], v2 offset:928
	ds_load_b128 v[136:139], v2 offset:944
	scratch_load_b128 v[156:159], off, off offset:368
	v_fmac_f64_e32 v[162:163], v[146:147], v[8:9]
	v_fma_f64 v[144:145], v[144:145], v[8:9], -v[10:11]
	scratch_load_b128 v[8:11], off, off offset:384
	s_wait_loadcnt_dscnt 0xc01
	v_mul_f64_e32 v[166:167], v[4:5], v[14:15]
	v_mul_f64_e32 v[14:15], v[6:7], v[14:15]
	v_add_f64_e32 v[146:147], 0, v[164:165]
	v_add_f64_e32 v[160:161], 0, v[160:161]
	s_wait_loadcnt_dscnt 0xb00
	v_mul_f64_e32 v[164:165], v[136:137], v[18:19]
	v_mul_f64_e32 v[18:19], v[138:139], v[18:19]
	v_fmac_f64_e32 v[166:167], v[6:7], v[12:13]
	v_fma_f64 v[168:169], v[4:5], v[12:13], -v[14:15]
	ds_load_b128 v[4:7], v2 offset:960
	ds_load_b128 v[12:15], v2 offset:976
	v_add_f64_e32 v[170:171], v[146:147], v[144:145]
	v_add_f64_e32 v[160:161], v[160:161], v[162:163]
	scratch_load_b128 v[144:147], off, off offset:400
	v_fmac_f64_e32 v[164:165], v[138:139], v[16:17]
	v_fma_f64 v[136:137], v[136:137], v[16:17], -v[18:19]
	scratch_load_b128 v[16:19], off, off offset:416
	s_wait_loadcnt_dscnt 0xc01
	v_mul_f64_e32 v[162:163], v[4:5], v[22:23]
	v_mul_f64_e32 v[22:23], v[6:7], v[22:23]
	v_add_f64_e32 v[138:139], v[170:171], v[168:169]
	v_add_f64_e32 v[160:161], v[160:161], v[166:167]
	s_wait_loadcnt_dscnt 0xb00
	v_mul_f64_e32 v[166:167], v[12:13], v[26:27]
	v_mul_f64_e32 v[26:27], v[14:15], v[26:27]
	v_fmac_f64_e32 v[162:163], v[6:7], v[20:21]
	v_fma_f64 v[168:169], v[4:5], v[20:21], -v[22:23]
	ds_load_b128 v[4:7], v2 offset:992
	ds_load_b128 v[20:23], v2 offset:1008
	v_add_f64_e32 v[170:171], v[138:139], v[136:137]
	v_add_f64_e32 v[160:161], v[160:161], v[164:165]
	scratch_load_b128 v[136:139], off, off offset:432
	s_wait_loadcnt_dscnt 0xb01
	v_mul_f64_e32 v[164:165], v[4:5], v[30:31]
	v_mul_f64_e32 v[30:31], v[6:7], v[30:31]
	v_fmac_f64_e32 v[166:167], v[14:15], v[24:25]
	v_fma_f64 v[24:25], v[12:13], v[24:25], -v[26:27]
	scratch_load_b128 v[12:15], off, off offset:448
	v_add_f64_e32 v[26:27], v[170:171], v[168:169]
	v_add_f64_e32 v[160:161], v[160:161], v[162:163]
	s_wait_loadcnt_dscnt 0xb00
	v_mul_f64_e32 v[162:163], v[20:21], v[126:127]
	v_mul_f64_e32 v[126:127], v[22:23], v[126:127]
	v_fmac_f64_e32 v[164:165], v[6:7], v[28:29]
	v_fma_f64 v[168:169], v[4:5], v[28:29], -v[30:31]
	v_add_f64_e32 v[170:171], v[26:27], v[24:25]
	v_add_f64_e32 v[160:161], v[160:161], v[166:167]
	ds_load_b128 v[4:7], v2 offset:1024
	ds_load_b128 v[24:27], v2 offset:1040
	scratch_load_b128 v[28:31], off, off offset:464
	v_fmac_f64_e32 v[162:163], v[22:23], v[124:125]
	v_fma_f64 v[124:125], v[20:21], v[124:125], -v[126:127]
	scratch_load_b128 v[20:23], off, off offset:480
	s_wait_loadcnt_dscnt 0xc01
	v_mul_f64_e32 v[166:167], v[4:5], v[130:131]
	v_mul_f64_e32 v[130:131], v[6:7], v[130:131]
	v_add_f64_e32 v[126:127], v[170:171], v[168:169]
	v_add_f64_e32 v[160:161], v[160:161], v[164:165]
	s_wait_loadcnt_dscnt 0xb00
	v_mul_f64_e32 v[164:165], v[24:25], v[134:135]
	v_mul_f64_e32 v[134:135], v[26:27], v[134:135]
	v_fmac_f64_e32 v[166:167], v[6:7], v[128:129]
	v_fma_f64 v[168:169], v[4:5], v[128:129], -v[130:131]
	v_add_f64_e32 v[170:171], v[126:127], v[124:125]
	v_add_f64_e32 v[160:161], v[160:161], v[162:163]
	ds_load_b128 v[4:7], v2 offset:1056
	ds_load_b128 v[124:127], v2 offset:1072
	scratch_load_b128 v[128:131], off, off offset:496
	v_fmac_f64_e32 v[164:165], v[26:27], v[132:133]
	v_fma_f64 v[132:133], v[24:25], v[132:133], -v[134:135]
	scratch_load_b128 v[24:27], off, off offset:512
	s_wait_loadcnt_dscnt 0xc01
	v_mul_f64_e32 v[162:163], v[4:5], v[142:143]
	v_mul_f64_e32 v[142:143], v[6:7], v[142:143]
	v_add_f64_e32 v[134:135], v[170:171], v[168:169]
	v_add_f64_e32 v[160:161], v[160:161], v[166:167]
	s_wait_loadcnt_dscnt 0xa00
	v_mul_f64_e32 v[166:167], v[124:125], v[154:155]
	v_mul_f64_e32 v[154:155], v[126:127], v[154:155]
	v_fmac_f64_e32 v[162:163], v[6:7], v[140:141]
	v_fma_f64 v[168:169], v[4:5], v[140:141], -v[142:143]
	v_add_f64_e32 v[170:171], v[134:135], v[132:133]
	v_add_f64_e32 v[160:161], v[160:161], v[164:165]
	ds_load_b128 v[4:7], v2 offset:1088
	ds_load_b128 v[132:135], v2 offset:1104
	scratch_load_b128 v[140:143], off, off offset:528
	v_fmac_f64_e32 v[166:167], v[126:127], v[152:153]
	v_fma_f64 v[152:153], v[124:125], v[152:153], -v[154:155]
	scratch_load_b128 v[124:127], off, off offset:544
	s_wait_loadcnt_dscnt 0xb01
	v_mul_f64_e32 v[164:165], v[4:5], v[158:159]
	v_mul_f64_e32 v[158:159], v[6:7], v[158:159]
	v_add_f64_e32 v[154:155], v[170:171], v[168:169]
	v_add_f64_e32 v[160:161], v[160:161], v[162:163]
	s_wait_loadcnt_dscnt 0xa00
	v_mul_f64_e32 v[162:163], v[132:133], v[10:11]
	v_mul_f64_e32 v[10:11], v[134:135], v[10:11]
	v_fmac_f64_e32 v[164:165], v[6:7], v[156:157]
	v_fma_f64 v[168:169], v[4:5], v[156:157], -v[158:159]
	v_add_f64_e32 v[170:171], v[154:155], v[152:153]
	v_add_f64_e32 v[160:161], v[160:161], v[166:167]
	ds_load_b128 v[4:7], v2 offset:1120
	ds_load_b128 v[152:155], v2 offset:1136
	scratch_load_b128 v[156:159], off, off offset:560
	v_fmac_f64_e32 v[162:163], v[134:135], v[8:9]
	v_fma_f64 v[132:133], v[132:133], v[8:9], -v[10:11]
	scratch_load_b128 v[8:11], off, off offset:576
	s_wait_loadcnt_dscnt 0xb01
	v_mul_f64_e32 v[166:167], v[4:5], v[146:147]
	v_mul_f64_e32 v[146:147], v[6:7], v[146:147]
	v_add_f64_e32 v[134:135], v[170:171], v[168:169]
	v_add_f64_e32 v[160:161], v[160:161], v[164:165]
	s_wait_loadcnt_dscnt 0xa00
	v_mul_f64_e32 v[164:165], v[152:153], v[18:19]
	v_mul_f64_e32 v[18:19], v[154:155], v[18:19]
	v_fmac_f64_e32 v[166:167], v[6:7], v[144:145]
	v_fma_f64 v[168:169], v[4:5], v[144:145], -v[146:147]
	v_add_f64_e32 v[170:171], v[134:135], v[132:133]
	v_add_f64_e32 v[160:161], v[160:161], v[162:163]
	ds_load_b128 v[4:7], v2 offset:1152
	ds_load_b128 v[132:135], v2 offset:1168
	scratch_load_b128 v[144:147], off, off offset:592
	v_fmac_f64_e32 v[164:165], v[154:155], v[16:17]
	v_fma_f64 v[152:153], v[152:153], v[16:17], -v[18:19]
	scratch_load_b128 v[16:19], off, off offset:608
	s_wait_loadcnt_dscnt 0xb01
	v_mul_f64_e32 v[162:163], v[4:5], v[138:139]
	v_mul_f64_e32 v[138:139], v[6:7], v[138:139]
	v_add_f64_e32 v[154:155], v[170:171], v[168:169]
	v_add_f64_e32 v[160:161], v[160:161], v[166:167]
	s_wait_loadcnt_dscnt 0xa00
	v_mul_f64_e32 v[166:167], v[132:133], v[14:15]
	v_mul_f64_e32 v[14:15], v[134:135], v[14:15]
	v_fmac_f64_e32 v[162:163], v[6:7], v[136:137]
	v_fma_f64 v[168:169], v[4:5], v[136:137], -v[138:139]
	ds_load_b128 v[4:7], v2 offset:1184
	ds_load_b128 v[136:139], v2 offset:1200
	v_add_f64_e32 v[170:171], v[154:155], v[152:153]
	v_add_f64_e32 v[160:161], v[160:161], v[164:165]
	scratch_load_b128 v[152:155], off, off offset:624
	v_fmac_f64_e32 v[166:167], v[134:135], v[12:13]
	v_fma_f64 v[132:133], v[132:133], v[12:13], -v[14:15]
	scratch_load_b128 v[12:15], off, off offset:640
	s_wait_loadcnt_dscnt 0xb01
	v_mul_f64_e32 v[164:165], v[4:5], v[30:31]
	v_mul_f64_e32 v[30:31], v[6:7], v[30:31]
	v_add_f64_e32 v[134:135], v[170:171], v[168:169]
	v_add_f64_e32 v[160:161], v[160:161], v[162:163]
	s_wait_loadcnt_dscnt 0xa00
	v_mul_f64_e32 v[162:163], v[136:137], v[22:23]
	v_mul_f64_e32 v[22:23], v[138:139], v[22:23]
	v_fmac_f64_e32 v[164:165], v[6:7], v[28:29]
	v_fma_f64 v[168:169], v[4:5], v[28:29], -v[30:31]
	ds_load_b128 v[4:7], v2 offset:1216
	ds_load_b128 v[28:31], v2 offset:1232
	v_add_f64_e32 v[170:171], v[134:135], v[132:133]
	v_add_f64_e32 v[160:161], v[160:161], v[166:167]
	scratch_load_b128 v[132:135], off, off offset:656
	s_wait_loadcnt_dscnt 0xa01
	v_mul_f64_e32 v[166:167], v[4:5], v[130:131]
	v_mul_f64_e32 v[130:131], v[6:7], v[130:131]
	v_fmac_f64_e32 v[162:163], v[138:139], v[20:21]
	v_fma_f64 v[136:137], v[136:137], v[20:21], -v[22:23]
	scratch_load_b128 v[20:23], off, off offset:672
	v_add_f64_e32 v[138:139], v[170:171], v[168:169]
	v_add_f64_e32 v[160:161], v[160:161], v[164:165]
	s_wait_loadcnt_dscnt 0xa00
	v_mul_f64_e32 v[164:165], v[28:29], v[26:27]
	v_mul_f64_e32 v[26:27], v[30:31], v[26:27]
	v_fmac_f64_e32 v[166:167], v[6:7], v[128:129]
	v_fma_f64 v[168:169], v[4:5], v[128:129], -v[130:131]
	ds_load_b128 v[4:7], v2 offset:1248
	ds_load_b128 v[128:131], v2 offset:1264
	v_add_f64_e32 v[170:171], v[138:139], v[136:137]
	v_add_f64_e32 v[160:161], v[160:161], v[162:163]
	scratch_load_b128 v[136:139], off, off offset:688
	s_wait_loadcnt_dscnt 0xa01
	v_mul_f64_e32 v[162:163], v[4:5], v[142:143]
	v_mul_f64_e32 v[142:143], v[6:7], v[142:143]
	v_fmac_f64_e32 v[164:165], v[30:31], v[24:25]
	v_fma_f64 v[28:29], v[28:29], v[24:25], -v[26:27]
	scratch_load_b128 v[24:27], off, off offset:704
	v_add_f64_e32 v[30:31], v[170:171], v[168:169]
	v_add_f64_e32 v[160:161], v[160:161], v[166:167]
	s_wait_loadcnt_dscnt 0xa00
	v_mul_f64_e32 v[166:167], v[128:129], v[126:127]
	v_mul_f64_e32 v[126:127], v[130:131], v[126:127]
	v_fmac_f64_e32 v[162:163], v[6:7], v[140:141]
	v_fma_f64 v[140:141], v[4:5], v[140:141], -v[142:143]
	v_add_f64_e32 v[142:143], v[30:31], v[28:29]
	v_add_f64_e32 v[160:161], v[160:161], v[164:165]
	ds_load_b128 v[4:7], v2 offset:1280
	ds_load_b128 v[28:31], v2 offset:1296
	v_fmac_f64_e32 v[166:167], v[130:131], v[124:125]
	v_fma_f64 v[124:125], v[128:129], v[124:125], -v[126:127]
	s_wait_loadcnt_dscnt 0x901
	v_mul_f64_e32 v[164:165], v[4:5], v[158:159]
	v_mul_f64_e32 v[158:159], v[6:7], v[158:159]
	s_wait_loadcnt_dscnt 0x800
	v_mul_f64_e32 v[130:131], v[28:29], v[10:11]
	v_mul_f64_e32 v[10:11], v[30:31], v[10:11]
	v_add_f64_e32 v[126:127], v[142:143], v[140:141]
	v_add_f64_e32 v[128:129], v[160:161], v[162:163]
	v_fmac_f64_e32 v[164:165], v[6:7], v[156:157]
	v_fma_f64 v[140:141], v[4:5], v[156:157], -v[158:159]
	v_fmac_f64_e32 v[130:131], v[30:31], v[8:9]
	v_fma_f64 v[8:9], v[28:29], v[8:9], -v[10:11]
	v_add_f64_e32 v[142:143], v[126:127], v[124:125]
	v_add_f64_e32 v[128:129], v[128:129], v[166:167]
	ds_load_b128 v[4:7], v2 offset:1312
	ds_load_b128 v[124:127], v2 offset:1328
	s_wait_loadcnt_dscnt 0x701
	v_mul_f64_e32 v[156:157], v[4:5], v[146:147]
	v_mul_f64_e32 v[146:147], v[6:7], v[146:147]
	s_wait_loadcnt_dscnt 0x600
	v_mul_f64_e32 v[30:31], v[124:125], v[18:19]
	v_mul_f64_e32 v[18:19], v[126:127], v[18:19]
	v_add_f64_e32 v[10:11], v[142:143], v[140:141]
	v_add_f64_e32 v[28:29], v[128:129], v[164:165]
	v_fmac_f64_e32 v[156:157], v[6:7], v[144:145]
	v_fma_f64 v[128:129], v[4:5], v[144:145], -v[146:147]
	v_fmac_f64_e32 v[30:31], v[126:127], v[16:17]
	v_fma_f64 v[16:17], v[124:125], v[16:17], -v[18:19]
	v_add_f64_e32 v[140:141], v[10:11], v[8:9]
	v_add_f64_e32 v[28:29], v[28:29], v[130:131]
	ds_load_b128 v[4:7], v2 offset:1344
	ds_load_b128 v[8:11], v2 offset:1360
	;; [unrolled: 16-line block ×3, first 2 shown]
	s_wait_loadcnt_dscnt 0x301
	v_mul_f64_e32 v[30:31], v[4:5], v[134:135]
	v_mul_f64_e32 v[134:135], v[6:7], v[134:135]
	v_add_f64_e32 v[10:11], v[18:19], v[128:129]
	v_add_f64_e32 v[12:13], v[28:29], v[130:131]
	s_wait_loadcnt_dscnt 0x200
	v_mul_f64_e32 v[18:19], v[14:15], v[22:23]
	v_mul_f64_e32 v[22:23], v[16:17], v[22:23]
	v_fmac_f64_e32 v[30:31], v[6:7], v[132:133]
	v_fma_f64 v[28:29], v[4:5], v[132:133], -v[134:135]
	v_add_f64_e32 v[126:127], v[10:11], v[8:9]
	v_add_f64_e32 v[12:13], v[12:13], v[124:125]
	ds_load_b128 v[4:7], v2 offset:1408
	ds_load_b128 v[8:11], v2 offset:1424
	v_fmac_f64_e32 v[18:19], v[16:17], v[20:21]
	v_fma_f64 v[14:15], v[14:15], v[20:21], -v[22:23]
	s_wait_loadcnt_dscnt 0x101
	v_mul_f64_e32 v[2:3], v[4:5], v[138:139]
	v_mul_f64_e32 v[124:125], v[6:7], v[138:139]
	s_wait_loadcnt_dscnt 0x0
	v_mul_f64_e32 v[20:21], v[8:9], v[26:27]
	v_mul_f64_e32 v[22:23], v[10:11], v[26:27]
	v_add_f64_e32 v[16:17], v[126:127], v[28:29]
	v_add_f64_e32 v[12:13], v[12:13], v[30:31]
	v_fmac_f64_e32 v[2:3], v[6:7], v[136:137]
	v_fma_f64 v[4:5], v[4:5], v[136:137], -v[124:125]
	v_fmac_f64_e32 v[20:21], v[10:11], v[24:25]
	v_fma_f64 v[8:9], v[8:9], v[24:25], -v[22:23]
	v_add_f64_e32 v[6:7], v[16:17], v[14:15]
	v_add_f64_e32 v[12:13], v[12:13], v[18:19]
	s_delay_alu instid0(VALU_DEP_2) | instskip(NEXT) | instid1(VALU_DEP_2)
	v_add_f64_e32 v[4:5], v[6:7], v[4:5]
	v_add_f64_e32 v[2:3], v[12:13], v[2:3]
	s_delay_alu instid0(VALU_DEP_2) | instskip(NEXT) | instid1(VALU_DEP_2)
	;; [unrolled: 3-line block ×3, first 2 shown]
	v_add_f64_e64 v[2:3], v[148:149], -v[4:5]
	v_add_f64_e64 v[4:5], v[150:151], -v[6:7]
	scratch_store_b128 off, v[2:5], off offset:160
	s_wait_xcnt 0x0
	v_cmpx_lt_u32_e32 9, v1
	s_cbranch_execz .LBB108_265
; %bb.264:
	scratch_load_b128 v[2:5], off, s52
	v_mov_b32_e32 v6, 0
	s_delay_alu instid0(VALU_DEP_1)
	v_dual_mov_b32 v7, v6 :: v_dual_mov_b32 v8, v6
	v_mov_b32_e32 v9, v6
	scratch_store_b128 off, v[6:9], off offset:144
	s_wait_loadcnt 0x0
	ds_store_b128 v122, v[2:5]
.LBB108_265:
	s_wait_xcnt 0x0
	s_or_b32 exec_lo, exec_lo, s2
	s_wait_storecnt_dscnt 0x0
	s_barrier_signal -1
	s_barrier_wait -1
	s_clause 0x9
	scratch_load_b128 v[4:7], off, off offset:160
	scratch_load_b128 v[8:11], off, off offset:176
	;; [unrolled: 1-line block ×10, first 2 shown]
	v_mov_b32_e32 v2, 0
	s_mov_b32 s2, exec_lo
	ds_load_b128 v[136:139], v2 offset:880
	s_clause 0x2
	scratch_load_b128 v[140:143], off, off offset:320
	scratch_load_b128 v[144:147], off, off offset:144
	;; [unrolled: 1-line block ×3, first 2 shown]
	s_wait_loadcnt_dscnt 0xc00
	v_mul_f64_e32 v[156:157], v[138:139], v[6:7]
	v_mul_f64_e32 v[160:161], v[136:137], v[6:7]
	ds_load_b128 v[148:151], v2 offset:896
	v_fma_f64 v[164:165], v[136:137], v[4:5], -v[156:157]
	v_fmac_f64_e32 v[160:161], v[138:139], v[4:5]
	ds_load_b128 v[4:7], v2 offset:912
	s_wait_loadcnt_dscnt 0xb01
	v_mul_f64_e32 v[162:163], v[148:149], v[10:11]
	v_mul_f64_e32 v[10:11], v[150:151], v[10:11]
	scratch_load_b128 v[136:139], off, off offset:352
	ds_load_b128 v[156:159], v2 offset:928
	s_wait_loadcnt_dscnt 0xb01
	v_mul_f64_e32 v[166:167], v[4:5], v[14:15]
	v_mul_f64_e32 v[14:15], v[6:7], v[14:15]
	v_add_f64_e32 v[160:161], 0, v[160:161]
	v_fmac_f64_e32 v[162:163], v[150:151], v[8:9]
	v_fma_f64 v[148:149], v[148:149], v[8:9], -v[10:11]
	v_add_f64_e32 v[150:151], 0, v[164:165]
	scratch_load_b128 v[8:11], off, off offset:368
	v_fmac_f64_e32 v[166:167], v[6:7], v[12:13]
	v_fma_f64 v[168:169], v[4:5], v[12:13], -v[14:15]
	ds_load_b128 v[4:7], v2 offset:944
	s_wait_loadcnt_dscnt 0xb01
	v_mul_f64_e32 v[164:165], v[156:157], v[18:19]
	v_mul_f64_e32 v[18:19], v[158:159], v[18:19]
	scratch_load_b128 v[12:15], off, off offset:384
	v_add_f64_e32 v[160:161], v[160:161], v[162:163]
	v_add_f64_e32 v[170:171], v[150:151], v[148:149]
	ds_load_b128 v[148:151], v2 offset:960
	s_wait_loadcnt_dscnt 0xb01
	v_mul_f64_e32 v[162:163], v[4:5], v[22:23]
	v_mul_f64_e32 v[22:23], v[6:7], v[22:23]
	v_fmac_f64_e32 v[164:165], v[158:159], v[16:17]
	v_fma_f64 v[156:157], v[156:157], v[16:17], -v[18:19]
	scratch_load_b128 v[16:19], off, off offset:400
	v_add_f64_e32 v[160:161], v[160:161], v[166:167]
	v_add_f64_e32 v[158:159], v[170:171], v[168:169]
	v_fmac_f64_e32 v[162:163], v[6:7], v[20:21]
	v_fma_f64 v[168:169], v[4:5], v[20:21], -v[22:23]
	ds_load_b128 v[4:7], v2 offset:976
	s_wait_loadcnt_dscnt 0xb01
	v_mul_f64_e32 v[166:167], v[148:149], v[26:27]
	v_mul_f64_e32 v[26:27], v[150:151], v[26:27]
	scratch_load_b128 v[20:23], off, off offset:416
	v_add_f64_e32 v[160:161], v[160:161], v[164:165]
	s_wait_loadcnt_dscnt 0xb00
	v_mul_f64_e32 v[164:165], v[4:5], v[30:31]
	v_add_f64_e32 v[170:171], v[158:159], v[156:157]
	v_mul_f64_e32 v[30:31], v[6:7], v[30:31]
	ds_load_b128 v[156:159], v2 offset:992
	v_fmac_f64_e32 v[166:167], v[150:151], v[24:25]
	v_fma_f64 v[148:149], v[148:149], v[24:25], -v[26:27]
	scratch_load_b128 v[24:27], off, off offset:432
	v_add_f64_e32 v[160:161], v[160:161], v[162:163]
	v_fmac_f64_e32 v[164:165], v[6:7], v[28:29]
	v_add_f64_e32 v[150:151], v[170:171], v[168:169]
	v_fma_f64 v[168:169], v[4:5], v[28:29], -v[30:31]
	ds_load_b128 v[4:7], v2 offset:1008
	s_wait_loadcnt_dscnt 0xb01
	v_mul_f64_e32 v[162:163], v[156:157], v[126:127]
	v_mul_f64_e32 v[126:127], v[158:159], v[126:127]
	scratch_load_b128 v[28:31], off, off offset:448
	v_add_f64_e32 v[160:161], v[160:161], v[166:167]
	s_wait_loadcnt_dscnt 0xb00
	v_mul_f64_e32 v[166:167], v[4:5], v[130:131]
	v_add_f64_e32 v[170:171], v[150:151], v[148:149]
	v_mul_f64_e32 v[130:131], v[6:7], v[130:131]
	ds_load_b128 v[148:151], v2 offset:1024
	v_fmac_f64_e32 v[162:163], v[158:159], v[124:125]
	v_fma_f64 v[156:157], v[156:157], v[124:125], -v[126:127]
	scratch_load_b128 v[124:127], off, off offset:464
	v_add_f64_e32 v[160:161], v[160:161], v[164:165]
	v_fmac_f64_e32 v[166:167], v[6:7], v[128:129]
	v_add_f64_e32 v[158:159], v[170:171], v[168:169]
	;; [unrolled: 18-line block ×3, first 2 shown]
	v_fma_f64 v[168:169], v[4:5], v[140:141], -v[142:143]
	ds_load_b128 v[4:7], v2 offset:1072
	s_wait_loadcnt_dscnt 0xa01
	v_mul_f64_e32 v[166:167], v[156:157], v[154:155]
	v_mul_f64_e32 v[154:155], v[158:159], v[154:155]
	scratch_load_b128 v[140:143], off, off offset:512
	v_add_f64_e32 v[160:161], v[160:161], v[164:165]
	v_add_f64_e32 v[170:171], v[150:151], v[148:149]
	s_wait_loadcnt_dscnt 0xa00
	v_mul_f64_e32 v[164:165], v[4:5], v[138:139]
	v_mul_f64_e32 v[138:139], v[6:7], v[138:139]
	v_fmac_f64_e32 v[166:167], v[158:159], v[152:153]
	v_fma_f64 v[156:157], v[156:157], v[152:153], -v[154:155]
	ds_load_b128 v[148:151], v2 offset:1088
	scratch_load_b128 v[152:155], off, off offset:528
	v_add_f64_e32 v[160:161], v[160:161], v[162:163]
	v_add_f64_e32 v[158:159], v[170:171], v[168:169]
	v_fmac_f64_e32 v[164:165], v[6:7], v[136:137]
	v_fma_f64 v[168:169], v[4:5], v[136:137], -v[138:139]
	ds_load_b128 v[4:7], v2 offset:1104
	s_wait_loadcnt_dscnt 0xa01
	v_mul_f64_e32 v[162:163], v[148:149], v[10:11]
	v_mul_f64_e32 v[10:11], v[150:151], v[10:11]
	scratch_load_b128 v[136:139], off, off offset:544
	v_add_f64_e32 v[160:161], v[160:161], v[166:167]
	s_wait_loadcnt_dscnt 0xa00
	v_mul_f64_e32 v[166:167], v[4:5], v[14:15]
	v_add_f64_e32 v[170:171], v[158:159], v[156:157]
	v_mul_f64_e32 v[14:15], v[6:7], v[14:15]
	ds_load_b128 v[156:159], v2 offset:1120
	v_fmac_f64_e32 v[162:163], v[150:151], v[8:9]
	v_fma_f64 v[148:149], v[148:149], v[8:9], -v[10:11]
	scratch_load_b128 v[8:11], off, off offset:560
	v_add_f64_e32 v[160:161], v[160:161], v[164:165]
	v_fmac_f64_e32 v[166:167], v[6:7], v[12:13]
	v_add_f64_e32 v[150:151], v[170:171], v[168:169]
	v_fma_f64 v[168:169], v[4:5], v[12:13], -v[14:15]
	ds_load_b128 v[4:7], v2 offset:1136
	s_wait_loadcnt_dscnt 0xa01
	v_mul_f64_e32 v[164:165], v[156:157], v[18:19]
	v_mul_f64_e32 v[18:19], v[158:159], v[18:19]
	scratch_load_b128 v[12:15], off, off offset:576
	v_add_f64_e32 v[160:161], v[160:161], v[162:163]
	s_wait_loadcnt_dscnt 0xa00
	v_mul_f64_e32 v[162:163], v[4:5], v[22:23]
	v_add_f64_e32 v[170:171], v[150:151], v[148:149]
	v_mul_f64_e32 v[22:23], v[6:7], v[22:23]
	ds_load_b128 v[148:151], v2 offset:1152
	v_fmac_f64_e32 v[164:165], v[158:159], v[16:17]
	v_fma_f64 v[156:157], v[156:157], v[16:17], -v[18:19]
	scratch_load_b128 v[16:19], off, off offset:592
	v_add_f64_e32 v[160:161], v[160:161], v[166:167]
	v_fmac_f64_e32 v[162:163], v[6:7], v[20:21]
	v_add_f64_e32 v[158:159], v[170:171], v[168:169]
	;; [unrolled: 18-line block ×5, first 2 shown]
	v_fma_f64 v[168:169], v[4:5], v[140:141], -v[142:143]
	ds_load_b128 v[4:7], v2 offset:1264
	s_wait_loadcnt_dscnt 0xa01
	v_mul_f64_e32 v[166:167], v[156:157], v[154:155]
	v_mul_f64_e32 v[154:155], v[158:159], v[154:155]
	scratch_load_b128 v[140:143], off, off offset:704
	v_add_f64_e32 v[160:161], v[160:161], v[164:165]
	s_wait_loadcnt_dscnt 0xa00
	v_mul_f64_e32 v[164:165], v[4:5], v[138:139]
	v_add_f64_e32 v[170:171], v[150:151], v[148:149]
	v_mul_f64_e32 v[138:139], v[6:7], v[138:139]
	ds_load_b128 v[148:151], v2 offset:1280
	v_fmac_f64_e32 v[166:167], v[158:159], v[152:153]
	v_fma_f64 v[152:153], v[156:157], v[152:153], -v[154:155]
	s_wait_loadcnt_dscnt 0x900
	v_mul_f64_e32 v[158:159], v[148:149], v[10:11]
	v_mul_f64_e32 v[10:11], v[150:151], v[10:11]
	v_add_f64_e32 v[156:157], v[160:161], v[162:163]
	v_fmac_f64_e32 v[164:165], v[6:7], v[136:137]
	v_add_f64_e32 v[154:155], v[170:171], v[168:169]
	v_fma_f64 v[160:161], v[4:5], v[136:137], -v[138:139]
	ds_load_b128 v[4:7], v2 offset:1296
	ds_load_b128 v[136:139], v2 offset:1312
	v_fmac_f64_e32 v[158:159], v[150:151], v[8:9]
	v_fma_f64 v[8:9], v[148:149], v[8:9], -v[10:11]
	v_add_f64_e32 v[152:153], v[154:155], v[152:153]
	v_add_f64_e32 v[154:155], v[156:157], v[166:167]
	s_wait_loadcnt_dscnt 0x801
	v_mul_f64_e32 v[156:157], v[4:5], v[14:15]
	v_mul_f64_e32 v[14:15], v[6:7], v[14:15]
	s_wait_loadcnt_dscnt 0x700
	v_mul_f64_e32 v[150:151], v[136:137], v[18:19]
	v_mul_f64_e32 v[18:19], v[138:139], v[18:19]
	v_add_f64_e32 v[10:11], v[152:153], v[160:161]
	v_add_f64_e32 v[148:149], v[154:155], v[164:165]
	v_fmac_f64_e32 v[156:157], v[6:7], v[12:13]
	v_fma_f64 v[12:13], v[4:5], v[12:13], -v[14:15]
	v_fmac_f64_e32 v[150:151], v[138:139], v[16:17]
	v_fma_f64 v[16:17], v[136:137], v[16:17], -v[18:19]
	v_add_f64_e32 v[14:15], v[10:11], v[8:9]
	v_add_f64_e32 v[148:149], v[148:149], v[158:159]
	ds_load_b128 v[4:7], v2 offset:1328
	ds_load_b128 v[8:11], v2 offset:1344
	s_wait_loadcnt_dscnt 0x601
	v_mul_f64_e32 v[152:153], v[4:5], v[22:23]
	v_mul_f64_e32 v[22:23], v[6:7], v[22:23]
	s_wait_loadcnt_dscnt 0x500
	v_mul_f64_e32 v[18:19], v[8:9], v[26:27]
	v_mul_f64_e32 v[26:27], v[10:11], v[26:27]
	v_add_f64_e32 v[12:13], v[14:15], v[12:13]
	v_add_f64_e32 v[14:15], v[148:149], v[156:157]
	v_fmac_f64_e32 v[152:153], v[6:7], v[20:21]
	v_fma_f64 v[20:21], v[4:5], v[20:21], -v[22:23]
	v_fmac_f64_e32 v[18:19], v[10:11], v[24:25]
	v_fma_f64 v[8:9], v[8:9], v[24:25], -v[26:27]
	v_add_f64_e32 v[16:17], v[12:13], v[16:17]
	v_add_f64_e32 v[22:23], v[14:15], v[150:151]
	ds_load_b128 v[4:7], v2 offset:1360
	ds_load_b128 v[12:15], v2 offset:1376
	s_wait_loadcnt_dscnt 0x401
	v_mul_f64_e32 v[136:137], v[4:5], v[30:31]
	v_mul_f64_e32 v[30:31], v[6:7], v[30:31]
	v_add_f64_e32 v[10:11], v[16:17], v[20:21]
	v_add_f64_e32 v[16:17], v[22:23], v[152:153]
	s_wait_loadcnt_dscnt 0x300
	v_mul_f64_e32 v[20:21], v[12:13], v[126:127]
	v_mul_f64_e32 v[22:23], v[14:15], v[126:127]
	v_fmac_f64_e32 v[136:137], v[6:7], v[28:29]
	v_fma_f64 v[24:25], v[4:5], v[28:29], -v[30:31]
	v_add_f64_e32 v[26:27], v[10:11], v[8:9]
	v_add_f64_e32 v[16:17], v[16:17], v[18:19]
	ds_load_b128 v[4:7], v2 offset:1392
	ds_load_b128 v[8:11], v2 offset:1408
	v_fmac_f64_e32 v[20:21], v[14:15], v[124:125]
	v_fma_f64 v[12:13], v[12:13], v[124:125], -v[22:23]
	s_wait_loadcnt_dscnt 0x201
	v_mul_f64_e32 v[18:19], v[4:5], v[130:131]
	v_mul_f64_e32 v[28:29], v[6:7], v[130:131]
	s_wait_loadcnt_dscnt 0x100
	v_mul_f64_e32 v[22:23], v[8:9], v[134:135]
	v_add_f64_e32 v[14:15], v[26:27], v[24:25]
	v_add_f64_e32 v[16:17], v[16:17], v[136:137]
	v_mul_f64_e32 v[24:25], v[10:11], v[134:135]
	v_fmac_f64_e32 v[18:19], v[6:7], v[128:129]
	v_fma_f64 v[26:27], v[4:5], v[128:129], -v[28:29]
	ds_load_b128 v[4:7], v2 offset:1424
	v_fmac_f64_e32 v[22:23], v[10:11], v[132:133]
	v_add_f64_e32 v[12:13], v[14:15], v[12:13]
	v_add_f64_e32 v[14:15], v[16:17], v[20:21]
	v_fma_f64 v[8:9], v[8:9], v[132:133], -v[24:25]
	s_wait_loadcnt_dscnt 0x0
	v_mul_f64_e32 v[16:17], v[4:5], v[142:143]
	v_mul_f64_e32 v[20:21], v[6:7], v[142:143]
	v_add_f64_e32 v[10:11], v[12:13], v[26:27]
	v_add_f64_e32 v[12:13], v[14:15], v[18:19]
	s_delay_alu instid0(VALU_DEP_4) | instskip(NEXT) | instid1(VALU_DEP_4)
	v_fmac_f64_e32 v[16:17], v[6:7], v[140:141]
	v_fma_f64 v[4:5], v[4:5], v[140:141], -v[20:21]
	s_delay_alu instid0(VALU_DEP_4) | instskip(NEXT) | instid1(VALU_DEP_4)
	v_add_f64_e32 v[6:7], v[10:11], v[8:9]
	v_add_f64_e32 v[8:9], v[12:13], v[22:23]
	s_delay_alu instid0(VALU_DEP_2) | instskip(NEXT) | instid1(VALU_DEP_2)
	v_add_f64_e32 v[4:5], v[6:7], v[4:5]
	v_add_f64_e32 v[6:7], v[8:9], v[16:17]
	s_delay_alu instid0(VALU_DEP_2) | instskip(NEXT) | instid1(VALU_DEP_2)
	v_add_f64_e64 v[4:5], v[144:145], -v[4:5]
	v_add_f64_e64 v[6:7], v[146:147], -v[6:7]
	scratch_store_b128 off, v[4:7], off offset:144
	s_wait_xcnt 0x0
	v_cmpx_lt_u32_e32 8, v1
	s_cbranch_execz .LBB108_267
; %bb.266:
	scratch_load_b128 v[6:9], off, s53
	v_dual_mov_b32 v3, v2 :: v_dual_mov_b32 v4, v2
	v_mov_b32_e32 v5, v2
	scratch_store_b128 off, v[2:5], off offset:128
	s_wait_loadcnt 0x0
	ds_store_b128 v122, v[6:9]
.LBB108_267:
	s_wait_xcnt 0x0
	s_or_b32 exec_lo, exec_lo, s2
	s_wait_storecnt_dscnt 0x0
	s_barrier_signal -1
	s_barrier_wait -1
	s_clause 0x9
	scratch_load_b128 v[4:7], off, off offset:144
	scratch_load_b128 v[8:11], off, off offset:160
	;; [unrolled: 1-line block ×10, first 2 shown]
	ds_load_b128 v[136:139], v2 offset:864
	ds_load_b128 v[144:147], v2 offset:880
	s_clause 0x2
	scratch_load_b128 v[140:143], off, off offset:304
	scratch_load_b128 v[148:151], off, off offset:128
	;; [unrolled: 1-line block ×3, first 2 shown]
	s_mov_b32 s2, exec_lo
	s_wait_loadcnt_dscnt 0xc01
	v_mul_f64_e32 v[156:157], v[138:139], v[6:7]
	v_mul_f64_e32 v[160:161], v[136:137], v[6:7]
	s_wait_loadcnt_dscnt 0xb00
	v_mul_f64_e32 v[162:163], v[144:145], v[10:11]
	v_mul_f64_e32 v[10:11], v[146:147], v[10:11]
	s_delay_alu instid0(VALU_DEP_4) | instskip(NEXT) | instid1(VALU_DEP_4)
	v_fma_f64 v[164:165], v[136:137], v[4:5], -v[156:157]
	v_fmac_f64_e32 v[160:161], v[138:139], v[4:5]
	ds_load_b128 v[4:7], v2 offset:896
	ds_load_b128 v[136:139], v2 offset:912
	scratch_load_b128 v[156:159], off, off offset:336
	v_fmac_f64_e32 v[162:163], v[146:147], v[8:9]
	v_fma_f64 v[144:145], v[144:145], v[8:9], -v[10:11]
	scratch_load_b128 v[8:11], off, off offset:352
	s_wait_loadcnt_dscnt 0xc01
	v_mul_f64_e32 v[166:167], v[4:5], v[14:15]
	v_mul_f64_e32 v[14:15], v[6:7], v[14:15]
	v_add_f64_e32 v[146:147], 0, v[164:165]
	v_add_f64_e32 v[160:161], 0, v[160:161]
	s_wait_loadcnt_dscnt 0xb00
	v_mul_f64_e32 v[164:165], v[136:137], v[18:19]
	v_mul_f64_e32 v[18:19], v[138:139], v[18:19]
	v_fmac_f64_e32 v[166:167], v[6:7], v[12:13]
	v_fma_f64 v[168:169], v[4:5], v[12:13], -v[14:15]
	ds_load_b128 v[4:7], v2 offset:928
	ds_load_b128 v[12:15], v2 offset:944
	v_add_f64_e32 v[170:171], v[146:147], v[144:145]
	v_add_f64_e32 v[160:161], v[160:161], v[162:163]
	scratch_load_b128 v[144:147], off, off offset:368
	v_fmac_f64_e32 v[164:165], v[138:139], v[16:17]
	v_fma_f64 v[136:137], v[136:137], v[16:17], -v[18:19]
	scratch_load_b128 v[16:19], off, off offset:384
	s_wait_loadcnt_dscnt 0xc01
	v_mul_f64_e32 v[162:163], v[4:5], v[22:23]
	v_mul_f64_e32 v[22:23], v[6:7], v[22:23]
	v_add_f64_e32 v[138:139], v[170:171], v[168:169]
	v_add_f64_e32 v[160:161], v[160:161], v[166:167]
	s_wait_loadcnt_dscnt 0xb00
	v_mul_f64_e32 v[166:167], v[12:13], v[26:27]
	v_mul_f64_e32 v[26:27], v[14:15], v[26:27]
	v_fmac_f64_e32 v[162:163], v[6:7], v[20:21]
	v_fma_f64 v[168:169], v[4:5], v[20:21], -v[22:23]
	ds_load_b128 v[4:7], v2 offset:960
	ds_load_b128 v[20:23], v2 offset:976
	v_add_f64_e32 v[170:171], v[138:139], v[136:137]
	v_add_f64_e32 v[160:161], v[160:161], v[164:165]
	scratch_load_b128 v[136:139], off, off offset:400
	s_wait_loadcnt_dscnt 0xb01
	v_mul_f64_e32 v[164:165], v[4:5], v[30:31]
	v_mul_f64_e32 v[30:31], v[6:7], v[30:31]
	v_fmac_f64_e32 v[166:167], v[14:15], v[24:25]
	v_fma_f64 v[24:25], v[12:13], v[24:25], -v[26:27]
	scratch_load_b128 v[12:15], off, off offset:416
	v_add_f64_e32 v[26:27], v[170:171], v[168:169]
	v_add_f64_e32 v[160:161], v[160:161], v[162:163]
	s_wait_loadcnt_dscnt 0xb00
	v_mul_f64_e32 v[162:163], v[20:21], v[126:127]
	v_mul_f64_e32 v[126:127], v[22:23], v[126:127]
	v_fmac_f64_e32 v[164:165], v[6:7], v[28:29]
	v_fma_f64 v[168:169], v[4:5], v[28:29], -v[30:31]
	v_add_f64_e32 v[170:171], v[26:27], v[24:25]
	v_add_f64_e32 v[160:161], v[160:161], v[166:167]
	ds_load_b128 v[4:7], v2 offset:992
	ds_load_b128 v[24:27], v2 offset:1008
	scratch_load_b128 v[28:31], off, off offset:432
	v_fmac_f64_e32 v[162:163], v[22:23], v[124:125]
	v_fma_f64 v[124:125], v[20:21], v[124:125], -v[126:127]
	scratch_load_b128 v[20:23], off, off offset:448
	s_wait_loadcnt_dscnt 0xc01
	v_mul_f64_e32 v[166:167], v[4:5], v[130:131]
	v_mul_f64_e32 v[130:131], v[6:7], v[130:131]
	v_add_f64_e32 v[126:127], v[170:171], v[168:169]
	v_add_f64_e32 v[160:161], v[160:161], v[164:165]
	s_wait_loadcnt_dscnt 0xb00
	v_mul_f64_e32 v[164:165], v[24:25], v[134:135]
	v_mul_f64_e32 v[134:135], v[26:27], v[134:135]
	v_fmac_f64_e32 v[166:167], v[6:7], v[128:129]
	v_fma_f64 v[168:169], v[4:5], v[128:129], -v[130:131]
	v_add_f64_e32 v[170:171], v[126:127], v[124:125]
	v_add_f64_e32 v[160:161], v[160:161], v[162:163]
	ds_load_b128 v[4:7], v2 offset:1024
	ds_load_b128 v[124:127], v2 offset:1040
	scratch_load_b128 v[128:131], off, off offset:464
	v_fmac_f64_e32 v[164:165], v[26:27], v[132:133]
	v_fma_f64 v[132:133], v[24:25], v[132:133], -v[134:135]
	scratch_load_b128 v[24:27], off, off offset:480
	s_wait_loadcnt_dscnt 0xc01
	v_mul_f64_e32 v[162:163], v[4:5], v[142:143]
	v_mul_f64_e32 v[142:143], v[6:7], v[142:143]
	;; [unrolled: 18-line block ×5, first 2 shown]
	v_add_f64_e32 v[154:155], v[170:171], v[168:169]
	v_add_f64_e32 v[160:161], v[160:161], v[166:167]
	s_wait_loadcnt_dscnt 0xa00
	v_mul_f64_e32 v[166:167], v[132:133], v[14:15]
	v_mul_f64_e32 v[14:15], v[134:135], v[14:15]
	v_fmac_f64_e32 v[162:163], v[6:7], v[136:137]
	v_fma_f64 v[168:169], v[4:5], v[136:137], -v[138:139]
	ds_load_b128 v[4:7], v2 offset:1152
	ds_load_b128 v[136:139], v2 offset:1168
	v_add_f64_e32 v[170:171], v[154:155], v[152:153]
	v_add_f64_e32 v[160:161], v[160:161], v[164:165]
	scratch_load_b128 v[152:155], off, off offset:592
	v_fmac_f64_e32 v[166:167], v[134:135], v[12:13]
	v_fma_f64 v[132:133], v[132:133], v[12:13], -v[14:15]
	scratch_load_b128 v[12:15], off, off offset:608
	s_wait_loadcnt_dscnt 0xb01
	v_mul_f64_e32 v[164:165], v[4:5], v[30:31]
	v_mul_f64_e32 v[30:31], v[6:7], v[30:31]
	v_add_f64_e32 v[134:135], v[170:171], v[168:169]
	v_add_f64_e32 v[160:161], v[160:161], v[162:163]
	s_wait_loadcnt_dscnt 0xa00
	v_mul_f64_e32 v[162:163], v[136:137], v[22:23]
	v_mul_f64_e32 v[22:23], v[138:139], v[22:23]
	v_fmac_f64_e32 v[164:165], v[6:7], v[28:29]
	v_fma_f64 v[168:169], v[4:5], v[28:29], -v[30:31]
	ds_load_b128 v[4:7], v2 offset:1184
	ds_load_b128 v[28:31], v2 offset:1200
	v_add_f64_e32 v[170:171], v[134:135], v[132:133]
	v_add_f64_e32 v[160:161], v[160:161], v[166:167]
	scratch_load_b128 v[132:135], off, off offset:624
	s_wait_loadcnt_dscnt 0xa01
	v_mul_f64_e32 v[166:167], v[4:5], v[130:131]
	v_mul_f64_e32 v[130:131], v[6:7], v[130:131]
	v_fmac_f64_e32 v[162:163], v[138:139], v[20:21]
	v_fma_f64 v[136:137], v[136:137], v[20:21], -v[22:23]
	scratch_load_b128 v[20:23], off, off offset:640
	v_add_f64_e32 v[138:139], v[170:171], v[168:169]
	v_add_f64_e32 v[160:161], v[160:161], v[164:165]
	s_wait_loadcnt_dscnt 0xa00
	v_mul_f64_e32 v[164:165], v[28:29], v[26:27]
	v_mul_f64_e32 v[26:27], v[30:31], v[26:27]
	v_fmac_f64_e32 v[166:167], v[6:7], v[128:129]
	v_fma_f64 v[168:169], v[4:5], v[128:129], -v[130:131]
	ds_load_b128 v[4:7], v2 offset:1216
	ds_load_b128 v[128:131], v2 offset:1232
	v_add_f64_e32 v[170:171], v[138:139], v[136:137]
	v_add_f64_e32 v[160:161], v[160:161], v[162:163]
	scratch_load_b128 v[136:139], off, off offset:656
	s_wait_loadcnt_dscnt 0xa01
	v_mul_f64_e32 v[162:163], v[4:5], v[142:143]
	v_mul_f64_e32 v[142:143], v[6:7], v[142:143]
	v_fmac_f64_e32 v[164:165], v[30:31], v[24:25]
	v_fma_f64 v[28:29], v[28:29], v[24:25], -v[26:27]
	scratch_load_b128 v[24:27], off, off offset:672
	v_add_f64_e32 v[30:31], v[170:171], v[168:169]
	v_add_f64_e32 v[160:161], v[160:161], v[166:167]
	s_wait_loadcnt_dscnt 0xa00
	v_mul_f64_e32 v[166:167], v[128:129], v[126:127]
	v_mul_f64_e32 v[126:127], v[130:131], v[126:127]
	v_fmac_f64_e32 v[162:163], v[6:7], v[140:141]
	v_fma_f64 v[168:169], v[4:5], v[140:141], -v[142:143]
	v_add_f64_e32 v[170:171], v[30:31], v[28:29]
	v_add_f64_e32 v[160:161], v[160:161], v[164:165]
	ds_load_b128 v[4:7], v2 offset:1248
	ds_load_b128 v[28:31], v2 offset:1264
	scratch_load_b128 v[140:143], off, off offset:688
	v_fmac_f64_e32 v[166:167], v[130:131], v[124:125]
	v_fma_f64 v[128:129], v[128:129], v[124:125], -v[126:127]
	scratch_load_b128 v[124:127], off, off offset:704
	s_wait_loadcnt_dscnt 0xb01
	v_mul_f64_e32 v[164:165], v[4:5], v[158:159]
	v_mul_f64_e32 v[158:159], v[6:7], v[158:159]
	v_add_f64_e32 v[130:131], v[170:171], v[168:169]
	v_add_f64_e32 v[160:161], v[160:161], v[162:163]
	s_wait_loadcnt_dscnt 0xa00
	v_mul_f64_e32 v[162:163], v[28:29], v[10:11]
	v_mul_f64_e32 v[10:11], v[30:31], v[10:11]
	v_fmac_f64_e32 v[164:165], v[6:7], v[156:157]
	v_fma_f64 v[156:157], v[4:5], v[156:157], -v[158:159]
	v_add_f64_e32 v[158:159], v[130:131], v[128:129]
	v_add_f64_e32 v[160:161], v[160:161], v[166:167]
	ds_load_b128 v[4:7], v2 offset:1280
	ds_load_b128 v[128:131], v2 offset:1296
	v_fmac_f64_e32 v[162:163], v[30:31], v[8:9]
	v_fma_f64 v[8:9], v[28:29], v[8:9], -v[10:11]
	s_wait_loadcnt_dscnt 0x901
	v_mul_f64_e32 v[166:167], v[4:5], v[146:147]
	v_mul_f64_e32 v[146:147], v[6:7], v[146:147]
	s_wait_loadcnt_dscnt 0x800
	v_mul_f64_e32 v[30:31], v[128:129], v[18:19]
	v_mul_f64_e32 v[18:19], v[130:131], v[18:19]
	v_add_f64_e32 v[10:11], v[158:159], v[156:157]
	v_add_f64_e32 v[28:29], v[160:161], v[164:165]
	v_fmac_f64_e32 v[166:167], v[6:7], v[144:145]
	v_fma_f64 v[144:145], v[4:5], v[144:145], -v[146:147]
	v_fmac_f64_e32 v[30:31], v[130:131], v[16:17]
	v_fma_f64 v[16:17], v[128:129], v[16:17], -v[18:19]
	v_add_f64_e32 v[146:147], v[10:11], v[8:9]
	v_add_f64_e32 v[28:29], v[28:29], v[162:163]
	ds_load_b128 v[4:7], v2 offset:1312
	ds_load_b128 v[8:11], v2 offset:1328
	s_wait_loadcnt_dscnt 0x701
	v_mul_f64_e32 v[156:157], v[4:5], v[154:155]
	v_mul_f64_e32 v[154:155], v[6:7], v[154:155]
	s_wait_loadcnt_dscnt 0x600
	v_mul_f64_e32 v[128:129], v[8:9], v[14:15]
	v_mul_f64_e32 v[130:131], v[10:11], v[14:15]
	v_add_f64_e32 v[18:19], v[146:147], v[144:145]
	v_add_f64_e32 v[28:29], v[28:29], v[166:167]
	v_fmac_f64_e32 v[156:157], v[6:7], v[152:153]
	v_fma_f64 v[144:145], v[4:5], v[152:153], -v[154:155]
	v_fmac_f64_e32 v[128:129], v[10:11], v[12:13]
	v_fma_f64 v[8:9], v[8:9], v[12:13], -v[130:131]
	v_add_f64_e32 v[18:19], v[18:19], v[16:17]
	v_add_f64_e32 v[28:29], v[28:29], v[30:31]
	ds_load_b128 v[4:7], v2 offset:1344
	ds_load_b128 v[14:17], v2 offset:1360
	s_wait_loadcnt_dscnt 0x501
	v_mul_f64_e32 v[30:31], v[4:5], v[134:135]
	v_mul_f64_e32 v[134:135], v[6:7], v[134:135]
	v_add_f64_e32 v[10:11], v[18:19], v[144:145]
	v_add_f64_e32 v[12:13], v[28:29], v[156:157]
	s_wait_loadcnt_dscnt 0x400
	v_mul_f64_e32 v[18:19], v[14:15], v[22:23]
	v_mul_f64_e32 v[22:23], v[16:17], v[22:23]
	v_fmac_f64_e32 v[30:31], v[6:7], v[132:133]
	v_fma_f64 v[28:29], v[4:5], v[132:133], -v[134:135]
	v_add_f64_e32 v[130:131], v[10:11], v[8:9]
	v_add_f64_e32 v[12:13], v[12:13], v[128:129]
	ds_load_b128 v[4:7], v2 offset:1376
	ds_load_b128 v[8:11], v2 offset:1392
	v_fmac_f64_e32 v[18:19], v[16:17], v[20:21]
	v_fma_f64 v[14:15], v[14:15], v[20:21], -v[22:23]
	s_wait_loadcnt_dscnt 0x301
	v_mul_f64_e32 v[128:129], v[4:5], v[138:139]
	v_mul_f64_e32 v[132:133], v[6:7], v[138:139]
	s_wait_loadcnt_dscnt 0x200
	v_mul_f64_e32 v[20:21], v[8:9], v[26:27]
	v_mul_f64_e32 v[22:23], v[10:11], v[26:27]
	v_add_f64_e32 v[16:17], v[130:131], v[28:29]
	v_add_f64_e32 v[12:13], v[12:13], v[30:31]
	v_fmac_f64_e32 v[128:129], v[6:7], v[136:137]
	v_fma_f64 v[26:27], v[4:5], v[136:137], -v[132:133]
	v_fmac_f64_e32 v[20:21], v[10:11], v[24:25]
	v_fma_f64 v[8:9], v[8:9], v[24:25], -v[22:23]
	v_add_f64_e32 v[16:17], v[16:17], v[14:15]
	v_add_f64_e32 v[18:19], v[12:13], v[18:19]
	ds_load_b128 v[4:7], v2 offset:1408
	ds_load_b128 v[12:15], v2 offset:1424
	s_wait_loadcnt_dscnt 0x101
	v_mul_f64_e32 v[2:3], v[4:5], v[142:143]
	v_mul_f64_e32 v[28:29], v[6:7], v[142:143]
	s_wait_loadcnt_dscnt 0x0
	v_mul_f64_e32 v[22:23], v[14:15], v[126:127]
	v_add_f64_e32 v[10:11], v[16:17], v[26:27]
	v_add_f64_e32 v[16:17], v[18:19], v[128:129]
	v_mul_f64_e32 v[18:19], v[12:13], v[126:127]
	v_fmac_f64_e32 v[2:3], v[6:7], v[140:141]
	v_fma_f64 v[4:5], v[4:5], v[140:141], -v[28:29]
	v_add_f64_e32 v[6:7], v[10:11], v[8:9]
	v_add_f64_e32 v[8:9], v[16:17], v[20:21]
	v_fmac_f64_e32 v[18:19], v[14:15], v[124:125]
	v_fma_f64 v[10:11], v[12:13], v[124:125], -v[22:23]
	s_delay_alu instid0(VALU_DEP_4) | instskip(NEXT) | instid1(VALU_DEP_4)
	v_add_f64_e32 v[4:5], v[6:7], v[4:5]
	v_add_f64_e32 v[2:3], v[8:9], v[2:3]
	s_delay_alu instid0(VALU_DEP_2) | instskip(NEXT) | instid1(VALU_DEP_2)
	v_add_f64_e32 v[4:5], v[4:5], v[10:11]
	v_add_f64_e32 v[6:7], v[2:3], v[18:19]
	s_delay_alu instid0(VALU_DEP_2) | instskip(NEXT) | instid1(VALU_DEP_2)
	v_add_f64_e64 v[2:3], v[148:149], -v[4:5]
	v_add_f64_e64 v[4:5], v[150:151], -v[6:7]
	scratch_store_b128 off, v[2:5], off offset:128
	s_wait_xcnt 0x0
	v_cmpx_lt_u32_e32 7, v1
	s_cbranch_execz .LBB108_269
; %bb.268:
	scratch_load_b128 v[2:5], off, s54
	v_mov_b32_e32 v6, 0
	s_delay_alu instid0(VALU_DEP_1)
	v_dual_mov_b32 v7, v6 :: v_dual_mov_b32 v8, v6
	v_mov_b32_e32 v9, v6
	scratch_store_b128 off, v[6:9], off offset:112
	s_wait_loadcnt 0x0
	ds_store_b128 v122, v[2:5]
.LBB108_269:
	s_wait_xcnt 0x0
	s_or_b32 exec_lo, exec_lo, s2
	s_wait_storecnt_dscnt 0x0
	s_barrier_signal -1
	s_barrier_wait -1
	s_clause 0x9
	scratch_load_b128 v[4:7], off, off offset:128
	scratch_load_b128 v[8:11], off, off offset:144
	;; [unrolled: 1-line block ×10, first 2 shown]
	v_mov_b32_e32 v2, 0
	s_mov_b32 s2, exec_lo
	ds_load_b128 v[136:139], v2 offset:848
	s_clause 0x2
	scratch_load_b128 v[140:143], off, off offset:288
	scratch_load_b128 v[144:147], off, off offset:112
	;; [unrolled: 1-line block ×3, first 2 shown]
	s_wait_loadcnt_dscnt 0xc00
	v_mul_f64_e32 v[156:157], v[138:139], v[6:7]
	v_mul_f64_e32 v[160:161], v[136:137], v[6:7]
	ds_load_b128 v[148:151], v2 offset:864
	v_fma_f64 v[164:165], v[136:137], v[4:5], -v[156:157]
	v_fmac_f64_e32 v[160:161], v[138:139], v[4:5]
	ds_load_b128 v[4:7], v2 offset:880
	s_wait_loadcnt_dscnt 0xb01
	v_mul_f64_e32 v[162:163], v[148:149], v[10:11]
	v_mul_f64_e32 v[10:11], v[150:151], v[10:11]
	scratch_load_b128 v[136:139], off, off offset:320
	ds_load_b128 v[156:159], v2 offset:896
	s_wait_loadcnt_dscnt 0xb01
	v_mul_f64_e32 v[166:167], v[4:5], v[14:15]
	v_mul_f64_e32 v[14:15], v[6:7], v[14:15]
	v_add_f64_e32 v[160:161], 0, v[160:161]
	v_fmac_f64_e32 v[162:163], v[150:151], v[8:9]
	v_fma_f64 v[148:149], v[148:149], v[8:9], -v[10:11]
	v_add_f64_e32 v[150:151], 0, v[164:165]
	scratch_load_b128 v[8:11], off, off offset:336
	v_fmac_f64_e32 v[166:167], v[6:7], v[12:13]
	v_fma_f64 v[168:169], v[4:5], v[12:13], -v[14:15]
	ds_load_b128 v[4:7], v2 offset:912
	s_wait_loadcnt_dscnt 0xb01
	v_mul_f64_e32 v[164:165], v[156:157], v[18:19]
	v_mul_f64_e32 v[18:19], v[158:159], v[18:19]
	scratch_load_b128 v[12:15], off, off offset:352
	v_add_f64_e32 v[160:161], v[160:161], v[162:163]
	v_add_f64_e32 v[170:171], v[150:151], v[148:149]
	ds_load_b128 v[148:151], v2 offset:928
	s_wait_loadcnt_dscnt 0xb01
	v_mul_f64_e32 v[162:163], v[4:5], v[22:23]
	v_mul_f64_e32 v[22:23], v[6:7], v[22:23]
	v_fmac_f64_e32 v[164:165], v[158:159], v[16:17]
	v_fma_f64 v[156:157], v[156:157], v[16:17], -v[18:19]
	scratch_load_b128 v[16:19], off, off offset:368
	v_add_f64_e32 v[160:161], v[160:161], v[166:167]
	v_add_f64_e32 v[158:159], v[170:171], v[168:169]
	v_fmac_f64_e32 v[162:163], v[6:7], v[20:21]
	v_fma_f64 v[168:169], v[4:5], v[20:21], -v[22:23]
	ds_load_b128 v[4:7], v2 offset:944
	s_wait_loadcnt_dscnt 0xb01
	v_mul_f64_e32 v[166:167], v[148:149], v[26:27]
	v_mul_f64_e32 v[26:27], v[150:151], v[26:27]
	scratch_load_b128 v[20:23], off, off offset:384
	v_add_f64_e32 v[160:161], v[160:161], v[164:165]
	s_wait_loadcnt_dscnt 0xb00
	v_mul_f64_e32 v[164:165], v[4:5], v[30:31]
	v_add_f64_e32 v[170:171], v[158:159], v[156:157]
	v_mul_f64_e32 v[30:31], v[6:7], v[30:31]
	ds_load_b128 v[156:159], v2 offset:960
	v_fmac_f64_e32 v[166:167], v[150:151], v[24:25]
	v_fma_f64 v[148:149], v[148:149], v[24:25], -v[26:27]
	scratch_load_b128 v[24:27], off, off offset:400
	v_add_f64_e32 v[160:161], v[160:161], v[162:163]
	v_fmac_f64_e32 v[164:165], v[6:7], v[28:29]
	v_add_f64_e32 v[150:151], v[170:171], v[168:169]
	v_fma_f64 v[168:169], v[4:5], v[28:29], -v[30:31]
	ds_load_b128 v[4:7], v2 offset:976
	s_wait_loadcnt_dscnt 0xb01
	v_mul_f64_e32 v[162:163], v[156:157], v[126:127]
	v_mul_f64_e32 v[126:127], v[158:159], v[126:127]
	scratch_load_b128 v[28:31], off, off offset:416
	v_add_f64_e32 v[160:161], v[160:161], v[166:167]
	s_wait_loadcnt_dscnt 0xb00
	v_mul_f64_e32 v[166:167], v[4:5], v[130:131]
	v_add_f64_e32 v[170:171], v[150:151], v[148:149]
	v_mul_f64_e32 v[130:131], v[6:7], v[130:131]
	ds_load_b128 v[148:151], v2 offset:992
	v_fmac_f64_e32 v[162:163], v[158:159], v[124:125]
	v_fma_f64 v[156:157], v[156:157], v[124:125], -v[126:127]
	scratch_load_b128 v[124:127], off, off offset:432
	v_add_f64_e32 v[160:161], v[160:161], v[164:165]
	v_fmac_f64_e32 v[166:167], v[6:7], v[128:129]
	v_add_f64_e32 v[158:159], v[170:171], v[168:169]
	;; [unrolled: 18-line block ×3, first 2 shown]
	v_fma_f64 v[168:169], v[4:5], v[140:141], -v[142:143]
	ds_load_b128 v[4:7], v2 offset:1040
	s_wait_loadcnt_dscnt 0xa01
	v_mul_f64_e32 v[166:167], v[156:157], v[154:155]
	v_mul_f64_e32 v[154:155], v[158:159], v[154:155]
	scratch_load_b128 v[140:143], off, off offset:480
	v_add_f64_e32 v[160:161], v[160:161], v[164:165]
	v_add_f64_e32 v[170:171], v[150:151], v[148:149]
	s_wait_loadcnt_dscnt 0xa00
	v_mul_f64_e32 v[164:165], v[4:5], v[138:139]
	v_mul_f64_e32 v[138:139], v[6:7], v[138:139]
	v_fmac_f64_e32 v[166:167], v[158:159], v[152:153]
	v_fma_f64 v[156:157], v[156:157], v[152:153], -v[154:155]
	ds_load_b128 v[148:151], v2 offset:1056
	scratch_load_b128 v[152:155], off, off offset:496
	v_add_f64_e32 v[160:161], v[160:161], v[162:163]
	v_add_f64_e32 v[158:159], v[170:171], v[168:169]
	v_fmac_f64_e32 v[164:165], v[6:7], v[136:137]
	v_fma_f64 v[168:169], v[4:5], v[136:137], -v[138:139]
	ds_load_b128 v[4:7], v2 offset:1072
	s_wait_loadcnt_dscnt 0xa01
	v_mul_f64_e32 v[162:163], v[148:149], v[10:11]
	v_mul_f64_e32 v[10:11], v[150:151], v[10:11]
	scratch_load_b128 v[136:139], off, off offset:512
	v_add_f64_e32 v[160:161], v[160:161], v[166:167]
	s_wait_loadcnt_dscnt 0xa00
	v_mul_f64_e32 v[166:167], v[4:5], v[14:15]
	v_add_f64_e32 v[170:171], v[158:159], v[156:157]
	v_mul_f64_e32 v[14:15], v[6:7], v[14:15]
	ds_load_b128 v[156:159], v2 offset:1088
	v_fmac_f64_e32 v[162:163], v[150:151], v[8:9]
	v_fma_f64 v[148:149], v[148:149], v[8:9], -v[10:11]
	scratch_load_b128 v[8:11], off, off offset:528
	v_add_f64_e32 v[160:161], v[160:161], v[164:165]
	v_fmac_f64_e32 v[166:167], v[6:7], v[12:13]
	v_add_f64_e32 v[150:151], v[170:171], v[168:169]
	v_fma_f64 v[168:169], v[4:5], v[12:13], -v[14:15]
	ds_load_b128 v[4:7], v2 offset:1104
	s_wait_loadcnt_dscnt 0xa01
	v_mul_f64_e32 v[164:165], v[156:157], v[18:19]
	v_mul_f64_e32 v[18:19], v[158:159], v[18:19]
	scratch_load_b128 v[12:15], off, off offset:544
	v_add_f64_e32 v[160:161], v[160:161], v[162:163]
	s_wait_loadcnt_dscnt 0xa00
	v_mul_f64_e32 v[162:163], v[4:5], v[22:23]
	v_add_f64_e32 v[170:171], v[150:151], v[148:149]
	v_mul_f64_e32 v[22:23], v[6:7], v[22:23]
	ds_load_b128 v[148:151], v2 offset:1120
	v_fmac_f64_e32 v[164:165], v[158:159], v[16:17]
	v_fma_f64 v[156:157], v[156:157], v[16:17], -v[18:19]
	scratch_load_b128 v[16:19], off, off offset:560
	v_add_f64_e32 v[160:161], v[160:161], v[166:167]
	v_fmac_f64_e32 v[162:163], v[6:7], v[20:21]
	v_add_f64_e32 v[158:159], v[170:171], v[168:169]
	;; [unrolled: 18-line block ×6, first 2 shown]
	v_fma_f64 v[168:169], v[4:5], v[136:137], -v[138:139]
	ds_load_b128 v[4:7], v2 offset:1264
	s_wait_loadcnt_dscnt 0xa01
	v_mul_f64_e32 v[162:163], v[148:149], v[10:11]
	v_mul_f64_e32 v[10:11], v[150:151], v[10:11]
	scratch_load_b128 v[136:139], off, off offset:704
	v_add_f64_e32 v[160:161], v[160:161], v[166:167]
	s_wait_loadcnt_dscnt 0xa00
	v_mul_f64_e32 v[166:167], v[4:5], v[14:15]
	v_add_f64_e32 v[170:171], v[158:159], v[156:157]
	v_mul_f64_e32 v[14:15], v[6:7], v[14:15]
	ds_load_b128 v[156:159], v2 offset:1280
	v_fmac_f64_e32 v[162:163], v[150:151], v[8:9]
	v_fma_f64 v[8:9], v[148:149], v[8:9], -v[10:11]
	s_wait_loadcnt_dscnt 0x900
	v_mul_f64_e32 v[150:151], v[156:157], v[18:19]
	v_mul_f64_e32 v[18:19], v[158:159], v[18:19]
	v_add_f64_e32 v[148:149], v[160:161], v[164:165]
	v_fmac_f64_e32 v[166:167], v[6:7], v[12:13]
	v_add_f64_e32 v[10:11], v[170:171], v[168:169]
	v_fma_f64 v[12:13], v[4:5], v[12:13], -v[14:15]
	v_fmac_f64_e32 v[150:151], v[158:159], v[16:17]
	v_fma_f64 v[16:17], v[156:157], v[16:17], -v[18:19]
	v_add_f64_e32 v[148:149], v[148:149], v[162:163]
	v_add_f64_e32 v[14:15], v[10:11], v[8:9]
	ds_load_b128 v[4:7], v2 offset:1296
	ds_load_b128 v[8:11], v2 offset:1312
	s_wait_loadcnt_dscnt 0x801
	v_mul_f64_e32 v[160:161], v[4:5], v[22:23]
	v_mul_f64_e32 v[22:23], v[6:7], v[22:23]
	s_wait_loadcnt_dscnt 0x700
	v_mul_f64_e32 v[18:19], v[8:9], v[26:27]
	v_mul_f64_e32 v[26:27], v[10:11], v[26:27]
	v_add_f64_e32 v[12:13], v[14:15], v[12:13]
	v_add_f64_e32 v[14:15], v[148:149], v[166:167]
	v_fmac_f64_e32 v[160:161], v[6:7], v[20:21]
	v_fma_f64 v[20:21], v[4:5], v[20:21], -v[22:23]
	v_fmac_f64_e32 v[18:19], v[10:11], v[24:25]
	v_fma_f64 v[8:9], v[8:9], v[24:25], -v[26:27]
	v_add_f64_e32 v[16:17], v[12:13], v[16:17]
	v_add_f64_e32 v[22:23], v[14:15], v[150:151]
	ds_load_b128 v[4:7], v2 offset:1328
	ds_load_b128 v[12:15], v2 offset:1344
	s_wait_loadcnt_dscnt 0x601
	v_mul_f64_e32 v[148:149], v[4:5], v[30:31]
	v_mul_f64_e32 v[30:31], v[6:7], v[30:31]
	v_add_f64_e32 v[10:11], v[16:17], v[20:21]
	v_add_f64_e32 v[16:17], v[22:23], v[160:161]
	s_wait_loadcnt_dscnt 0x500
	v_mul_f64_e32 v[20:21], v[12:13], v[126:127]
	v_mul_f64_e32 v[22:23], v[14:15], v[126:127]
	v_fmac_f64_e32 v[148:149], v[6:7], v[28:29]
	v_fma_f64 v[24:25], v[4:5], v[28:29], -v[30:31]
	v_add_f64_e32 v[26:27], v[10:11], v[8:9]
	v_add_f64_e32 v[16:17], v[16:17], v[18:19]
	ds_load_b128 v[4:7], v2 offset:1360
	ds_load_b128 v[8:11], v2 offset:1376
	v_fmac_f64_e32 v[20:21], v[14:15], v[124:125]
	v_fma_f64 v[12:13], v[12:13], v[124:125], -v[22:23]
	s_wait_loadcnt_dscnt 0x401
	v_mul_f64_e32 v[18:19], v[4:5], v[130:131]
	v_mul_f64_e32 v[28:29], v[6:7], v[130:131]
	s_wait_loadcnt_dscnt 0x300
	v_mul_f64_e32 v[22:23], v[8:9], v[134:135]
	v_add_f64_e32 v[14:15], v[26:27], v[24:25]
	v_add_f64_e32 v[16:17], v[16:17], v[148:149]
	v_mul_f64_e32 v[24:25], v[10:11], v[134:135]
	v_fmac_f64_e32 v[18:19], v[6:7], v[128:129]
	v_fma_f64 v[26:27], v[4:5], v[128:129], -v[28:29]
	v_fmac_f64_e32 v[22:23], v[10:11], v[132:133]
	v_add_f64_e32 v[28:29], v[14:15], v[12:13]
	v_add_f64_e32 v[16:17], v[16:17], v[20:21]
	ds_load_b128 v[4:7], v2 offset:1392
	ds_load_b128 v[12:15], v2 offset:1408
	v_fma_f64 v[8:9], v[8:9], v[132:133], -v[24:25]
	s_wait_loadcnt_dscnt 0x201
	v_mul_f64_e32 v[20:21], v[4:5], v[142:143]
	v_mul_f64_e32 v[30:31], v[6:7], v[142:143]
	s_wait_loadcnt_dscnt 0x100
	v_mul_f64_e32 v[24:25], v[14:15], v[154:155]
	v_add_f64_e32 v[10:11], v[28:29], v[26:27]
	v_add_f64_e32 v[16:17], v[16:17], v[18:19]
	v_mul_f64_e32 v[18:19], v[12:13], v[154:155]
	v_fmac_f64_e32 v[20:21], v[6:7], v[140:141]
	v_fma_f64 v[26:27], v[4:5], v[140:141], -v[30:31]
	ds_load_b128 v[4:7], v2 offset:1424
	v_fma_f64 v[12:13], v[12:13], v[152:153], -v[24:25]
	v_add_f64_e32 v[8:9], v[10:11], v[8:9]
	v_add_f64_e32 v[10:11], v[16:17], v[22:23]
	v_fmac_f64_e32 v[18:19], v[14:15], v[152:153]
	s_wait_loadcnt_dscnt 0x0
	v_mul_f64_e32 v[16:17], v[4:5], v[138:139]
	v_mul_f64_e32 v[22:23], v[6:7], v[138:139]
	v_add_f64_e32 v[8:9], v[8:9], v[26:27]
	v_add_f64_e32 v[10:11], v[10:11], v[20:21]
	s_delay_alu instid0(VALU_DEP_4) | instskip(NEXT) | instid1(VALU_DEP_4)
	v_fmac_f64_e32 v[16:17], v[6:7], v[136:137]
	v_fma_f64 v[4:5], v[4:5], v[136:137], -v[22:23]
	s_delay_alu instid0(VALU_DEP_4) | instskip(NEXT) | instid1(VALU_DEP_4)
	v_add_f64_e32 v[6:7], v[8:9], v[12:13]
	v_add_f64_e32 v[8:9], v[10:11], v[18:19]
	s_delay_alu instid0(VALU_DEP_2) | instskip(NEXT) | instid1(VALU_DEP_2)
	v_add_f64_e32 v[4:5], v[6:7], v[4:5]
	v_add_f64_e32 v[6:7], v[8:9], v[16:17]
	s_delay_alu instid0(VALU_DEP_2) | instskip(NEXT) | instid1(VALU_DEP_2)
	v_add_f64_e64 v[4:5], v[144:145], -v[4:5]
	v_add_f64_e64 v[6:7], v[146:147], -v[6:7]
	scratch_store_b128 off, v[4:7], off offset:112
	s_wait_xcnt 0x0
	v_cmpx_lt_u32_e32 6, v1
	s_cbranch_execz .LBB108_271
; %bb.270:
	scratch_load_b128 v[6:9], off, s55
	v_dual_mov_b32 v3, v2 :: v_dual_mov_b32 v4, v2
	v_mov_b32_e32 v5, v2
	scratch_store_b128 off, v[2:5], off offset:96
	s_wait_loadcnt 0x0
	ds_store_b128 v122, v[6:9]
.LBB108_271:
	s_wait_xcnt 0x0
	s_or_b32 exec_lo, exec_lo, s2
	s_wait_storecnt_dscnt 0x0
	s_barrier_signal -1
	s_barrier_wait -1
	s_clause 0x9
	scratch_load_b128 v[4:7], off, off offset:112
	scratch_load_b128 v[8:11], off, off offset:128
	;; [unrolled: 1-line block ×10, first 2 shown]
	ds_load_b128 v[136:139], v2 offset:832
	ds_load_b128 v[144:147], v2 offset:848
	s_clause 0x2
	scratch_load_b128 v[140:143], off, off offset:272
	scratch_load_b128 v[148:151], off, off offset:96
	;; [unrolled: 1-line block ×3, first 2 shown]
	s_mov_b32 s2, exec_lo
	s_wait_loadcnt_dscnt 0xc01
	v_mul_f64_e32 v[156:157], v[138:139], v[6:7]
	v_mul_f64_e32 v[160:161], v[136:137], v[6:7]
	s_wait_loadcnt_dscnt 0xb00
	v_mul_f64_e32 v[162:163], v[144:145], v[10:11]
	v_mul_f64_e32 v[10:11], v[146:147], v[10:11]
	s_delay_alu instid0(VALU_DEP_4) | instskip(NEXT) | instid1(VALU_DEP_4)
	v_fma_f64 v[164:165], v[136:137], v[4:5], -v[156:157]
	v_fmac_f64_e32 v[160:161], v[138:139], v[4:5]
	ds_load_b128 v[4:7], v2 offset:864
	ds_load_b128 v[136:139], v2 offset:880
	scratch_load_b128 v[156:159], off, off offset:304
	v_fmac_f64_e32 v[162:163], v[146:147], v[8:9]
	v_fma_f64 v[144:145], v[144:145], v[8:9], -v[10:11]
	scratch_load_b128 v[8:11], off, off offset:320
	s_wait_loadcnt_dscnt 0xc01
	v_mul_f64_e32 v[166:167], v[4:5], v[14:15]
	v_mul_f64_e32 v[14:15], v[6:7], v[14:15]
	v_add_f64_e32 v[146:147], 0, v[164:165]
	v_add_f64_e32 v[160:161], 0, v[160:161]
	s_wait_loadcnt_dscnt 0xb00
	v_mul_f64_e32 v[164:165], v[136:137], v[18:19]
	v_mul_f64_e32 v[18:19], v[138:139], v[18:19]
	v_fmac_f64_e32 v[166:167], v[6:7], v[12:13]
	v_fma_f64 v[168:169], v[4:5], v[12:13], -v[14:15]
	ds_load_b128 v[4:7], v2 offset:896
	ds_load_b128 v[12:15], v2 offset:912
	v_add_f64_e32 v[170:171], v[146:147], v[144:145]
	v_add_f64_e32 v[160:161], v[160:161], v[162:163]
	scratch_load_b128 v[144:147], off, off offset:336
	v_fmac_f64_e32 v[164:165], v[138:139], v[16:17]
	v_fma_f64 v[136:137], v[136:137], v[16:17], -v[18:19]
	scratch_load_b128 v[16:19], off, off offset:352
	s_wait_loadcnt_dscnt 0xc01
	v_mul_f64_e32 v[162:163], v[4:5], v[22:23]
	v_mul_f64_e32 v[22:23], v[6:7], v[22:23]
	v_add_f64_e32 v[138:139], v[170:171], v[168:169]
	v_add_f64_e32 v[160:161], v[160:161], v[166:167]
	s_wait_loadcnt_dscnt 0xb00
	v_mul_f64_e32 v[166:167], v[12:13], v[26:27]
	v_mul_f64_e32 v[26:27], v[14:15], v[26:27]
	v_fmac_f64_e32 v[162:163], v[6:7], v[20:21]
	v_fma_f64 v[168:169], v[4:5], v[20:21], -v[22:23]
	ds_load_b128 v[4:7], v2 offset:928
	ds_load_b128 v[20:23], v2 offset:944
	v_add_f64_e32 v[170:171], v[138:139], v[136:137]
	v_add_f64_e32 v[160:161], v[160:161], v[164:165]
	scratch_load_b128 v[136:139], off, off offset:368
	s_wait_loadcnt_dscnt 0xb01
	v_mul_f64_e32 v[164:165], v[4:5], v[30:31]
	v_mul_f64_e32 v[30:31], v[6:7], v[30:31]
	v_fmac_f64_e32 v[166:167], v[14:15], v[24:25]
	v_fma_f64 v[24:25], v[12:13], v[24:25], -v[26:27]
	scratch_load_b128 v[12:15], off, off offset:384
	v_add_f64_e32 v[26:27], v[170:171], v[168:169]
	v_add_f64_e32 v[160:161], v[160:161], v[162:163]
	s_wait_loadcnt_dscnt 0xb00
	v_mul_f64_e32 v[162:163], v[20:21], v[126:127]
	v_mul_f64_e32 v[126:127], v[22:23], v[126:127]
	v_fmac_f64_e32 v[164:165], v[6:7], v[28:29]
	v_fma_f64 v[168:169], v[4:5], v[28:29], -v[30:31]
	v_add_f64_e32 v[170:171], v[26:27], v[24:25]
	v_add_f64_e32 v[160:161], v[160:161], v[166:167]
	ds_load_b128 v[4:7], v2 offset:960
	ds_load_b128 v[24:27], v2 offset:976
	scratch_load_b128 v[28:31], off, off offset:400
	v_fmac_f64_e32 v[162:163], v[22:23], v[124:125]
	v_fma_f64 v[124:125], v[20:21], v[124:125], -v[126:127]
	scratch_load_b128 v[20:23], off, off offset:416
	s_wait_loadcnt_dscnt 0xc01
	v_mul_f64_e32 v[166:167], v[4:5], v[130:131]
	v_mul_f64_e32 v[130:131], v[6:7], v[130:131]
	v_add_f64_e32 v[126:127], v[170:171], v[168:169]
	v_add_f64_e32 v[160:161], v[160:161], v[164:165]
	s_wait_loadcnt_dscnt 0xb00
	v_mul_f64_e32 v[164:165], v[24:25], v[134:135]
	v_mul_f64_e32 v[134:135], v[26:27], v[134:135]
	v_fmac_f64_e32 v[166:167], v[6:7], v[128:129]
	v_fma_f64 v[168:169], v[4:5], v[128:129], -v[130:131]
	v_add_f64_e32 v[170:171], v[126:127], v[124:125]
	v_add_f64_e32 v[160:161], v[160:161], v[162:163]
	ds_load_b128 v[4:7], v2 offset:992
	ds_load_b128 v[124:127], v2 offset:1008
	scratch_load_b128 v[128:131], off, off offset:432
	v_fmac_f64_e32 v[164:165], v[26:27], v[132:133]
	v_fma_f64 v[132:133], v[24:25], v[132:133], -v[134:135]
	scratch_load_b128 v[24:27], off, off offset:448
	s_wait_loadcnt_dscnt 0xc01
	v_mul_f64_e32 v[162:163], v[4:5], v[142:143]
	v_mul_f64_e32 v[142:143], v[6:7], v[142:143]
	;; [unrolled: 18-line block ×5, first 2 shown]
	v_add_f64_e32 v[154:155], v[170:171], v[168:169]
	v_add_f64_e32 v[160:161], v[160:161], v[166:167]
	s_wait_loadcnt_dscnt 0xa00
	v_mul_f64_e32 v[166:167], v[132:133], v[14:15]
	v_mul_f64_e32 v[14:15], v[134:135], v[14:15]
	v_fmac_f64_e32 v[162:163], v[6:7], v[136:137]
	v_fma_f64 v[168:169], v[4:5], v[136:137], -v[138:139]
	ds_load_b128 v[4:7], v2 offset:1120
	ds_load_b128 v[136:139], v2 offset:1136
	v_add_f64_e32 v[170:171], v[154:155], v[152:153]
	v_add_f64_e32 v[160:161], v[160:161], v[164:165]
	scratch_load_b128 v[152:155], off, off offset:560
	v_fmac_f64_e32 v[166:167], v[134:135], v[12:13]
	v_fma_f64 v[132:133], v[132:133], v[12:13], -v[14:15]
	scratch_load_b128 v[12:15], off, off offset:576
	s_wait_loadcnt_dscnt 0xb01
	v_mul_f64_e32 v[164:165], v[4:5], v[30:31]
	v_mul_f64_e32 v[30:31], v[6:7], v[30:31]
	v_add_f64_e32 v[134:135], v[170:171], v[168:169]
	v_add_f64_e32 v[160:161], v[160:161], v[162:163]
	s_wait_loadcnt_dscnt 0xa00
	v_mul_f64_e32 v[162:163], v[136:137], v[22:23]
	v_mul_f64_e32 v[22:23], v[138:139], v[22:23]
	v_fmac_f64_e32 v[164:165], v[6:7], v[28:29]
	v_fma_f64 v[168:169], v[4:5], v[28:29], -v[30:31]
	ds_load_b128 v[4:7], v2 offset:1152
	ds_load_b128 v[28:31], v2 offset:1168
	v_add_f64_e32 v[170:171], v[134:135], v[132:133]
	v_add_f64_e32 v[160:161], v[160:161], v[166:167]
	scratch_load_b128 v[132:135], off, off offset:592
	s_wait_loadcnt_dscnt 0xa01
	v_mul_f64_e32 v[166:167], v[4:5], v[130:131]
	v_mul_f64_e32 v[130:131], v[6:7], v[130:131]
	v_fmac_f64_e32 v[162:163], v[138:139], v[20:21]
	v_fma_f64 v[136:137], v[136:137], v[20:21], -v[22:23]
	scratch_load_b128 v[20:23], off, off offset:608
	v_add_f64_e32 v[138:139], v[170:171], v[168:169]
	v_add_f64_e32 v[160:161], v[160:161], v[164:165]
	s_wait_loadcnt_dscnt 0xa00
	v_mul_f64_e32 v[164:165], v[28:29], v[26:27]
	v_mul_f64_e32 v[26:27], v[30:31], v[26:27]
	v_fmac_f64_e32 v[166:167], v[6:7], v[128:129]
	v_fma_f64 v[168:169], v[4:5], v[128:129], -v[130:131]
	ds_load_b128 v[4:7], v2 offset:1184
	ds_load_b128 v[128:131], v2 offset:1200
	v_add_f64_e32 v[170:171], v[138:139], v[136:137]
	v_add_f64_e32 v[160:161], v[160:161], v[162:163]
	scratch_load_b128 v[136:139], off, off offset:624
	s_wait_loadcnt_dscnt 0xa01
	v_mul_f64_e32 v[162:163], v[4:5], v[142:143]
	v_mul_f64_e32 v[142:143], v[6:7], v[142:143]
	v_fmac_f64_e32 v[164:165], v[30:31], v[24:25]
	v_fma_f64 v[28:29], v[28:29], v[24:25], -v[26:27]
	scratch_load_b128 v[24:27], off, off offset:640
	v_add_f64_e32 v[30:31], v[170:171], v[168:169]
	v_add_f64_e32 v[160:161], v[160:161], v[166:167]
	s_wait_loadcnt_dscnt 0xa00
	v_mul_f64_e32 v[166:167], v[128:129], v[126:127]
	v_mul_f64_e32 v[126:127], v[130:131], v[126:127]
	v_fmac_f64_e32 v[162:163], v[6:7], v[140:141]
	v_fma_f64 v[168:169], v[4:5], v[140:141], -v[142:143]
	v_add_f64_e32 v[170:171], v[30:31], v[28:29]
	v_add_f64_e32 v[160:161], v[160:161], v[164:165]
	ds_load_b128 v[4:7], v2 offset:1216
	ds_load_b128 v[28:31], v2 offset:1232
	scratch_load_b128 v[140:143], off, off offset:656
	v_fmac_f64_e32 v[166:167], v[130:131], v[124:125]
	v_fma_f64 v[128:129], v[128:129], v[124:125], -v[126:127]
	scratch_load_b128 v[124:127], off, off offset:672
	s_wait_loadcnt_dscnt 0xb01
	v_mul_f64_e32 v[164:165], v[4:5], v[158:159]
	v_mul_f64_e32 v[158:159], v[6:7], v[158:159]
	v_add_f64_e32 v[130:131], v[170:171], v[168:169]
	v_add_f64_e32 v[160:161], v[160:161], v[162:163]
	s_wait_loadcnt_dscnt 0xa00
	v_mul_f64_e32 v[162:163], v[28:29], v[10:11]
	v_mul_f64_e32 v[10:11], v[30:31], v[10:11]
	v_fmac_f64_e32 v[164:165], v[6:7], v[156:157]
	v_fma_f64 v[168:169], v[4:5], v[156:157], -v[158:159]
	v_add_f64_e32 v[170:171], v[130:131], v[128:129]
	v_add_f64_e32 v[160:161], v[160:161], v[166:167]
	ds_load_b128 v[4:7], v2 offset:1248
	ds_load_b128 v[128:131], v2 offset:1264
	scratch_load_b128 v[156:159], off, off offset:688
	v_fmac_f64_e32 v[162:163], v[30:31], v[8:9]
	v_fma_f64 v[28:29], v[28:29], v[8:9], -v[10:11]
	scratch_load_b128 v[8:11], off, off offset:704
	s_wait_loadcnt_dscnt 0xb01
	v_mul_f64_e32 v[166:167], v[4:5], v[146:147]
	v_mul_f64_e32 v[146:147], v[6:7], v[146:147]
	v_add_f64_e32 v[30:31], v[170:171], v[168:169]
	v_add_f64_e32 v[160:161], v[160:161], v[164:165]
	s_wait_loadcnt_dscnt 0xa00
	v_mul_f64_e32 v[164:165], v[128:129], v[18:19]
	v_mul_f64_e32 v[18:19], v[130:131], v[18:19]
	v_fmac_f64_e32 v[166:167], v[6:7], v[144:145]
	v_fma_f64 v[144:145], v[4:5], v[144:145], -v[146:147]
	v_add_f64_e32 v[146:147], v[30:31], v[28:29]
	v_add_f64_e32 v[160:161], v[160:161], v[162:163]
	ds_load_b128 v[4:7], v2 offset:1280
	ds_load_b128 v[28:31], v2 offset:1296
	v_fmac_f64_e32 v[164:165], v[130:131], v[16:17]
	v_fma_f64 v[16:17], v[128:129], v[16:17], -v[18:19]
	s_wait_loadcnt_dscnt 0x901
	v_mul_f64_e32 v[162:163], v[4:5], v[154:155]
	v_mul_f64_e32 v[154:155], v[6:7], v[154:155]
	s_wait_loadcnt_dscnt 0x800
	v_mul_f64_e32 v[130:131], v[28:29], v[14:15]
	v_add_f64_e32 v[18:19], v[146:147], v[144:145]
	v_add_f64_e32 v[128:129], v[160:161], v[166:167]
	v_mul_f64_e32 v[144:145], v[30:31], v[14:15]
	v_fmac_f64_e32 v[162:163], v[6:7], v[152:153]
	v_fma_f64 v[146:147], v[4:5], v[152:153], -v[154:155]
	v_fmac_f64_e32 v[130:131], v[30:31], v[12:13]
	v_add_f64_e32 v[18:19], v[18:19], v[16:17]
	v_add_f64_e32 v[128:129], v[128:129], v[164:165]
	ds_load_b128 v[4:7], v2 offset:1312
	ds_load_b128 v[14:17], v2 offset:1328
	v_fma_f64 v[12:13], v[28:29], v[12:13], -v[144:145]
	s_wait_loadcnt_dscnt 0x701
	v_mul_f64_e32 v[152:153], v[4:5], v[134:135]
	v_mul_f64_e32 v[134:135], v[6:7], v[134:135]
	v_add_f64_e32 v[18:19], v[18:19], v[146:147]
	v_add_f64_e32 v[28:29], v[128:129], v[162:163]
	s_wait_loadcnt_dscnt 0x600
	v_mul_f64_e32 v[128:129], v[14:15], v[22:23]
	v_mul_f64_e32 v[22:23], v[16:17], v[22:23]
	v_fmac_f64_e32 v[152:153], v[6:7], v[132:133]
	v_fma_f64 v[132:133], v[4:5], v[132:133], -v[134:135]
	v_add_f64_e32 v[12:13], v[18:19], v[12:13]
	v_add_f64_e32 v[18:19], v[28:29], v[130:131]
	ds_load_b128 v[4:7], v2 offset:1344
	ds_load_b128 v[28:31], v2 offset:1360
	v_fmac_f64_e32 v[128:129], v[16:17], v[20:21]
	v_fma_f64 v[14:15], v[14:15], v[20:21], -v[22:23]
	s_wait_loadcnt_dscnt 0x501
	v_mul_f64_e32 v[130:131], v[4:5], v[138:139]
	v_mul_f64_e32 v[134:135], v[6:7], v[138:139]
	s_wait_loadcnt_dscnt 0x400
	v_mul_f64_e32 v[20:21], v[30:31], v[26:27]
	v_add_f64_e32 v[12:13], v[12:13], v[132:133]
	v_add_f64_e32 v[16:17], v[18:19], v[152:153]
	v_mul_f64_e32 v[18:19], v[28:29], v[26:27]
	v_fmac_f64_e32 v[130:131], v[6:7], v[136:137]
	v_fma_f64 v[22:23], v[4:5], v[136:137], -v[134:135]
	v_fma_f64 v[20:21], v[28:29], v[24:25], -v[20:21]
	v_add_f64_e32 v[26:27], v[12:13], v[14:15]
	v_add_f64_e32 v[16:17], v[16:17], v[128:129]
	ds_load_b128 v[4:7], v2 offset:1376
	ds_load_b128 v[12:15], v2 offset:1392
	v_fmac_f64_e32 v[18:19], v[30:31], v[24:25]
	s_wait_loadcnt_dscnt 0x301
	v_mul_f64_e32 v[128:129], v[4:5], v[142:143]
	v_mul_f64_e32 v[132:133], v[6:7], v[142:143]
	s_wait_loadcnt_dscnt 0x200
	v_mul_f64_e32 v[24:25], v[12:13], v[126:127]
	v_add_f64_e32 v[22:23], v[26:27], v[22:23]
	v_add_f64_e32 v[16:17], v[16:17], v[130:131]
	v_mul_f64_e32 v[26:27], v[14:15], v[126:127]
	v_fmac_f64_e32 v[128:129], v[6:7], v[140:141]
	v_fma_f64 v[28:29], v[4:5], v[140:141], -v[132:133]
	v_fmac_f64_e32 v[24:25], v[14:15], v[124:125]
	v_add_f64_e32 v[20:21], v[22:23], v[20:21]
	v_add_f64_e32 v[22:23], v[16:17], v[18:19]
	ds_load_b128 v[4:7], v2 offset:1408
	ds_load_b128 v[16:19], v2 offset:1424
	v_fma_f64 v[12:13], v[12:13], v[124:125], -v[26:27]
	s_wait_loadcnt_dscnt 0x101
	v_mul_f64_e32 v[2:3], v[4:5], v[158:159]
	v_mul_f64_e32 v[30:31], v[6:7], v[158:159]
	v_add_f64_e32 v[14:15], v[20:21], v[28:29]
	v_add_f64_e32 v[20:21], v[22:23], v[128:129]
	s_wait_loadcnt_dscnt 0x0
	v_mul_f64_e32 v[22:23], v[16:17], v[10:11]
	v_mul_f64_e32 v[10:11], v[18:19], v[10:11]
	v_fmac_f64_e32 v[2:3], v[6:7], v[156:157]
	v_fma_f64 v[4:5], v[4:5], v[156:157], -v[30:31]
	v_add_f64_e32 v[6:7], v[14:15], v[12:13]
	v_add_f64_e32 v[12:13], v[20:21], v[24:25]
	v_fmac_f64_e32 v[22:23], v[18:19], v[8:9]
	v_fma_f64 v[8:9], v[16:17], v[8:9], -v[10:11]
	s_delay_alu instid0(VALU_DEP_4) | instskip(NEXT) | instid1(VALU_DEP_4)
	v_add_f64_e32 v[4:5], v[6:7], v[4:5]
	v_add_f64_e32 v[2:3], v[12:13], v[2:3]
	s_delay_alu instid0(VALU_DEP_2) | instskip(NEXT) | instid1(VALU_DEP_2)
	v_add_f64_e32 v[4:5], v[4:5], v[8:9]
	v_add_f64_e32 v[6:7], v[2:3], v[22:23]
	s_delay_alu instid0(VALU_DEP_2) | instskip(NEXT) | instid1(VALU_DEP_2)
	v_add_f64_e64 v[2:3], v[148:149], -v[4:5]
	v_add_f64_e64 v[4:5], v[150:151], -v[6:7]
	scratch_store_b128 off, v[2:5], off offset:96
	s_wait_xcnt 0x0
	v_cmpx_lt_u32_e32 5, v1
	s_cbranch_execz .LBB108_273
; %bb.272:
	scratch_load_b128 v[2:5], off, s56
	v_mov_b32_e32 v6, 0
	s_delay_alu instid0(VALU_DEP_1)
	v_dual_mov_b32 v7, v6 :: v_dual_mov_b32 v8, v6
	v_mov_b32_e32 v9, v6
	scratch_store_b128 off, v[6:9], off offset:80
	s_wait_loadcnt 0x0
	ds_store_b128 v122, v[2:5]
.LBB108_273:
	s_wait_xcnt 0x0
	s_or_b32 exec_lo, exec_lo, s2
	s_wait_storecnt_dscnt 0x0
	s_barrier_signal -1
	s_barrier_wait -1
	s_clause 0x9
	scratch_load_b128 v[4:7], off, off offset:96
	scratch_load_b128 v[8:11], off, off offset:112
	;; [unrolled: 1-line block ×10, first 2 shown]
	v_mov_b32_e32 v2, 0
	s_mov_b32 s2, exec_lo
	ds_load_b128 v[136:139], v2 offset:816
	s_clause 0x2
	scratch_load_b128 v[140:143], off, off offset:256
	scratch_load_b128 v[144:147], off, off offset:80
	;; [unrolled: 1-line block ×3, first 2 shown]
	s_wait_loadcnt_dscnt 0xc00
	v_mul_f64_e32 v[156:157], v[138:139], v[6:7]
	v_mul_f64_e32 v[160:161], v[136:137], v[6:7]
	ds_load_b128 v[148:151], v2 offset:832
	v_fma_f64 v[164:165], v[136:137], v[4:5], -v[156:157]
	v_fmac_f64_e32 v[160:161], v[138:139], v[4:5]
	ds_load_b128 v[4:7], v2 offset:848
	s_wait_loadcnt_dscnt 0xb01
	v_mul_f64_e32 v[162:163], v[148:149], v[10:11]
	v_mul_f64_e32 v[10:11], v[150:151], v[10:11]
	scratch_load_b128 v[136:139], off, off offset:288
	ds_load_b128 v[156:159], v2 offset:864
	s_wait_loadcnt_dscnt 0xb01
	v_mul_f64_e32 v[166:167], v[4:5], v[14:15]
	v_mul_f64_e32 v[14:15], v[6:7], v[14:15]
	v_add_f64_e32 v[160:161], 0, v[160:161]
	v_fmac_f64_e32 v[162:163], v[150:151], v[8:9]
	v_fma_f64 v[148:149], v[148:149], v[8:9], -v[10:11]
	v_add_f64_e32 v[150:151], 0, v[164:165]
	scratch_load_b128 v[8:11], off, off offset:304
	v_fmac_f64_e32 v[166:167], v[6:7], v[12:13]
	v_fma_f64 v[168:169], v[4:5], v[12:13], -v[14:15]
	ds_load_b128 v[4:7], v2 offset:880
	s_wait_loadcnt_dscnt 0xb01
	v_mul_f64_e32 v[164:165], v[156:157], v[18:19]
	v_mul_f64_e32 v[18:19], v[158:159], v[18:19]
	scratch_load_b128 v[12:15], off, off offset:320
	v_add_f64_e32 v[160:161], v[160:161], v[162:163]
	v_add_f64_e32 v[170:171], v[150:151], v[148:149]
	ds_load_b128 v[148:151], v2 offset:896
	s_wait_loadcnt_dscnt 0xb01
	v_mul_f64_e32 v[162:163], v[4:5], v[22:23]
	v_mul_f64_e32 v[22:23], v[6:7], v[22:23]
	v_fmac_f64_e32 v[164:165], v[158:159], v[16:17]
	v_fma_f64 v[156:157], v[156:157], v[16:17], -v[18:19]
	scratch_load_b128 v[16:19], off, off offset:336
	v_add_f64_e32 v[160:161], v[160:161], v[166:167]
	v_add_f64_e32 v[158:159], v[170:171], v[168:169]
	v_fmac_f64_e32 v[162:163], v[6:7], v[20:21]
	v_fma_f64 v[168:169], v[4:5], v[20:21], -v[22:23]
	ds_load_b128 v[4:7], v2 offset:912
	s_wait_loadcnt_dscnt 0xb01
	v_mul_f64_e32 v[166:167], v[148:149], v[26:27]
	v_mul_f64_e32 v[26:27], v[150:151], v[26:27]
	scratch_load_b128 v[20:23], off, off offset:352
	v_add_f64_e32 v[160:161], v[160:161], v[164:165]
	s_wait_loadcnt_dscnt 0xb00
	v_mul_f64_e32 v[164:165], v[4:5], v[30:31]
	v_add_f64_e32 v[170:171], v[158:159], v[156:157]
	v_mul_f64_e32 v[30:31], v[6:7], v[30:31]
	ds_load_b128 v[156:159], v2 offset:928
	v_fmac_f64_e32 v[166:167], v[150:151], v[24:25]
	v_fma_f64 v[148:149], v[148:149], v[24:25], -v[26:27]
	scratch_load_b128 v[24:27], off, off offset:368
	v_add_f64_e32 v[160:161], v[160:161], v[162:163]
	v_fmac_f64_e32 v[164:165], v[6:7], v[28:29]
	v_add_f64_e32 v[150:151], v[170:171], v[168:169]
	v_fma_f64 v[168:169], v[4:5], v[28:29], -v[30:31]
	ds_load_b128 v[4:7], v2 offset:944
	s_wait_loadcnt_dscnt 0xb01
	v_mul_f64_e32 v[162:163], v[156:157], v[126:127]
	v_mul_f64_e32 v[126:127], v[158:159], v[126:127]
	scratch_load_b128 v[28:31], off, off offset:384
	v_add_f64_e32 v[160:161], v[160:161], v[166:167]
	s_wait_loadcnt_dscnt 0xb00
	v_mul_f64_e32 v[166:167], v[4:5], v[130:131]
	v_add_f64_e32 v[170:171], v[150:151], v[148:149]
	v_mul_f64_e32 v[130:131], v[6:7], v[130:131]
	ds_load_b128 v[148:151], v2 offset:960
	v_fmac_f64_e32 v[162:163], v[158:159], v[124:125]
	v_fma_f64 v[156:157], v[156:157], v[124:125], -v[126:127]
	scratch_load_b128 v[124:127], off, off offset:400
	v_add_f64_e32 v[160:161], v[160:161], v[164:165]
	v_fmac_f64_e32 v[166:167], v[6:7], v[128:129]
	v_add_f64_e32 v[158:159], v[170:171], v[168:169]
	;; [unrolled: 18-line block ×3, first 2 shown]
	v_fma_f64 v[168:169], v[4:5], v[140:141], -v[142:143]
	ds_load_b128 v[4:7], v2 offset:1008
	s_wait_loadcnt_dscnt 0xa01
	v_mul_f64_e32 v[166:167], v[156:157], v[154:155]
	v_mul_f64_e32 v[154:155], v[158:159], v[154:155]
	scratch_load_b128 v[140:143], off, off offset:448
	v_add_f64_e32 v[160:161], v[160:161], v[164:165]
	v_add_f64_e32 v[170:171], v[150:151], v[148:149]
	s_wait_loadcnt_dscnt 0xa00
	v_mul_f64_e32 v[164:165], v[4:5], v[138:139]
	v_mul_f64_e32 v[138:139], v[6:7], v[138:139]
	v_fmac_f64_e32 v[166:167], v[158:159], v[152:153]
	v_fma_f64 v[156:157], v[156:157], v[152:153], -v[154:155]
	ds_load_b128 v[148:151], v2 offset:1024
	scratch_load_b128 v[152:155], off, off offset:464
	v_add_f64_e32 v[160:161], v[160:161], v[162:163]
	v_add_f64_e32 v[158:159], v[170:171], v[168:169]
	v_fmac_f64_e32 v[164:165], v[6:7], v[136:137]
	v_fma_f64 v[168:169], v[4:5], v[136:137], -v[138:139]
	ds_load_b128 v[4:7], v2 offset:1040
	s_wait_loadcnt_dscnt 0xa01
	v_mul_f64_e32 v[162:163], v[148:149], v[10:11]
	v_mul_f64_e32 v[10:11], v[150:151], v[10:11]
	scratch_load_b128 v[136:139], off, off offset:480
	v_add_f64_e32 v[160:161], v[160:161], v[166:167]
	s_wait_loadcnt_dscnt 0xa00
	v_mul_f64_e32 v[166:167], v[4:5], v[14:15]
	v_add_f64_e32 v[170:171], v[158:159], v[156:157]
	v_mul_f64_e32 v[14:15], v[6:7], v[14:15]
	ds_load_b128 v[156:159], v2 offset:1056
	v_fmac_f64_e32 v[162:163], v[150:151], v[8:9]
	v_fma_f64 v[148:149], v[148:149], v[8:9], -v[10:11]
	scratch_load_b128 v[8:11], off, off offset:496
	v_add_f64_e32 v[160:161], v[160:161], v[164:165]
	v_fmac_f64_e32 v[166:167], v[6:7], v[12:13]
	v_add_f64_e32 v[150:151], v[170:171], v[168:169]
	v_fma_f64 v[168:169], v[4:5], v[12:13], -v[14:15]
	ds_load_b128 v[4:7], v2 offset:1072
	s_wait_loadcnt_dscnt 0xa01
	v_mul_f64_e32 v[164:165], v[156:157], v[18:19]
	v_mul_f64_e32 v[18:19], v[158:159], v[18:19]
	scratch_load_b128 v[12:15], off, off offset:512
	v_add_f64_e32 v[160:161], v[160:161], v[162:163]
	s_wait_loadcnt_dscnt 0xa00
	v_mul_f64_e32 v[162:163], v[4:5], v[22:23]
	v_add_f64_e32 v[170:171], v[150:151], v[148:149]
	v_mul_f64_e32 v[22:23], v[6:7], v[22:23]
	ds_load_b128 v[148:151], v2 offset:1088
	v_fmac_f64_e32 v[164:165], v[158:159], v[16:17]
	v_fma_f64 v[156:157], v[156:157], v[16:17], -v[18:19]
	scratch_load_b128 v[16:19], off, off offset:528
	v_add_f64_e32 v[160:161], v[160:161], v[166:167]
	v_fmac_f64_e32 v[162:163], v[6:7], v[20:21]
	v_add_f64_e32 v[158:159], v[170:171], v[168:169]
	;; [unrolled: 18-line block ×7, first 2 shown]
	v_fma_f64 v[168:169], v[4:5], v[12:13], -v[14:15]
	ds_load_b128 v[4:7], v2 offset:1264
	s_wait_loadcnt_dscnt 0xa01
	v_mul_f64_e32 v[164:165], v[156:157], v[18:19]
	v_mul_f64_e32 v[18:19], v[158:159], v[18:19]
	scratch_load_b128 v[12:15], off, off offset:704
	v_add_f64_e32 v[160:161], v[160:161], v[162:163]
	s_wait_loadcnt_dscnt 0xa00
	v_mul_f64_e32 v[162:163], v[4:5], v[22:23]
	v_add_f64_e32 v[170:171], v[150:151], v[148:149]
	v_mul_f64_e32 v[22:23], v[6:7], v[22:23]
	ds_load_b128 v[148:151], v2 offset:1280
	v_fmac_f64_e32 v[164:165], v[158:159], v[16:17]
	v_fma_f64 v[16:17], v[156:157], v[16:17], -v[18:19]
	s_wait_loadcnt_dscnt 0x900
	v_mul_f64_e32 v[158:159], v[148:149], v[26:27]
	v_mul_f64_e32 v[26:27], v[150:151], v[26:27]
	v_add_f64_e32 v[156:157], v[160:161], v[166:167]
	v_fmac_f64_e32 v[162:163], v[6:7], v[20:21]
	v_add_f64_e32 v[18:19], v[170:171], v[168:169]
	v_fma_f64 v[20:21], v[4:5], v[20:21], -v[22:23]
	v_fmac_f64_e32 v[158:159], v[150:151], v[24:25]
	v_fma_f64 v[24:25], v[148:149], v[24:25], -v[26:27]
	v_add_f64_e32 v[156:157], v[156:157], v[164:165]
	v_add_f64_e32 v[22:23], v[18:19], v[16:17]
	ds_load_b128 v[4:7], v2 offset:1296
	ds_load_b128 v[16:19], v2 offset:1312
	s_wait_loadcnt_dscnt 0x801
	v_mul_f64_e32 v[160:161], v[4:5], v[30:31]
	v_mul_f64_e32 v[30:31], v[6:7], v[30:31]
	s_wait_loadcnt_dscnt 0x700
	v_mul_f64_e32 v[26:27], v[16:17], v[126:127]
	v_mul_f64_e32 v[126:127], v[18:19], v[126:127]
	v_add_f64_e32 v[20:21], v[22:23], v[20:21]
	v_add_f64_e32 v[22:23], v[156:157], v[162:163]
	v_fmac_f64_e32 v[160:161], v[6:7], v[28:29]
	v_fma_f64 v[28:29], v[4:5], v[28:29], -v[30:31]
	v_fmac_f64_e32 v[26:27], v[18:19], v[124:125]
	v_fma_f64 v[16:17], v[16:17], v[124:125], -v[126:127]
	v_add_f64_e32 v[24:25], v[20:21], v[24:25]
	v_add_f64_e32 v[30:31], v[22:23], v[158:159]
	ds_load_b128 v[4:7], v2 offset:1328
	ds_load_b128 v[20:23], v2 offset:1344
	s_wait_loadcnt_dscnt 0x601
	v_mul_f64_e32 v[148:149], v[4:5], v[130:131]
	v_mul_f64_e32 v[130:131], v[6:7], v[130:131]
	v_add_f64_e32 v[18:19], v[24:25], v[28:29]
	v_add_f64_e32 v[24:25], v[30:31], v[160:161]
	s_wait_loadcnt_dscnt 0x500
	v_mul_f64_e32 v[28:29], v[20:21], v[134:135]
	v_mul_f64_e32 v[30:31], v[22:23], v[134:135]
	v_fmac_f64_e32 v[148:149], v[6:7], v[128:129]
	v_fma_f64 v[124:125], v[4:5], v[128:129], -v[130:131]
	v_add_f64_e32 v[126:127], v[18:19], v[16:17]
	v_add_f64_e32 v[24:25], v[24:25], v[26:27]
	ds_load_b128 v[4:7], v2 offset:1360
	ds_load_b128 v[16:19], v2 offset:1376
	v_fmac_f64_e32 v[28:29], v[22:23], v[132:133]
	v_fma_f64 v[20:21], v[20:21], v[132:133], -v[30:31]
	s_wait_loadcnt_dscnt 0x401
	v_mul_f64_e32 v[26:27], v[4:5], v[142:143]
	v_mul_f64_e32 v[128:129], v[6:7], v[142:143]
	s_wait_loadcnt_dscnt 0x300
	v_mul_f64_e32 v[30:31], v[16:17], v[154:155]
	v_add_f64_e32 v[22:23], v[126:127], v[124:125]
	v_add_f64_e32 v[24:25], v[24:25], v[148:149]
	v_mul_f64_e32 v[124:125], v[18:19], v[154:155]
	v_fmac_f64_e32 v[26:27], v[6:7], v[140:141]
	v_fma_f64 v[126:127], v[4:5], v[140:141], -v[128:129]
	v_fmac_f64_e32 v[30:31], v[18:19], v[152:153]
	v_add_f64_e32 v[128:129], v[22:23], v[20:21]
	v_add_f64_e32 v[24:25], v[24:25], v[28:29]
	ds_load_b128 v[4:7], v2 offset:1392
	ds_load_b128 v[20:23], v2 offset:1408
	v_fma_f64 v[16:17], v[16:17], v[152:153], -v[124:125]
	s_wait_loadcnt_dscnt 0x201
	v_mul_f64_e32 v[28:29], v[4:5], v[138:139]
	v_mul_f64_e32 v[130:131], v[6:7], v[138:139]
	v_add_f64_e32 v[18:19], v[128:129], v[126:127]
	v_add_f64_e32 v[24:25], v[24:25], v[26:27]
	s_wait_loadcnt_dscnt 0x100
	v_mul_f64_e32 v[26:27], v[20:21], v[10:11]
	v_mul_f64_e32 v[10:11], v[22:23], v[10:11]
	v_fmac_f64_e32 v[28:29], v[6:7], v[136:137]
	v_fma_f64 v[124:125], v[4:5], v[136:137], -v[130:131]
	ds_load_b128 v[4:7], v2 offset:1424
	v_add_f64_e32 v[16:17], v[18:19], v[16:17]
	v_add_f64_e32 v[18:19], v[24:25], v[30:31]
	v_fmac_f64_e32 v[26:27], v[22:23], v[8:9]
	v_fma_f64 v[8:9], v[20:21], v[8:9], -v[10:11]
	s_wait_loadcnt_dscnt 0x0
	v_mul_f64_e32 v[24:25], v[4:5], v[14:15]
	v_mul_f64_e32 v[14:15], v[6:7], v[14:15]
	v_add_f64_e32 v[10:11], v[16:17], v[124:125]
	v_add_f64_e32 v[16:17], v[18:19], v[28:29]
	s_delay_alu instid0(VALU_DEP_4) | instskip(NEXT) | instid1(VALU_DEP_4)
	v_fmac_f64_e32 v[24:25], v[6:7], v[12:13]
	v_fma_f64 v[4:5], v[4:5], v[12:13], -v[14:15]
	s_delay_alu instid0(VALU_DEP_4) | instskip(NEXT) | instid1(VALU_DEP_4)
	v_add_f64_e32 v[6:7], v[10:11], v[8:9]
	v_add_f64_e32 v[8:9], v[16:17], v[26:27]
	s_delay_alu instid0(VALU_DEP_2) | instskip(NEXT) | instid1(VALU_DEP_2)
	v_add_f64_e32 v[4:5], v[6:7], v[4:5]
	v_add_f64_e32 v[6:7], v[8:9], v[24:25]
	s_delay_alu instid0(VALU_DEP_2) | instskip(NEXT) | instid1(VALU_DEP_2)
	v_add_f64_e64 v[4:5], v[144:145], -v[4:5]
	v_add_f64_e64 v[6:7], v[146:147], -v[6:7]
	scratch_store_b128 off, v[4:7], off offset:80
	s_wait_xcnt 0x0
	v_cmpx_lt_u32_e32 4, v1
	s_cbranch_execz .LBB108_275
; %bb.274:
	scratch_load_b128 v[6:9], off, s12
	v_dual_mov_b32 v3, v2 :: v_dual_mov_b32 v4, v2
	v_mov_b32_e32 v5, v2
	scratch_store_b128 off, v[2:5], off offset:64
	s_wait_loadcnt 0x0
	ds_store_b128 v122, v[6:9]
.LBB108_275:
	s_wait_xcnt 0x0
	s_or_b32 exec_lo, exec_lo, s2
	s_wait_storecnt_dscnt 0x0
	s_barrier_signal -1
	s_barrier_wait -1
	s_clause 0x9
	scratch_load_b128 v[4:7], off, off offset:80
	scratch_load_b128 v[8:11], off, off offset:96
	;; [unrolled: 1-line block ×10, first 2 shown]
	ds_load_b128 v[136:139], v2 offset:800
	ds_load_b128 v[144:147], v2 offset:816
	s_clause 0x2
	scratch_load_b128 v[140:143], off, off offset:240
	scratch_load_b128 v[148:151], off, off offset:64
	scratch_load_b128 v[152:155], off, off offset:256
	s_mov_b32 s2, exec_lo
	s_wait_loadcnt_dscnt 0xc01
	v_mul_f64_e32 v[156:157], v[138:139], v[6:7]
	v_mul_f64_e32 v[160:161], v[136:137], v[6:7]
	s_wait_loadcnt_dscnt 0xb00
	v_mul_f64_e32 v[162:163], v[144:145], v[10:11]
	v_mul_f64_e32 v[10:11], v[146:147], v[10:11]
	s_delay_alu instid0(VALU_DEP_4) | instskip(NEXT) | instid1(VALU_DEP_4)
	v_fma_f64 v[164:165], v[136:137], v[4:5], -v[156:157]
	v_fmac_f64_e32 v[160:161], v[138:139], v[4:5]
	ds_load_b128 v[4:7], v2 offset:832
	ds_load_b128 v[136:139], v2 offset:848
	scratch_load_b128 v[156:159], off, off offset:272
	v_fmac_f64_e32 v[162:163], v[146:147], v[8:9]
	v_fma_f64 v[144:145], v[144:145], v[8:9], -v[10:11]
	scratch_load_b128 v[8:11], off, off offset:288
	s_wait_loadcnt_dscnt 0xc01
	v_mul_f64_e32 v[166:167], v[4:5], v[14:15]
	v_mul_f64_e32 v[14:15], v[6:7], v[14:15]
	v_add_f64_e32 v[146:147], 0, v[164:165]
	v_add_f64_e32 v[160:161], 0, v[160:161]
	s_wait_loadcnt_dscnt 0xb00
	v_mul_f64_e32 v[164:165], v[136:137], v[18:19]
	v_mul_f64_e32 v[18:19], v[138:139], v[18:19]
	v_fmac_f64_e32 v[166:167], v[6:7], v[12:13]
	v_fma_f64 v[168:169], v[4:5], v[12:13], -v[14:15]
	ds_load_b128 v[4:7], v2 offset:864
	ds_load_b128 v[12:15], v2 offset:880
	v_add_f64_e32 v[170:171], v[146:147], v[144:145]
	v_add_f64_e32 v[160:161], v[160:161], v[162:163]
	scratch_load_b128 v[144:147], off, off offset:304
	v_fmac_f64_e32 v[164:165], v[138:139], v[16:17]
	v_fma_f64 v[136:137], v[136:137], v[16:17], -v[18:19]
	scratch_load_b128 v[16:19], off, off offset:320
	s_wait_loadcnt_dscnt 0xc01
	v_mul_f64_e32 v[162:163], v[4:5], v[22:23]
	v_mul_f64_e32 v[22:23], v[6:7], v[22:23]
	v_add_f64_e32 v[138:139], v[170:171], v[168:169]
	v_add_f64_e32 v[160:161], v[160:161], v[166:167]
	s_wait_loadcnt_dscnt 0xb00
	v_mul_f64_e32 v[166:167], v[12:13], v[26:27]
	v_mul_f64_e32 v[26:27], v[14:15], v[26:27]
	v_fmac_f64_e32 v[162:163], v[6:7], v[20:21]
	v_fma_f64 v[168:169], v[4:5], v[20:21], -v[22:23]
	ds_load_b128 v[4:7], v2 offset:896
	ds_load_b128 v[20:23], v2 offset:912
	v_add_f64_e32 v[170:171], v[138:139], v[136:137]
	v_add_f64_e32 v[160:161], v[160:161], v[164:165]
	scratch_load_b128 v[136:139], off, off offset:336
	s_wait_loadcnt_dscnt 0xb01
	v_mul_f64_e32 v[164:165], v[4:5], v[30:31]
	v_mul_f64_e32 v[30:31], v[6:7], v[30:31]
	v_fmac_f64_e32 v[166:167], v[14:15], v[24:25]
	v_fma_f64 v[24:25], v[12:13], v[24:25], -v[26:27]
	scratch_load_b128 v[12:15], off, off offset:352
	v_add_f64_e32 v[26:27], v[170:171], v[168:169]
	v_add_f64_e32 v[160:161], v[160:161], v[162:163]
	s_wait_loadcnt_dscnt 0xb00
	v_mul_f64_e32 v[162:163], v[20:21], v[126:127]
	v_mul_f64_e32 v[126:127], v[22:23], v[126:127]
	v_fmac_f64_e32 v[164:165], v[6:7], v[28:29]
	v_fma_f64 v[168:169], v[4:5], v[28:29], -v[30:31]
	v_add_f64_e32 v[170:171], v[26:27], v[24:25]
	v_add_f64_e32 v[160:161], v[160:161], v[166:167]
	ds_load_b128 v[4:7], v2 offset:928
	ds_load_b128 v[24:27], v2 offset:944
	scratch_load_b128 v[28:31], off, off offset:368
	v_fmac_f64_e32 v[162:163], v[22:23], v[124:125]
	v_fma_f64 v[124:125], v[20:21], v[124:125], -v[126:127]
	scratch_load_b128 v[20:23], off, off offset:384
	s_wait_loadcnt_dscnt 0xc01
	v_mul_f64_e32 v[166:167], v[4:5], v[130:131]
	v_mul_f64_e32 v[130:131], v[6:7], v[130:131]
	v_add_f64_e32 v[126:127], v[170:171], v[168:169]
	v_add_f64_e32 v[160:161], v[160:161], v[164:165]
	s_wait_loadcnt_dscnt 0xb00
	v_mul_f64_e32 v[164:165], v[24:25], v[134:135]
	v_mul_f64_e32 v[134:135], v[26:27], v[134:135]
	v_fmac_f64_e32 v[166:167], v[6:7], v[128:129]
	v_fma_f64 v[168:169], v[4:5], v[128:129], -v[130:131]
	v_add_f64_e32 v[170:171], v[126:127], v[124:125]
	v_add_f64_e32 v[160:161], v[160:161], v[162:163]
	ds_load_b128 v[4:7], v2 offset:960
	ds_load_b128 v[124:127], v2 offset:976
	scratch_load_b128 v[128:131], off, off offset:400
	v_fmac_f64_e32 v[164:165], v[26:27], v[132:133]
	v_fma_f64 v[132:133], v[24:25], v[132:133], -v[134:135]
	scratch_load_b128 v[24:27], off, off offset:416
	s_wait_loadcnt_dscnt 0xc01
	v_mul_f64_e32 v[162:163], v[4:5], v[142:143]
	v_mul_f64_e32 v[142:143], v[6:7], v[142:143]
	;; [unrolled: 18-line block ×5, first 2 shown]
	v_add_f64_e32 v[154:155], v[170:171], v[168:169]
	v_add_f64_e32 v[160:161], v[160:161], v[166:167]
	s_wait_loadcnt_dscnt 0xa00
	v_mul_f64_e32 v[166:167], v[132:133], v[14:15]
	v_mul_f64_e32 v[14:15], v[134:135], v[14:15]
	v_fmac_f64_e32 v[162:163], v[6:7], v[136:137]
	v_fma_f64 v[168:169], v[4:5], v[136:137], -v[138:139]
	ds_load_b128 v[4:7], v2 offset:1088
	ds_load_b128 v[136:139], v2 offset:1104
	v_add_f64_e32 v[170:171], v[154:155], v[152:153]
	v_add_f64_e32 v[160:161], v[160:161], v[164:165]
	scratch_load_b128 v[152:155], off, off offset:528
	v_fmac_f64_e32 v[166:167], v[134:135], v[12:13]
	v_fma_f64 v[132:133], v[132:133], v[12:13], -v[14:15]
	scratch_load_b128 v[12:15], off, off offset:544
	s_wait_loadcnt_dscnt 0xb01
	v_mul_f64_e32 v[164:165], v[4:5], v[30:31]
	v_mul_f64_e32 v[30:31], v[6:7], v[30:31]
	v_add_f64_e32 v[134:135], v[170:171], v[168:169]
	v_add_f64_e32 v[160:161], v[160:161], v[162:163]
	s_wait_loadcnt_dscnt 0xa00
	v_mul_f64_e32 v[162:163], v[136:137], v[22:23]
	v_mul_f64_e32 v[22:23], v[138:139], v[22:23]
	v_fmac_f64_e32 v[164:165], v[6:7], v[28:29]
	v_fma_f64 v[168:169], v[4:5], v[28:29], -v[30:31]
	ds_load_b128 v[4:7], v2 offset:1120
	ds_load_b128 v[28:31], v2 offset:1136
	v_add_f64_e32 v[170:171], v[134:135], v[132:133]
	v_add_f64_e32 v[160:161], v[160:161], v[166:167]
	scratch_load_b128 v[132:135], off, off offset:560
	s_wait_loadcnt_dscnt 0xa01
	v_mul_f64_e32 v[166:167], v[4:5], v[130:131]
	v_mul_f64_e32 v[130:131], v[6:7], v[130:131]
	v_fmac_f64_e32 v[162:163], v[138:139], v[20:21]
	v_fma_f64 v[136:137], v[136:137], v[20:21], -v[22:23]
	scratch_load_b128 v[20:23], off, off offset:576
	v_add_f64_e32 v[138:139], v[170:171], v[168:169]
	v_add_f64_e32 v[160:161], v[160:161], v[164:165]
	s_wait_loadcnt_dscnt 0xa00
	v_mul_f64_e32 v[164:165], v[28:29], v[26:27]
	v_mul_f64_e32 v[26:27], v[30:31], v[26:27]
	v_fmac_f64_e32 v[166:167], v[6:7], v[128:129]
	v_fma_f64 v[168:169], v[4:5], v[128:129], -v[130:131]
	ds_load_b128 v[4:7], v2 offset:1152
	ds_load_b128 v[128:131], v2 offset:1168
	v_add_f64_e32 v[170:171], v[138:139], v[136:137]
	v_add_f64_e32 v[160:161], v[160:161], v[162:163]
	scratch_load_b128 v[136:139], off, off offset:592
	s_wait_loadcnt_dscnt 0xa01
	v_mul_f64_e32 v[162:163], v[4:5], v[142:143]
	v_mul_f64_e32 v[142:143], v[6:7], v[142:143]
	v_fmac_f64_e32 v[164:165], v[30:31], v[24:25]
	v_fma_f64 v[28:29], v[28:29], v[24:25], -v[26:27]
	scratch_load_b128 v[24:27], off, off offset:608
	v_add_f64_e32 v[30:31], v[170:171], v[168:169]
	v_add_f64_e32 v[160:161], v[160:161], v[166:167]
	s_wait_loadcnt_dscnt 0xa00
	v_mul_f64_e32 v[166:167], v[128:129], v[126:127]
	v_mul_f64_e32 v[126:127], v[130:131], v[126:127]
	v_fmac_f64_e32 v[162:163], v[6:7], v[140:141]
	v_fma_f64 v[168:169], v[4:5], v[140:141], -v[142:143]
	v_add_f64_e32 v[170:171], v[30:31], v[28:29]
	v_add_f64_e32 v[160:161], v[160:161], v[164:165]
	ds_load_b128 v[4:7], v2 offset:1184
	ds_load_b128 v[28:31], v2 offset:1200
	scratch_load_b128 v[140:143], off, off offset:624
	v_fmac_f64_e32 v[166:167], v[130:131], v[124:125]
	v_fma_f64 v[128:129], v[128:129], v[124:125], -v[126:127]
	scratch_load_b128 v[124:127], off, off offset:640
	s_wait_loadcnt_dscnt 0xb01
	v_mul_f64_e32 v[164:165], v[4:5], v[158:159]
	v_mul_f64_e32 v[158:159], v[6:7], v[158:159]
	v_add_f64_e32 v[130:131], v[170:171], v[168:169]
	v_add_f64_e32 v[160:161], v[160:161], v[162:163]
	s_wait_loadcnt_dscnt 0xa00
	v_mul_f64_e32 v[162:163], v[28:29], v[10:11]
	v_mul_f64_e32 v[10:11], v[30:31], v[10:11]
	v_fmac_f64_e32 v[164:165], v[6:7], v[156:157]
	v_fma_f64 v[168:169], v[4:5], v[156:157], -v[158:159]
	v_add_f64_e32 v[170:171], v[130:131], v[128:129]
	v_add_f64_e32 v[160:161], v[160:161], v[166:167]
	ds_load_b128 v[4:7], v2 offset:1216
	ds_load_b128 v[128:131], v2 offset:1232
	scratch_load_b128 v[156:159], off, off offset:656
	v_fmac_f64_e32 v[162:163], v[30:31], v[8:9]
	v_fma_f64 v[28:29], v[28:29], v[8:9], -v[10:11]
	scratch_load_b128 v[8:11], off, off offset:672
	s_wait_loadcnt_dscnt 0xb01
	v_mul_f64_e32 v[166:167], v[4:5], v[146:147]
	v_mul_f64_e32 v[146:147], v[6:7], v[146:147]
	;; [unrolled: 18-line block ×3, first 2 shown]
	v_add_f64_e32 v[130:131], v[170:171], v[168:169]
	v_add_f64_e32 v[160:161], v[160:161], v[166:167]
	s_wait_loadcnt_dscnt 0xa00
	v_mul_f64_e32 v[166:167], v[28:29], v[14:15]
	v_mul_f64_e32 v[14:15], v[30:31], v[14:15]
	v_fmac_f64_e32 v[162:163], v[6:7], v[152:153]
	v_fma_f64 v[152:153], v[4:5], v[152:153], -v[154:155]
	v_add_f64_e32 v[154:155], v[130:131], v[128:129]
	v_add_f64_e32 v[160:161], v[160:161], v[164:165]
	ds_load_b128 v[4:7], v2 offset:1280
	ds_load_b128 v[128:131], v2 offset:1296
	v_fmac_f64_e32 v[166:167], v[30:31], v[12:13]
	v_fma_f64 v[12:13], v[28:29], v[12:13], -v[14:15]
	s_wait_loadcnt_dscnt 0x901
	v_mul_f64_e32 v[164:165], v[4:5], v[134:135]
	v_mul_f64_e32 v[134:135], v[6:7], v[134:135]
	s_wait_loadcnt_dscnt 0x800
	v_mul_f64_e32 v[30:31], v[128:129], v[22:23]
	v_mul_f64_e32 v[22:23], v[130:131], v[22:23]
	v_add_f64_e32 v[14:15], v[154:155], v[152:153]
	v_add_f64_e32 v[28:29], v[160:161], v[162:163]
	v_fmac_f64_e32 v[164:165], v[6:7], v[132:133]
	v_fma_f64 v[132:133], v[4:5], v[132:133], -v[134:135]
	v_fmac_f64_e32 v[30:31], v[130:131], v[20:21]
	v_fma_f64 v[20:21], v[128:129], v[20:21], -v[22:23]
	v_add_f64_e32 v[134:135], v[14:15], v[12:13]
	v_add_f64_e32 v[28:29], v[28:29], v[166:167]
	ds_load_b128 v[4:7], v2 offset:1312
	ds_load_b128 v[12:15], v2 offset:1328
	s_wait_loadcnt_dscnt 0x701
	v_mul_f64_e32 v[152:153], v[4:5], v[138:139]
	v_mul_f64_e32 v[138:139], v[6:7], v[138:139]
	s_wait_loadcnt_dscnt 0x600
	v_mul_f64_e32 v[128:129], v[12:13], v[26:27]
	v_mul_f64_e32 v[26:27], v[14:15], v[26:27]
	v_add_f64_e32 v[22:23], v[134:135], v[132:133]
	v_add_f64_e32 v[28:29], v[28:29], v[164:165]
	v_fmac_f64_e32 v[152:153], v[6:7], v[136:137]
	v_fma_f64 v[130:131], v[4:5], v[136:137], -v[138:139]
	v_fmac_f64_e32 v[128:129], v[14:15], v[24:25]
	v_fma_f64 v[12:13], v[12:13], v[24:25], -v[26:27]
	v_add_f64_e32 v[132:133], v[22:23], v[20:21]
	v_add_f64_e32 v[28:29], v[28:29], v[30:31]
	ds_load_b128 v[4:7], v2 offset:1344
	ds_load_b128 v[20:23], v2 offset:1360
	s_wait_loadcnt_dscnt 0x501
	v_mul_f64_e32 v[30:31], v[4:5], v[142:143]
	v_mul_f64_e32 v[134:135], v[6:7], v[142:143]
	s_wait_loadcnt_dscnt 0x400
	v_mul_f64_e32 v[26:27], v[20:21], v[126:127]
	v_add_f64_e32 v[14:15], v[132:133], v[130:131]
	v_add_f64_e32 v[24:25], v[28:29], v[152:153]
	v_mul_f64_e32 v[28:29], v[22:23], v[126:127]
	v_fmac_f64_e32 v[30:31], v[6:7], v[140:141]
	v_fma_f64 v[126:127], v[4:5], v[140:141], -v[134:135]
	v_fmac_f64_e32 v[26:27], v[22:23], v[124:125]
	v_add_f64_e32 v[130:131], v[14:15], v[12:13]
	v_add_f64_e32 v[24:25], v[24:25], v[128:129]
	ds_load_b128 v[4:7], v2 offset:1376
	ds_load_b128 v[12:15], v2 offset:1392
	v_fma_f64 v[20:21], v[20:21], v[124:125], -v[28:29]
	s_wait_loadcnt_dscnt 0x301
	v_mul_f64_e32 v[128:129], v[4:5], v[158:159]
	v_mul_f64_e32 v[132:133], v[6:7], v[158:159]
	s_wait_loadcnt_dscnt 0x200
	v_mul_f64_e32 v[28:29], v[12:13], v[10:11]
	v_mul_f64_e32 v[10:11], v[14:15], v[10:11]
	v_add_f64_e32 v[22:23], v[130:131], v[126:127]
	v_add_f64_e32 v[24:25], v[24:25], v[30:31]
	v_fmac_f64_e32 v[128:129], v[6:7], v[156:157]
	v_fma_f64 v[30:31], v[4:5], v[156:157], -v[132:133]
	v_fmac_f64_e32 v[28:29], v[14:15], v[8:9]
	v_fma_f64 v[8:9], v[12:13], v[8:9], -v[10:11]
	v_add_f64_e32 v[124:125], v[22:23], v[20:21]
	v_add_f64_e32 v[24:25], v[24:25], v[26:27]
	ds_load_b128 v[4:7], v2 offset:1408
	ds_load_b128 v[20:23], v2 offset:1424
	s_wait_loadcnt_dscnt 0x101
	v_mul_f64_e32 v[2:3], v[4:5], v[146:147]
	v_mul_f64_e32 v[26:27], v[6:7], v[146:147]
	s_wait_loadcnt_dscnt 0x0
	v_mul_f64_e32 v[14:15], v[20:21], v[18:19]
	v_mul_f64_e32 v[18:19], v[22:23], v[18:19]
	v_add_f64_e32 v[10:11], v[124:125], v[30:31]
	v_add_f64_e32 v[12:13], v[24:25], v[128:129]
	v_fmac_f64_e32 v[2:3], v[6:7], v[144:145]
	v_fma_f64 v[4:5], v[4:5], v[144:145], -v[26:27]
	v_fmac_f64_e32 v[14:15], v[22:23], v[16:17]
	v_add_f64_e32 v[6:7], v[10:11], v[8:9]
	v_add_f64_e32 v[8:9], v[12:13], v[28:29]
	v_fma_f64 v[10:11], v[20:21], v[16:17], -v[18:19]
	s_delay_alu instid0(VALU_DEP_3) | instskip(NEXT) | instid1(VALU_DEP_3)
	v_add_f64_e32 v[4:5], v[6:7], v[4:5]
	v_add_f64_e32 v[2:3], v[8:9], v[2:3]
	s_delay_alu instid0(VALU_DEP_2) | instskip(NEXT) | instid1(VALU_DEP_2)
	v_add_f64_e32 v[4:5], v[4:5], v[10:11]
	v_add_f64_e32 v[6:7], v[2:3], v[14:15]
	s_delay_alu instid0(VALU_DEP_2) | instskip(NEXT) | instid1(VALU_DEP_2)
	v_add_f64_e64 v[2:3], v[148:149], -v[4:5]
	v_add_f64_e64 v[4:5], v[150:151], -v[6:7]
	scratch_store_b128 off, v[2:5], off offset:64
	s_wait_xcnt 0x0
	v_cmpx_lt_u32_e32 3, v1
	s_cbranch_execz .LBB108_277
; %bb.276:
	scratch_load_b128 v[2:5], off, s14
	v_mov_b32_e32 v6, 0
	s_delay_alu instid0(VALU_DEP_1)
	v_dual_mov_b32 v7, v6 :: v_dual_mov_b32 v8, v6
	v_mov_b32_e32 v9, v6
	scratch_store_b128 off, v[6:9], off offset:48
	s_wait_loadcnt 0x0
	ds_store_b128 v122, v[2:5]
.LBB108_277:
	s_wait_xcnt 0x0
	s_or_b32 exec_lo, exec_lo, s2
	s_wait_storecnt_dscnt 0x0
	s_barrier_signal -1
	s_barrier_wait -1
	s_clause 0x9
	scratch_load_b128 v[4:7], off, off offset:64
	scratch_load_b128 v[8:11], off, off offset:80
	;; [unrolled: 1-line block ×10, first 2 shown]
	v_mov_b32_e32 v2, 0
	s_mov_b32 s2, exec_lo
	ds_load_b128 v[136:139], v2 offset:784
	s_clause 0x2
	scratch_load_b128 v[140:143], off, off offset:224
	scratch_load_b128 v[144:147], off, off offset:48
	;; [unrolled: 1-line block ×3, first 2 shown]
	s_wait_loadcnt_dscnt 0xc00
	v_mul_f64_e32 v[156:157], v[138:139], v[6:7]
	v_mul_f64_e32 v[160:161], v[136:137], v[6:7]
	ds_load_b128 v[148:151], v2 offset:800
	v_fma_f64 v[164:165], v[136:137], v[4:5], -v[156:157]
	v_fmac_f64_e32 v[160:161], v[138:139], v[4:5]
	ds_load_b128 v[4:7], v2 offset:816
	s_wait_loadcnt_dscnt 0xb01
	v_mul_f64_e32 v[162:163], v[148:149], v[10:11]
	v_mul_f64_e32 v[10:11], v[150:151], v[10:11]
	scratch_load_b128 v[136:139], off, off offset:256
	ds_load_b128 v[156:159], v2 offset:832
	s_wait_loadcnt_dscnt 0xb01
	v_mul_f64_e32 v[166:167], v[4:5], v[14:15]
	v_mul_f64_e32 v[14:15], v[6:7], v[14:15]
	v_add_f64_e32 v[160:161], 0, v[160:161]
	v_fmac_f64_e32 v[162:163], v[150:151], v[8:9]
	v_fma_f64 v[148:149], v[148:149], v[8:9], -v[10:11]
	v_add_f64_e32 v[150:151], 0, v[164:165]
	scratch_load_b128 v[8:11], off, off offset:272
	v_fmac_f64_e32 v[166:167], v[6:7], v[12:13]
	v_fma_f64 v[168:169], v[4:5], v[12:13], -v[14:15]
	ds_load_b128 v[4:7], v2 offset:848
	s_wait_loadcnt_dscnt 0xb01
	v_mul_f64_e32 v[164:165], v[156:157], v[18:19]
	v_mul_f64_e32 v[18:19], v[158:159], v[18:19]
	scratch_load_b128 v[12:15], off, off offset:288
	v_add_f64_e32 v[160:161], v[160:161], v[162:163]
	v_add_f64_e32 v[170:171], v[150:151], v[148:149]
	ds_load_b128 v[148:151], v2 offset:864
	s_wait_loadcnt_dscnt 0xb01
	v_mul_f64_e32 v[162:163], v[4:5], v[22:23]
	v_mul_f64_e32 v[22:23], v[6:7], v[22:23]
	v_fmac_f64_e32 v[164:165], v[158:159], v[16:17]
	v_fma_f64 v[156:157], v[156:157], v[16:17], -v[18:19]
	scratch_load_b128 v[16:19], off, off offset:304
	v_add_f64_e32 v[160:161], v[160:161], v[166:167]
	v_add_f64_e32 v[158:159], v[170:171], v[168:169]
	v_fmac_f64_e32 v[162:163], v[6:7], v[20:21]
	v_fma_f64 v[168:169], v[4:5], v[20:21], -v[22:23]
	ds_load_b128 v[4:7], v2 offset:880
	s_wait_loadcnt_dscnt 0xb01
	v_mul_f64_e32 v[166:167], v[148:149], v[26:27]
	v_mul_f64_e32 v[26:27], v[150:151], v[26:27]
	scratch_load_b128 v[20:23], off, off offset:320
	v_add_f64_e32 v[160:161], v[160:161], v[164:165]
	s_wait_loadcnt_dscnt 0xb00
	v_mul_f64_e32 v[164:165], v[4:5], v[30:31]
	v_add_f64_e32 v[170:171], v[158:159], v[156:157]
	v_mul_f64_e32 v[30:31], v[6:7], v[30:31]
	ds_load_b128 v[156:159], v2 offset:896
	v_fmac_f64_e32 v[166:167], v[150:151], v[24:25]
	v_fma_f64 v[148:149], v[148:149], v[24:25], -v[26:27]
	scratch_load_b128 v[24:27], off, off offset:336
	v_add_f64_e32 v[160:161], v[160:161], v[162:163]
	v_fmac_f64_e32 v[164:165], v[6:7], v[28:29]
	v_add_f64_e32 v[150:151], v[170:171], v[168:169]
	v_fma_f64 v[168:169], v[4:5], v[28:29], -v[30:31]
	ds_load_b128 v[4:7], v2 offset:912
	s_wait_loadcnt_dscnt 0xb01
	v_mul_f64_e32 v[162:163], v[156:157], v[126:127]
	v_mul_f64_e32 v[126:127], v[158:159], v[126:127]
	scratch_load_b128 v[28:31], off, off offset:352
	v_add_f64_e32 v[160:161], v[160:161], v[166:167]
	s_wait_loadcnt_dscnt 0xb00
	v_mul_f64_e32 v[166:167], v[4:5], v[130:131]
	v_add_f64_e32 v[170:171], v[150:151], v[148:149]
	v_mul_f64_e32 v[130:131], v[6:7], v[130:131]
	ds_load_b128 v[148:151], v2 offset:928
	v_fmac_f64_e32 v[162:163], v[158:159], v[124:125]
	v_fma_f64 v[156:157], v[156:157], v[124:125], -v[126:127]
	scratch_load_b128 v[124:127], off, off offset:368
	v_add_f64_e32 v[160:161], v[160:161], v[164:165]
	v_fmac_f64_e32 v[166:167], v[6:7], v[128:129]
	v_add_f64_e32 v[158:159], v[170:171], v[168:169]
	;; [unrolled: 18-line block ×3, first 2 shown]
	v_fma_f64 v[168:169], v[4:5], v[140:141], -v[142:143]
	ds_load_b128 v[4:7], v2 offset:976
	s_wait_loadcnt_dscnt 0xa01
	v_mul_f64_e32 v[166:167], v[156:157], v[154:155]
	v_mul_f64_e32 v[154:155], v[158:159], v[154:155]
	scratch_load_b128 v[140:143], off, off offset:416
	v_add_f64_e32 v[160:161], v[160:161], v[164:165]
	v_add_f64_e32 v[170:171], v[150:151], v[148:149]
	s_wait_loadcnt_dscnt 0xa00
	v_mul_f64_e32 v[164:165], v[4:5], v[138:139]
	v_mul_f64_e32 v[138:139], v[6:7], v[138:139]
	v_fmac_f64_e32 v[166:167], v[158:159], v[152:153]
	v_fma_f64 v[156:157], v[156:157], v[152:153], -v[154:155]
	ds_load_b128 v[148:151], v2 offset:992
	scratch_load_b128 v[152:155], off, off offset:432
	v_add_f64_e32 v[160:161], v[160:161], v[162:163]
	v_add_f64_e32 v[158:159], v[170:171], v[168:169]
	v_fmac_f64_e32 v[164:165], v[6:7], v[136:137]
	v_fma_f64 v[168:169], v[4:5], v[136:137], -v[138:139]
	ds_load_b128 v[4:7], v2 offset:1008
	s_wait_loadcnt_dscnt 0xa01
	v_mul_f64_e32 v[162:163], v[148:149], v[10:11]
	v_mul_f64_e32 v[10:11], v[150:151], v[10:11]
	scratch_load_b128 v[136:139], off, off offset:448
	v_add_f64_e32 v[160:161], v[160:161], v[166:167]
	s_wait_loadcnt_dscnt 0xa00
	v_mul_f64_e32 v[166:167], v[4:5], v[14:15]
	v_add_f64_e32 v[170:171], v[158:159], v[156:157]
	v_mul_f64_e32 v[14:15], v[6:7], v[14:15]
	ds_load_b128 v[156:159], v2 offset:1024
	v_fmac_f64_e32 v[162:163], v[150:151], v[8:9]
	v_fma_f64 v[148:149], v[148:149], v[8:9], -v[10:11]
	scratch_load_b128 v[8:11], off, off offset:464
	v_add_f64_e32 v[160:161], v[160:161], v[164:165]
	v_fmac_f64_e32 v[166:167], v[6:7], v[12:13]
	v_add_f64_e32 v[150:151], v[170:171], v[168:169]
	v_fma_f64 v[168:169], v[4:5], v[12:13], -v[14:15]
	ds_load_b128 v[4:7], v2 offset:1040
	s_wait_loadcnt_dscnt 0xa01
	v_mul_f64_e32 v[164:165], v[156:157], v[18:19]
	v_mul_f64_e32 v[18:19], v[158:159], v[18:19]
	scratch_load_b128 v[12:15], off, off offset:480
	v_add_f64_e32 v[160:161], v[160:161], v[162:163]
	s_wait_loadcnt_dscnt 0xa00
	v_mul_f64_e32 v[162:163], v[4:5], v[22:23]
	v_add_f64_e32 v[170:171], v[150:151], v[148:149]
	v_mul_f64_e32 v[22:23], v[6:7], v[22:23]
	ds_load_b128 v[148:151], v2 offset:1056
	v_fmac_f64_e32 v[164:165], v[158:159], v[16:17]
	v_fma_f64 v[156:157], v[156:157], v[16:17], -v[18:19]
	scratch_load_b128 v[16:19], off, off offset:496
	v_add_f64_e32 v[160:161], v[160:161], v[166:167]
	v_fmac_f64_e32 v[162:163], v[6:7], v[20:21]
	v_add_f64_e32 v[158:159], v[170:171], v[168:169]
	;; [unrolled: 18-line block ×8, first 2 shown]
	v_fma_f64 v[168:169], v[4:5], v[20:21], -v[22:23]
	ds_load_b128 v[4:7], v2 offset:1264
	s_wait_loadcnt_dscnt 0xa01
	v_mul_f64_e32 v[166:167], v[148:149], v[26:27]
	v_mul_f64_e32 v[26:27], v[150:151], v[26:27]
	scratch_load_b128 v[20:23], off, off offset:704
	v_add_f64_e32 v[160:161], v[160:161], v[164:165]
	s_wait_loadcnt_dscnt 0xa00
	v_mul_f64_e32 v[164:165], v[4:5], v[30:31]
	v_add_f64_e32 v[170:171], v[158:159], v[156:157]
	v_mul_f64_e32 v[30:31], v[6:7], v[30:31]
	ds_load_b128 v[156:159], v2 offset:1280
	v_fmac_f64_e32 v[166:167], v[150:151], v[24:25]
	v_fma_f64 v[24:25], v[148:149], v[24:25], -v[26:27]
	s_wait_loadcnt_dscnt 0x900
	v_mul_f64_e32 v[150:151], v[156:157], v[126:127]
	v_mul_f64_e32 v[126:127], v[158:159], v[126:127]
	v_add_f64_e32 v[148:149], v[160:161], v[162:163]
	v_fmac_f64_e32 v[164:165], v[6:7], v[28:29]
	v_add_f64_e32 v[26:27], v[170:171], v[168:169]
	v_fma_f64 v[28:29], v[4:5], v[28:29], -v[30:31]
	v_fmac_f64_e32 v[150:151], v[158:159], v[124:125]
	v_fma_f64 v[124:125], v[156:157], v[124:125], -v[126:127]
	v_add_f64_e32 v[148:149], v[148:149], v[166:167]
	v_add_f64_e32 v[30:31], v[26:27], v[24:25]
	ds_load_b128 v[4:7], v2 offset:1296
	ds_load_b128 v[24:27], v2 offset:1312
	s_wait_loadcnt_dscnt 0x801
	v_mul_f64_e32 v[160:161], v[4:5], v[130:131]
	v_mul_f64_e32 v[130:131], v[6:7], v[130:131]
	s_wait_loadcnt_dscnt 0x700
	v_mul_f64_e32 v[126:127], v[24:25], v[134:135]
	v_mul_f64_e32 v[134:135], v[26:27], v[134:135]
	v_add_f64_e32 v[28:29], v[30:31], v[28:29]
	v_add_f64_e32 v[30:31], v[148:149], v[164:165]
	v_fmac_f64_e32 v[160:161], v[6:7], v[128:129]
	v_fma_f64 v[128:129], v[4:5], v[128:129], -v[130:131]
	v_fmac_f64_e32 v[126:127], v[26:27], v[132:133]
	v_fma_f64 v[24:25], v[24:25], v[132:133], -v[134:135]
	v_add_f64_e32 v[124:125], v[28:29], v[124:125]
	v_add_f64_e32 v[130:131], v[30:31], v[150:151]
	ds_load_b128 v[4:7], v2 offset:1328
	ds_load_b128 v[28:31], v2 offset:1344
	s_wait_loadcnt_dscnt 0x601
	v_mul_f64_e32 v[148:149], v[4:5], v[142:143]
	v_mul_f64_e32 v[142:143], v[6:7], v[142:143]
	v_add_f64_e32 v[26:27], v[124:125], v[128:129]
	v_add_f64_e32 v[124:125], v[130:131], v[160:161]
	s_wait_loadcnt_dscnt 0x500
	v_mul_f64_e32 v[128:129], v[28:29], v[154:155]
	v_mul_f64_e32 v[130:131], v[30:31], v[154:155]
	v_fmac_f64_e32 v[148:149], v[6:7], v[140:141]
	v_fma_f64 v[132:133], v[4:5], v[140:141], -v[142:143]
	v_add_f64_e32 v[134:135], v[26:27], v[24:25]
	v_add_f64_e32 v[124:125], v[124:125], v[126:127]
	ds_load_b128 v[4:7], v2 offset:1360
	ds_load_b128 v[24:27], v2 offset:1376
	v_fmac_f64_e32 v[128:129], v[30:31], v[152:153]
	v_fma_f64 v[28:29], v[28:29], v[152:153], -v[130:131]
	s_wait_loadcnt_dscnt 0x401
	v_mul_f64_e32 v[126:127], v[4:5], v[138:139]
	v_mul_f64_e32 v[138:139], v[6:7], v[138:139]
	s_wait_loadcnt_dscnt 0x300
	v_mul_f64_e32 v[130:131], v[24:25], v[10:11]
	v_mul_f64_e32 v[10:11], v[26:27], v[10:11]
	v_add_f64_e32 v[30:31], v[134:135], v[132:133]
	v_add_f64_e32 v[124:125], v[124:125], v[148:149]
	v_fmac_f64_e32 v[126:127], v[6:7], v[136:137]
	v_fma_f64 v[132:133], v[4:5], v[136:137], -v[138:139]
	v_fmac_f64_e32 v[130:131], v[26:27], v[8:9]
	v_fma_f64 v[8:9], v[24:25], v[8:9], -v[10:11]
	v_add_f64_e32 v[134:135], v[30:31], v[28:29]
	v_add_f64_e32 v[124:125], v[124:125], v[128:129]
	ds_load_b128 v[4:7], v2 offset:1392
	ds_load_b128 v[28:31], v2 offset:1408
	s_wait_loadcnt_dscnt 0x201
	v_mul_f64_e32 v[128:129], v[4:5], v[14:15]
	v_mul_f64_e32 v[14:15], v[6:7], v[14:15]
	s_wait_loadcnt_dscnt 0x100
	v_mul_f64_e32 v[26:27], v[28:29], v[18:19]
	v_mul_f64_e32 v[18:19], v[30:31], v[18:19]
	v_add_f64_e32 v[10:11], v[134:135], v[132:133]
	v_add_f64_e32 v[24:25], v[124:125], v[126:127]
	v_fmac_f64_e32 v[128:129], v[6:7], v[12:13]
	v_fma_f64 v[12:13], v[4:5], v[12:13], -v[14:15]
	ds_load_b128 v[4:7], v2 offset:1424
	v_fmac_f64_e32 v[26:27], v[30:31], v[16:17]
	v_fma_f64 v[16:17], v[28:29], v[16:17], -v[18:19]
	v_add_f64_e32 v[8:9], v[10:11], v[8:9]
	v_add_f64_e32 v[10:11], v[24:25], v[130:131]
	s_wait_loadcnt_dscnt 0x0
	v_mul_f64_e32 v[14:15], v[4:5], v[22:23]
	v_mul_f64_e32 v[22:23], v[6:7], v[22:23]
	s_delay_alu instid0(VALU_DEP_4) | instskip(NEXT) | instid1(VALU_DEP_4)
	v_add_f64_e32 v[8:9], v[8:9], v[12:13]
	v_add_f64_e32 v[10:11], v[10:11], v[128:129]
	s_delay_alu instid0(VALU_DEP_4) | instskip(NEXT) | instid1(VALU_DEP_4)
	v_fmac_f64_e32 v[14:15], v[6:7], v[20:21]
	v_fma_f64 v[4:5], v[4:5], v[20:21], -v[22:23]
	s_delay_alu instid0(VALU_DEP_4) | instskip(NEXT) | instid1(VALU_DEP_4)
	v_add_f64_e32 v[6:7], v[8:9], v[16:17]
	v_add_f64_e32 v[8:9], v[10:11], v[26:27]
	s_delay_alu instid0(VALU_DEP_2) | instskip(NEXT) | instid1(VALU_DEP_2)
	v_add_f64_e32 v[4:5], v[6:7], v[4:5]
	v_add_f64_e32 v[6:7], v[8:9], v[14:15]
	s_delay_alu instid0(VALU_DEP_2) | instskip(NEXT) | instid1(VALU_DEP_2)
	v_add_f64_e64 v[4:5], v[144:145], -v[4:5]
	v_add_f64_e64 v[6:7], v[146:147], -v[6:7]
	scratch_store_b128 off, v[4:7], off offset:48
	s_wait_xcnt 0x0
	v_cmpx_lt_u32_e32 2, v1
	s_cbranch_execz .LBB108_279
; %bb.278:
	scratch_load_b128 v[6:9], off, s16
	v_dual_mov_b32 v3, v2 :: v_dual_mov_b32 v4, v2
	v_mov_b32_e32 v5, v2
	scratch_store_b128 off, v[2:5], off offset:32
	s_wait_loadcnt 0x0
	ds_store_b128 v122, v[6:9]
.LBB108_279:
	s_wait_xcnt 0x0
	s_or_b32 exec_lo, exec_lo, s2
	s_wait_storecnt_dscnt 0x0
	s_barrier_signal -1
	s_barrier_wait -1
	s_clause 0x9
	scratch_load_b128 v[4:7], off, off offset:48
	scratch_load_b128 v[8:11], off, off offset:64
	scratch_load_b128 v[12:15], off, off offset:80
	scratch_load_b128 v[16:19], off, off offset:96
	scratch_load_b128 v[20:23], off, off offset:112
	scratch_load_b128 v[24:27], off, off offset:128
	scratch_load_b128 v[28:31], off, off offset:144
	scratch_load_b128 v[124:127], off, off offset:160
	scratch_load_b128 v[128:131], off, off offset:176
	scratch_load_b128 v[132:135], off, off offset:192
	ds_load_b128 v[136:139], v2 offset:768
	ds_load_b128 v[144:147], v2 offset:784
	s_clause 0x2
	scratch_load_b128 v[140:143], off, off offset:208
	scratch_load_b128 v[148:151], off, off offset:32
	;; [unrolled: 1-line block ×3, first 2 shown]
	s_mov_b32 s2, exec_lo
	v_ashrrev_i32_e32 v37, 31, v36
	v_ashrrev_i32_e32 v41, 31, v40
	;; [unrolled: 1-line block ×3, first 2 shown]
	v_dual_ashrrev_i32 v49, 31, v48 :: v_dual_ashrrev_i32 v39, 31, v38
	v_dual_ashrrev_i32 v43, 31, v42 :: v_dual_ashrrev_i32 v53, 31, v52
	v_dual_ashrrev_i32 v57, 31, v56 :: v_dual_ashrrev_i32 v47, 31, v46
	v_dual_ashrrev_i32 v51, 31, v50 :: v_dual_ashrrev_i32 v61, 31, v60
	v_dual_ashrrev_i32 v65, 31, v64 :: v_dual_ashrrev_i32 v55, 31, v54
	v_dual_ashrrev_i32 v59, 31, v58 :: v_dual_ashrrev_i32 v69, 31, v68
	v_dual_ashrrev_i32 v63, 31, v62 :: v_dual_ashrrev_i32 v73, 31, v72
	v_dual_ashrrev_i32 v77, 31, v76 :: v_dual_ashrrev_i32 v67, 31, v66
	v_ashrrev_i32_e32 v81, 31, v80
	v_ashrrev_i32_e32 v85, 31, v84
	v_dual_ashrrev_i32 v89, 31, v88 :: v_dual_ashrrev_i32 v71, 31, v70
	v_ashrrev_i32_e32 v75, 31, v74
	v_ashrrev_i32_e32 v79, 31, v78
	v_dual_ashrrev_i32 v83, 31, v82 :: v_dual_ashrrev_i32 v93, 31, v92
	v_dual_ashrrev_i32 v97, 31, v96 :: v_dual_ashrrev_i32 v87, 31, v86
	;; [unrolled: 1-line block ×3, first 2 shown]
	v_ashrrev_i32_e32 v105, 31, v104
	v_dual_ashrrev_i32 v109, 31, v108 :: v_dual_ashrrev_i32 v95, 31, v94
	v_dual_ashrrev_i32 v113, 31, v112 :: v_dual_ashrrev_i32 v99, 31, v98
	v_ashrrev_i32_e32 v117, 31, v116
	v_dual_ashrrev_i32 v121, 31, v120 :: v_dual_ashrrev_i32 v103, 31, v102
	v_ashrrev_i32_e32 v107, 31, v106
	v_ashrrev_i32_e32 v111, 31, v110
	;; [unrolled: 1-line block ×4, first 2 shown]
	s_wait_loadcnt_dscnt 0xc01
	v_mul_f64_e32 v[156:157], v[138:139], v[6:7]
	v_mul_f64_e32 v[160:161], v[136:137], v[6:7]
	s_wait_loadcnt_dscnt 0xb00
	v_mul_f64_e32 v[162:163], v[144:145], v[10:11]
	v_mul_f64_e32 v[10:11], v[146:147], v[10:11]
	s_delay_alu instid0(VALU_DEP_4) | instskip(NEXT) | instid1(VALU_DEP_4)
	v_fma_f64 v[164:165], v[136:137], v[4:5], -v[156:157]
	v_fmac_f64_e32 v[160:161], v[138:139], v[4:5]
	ds_load_b128 v[4:7], v2 offset:800
	ds_load_b128 v[156:159], v2 offset:816
	scratch_load_b128 v[136:139], off, off offset:240
	v_fmac_f64_e32 v[162:163], v[146:147], v[8:9]
	v_fma_f64 v[144:145], v[144:145], v[8:9], -v[10:11]
	scratch_load_b128 v[8:11], off, off offset:256
	s_wait_loadcnt_dscnt 0xc01
	v_mul_f64_e32 v[166:167], v[4:5], v[14:15]
	v_mul_f64_e32 v[14:15], v[6:7], v[14:15]
	v_add_f64_e32 v[146:147], 0, v[164:165]
	v_add_f64_e32 v[160:161], 0, v[160:161]
	s_wait_loadcnt_dscnt 0xb00
	v_mul_f64_e32 v[164:165], v[156:157], v[18:19]
	v_mul_f64_e32 v[18:19], v[158:159], v[18:19]
	v_fmac_f64_e32 v[166:167], v[6:7], v[12:13]
	v_fma_f64 v[168:169], v[4:5], v[12:13], -v[14:15]
	ds_load_b128 v[4:7], v2 offset:832
	scratch_load_b128 v[12:15], off, off offset:272
	v_add_f64_e32 v[170:171], v[146:147], v[144:145]
	v_add_f64_e32 v[160:161], v[160:161], v[162:163]
	ds_load_b128 v[144:147], v2 offset:848
	v_fmac_f64_e32 v[164:165], v[158:159], v[16:17]
	v_fma_f64 v[156:157], v[156:157], v[16:17], -v[18:19]
	scratch_load_b128 v[16:19], off, off offset:288
	s_wait_loadcnt_dscnt 0xc01
	v_mul_f64_e32 v[162:163], v[4:5], v[22:23]
	v_mul_f64_e32 v[22:23], v[6:7], v[22:23]
	v_add_f64_e32 v[158:159], v[170:171], v[168:169]
	v_add_f64_e32 v[160:161], v[160:161], v[166:167]
	s_wait_loadcnt_dscnt 0xb00
	v_mul_f64_e32 v[166:167], v[144:145], v[26:27]
	v_mul_f64_e32 v[26:27], v[146:147], v[26:27]
	v_fmac_f64_e32 v[162:163], v[6:7], v[20:21]
	v_fma_f64 v[168:169], v[4:5], v[20:21], -v[22:23]
	ds_load_b128 v[4:7], v2 offset:864
	scratch_load_b128 v[20:23], off, off offset:304
	v_add_f64_e32 v[170:171], v[158:159], v[156:157]
	v_add_f64_e32 v[160:161], v[160:161], v[164:165]
	ds_load_b128 v[156:159], v2 offset:880
	s_wait_loadcnt_dscnt 0xb01
	v_mul_f64_e32 v[164:165], v[4:5], v[30:31]
	v_mul_f64_e32 v[30:31], v[6:7], v[30:31]
	v_fmac_f64_e32 v[166:167], v[146:147], v[24:25]
	v_fma_f64 v[144:145], v[144:145], v[24:25], -v[26:27]
	scratch_load_b128 v[24:27], off, off offset:320
	v_add_f64_e32 v[146:147], v[170:171], v[168:169]
	v_add_f64_e32 v[160:161], v[160:161], v[162:163]
	s_wait_loadcnt_dscnt 0xb00
	v_mul_f64_e32 v[162:163], v[156:157], v[126:127]
	v_mul_f64_e32 v[126:127], v[158:159], v[126:127]
	v_fmac_f64_e32 v[164:165], v[6:7], v[28:29]
	v_fma_f64 v[168:169], v[4:5], v[28:29], -v[30:31]
	ds_load_b128 v[4:7], v2 offset:896
	scratch_load_b128 v[28:31], off, off offset:336
	v_add_f64_e32 v[170:171], v[146:147], v[144:145]
	v_add_f64_e32 v[160:161], v[160:161], v[166:167]
	ds_load_b128 v[144:147], v2 offset:912
	s_wait_loadcnt_dscnt 0xb01
	v_mul_f64_e32 v[166:167], v[4:5], v[130:131]
	v_mul_f64_e32 v[130:131], v[6:7], v[130:131]
	v_fmac_f64_e32 v[162:163], v[158:159], v[124:125]
	v_fma_f64 v[156:157], v[156:157], v[124:125], -v[126:127]
	scratch_load_b128 v[124:127], off, off offset:352
	;; [unrolled: 18-line block ×3, first 2 shown]
	v_add_f64_e32 v[146:147], v[170:171], v[168:169]
	v_add_f64_e32 v[160:161], v[160:161], v[166:167]
	s_wait_loadcnt_dscnt 0xa00
	v_mul_f64_e32 v[166:167], v[156:157], v[154:155]
	v_mul_f64_e32 v[154:155], v[158:159], v[154:155]
	v_fmac_f64_e32 v[162:163], v[6:7], v[140:141]
	v_fma_f64 v[168:169], v[4:5], v[140:141], -v[142:143]
	ds_load_b128 v[4:7], v2 offset:960
	scratch_load_b128 v[140:143], off, off offset:400
	v_add_f64_e32 v[170:171], v[146:147], v[144:145]
	v_add_f64_e32 v[160:161], v[160:161], v[164:165]
	ds_load_b128 v[144:147], v2 offset:976
	v_fmac_f64_e32 v[166:167], v[158:159], v[152:153]
	s_wait_loadcnt_dscnt 0xa01
	v_mul_f64_e32 v[164:165], v[4:5], v[138:139]
	v_mul_f64_e32 v[138:139], v[6:7], v[138:139]
	v_fma_f64 v[156:157], v[156:157], v[152:153], -v[154:155]
	scratch_load_b128 v[152:155], off, off offset:416
	v_add_f64_e32 v[158:159], v[170:171], v[168:169]
	v_add_f64_e32 v[160:161], v[160:161], v[162:163]
	s_wait_loadcnt_dscnt 0xa00
	v_mul_f64_e32 v[162:163], v[144:145], v[10:11]
	v_mul_f64_e32 v[10:11], v[146:147], v[10:11]
	v_fmac_f64_e32 v[164:165], v[6:7], v[136:137]
	v_fma_f64 v[168:169], v[4:5], v[136:137], -v[138:139]
	ds_load_b128 v[4:7], v2 offset:992
	scratch_load_b128 v[136:139], off, off offset:432
	v_add_f64_e32 v[170:171], v[158:159], v[156:157]
	v_add_f64_e32 v[160:161], v[160:161], v[166:167]
	ds_load_b128 v[156:159], v2 offset:1008
	s_wait_loadcnt_dscnt 0xa01
	v_mul_f64_e32 v[166:167], v[4:5], v[14:15]
	v_mul_f64_e32 v[14:15], v[6:7], v[14:15]
	v_fmac_f64_e32 v[162:163], v[146:147], v[8:9]
	v_fma_f64 v[144:145], v[144:145], v[8:9], -v[10:11]
	scratch_load_b128 v[8:11], off, off offset:448
	v_add_f64_e32 v[146:147], v[170:171], v[168:169]
	v_add_f64_e32 v[160:161], v[160:161], v[164:165]
	s_wait_loadcnt_dscnt 0xa00
	v_mul_f64_e32 v[164:165], v[156:157], v[18:19]
	v_mul_f64_e32 v[18:19], v[158:159], v[18:19]
	v_fmac_f64_e32 v[166:167], v[6:7], v[12:13]
	v_fma_f64 v[168:169], v[4:5], v[12:13], -v[14:15]
	ds_load_b128 v[4:7], v2 offset:1024
	scratch_load_b128 v[12:15], off, off offset:464
	v_add_f64_e32 v[170:171], v[146:147], v[144:145]
	v_add_f64_e32 v[160:161], v[160:161], v[162:163]
	ds_load_b128 v[144:147], v2 offset:1040
	s_wait_loadcnt_dscnt 0xa01
	v_mul_f64_e32 v[162:163], v[4:5], v[22:23]
	v_mul_f64_e32 v[22:23], v[6:7], v[22:23]
	v_fmac_f64_e32 v[164:165], v[158:159], v[16:17]
	;; [unrolled: 18-line block ×9, first 2 shown]
	v_fma_f64 v[144:145], v[144:145], v[24:25], -v[26:27]
	scratch_load_b128 v[24:27], off, off offset:704
	v_add_f64_e32 v[146:147], v[170:171], v[168:169]
	v_add_f64_e32 v[160:161], v[160:161], v[162:163]
	s_wait_loadcnt_dscnt 0xa00
	v_mul_f64_e32 v[162:163], v[156:157], v[126:127]
	v_mul_f64_e32 v[126:127], v[158:159], v[126:127]
	v_fmac_f64_e32 v[164:165], v[6:7], v[28:29]
	v_fma_f64 v[168:169], v[4:5], v[28:29], -v[30:31]
	ds_load_b128 v[4:7], v2 offset:1280
	ds_load_b128 v[28:31], v2 offset:1296
	v_add_f64_e32 v[144:145], v[146:147], v[144:145]
	v_add_f64_e32 v[146:147], v[160:161], v[166:167]
	s_wait_loadcnt_dscnt 0x901
	v_mul_f64_e32 v[160:161], v[4:5], v[130:131]
	v_mul_f64_e32 v[130:131], v[6:7], v[130:131]
	v_fmac_f64_e32 v[162:163], v[158:159], v[124:125]
	v_fma_f64 v[124:125], v[156:157], v[124:125], -v[126:127]
	v_add_f64_e32 v[126:127], v[144:145], v[168:169]
	v_add_f64_e32 v[144:145], v[146:147], v[164:165]
	s_wait_loadcnt_dscnt 0x800
	v_mul_f64_e32 v[146:147], v[28:29], v[134:135]
	v_mul_f64_e32 v[134:135], v[30:31], v[134:135]
	v_fmac_f64_e32 v[160:161], v[6:7], v[128:129]
	v_fma_f64 v[128:129], v[4:5], v[128:129], -v[130:131]
	v_add_f64_e32 v[130:131], v[126:127], v[124:125]
	v_add_f64_e32 v[144:145], v[144:145], v[162:163]
	ds_load_b128 v[4:7], v2 offset:1312
	ds_load_b128 v[124:127], v2 offset:1328
	v_fmac_f64_e32 v[146:147], v[30:31], v[132:133]
	v_fma_f64 v[28:29], v[28:29], v[132:133], -v[134:135]
	s_wait_loadcnt_dscnt 0x701
	v_mul_f64_e32 v[156:157], v[4:5], v[142:143]
	v_mul_f64_e32 v[142:143], v[6:7], v[142:143]
	s_wait_loadcnt_dscnt 0x600
	v_mul_f64_e32 v[132:133], v[126:127], v[154:155]
	v_add_f64_e32 v[30:31], v[130:131], v[128:129]
	v_add_f64_e32 v[128:129], v[144:145], v[160:161]
	v_mul_f64_e32 v[130:131], v[124:125], v[154:155]
	v_fmac_f64_e32 v[156:157], v[6:7], v[140:141]
	v_fma_f64 v[134:135], v[4:5], v[140:141], -v[142:143]
	v_fma_f64 v[124:125], v[124:125], v[152:153], -v[132:133]
	v_add_f64_e32 v[140:141], v[30:31], v[28:29]
	v_add_f64_e32 v[128:129], v[128:129], v[146:147]
	ds_load_b128 v[4:7], v2 offset:1344
	ds_load_b128 v[28:31], v2 offset:1360
	v_fmac_f64_e32 v[130:131], v[126:127], v[152:153]
	s_wait_loadcnt_dscnt 0x501
	v_mul_f64_e32 v[142:143], v[4:5], v[138:139]
	v_mul_f64_e32 v[138:139], v[6:7], v[138:139]
	s_wait_loadcnt_dscnt 0x400
	v_mul_f64_e32 v[132:133], v[28:29], v[10:11]
	v_mul_f64_e32 v[10:11], v[30:31], v[10:11]
	v_add_f64_e32 v[126:127], v[140:141], v[134:135]
	v_add_f64_e32 v[128:129], v[128:129], v[156:157]
	v_fmac_f64_e32 v[142:143], v[6:7], v[136:137]
	v_fma_f64 v[134:135], v[4:5], v[136:137], -v[138:139]
	v_fmac_f64_e32 v[132:133], v[30:31], v[8:9]
	v_fma_f64 v[8:9], v[28:29], v[8:9], -v[10:11]
	v_add_f64_e32 v[136:137], v[126:127], v[124:125]
	v_add_f64_e32 v[128:129], v[128:129], v[130:131]
	ds_load_b128 v[4:7], v2 offset:1376
	ds_load_b128 v[124:127], v2 offset:1392
	s_wait_loadcnt_dscnt 0x301
	v_mul_f64_e32 v[130:131], v[4:5], v[14:15]
	v_mul_f64_e32 v[14:15], v[6:7], v[14:15]
	s_wait_loadcnt_dscnt 0x200
	v_mul_f64_e32 v[30:31], v[124:125], v[18:19]
	v_mul_f64_e32 v[18:19], v[126:127], v[18:19]
	v_add_f64_e32 v[10:11], v[136:137], v[134:135]
	v_add_f64_e32 v[28:29], v[128:129], v[142:143]
	v_fmac_f64_e32 v[130:131], v[6:7], v[12:13]
	v_fma_f64 v[12:13], v[4:5], v[12:13], -v[14:15]
	v_fmac_f64_e32 v[30:31], v[126:127], v[16:17]
	v_fma_f64 v[16:17], v[124:125], v[16:17], -v[18:19]
	v_add_f64_e32 v[14:15], v[10:11], v[8:9]
	v_add_f64_e32 v[28:29], v[28:29], v[132:133]
	ds_load_b128 v[4:7], v2 offset:1408
	ds_load_b128 v[8:11], v2 offset:1424
	s_wait_loadcnt_dscnt 0x101
	v_mul_f64_e32 v[2:3], v[4:5], v[22:23]
	v_mul_f64_e32 v[22:23], v[6:7], v[22:23]
	s_wait_loadcnt_dscnt 0x0
	v_mul_f64_e32 v[18:19], v[8:9], v[26:27]
	v_mul_f64_e32 v[26:27], v[10:11], v[26:27]
	v_add_f64_e32 v[12:13], v[14:15], v[12:13]
	v_add_f64_e32 v[14:15], v[28:29], v[130:131]
	v_fmac_f64_e32 v[2:3], v[6:7], v[20:21]
	v_fma_f64 v[4:5], v[4:5], v[20:21], -v[22:23]
	v_fmac_f64_e32 v[18:19], v[10:11], v[24:25]
	v_fma_f64 v[8:9], v[8:9], v[24:25], -v[26:27]
	v_add_f64_e32 v[6:7], v[12:13], v[16:17]
	v_add_f64_e32 v[12:13], v[14:15], v[30:31]
	s_delay_alu instid0(VALU_DEP_2) | instskip(NEXT) | instid1(VALU_DEP_2)
	v_add_f64_e32 v[4:5], v[6:7], v[4:5]
	v_add_f64_e32 v[2:3], v[12:13], v[2:3]
	s_delay_alu instid0(VALU_DEP_2) | instskip(NEXT) | instid1(VALU_DEP_2)
	;; [unrolled: 3-line block ×3, first 2 shown]
	v_add_f64_e64 v[2:3], v[148:149], -v[4:5]
	v_add_f64_e64 v[4:5], v[150:151], -v[6:7]
	scratch_store_b128 off, v[2:5], off offset:32
	s_wait_xcnt 0x0
	v_cmpx_lt_u32_e32 1, v1
	s_cbranch_execz .LBB108_281
; %bb.280:
	scratch_load_b128 v[2:5], off, s18
	v_mov_b32_e32 v6, 0
	s_delay_alu instid0(VALU_DEP_1)
	v_dual_mov_b32 v7, v6 :: v_dual_mov_b32 v8, v6
	v_mov_b32_e32 v9, v6
	scratch_store_b128 off, v[6:9], off offset:16
	s_wait_loadcnt 0x0
	ds_store_b128 v122, v[2:5]
.LBB108_281:
	s_wait_xcnt 0x0
	s_or_b32 exec_lo, exec_lo, s2
	s_wait_storecnt_dscnt 0x0
	s_barrier_signal -1
	s_barrier_wait -1
	s_clause 0x9
	scratch_load_b128 v[4:7], off, off offset:32
	scratch_load_b128 v[8:11], off, off offset:48
	;; [unrolled: 1-line block ×10, first 2 shown]
	v_mov_b32_e32 v2, 0
	s_mov_b32 s2, exec_lo
	ds_load_b128 v[136:139], v2 offset:752
	s_clause 0x2
	scratch_load_b128 v[140:143], off, off offset:192
	scratch_load_b128 v[144:147], off, off offset:16
	scratch_load_b128 v[152:155], off, off offset:208
	s_wait_loadcnt_dscnt 0xc00
	v_mul_f64_e32 v[156:157], v[138:139], v[6:7]
	v_mul_f64_e32 v[160:161], v[136:137], v[6:7]
	ds_load_b128 v[148:151], v2 offset:768
	v_fma_f64 v[164:165], v[136:137], v[4:5], -v[156:157]
	v_fmac_f64_e32 v[160:161], v[138:139], v[4:5]
	ds_load_b128 v[4:7], v2 offset:784
	s_wait_loadcnt_dscnt 0xb01
	v_mul_f64_e32 v[162:163], v[148:149], v[10:11]
	v_mul_f64_e32 v[10:11], v[150:151], v[10:11]
	scratch_load_b128 v[136:139], off, off offset:224
	ds_load_b128 v[156:159], v2 offset:800
	s_wait_loadcnt_dscnt 0xb01
	v_mul_f64_e32 v[166:167], v[4:5], v[14:15]
	v_mul_f64_e32 v[14:15], v[6:7], v[14:15]
	v_add_f64_e32 v[160:161], 0, v[160:161]
	v_fmac_f64_e32 v[162:163], v[150:151], v[8:9]
	v_fma_f64 v[148:149], v[148:149], v[8:9], -v[10:11]
	v_add_f64_e32 v[150:151], 0, v[164:165]
	scratch_load_b128 v[8:11], off, off offset:240
	v_fmac_f64_e32 v[166:167], v[6:7], v[12:13]
	v_fma_f64 v[168:169], v[4:5], v[12:13], -v[14:15]
	ds_load_b128 v[4:7], v2 offset:816
	s_wait_loadcnt_dscnt 0xb01
	v_mul_f64_e32 v[164:165], v[156:157], v[18:19]
	v_mul_f64_e32 v[18:19], v[158:159], v[18:19]
	scratch_load_b128 v[12:15], off, off offset:256
	v_add_f64_e32 v[160:161], v[160:161], v[162:163]
	v_add_f64_e32 v[170:171], v[150:151], v[148:149]
	ds_load_b128 v[148:151], v2 offset:832
	s_wait_loadcnt_dscnt 0xb01
	v_mul_f64_e32 v[162:163], v[4:5], v[22:23]
	v_mul_f64_e32 v[22:23], v[6:7], v[22:23]
	v_fmac_f64_e32 v[164:165], v[158:159], v[16:17]
	v_fma_f64 v[156:157], v[156:157], v[16:17], -v[18:19]
	scratch_load_b128 v[16:19], off, off offset:272
	v_add_f64_e32 v[160:161], v[160:161], v[166:167]
	v_add_f64_e32 v[158:159], v[170:171], v[168:169]
	v_fmac_f64_e32 v[162:163], v[6:7], v[20:21]
	v_fma_f64 v[168:169], v[4:5], v[20:21], -v[22:23]
	ds_load_b128 v[4:7], v2 offset:848
	s_wait_loadcnt_dscnt 0xb01
	v_mul_f64_e32 v[166:167], v[148:149], v[26:27]
	v_mul_f64_e32 v[26:27], v[150:151], v[26:27]
	scratch_load_b128 v[20:23], off, off offset:288
	v_add_f64_e32 v[160:161], v[160:161], v[164:165]
	s_wait_loadcnt_dscnt 0xb00
	v_mul_f64_e32 v[164:165], v[4:5], v[30:31]
	v_add_f64_e32 v[170:171], v[158:159], v[156:157]
	v_mul_f64_e32 v[30:31], v[6:7], v[30:31]
	ds_load_b128 v[156:159], v2 offset:864
	v_fmac_f64_e32 v[166:167], v[150:151], v[24:25]
	v_fma_f64 v[148:149], v[148:149], v[24:25], -v[26:27]
	scratch_load_b128 v[24:27], off, off offset:304
	v_add_f64_e32 v[160:161], v[160:161], v[162:163]
	v_fmac_f64_e32 v[164:165], v[6:7], v[28:29]
	v_add_f64_e32 v[150:151], v[170:171], v[168:169]
	v_fma_f64 v[168:169], v[4:5], v[28:29], -v[30:31]
	ds_load_b128 v[4:7], v2 offset:880
	s_wait_loadcnt_dscnt 0xb01
	v_mul_f64_e32 v[162:163], v[156:157], v[126:127]
	v_mul_f64_e32 v[126:127], v[158:159], v[126:127]
	scratch_load_b128 v[28:31], off, off offset:320
	v_add_f64_e32 v[160:161], v[160:161], v[166:167]
	s_wait_loadcnt_dscnt 0xb00
	v_mul_f64_e32 v[166:167], v[4:5], v[130:131]
	v_add_f64_e32 v[170:171], v[150:151], v[148:149]
	v_mul_f64_e32 v[130:131], v[6:7], v[130:131]
	ds_load_b128 v[148:151], v2 offset:896
	v_fmac_f64_e32 v[162:163], v[158:159], v[124:125]
	v_fma_f64 v[156:157], v[156:157], v[124:125], -v[126:127]
	scratch_load_b128 v[124:127], off, off offset:336
	v_add_f64_e32 v[160:161], v[160:161], v[164:165]
	v_fmac_f64_e32 v[166:167], v[6:7], v[128:129]
	v_add_f64_e32 v[158:159], v[170:171], v[168:169]
	v_fma_f64 v[168:169], v[4:5], v[128:129], -v[130:131]
	ds_load_b128 v[4:7], v2 offset:912
	s_wait_loadcnt_dscnt 0xb01
	v_mul_f64_e32 v[164:165], v[148:149], v[134:135]
	v_mul_f64_e32 v[134:135], v[150:151], v[134:135]
	scratch_load_b128 v[128:131], off, off offset:352
	v_add_f64_e32 v[160:161], v[160:161], v[162:163]
	s_wait_loadcnt_dscnt 0xb00
	v_mul_f64_e32 v[162:163], v[4:5], v[142:143]
	v_add_f64_e32 v[170:171], v[158:159], v[156:157]
	v_mul_f64_e32 v[142:143], v[6:7], v[142:143]
	ds_load_b128 v[156:159], v2 offset:928
	v_fmac_f64_e32 v[164:165], v[150:151], v[132:133]
	v_fma_f64 v[148:149], v[148:149], v[132:133], -v[134:135]
	scratch_load_b128 v[132:135], off, off offset:368
	v_add_f64_e32 v[160:161], v[160:161], v[166:167]
	v_fmac_f64_e32 v[162:163], v[6:7], v[140:141]
	v_add_f64_e32 v[150:151], v[170:171], v[168:169]
	v_fma_f64 v[168:169], v[4:5], v[140:141], -v[142:143]
	ds_load_b128 v[4:7], v2 offset:944
	s_wait_loadcnt_dscnt 0xa01
	v_mul_f64_e32 v[166:167], v[156:157], v[154:155]
	v_mul_f64_e32 v[154:155], v[158:159], v[154:155]
	scratch_load_b128 v[140:143], off, off offset:384
	v_add_f64_e32 v[160:161], v[160:161], v[164:165]
	v_add_f64_e32 v[170:171], v[150:151], v[148:149]
	s_wait_loadcnt_dscnt 0xa00
	v_mul_f64_e32 v[164:165], v[4:5], v[138:139]
	v_mul_f64_e32 v[138:139], v[6:7], v[138:139]
	v_fmac_f64_e32 v[166:167], v[158:159], v[152:153]
	v_fma_f64 v[156:157], v[156:157], v[152:153], -v[154:155]
	ds_load_b128 v[148:151], v2 offset:960
	scratch_load_b128 v[152:155], off, off offset:400
	v_add_f64_e32 v[160:161], v[160:161], v[162:163]
	v_add_f64_e32 v[158:159], v[170:171], v[168:169]
	v_fmac_f64_e32 v[164:165], v[6:7], v[136:137]
	v_fma_f64 v[168:169], v[4:5], v[136:137], -v[138:139]
	ds_load_b128 v[4:7], v2 offset:976
	s_wait_loadcnt_dscnt 0xa01
	v_mul_f64_e32 v[162:163], v[148:149], v[10:11]
	v_mul_f64_e32 v[10:11], v[150:151], v[10:11]
	scratch_load_b128 v[136:139], off, off offset:416
	v_add_f64_e32 v[160:161], v[160:161], v[166:167]
	s_wait_loadcnt_dscnt 0xa00
	v_mul_f64_e32 v[166:167], v[4:5], v[14:15]
	v_add_f64_e32 v[170:171], v[158:159], v[156:157]
	v_mul_f64_e32 v[14:15], v[6:7], v[14:15]
	ds_load_b128 v[156:159], v2 offset:992
	v_fmac_f64_e32 v[162:163], v[150:151], v[8:9]
	v_fma_f64 v[148:149], v[148:149], v[8:9], -v[10:11]
	scratch_load_b128 v[8:11], off, off offset:432
	v_add_f64_e32 v[160:161], v[160:161], v[164:165]
	v_fmac_f64_e32 v[166:167], v[6:7], v[12:13]
	v_add_f64_e32 v[150:151], v[170:171], v[168:169]
	v_fma_f64 v[168:169], v[4:5], v[12:13], -v[14:15]
	ds_load_b128 v[4:7], v2 offset:1008
	s_wait_loadcnt_dscnt 0xa01
	v_mul_f64_e32 v[164:165], v[156:157], v[18:19]
	v_mul_f64_e32 v[18:19], v[158:159], v[18:19]
	scratch_load_b128 v[12:15], off, off offset:448
	v_add_f64_e32 v[160:161], v[160:161], v[162:163]
	s_wait_loadcnt_dscnt 0xa00
	v_mul_f64_e32 v[162:163], v[4:5], v[22:23]
	v_add_f64_e32 v[170:171], v[150:151], v[148:149]
	v_mul_f64_e32 v[22:23], v[6:7], v[22:23]
	ds_load_b128 v[148:151], v2 offset:1024
	v_fmac_f64_e32 v[164:165], v[158:159], v[16:17]
	v_fma_f64 v[156:157], v[156:157], v[16:17], -v[18:19]
	scratch_load_b128 v[16:19], off, off offset:464
	v_add_f64_e32 v[160:161], v[160:161], v[166:167]
	v_fmac_f64_e32 v[162:163], v[6:7], v[20:21]
	v_add_f64_e32 v[158:159], v[170:171], v[168:169]
	;; [unrolled: 18-line block ×9, first 2 shown]
	v_fma_f64 v[168:169], v[4:5], v[28:29], -v[30:31]
	ds_load_b128 v[4:7], v2 offset:1264
	s_wait_loadcnt_dscnt 0xa01
	v_mul_f64_e32 v[162:163], v[156:157], v[126:127]
	v_mul_f64_e32 v[126:127], v[158:159], v[126:127]
	scratch_load_b128 v[28:31], off, off offset:704
	v_add_f64_e32 v[160:161], v[160:161], v[166:167]
	s_wait_loadcnt_dscnt 0xa00
	v_mul_f64_e32 v[166:167], v[4:5], v[130:131]
	v_add_f64_e32 v[170:171], v[150:151], v[148:149]
	v_mul_f64_e32 v[130:131], v[6:7], v[130:131]
	ds_load_b128 v[148:151], v2 offset:1280
	v_fmac_f64_e32 v[162:163], v[158:159], v[124:125]
	v_fma_f64 v[124:125], v[156:157], v[124:125], -v[126:127]
	s_wait_loadcnt_dscnt 0x900
	v_mul_f64_e32 v[158:159], v[148:149], v[134:135]
	v_mul_f64_e32 v[134:135], v[150:151], v[134:135]
	v_add_f64_e32 v[156:157], v[160:161], v[164:165]
	v_fmac_f64_e32 v[166:167], v[6:7], v[128:129]
	v_add_f64_e32 v[126:127], v[170:171], v[168:169]
	v_fma_f64 v[128:129], v[4:5], v[128:129], -v[130:131]
	v_fmac_f64_e32 v[158:159], v[150:151], v[132:133]
	v_fma_f64 v[132:133], v[148:149], v[132:133], -v[134:135]
	v_add_f64_e32 v[156:157], v[156:157], v[162:163]
	v_add_f64_e32 v[130:131], v[126:127], v[124:125]
	ds_load_b128 v[4:7], v2 offset:1296
	ds_load_b128 v[124:127], v2 offset:1312
	s_wait_loadcnt_dscnt 0x801
	v_mul_f64_e32 v[160:161], v[4:5], v[142:143]
	v_mul_f64_e32 v[142:143], v[6:7], v[142:143]
	s_wait_loadcnt_dscnt 0x700
	v_mul_f64_e32 v[134:135], v[124:125], v[154:155]
	v_mul_f64_e32 v[148:149], v[126:127], v[154:155]
	v_add_f64_e32 v[128:129], v[130:131], v[128:129]
	v_add_f64_e32 v[130:131], v[156:157], v[166:167]
	v_fmac_f64_e32 v[160:161], v[6:7], v[140:141]
	v_fma_f64 v[140:141], v[4:5], v[140:141], -v[142:143]
	v_fmac_f64_e32 v[134:135], v[126:127], v[152:153]
	v_fma_f64 v[124:125], v[124:125], v[152:153], -v[148:149]
	v_add_f64_e32 v[132:133], v[128:129], v[132:133]
	v_add_f64_e32 v[142:143], v[130:131], v[158:159]
	ds_load_b128 v[4:7], v2 offset:1328
	ds_load_b128 v[128:131], v2 offset:1344
	s_wait_loadcnt_dscnt 0x601
	v_mul_f64_e32 v[150:151], v[4:5], v[138:139]
	v_mul_f64_e32 v[138:139], v[6:7], v[138:139]
	v_add_f64_e32 v[126:127], v[132:133], v[140:141]
	v_add_f64_e32 v[132:133], v[142:143], v[160:161]
	s_wait_loadcnt_dscnt 0x500
	v_mul_f64_e32 v[140:141], v[128:129], v[10:11]
	v_mul_f64_e32 v[10:11], v[130:131], v[10:11]
	v_fmac_f64_e32 v[150:151], v[6:7], v[136:137]
	v_fma_f64 v[136:137], v[4:5], v[136:137], -v[138:139]
	v_add_f64_e32 v[138:139], v[126:127], v[124:125]
	v_add_f64_e32 v[132:133], v[132:133], v[134:135]
	ds_load_b128 v[4:7], v2 offset:1360
	ds_load_b128 v[124:127], v2 offset:1376
	v_fmac_f64_e32 v[140:141], v[130:131], v[8:9]
	v_fma_f64 v[8:9], v[128:129], v[8:9], -v[10:11]
	s_wait_loadcnt_dscnt 0x401
	v_mul_f64_e32 v[134:135], v[4:5], v[14:15]
	v_mul_f64_e32 v[14:15], v[6:7], v[14:15]
	s_wait_loadcnt_dscnt 0x300
	v_mul_f64_e32 v[130:131], v[124:125], v[18:19]
	v_mul_f64_e32 v[18:19], v[126:127], v[18:19]
	v_add_f64_e32 v[10:11], v[138:139], v[136:137]
	v_add_f64_e32 v[128:129], v[132:133], v[150:151]
	v_fmac_f64_e32 v[134:135], v[6:7], v[12:13]
	v_fma_f64 v[12:13], v[4:5], v[12:13], -v[14:15]
	v_fmac_f64_e32 v[130:131], v[126:127], v[16:17]
	v_fma_f64 v[16:17], v[124:125], v[16:17], -v[18:19]
	v_add_f64_e32 v[14:15], v[10:11], v[8:9]
	v_add_f64_e32 v[128:129], v[128:129], v[140:141]
	ds_load_b128 v[4:7], v2 offset:1392
	ds_load_b128 v[8:11], v2 offset:1408
	s_wait_loadcnt_dscnt 0x201
	v_mul_f64_e32 v[132:133], v[4:5], v[22:23]
	v_mul_f64_e32 v[22:23], v[6:7], v[22:23]
	s_wait_loadcnt_dscnt 0x100
	v_mul_f64_e32 v[18:19], v[8:9], v[26:27]
	v_mul_f64_e32 v[26:27], v[10:11], v[26:27]
	v_add_f64_e32 v[12:13], v[14:15], v[12:13]
	v_add_f64_e32 v[14:15], v[128:129], v[134:135]
	v_fmac_f64_e32 v[132:133], v[6:7], v[20:21]
	v_fma_f64 v[20:21], v[4:5], v[20:21], -v[22:23]
	ds_load_b128 v[4:7], v2 offset:1424
	v_fmac_f64_e32 v[18:19], v[10:11], v[24:25]
	v_fma_f64 v[8:9], v[8:9], v[24:25], -v[26:27]
	v_add_f64_e32 v[12:13], v[12:13], v[16:17]
	v_add_f64_e32 v[14:15], v[14:15], v[130:131]
	s_wait_loadcnt_dscnt 0x0
	v_mul_f64_e32 v[16:17], v[4:5], v[30:31]
	v_mul_f64_e32 v[22:23], v[6:7], v[30:31]
	s_delay_alu instid0(VALU_DEP_4) | instskip(NEXT) | instid1(VALU_DEP_4)
	v_add_f64_e32 v[10:11], v[12:13], v[20:21]
	v_add_f64_e32 v[12:13], v[14:15], v[132:133]
	s_delay_alu instid0(VALU_DEP_4) | instskip(NEXT) | instid1(VALU_DEP_4)
	v_fmac_f64_e32 v[16:17], v[6:7], v[28:29]
	v_fma_f64 v[4:5], v[4:5], v[28:29], -v[22:23]
	s_delay_alu instid0(VALU_DEP_4) | instskip(NEXT) | instid1(VALU_DEP_4)
	v_add_f64_e32 v[6:7], v[10:11], v[8:9]
	v_add_f64_e32 v[8:9], v[12:13], v[18:19]
	s_delay_alu instid0(VALU_DEP_2) | instskip(NEXT) | instid1(VALU_DEP_2)
	v_add_f64_e32 v[4:5], v[6:7], v[4:5]
	v_add_f64_e32 v[6:7], v[8:9], v[16:17]
	s_delay_alu instid0(VALU_DEP_2) | instskip(NEXT) | instid1(VALU_DEP_2)
	v_add_f64_e64 v[4:5], v[144:145], -v[4:5]
	v_add_f64_e64 v[6:7], v[146:147], -v[6:7]
	scratch_store_b128 off, v[4:7], off offset:16
	s_wait_xcnt 0x0
	v_cmpx_ne_u32_e32 0, v1
	s_cbranch_execz .LBB108_283
; %bb.282:
	scratch_load_b128 v[6:9], off, off
	v_dual_mov_b32 v3, v2 :: v_dual_mov_b32 v4, v2
	v_mov_b32_e32 v5, v2
	scratch_store_b128 off, v[2:5], off
	s_wait_loadcnt 0x0
	ds_store_b128 v122, v[6:9]
.LBB108_283:
	s_wait_xcnt 0x0
	s_or_b32 exec_lo, exec_lo, s2
	s_wait_storecnt_dscnt 0x0
	s_barrier_signal -1
	s_barrier_wait -1
	s_clause 0x9
	scratch_load_b128 v[4:7], off, off offset:16
	scratch_load_b128 v[8:11], off, off offset:32
	;; [unrolled: 1-line block ×10, first 2 shown]
	ds_load_b128 v[134:137], v2 offset:736
	ds_load_b128 v[142:145], v2 offset:752
	s_clause 0x2
	scratch_load_b128 v[138:141], off, off offset:176
	scratch_load_b128 v[148:151], off, off
	scratch_load_b128 v[152:155], off, off offset:192
	v_lshl_add_u64 v[58:59], v[58:59], 4, s[4:5]
	s_and_b32 vcc_lo, exec_lo, s57
	s_wait_loadcnt_dscnt 0xc01
	v_mul_f64_e32 v[146:147], v[136:137], v[6:7]
	v_mul_f64_e32 v[160:161], v[134:135], v[6:7]
	s_wait_loadcnt_dscnt 0xb00
	v_mul_f64_e32 v[162:163], v[142:143], v[10:11]
	v_mul_f64_e32 v[10:11], v[144:145], v[10:11]
	s_delay_alu instid0(VALU_DEP_4) | instskip(NEXT) | instid1(VALU_DEP_4)
	v_fma_f64 v[146:147], v[134:135], v[4:5], -v[146:147]
	v_fmac_f64_e32 v[160:161], v[136:137], v[4:5]
	ds_load_b128 v[4:7], v2 offset:768
	ds_load_b128 v[134:137], v2 offset:784
	scratch_load_b128 v[156:159], off, off offset:208
	v_fmac_f64_e32 v[162:163], v[144:145], v[8:9]
	v_fma_f64 v[142:143], v[142:143], v[8:9], -v[10:11]
	scratch_load_b128 v[8:11], off, off offset:224
	s_wait_loadcnt_dscnt 0xc01
	v_mul_f64_e32 v[164:165], v[4:5], v[14:15]
	v_mul_f64_e32 v[14:15], v[6:7], v[14:15]
	v_add_f64_e32 v[144:145], 0, v[146:147]
	v_add_f64_e32 v[146:147], 0, v[160:161]
	s_wait_loadcnt_dscnt 0xb00
	v_mul_f64_e32 v[160:161], v[134:135], v[18:19]
	v_mul_f64_e32 v[18:19], v[136:137], v[18:19]
	v_fmac_f64_e32 v[164:165], v[6:7], v[12:13]
	v_fma_f64 v[166:167], v[4:5], v[12:13], -v[14:15]
	ds_load_b128 v[4:7], v2 offset:800
	ds_load_b128 v[12:15], v2 offset:816
	v_add_f64_e32 v[168:169], v[144:145], v[142:143]
	v_add_f64_e32 v[146:147], v[146:147], v[162:163]
	scratch_load_b128 v[142:145], off, off offset:240
	v_fmac_f64_e32 v[160:161], v[136:137], v[16:17]
	v_fma_f64 v[134:135], v[134:135], v[16:17], -v[18:19]
	scratch_load_b128 v[16:19], off, off offset:256
	s_wait_loadcnt_dscnt 0xc01
	v_mul_f64_e32 v[162:163], v[4:5], v[22:23]
	v_mul_f64_e32 v[22:23], v[6:7], v[22:23]
	v_add_f64_e32 v[136:137], v[168:169], v[166:167]
	v_add_f64_e32 v[146:147], v[146:147], v[164:165]
	s_wait_loadcnt_dscnt 0xb00
	v_mul_f64_e32 v[164:165], v[12:13], v[26:27]
	v_mul_f64_e32 v[26:27], v[14:15], v[26:27]
	v_fmac_f64_e32 v[162:163], v[6:7], v[20:21]
	v_fma_f64 v[166:167], v[4:5], v[20:21], -v[22:23]
	ds_load_b128 v[4:7], v2 offset:832
	ds_load_b128 v[20:23], v2 offset:848
	v_add_f64_e32 v[168:169], v[136:137], v[134:135]
	v_add_f64_e32 v[146:147], v[146:147], v[160:161]
	scratch_load_b128 v[134:137], off, off offset:272
	s_wait_loadcnt_dscnt 0xb01
	v_mul_f64_e32 v[160:161], v[4:5], v[30:31]
	v_mul_f64_e32 v[30:31], v[6:7], v[30:31]
	v_fmac_f64_e32 v[164:165], v[14:15], v[24:25]
	v_fma_f64 v[24:25], v[12:13], v[24:25], -v[26:27]
	scratch_load_b128 v[12:15], off, off offset:288
	v_add_f64_e32 v[26:27], v[168:169], v[166:167]
	v_add_f64_e32 v[146:147], v[146:147], v[162:163]
	s_wait_loadcnt_dscnt 0xb00
	v_mul_f64_e32 v[162:163], v[20:21], v[124:125]
	v_mul_f64_e32 v[124:125], v[22:23], v[124:125]
	v_fmac_f64_e32 v[160:161], v[6:7], v[28:29]
	v_fma_f64 v[166:167], v[4:5], v[28:29], -v[30:31]
	v_add_f64_e32 v[168:169], v[26:27], v[24:25]
	v_add_f64_e32 v[146:147], v[146:147], v[164:165]
	ds_load_b128 v[4:7], v2 offset:864
	ds_load_b128 v[24:27], v2 offset:880
	scratch_load_b128 v[28:31], off, off offset:304
	v_fmac_f64_e32 v[162:163], v[22:23], v[122:123]
	v_fma_f64 v[122:123], v[20:21], v[122:123], -v[124:125]
	scratch_load_b128 v[20:23], off, off offset:320
	s_wait_loadcnt_dscnt 0xc01
	v_mul_f64_e32 v[164:165], v[4:5], v[128:129]
	v_mul_f64_e32 v[128:129], v[6:7], v[128:129]
	v_add_f64_e32 v[124:125], v[168:169], v[166:167]
	v_add_f64_e32 v[146:147], v[146:147], v[160:161]
	s_wait_loadcnt_dscnt 0xb00
	v_mul_f64_e32 v[160:161], v[24:25], v[132:133]
	v_mul_f64_e32 v[132:133], v[26:27], v[132:133]
	v_fmac_f64_e32 v[164:165], v[6:7], v[126:127]
	v_fma_f64 v[166:167], v[4:5], v[126:127], -v[128:129]
	v_add_f64_e32 v[168:169], v[124:125], v[122:123]
	v_add_f64_e32 v[146:147], v[146:147], v[162:163]
	ds_load_b128 v[4:7], v2 offset:896
	ds_load_b128 v[122:125], v2 offset:912
	scratch_load_b128 v[126:129], off, off offset:336
	v_fmac_f64_e32 v[160:161], v[26:27], v[130:131]
	v_fma_f64 v[130:131], v[24:25], v[130:131], -v[132:133]
	scratch_load_b128 v[24:27], off, off offset:352
	s_wait_loadcnt_dscnt 0xc01
	v_mul_f64_e32 v[162:163], v[4:5], v[140:141]
	v_mul_f64_e32 v[140:141], v[6:7], v[140:141]
	;; [unrolled: 18-line block ×5, first 2 shown]
	v_add_f64_e32 v[154:155], v[168:169], v[166:167]
	v_add_f64_e32 v[146:147], v[146:147], v[164:165]
	s_wait_loadcnt_dscnt 0xa00
	v_mul_f64_e32 v[164:165], v[130:131], v[14:15]
	v_mul_f64_e32 v[14:15], v[132:133], v[14:15]
	v_fmac_f64_e32 v[162:163], v[6:7], v[134:135]
	v_fma_f64 v[166:167], v[4:5], v[134:135], -v[136:137]
	ds_load_b128 v[4:7], v2 offset:1024
	ds_load_b128 v[134:137], v2 offset:1040
	v_add_f64_e32 v[168:169], v[154:155], v[152:153]
	v_add_f64_e32 v[146:147], v[146:147], v[160:161]
	scratch_load_b128 v[152:155], off, off offset:464
	v_fmac_f64_e32 v[164:165], v[132:133], v[12:13]
	v_fma_f64 v[130:131], v[130:131], v[12:13], -v[14:15]
	scratch_load_b128 v[12:15], off, off offset:480
	s_wait_loadcnt_dscnt 0xb01
	v_mul_f64_e32 v[160:161], v[4:5], v[30:31]
	v_mul_f64_e32 v[30:31], v[6:7], v[30:31]
	v_add_f64_e32 v[132:133], v[168:169], v[166:167]
	v_add_f64_e32 v[146:147], v[146:147], v[162:163]
	s_wait_loadcnt_dscnt 0xa00
	v_mul_f64_e32 v[162:163], v[134:135], v[22:23]
	v_mul_f64_e32 v[22:23], v[136:137], v[22:23]
	v_fmac_f64_e32 v[160:161], v[6:7], v[28:29]
	v_fma_f64 v[166:167], v[4:5], v[28:29], -v[30:31]
	ds_load_b128 v[4:7], v2 offset:1056
	ds_load_b128 v[28:31], v2 offset:1072
	v_add_f64_e32 v[168:169], v[132:133], v[130:131]
	v_add_f64_e32 v[146:147], v[146:147], v[164:165]
	scratch_load_b128 v[130:133], off, off offset:496
	s_wait_loadcnt_dscnt 0xa01
	v_mul_f64_e32 v[164:165], v[4:5], v[128:129]
	v_mul_f64_e32 v[128:129], v[6:7], v[128:129]
	v_fmac_f64_e32 v[162:163], v[136:137], v[20:21]
	v_fma_f64 v[134:135], v[134:135], v[20:21], -v[22:23]
	scratch_load_b128 v[20:23], off, off offset:512
	v_add_f64_e32 v[136:137], v[168:169], v[166:167]
	v_add_f64_e32 v[146:147], v[146:147], v[160:161]
	s_wait_loadcnt_dscnt 0xa00
	v_mul_f64_e32 v[160:161], v[28:29], v[26:27]
	v_mul_f64_e32 v[26:27], v[30:31], v[26:27]
	v_fmac_f64_e32 v[164:165], v[6:7], v[126:127]
	v_fma_f64 v[166:167], v[4:5], v[126:127], -v[128:129]
	ds_load_b128 v[4:7], v2 offset:1088
	ds_load_b128 v[126:129], v2 offset:1104
	v_add_f64_e32 v[168:169], v[136:137], v[134:135]
	v_add_f64_e32 v[146:147], v[146:147], v[162:163]
	scratch_load_b128 v[134:137], off, off offset:528
	s_wait_loadcnt_dscnt 0xa01
	v_mul_f64_e32 v[162:163], v[4:5], v[140:141]
	v_mul_f64_e32 v[140:141], v[6:7], v[140:141]
	v_fmac_f64_e32 v[160:161], v[30:31], v[24:25]
	v_fma_f64 v[28:29], v[28:29], v[24:25], -v[26:27]
	scratch_load_b128 v[24:27], off, off offset:544
	v_add_f64_e32 v[30:31], v[168:169], v[166:167]
	v_add_f64_e32 v[146:147], v[146:147], v[164:165]
	s_wait_loadcnt_dscnt 0xa00
	v_mul_f64_e32 v[164:165], v[126:127], v[124:125]
	v_mul_f64_e32 v[124:125], v[128:129], v[124:125]
	v_fmac_f64_e32 v[162:163], v[6:7], v[138:139]
	v_fma_f64 v[166:167], v[4:5], v[138:139], -v[140:141]
	v_add_f64_e32 v[168:169], v[30:31], v[28:29]
	v_add_f64_e32 v[146:147], v[146:147], v[160:161]
	ds_load_b128 v[4:7], v2 offset:1120
	ds_load_b128 v[28:31], v2 offset:1136
	scratch_load_b128 v[138:141], off, off offset:560
	v_fmac_f64_e32 v[164:165], v[128:129], v[122:123]
	v_fma_f64 v[126:127], v[126:127], v[122:123], -v[124:125]
	scratch_load_b128 v[122:125], off, off offset:576
	s_wait_loadcnt_dscnt 0xb01
	v_mul_f64_e32 v[160:161], v[4:5], v[158:159]
	v_mul_f64_e32 v[158:159], v[6:7], v[158:159]
	v_add_f64_e32 v[128:129], v[168:169], v[166:167]
	v_add_f64_e32 v[146:147], v[146:147], v[162:163]
	s_wait_loadcnt_dscnt 0xa00
	v_mul_f64_e32 v[162:163], v[28:29], v[10:11]
	v_mul_f64_e32 v[10:11], v[30:31], v[10:11]
	v_fmac_f64_e32 v[160:161], v[6:7], v[156:157]
	v_fma_f64 v[166:167], v[4:5], v[156:157], -v[158:159]
	v_add_f64_e32 v[168:169], v[128:129], v[126:127]
	v_add_f64_e32 v[146:147], v[146:147], v[164:165]
	ds_load_b128 v[4:7], v2 offset:1152
	ds_load_b128 v[126:129], v2 offset:1168
	scratch_load_b128 v[156:159], off, off offset:592
	v_fmac_f64_e32 v[162:163], v[30:31], v[8:9]
	v_fma_f64 v[28:29], v[28:29], v[8:9], -v[10:11]
	scratch_load_b128 v[8:11], off, off offset:608
	s_wait_loadcnt_dscnt 0xb01
	v_mul_f64_e32 v[164:165], v[4:5], v[144:145]
	v_mul_f64_e32 v[144:145], v[6:7], v[144:145]
	;; [unrolled: 18-line block ×5, first 2 shown]
	v_add_f64_e32 v[128:129], v[168:169], v[166:167]
	v_add_f64_e32 v[146:147], v[146:147], v[160:161]
	s_wait_loadcnt_dscnt 0xa00
	v_mul_f64_e32 v[160:161], v[28:29], v[26:27]
	v_mul_f64_e32 v[26:27], v[30:31], v[26:27]
	v_fmac_f64_e32 v[164:165], v[6:7], v[134:135]
	v_fma_f64 v[134:135], v[4:5], v[134:135], -v[136:137]
	v_add_f64_e32 v[136:137], v[128:129], v[126:127]
	v_add_f64_e32 v[146:147], v[146:147], v[162:163]
	ds_load_b128 v[4:7], v2 offset:1280
	ds_load_b128 v[126:129], v2 offset:1296
	v_fmac_f64_e32 v[160:161], v[30:31], v[24:25]
	v_fma_f64 v[24:25], v[28:29], v[24:25], -v[26:27]
	s_wait_loadcnt_dscnt 0x901
	v_mul_f64_e32 v[162:163], v[4:5], v[140:141]
	v_mul_f64_e32 v[140:141], v[6:7], v[140:141]
	s_wait_loadcnt_dscnt 0x800
	v_mul_f64_e32 v[30:31], v[126:127], v[124:125]
	v_mul_f64_e32 v[124:125], v[128:129], v[124:125]
	v_add_f64_e32 v[26:27], v[136:137], v[134:135]
	v_add_f64_e32 v[28:29], v[146:147], v[164:165]
	v_lshl_add_u64 v[146:147], v[36:37], 4, s[4:5]
	v_lshl_add_u64 v[36:37], v[90:91], 4, s[4:5]
	v_fmac_f64_e32 v[162:163], v[6:7], v[138:139]
	v_fma_f64 v[134:135], v[4:5], v[138:139], -v[140:141]
	v_fmac_f64_e32 v[30:31], v[128:129], v[122:123]
	v_fma_f64 v[122:123], v[126:127], v[122:123], -v[124:125]
	v_add_f64_e32 v[136:137], v[26:27], v[24:25]
	v_add_f64_e32 v[28:29], v[28:29], v[160:161]
	ds_load_b128 v[4:7], v2 offset:1312
	ds_load_b128 v[24:27], v2 offset:1328
	s_wait_loadcnt_dscnt 0x701
	v_mul_f64_e32 v[138:139], v[4:5], v[158:159]
	v_mul_f64_e32 v[140:141], v[6:7], v[158:159]
	s_wait_loadcnt_dscnt 0x600
	v_mul_f64_e32 v[126:127], v[24:25], v[10:11]
	v_mul_f64_e32 v[10:11], v[26:27], v[10:11]
	v_add_f64_e32 v[124:125], v[136:137], v[134:135]
	v_add_f64_e32 v[28:29], v[28:29], v[162:163]
	v_fmac_f64_e32 v[138:139], v[6:7], v[156:157]
	v_fma_f64 v[128:129], v[4:5], v[156:157], -v[140:141]
	v_fmac_f64_e32 v[126:127], v[26:27], v[8:9]
	v_fma_f64 v[8:9], v[24:25], v[8:9], -v[10:11]
	v_lshl_add_u64 v[140:141], v[42:43], 4, s[4:5]
	v_lshl_add_u64 v[42:43], v[84:85], 4, s[4:5]
	v_add_f64_e32 v[122:123], v[124:125], v[122:123]
	v_add_f64_e32 v[124:125], v[28:29], v[30:31]
	ds_load_b128 v[4:7], v2 offset:1344
	ds_load_b128 v[28:31], v2 offset:1360
	s_wait_loadcnt_dscnt 0x501
	v_mul_f64_e32 v[134:135], v[4:5], v[144:145]
	v_mul_f64_e32 v[136:137], v[6:7], v[144:145]
	s_wait_loadcnt_dscnt 0x400
	v_mul_f64_e32 v[26:27], v[28:29], v[18:19]
	v_mul_f64_e32 v[18:19], v[30:31], v[18:19]
	v_lshl_add_u64 v[144:145], v[38:39], 4, s[4:5]
	v_lshl_add_u64 v[38:39], v[88:89], 4, s[4:5]
	v_add_f64_e32 v[10:11], v[122:123], v[128:129]
	v_add_f64_e32 v[24:25], v[124:125], v[138:139]
	v_lshl_add_u64 v[138:139], v[44:45], 4, s[4:5]
	v_lshl_add_u64 v[44:45], v[82:83], 4, s[4:5]
	v_fmac_f64_e32 v[134:135], v[6:7], v[142:143]
	v_fma_f64 v[122:123], v[4:5], v[142:143], -v[136:137]
	v_fmac_f64_e32 v[26:27], v[30:31], v[16:17]
	v_fma_f64 v[16:17], v[28:29], v[16:17], -v[18:19]
	v_lshl_add_u64 v[142:143], v[40:41], 4, s[4:5]
	v_lshl_add_u64 v[136:137], v[46:47], 4, s[4:5]
	;; [unrolled: 1-line block ×4, first 2 shown]
	v_add_f64_e32 v[124:125], v[10:11], v[8:9]
	v_add_f64_e32 v[24:25], v[24:25], v[126:127]
	ds_load_b128 v[4:7], v2 offset:1376
	ds_load_b128 v[8:11], v2 offset:1392
	s_wait_loadcnt_dscnt 0x301
	v_mul_f64_e32 v[126:127], v[4:5], v[154:155]
	v_mul_f64_e32 v[128:129], v[6:7], v[154:155]
	s_wait_loadcnt_dscnt 0x200
	v_mul_f64_e32 v[28:29], v[8:9], v[14:15]
	v_mul_f64_e32 v[30:31], v[10:11], v[14:15]
	v_add_f64_e32 v[18:19], v[124:125], v[122:123]
	v_add_f64_e32 v[24:25], v[24:25], v[134:135]
	v_lshl_add_u64 v[134:135], v[48:49], 4, s[4:5]
	v_lshl_add_u64 v[124:125], v[54:55], 4, s[4:5]
	;; [unrolled: 1-line block ×5, first 2 shown]
	v_fmac_f64_e32 v[126:127], v[6:7], v[152:153]
	v_fma_f64 v[122:123], v[4:5], v[152:153], -v[128:129]
	v_fmac_f64_e32 v[28:29], v[10:11], v[12:13]
	v_fma_f64 v[8:9], v[8:9], v[12:13], -v[30:31]
	v_lshl_add_u64 v[128:129], v[64:65], 4, s[4:5]
	v_lshl_add_u64 v[64:65], v[66:67], 4, s[4:5]
	;; [unrolled: 1-line block ×3, first 2 shown]
	v_add_f64_e32 v[18:19], v[18:19], v[16:17]
	v_add_f64_e32 v[24:25], v[24:25], v[26:27]
	ds_load_b128 v[4:7], v2 offset:1408
	ds_load_b128 v[14:17], v2 offset:1424
	s_wait_loadcnt_dscnt 0x101
	v_mul_f64_e32 v[2:3], v[4:5], v[132:133]
	v_mul_f64_e32 v[26:27], v[6:7], v[132:133]
	v_lshl_add_u64 v[132:133], v[60:61], 4, s[4:5]
	v_lshl_add_u64 v[60:61], v[70:71], 4, s[4:5]
	v_add_f64_e32 v[10:11], v[18:19], v[122:123]
	v_add_f64_e32 v[12:13], v[24:25], v[126:127]
	s_wait_loadcnt_dscnt 0x0
	v_mul_f64_e32 v[18:19], v[14:15], v[22:23]
	v_mul_f64_e32 v[22:23], v[16:17], v[22:23]
	v_lshl_add_u64 v[126:127], v[52:53], 4, s[4:5]
	v_lshl_add_u64 v[122:123], v[56:57], 4, s[4:5]
	;; [unrolled: 1-line block ×5, first 2 shown]
	v_fmac_f64_e32 v[2:3], v[6:7], v[130:131]
	v_fma_f64 v[4:5], v[4:5], v[130:131], -v[26:27]
	v_lshl_add_u64 v[130:131], v[50:51], 4, s[4:5]
	v_lshl_add_u64 v[50:51], v[76:77], 4, s[4:5]
	;; [unrolled: 1-line block ×3, first 2 shown]
	v_add_f64_e32 v[6:7], v[10:11], v[8:9]
	v_add_f64_e32 v[8:9], v[12:13], v[28:29]
	v_fmac_f64_e32 v[18:19], v[16:17], v[20:21]
	v_fma_f64 v[10:11], v[14:15], v[20:21], -v[22:23]
	v_lshl_add_u64 v[28:29], v[94:95], 4, s[4:5]
	v_lshl_add_u64 v[22:23], v[100:101], 4, s[4:5]
	;; [unrolled: 1-line block ×6, first 2 shown]
	v_add_f64_e32 v[4:5], v[6:7], v[4:5]
	v_add_f64_e32 v[2:3], v[8:9], v[2:3]
	v_lshl_add_u64 v[8:9], v[114:115], 4, s[4:5]
	v_lshl_add_u64 v[6:7], v[116:117], 4, s[4:5]
	s_delay_alu instid0(VALU_DEP_4) | instskip(NEXT) | instid1(VALU_DEP_4)
	v_add_f64_e32 v[4:5], v[4:5], v[10:11]
	v_add_f64_e32 v[2:3], v[2:3], v[18:19]
	v_lshl_add_u64 v[18:19], v[104:105], 4, s[4:5]
	v_lshl_add_u64 v[10:11], v[112:113], 4, s[4:5]
	s_delay_alu instid0(VALU_DEP_4) | instskip(NEXT) | instid1(VALU_DEP_4)
	v_add_f64_e64 v[148:149], v[148:149], -v[4:5]
	v_add_f64_e64 v[150:151], v[150:151], -v[2:3]
	v_lshl_add_u64 v[4:5], v[118:119], 4, s[4:5]
	v_lshl_add_u64 v[2:3], v[120:121], 4, s[4:5]
	scratch_store_b128 off, v[148:151], off
	s_cbranch_vccz .LBB108_372
; %bb.284:
	v_mov_b32_e32 v66, 0
	s_load_b64 s[2:3], s[0:1], 0x4
	v_bfe_u32 v68, v0, 10, 10
	v_bfe_u32 v0, v0, 20, 10
	global_load_b32 v67, v66, s[8:9] offset:172
	s_wait_kmcnt 0x0
	s_lshr_b32 s0, s2, 16
	v_mul_u32_u24_e32 v68, s3, v68
	s_mul_i32 s0, s0, s3
	s_delay_alu instid0(SALU_CYCLE_1) | instskip(NEXT) | instid1(VALU_DEP_1)
	v_mul_u32_u24_e32 v1, s0, v1
	v_add3_u32 v0, v1, v68, v0
	s_delay_alu instid0(VALU_DEP_1)
	v_lshl_add_u32 v0, v0, 4, 0x5a8
	s_wait_loadcnt 0x0
	v_cmp_ne_u32_e32 vcc_lo, 44, v67
	s_cbranch_vccz .LBB108_286
; %bb.285:
	v_lshlrev_b32_e32 v1, 4, v67
	s_clause 0x1
	scratch_load_b128 v[68:71], off, s15
	scratch_load_b128 v[72:75], v1, off offset:-16
	s_wait_loadcnt 0x1
	ds_store_2addr_b64 v0, v[68:69], v[70:71] offset1:1
	s_wait_loadcnt 0x0
	s_clause 0x1
	scratch_store_b128 off, v[72:75], s15
	scratch_store_b128 v1, v[68:71], off offset:-16
.LBB108_286:
	global_load_b32 v1, v66, s[8:9] offset:168
	s_wait_loadcnt 0x0
	v_cmp_eq_u32_e32 vcc_lo, 43, v1
	s_cbranch_vccnz .LBB108_288
; %bb.287:
	v_lshlrev_b32_e32 v1, 4, v1
	s_clause 0x1
	scratch_load_b128 v[66:69], off, s17
	scratch_load_b128 v[70:73], v1, off offset:-16
	s_wait_loadcnt 0x1
	ds_store_2addr_b64 v0, v[66:67], v[68:69] offset1:1
	s_wait_loadcnt 0x0
	s_clause 0x1
	scratch_store_b128 off, v[70:73], s17
	scratch_store_b128 v1, v[66:69], off offset:-16
.LBB108_288:
	s_wait_xcnt 0x0
	v_mov_b32_e32 v1, 0
	global_load_b32 v66, v1, s[8:9] offset:164
	s_wait_loadcnt 0x0
	v_cmp_eq_u32_e32 vcc_lo, 42, v66
	s_cbranch_vccnz .LBB108_290
; %bb.289:
	v_lshlrev_b32_e32 v66, 4, v66
	s_delay_alu instid0(VALU_DEP_1)
	v_mov_b32_e32 v74, v66
	s_clause 0x1
	scratch_load_b128 v[66:69], off, s19
	scratch_load_b128 v[70:73], v74, off offset:-16
	s_wait_loadcnt 0x1
	ds_store_2addr_b64 v0, v[66:67], v[68:69] offset1:1
	s_wait_loadcnt 0x0
	s_clause 0x1
	scratch_store_b128 off, v[70:73], s19
	scratch_store_b128 v74, v[66:69], off offset:-16
.LBB108_290:
	global_load_b32 v1, v1, s[8:9] offset:160
	s_wait_loadcnt 0x0
	v_cmp_eq_u32_e32 vcc_lo, 41, v1
	s_cbranch_vccnz .LBB108_292
; %bb.291:
	s_wait_xcnt 0x0
	v_lshlrev_b32_e32 v1, 4, v1
	s_clause 0x1
	scratch_load_b128 v[66:69], off, s20
	scratch_load_b128 v[70:73], v1, off offset:-16
	s_wait_loadcnt 0x1
	ds_store_2addr_b64 v0, v[66:67], v[68:69] offset1:1
	s_wait_loadcnt 0x0
	s_clause 0x1
	scratch_store_b128 off, v[70:73], s20
	scratch_store_b128 v1, v[66:69], off offset:-16
.LBB108_292:
	s_wait_xcnt 0x0
	v_mov_b32_e32 v1, 0
	global_load_b32 v66, v1, s[8:9] offset:156
	s_wait_loadcnt 0x0
	v_cmp_eq_u32_e32 vcc_lo, 40, v66
	s_cbranch_vccnz .LBB108_294
; %bb.293:
	v_lshlrev_b32_e32 v66, 4, v66
	s_delay_alu instid0(VALU_DEP_1)
	v_mov_b32_e32 v74, v66
	s_clause 0x1
	scratch_load_b128 v[66:69], off, s21
	scratch_load_b128 v[70:73], v74, off offset:-16
	s_wait_loadcnt 0x1
	ds_store_2addr_b64 v0, v[66:67], v[68:69] offset1:1
	s_wait_loadcnt 0x0
	s_clause 0x1
	scratch_store_b128 off, v[70:73], s21
	scratch_store_b128 v74, v[66:69], off offset:-16
.LBB108_294:
	global_load_b32 v1, v1, s[8:9] offset:152
	s_wait_loadcnt 0x0
	v_cmp_eq_u32_e32 vcc_lo, 39, v1
	s_cbranch_vccnz .LBB108_296
; %bb.295:
	s_wait_xcnt 0x0
	v_lshlrev_b32_e32 v1, 4, v1
	s_clause 0x1
	scratch_load_b128 v[66:69], off, s22
	scratch_load_b128 v[70:73], v1, off offset:-16
	s_wait_loadcnt 0x1
	ds_store_2addr_b64 v0, v[66:67], v[68:69] offset1:1
	s_wait_loadcnt 0x0
	s_clause 0x1
	scratch_store_b128 off, v[70:73], s22
	scratch_store_b128 v1, v[66:69], off offset:-16
.LBB108_296:
	;; [unrolled: 37-line block ×20, first 2 shown]
	s_wait_xcnt 0x0
	v_mov_b32_e32 v1, 0
	global_load_b32 v66, v1, s[8:9] offset:4
	s_wait_loadcnt 0x0
	v_cmp_eq_u32_e32 vcc_lo, 2, v66
	s_cbranch_vccnz .LBB108_370
; %bb.369:
	v_lshlrev_b32_e32 v66, 4, v66
	s_delay_alu instid0(VALU_DEP_1)
	v_mov_b32_e32 v74, v66
	s_clause 0x1
	scratch_load_b128 v[66:69], off, s18
	scratch_load_b128 v[70:73], v74, off offset:-16
	s_wait_loadcnt 0x1
	ds_store_2addr_b64 v0, v[66:67], v[68:69] offset1:1
	s_wait_loadcnt 0x0
	s_clause 0x1
	scratch_store_b128 off, v[70:73], s18
	scratch_store_b128 v74, v[66:69], off offset:-16
.LBB108_370:
	global_load_b32 v1, v1, s[8:9]
	s_wait_loadcnt 0x0
	v_cmp_eq_u32_e32 vcc_lo, 1, v1
	s_cbranch_vccnz .LBB108_372
; %bb.371:
	s_wait_xcnt 0x0
	v_lshlrev_b32_e32 v1, 4, v1
	scratch_load_b128 v[66:69], off, off
	scratch_load_b128 v[70:73], v1, off offset:-16
	s_wait_loadcnt 0x1
	ds_store_2addr_b64 v0, v[66:67], v[68:69] offset1:1
	s_wait_loadcnt 0x0
	scratch_store_b128 off, v[70:73], off
	scratch_store_b128 v1, v[66:69], off offset:-16
.LBB108_372:
	scratch_load_b128 v[66:69], off, off
	s_wait_loadcnt 0x0
	flat_store_b128 v[32:33], v[66:69]
	scratch_load_b128 v[66:69], off, s18
	s_wait_loadcnt 0x0
	flat_store_b128 v[34:35], v[66:69]
	scratch_load_b128 v[32:35], off, s16
	;; [unrolled: 3-line block ×44, first 2 shown]
	s_wait_loadcnt 0x0
	flat_store_b128 v[2:3], v[4:7]
	s_sendmsg sendmsg(MSG_DEALLOC_VGPRS)
	s_endpgm
	.section	.rodata,"a",@progbits
	.p2align	6, 0x0
	.amdhsa_kernel _ZN9rocsolver6v33100L18getri_kernel_smallILi45E19rocblas_complex_numIdEPKPS3_EEvT1_iilPiilS8_bb
		.amdhsa_group_segment_fixed_size 2472
		.amdhsa_private_segment_fixed_size 736
		.amdhsa_kernarg_size 60
		.amdhsa_user_sgpr_count 4
		.amdhsa_user_sgpr_dispatch_ptr 1
		.amdhsa_user_sgpr_queue_ptr 0
		.amdhsa_user_sgpr_kernarg_segment_ptr 1
		.amdhsa_user_sgpr_dispatch_id 0
		.amdhsa_user_sgpr_kernarg_preload_length 0
		.amdhsa_user_sgpr_kernarg_preload_offset 0
		.amdhsa_user_sgpr_private_segment_size 0
		.amdhsa_wavefront_size32 1
		.amdhsa_uses_dynamic_stack 0
		.amdhsa_enable_private_segment 1
		.amdhsa_system_sgpr_workgroup_id_x 1
		.amdhsa_system_sgpr_workgroup_id_y 0
		.amdhsa_system_sgpr_workgroup_id_z 0
		.amdhsa_system_sgpr_workgroup_info 0
		.amdhsa_system_vgpr_workitem_id 2
		.amdhsa_next_free_vgpr 172
		.amdhsa_next_free_sgpr 78
		.amdhsa_named_barrier_count 0
		.amdhsa_reserve_vcc 1
		.amdhsa_float_round_mode_32 0
		.amdhsa_float_round_mode_16_64 0
		.amdhsa_float_denorm_mode_32 3
		.amdhsa_float_denorm_mode_16_64 3
		.amdhsa_fp16_overflow 0
		.amdhsa_memory_ordered 1
		.amdhsa_forward_progress 1
		.amdhsa_inst_pref_size 255
		.amdhsa_round_robin_scheduling 0
		.amdhsa_exception_fp_ieee_invalid_op 0
		.amdhsa_exception_fp_denorm_src 0
		.amdhsa_exception_fp_ieee_div_zero 0
		.amdhsa_exception_fp_ieee_overflow 0
		.amdhsa_exception_fp_ieee_underflow 0
		.amdhsa_exception_fp_ieee_inexact 0
		.amdhsa_exception_int_div_zero 0
	.end_amdhsa_kernel
	.section	.text._ZN9rocsolver6v33100L18getri_kernel_smallILi45E19rocblas_complex_numIdEPKPS3_EEvT1_iilPiilS8_bb,"axG",@progbits,_ZN9rocsolver6v33100L18getri_kernel_smallILi45E19rocblas_complex_numIdEPKPS3_EEvT1_iilPiilS8_bb,comdat
.Lfunc_end108:
	.size	_ZN9rocsolver6v33100L18getri_kernel_smallILi45E19rocblas_complex_numIdEPKPS3_EEvT1_iilPiilS8_bb, .Lfunc_end108-_ZN9rocsolver6v33100L18getri_kernel_smallILi45E19rocblas_complex_numIdEPKPS3_EEvT1_iilPiilS8_bb
                                        ; -- End function
	.set _ZN9rocsolver6v33100L18getri_kernel_smallILi45E19rocblas_complex_numIdEPKPS3_EEvT1_iilPiilS8_bb.num_vgpr, 172
	.set _ZN9rocsolver6v33100L18getri_kernel_smallILi45E19rocblas_complex_numIdEPKPS3_EEvT1_iilPiilS8_bb.num_agpr, 0
	.set _ZN9rocsolver6v33100L18getri_kernel_smallILi45E19rocblas_complex_numIdEPKPS3_EEvT1_iilPiilS8_bb.numbered_sgpr, 78
	.set _ZN9rocsolver6v33100L18getri_kernel_smallILi45E19rocblas_complex_numIdEPKPS3_EEvT1_iilPiilS8_bb.num_named_barrier, 0
	.set _ZN9rocsolver6v33100L18getri_kernel_smallILi45E19rocblas_complex_numIdEPKPS3_EEvT1_iilPiilS8_bb.private_seg_size, 736
	.set _ZN9rocsolver6v33100L18getri_kernel_smallILi45E19rocblas_complex_numIdEPKPS3_EEvT1_iilPiilS8_bb.uses_vcc, 1
	.set _ZN9rocsolver6v33100L18getri_kernel_smallILi45E19rocblas_complex_numIdEPKPS3_EEvT1_iilPiilS8_bb.uses_flat_scratch, 1
	.set _ZN9rocsolver6v33100L18getri_kernel_smallILi45E19rocblas_complex_numIdEPKPS3_EEvT1_iilPiilS8_bb.has_dyn_sized_stack, 0
	.set _ZN9rocsolver6v33100L18getri_kernel_smallILi45E19rocblas_complex_numIdEPKPS3_EEvT1_iilPiilS8_bb.has_recursion, 0
	.set _ZN9rocsolver6v33100L18getri_kernel_smallILi45E19rocblas_complex_numIdEPKPS3_EEvT1_iilPiilS8_bb.has_indirect_call, 0
	.section	.AMDGPU.csdata,"",@progbits
; Kernel info:
; codeLenInByte = 79508
; TotalNumSgprs: 80
; NumVgprs: 172
; ScratchSize: 736
; MemoryBound: 0
; FloatMode: 240
; IeeeMode: 1
; LDSByteSize: 2472 bytes/workgroup (compile time only)
; SGPRBlocks: 0
; VGPRBlocks: 10
; NumSGPRsForWavesPerEU: 80
; NumVGPRsForWavesPerEU: 172
; NamedBarCnt: 0
; Occupancy: 5
; WaveLimiterHint : 1
; COMPUTE_PGM_RSRC2:SCRATCH_EN: 1
; COMPUTE_PGM_RSRC2:USER_SGPR: 4
; COMPUTE_PGM_RSRC2:TRAP_HANDLER: 0
; COMPUTE_PGM_RSRC2:TGID_X_EN: 1
; COMPUTE_PGM_RSRC2:TGID_Y_EN: 0
; COMPUTE_PGM_RSRC2:TGID_Z_EN: 0
; COMPUTE_PGM_RSRC2:TIDIG_COMP_CNT: 2
	.section	.text._ZN9rocsolver6v33100L18getri_kernel_smallILi46E19rocblas_complex_numIdEPKPS3_EEvT1_iilPiilS8_bb,"axG",@progbits,_ZN9rocsolver6v33100L18getri_kernel_smallILi46E19rocblas_complex_numIdEPKPS3_EEvT1_iilPiilS8_bb,comdat
	.globl	_ZN9rocsolver6v33100L18getri_kernel_smallILi46E19rocblas_complex_numIdEPKPS3_EEvT1_iilPiilS8_bb ; -- Begin function _ZN9rocsolver6v33100L18getri_kernel_smallILi46E19rocblas_complex_numIdEPKPS3_EEvT1_iilPiilS8_bb
	.p2align	8
	.type	_ZN9rocsolver6v33100L18getri_kernel_smallILi46E19rocblas_complex_numIdEPKPS3_EEvT1_iilPiilS8_bb,@function
_ZN9rocsolver6v33100L18getri_kernel_smallILi46E19rocblas_complex_numIdEPKPS3_EEvT1_iilPiilS8_bb: ; @_ZN9rocsolver6v33100L18getri_kernel_smallILi46E19rocblas_complex_numIdEPKPS3_EEvT1_iilPiilS8_bb
; %bb.0:
	v_and_b32_e32 v1, 0x3ff, v0
	s_mov_b32 s4, exec_lo
	s_delay_alu instid0(VALU_DEP_1)
	v_cmpx_gt_u32_e32 46, v1
	s_cbranch_execz .LBB109_198
; %bb.1:
	s_clause 0x1
	s_load_b32 s16, s[2:3], 0x38
	s_load_b64 s[8:9], s[2:3], 0x0
	s_getreg_b32 s6, hwreg(HW_REG_IB_STS2, 6, 4)
	s_wait_kmcnt 0x0
	s_bitcmp1_b32 s16, 8
	s_cselect_b32 s58, -1, 0
	s_bfe_u32 s4, ttmp6, 0x4000c
	s_and_b32 s5, ttmp6, 15
	s_add_co_i32 s4, s4, 1
	s_delay_alu instid0(SALU_CYCLE_1) | instskip(NEXT) | instid1(SALU_CYCLE_1)
	s_mul_i32 s4, ttmp9, s4
	s_add_co_i32 s5, s5, s4
	s_cmp_eq_u32 s6, 0
	s_cselect_b32 s10, ttmp9, s5
	s_load_b128 s[4:7], s[2:3], 0x28
	s_ashr_i32 s11, s10, 31
	s_delay_alu instid0(SALU_CYCLE_1) | instskip(NEXT) | instid1(SALU_CYCLE_1)
	s_lshl_b64 s[12:13], s[10:11], 3
	s_add_nc_u64 s[8:9], s[8:9], s[12:13]
	s_load_b64 s[14:15], s[8:9], 0x0
	s_wait_xcnt 0x0
	s_bfe_u32 s8, s16, 0x10008
	s_delay_alu instid0(SALU_CYCLE_1)
	s_cmp_eq_u32 s8, 0
                                        ; implicit-def: $sgpr8_sgpr9
	s_cbranch_scc1 .LBB109_3
; %bb.2:
	s_load_b96 s[16:18], s[2:3], 0x18
	s_wait_kmcnt 0x0
	s_mul_u64 s[4:5], s[4:5], s[10:11]
	s_delay_alu instid0(SALU_CYCLE_1) | instskip(SKIP_4) | instid1(SALU_CYCLE_1)
	s_lshl_b64 s[4:5], s[4:5], 2
	s_ashr_i32 s9, s18, 31
	s_mov_b32 s8, s18
	s_add_nc_u64 s[4:5], s[16:17], s[4:5]
	s_lshl_b64 s[8:9], s[8:9], 2
	s_add_nc_u64 s[8:9], s[4:5], s[8:9]
.LBB109_3:
	s_clause 0x1
	s_load_b64 s[12:13], s[2:3], 0x8
	s_load_b32 s59, s[2:3], 0x38
	v_dual_mov_b32 v15, 0 :: v_dual_lshlrev_b32 v14, 4, v1
	s_movk_i32 s60, 0x1b0
	s_movk_i32 s61, 0x1c0
	;; [unrolled: 1-line block ×16, first 2 shown]
	s_wait_kmcnt 0x0
	s_ashr_i32 s3, s12, 31
	s_mov_b32 s2, s12
	v_add3_u32 v36, s13, s13, v1
	s_lshl_b64 s[2:3], s[2:3], 4
	s_movk_i32 s76, 0x2b0
	s_add_nc_u64 s[4:5], s[14:15], s[2:3]
	s_ashr_i32 s3, s13, 31
	flat_load_b128 v[2:5], v1, s[4:5] scale_offset
	v_add_nc_u64_e32 v[32:33], s[4:5], v[14:15]
	s_mov_b32 s2, s13
	v_add_nc_u32_e32 v38, s13, v36
	s_movk_i32 s77, 0x2c0
	s_movk_i32 s78, 0x2d0
	s_mov_b32 s18, 16
	s_mov_b32 s16, 32
	v_lshl_add_u64 v[34:35], s[2:3], 4, v[32:33]
	v_add_nc_u32_e32 v40, s13, v38
	s_mov_b32 s14, 48
	s_mov_b32 s12, 64
	s_movk_i32 s57, 0x50
	s_movk_i32 s56, 0x60
	v_add_nc_u32_e32 v42, s13, v40
	s_movk_i32 s55, 0x70
	s_movk_i32 s54, 0x80
	s_movk_i32 s53, 0x90
	s_movk_i32 s52, 0xa0
	v_add_nc_u32_e32 v44, s13, v42
	s_movk_i32 s51, 0xb0
	s_movk_i32 s50, 0xc0
	;; [unrolled: 5-line block ×5, first 2 shown]
	s_movk_i32 s37, 0x190
	s_movk_i32 s36, 0x1a0
	v_add_nc_u32_e32 v52, s13, v50
	s_mov_b32 s35, s60
	s_mov_b32 s34, s61
	s_mov_b32 s33, s62
	s_mov_b32 s31, s63
	v_add_nc_u32_e32 v54, s13, v52
	s_mov_b32 s30, s64
	s_mov_b32 s29, s65
	s_mov_b32 s28, s66
	s_mov_b32 s27, s67
	;; [unrolled: 5-line block ×4, first 2 shown]
	v_add_nc_u32_e32 v60, s13, v58
	s_mov_b32 s17, s76
	s_mov_b32 s15, s77
	s_bitcmp0_b32 s59, 0
	s_mov_b32 s3, -1
	v_add_nc_u32_e32 v64, s13, v60
	s_delay_alu instid0(VALU_DEP_1) | instskip(NEXT) | instid1(VALU_DEP_1)
	v_add_nc_u32_e32 v62, s13, v64
	v_add_nc_u32_e32 v66, s13, v62
	s_delay_alu instid0(VALU_DEP_1) | instskip(NEXT) | instid1(VALU_DEP_1)
	v_add_nc_u32_e32 v68, s13, v66
	;; [unrolled: 3-line block ×15, first 2 shown]
	v_add_nc_u32_e32 v122, s13, v120
	s_mov_b32 s13, s78
	s_wait_loadcnt_dscnt 0x0
	scratch_store_b128 off, v[2:5], off
	flat_load_b128 v[2:5], v[34:35]
	s_wait_loadcnt_dscnt 0x0
	scratch_store_b128 off, v[2:5], off offset:16
	flat_load_b128 v[2:5], v36, s[4:5] scale_offset
	s_wait_loadcnt_dscnt 0x0
	scratch_store_b128 off, v[2:5], off offset:32
	flat_load_b128 v[2:5], v38, s[4:5] scale_offset
	;; [unrolled: 3-line block ×44, first 2 shown]
	s_wait_loadcnt_dscnt 0x0
	scratch_store_b128 off, v[2:5], off offset:720
	s_cbranch_scc1 .LBB109_196
; %bb.4:
	v_cmp_eq_u32_e64 s2, 0, v1
	s_wait_xcnt 0x0
	s_and_saveexec_b32 s3, s2
; %bb.5:
	v_mov_b32_e32 v2, 0
	ds_store_b32 v2, v2 offset:1472
; %bb.6:
	s_or_b32 exec_lo, exec_lo, s3
	s_wait_storecnt_dscnt 0x0
	s_barrier_signal -1
	s_barrier_wait -1
	scratch_load_b128 v[2:5], v1, off scale_offset
	s_wait_loadcnt 0x0
	v_cmp_eq_f64_e32 vcc_lo, 0, v[2:3]
	v_cmp_eq_f64_e64 s3, 0, v[4:5]
	s_and_b32 s3, vcc_lo, s3
	s_delay_alu instid0(SALU_CYCLE_1)
	s_and_saveexec_b32 s59, s3
	s_cbranch_execz .LBB109_10
; %bb.7:
	v_mov_b32_e32 v2, 0
	s_mov_b32 s60, 0
	ds_load_b32 v3, v2 offset:1472
	s_wait_dscnt 0x0
	v_readfirstlane_b32 s3, v3
	v_add_nc_u32_e32 v3, 1, v1
	s_cmp_eq_u32 s3, 0
	s_delay_alu instid0(VALU_DEP_1) | instskip(SKIP_1) | instid1(SALU_CYCLE_1)
	v_cmp_gt_i32_e32 vcc_lo, s3, v3
	s_cselect_b32 s61, -1, 0
	s_or_b32 s61, s61, vcc_lo
	s_delay_alu instid0(SALU_CYCLE_1)
	s_and_b32 exec_lo, exec_lo, s61
	s_cbranch_execz .LBB109_10
; %bb.8:
	v_mov_b32_e32 v4, s3
.LBB109_9:                              ; =>This Inner Loop Header: Depth=1
	ds_cmpstore_rtn_b32 v4, v2, v3, v4 offset:1472
	s_wait_dscnt 0x0
	v_cmp_ne_u32_e32 vcc_lo, 0, v4
	v_cmp_le_i32_e64 s3, v4, v3
	s_and_b32 s3, vcc_lo, s3
	s_delay_alu instid0(SALU_CYCLE_1) | instskip(NEXT) | instid1(SALU_CYCLE_1)
	s_and_b32 s3, exec_lo, s3
	s_or_b32 s60, s3, s60
	s_delay_alu instid0(SALU_CYCLE_1)
	s_and_not1_b32 exec_lo, exec_lo, s60
	s_cbranch_execnz .LBB109_9
.LBB109_10:
	s_or_b32 exec_lo, exec_lo, s59
	v_mov_b32_e32 v2, 0
	s_barrier_signal -1
	s_barrier_wait -1
	ds_load_b32 v3, v2 offset:1472
	s_and_saveexec_b32 s3, s2
	s_cbranch_execz .LBB109_12
; %bb.11:
	s_lshl_b64 s[60:61], s[10:11], 2
	s_delay_alu instid0(SALU_CYCLE_1)
	s_add_nc_u64 s[60:61], s[6:7], s[60:61]
	s_wait_dscnt 0x0
	global_store_b32 v2, v3, s[60:61]
.LBB109_12:
	s_wait_xcnt 0x0
	s_or_b32 exec_lo, exec_lo, s3
	s_wait_dscnt 0x0
	v_cmp_ne_u32_e32 vcc_lo, 0, v3
	s_mov_b32 s3, 0
	s_cbranch_vccnz .LBB109_196
; %bb.13:
	v_lshl_add_u32 v15, v1, 4, 0
                                        ; implicit-def: $vgpr6_vgpr7
                                        ; implicit-def: $vgpr10_vgpr11
	scratch_load_b128 v[2:5], v15, off
	s_wait_loadcnt 0x0
	v_cmp_ngt_f64_e64 s3, |v[2:3]|, |v[4:5]|
	s_wait_xcnt 0x0
	s_and_saveexec_b32 s59, s3
	s_delay_alu instid0(SALU_CYCLE_1)
	s_xor_b32 s3, exec_lo, s59
	s_cbranch_execz .LBB109_15
; %bb.14:
	v_div_scale_f64 v[6:7], null, v[4:5], v[4:5], v[2:3]
	v_div_scale_f64 v[12:13], vcc_lo, v[2:3], v[4:5], v[2:3]
	s_delay_alu instid0(VALU_DEP_2) | instskip(SKIP_1) | instid1(TRANS32_DEP_1)
	v_rcp_f64_e32 v[8:9], v[6:7]
	v_nop
	v_fma_f64 v[10:11], -v[6:7], v[8:9], 1.0
	s_delay_alu instid0(VALU_DEP_1) | instskip(NEXT) | instid1(VALU_DEP_1)
	v_fmac_f64_e32 v[8:9], v[8:9], v[10:11]
	v_fma_f64 v[10:11], -v[6:7], v[8:9], 1.0
	s_delay_alu instid0(VALU_DEP_1) | instskip(NEXT) | instid1(VALU_DEP_1)
	v_fmac_f64_e32 v[8:9], v[8:9], v[10:11]
	v_mul_f64_e32 v[10:11], v[12:13], v[8:9]
	s_delay_alu instid0(VALU_DEP_1) | instskip(NEXT) | instid1(VALU_DEP_1)
	v_fma_f64 v[6:7], -v[6:7], v[10:11], v[12:13]
	v_div_fmas_f64 v[6:7], v[6:7], v[8:9], v[10:11]
	s_delay_alu instid0(VALU_DEP_1) | instskip(NEXT) | instid1(VALU_DEP_1)
	v_div_fixup_f64 v[6:7], v[6:7], v[4:5], v[2:3]
	v_fmac_f64_e32 v[4:5], v[2:3], v[6:7]
	s_delay_alu instid0(VALU_DEP_1) | instskip(SKIP_1) | instid1(VALU_DEP_2)
	v_div_scale_f64 v[2:3], null, v[4:5], v[4:5], 1.0
	v_div_scale_f64 v[12:13], vcc_lo, 1.0, v[4:5], 1.0
	v_rcp_f64_e32 v[8:9], v[2:3]
	v_nop
	s_delay_alu instid0(TRANS32_DEP_1) | instskip(NEXT) | instid1(VALU_DEP_1)
	v_fma_f64 v[10:11], -v[2:3], v[8:9], 1.0
	v_fmac_f64_e32 v[8:9], v[8:9], v[10:11]
	s_delay_alu instid0(VALU_DEP_1) | instskip(NEXT) | instid1(VALU_DEP_1)
	v_fma_f64 v[10:11], -v[2:3], v[8:9], 1.0
	v_fmac_f64_e32 v[8:9], v[8:9], v[10:11]
	s_delay_alu instid0(VALU_DEP_1) | instskip(NEXT) | instid1(VALU_DEP_1)
	v_mul_f64_e32 v[10:11], v[12:13], v[8:9]
	v_fma_f64 v[2:3], -v[2:3], v[10:11], v[12:13]
	s_delay_alu instid0(VALU_DEP_1) | instskip(NEXT) | instid1(VALU_DEP_1)
	v_div_fmas_f64 v[2:3], v[2:3], v[8:9], v[10:11]
	v_div_fixup_f64 v[8:9], v[2:3], v[4:5], 1.0
                                        ; implicit-def: $vgpr2_vgpr3
	s_delay_alu instid0(VALU_DEP_1) | instskip(SKIP_1) | instid1(VALU_DEP_2)
	v_mul_f64_e32 v[6:7], v[6:7], v[8:9]
	v_xor_b32_e32 v9, 0x80000000, v9
	v_xor_b32_e32 v11, 0x80000000, v7
	s_delay_alu instid0(VALU_DEP_3)
	v_mov_b32_e32 v10, v6
.LBB109_15:
	s_and_not1_saveexec_b32 s3, s3
	s_cbranch_execz .LBB109_17
; %bb.16:
	v_div_scale_f64 v[6:7], null, v[2:3], v[2:3], v[4:5]
	v_div_scale_f64 v[12:13], vcc_lo, v[4:5], v[2:3], v[4:5]
	s_delay_alu instid0(VALU_DEP_2) | instskip(SKIP_1) | instid1(TRANS32_DEP_1)
	v_rcp_f64_e32 v[8:9], v[6:7]
	v_nop
	v_fma_f64 v[10:11], -v[6:7], v[8:9], 1.0
	s_delay_alu instid0(VALU_DEP_1) | instskip(NEXT) | instid1(VALU_DEP_1)
	v_fmac_f64_e32 v[8:9], v[8:9], v[10:11]
	v_fma_f64 v[10:11], -v[6:7], v[8:9], 1.0
	s_delay_alu instid0(VALU_DEP_1) | instskip(NEXT) | instid1(VALU_DEP_1)
	v_fmac_f64_e32 v[8:9], v[8:9], v[10:11]
	v_mul_f64_e32 v[10:11], v[12:13], v[8:9]
	s_delay_alu instid0(VALU_DEP_1) | instskip(NEXT) | instid1(VALU_DEP_1)
	v_fma_f64 v[6:7], -v[6:7], v[10:11], v[12:13]
	v_div_fmas_f64 v[6:7], v[6:7], v[8:9], v[10:11]
	s_delay_alu instid0(VALU_DEP_1) | instskip(NEXT) | instid1(VALU_DEP_1)
	v_div_fixup_f64 v[8:9], v[6:7], v[2:3], v[4:5]
	v_fmac_f64_e32 v[2:3], v[4:5], v[8:9]
	s_delay_alu instid0(VALU_DEP_1) | instskip(NEXT) | instid1(VALU_DEP_1)
	v_div_scale_f64 v[4:5], null, v[2:3], v[2:3], 1.0
	v_rcp_f64_e32 v[6:7], v[4:5]
	v_nop
	s_delay_alu instid0(TRANS32_DEP_1) | instskip(NEXT) | instid1(VALU_DEP_1)
	v_fma_f64 v[10:11], -v[4:5], v[6:7], 1.0
	v_fmac_f64_e32 v[6:7], v[6:7], v[10:11]
	s_delay_alu instid0(VALU_DEP_1) | instskip(NEXT) | instid1(VALU_DEP_1)
	v_fma_f64 v[10:11], -v[4:5], v[6:7], 1.0
	v_fmac_f64_e32 v[6:7], v[6:7], v[10:11]
	v_div_scale_f64 v[10:11], vcc_lo, 1.0, v[2:3], 1.0
	s_delay_alu instid0(VALU_DEP_1) | instskip(NEXT) | instid1(VALU_DEP_1)
	v_mul_f64_e32 v[12:13], v[10:11], v[6:7]
	v_fma_f64 v[4:5], -v[4:5], v[12:13], v[10:11]
	s_delay_alu instid0(VALU_DEP_1) | instskip(NEXT) | instid1(VALU_DEP_1)
	v_div_fmas_f64 v[4:5], v[4:5], v[6:7], v[12:13]
	v_div_fixup_f64 v[6:7], v[4:5], v[2:3], 1.0
	s_delay_alu instid0(VALU_DEP_1)
	v_mul_f64_e64 v[8:9], v[8:9], -v[6:7]
	v_xor_b32_e32 v11, 0x80000000, v7
	v_mov_b32_e32 v10, v6
.LBB109_17:
	s_or_b32 exec_lo, exec_lo, s3
	s_clause 0x1
	scratch_store_b128 v15, v[6:9], off
	scratch_load_b128 v[2:5], off, s18
	v_xor_b32_e32 v13, 0x80000000, v9
	v_mov_b32_e32 v12, v8
	s_wait_xcnt 0x1
	v_add_nc_u32_e32 v6, 0x2e0, v14
	ds_store_b128 v14, v[10:13]
	s_wait_loadcnt 0x0
	ds_store_b128 v14, v[2:5] offset:736
	s_wait_storecnt_dscnt 0x0
	s_barrier_signal -1
	s_barrier_wait -1
	s_wait_xcnt 0x0
	s_and_saveexec_b32 s3, s2
	s_cbranch_execz .LBB109_19
; %bb.18:
	scratch_load_b128 v[2:5], v15, off
	ds_load_b128 v[8:11], v6
	v_mov_b32_e32 v7, 0
	ds_load_b128 v[16:19], v7 offset:16
	s_wait_loadcnt_dscnt 0x1
	v_mul_f64_e32 v[12:13], v[8:9], v[4:5]
	v_mul_f64_e32 v[4:5], v[10:11], v[4:5]
	s_delay_alu instid0(VALU_DEP_2) | instskip(NEXT) | instid1(VALU_DEP_2)
	v_fmac_f64_e32 v[12:13], v[10:11], v[2:3]
	v_fma_f64 v[2:3], v[8:9], v[2:3], -v[4:5]
	s_delay_alu instid0(VALU_DEP_2) | instskip(NEXT) | instid1(VALU_DEP_2)
	v_add_f64_e32 v[8:9], 0, v[12:13]
	v_add_f64_e32 v[2:3], 0, v[2:3]
	s_wait_dscnt 0x0
	s_delay_alu instid0(VALU_DEP_2) | instskip(NEXT) | instid1(VALU_DEP_2)
	v_mul_f64_e32 v[10:11], v[8:9], v[18:19]
	v_mul_f64_e32 v[4:5], v[2:3], v[18:19]
	s_delay_alu instid0(VALU_DEP_2) | instskip(NEXT) | instid1(VALU_DEP_2)
	v_fma_f64 v[2:3], v[2:3], v[16:17], -v[10:11]
	v_fmac_f64_e32 v[4:5], v[8:9], v[16:17]
	scratch_store_b128 off, v[2:5], off offset:16
.LBB109_19:
	s_wait_xcnt 0x0
	s_or_b32 exec_lo, exec_lo, s3
	s_wait_storecnt 0x0
	s_barrier_signal -1
	s_barrier_wait -1
	scratch_load_b128 v[2:5], off, s16
	s_mov_b32 s3, exec_lo
	s_wait_loadcnt 0x0
	ds_store_b128 v6, v[2:5]
	s_wait_dscnt 0x0
	s_barrier_signal -1
	s_barrier_wait -1
	v_cmpx_gt_u32_e32 2, v1
	s_cbranch_execz .LBB109_23
; %bb.20:
	scratch_load_b128 v[2:5], v15, off
	ds_load_b128 v[8:11], v6
	s_wait_loadcnt_dscnt 0x0
	v_mul_f64_e32 v[12:13], v[10:11], v[4:5]
	v_mul_f64_e32 v[16:17], v[8:9], v[4:5]
	s_delay_alu instid0(VALU_DEP_2) | instskip(NEXT) | instid1(VALU_DEP_2)
	v_fma_f64 v[4:5], v[8:9], v[2:3], -v[12:13]
	v_fmac_f64_e32 v[16:17], v[10:11], v[2:3]
	s_delay_alu instid0(VALU_DEP_2) | instskip(NEXT) | instid1(VALU_DEP_2)
	v_add_f64_e32 v[4:5], 0, v[4:5]
	v_add_f64_e32 v[2:3], 0, v[16:17]
	s_and_saveexec_b32 s59, s2
	s_cbranch_execz .LBB109_22
; %bb.21:
	scratch_load_b128 v[8:11], off, off offset:16
	v_mov_b32_e32 v7, 0
	ds_load_b128 v[16:19], v7 offset:752
	s_wait_loadcnt_dscnt 0x0
	v_mul_f64_e32 v[12:13], v[16:17], v[10:11]
	v_mul_f64_e32 v[10:11], v[18:19], v[10:11]
	s_delay_alu instid0(VALU_DEP_2) | instskip(NEXT) | instid1(VALU_DEP_2)
	v_fmac_f64_e32 v[12:13], v[18:19], v[8:9]
	v_fma_f64 v[8:9], v[16:17], v[8:9], -v[10:11]
	s_delay_alu instid0(VALU_DEP_2) | instskip(NEXT) | instid1(VALU_DEP_2)
	v_add_f64_e32 v[2:3], v[2:3], v[12:13]
	v_add_f64_e32 v[4:5], v[4:5], v[8:9]
.LBB109_22:
	s_or_b32 exec_lo, exec_lo, s59
	v_mov_b32_e32 v7, 0
	ds_load_b128 v[8:11], v7 offset:32
	s_wait_dscnt 0x0
	v_mul_f64_e32 v[16:17], v[2:3], v[10:11]
	v_mul_f64_e32 v[12:13], v[4:5], v[10:11]
	s_delay_alu instid0(VALU_DEP_2) | instskip(NEXT) | instid1(VALU_DEP_2)
	v_fma_f64 v[10:11], v[4:5], v[8:9], -v[16:17]
	v_fmac_f64_e32 v[12:13], v[2:3], v[8:9]
	scratch_store_b128 off, v[10:13], off offset:32
.LBB109_23:
	s_wait_xcnt 0x0
	s_or_b32 exec_lo, exec_lo, s3
	s_wait_storecnt 0x0
	s_barrier_signal -1
	s_barrier_wait -1
	scratch_load_b128 v[2:5], off, s14
	v_add_nc_u32_e32 v7, -1, v1
	s_mov_b32 s2, exec_lo
	s_wait_loadcnt 0x0
	ds_store_b128 v6, v[2:5]
	s_wait_dscnt 0x0
	s_barrier_signal -1
	s_barrier_wait -1
	v_cmpx_gt_u32_e32 3, v1
	s_cbranch_execz .LBB109_27
; %bb.24:
	v_dual_mov_b32 v10, v14 :: v_dual_add_nc_u32 v8, -1, v1
	v_mov_b64_e32 v[2:3], 0
	v_mov_b64_e32 v[4:5], 0
	v_add_nc_u32_e32 v9, 0x2e0, v14
	s_delay_alu instid0(VALU_DEP_4)
	v_or_b32_e32 v10, 8, v10
	s_mov_b32 s3, 0
.LBB109_25:                             ; =>This Inner Loop Header: Depth=1
	scratch_load_b128 v[16:19], v10, off offset:-8
	ds_load_b128 v[20:23], v9
	v_dual_add_nc_u32 v8, 1, v8 :: v_dual_add_nc_u32 v9, 16, v9
	s_wait_xcnt 0x0
	v_add_nc_u32_e32 v10, 16, v10
	s_delay_alu instid0(VALU_DEP_2) | instskip(SKIP_4) | instid1(VALU_DEP_2)
	v_cmp_lt_u32_e32 vcc_lo, 1, v8
	s_or_b32 s3, vcc_lo, s3
	s_wait_loadcnt_dscnt 0x0
	v_mul_f64_e32 v[12:13], v[22:23], v[18:19]
	v_mul_f64_e32 v[18:19], v[20:21], v[18:19]
	v_fma_f64 v[12:13], v[20:21], v[16:17], -v[12:13]
	s_delay_alu instid0(VALU_DEP_2) | instskip(NEXT) | instid1(VALU_DEP_2)
	v_fmac_f64_e32 v[18:19], v[22:23], v[16:17]
	v_add_f64_e32 v[4:5], v[4:5], v[12:13]
	s_delay_alu instid0(VALU_DEP_2)
	v_add_f64_e32 v[2:3], v[2:3], v[18:19]
	s_and_not1_b32 exec_lo, exec_lo, s3
	s_cbranch_execnz .LBB109_25
; %bb.26:
	s_or_b32 exec_lo, exec_lo, s3
	v_mov_b32_e32 v8, 0
	ds_load_b128 v[8:11], v8 offset:48
	s_wait_dscnt 0x0
	v_mul_f64_e32 v[16:17], v[2:3], v[10:11]
	v_mul_f64_e32 v[12:13], v[4:5], v[10:11]
	s_delay_alu instid0(VALU_DEP_2) | instskip(NEXT) | instid1(VALU_DEP_2)
	v_fma_f64 v[10:11], v[4:5], v[8:9], -v[16:17]
	v_fmac_f64_e32 v[12:13], v[2:3], v[8:9]
	scratch_store_b128 off, v[10:13], off offset:48
.LBB109_27:
	s_wait_xcnt 0x0
	s_or_b32 exec_lo, exec_lo, s2
	s_wait_storecnt 0x0
	s_barrier_signal -1
	s_barrier_wait -1
	scratch_load_b128 v[2:5], off, s12
	s_mov_b32 s2, exec_lo
	s_wait_loadcnt 0x0
	ds_store_b128 v6, v[2:5]
	s_wait_dscnt 0x0
	s_barrier_signal -1
	s_barrier_wait -1
	v_cmpx_gt_u32_e32 4, v1
	s_cbranch_execz .LBB109_31
; %bb.28:
	v_dual_mov_b32 v10, v14 :: v_dual_add_nc_u32 v8, -1, v1
	v_mov_b64_e32 v[2:3], 0
	v_mov_b64_e32 v[4:5], 0
	v_add_nc_u32_e32 v9, 0x2e0, v14
	s_delay_alu instid0(VALU_DEP_4)
	v_or_b32_e32 v10, 8, v10
	s_mov_b32 s3, 0
.LBB109_29:                             ; =>This Inner Loop Header: Depth=1
	scratch_load_b128 v[16:19], v10, off offset:-8
	ds_load_b128 v[20:23], v9
	v_dual_add_nc_u32 v8, 1, v8 :: v_dual_add_nc_u32 v9, 16, v9
	s_wait_xcnt 0x0
	v_add_nc_u32_e32 v10, 16, v10
	s_delay_alu instid0(VALU_DEP_2) | instskip(SKIP_4) | instid1(VALU_DEP_2)
	v_cmp_lt_u32_e32 vcc_lo, 2, v8
	s_or_b32 s3, vcc_lo, s3
	s_wait_loadcnt_dscnt 0x0
	v_mul_f64_e32 v[12:13], v[22:23], v[18:19]
	v_mul_f64_e32 v[18:19], v[20:21], v[18:19]
	v_fma_f64 v[12:13], v[20:21], v[16:17], -v[12:13]
	s_delay_alu instid0(VALU_DEP_2) | instskip(NEXT) | instid1(VALU_DEP_2)
	v_fmac_f64_e32 v[18:19], v[22:23], v[16:17]
	v_add_f64_e32 v[4:5], v[4:5], v[12:13]
	s_delay_alu instid0(VALU_DEP_2)
	v_add_f64_e32 v[2:3], v[2:3], v[18:19]
	s_and_not1_b32 exec_lo, exec_lo, s3
	s_cbranch_execnz .LBB109_29
; %bb.30:
	s_or_b32 exec_lo, exec_lo, s3
	v_mov_b32_e32 v8, 0
	ds_load_b128 v[8:11], v8 offset:64
	s_wait_dscnt 0x0
	v_mul_f64_e32 v[16:17], v[2:3], v[10:11]
	v_mul_f64_e32 v[12:13], v[4:5], v[10:11]
	s_delay_alu instid0(VALU_DEP_2) | instskip(NEXT) | instid1(VALU_DEP_2)
	v_fma_f64 v[10:11], v[4:5], v[8:9], -v[16:17]
	v_fmac_f64_e32 v[12:13], v[2:3], v[8:9]
	scratch_store_b128 off, v[10:13], off offset:64
.LBB109_31:
	s_wait_xcnt 0x0
	s_or_b32 exec_lo, exec_lo, s2
	s_wait_storecnt 0x0
	s_barrier_signal -1
	s_barrier_wait -1
	scratch_load_b128 v[2:5], off, s57
	;; [unrolled: 54-line block ×19, first 2 shown]
	s_mov_b32 s2, exec_lo
	s_wait_loadcnt 0x0
	ds_store_b128 v6, v[2:5]
	s_wait_dscnt 0x0
	s_barrier_signal -1
	s_barrier_wait -1
	v_cmpx_gt_u32_e32 22, v1
	s_cbranch_execz .LBB109_103
; %bb.100:
	v_dual_mov_b32 v10, v14 :: v_dual_add_nc_u32 v8, -1, v1
	v_mov_b64_e32 v[2:3], 0
	v_mov_b64_e32 v[4:5], 0
	v_add_nc_u32_e32 v9, 0x2e0, v14
	s_delay_alu instid0(VALU_DEP_4)
	v_or_b32_e32 v10, 8, v10
	s_mov_b32 s3, 0
.LBB109_101:                            ; =>This Inner Loop Header: Depth=1
	scratch_load_b128 v[16:19], v10, off offset:-8
	ds_load_b128 v[20:23], v9
	v_dual_add_nc_u32 v8, 1, v8 :: v_dual_add_nc_u32 v9, 16, v9
	s_wait_xcnt 0x0
	v_add_nc_u32_e32 v10, 16, v10
	s_delay_alu instid0(VALU_DEP_2) | instskip(SKIP_4) | instid1(VALU_DEP_2)
	v_cmp_lt_u32_e32 vcc_lo, 20, v8
	s_or_b32 s3, vcc_lo, s3
	s_wait_loadcnt_dscnt 0x0
	v_mul_f64_e32 v[12:13], v[22:23], v[18:19]
	v_mul_f64_e32 v[18:19], v[20:21], v[18:19]
	v_fma_f64 v[12:13], v[20:21], v[16:17], -v[12:13]
	s_delay_alu instid0(VALU_DEP_2) | instskip(NEXT) | instid1(VALU_DEP_2)
	v_fmac_f64_e32 v[18:19], v[22:23], v[16:17]
	v_add_f64_e32 v[4:5], v[4:5], v[12:13]
	s_delay_alu instid0(VALU_DEP_2)
	v_add_f64_e32 v[2:3], v[2:3], v[18:19]
	s_and_not1_b32 exec_lo, exec_lo, s3
	s_cbranch_execnz .LBB109_101
; %bb.102:
	s_or_b32 exec_lo, exec_lo, s3
	v_mov_b32_e32 v8, 0
	ds_load_b128 v[8:11], v8 offset:352
	s_wait_dscnt 0x0
	v_mul_f64_e32 v[16:17], v[2:3], v[10:11]
	v_mul_f64_e32 v[12:13], v[4:5], v[10:11]
	s_delay_alu instid0(VALU_DEP_2) | instskip(NEXT) | instid1(VALU_DEP_2)
	v_fma_f64 v[10:11], v[4:5], v[8:9], -v[16:17]
	v_fmac_f64_e32 v[12:13], v[2:3], v[8:9]
	scratch_store_b128 off, v[10:13], off offset:352
.LBB109_103:
	s_wait_xcnt 0x0
	s_or_b32 exec_lo, exec_lo, s2
	s_wait_storecnt 0x0
	s_barrier_signal -1
	s_barrier_wait -1
	scratch_load_b128 v[2:5], off, s39
	s_mov_b32 s2, exec_lo
	s_wait_loadcnt 0x0
	ds_store_b128 v6, v[2:5]
	s_wait_dscnt 0x0
	s_barrier_signal -1
	s_barrier_wait -1
	v_cmpx_gt_u32_e32 23, v1
	s_cbranch_execz .LBB109_107
; %bb.104:
	v_dual_mov_b32 v10, v14 :: v_dual_add_nc_u32 v8, -1, v1
	v_mov_b64_e32 v[2:3], 0
	v_mov_b64_e32 v[4:5], 0
	v_add_nc_u32_e32 v9, 0x2e0, v14
	s_delay_alu instid0(VALU_DEP_4)
	v_or_b32_e32 v10, 8, v10
	s_mov_b32 s3, 0
.LBB109_105:                            ; =>This Inner Loop Header: Depth=1
	scratch_load_b128 v[16:19], v10, off offset:-8
	ds_load_b128 v[20:23], v9
	v_dual_add_nc_u32 v8, 1, v8 :: v_dual_add_nc_u32 v9, 16, v9
	s_wait_xcnt 0x0
	v_add_nc_u32_e32 v10, 16, v10
	s_delay_alu instid0(VALU_DEP_2) | instskip(SKIP_4) | instid1(VALU_DEP_2)
	v_cmp_lt_u32_e32 vcc_lo, 21, v8
	s_or_b32 s3, vcc_lo, s3
	s_wait_loadcnt_dscnt 0x0
	v_mul_f64_e32 v[12:13], v[22:23], v[18:19]
	v_mul_f64_e32 v[18:19], v[20:21], v[18:19]
	v_fma_f64 v[12:13], v[20:21], v[16:17], -v[12:13]
	s_delay_alu instid0(VALU_DEP_2) | instskip(NEXT) | instid1(VALU_DEP_2)
	v_fmac_f64_e32 v[18:19], v[22:23], v[16:17]
	v_add_f64_e32 v[4:5], v[4:5], v[12:13]
	s_delay_alu instid0(VALU_DEP_2)
	v_add_f64_e32 v[2:3], v[2:3], v[18:19]
	s_and_not1_b32 exec_lo, exec_lo, s3
	s_cbranch_execnz .LBB109_105
; %bb.106:
	s_or_b32 exec_lo, exec_lo, s3
	v_mov_b32_e32 v8, 0
	ds_load_b128 v[8:11], v8 offset:368
	s_wait_dscnt 0x0
	v_mul_f64_e32 v[16:17], v[2:3], v[10:11]
	v_mul_f64_e32 v[12:13], v[4:5], v[10:11]
	s_delay_alu instid0(VALU_DEP_2) | instskip(NEXT) | instid1(VALU_DEP_2)
	v_fma_f64 v[10:11], v[4:5], v[8:9], -v[16:17]
	v_fmac_f64_e32 v[12:13], v[2:3], v[8:9]
	scratch_store_b128 off, v[10:13], off offset:368
.LBB109_107:
	s_wait_xcnt 0x0
	s_or_b32 exec_lo, exec_lo, s2
	s_wait_storecnt 0x0
	s_barrier_signal -1
	s_barrier_wait -1
	scratch_load_b128 v[2:5], off, s38
	;; [unrolled: 54-line block ×23, first 2 shown]
	s_mov_b32 s2, exec_lo
	s_wait_loadcnt 0x0
	ds_store_b128 v6, v[2:5]
	s_wait_dscnt 0x0
	s_barrier_signal -1
	s_barrier_wait -1
	v_cmpx_ne_u32_e32 45, v1
	s_cbranch_execz .LBB109_195
; %bb.192:
	v_mov_b32_e32 v8, v14
	v_mov_b64_e32 v[2:3], 0
	v_mov_b64_e32 v[4:5], 0
	s_mov_b32 s3, 0
	s_delay_alu instid0(VALU_DEP_3)
	v_or_b32_e32 v8, 8, v8
.LBB109_193:                            ; =>This Inner Loop Header: Depth=1
	scratch_load_b128 v[10:13], v8, off offset:-8
	ds_load_b128 v[14:17], v6
	v_dual_add_nc_u32 v7, 1, v7 :: v_dual_add_nc_u32 v6, 16, v6
	s_wait_xcnt 0x0
	v_add_nc_u32_e32 v8, 16, v8
	s_delay_alu instid0(VALU_DEP_2) | instskip(SKIP_4) | instid1(VALU_DEP_2)
	v_cmp_lt_u32_e32 vcc_lo, 43, v7
	s_or_b32 s3, vcc_lo, s3
	s_wait_loadcnt_dscnt 0x0
	v_mul_f64_e32 v[18:19], v[16:17], v[12:13]
	v_mul_f64_e32 v[12:13], v[14:15], v[12:13]
	v_fma_f64 v[14:15], v[14:15], v[10:11], -v[18:19]
	s_delay_alu instid0(VALU_DEP_2) | instskip(NEXT) | instid1(VALU_DEP_2)
	v_fmac_f64_e32 v[12:13], v[16:17], v[10:11]
	v_add_f64_e32 v[4:5], v[4:5], v[14:15]
	s_delay_alu instid0(VALU_DEP_2)
	v_add_f64_e32 v[2:3], v[2:3], v[12:13]
	s_and_not1_b32 exec_lo, exec_lo, s3
	s_cbranch_execnz .LBB109_193
; %bb.194:
	s_or_b32 exec_lo, exec_lo, s3
	v_mov_b32_e32 v6, 0
	ds_load_b128 v[6:9], v6 offset:720
	s_wait_dscnt 0x0
	v_mul_f64_e32 v[12:13], v[2:3], v[8:9]
	v_mul_f64_e32 v[10:11], v[4:5], v[8:9]
	s_delay_alu instid0(VALU_DEP_2) | instskip(NEXT) | instid1(VALU_DEP_2)
	v_fma_f64 v[8:9], v[4:5], v[6:7], -v[12:13]
	v_fmac_f64_e32 v[10:11], v[2:3], v[6:7]
	scratch_store_b128 off, v[8:11], off offset:720
.LBB109_195:
	s_wait_xcnt 0x0
	s_or_b32 exec_lo, exec_lo, s2
	s_mov_b32 s3, -1
	s_wait_storecnt 0x0
	s_barrier_signal -1
	s_barrier_wait -1
.LBB109_196:
	s_and_b32 vcc_lo, exec_lo, s3
	s_cbranch_vccz .LBB109_198
; %bb.197:
	s_wait_xcnt 0x0
	v_mov_b32_e32 v2, 0
	s_lshl_b64 s[2:3], s[10:11], 2
	s_delay_alu instid0(SALU_CYCLE_1)
	s_add_nc_u64 s[2:3], s[6:7], s[2:3]
	global_load_b32 v2, v2, s[2:3]
	s_wait_loadcnt 0x0
	v_cmp_ne_u32_e32 vcc_lo, 0, v2
	s_cbranch_vccz .LBB109_199
.LBB109_198:
	s_sendmsg sendmsg(MSG_DEALLOC_VGPRS)
	s_endpgm
.LBB109_199:
	v_lshl_add_u32 v124, v1, 4, 0x2e0
	s_wait_xcnt 0x0
	s_mov_b32 s2, exec_lo
	v_cmpx_eq_u32_e32 45, v1
	s_cbranch_execz .LBB109_201
; %bb.200:
	scratch_load_b128 v[2:5], off, s15
	v_mov_b32_e32 v6, 0
	s_delay_alu instid0(VALU_DEP_1)
	v_dual_mov_b32 v7, v6 :: v_dual_mov_b32 v8, v6
	v_mov_b32_e32 v9, v6
	scratch_store_b128 off, v[6:9], off offset:704
	s_wait_loadcnt 0x0
	ds_store_b128 v124, v[2:5]
.LBB109_201:
	s_wait_xcnt 0x0
	s_or_b32 exec_lo, exec_lo, s2
	s_wait_storecnt_dscnt 0x0
	s_barrier_signal -1
	s_barrier_wait -1
	s_clause 0x1
	scratch_load_b128 v[4:7], off, off offset:720
	scratch_load_b128 v[8:11], off, off offset:704
	v_mov_b32_e32 v2, 0
	s_mov_b32 s2, exec_lo
	ds_load_b128 v[12:15], v2 offset:1456
	s_wait_loadcnt_dscnt 0x100
	v_mul_f64_e32 v[16:17], v[14:15], v[6:7]
	v_mul_f64_e32 v[6:7], v[12:13], v[6:7]
	s_delay_alu instid0(VALU_DEP_2) | instskip(NEXT) | instid1(VALU_DEP_2)
	v_fma_f64 v[12:13], v[12:13], v[4:5], -v[16:17]
	v_fmac_f64_e32 v[6:7], v[14:15], v[4:5]
	s_delay_alu instid0(VALU_DEP_2) | instskip(NEXT) | instid1(VALU_DEP_2)
	v_add_f64_e32 v[4:5], 0, v[12:13]
	v_add_f64_e32 v[6:7], 0, v[6:7]
	s_wait_loadcnt 0x0
	s_delay_alu instid0(VALU_DEP_2) | instskip(NEXT) | instid1(VALU_DEP_2)
	v_add_f64_e64 v[4:5], v[8:9], -v[4:5]
	v_add_f64_e64 v[6:7], v[10:11], -v[6:7]
	scratch_store_b128 off, v[4:7], off offset:704
	s_wait_xcnt 0x0
	v_cmpx_lt_u32_e32 43, v1
	s_cbranch_execz .LBB109_203
; %bb.202:
	scratch_load_b128 v[6:9], off, s17
	v_dual_mov_b32 v3, v2 :: v_dual_mov_b32 v4, v2
	v_mov_b32_e32 v5, v2
	scratch_store_b128 off, v[2:5], off offset:688
	s_wait_loadcnt 0x0
	ds_store_b128 v124, v[6:9]
.LBB109_203:
	s_wait_xcnt 0x0
	s_or_b32 exec_lo, exec_lo, s2
	s_wait_storecnt_dscnt 0x0
	s_barrier_signal -1
	s_barrier_wait -1
	s_clause 0x2
	scratch_load_b128 v[4:7], off, off offset:704
	scratch_load_b128 v[8:11], off, off offset:720
	;; [unrolled: 1-line block ×3, first 2 shown]
	ds_load_b128 v[16:19], v2 offset:1440
	ds_load_b128 v[20:23], v2 offset:1456
	s_mov_b32 s2, exec_lo
	s_wait_loadcnt_dscnt 0x201
	v_mul_f64_e32 v[2:3], v[18:19], v[6:7]
	v_mul_f64_e32 v[6:7], v[16:17], v[6:7]
	s_wait_loadcnt_dscnt 0x100
	v_mul_f64_e32 v[24:25], v[20:21], v[10:11]
	v_mul_f64_e32 v[10:11], v[22:23], v[10:11]
	s_delay_alu instid0(VALU_DEP_4) | instskip(NEXT) | instid1(VALU_DEP_4)
	v_fma_f64 v[2:3], v[16:17], v[4:5], -v[2:3]
	v_fmac_f64_e32 v[6:7], v[18:19], v[4:5]
	s_delay_alu instid0(VALU_DEP_4) | instskip(NEXT) | instid1(VALU_DEP_4)
	v_fmac_f64_e32 v[24:25], v[22:23], v[8:9]
	v_fma_f64 v[4:5], v[20:21], v[8:9], -v[10:11]
	s_delay_alu instid0(VALU_DEP_4) | instskip(NEXT) | instid1(VALU_DEP_4)
	v_add_f64_e32 v[2:3], 0, v[2:3]
	v_add_f64_e32 v[6:7], 0, v[6:7]
	s_delay_alu instid0(VALU_DEP_2) | instskip(NEXT) | instid1(VALU_DEP_2)
	v_add_f64_e32 v[2:3], v[2:3], v[4:5]
	v_add_f64_e32 v[4:5], v[6:7], v[24:25]
	s_wait_loadcnt 0x0
	s_delay_alu instid0(VALU_DEP_2) | instskip(NEXT) | instid1(VALU_DEP_2)
	v_add_f64_e64 v[2:3], v[12:13], -v[2:3]
	v_add_f64_e64 v[4:5], v[14:15], -v[4:5]
	scratch_store_b128 off, v[2:5], off offset:688
	s_wait_xcnt 0x0
	v_cmpx_lt_u32_e32 42, v1
	s_cbranch_execz .LBB109_205
; %bb.204:
	scratch_load_b128 v[2:5], off, s19
	v_mov_b32_e32 v6, 0
	s_delay_alu instid0(VALU_DEP_1)
	v_dual_mov_b32 v7, v6 :: v_dual_mov_b32 v8, v6
	v_mov_b32_e32 v9, v6
	scratch_store_b128 off, v[6:9], off offset:672
	s_wait_loadcnt 0x0
	ds_store_b128 v124, v[2:5]
.LBB109_205:
	s_wait_xcnt 0x0
	s_or_b32 exec_lo, exec_lo, s2
	s_wait_storecnt_dscnt 0x0
	s_barrier_signal -1
	s_barrier_wait -1
	s_clause 0x3
	scratch_load_b128 v[4:7], off, off offset:688
	scratch_load_b128 v[8:11], off, off offset:704
	;; [unrolled: 1-line block ×4, first 2 shown]
	v_mov_b32_e32 v2, 0
	ds_load_b128 v[20:23], v2 offset:1424
	ds_load_b128 v[24:27], v2 offset:1440
	s_mov_b32 s2, exec_lo
	s_wait_loadcnt_dscnt 0x301
	v_mul_f64_e32 v[28:29], v[22:23], v[6:7]
	v_mul_f64_e32 v[30:31], v[20:21], v[6:7]
	s_wait_loadcnt_dscnt 0x200
	v_mul_f64_e32 v[126:127], v[24:25], v[10:11]
	v_mul_f64_e32 v[10:11], v[26:27], v[10:11]
	s_delay_alu instid0(VALU_DEP_4) | instskip(NEXT) | instid1(VALU_DEP_4)
	v_fma_f64 v[20:21], v[20:21], v[4:5], -v[28:29]
	v_fmac_f64_e32 v[30:31], v[22:23], v[4:5]
	ds_load_b128 v[4:7], v2 offset:1456
	v_fmac_f64_e32 v[126:127], v[26:27], v[8:9]
	v_fma_f64 v[8:9], v[24:25], v[8:9], -v[10:11]
	s_wait_loadcnt_dscnt 0x100
	v_mul_f64_e32 v[22:23], v[4:5], v[14:15]
	v_mul_f64_e32 v[14:15], v[6:7], v[14:15]
	v_add_f64_e32 v[10:11], 0, v[20:21]
	v_add_f64_e32 v[20:21], 0, v[30:31]
	s_delay_alu instid0(VALU_DEP_4) | instskip(NEXT) | instid1(VALU_DEP_4)
	v_fmac_f64_e32 v[22:23], v[6:7], v[12:13]
	v_fma_f64 v[4:5], v[4:5], v[12:13], -v[14:15]
	s_delay_alu instid0(VALU_DEP_4) | instskip(NEXT) | instid1(VALU_DEP_4)
	v_add_f64_e32 v[6:7], v[10:11], v[8:9]
	v_add_f64_e32 v[8:9], v[20:21], v[126:127]
	s_delay_alu instid0(VALU_DEP_2) | instskip(NEXT) | instid1(VALU_DEP_2)
	v_add_f64_e32 v[4:5], v[6:7], v[4:5]
	v_add_f64_e32 v[6:7], v[8:9], v[22:23]
	s_wait_loadcnt 0x0
	s_delay_alu instid0(VALU_DEP_2) | instskip(NEXT) | instid1(VALU_DEP_2)
	v_add_f64_e64 v[4:5], v[16:17], -v[4:5]
	v_add_f64_e64 v[6:7], v[18:19], -v[6:7]
	scratch_store_b128 off, v[4:7], off offset:672
	s_wait_xcnt 0x0
	v_cmpx_lt_u32_e32 41, v1
	s_cbranch_execz .LBB109_207
; %bb.206:
	scratch_load_b128 v[6:9], off, s20
	v_dual_mov_b32 v3, v2 :: v_dual_mov_b32 v4, v2
	v_mov_b32_e32 v5, v2
	scratch_store_b128 off, v[2:5], off offset:656
	s_wait_loadcnt 0x0
	ds_store_b128 v124, v[6:9]
.LBB109_207:
	s_wait_xcnt 0x0
	s_or_b32 exec_lo, exec_lo, s2
	s_wait_storecnt_dscnt 0x0
	s_barrier_signal -1
	s_barrier_wait -1
	s_clause 0x4
	scratch_load_b128 v[4:7], off, off offset:672
	scratch_load_b128 v[8:11], off, off offset:688
	;; [unrolled: 1-line block ×5, first 2 shown]
	ds_load_b128 v[24:27], v2 offset:1408
	ds_load_b128 v[28:31], v2 offset:1424
	s_mov_b32 s2, exec_lo
	s_wait_loadcnt_dscnt 0x401
	v_mul_f64_e32 v[126:127], v[26:27], v[6:7]
	v_mul_f64_e32 v[128:129], v[24:25], v[6:7]
	s_wait_loadcnt_dscnt 0x300
	v_mul_f64_e32 v[130:131], v[28:29], v[10:11]
	v_mul_f64_e32 v[10:11], v[30:31], v[10:11]
	s_delay_alu instid0(VALU_DEP_4) | instskip(NEXT) | instid1(VALU_DEP_4)
	v_fma_f64 v[126:127], v[24:25], v[4:5], -v[126:127]
	v_fmac_f64_e32 v[128:129], v[26:27], v[4:5]
	ds_load_b128 v[4:7], v2 offset:1440
	ds_load_b128 v[24:27], v2 offset:1456
	v_fmac_f64_e32 v[130:131], v[30:31], v[8:9]
	v_fma_f64 v[8:9], v[28:29], v[8:9], -v[10:11]
	s_wait_loadcnt_dscnt 0x201
	v_mul_f64_e32 v[2:3], v[4:5], v[14:15]
	v_mul_f64_e32 v[14:15], v[6:7], v[14:15]
	s_wait_loadcnt_dscnt 0x100
	v_mul_f64_e32 v[30:31], v[24:25], v[18:19]
	v_mul_f64_e32 v[18:19], v[26:27], v[18:19]
	v_add_f64_e32 v[10:11], 0, v[126:127]
	v_add_f64_e32 v[28:29], 0, v[128:129]
	v_fmac_f64_e32 v[2:3], v[6:7], v[12:13]
	v_fma_f64 v[4:5], v[4:5], v[12:13], -v[14:15]
	v_fmac_f64_e32 v[30:31], v[26:27], v[16:17]
	v_add_f64_e32 v[6:7], v[10:11], v[8:9]
	v_add_f64_e32 v[8:9], v[28:29], v[130:131]
	v_fma_f64 v[10:11], v[24:25], v[16:17], -v[18:19]
	s_delay_alu instid0(VALU_DEP_3) | instskip(NEXT) | instid1(VALU_DEP_3)
	v_add_f64_e32 v[4:5], v[6:7], v[4:5]
	v_add_f64_e32 v[2:3], v[8:9], v[2:3]
	s_delay_alu instid0(VALU_DEP_2) | instskip(NEXT) | instid1(VALU_DEP_2)
	v_add_f64_e32 v[4:5], v[4:5], v[10:11]
	v_add_f64_e32 v[6:7], v[2:3], v[30:31]
	s_wait_loadcnt 0x0
	s_delay_alu instid0(VALU_DEP_2) | instskip(NEXT) | instid1(VALU_DEP_2)
	v_add_f64_e64 v[2:3], v[20:21], -v[4:5]
	v_add_f64_e64 v[4:5], v[22:23], -v[6:7]
	scratch_store_b128 off, v[2:5], off offset:656
	s_wait_xcnt 0x0
	v_cmpx_lt_u32_e32 40, v1
	s_cbranch_execz .LBB109_209
; %bb.208:
	scratch_load_b128 v[2:5], off, s21
	v_mov_b32_e32 v6, 0
	s_delay_alu instid0(VALU_DEP_1)
	v_dual_mov_b32 v7, v6 :: v_dual_mov_b32 v8, v6
	v_mov_b32_e32 v9, v6
	scratch_store_b128 off, v[6:9], off offset:640
	s_wait_loadcnt 0x0
	ds_store_b128 v124, v[2:5]
.LBB109_209:
	s_wait_xcnt 0x0
	s_or_b32 exec_lo, exec_lo, s2
	s_wait_storecnt_dscnt 0x0
	s_barrier_signal -1
	s_barrier_wait -1
	s_clause 0x5
	scratch_load_b128 v[4:7], off, off offset:656
	scratch_load_b128 v[8:11], off, off offset:672
	;; [unrolled: 1-line block ×6, first 2 shown]
	v_mov_b32_e32 v2, 0
	ds_load_b128 v[28:31], v2 offset:1392
	ds_load_b128 v[126:129], v2 offset:1408
	s_mov_b32 s2, exec_lo
	s_wait_loadcnt_dscnt 0x501
	v_mul_f64_e32 v[130:131], v[30:31], v[6:7]
	v_mul_f64_e32 v[132:133], v[28:29], v[6:7]
	s_wait_loadcnt_dscnt 0x400
	v_mul_f64_e32 v[134:135], v[126:127], v[10:11]
	v_mul_f64_e32 v[10:11], v[128:129], v[10:11]
	s_delay_alu instid0(VALU_DEP_4) | instskip(NEXT) | instid1(VALU_DEP_4)
	v_fma_f64 v[130:131], v[28:29], v[4:5], -v[130:131]
	v_fmac_f64_e32 v[132:133], v[30:31], v[4:5]
	ds_load_b128 v[4:7], v2 offset:1424
	ds_load_b128 v[28:31], v2 offset:1440
	v_fmac_f64_e32 v[134:135], v[128:129], v[8:9]
	v_fma_f64 v[8:9], v[126:127], v[8:9], -v[10:11]
	s_wait_loadcnt_dscnt 0x301
	v_mul_f64_e32 v[136:137], v[4:5], v[14:15]
	v_mul_f64_e32 v[14:15], v[6:7], v[14:15]
	s_wait_loadcnt_dscnt 0x200
	v_mul_f64_e32 v[128:129], v[28:29], v[18:19]
	v_mul_f64_e32 v[18:19], v[30:31], v[18:19]
	v_add_f64_e32 v[10:11], 0, v[130:131]
	v_add_f64_e32 v[126:127], 0, v[132:133]
	v_fmac_f64_e32 v[136:137], v[6:7], v[12:13]
	v_fma_f64 v[12:13], v[4:5], v[12:13], -v[14:15]
	ds_load_b128 v[4:7], v2 offset:1456
	v_fmac_f64_e32 v[128:129], v[30:31], v[16:17]
	v_fma_f64 v[16:17], v[28:29], v[16:17], -v[18:19]
	v_add_f64_e32 v[8:9], v[10:11], v[8:9]
	v_add_f64_e32 v[10:11], v[126:127], v[134:135]
	s_wait_loadcnt_dscnt 0x100
	v_mul_f64_e32 v[14:15], v[4:5], v[22:23]
	v_mul_f64_e32 v[22:23], v[6:7], v[22:23]
	s_delay_alu instid0(VALU_DEP_4) | instskip(NEXT) | instid1(VALU_DEP_4)
	v_add_f64_e32 v[8:9], v[8:9], v[12:13]
	v_add_f64_e32 v[10:11], v[10:11], v[136:137]
	s_delay_alu instid0(VALU_DEP_4) | instskip(NEXT) | instid1(VALU_DEP_4)
	v_fmac_f64_e32 v[14:15], v[6:7], v[20:21]
	v_fma_f64 v[4:5], v[4:5], v[20:21], -v[22:23]
	s_delay_alu instid0(VALU_DEP_4) | instskip(NEXT) | instid1(VALU_DEP_4)
	v_add_f64_e32 v[6:7], v[8:9], v[16:17]
	v_add_f64_e32 v[8:9], v[10:11], v[128:129]
	s_delay_alu instid0(VALU_DEP_2) | instskip(NEXT) | instid1(VALU_DEP_2)
	v_add_f64_e32 v[4:5], v[6:7], v[4:5]
	v_add_f64_e32 v[6:7], v[8:9], v[14:15]
	s_wait_loadcnt 0x0
	s_delay_alu instid0(VALU_DEP_2) | instskip(NEXT) | instid1(VALU_DEP_2)
	v_add_f64_e64 v[4:5], v[24:25], -v[4:5]
	v_add_f64_e64 v[6:7], v[26:27], -v[6:7]
	scratch_store_b128 off, v[4:7], off offset:640
	s_wait_xcnt 0x0
	v_cmpx_lt_u32_e32 39, v1
	s_cbranch_execz .LBB109_211
; %bb.210:
	scratch_load_b128 v[6:9], off, s22
	v_dual_mov_b32 v3, v2 :: v_dual_mov_b32 v4, v2
	v_mov_b32_e32 v5, v2
	scratch_store_b128 off, v[2:5], off offset:624
	s_wait_loadcnt 0x0
	ds_store_b128 v124, v[6:9]
.LBB109_211:
	s_wait_xcnt 0x0
	s_or_b32 exec_lo, exec_lo, s2
	s_wait_storecnt_dscnt 0x0
	s_barrier_signal -1
	s_barrier_wait -1
	s_clause 0x6
	scratch_load_b128 v[4:7], off, off offset:640
	scratch_load_b128 v[8:11], off, off offset:656
	;; [unrolled: 1-line block ×7, first 2 shown]
	ds_load_b128 v[126:129], v2 offset:1376
	ds_load_b128 v[130:133], v2 offset:1392
	s_mov_b32 s2, exec_lo
	s_wait_loadcnt_dscnt 0x601
	v_mul_f64_e32 v[134:135], v[128:129], v[6:7]
	v_mul_f64_e32 v[136:137], v[126:127], v[6:7]
	s_wait_loadcnt_dscnt 0x500
	v_mul_f64_e32 v[138:139], v[130:131], v[10:11]
	v_mul_f64_e32 v[10:11], v[132:133], v[10:11]
	s_delay_alu instid0(VALU_DEP_4) | instskip(NEXT) | instid1(VALU_DEP_4)
	v_fma_f64 v[134:135], v[126:127], v[4:5], -v[134:135]
	v_fmac_f64_e32 v[136:137], v[128:129], v[4:5]
	ds_load_b128 v[4:7], v2 offset:1408
	ds_load_b128 v[126:129], v2 offset:1424
	v_fmac_f64_e32 v[138:139], v[132:133], v[8:9]
	v_fma_f64 v[8:9], v[130:131], v[8:9], -v[10:11]
	s_wait_loadcnt_dscnt 0x401
	v_mul_f64_e32 v[140:141], v[4:5], v[14:15]
	v_mul_f64_e32 v[14:15], v[6:7], v[14:15]
	s_wait_loadcnt_dscnt 0x300
	v_mul_f64_e32 v[132:133], v[126:127], v[18:19]
	v_mul_f64_e32 v[18:19], v[128:129], v[18:19]
	v_add_f64_e32 v[10:11], 0, v[134:135]
	v_add_f64_e32 v[130:131], 0, v[136:137]
	v_fmac_f64_e32 v[140:141], v[6:7], v[12:13]
	v_fma_f64 v[12:13], v[4:5], v[12:13], -v[14:15]
	v_fmac_f64_e32 v[132:133], v[128:129], v[16:17]
	v_fma_f64 v[16:17], v[126:127], v[16:17], -v[18:19]
	v_add_f64_e32 v[14:15], v[10:11], v[8:9]
	v_add_f64_e32 v[130:131], v[130:131], v[138:139]
	ds_load_b128 v[4:7], v2 offset:1440
	ds_load_b128 v[8:11], v2 offset:1456
	s_wait_loadcnt_dscnt 0x201
	v_mul_f64_e32 v[2:3], v[4:5], v[22:23]
	v_mul_f64_e32 v[22:23], v[6:7], v[22:23]
	s_wait_loadcnt_dscnt 0x100
	v_mul_f64_e32 v[18:19], v[8:9], v[26:27]
	v_mul_f64_e32 v[26:27], v[10:11], v[26:27]
	v_add_f64_e32 v[12:13], v[14:15], v[12:13]
	v_add_f64_e32 v[14:15], v[130:131], v[140:141]
	v_fmac_f64_e32 v[2:3], v[6:7], v[20:21]
	v_fma_f64 v[4:5], v[4:5], v[20:21], -v[22:23]
	v_fmac_f64_e32 v[18:19], v[10:11], v[24:25]
	v_fma_f64 v[8:9], v[8:9], v[24:25], -v[26:27]
	v_add_f64_e32 v[6:7], v[12:13], v[16:17]
	v_add_f64_e32 v[12:13], v[14:15], v[132:133]
	s_delay_alu instid0(VALU_DEP_2) | instskip(NEXT) | instid1(VALU_DEP_2)
	v_add_f64_e32 v[4:5], v[6:7], v[4:5]
	v_add_f64_e32 v[2:3], v[12:13], v[2:3]
	s_delay_alu instid0(VALU_DEP_2) | instskip(NEXT) | instid1(VALU_DEP_2)
	v_add_f64_e32 v[4:5], v[4:5], v[8:9]
	v_add_f64_e32 v[6:7], v[2:3], v[18:19]
	s_wait_loadcnt 0x0
	s_delay_alu instid0(VALU_DEP_2) | instskip(NEXT) | instid1(VALU_DEP_2)
	v_add_f64_e64 v[2:3], v[28:29], -v[4:5]
	v_add_f64_e64 v[4:5], v[30:31], -v[6:7]
	scratch_store_b128 off, v[2:5], off offset:624
	s_wait_xcnt 0x0
	v_cmpx_lt_u32_e32 38, v1
	s_cbranch_execz .LBB109_213
; %bb.212:
	scratch_load_b128 v[2:5], off, s23
	v_mov_b32_e32 v6, 0
	s_delay_alu instid0(VALU_DEP_1)
	v_dual_mov_b32 v7, v6 :: v_dual_mov_b32 v8, v6
	v_mov_b32_e32 v9, v6
	scratch_store_b128 off, v[6:9], off offset:608
	s_wait_loadcnt 0x0
	ds_store_b128 v124, v[2:5]
.LBB109_213:
	s_wait_xcnt 0x0
	s_or_b32 exec_lo, exec_lo, s2
	s_wait_storecnt_dscnt 0x0
	s_barrier_signal -1
	s_barrier_wait -1
	s_clause 0x7
	scratch_load_b128 v[4:7], off, off offset:624
	scratch_load_b128 v[8:11], off, off offset:640
	;; [unrolled: 1-line block ×8, first 2 shown]
	v_mov_b32_e32 v2, 0
	ds_load_b128 v[130:133], v2 offset:1360
	ds_load_b128 v[134:137], v2 offset:1376
	s_mov_b32 s2, exec_lo
	s_wait_loadcnt_dscnt 0x701
	v_mul_f64_e32 v[138:139], v[132:133], v[6:7]
	v_mul_f64_e32 v[140:141], v[130:131], v[6:7]
	s_wait_loadcnt_dscnt 0x600
	v_mul_f64_e32 v[142:143], v[134:135], v[10:11]
	v_mul_f64_e32 v[10:11], v[136:137], v[10:11]
	s_delay_alu instid0(VALU_DEP_4) | instskip(NEXT) | instid1(VALU_DEP_4)
	v_fma_f64 v[138:139], v[130:131], v[4:5], -v[138:139]
	v_fmac_f64_e32 v[140:141], v[132:133], v[4:5]
	ds_load_b128 v[4:7], v2 offset:1392
	ds_load_b128 v[130:133], v2 offset:1408
	v_fmac_f64_e32 v[142:143], v[136:137], v[8:9]
	v_fma_f64 v[8:9], v[134:135], v[8:9], -v[10:11]
	s_wait_loadcnt_dscnt 0x501
	v_mul_f64_e32 v[144:145], v[4:5], v[14:15]
	v_mul_f64_e32 v[14:15], v[6:7], v[14:15]
	s_wait_loadcnt_dscnt 0x400
	v_mul_f64_e32 v[136:137], v[130:131], v[18:19]
	v_mul_f64_e32 v[18:19], v[132:133], v[18:19]
	v_add_f64_e32 v[10:11], 0, v[138:139]
	v_add_f64_e32 v[134:135], 0, v[140:141]
	v_fmac_f64_e32 v[144:145], v[6:7], v[12:13]
	v_fma_f64 v[12:13], v[4:5], v[12:13], -v[14:15]
	v_fmac_f64_e32 v[136:137], v[132:133], v[16:17]
	v_fma_f64 v[16:17], v[130:131], v[16:17], -v[18:19]
	v_add_f64_e32 v[14:15], v[10:11], v[8:9]
	v_add_f64_e32 v[134:135], v[134:135], v[142:143]
	ds_load_b128 v[4:7], v2 offset:1424
	ds_load_b128 v[8:11], v2 offset:1440
	s_wait_loadcnt_dscnt 0x301
	v_mul_f64_e32 v[138:139], v[4:5], v[22:23]
	v_mul_f64_e32 v[22:23], v[6:7], v[22:23]
	s_wait_loadcnt_dscnt 0x200
	v_mul_f64_e32 v[18:19], v[8:9], v[26:27]
	v_mul_f64_e32 v[26:27], v[10:11], v[26:27]
	v_add_f64_e32 v[12:13], v[14:15], v[12:13]
	v_add_f64_e32 v[14:15], v[134:135], v[144:145]
	v_fmac_f64_e32 v[138:139], v[6:7], v[20:21]
	v_fma_f64 v[20:21], v[4:5], v[20:21], -v[22:23]
	ds_load_b128 v[4:7], v2 offset:1456
	v_fmac_f64_e32 v[18:19], v[10:11], v[24:25]
	v_fma_f64 v[8:9], v[8:9], v[24:25], -v[26:27]
	v_add_f64_e32 v[12:13], v[12:13], v[16:17]
	v_add_f64_e32 v[14:15], v[14:15], v[136:137]
	s_wait_loadcnt_dscnt 0x100
	v_mul_f64_e32 v[16:17], v[4:5], v[30:31]
	v_mul_f64_e32 v[22:23], v[6:7], v[30:31]
	s_delay_alu instid0(VALU_DEP_4) | instskip(NEXT) | instid1(VALU_DEP_4)
	v_add_f64_e32 v[10:11], v[12:13], v[20:21]
	v_add_f64_e32 v[12:13], v[14:15], v[138:139]
	s_delay_alu instid0(VALU_DEP_4) | instskip(NEXT) | instid1(VALU_DEP_4)
	v_fmac_f64_e32 v[16:17], v[6:7], v[28:29]
	v_fma_f64 v[4:5], v[4:5], v[28:29], -v[22:23]
	s_delay_alu instid0(VALU_DEP_4) | instskip(NEXT) | instid1(VALU_DEP_4)
	v_add_f64_e32 v[6:7], v[10:11], v[8:9]
	v_add_f64_e32 v[8:9], v[12:13], v[18:19]
	s_delay_alu instid0(VALU_DEP_2) | instskip(NEXT) | instid1(VALU_DEP_2)
	v_add_f64_e32 v[4:5], v[6:7], v[4:5]
	v_add_f64_e32 v[6:7], v[8:9], v[16:17]
	s_wait_loadcnt 0x0
	s_delay_alu instid0(VALU_DEP_2) | instskip(NEXT) | instid1(VALU_DEP_2)
	v_add_f64_e64 v[4:5], v[126:127], -v[4:5]
	v_add_f64_e64 v[6:7], v[128:129], -v[6:7]
	scratch_store_b128 off, v[4:7], off offset:608
	s_wait_xcnt 0x0
	v_cmpx_lt_u32_e32 37, v1
	s_cbranch_execz .LBB109_215
; %bb.214:
	scratch_load_b128 v[6:9], off, s24
	v_dual_mov_b32 v3, v2 :: v_dual_mov_b32 v4, v2
	v_mov_b32_e32 v5, v2
	scratch_store_b128 off, v[2:5], off offset:592
	s_wait_loadcnt 0x0
	ds_store_b128 v124, v[6:9]
.LBB109_215:
	s_wait_xcnt 0x0
	s_or_b32 exec_lo, exec_lo, s2
	s_wait_storecnt_dscnt 0x0
	s_barrier_signal -1
	s_barrier_wait -1
	s_clause 0x7
	scratch_load_b128 v[4:7], off, off offset:608
	scratch_load_b128 v[8:11], off, off offset:624
	;; [unrolled: 1-line block ×8, first 2 shown]
	ds_load_b128 v[130:133], v2 offset:1344
	ds_load_b128 v[134:137], v2 offset:1360
	scratch_load_b128 v[138:141], off, off offset:592
	s_mov_b32 s2, exec_lo
	s_wait_loadcnt_dscnt 0x801
	v_mul_f64_e32 v[142:143], v[132:133], v[6:7]
	v_mul_f64_e32 v[144:145], v[130:131], v[6:7]
	s_wait_loadcnt_dscnt 0x700
	v_mul_f64_e32 v[146:147], v[134:135], v[10:11]
	v_mul_f64_e32 v[10:11], v[136:137], v[10:11]
	s_delay_alu instid0(VALU_DEP_4) | instskip(NEXT) | instid1(VALU_DEP_4)
	v_fma_f64 v[142:143], v[130:131], v[4:5], -v[142:143]
	v_fmac_f64_e32 v[144:145], v[132:133], v[4:5]
	ds_load_b128 v[4:7], v2 offset:1376
	ds_load_b128 v[130:133], v2 offset:1392
	v_fmac_f64_e32 v[146:147], v[136:137], v[8:9]
	v_fma_f64 v[8:9], v[134:135], v[8:9], -v[10:11]
	s_wait_loadcnt_dscnt 0x601
	v_mul_f64_e32 v[148:149], v[4:5], v[14:15]
	v_mul_f64_e32 v[14:15], v[6:7], v[14:15]
	s_wait_loadcnt_dscnt 0x500
	v_mul_f64_e32 v[136:137], v[130:131], v[18:19]
	v_mul_f64_e32 v[18:19], v[132:133], v[18:19]
	v_add_f64_e32 v[10:11], 0, v[142:143]
	v_add_f64_e32 v[134:135], 0, v[144:145]
	v_fmac_f64_e32 v[148:149], v[6:7], v[12:13]
	v_fma_f64 v[12:13], v[4:5], v[12:13], -v[14:15]
	v_fmac_f64_e32 v[136:137], v[132:133], v[16:17]
	v_fma_f64 v[16:17], v[130:131], v[16:17], -v[18:19]
	v_add_f64_e32 v[14:15], v[10:11], v[8:9]
	v_add_f64_e32 v[134:135], v[134:135], v[146:147]
	ds_load_b128 v[4:7], v2 offset:1408
	ds_load_b128 v[8:11], v2 offset:1424
	s_wait_loadcnt_dscnt 0x401
	v_mul_f64_e32 v[142:143], v[4:5], v[22:23]
	v_mul_f64_e32 v[22:23], v[6:7], v[22:23]
	s_wait_loadcnt_dscnt 0x300
	v_mul_f64_e32 v[18:19], v[8:9], v[26:27]
	v_mul_f64_e32 v[26:27], v[10:11], v[26:27]
	v_add_f64_e32 v[12:13], v[14:15], v[12:13]
	v_add_f64_e32 v[14:15], v[134:135], v[148:149]
	v_fmac_f64_e32 v[142:143], v[6:7], v[20:21]
	v_fma_f64 v[20:21], v[4:5], v[20:21], -v[22:23]
	v_fmac_f64_e32 v[18:19], v[10:11], v[24:25]
	v_fma_f64 v[8:9], v[8:9], v[24:25], -v[26:27]
	v_add_f64_e32 v[16:17], v[12:13], v[16:17]
	v_add_f64_e32 v[22:23], v[14:15], v[136:137]
	ds_load_b128 v[4:7], v2 offset:1440
	ds_load_b128 v[12:15], v2 offset:1456
	s_wait_loadcnt_dscnt 0x201
	v_mul_f64_e32 v[2:3], v[4:5], v[30:31]
	v_mul_f64_e32 v[30:31], v[6:7], v[30:31]
	v_add_f64_e32 v[10:11], v[16:17], v[20:21]
	v_add_f64_e32 v[16:17], v[22:23], v[142:143]
	s_wait_loadcnt_dscnt 0x100
	v_mul_f64_e32 v[20:21], v[12:13], v[128:129]
	v_mul_f64_e32 v[22:23], v[14:15], v[128:129]
	v_fmac_f64_e32 v[2:3], v[6:7], v[28:29]
	v_fma_f64 v[4:5], v[4:5], v[28:29], -v[30:31]
	v_add_f64_e32 v[6:7], v[10:11], v[8:9]
	v_add_f64_e32 v[8:9], v[16:17], v[18:19]
	v_fmac_f64_e32 v[20:21], v[14:15], v[126:127]
	v_fma_f64 v[10:11], v[12:13], v[126:127], -v[22:23]
	s_delay_alu instid0(VALU_DEP_4) | instskip(NEXT) | instid1(VALU_DEP_4)
	v_add_f64_e32 v[4:5], v[6:7], v[4:5]
	v_add_f64_e32 v[2:3], v[8:9], v[2:3]
	s_delay_alu instid0(VALU_DEP_2) | instskip(NEXT) | instid1(VALU_DEP_2)
	v_add_f64_e32 v[4:5], v[4:5], v[10:11]
	v_add_f64_e32 v[6:7], v[2:3], v[20:21]
	s_wait_loadcnt 0x0
	s_delay_alu instid0(VALU_DEP_2) | instskip(NEXT) | instid1(VALU_DEP_2)
	v_add_f64_e64 v[2:3], v[138:139], -v[4:5]
	v_add_f64_e64 v[4:5], v[140:141], -v[6:7]
	scratch_store_b128 off, v[2:5], off offset:592
	s_wait_xcnt 0x0
	v_cmpx_lt_u32_e32 36, v1
	s_cbranch_execz .LBB109_217
; %bb.216:
	scratch_load_b128 v[2:5], off, s25
	v_mov_b32_e32 v6, 0
	s_delay_alu instid0(VALU_DEP_1)
	v_dual_mov_b32 v7, v6 :: v_dual_mov_b32 v8, v6
	v_mov_b32_e32 v9, v6
	scratch_store_b128 off, v[6:9], off offset:576
	s_wait_loadcnt 0x0
	ds_store_b128 v124, v[2:5]
.LBB109_217:
	s_wait_xcnt 0x0
	s_or_b32 exec_lo, exec_lo, s2
	s_wait_storecnt_dscnt 0x0
	s_barrier_signal -1
	s_barrier_wait -1
	s_clause 0x8
	scratch_load_b128 v[4:7], off, off offset:592
	scratch_load_b128 v[8:11], off, off offset:608
	;; [unrolled: 1-line block ×9, first 2 shown]
	v_mov_b32_e32 v2, 0
	scratch_load_b128 v[138:141], off, off offset:576
	s_mov_b32 s2, exec_lo
	ds_load_b128 v[134:137], v2 offset:1328
	ds_load_b128 v[142:145], v2 offset:1344
	s_wait_loadcnt_dscnt 0x901
	v_mul_f64_e32 v[146:147], v[136:137], v[6:7]
	v_mul_f64_e32 v[148:149], v[134:135], v[6:7]
	s_wait_loadcnt_dscnt 0x800
	v_mul_f64_e32 v[150:151], v[142:143], v[10:11]
	v_mul_f64_e32 v[10:11], v[144:145], v[10:11]
	s_delay_alu instid0(VALU_DEP_4) | instskip(NEXT) | instid1(VALU_DEP_4)
	v_fma_f64 v[146:147], v[134:135], v[4:5], -v[146:147]
	v_fmac_f64_e32 v[148:149], v[136:137], v[4:5]
	ds_load_b128 v[4:7], v2 offset:1360
	ds_load_b128 v[134:137], v2 offset:1376
	v_fmac_f64_e32 v[150:151], v[144:145], v[8:9]
	v_fma_f64 v[8:9], v[142:143], v[8:9], -v[10:11]
	s_wait_loadcnt_dscnt 0x701
	v_mul_f64_e32 v[152:153], v[4:5], v[14:15]
	v_mul_f64_e32 v[14:15], v[6:7], v[14:15]
	s_wait_loadcnt_dscnt 0x600
	v_mul_f64_e32 v[144:145], v[134:135], v[18:19]
	v_mul_f64_e32 v[18:19], v[136:137], v[18:19]
	v_add_f64_e32 v[10:11], 0, v[146:147]
	v_add_f64_e32 v[142:143], 0, v[148:149]
	v_fmac_f64_e32 v[152:153], v[6:7], v[12:13]
	v_fma_f64 v[12:13], v[4:5], v[12:13], -v[14:15]
	v_fmac_f64_e32 v[144:145], v[136:137], v[16:17]
	v_fma_f64 v[16:17], v[134:135], v[16:17], -v[18:19]
	v_add_f64_e32 v[14:15], v[10:11], v[8:9]
	v_add_f64_e32 v[142:143], v[142:143], v[150:151]
	ds_load_b128 v[4:7], v2 offset:1392
	ds_load_b128 v[8:11], v2 offset:1408
	s_wait_loadcnt_dscnt 0x501
	v_mul_f64_e32 v[146:147], v[4:5], v[22:23]
	v_mul_f64_e32 v[22:23], v[6:7], v[22:23]
	s_wait_loadcnt_dscnt 0x400
	v_mul_f64_e32 v[18:19], v[8:9], v[26:27]
	v_mul_f64_e32 v[26:27], v[10:11], v[26:27]
	v_add_f64_e32 v[12:13], v[14:15], v[12:13]
	v_add_f64_e32 v[14:15], v[142:143], v[152:153]
	v_fmac_f64_e32 v[146:147], v[6:7], v[20:21]
	v_fma_f64 v[20:21], v[4:5], v[20:21], -v[22:23]
	v_fmac_f64_e32 v[18:19], v[10:11], v[24:25]
	v_fma_f64 v[8:9], v[8:9], v[24:25], -v[26:27]
	v_add_f64_e32 v[16:17], v[12:13], v[16:17]
	v_add_f64_e32 v[22:23], v[14:15], v[144:145]
	ds_load_b128 v[4:7], v2 offset:1424
	ds_load_b128 v[12:15], v2 offset:1440
	s_wait_loadcnt_dscnt 0x301
	v_mul_f64_e32 v[134:135], v[4:5], v[30:31]
	v_mul_f64_e32 v[30:31], v[6:7], v[30:31]
	v_add_f64_e32 v[10:11], v[16:17], v[20:21]
	v_add_f64_e32 v[16:17], v[22:23], v[146:147]
	s_wait_loadcnt_dscnt 0x200
	v_mul_f64_e32 v[20:21], v[12:13], v[128:129]
	v_mul_f64_e32 v[22:23], v[14:15], v[128:129]
	v_fmac_f64_e32 v[134:135], v[6:7], v[28:29]
	v_fma_f64 v[24:25], v[4:5], v[28:29], -v[30:31]
	ds_load_b128 v[4:7], v2 offset:1456
	v_add_f64_e32 v[8:9], v[10:11], v[8:9]
	v_add_f64_e32 v[10:11], v[16:17], v[18:19]
	v_fmac_f64_e32 v[20:21], v[14:15], v[126:127]
	v_fma_f64 v[12:13], v[12:13], v[126:127], -v[22:23]
	s_wait_loadcnt_dscnt 0x100
	v_mul_f64_e32 v[16:17], v[4:5], v[132:133]
	v_mul_f64_e32 v[18:19], v[6:7], v[132:133]
	v_add_f64_e32 v[8:9], v[8:9], v[24:25]
	v_add_f64_e32 v[10:11], v[10:11], v[134:135]
	s_delay_alu instid0(VALU_DEP_4) | instskip(NEXT) | instid1(VALU_DEP_4)
	v_fmac_f64_e32 v[16:17], v[6:7], v[130:131]
	v_fma_f64 v[4:5], v[4:5], v[130:131], -v[18:19]
	s_delay_alu instid0(VALU_DEP_4) | instskip(NEXT) | instid1(VALU_DEP_4)
	v_add_f64_e32 v[6:7], v[8:9], v[12:13]
	v_add_f64_e32 v[8:9], v[10:11], v[20:21]
	s_delay_alu instid0(VALU_DEP_2) | instskip(NEXT) | instid1(VALU_DEP_2)
	v_add_f64_e32 v[4:5], v[6:7], v[4:5]
	v_add_f64_e32 v[6:7], v[8:9], v[16:17]
	s_wait_loadcnt 0x0
	s_delay_alu instid0(VALU_DEP_2) | instskip(NEXT) | instid1(VALU_DEP_2)
	v_add_f64_e64 v[4:5], v[138:139], -v[4:5]
	v_add_f64_e64 v[6:7], v[140:141], -v[6:7]
	scratch_store_b128 off, v[4:7], off offset:576
	s_wait_xcnt 0x0
	v_cmpx_lt_u32_e32 35, v1
	s_cbranch_execz .LBB109_219
; %bb.218:
	scratch_load_b128 v[6:9], off, s26
	v_dual_mov_b32 v3, v2 :: v_dual_mov_b32 v4, v2
	v_mov_b32_e32 v5, v2
	scratch_store_b128 off, v[2:5], off offset:560
	s_wait_loadcnt 0x0
	ds_store_b128 v124, v[6:9]
.LBB109_219:
	s_wait_xcnt 0x0
	s_or_b32 exec_lo, exec_lo, s2
	s_wait_storecnt_dscnt 0x0
	s_barrier_signal -1
	s_barrier_wait -1
	s_clause 0x9
	scratch_load_b128 v[4:7], off, off offset:576
	scratch_load_b128 v[8:11], off, off offset:592
	;; [unrolled: 1-line block ×10, first 2 shown]
	ds_load_b128 v[138:141], v2 offset:1312
	ds_load_b128 v[142:145], v2 offset:1328
	scratch_load_b128 v[146:149], off, off offset:560
	s_mov_b32 s2, exec_lo
	s_wait_loadcnt_dscnt 0xa01
	v_mul_f64_e32 v[150:151], v[140:141], v[6:7]
	v_mul_f64_e32 v[152:153], v[138:139], v[6:7]
	s_wait_loadcnt_dscnt 0x900
	v_mul_f64_e32 v[154:155], v[142:143], v[10:11]
	v_mul_f64_e32 v[10:11], v[144:145], v[10:11]
	s_delay_alu instid0(VALU_DEP_4) | instskip(NEXT) | instid1(VALU_DEP_4)
	v_fma_f64 v[150:151], v[138:139], v[4:5], -v[150:151]
	v_fmac_f64_e32 v[152:153], v[140:141], v[4:5]
	ds_load_b128 v[4:7], v2 offset:1344
	ds_load_b128 v[138:141], v2 offset:1360
	v_fmac_f64_e32 v[154:155], v[144:145], v[8:9]
	v_fma_f64 v[8:9], v[142:143], v[8:9], -v[10:11]
	s_wait_loadcnt_dscnt 0x801
	v_mul_f64_e32 v[156:157], v[4:5], v[14:15]
	v_mul_f64_e32 v[14:15], v[6:7], v[14:15]
	s_wait_loadcnt_dscnt 0x700
	v_mul_f64_e32 v[144:145], v[138:139], v[18:19]
	v_mul_f64_e32 v[18:19], v[140:141], v[18:19]
	v_add_f64_e32 v[10:11], 0, v[150:151]
	v_add_f64_e32 v[142:143], 0, v[152:153]
	v_fmac_f64_e32 v[156:157], v[6:7], v[12:13]
	v_fma_f64 v[12:13], v[4:5], v[12:13], -v[14:15]
	v_fmac_f64_e32 v[144:145], v[140:141], v[16:17]
	v_fma_f64 v[16:17], v[138:139], v[16:17], -v[18:19]
	v_add_f64_e32 v[14:15], v[10:11], v[8:9]
	v_add_f64_e32 v[142:143], v[142:143], v[154:155]
	ds_load_b128 v[4:7], v2 offset:1376
	ds_load_b128 v[8:11], v2 offset:1392
	s_wait_loadcnt_dscnt 0x601
	v_mul_f64_e32 v[150:151], v[4:5], v[22:23]
	v_mul_f64_e32 v[22:23], v[6:7], v[22:23]
	s_wait_loadcnt_dscnt 0x500
	v_mul_f64_e32 v[18:19], v[8:9], v[26:27]
	v_mul_f64_e32 v[26:27], v[10:11], v[26:27]
	v_add_f64_e32 v[12:13], v[14:15], v[12:13]
	v_add_f64_e32 v[14:15], v[142:143], v[156:157]
	v_fmac_f64_e32 v[150:151], v[6:7], v[20:21]
	v_fma_f64 v[20:21], v[4:5], v[20:21], -v[22:23]
	v_fmac_f64_e32 v[18:19], v[10:11], v[24:25]
	v_fma_f64 v[8:9], v[8:9], v[24:25], -v[26:27]
	v_add_f64_e32 v[16:17], v[12:13], v[16:17]
	v_add_f64_e32 v[22:23], v[14:15], v[144:145]
	ds_load_b128 v[4:7], v2 offset:1408
	ds_load_b128 v[12:15], v2 offset:1424
	s_wait_loadcnt_dscnt 0x401
	v_mul_f64_e32 v[138:139], v[4:5], v[30:31]
	v_mul_f64_e32 v[30:31], v[6:7], v[30:31]
	v_add_f64_e32 v[10:11], v[16:17], v[20:21]
	v_add_f64_e32 v[16:17], v[22:23], v[150:151]
	s_wait_loadcnt_dscnt 0x300
	v_mul_f64_e32 v[20:21], v[12:13], v[128:129]
	v_mul_f64_e32 v[22:23], v[14:15], v[128:129]
	v_fmac_f64_e32 v[138:139], v[6:7], v[28:29]
	v_fma_f64 v[24:25], v[4:5], v[28:29], -v[30:31]
	v_add_f64_e32 v[26:27], v[10:11], v[8:9]
	v_add_f64_e32 v[16:17], v[16:17], v[18:19]
	ds_load_b128 v[4:7], v2 offset:1440
	ds_load_b128 v[8:11], v2 offset:1456
	v_fmac_f64_e32 v[20:21], v[14:15], v[126:127]
	v_fma_f64 v[12:13], v[12:13], v[126:127], -v[22:23]
	s_wait_loadcnt_dscnt 0x201
	v_mul_f64_e32 v[2:3], v[4:5], v[132:133]
	v_mul_f64_e32 v[18:19], v[6:7], v[132:133]
	s_wait_loadcnt_dscnt 0x100
	v_mul_f64_e32 v[22:23], v[8:9], v[136:137]
	v_add_f64_e32 v[14:15], v[26:27], v[24:25]
	v_add_f64_e32 v[16:17], v[16:17], v[138:139]
	v_mul_f64_e32 v[24:25], v[10:11], v[136:137]
	v_fmac_f64_e32 v[2:3], v[6:7], v[130:131]
	v_fma_f64 v[4:5], v[4:5], v[130:131], -v[18:19]
	v_fmac_f64_e32 v[22:23], v[10:11], v[134:135]
	v_add_f64_e32 v[6:7], v[14:15], v[12:13]
	v_add_f64_e32 v[12:13], v[16:17], v[20:21]
	v_fma_f64 v[8:9], v[8:9], v[134:135], -v[24:25]
	s_delay_alu instid0(VALU_DEP_3) | instskip(NEXT) | instid1(VALU_DEP_3)
	v_add_f64_e32 v[4:5], v[6:7], v[4:5]
	v_add_f64_e32 v[2:3], v[12:13], v[2:3]
	s_delay_alu instid0(VALU_DEP_2) | instskip(NEXT) | instid1(VALU_DEP_2)
	v_add_f64_e32 v[4:5], v[4:5], v[8:9]
	v_add_f64_e32 v[6:7], v[2:3], v[22:23]
	s_wait_loadcnt 0x0
	s_delay_alu instid0(VALU_DEP_2) | instskip(NEXT) | instid1(VALU_DEP_2)
	v_add_f64_e64 v[2:3], v[146:147], -v[4:5]
	v_add_f64_e64 v[4:5], v[148:149], -v[6:7]
	scratch_store_b128 off, v[2:5], off offset:560
	s_wait_xcnt 0x0
	v_cmpx_lt_u32_e32 34, v1
	s_cbranch_execz .LBB109_221
; %bb.220:
	scratch_load_b128 v[2:5], off, s27
	v_mov_b32_e32 v6, 0
	s_delay_alu instid0(VALU_DEP_1)
	v_dual_mov_b32 v7, v6 :: v_dual_mov_b32 v8, v6
	v_mov_b32_e32 v9, v6
	scratch_store_b128 off, v[6:9], off offset:544
	s_wait_loadcnt 0x0
	ds_store_b128 v124, v[2:5]
.LBB109_221:
	s_wait_xcnt 0x0
	s_or_b32 exec_lo, exec_lo, s2
	s_wait_storecnt_dscnt 0x0
	s_barrier_signal -1
	s_barrier_wait -1
	s_clause 0x9
	scratch_load_b128 v[4:7], off, off offset:560
	scratch_load_b128 v[8:11], off, off offset:576
	;; [unrolled: 1-line block ×10, first 2 shown]
	v_mov_b32_e32 v2, 0
	s_mov_b32 s2, exec_lo
	ds_load_b128 v[138:141], v2 offset:1296
	s_clause 0x1
	scratch_load_b128 v[142:145], off, off offset:720
	scratch_load_b128 v[146:149], off, off offset:544
	s_wait_loadcnt_dscnt 0xb00
	v_mul_f64_e32 v[154:155], v[140:141], v[6:7]
	v_mul_f64_e32 v[156:157], v[138:139], v[6:7]
	ds_load_b128 v[150:153], v2 offset:1312
	s_wait_loadcnt_dscnt 0xa00
	v_mul_f64_e32 v[158:159], v[150:151], v[10:11]
	v_mul_f64_e32 v[10:11], v[152:153], v[10:11]
	v_fma_f64 v[154:155], v[138:139], v[4:5], -v[154:155]
	v_fmac_f64_e32 v[156:157], v[140:141], v[4:5]
	ds_load_b128 v[4:7], v2 offset:1328
	ds_load_b128 v[138:141], v2 offset:1344
	s_wait_loadcnt_dscnt 0x901
	v_mul_f64_e32 v[160:161], v[4:5], v[14:15]
	v_mul_f64_e32 v[14:15], v[6:7], v[14:15]
	v_fmac_f64_e32 v[158:159], v[152:153], v[8:9]
	v_fma_f64 v[8:9], v[150:151], v[8:9], -v[10:11]
	s_wait_loadcnt_dscnt 0x800
	v_mul_f64_e32 v[152:153], v[138:139], v[18:19]
	v_mul_f64_e32 v[18:19], v[140:141], v[18:19]
	v_add_f64_e32 v[10:11], 0, v[154:155]
	v_add_f64_e32 v[150:151], 0, v[156:157]
	v_fmac_f64_e32 v[160:161], v[6:7], v[12:13]
	v_fma_f64 v[12:13], v[4:5], v[12:13], -v[14:15]
	v_fmac_f64_e32 v[152:153], v[140:141], v[16:17]
	v_fma_f64 v[16:17], v[138:139], v[16:17], -v[18:19]
	v_add_f64_e32 v[14:15], v[10:11], v[8:9]
	v_add_f64_e32 v[150:151], v[150:151], v[158:159]
	ds_load_b128 v[4:7], v2 offset:1360
	ds_load_b128 v[8:11], v2 offset:1376
	s_wait_loadcnt_dscnt 0x701
	v_mul_f64_e32 v[154:155], v[4:5], v[22:23]
	v_mul_f64_e32 v[22:23], v[6:7], v[22:23]
	s_wait_loadcnt_dscnt 0x600
	v_mul_f64_e32 v[18:19], v[8:9], v[26:27]
	v_mul_f64_e32 v[26:27], v[10:11], v[26:27]
	v_add_f64_e32 v[12:13], v[14:15], v[12:13]
	v_add_f64_e32 v[14:15], v[150:151], v[160:161]
	v_fmac_f64_e32 v[154:155], v[6:7], v[20:21]
	v_fma_f64 v[20:21], v[4:5], v[20:21], -v[22:23]
	v_fmac_f64_e32 v[18:19], v[10:11], v[24:25]
	v_fma_f64 v[8:9], v[8:9], v[24:25], -v[26:27]
	v_add_f64_e32 v[16:17], v[12:13], v[16:17]
	v_add_f64_e32 v[22:23], v[14:15], v[152:153]
	ds_load_b128 v[4:7], v2 offset:1392
	ds_load_b128 v[12:15], v2 offset:1408
	s_wait_loadcnt_dscnt 0x501
	v_mul_f64_e32 v[138:139], v[4:5], v[30:31]
	v_mul_f64_e32 v[30:31], v[6:7], v[30:31]
	v_add_f64_e32 v[10:11], v[16:17], v[20:21]
	v_add_f64_e32 v[16:17], v[22:23], v[154:155]
	s_wait_loadcnt_dscnt 0x400
	v_mul_f64_e32 v[20:21], v[12:13], v[128:129]
	v_mul_f64_e32 v[22:23], v[14:15], v[128:129]
	v_fmac_f64_e32 v[138:139], v[6:7], v[28:29]
	v_fma_f64 v[24:25], v[4:5], v[28:29], -v[30:31]
	v_add_f64_e32 v[26:27], v[10:11], v[8:9]
	v_add_f64_e32 v[16:17], v[16:17], v[18:19]
	ds_load_b128 v[4:7], v2 offset:1424
	ds_load_b128 v[8:11], v2 offset:1440
	v_fmac_f64_e32 v[20:21], v[14:15], v[126:127]
	v_fma_f64 v[12:13], v[12:13], v[126:127], -v[22:23]
	s_wait_loadcnt_dscnt 0x301
	v_mul_f64_e32 v[18:19], v[4:5], v[132:133]
	v_mul_f64_e32 v[28:29], v[6:7], v[132:133]
	s_wait_loadcnt_dscnt 0x200
	v_mul_f64_e32 v[22:23], v[8:9], v[136:137]
	v_add_f64_e32 v[14:15], v[26:27], v[24:25]
	v_add_f64_e32 v[16:17], v[16:17], v[138:139]
	v_mul_f64_e32 v[24:25], v[10:11], v[136:137]
	v_fmac_f64_e32 v[18:19], v[6:7], v[130:131]
	v_fma_f64 v[26:27], v[4:5], v[130:131], -v[28:29]
	ds_load_b128 v[4:7], v2 offset:1456
	v_fmac_f64_e32 v[22:23], v[10:11], v[134:135]
	v_add_f64_e32 v[12:13], v[14:15], v[12:13]
	v_add_f64_e32 v[14:15], v[16:17], v[20:21]
	v_fma_f64 v[8:9], v[8:9], v[134:135], -v[24:25]
	s_wait_loadcnt_dscnt 0x100
	v_mul_f64_e32 v[16:17], v[4:5], v[144:145]
	v_mul_f64_e32 v[20:21], v[6:7], v[144:145]
	v_add_f64_e32 v[10:11], v[12:13], v[26:27]
	v_add_f64_e32 v[12:13], v[14:15], v[18:19]
	s_delay_alu instid0(VALU_DEP_4) | instskip(NEXT) | instid1(VALU_DEP_4)
	v_fmac_f64_e32 v[16:17], v[6:7], v[142:143]
	v_fma_f64 v[4:5], v[4:5], v[142:143], -v[20:21]
	s_delay_alu instid0(VALU_DEP_4) | instskip(NEXT) | instid1(VALU_DEP_4)
	v_add_f64_e32 v[6:7], v[10:11], v[8:9]
	v_add_f64_e32 v[8:9], v[12:13], v[22:23]
	s_delay_alu instid0(VALU_DEP_2) | instskip(NEXT) | instid1(VALU_DEP_2)
	v_add_f64_e32 v[4:5], v[6:7], v[4:5]
	v_add_f64_e32 v[6:7], v[8:9], v[16:17]
	s_wait_loadcnt 0x0
	s_delay_alu instid0(VALU_DEP_2) | instskip(NEXT) | instid1(VALU_DEP_2)
	v_add_f64_e64 v[4:5], v[146:147], -v[4:5]
	v_add_f64_e64 v[6:7], v[148:149], -v[6:7]
	scratch_store_b128 off, v[4:7], off offset:544
	s_wait_xcnt 0x0
	v_cmpx_lt_u32_e32 33, v1
	s_cbranch_execz .LBB109_223
; %bb.222:
	scratch_load_b128 v[6:9], off, s28
	v_dual_mov_b32 v3, v2 :: v_dual_mov_b32 v4, v2
	v_mov_b32_e32 v5, v2
	scratch_store_b128 off, v[2:5], off offset:528
	s_wait_loadcnt 0x0
	ds_store_b128 v124, v[6:9]
.LBB109_223:
	s_wait_xcnt 0x0
	s_or_b32 exec_lo, exec_lo, s2
	s_wait_storecnt_dscnt 0x0
	s_barrier_signal -1
	s_barrier_wait -1
	s_clause 0x9
	scratch_load_b128 v[4:7], off, off offset:544
	scratch_load_b128 v[8:11], off, off offset:560
	;; [unrolled: 1-line block ×10, first 2 shown]
	ds_load_b128 v[138:141], v2 offset:1280
	ds_load_b128 v[146:149], v2 offset:1296
	s_clause 0x2
	scratch_load_b128 v[142:145], off, off offset:704
	scratch_load_b128 v[150:153], off, off offset:528
	;; [unrolled: 1-line block ×3, first 2 shown]
	s_mov_b32 s2, exec_lo
	s_wait_loadcnt_dscnt 0xc01
	v_mul_f64_e32 v[158:159], v[140:141], v[6:7]
	v_mul_f64_e32 v[160:161], v[138:139], v[6:7]
	s_wait_loadcnt_dscnt 0xb00
	v_mul_f64_e32 v[162:163], v[146:147], v[10:11]
	v_mul_f64_e32 v[10:11], v[148:149], v[10:11]
	s_delay_alu instid0(VALU_DEP_4) | instskip(NEXT) | instid1(VALU_DEP_4)
	v_fma_f64 v[158:159], v[138:139], v[4:5], -v[158:159]
	v_fmac_f64_e32 v[160:161], v[140:141], v[4:5]
	ds_load_b128 v[4:7], v2 offset:1312
	ds_load_b128 v[138:141], v2 offset:1328
	v_fmac_f64_e32 v[162:163], v[148:149], v[8:9]
	v_fma_f64 v[8:9], v[146:147], v[8:9], -v[10:11]
	s_wait_loadcnt_dscnt 0xa01
	v_mul_f64_e32 v[164:165], v[4:5], v[14:15]
	v_mul_f64_e32 v[14:15], v[6:7], v[14:15]
	s_wait_loadcnt_dscnt 0x900
	v_mul_f64_e32 v[148:149], v[138:139], v[18:19]
	v_mul_f64_e32 v[18:19], v[140:141], v[18:19]
	v_add_f64_e32 v[10:11], 0, v[158:159]
	v_add_f64_e32 v[146:147], 0, v[160:161]
	v_fmac_f64_e32 v[164:165], v[6:7], v[12:13]
	v_fma_f64 v[12:13], v[4:5], v[12:13], -v[14:15]
	v_fmac_f64_e32 v[148:149], v[140:141], v[16:17]
	v_fma_f64 v[16:17], v[138:139], v[16:17], -v[18:19]
	v_add_f64_e32 v[14:15], v[10:11], v[8:9]
	v_add_f64_e32 v[146:147], v[146:147], v[162:163]
	ds_load_b128 v[4:7], v2 offset:1344
	ds_load_b128 v[8:11], v2 offset:1360
	s_wait_loadcnt_dscnt 0x801
	v_mul_f64_e32 v[158:159], v[4:5], v[22:23]
	v_mul_f64_e32 v[22:23], v[6:7], v[22:23]
	s_wait_loadcnt_dscnt 0x700
	v_mul_f64_e32 v[18:19], v[8:9], v[26:27]
	v_mul_f64_e32 v[26:27], v[10:11], v[26:27]
	v_add_f64_e32 v[12:13], v[14:15], v[12:13]
	v_add_f64_e32 v[14:15], v[146:147], v[164:165]
	v_fmac_f64_e32 v[158:159], v[6:7], v[20:21]
	v_fma_f64 v[20:21], v[4:5], v[20:21], -v[22:23]
	v_fmac_f64_e32 v[18:19], v[10:11], v[24:25]
	v_fma_f64 v[8:9], v[8:9], v[24:25], -v[26:27]
	v_add_f64_e32 v[16:17], v[12:13], v[16:17]
	v_add_f64_e32 v[22:23], v[14:15], v[148:149]
	ds_load_b128 v[4:7], v2 offset:1376
	ds_load_b128 v[12:15], v2 offset:1392
	s_wait_loadcnt_dscnt 0x601
	v_mul_f64_e32 v[138:139], v[4:5], v[30:31]
	v_mul_f64_e32 v[30:31], v[6:7], v[30:31]
	v_add_f64_e32 v[10:11], v[16:17], v[20:21]
	v_add_f64_e32 v[16:17], v[22:23], v[158:159]
	s_wait_loadcnt_dscnt 0x500
	v_mul_f64_e32 v[20:21], v[12:13], v[128:129]
	v_mul_f64_e32 v[22:23], v[14:15], v[128:129]
	v_fmac_f64_e32 v[138:139], v[6:7], v[28:29]
	v_fma_f64 v[24:25], v[4:5], v[28:29], -v[30:31]
	v_add_f64_e32 v[26:27], v[10:11], v[8:9]
	v_add_f64_e32 v[16:17], v[16:17], v[18:19]
	ds_load_b128 v[4:7], v2 offset:1408
	ds_load_b128 v[8:11], v2 offset:1424
	v_fmac_f64_e32 v[20:21], v[14:15], v[126:127]
	v_fma_f64 v[12:13], v[12:13], v[126:127], -v[22:23]
	s_wait_loadcnt_dscnt 0x401
	v_mul_f64_e32 v[18:19], v[4:5], v[132:133]
	v_mul_f64_e32 v[28:29], v[6:7], v[132:133]
	s_wait_loadcnt_dscnt 0x300
	v_mul_f64_e32 v[22:23], v[8:9], v[136:137]
	v_add_f64_e32 v[14:15], v[26:27], v[24:25]
	v_add_f64_e32 v[16:17], v[16:17], v[138:139]
	v_mul_f64_e32 v[24:25], v[10:11], v[136:137]
	v_fmac_f64_e32 v[18:19], v[6:7], v[130:131]
	v_fma_f64 v[26:27], v[4:5], v[130:131], -v[28:29]
	v_fmac_f64_e32 v[22:23], v[10:11], v[134:135]
	v_add_f64_e32 v[28:29], v[14:15], v[12:13]
	v_add_f64_e32 v[16:17], v[16:17], v[20:21]
	ds_load_b128 v[4:7], v2 offset:1440
	ds_load_b128 v[12:15], v2 offset:1456
	v_fma_f64 v[8:9], v[8:9], v[134:135], -v[24:25]
	s_wait_loadcnt_dscnt 0x201
	v_mul_f64_e32 v[2:3], v[4:5], v[144:145]
	v_mul_f64_e32 v[20:21], v[6:7], v[144:145]
	s_wait_loadcnt_dscnt 0x0
	v_mul_f64_e32 v[24:25], v[14:15], v[156:157]
	v_add_f64_e32 v[10:11], v[28:29], v[26:27]
	v_add_f64_e32 v[16:17], v[16:17], v[18:19]
	v_mul_f64_e32 v[18:19], v[12:13], v[156:157]
	v_fmac_f64_e32 v[2:3], v[6:7], v[142:143]
	v_fma_f64 v[4:5], v[4:5], v[142:143], -v[20:21]
	v_add_f64_e32 v[6:7], v[10:11], v[8:9]
	v_add_f64_e32 v[8:9], v[16:17], v[22:23]
	v_fmac_f64_e32 v[18:19], v[14:15], v[154:155]
	v_fma_f64 v[10:11], v[12:13], v[154:155], -v[24:25]
	s_delay_alu instid0(VALU_DEP_4) | instskip(NEXT) | instid1(VALU_DEP_4)
	v_add_f64_e32 v[4:5], v[6:7], v[4:5]
	v_add_f64_e32 v[2:3], v[8:9], v[2:3]
	s_delay_alu instid0(VALU_DEP_2) | instskip(NEXT) | instid1(VALU_DEP_2)
	v_add_f64_e32 v[4:5], v[4:5], v[10:11]
	v_add_f64_e32 v[6:7], v[2:3], v[18:19]
	s_delay_alu instid0(VALU_DEP_2) | instskip(NEXT) | instid1(VALU_DEP_2)
	v_add_f64_e64 v[2:3], v[150:151], -v[4:5]
	v_add_f64_e64 v[4:5], v[152:153], -v[6:7]
	scratch_store_b128 off, v[2:5], off offset:528
	s_wait_xcnt 0x0
	v_cmpx_lt_u32_e32 32, v1
	s_cbranch_execz .LBB109_225
; %bb.224:
	scratch_load_b128 v[2:5], off, s29
	v_mov_b32_e32 v6, 0
	s_delay_alu instid0(VALU_DEP_1)
	v_dual_mov_b32 v7, v6 :: v_dual_mov_b32 v8, v6
	v_mov_b32_e32 v9, v6
	scratch_store_b128 off, v[6:9], off offset:512
	s_wait_loadcnt 0x0
	ds_store_b128 v124, v[2:5]
.LBB109_225:
	s_wait_xcnt 0x0
	s_or_b32 exec_lo, exec_lo, s2
	s_wait_storecnt_dscnt 0x0
	s_barrier_signal -1
	s_barrier_wait -1
	s_clause 0x9
	scratch_load_b128 v[4:7], off, off offset:528
	scratch_load_b128 v[8:11], off, off offset:544
	;; [unrolled: 1-line block ×10, first 2 shown]
	v_mov_b32_e32 v2, 0
	s_mov_b32 s2, exec_lo
	ds_load_b128 v[138:141], v2 offset:1264
	s_clause 0x2
	scratch_load_b128 v[142:145], off, off offset:688
	scratch_load_b128 v[146:149], off, off offset:512
	;; [unrolled: 1-line block ×3, first 2 shown]
	s_wait_loadcnt_dscnt 0xc00
	v_mul_f64_e32 v[158:159], v[140:141], v[6:7]
	v_mul_f64_e32 v[162:163], v[138:139], v[6:7]
	ds_load_b128 v[150:153], v2 offset:1280
	v_fma_f64 v[166:167], v[138:139], v[4:5], -v[158:159]
	v_fmac_f64_e32 v[162:163], v[140:141], v[4:5]
	ds_load_b128 v[4:7], v2 offset:1296
	s_wait_loadcnt_dscnt 0xb01
	v_mul_f64_e32 v[164:165], v[150:151], v[10:11]
	v_mul_f64_e32 v[10:11], v[152:153], v[10:11]
	scratch_load_b128 v[138:141], off, off offset:720
	ds_load_b128 v[158:161], v2 offset:1312
	s_wait_loadcnt_dscnt 0xb01
	v_mul_f64_e32 v[168:169], v[4:5], v[14:15]
	v_mul_f64_e32 v[14:15], v[6:7], v[14:15]
	v_fmac_f64_e32 v[164:165], v[152:153], v[8:9]
	v_fma_f64 v[8:9], v[150:151], v[8:9], -v[10:11]
	v_add_f64_e32 v[10:11], 0, v[166:167]
	v_add_f64_e32 v[150:151], 0, v[162:163]
	s_wait_loadcnt_dscnt 0xa00
	v_mul_f64_e32 v[152:153], v[158:159], v[18:19]
	v_mul_f64_e32 v[18:19], v[160:161], v[18:19]
	v_fmac_f64_e32 v[168:169], v[6:7], v[12:13]
	v_fma_f64 v[12:13], v[4:5], v[12:13], -v[14:15]
	v_add_f64_e32 v[14:15], v[10:11], v[8:9]
	v_add_f64_e32 v[150:151], v[150:151], v[164:165]
	ds_load_b128 v[4:7], v2 offset:1328
	ds_load_b128 v[8:11], v2 offset:1344
	v_fmac_f64_e32 v[152:153], v[160:161], v[16:17]
	v_fma_f64 v[16:17], v[158:159], v[16:17], -v[18:19]
	s_wait_loadcnt_dscnt 0x901
	v_mul_f64_e32 v[162:163], v[4:5], v[22:23]
	v_mul_f64_e32 v[22:23], v[6:7], v[22:23]
	s_wait_loadcnt_dscnt 0x800
	v_mul_f64_e32 v[18:19], v[8:9], v[26:27]
	v_mul_f64_e32 v[26:27], v[10:11], v[26:27]
	v_add_f64_e32 v[12:13], v[14:15], v[12:13]
	v_add_f64_e32 v[14:15], v[150:151], v[168:169]
	v_fmac_f64_e32 v[162:163], v[6:7], v[20:21]
	v_fma_f64 v[20:21], v[4:5], v[20:21], -v[22:23]
	v_fmac_f64_e32 v[18:19], v[10:11], v[24:25]
	v_fma_f64 v[8:9], v[8:9], v[24:25], -v[26:27]
	v_add_f64_e32 v[16:17], v[12:13], v[16:17]
	v_add_f64_e32 v[22:23], v[14:15], v[152:153]
	ds_load_b128 v[4:7], v2 offset:1360
	ds_load_b128 v[12:15], v2 offset:1376
	s_wait_loadcnt_dscnt 0x701
	v_mul_f64_e32 v[150:151], v[4:5], v[30:31]
	v_mul_f64_e32 v[30:31], v[6:7], v[30:31]
	v_add_f64_e32 v[10:11], v[16:17], v[20:21]
	v_add_f64_e32 v[16:17], v[22:23], v[162:163]
	s_wait_loadcnt_dscnt 0x600
	v_mul_f64_e32 v[20:21], v[12:13], v[128:129]
	v_mul_f64_e32 v[22:23], v[14:15], v[128:129]
	v_fmac_f64_e32 v[150:151], v[6:7], v[28:29]
	v_fma_f64 v[24:25], v[4:5], v[28:29], -v[30:31]
	v_add_f64_e32 v[26:27], v[10:11], v[8:9]
	v_add_f64_e32 v[16:17], v[16:17], v[18:19]
	ds_load_b128 v[4:7], v2 offset:1392
	ds_load_b128 v[8:11], v2 offset:1408
	v_fmac_f64_e32 v[20:21], v[14:15], v[126:127]
	v_fma_f64 v[12:13], v[12:13], v[126:127], -v[22:23]
	s_wait_loadcnt_dscnt 0x501
	v_mul_f64_e32 v[18:19], v[4:5], v[132:133]
	v_mul_f64_e32 v[28:29], v[6:7], v[132:133]
	s_wait_loadcnt_dscnt 0x400
	v_mul_f64_e32 v[22:23], v[8:9], v[136:137]
	v_add_f64_e32 v[14:15], v[26:27], v[24:25]
	v_add_f64_e32 v[16:17], v[16:17], v[150:151]
	v_mul_f64_e32 v[24:25], v[10:11], v[136:137]
	v_fmac_f64_e32 v[18:19], v[6:7], v[130:131]
	v_fma_f64 v[26:27], v[4:5], v[130:131], -v[28:29]
	v_fmac_f64_e32 v[22:23], v[10:11], v[134:135]
	v_add_f64_e32 v[28:29], v[14:15], v[12:13]
	v_add_f64_e32 v[16:17], v[16:17], v[20:21]
	ds_load_b128 v[4:7], v2 offset:1424
	ds_load_b128 v[12:15], v2 offset:1440
	v_fma_f64 v[8:9], v[8:9], v[134:135], -v[24:25]
	s_wait_loadcnt_dscnt 0x301
	v_mul_f64_e32 v[20:21], v[4:5], v[144:145]
	v_mul_f64_e32 v[30:31], v[6:7], v[144:145]
	s_wait_loadcnt_dscnt 0x100
	v_mul_f64_e32 v[24:25], v[14:15], v[156:157]
	v_add_f64_e32 v[10:11], v[28:29], v[26:27]
	v_add_f64_e32 v[16:17], v[16:17], v[18:19]
	v_mul_f64_e32 v[18:19], v[12:13], v[156:157]
	v_fmac_f64_e32 v[20:21], v[6:7], v[142:143]
	v_fma_f64 v[26:27], v[4:5], v[142:143], -v[30:31]
	ds_load_b128 v[4:7], v2 offset:1456
	v_fma_f64 v[12:13], v[12:13], v[154:155], -v[24:25]
	v_add_f64_e32 v[8:9], v[10:11], v[8:9]
	v_add_f64_e32 v[10:11], v[16:17], v[22:23]
	v_fmac_f64_e32 v[18:19], v[14:15], v[154:155]
	s_wait_loadcnt_dscnt 0x0
	v_mul_f64_e32 v[16:17], v[4:5], v[140:141]
	v_mul_f64_e32 v[22:23], v[6:7], v[140:141]
	v_add_f64_e32 v[8:9], v[8:9], v[26:27]
	v_add_f64_e32 v[10:11], v[10:11], v[20:21]
	s_delay_alu instid0(VALU_DEP_4) | instskip(NEXT) | instid1(VALU_DEP_4)
	v_fmac_f64_e32 v[16:17], v[6:7], v[138:139]
	v_fma_f64 v[4:5], v[4:5], v[138:139], -v[22:23]
	s_delay_alu instid0(VALU_DEP_4) | instskip(NEXT) | instid1(VALU_DEP_4)
	v_add_f64_e32 v[6:7], v[8:9], v[12:13]
	v_add_f64_e32 v[8:9], v[10:11], v[18:19]
	s_delay_alu instid0(VALU_DEP_2) | instskip(NEXT) | instid1(VALU_DEP_2)
	v_add_f64_e32 v[4:5], v[6:7], v[4:5]
	v_add_f64_e32 v[6:7], v[8:9], v[16:17]
	s_delay_alu instid0(VALU_DEP_2) | instskip(NEXT) | instid1(VALU_DEP_2)
	v_add_f64_e64 v[4:5], v[146:147], -v[4:5]
	v_add_f64_e64 v[6:7], v[148:149], -v[6:7]
	scratch_store_b128 off, v[4:7], off offset:512
	s_wait_xcnt 0x0
	v_cmpx_lt_u32_e32 31, v1
	s_cbranch_execz .LBB109_227
; %bb.226:
	scratch_load_b128 v[6:9], off, s30
	v_dual_mov_b32 v3, v2 :: v_dual_mov_b32 v4, v2
	v_mov_b32_e32 v5, v2
	scratch_store_b128 off, v[2:5], off offset:496
	s_wait_loadcnt 0x0
	ds_store_b128 v124, v[6:9]
.LBB109_227:
	s_wait_xcnt 0x0
	s_or_b32 exec_lo, exec_lo, s2
	s_wait_storecnt_dscnt 0x0
	s_barrier_signal -1
	s_barrier_wait -1
	s_clause 0x9
	scratch_load_b128 v[4:7], off, off offset:512
	scratch_load_b128 v[8:11], off, off offset:528
	;; [unrolled: 1-line block ×10, first 2 shown]
	ds_load_b128 v[138:141], v2 offset:1248
	ds_load_b128 v[146:149], v2 offset:1264
	s_clause 0x2
	scratch_load_b128 v[142:145], off, off offset:672
	scratch_load_b128 v[150:153], off, off offset:496
	;; [unrolled: 1-line block ×3, first 2 shown]
	s_mov_b32 s2, exec_lo
	s_wait_loadcnt_dscnt 0xc01
	v_mul_f64_e32 v[158:159], v[140:141], v[6:7]
	v_mul_f64_e32 v[162:163], v[138:139], v[6:7]
	s_wait_loadcnt_dscnt 0xb00
	v_mul_f64_e32 v[164:165], v[146:147], v[10:11]
	v_mul_f64_e32 v[10:11], v[148:149], v[10:11]
	s_delay_alu instid0(VALU_DEP_4) | instskip(NEXT) | instid1(VALU_DEP_4)
	v_fma_f64 v[166:167], v[138:139], v[4:5], -v[158:159]
	v_fmac_f64_e32 v[162:163], v[140:141], v[4:5]
	ds_load_b128 v[4:7], v2 offset:1280
	ds_load_b128 v[138:141], v2 offset:1296
	scratch_load_b128 v[158:161], off, off offset:704
	v_fmac_f64_e32 v[164:165], v[148:149], v[8:9]
	v_fma_f64 v[146:147], v[146:147], v[8:9], -v[10:11]
	scratch_load_b128 v[8:11], off, off offset:720
	s_wait_loadcnt_dscnt 0xc01
	v_mul_f64_e32 v[168:169], v[4:5], v[14:15]
	v_mul_f64_e32 v[14:15], v[6:7], v[14:15]
	v_add_f64_e32 v[148:149], 0, v[166:167]
	v_add_f64_e32 v[162:163], 0, v[162:163]
	s_wait_loadcnt_dscnt 0xb00
	v_mul_f64_e32 v[166:167], v[138:139], v[18:19]
	v_mul_f64_e32 v[18:19], v[140:141], v[18:19]
	v_fmac_f64_e32 v[168:169], v[6:7], v[12:13]
	v_fma_f64 v[170:171], v[4:5], v[12:13], -v[14:15]
	ds_load_b128 v[4:7], v2 offset:1312
	ds_load_b128 v[12:15], v2 offset:1328
	v_add_f64_e32 v[146:147], v[148:149], v[146:147]
	v_add_f64_e32 v[148:149], v[162:163], v[164:165]
	v_fmac_f64_e32 v[166:167], v[140:141], v[16:17]
	v_fma_f64 v[16:17], v[138:139], v[16:17], -v[18:19]
	s_wait_loadcnt_dscnt 0xa01
	v_mul_f64_e32 v[162:163], v[4:5], v[22:23]
	v_mul_f64_e32 v[22:23], v[6:7], v[22:23]
	s_wait_loadcnt_dscnt 0x900
	v_mul_f64_e32 v[140:141], v[12:13], v[26:27]
	v_mul_f64_e32 v[26:27], v[14:15], v[26:27]
	v_add_f64_e32 v[18:19], v[146:147], v[170:171]
	v_add_f64_e32 v[138:139], v[148:149], v[168:169]
	v_fmac_f64_e32 v[162:163], v[6:7], v[20:21]
	v_fma_f64 v[20:21], v[4:5], v[20:21], -v[22:23]
	v_fmac_f64_e32 v[140:141], v[14:15], v[24:25]
	v_fma_f64 v[12:13], v[12:13], v[24:25], -v[26:27]
	v_add_f64_e32 v[22:23], v[18:19], v[16:17]
	v_add_f64_e32 v[138:139], v[138:139], v[166:167]
	ds_load_b128 v[4:7], v2 offset:1344
	ds_load_b128 v[16:19], v2 offset:1360
	s_wait_loadcnt_dscnt 0x801
	v_mul_f64_e32 v[146:147], v[4:5], v[30:31]
	v_mul_f64_e32 v[30:31], v[6:7], v[30:31]
	s_wait_loadcnt_dscnt 0x700
	v_mul_f64_e32 v[24:25], v[18:19], v[128:129]
	v_add_f64_e32 v[14:15], v[22:23], v[20:21]
	v_add_f64_e32 v[20:21], v[138:139], v[162:163]
	v_mul_f64_e32 v[22:23], v[16:17], v[128:129]
	v_fmac_f64_e32 v[146:147], v[6:7], v[28:29]
	v_fma_f64 v[26:27], v[4:5], v[28:29], -v[30:31]
	v_fma_f64 v[16:17], v[16:17], v[126:127], -v[24:25]
	v_add_f64_e32 v[28:29], v[14:15], v[12:13]
	v_add_f64_e32 v[20:21], v[20:21], v[140:141]
	ds_load_b128 v[4:7], v2 offset:1376
	ds_load_b128 v[12:15], v2 offset:1392
	v_fmac_f64_e32 v[22:23], v[18:19], v[126:127]
	s_wait_loadcnt_dscnt 0x601
	v_mul_f64_e32 v[30:31], v[4:5], v[132:133]
	v_mul_f64_e32 v[128:129], v[6:7], v[132:133]
	s_wait_loadcnt_dscnt 0x500
	v_mul_f64_e32 v[24:25], v[12:13], v[136:137]
	v_add_f64_e32 v[18:19], v[28:29], v[26:27]
	v_add_f64_e32 v[20:21], v[20:21], v[146:147]
	v_mul_f64_e32 v[26:27], v[14:15], v[136:137]
	v_fmac_f64_e32 v[30:31], v[6:7], v[130:131]
	v_fma_f64 v[28:29], v[4:5], v[130:131], -v[128:129]
	v_fmac_f64_e32 v[24:25], v[14:15], v[134:135]
	v_add_f64_e32 v[126:127], v[18:19], v[16:17]
	v_add_f64_e32 v[20:21], v[20:21], v[22:23]
	ds_load_b128 v[4:7], v2 offset:1408
	ds_load_b128 v[16:19], v2 offset:1424
	v_fma_f64 v[12:13], v[12:13], v[134:135], -v[26:27]
	s_wait_loadcnt_dscnt 0x401
	v_mul_f64_e32 v[22:23], v[4:5], v[144:145]
	v_mul_f64_e32 v[128:129], v[6:7], v[144:145]
	s_wait_loadcnt_dscnt 0x200
	v_mul_f64_e32 v[26:27], v[16:17], v[156:157]
	v_add_f64_e32 v[14:15], v[126:127], v[28:29]
	v_add_f64_e32 v[20:21], v[20:21], v[30:31]
	v_mul_f64_e32 v[28:29], v[18:19], v[156:157]
	v_fmac_f64_e32 v[22:23], v[6:7], v[142:143]
	v_fma_f64 v[30:31], v[4:5], v[142:143], -v[128:129]
	v_fmac_f64_e32 v[26:27], v[18:19], v[154:155]
	v_add_f64_e32 v[126:127], v[14:15], v[12:13]
	v_add_f64_e32 v[20:21], v[20:21], v[24:25]
	ds_load_b128 v[4:7], v2 offset:1440
	ds_load_b128 v[12:15], v2 offset:1456
	v_fma_f64 v[16:17], v[16:17], v[154:155], -v[28:29]
	s_wait_loadcnt_dscnt 0x101
	v_mul_f64_e32 v[2:3], v[4:5], v[160:161]
	v_mul_f64_e32 v[24:25], v[6:7], v[160:161]
	v_add_f64_e32 v[18:19], v[126:127], v[30:31]
	v_add_f64_e32 v[20:21], v[20:21], v[22:23]
	s_wait_loadcnt_dscnt 0x0
	v_mul_f64_e32 v[22:23], v[12:13], v[10:11]
	v_mul_f64_e32 v[10:11], v[14:15], v[10:11]
	v_fmac_f64_e32 v[2:3], v[6:7], v[158:159]
	v_fma_f64 v[4:5], v[4:5], v[158:159], -v[24:25]
	v_add_f64_e32 v[6:7], v[18:19], v[16:17]
	v_add_f64_e32 v[16:17], v[20:21], v[26:27]
	v_fmac_f64_e32 v[22:23], v[14:15], v[8:9]
	v_fma_f64 v[8:9], v[12:13], v[8:9], -v[10:11]
	s_delay_alu instid0(VALU_DEP_4) | instskip(NEXT) | instid1(VALU_DEP_4)
	v_add_f64_e32 v[4:5], v[6:7], v[4:5]
	v_add_f64_e32 v[2:3], v[16:17], v[2:3]
	s_delay_alu instid0(VALU_DEP_2) | instskip(NEXT) | instid1(VALU_DEP_2)
	v_add_f64_e32 v[4:5], v[4:5], v[8:9]
	v_add_f64_e32 v[6:7], v[2:3], v[22:23]
	s_delay_alu instid0(VALU_DEP_2) | instskip(NEXT) | instid1(VALU_DEP_2)
	v_add_f64_e64 v[2:3], v[150:151], -v[4:5]
	v_add_f64_e64 v[4:5], v[152:153], -v[6:7]
	scratch_store_b128 off, v[2:5], off offset:496
	s_wait_xcnt 0x0
	v_cmpx_lt_u32_e32 30, v1
	s_cbranch_execz .LBB109_229
; %bb.228:
	scratch_load_b128 v[2:5], off, s31
	v_mov_b32_e32 v6, 0
	s_delay_alu instid0(VALU_DEP_1)
	v_dual_mov_b32 v7, v6 :: v_dual_mov_b32 v8, v6
	v_mov_b32_e32 v9, v6
	scratch_store_b128 off, v[6:9], off offset:480
	s_wait_loadcnt 0x0
	ds_store_b128 v124, v[2:5]
.LBB109_229:
	s_wait_xcnt 0x0
	s_or_b32 exec_lo, exec_lo, s2
	s_wait_storecnt_dscnt 0x0
	s_barrier_signal -1
	s_barrier_wait -1
	s_clause 0x9
	scratch_load_b128 v[4:7], off, off offset:496
	scratch_load_b128 v[8:11], off, off offset:512
	;; [unrolled: 1-line block ×10, first 2 shown]
	v_mov_b32_e32 v2, 0
	s_mov_b32 s2, exec_lo
	ds_load_b128 v[138:141], v2 offset:1232
	s_clause 0x2
	scratch_load_b128 v[142:145], off, off offset:656
	scratch_load_b128 v[146:149], off, off offset:480
	;; [unrolled: 1-line block ×3, first 2 shown]
	s_wait_loadcnt_dscnt 0xc00
	v_mul_f64_e32 v[158:159], v[140:141], v[6:7]
	v_mul_f64_e32 v[162:163], v[138:139], v[6:7]
	ds_load_b128 v[150:153], v2 offset:1248
	v_fma_f64 v[166:167], v[138:139], v[4:5], -v[158:159]
	v_fmac_f64_e32 v[162:163], v[140:141], v[4:5]
	ds_load_b128 v[4:7], v2 offset:1264
	s_wait_loadcnt_dscnt 0xb01
	v_mul_f64_e32 v[164:165], v[150:151], v[10:11]
	v_mul_f64_e32 v[10:11], v[152:153], v[10:11]
	scratch_load_b128 v[138:141], off, off offset:688
	ds_load_b128 v[158:161], v2 offset:1280
	s_wait_loadcnt_dscnt 0xb01
	v_mul_f64_e32 v[168:169], v[4:5], v[14:15]
	v_mul_f64_e32 v[14:15], v[6:7], v[14:15]
	v_add_f64_e32 v[162:163], 0, v[162:163]
	v_fmac_f64_e32 v[164:165], v[152:153], v[8:9]
	v_fma_f64 v[150:151], v[150:151], v[8:9], -v[10:11]
	v_add_f64_e32 v[152:153], 0, v[166:167]
	scratch_load_b128 v[8:11], off, off offset:704
	v_fmac_f64_e32 v[168:169], v[6:7], v[12:13]
	v_fma_f64 v[170:171], v[4:5], v[12:13], -v[14:15]
	ds_load_b128 v[4:7], v2 offset:1296
	s_wait_loadcnt_dscnt 0xb01
	v_mul_f64_e32 v[166:167], v[158:159], v[18:19]
	v_mul_f64_e32 v[18:19], v[160:161], v[18:19]
	scratch_load_b128 v[12:15], off, off offset:720
	v_add_f64_e32 v[162:163], v[162:163], v[164:165]
	v_add_f64_e32 v[172:173], v[152:153], v[150:151]
	ds_load_b128 v[150:153], v2 offset:1312
	s_wait_loadcnt_dscnt 0xb01
	v_mul_f64_e32 v[164:165], v[4:5], v[22:23]
	v_mul_f64_e32 v[22:23], v[6:7], v[22:23]
	v_fmac_f64_e32 v[166:167], v[160:161], v[16:17]
	v_fma_f64 v[16:17], v[158:159], v[16:17], -v[18:19]
	s_wait_loadcnt_dscnt 0xa00
	v_mul_f64_e32 v[160:161], v[150:151], v[26:27]
	v_mul_f64_e32 v[26:27], v[152:153], v[26:27]
	v_add_f64_e32 v[158:159], v[162:163], v[168:169]
	v_add_f64_e32 v[18:19], v[172:173], v[170:171]
	v_fmac_f64_e32 v[164:165], v[6:7], v[20:21]
	v_fma_f64 v[20:21], v[4:5], v[20:21], -v[22:23]
	v_fmac_f64_e32 v[160:161], v[152:153], v[24:25]
	v_fma_f64 v[24:25], v[150:151], v[24:25], -v[26:27]
	v_add_f64_e32 v[158:159], v[158:159], v[166:167]
	v_add_f64_e32 v[22:23], v[18:19], v[16:17]
	ds_load_b128 v[4:7], v2 offset:1328
	ds_load_b128 v[16:19], v2 offset:1344
	s_wait_loadcnt_dscnt 0x901
	v_mul_f64_e32 v[162:163], v[4:5], v[30:31]
	v_mul_f64_e32 v[30:31], v[6:7], v[30:31]
	s_wait_loadcnt_dscnt 0x800
	v_mul_f64_e32 v[26:27], v[16:17], v[128:129]
	v_mul_f64_e32 v[128:129], v[18:19], v[128:129]
	v_add_f64_e32 v[20:21], v[22:23], v[20:21]
	v_add_f64_e32 v[22:23], v[158:159], v[164:165]
	v_fmac_f64_e32 v[162:163], v[6:7], v[28:29]
	v_fma_f64 v[28:29], v[4:5], v[28:29], -v[30:31]
	v_fmac_f64_e32 v[26:27], v[18:19], v[126:127]
	v_fma_f64 v[16:17], v[16:17], v[126:127], -v[128:129]
	v_add_f64_e32 v[24:25], v[20:21], v[24:25]
	v_add_f64_e32 v[30:31], v[22:23], v[160:161]
	ds_load_b128 v[4:7], v2 offset:1360
	ds_load_b128 v[20:23], v2 offset:1376
	s_wait_loadcnt_dscnt 0x701
	v_mul_f64_e32 v[150:151], v[4:5], v[132:133]
	v_mul_f64_e32 v[132:133], v[6:7], v[132:133]
	v_add_f64_e32 v[18:19], v[24:25], v[28:29]
	v_add_f64_e32 v[24:25], v[30:31], v[162:163]
	s_wait_loadcnt_dscnt 0x600
	v_mul_f64_e32 v[28:29], v[20:21], v[136:137]
	v_mul_f64_e32 v[30:31], v[22:23], v[136:137]
	v_fmac_f64_e32 v[150:151], v[6:7], v[130:131]
	v_fma_f64 v[126:127], v[4:5], v[130:131], -v[132:133]
	v_add_f64_e32 v[128:129], v[18:19], v[16:17]
	v_add_f64_e32 v[24:25], v[24:25], v[26:27]
	ds_load_b128 v[4:7], v2 offset:1392
	ds_load_b128 v[16:19], v2 offset:1408
	v_fmac_f64_e32 v[28:29], v[22:23], v[134:135]
	v_fma_f64 v[20:21], v[20:21], v[134:135], -v[30:31]
	s_wait_loadcnt_dscnt 0x501
	v_mul_f64_e32 v[26:27], v[4:5], v[144:145]
	v_mul_f64_e32 v[130:131], v[6:7], v[144:145]
	s_wait_loadcnt_dscnt 0x300
	v_mul_f64_e32 v[30:31], v[16:17], v[156:157]
	v_add_f64_e32 v[22:23], v[128:129], v[126:127]
	v_add_f64_e32 v[24:25], v[24:25], v[150:151]
	v_mul_f64_e32 v[126:127], v[18:19], v[156:157]
	v_fmac_f64_e32 v[26:27], v[6:7], v[142:143]
	v_fma_f64 v[128:129], v[4:5], v[142:143], -v[130:131]
	v_fmac_f64_e32 v[30:31], v[18:19], v[154:155]
	v_add_f64_e32 v[130:131], v[22:23], v[20:21]
	v_add_f64_e32 v[24:25], v[24:25], v[28:29]
	ds_load_b128 v[4:7], v2 offset:1424
	ds_load_b128 v[20:23], v2 offset:1440
	v_fma_f64 v[16:17], v[16:17], v[154:155], -v[126:127]
	s_wait_loadcnt_dscnt 0x201
	v_mul_f64_e32 v[28:29], v[4:5], v[140:141]
	v_mul_f64_e32 v[132:133], v[6:7], v[140:141]
	v_add_f64_e32 v[18:19], v[130:131], v[128:129]
	v_add_f64_e32 v[24:25], v[24:25], v[26:27]
	s_wait_loadcnt_dscnt 0x100
	v_mul_f64_e32 v[26:27], v[20:21], v[10:11]
	v_mul_f64_e32 v[10:11], v[22:23], v[10:11]
	v_fmac_f64_e32 v[28:29], v[6:7], v[138:139]
	v_fma_f64 v[126:127], v[4:5], v[138:139], -v[132:133]
	ds_load_b128 v[4:7], v2 offset:1456
	v_add_f64_e32 v[16:17], v[18:19], v[16:17]
	v_add_f64_e32 v[18:19], v[24:25], v[30:31]
	v_fmac_f64_e32 v[26:27], v[22:23], v[8:9]
	v_fma_f64 v[8:9], v[20:21], v[8:9], -v[10:11]
	s_wait_loadcnt_dscnt 0x0
	v_mul_f64_e32 v[24:25], v[4:5], v[14:15]
	v_mul_f64_e32 v[14:15], v[6:7], v[14:15]
	v_add_f64_e32 v[10:11], v[16:17], v[126:127]
	v_add_f64_e32 v[16:17], v[18:19], v[28:29]
	s_delay_alu instid0(VALU_DEP_4) | instskip(NEXT) | instid1(VALU_DEP_4)
	v_fmac_f64_e32 v[24:25], v[6:7], v[12:13]
	v_fma_f64 v[4:5], v[4:5], v[12:13], -v[14:15]
	s_delay_alu instid0(VALU_DEP_4) | instskip(NEXT) | instid1(VALU_DEP_4)
	v_add_f64_e32 v[6:7], v[10:11], v[8:9]
	v_add_f64_e32 v[8:9], v[16:17], v[26:27]
	s_delay_alu instid0(VALU_DEP_2) | instskip(NEXT) | instid1(VALU_DEP_2)
	v_add_f64_e32 v[4:5], v[6:7], v[4:5]
	v_add_f64_e32 v[6:7], v[8:9], v[24:25]
	s_delay_alu instid0(VALU_DEP_2) | instskip(NEXT) | instid1(VALU_DEP_2)
	v_add_f64_e64 v[4:5], v[146:147], -v[4:5]
	v_add_f64_e64 v[6:7], v[148:149], -v[6:7]
	scratch_store_b128 off, v[4:7], off offset:480
	s_wait_xcnt 0x0
	v_cmpx_lt_u32_e32 29, v1
	s_cbranch_execz .LBB109_231
; %bb.230:
	scratch_load_b128 v[6:9], off, s33
	v_dual_mov_b32 v3, v2 :: v_dual_mov_b32 v4, v2
	v_mov_b32_e32 v5, v2
	scratch_store_b128 off, v[2:5], off offset:464
	s_wait_loadcnt 0x0
	ds_store_b128 v124, v[6:9]
.LBB109_231:
	s_wait_xcnt 0x0
	s_or_b32 exec_lo, exec_lo, s2
	s_wait_storecnt_dscnt 0x0
	s_barrier_signal -1
	s_barrier_wait -1
	s_clause 0x9
	scratch_load_b128 v[4:7], off, off offset:480
	scratch_load_b128 v[8:11], off, off offset:496
	;; [unrolled: 1-line block ×10, first 2 shown]
	ds_load_b128 v[138:141], v2 offset:1216
	ds_load_b128 v[146:149], v2 offset:1232
	s_clause 0x2
	scratch_load_b128 v[142:145], off, off offset:640
	scratch_load_b128 v[150:153], off, off offset:464
	;; [unrolled: 1-line block ×3, first 2 shown]
	s_mov_b32 s2, exec_lo
	s_wait_loadcnt_dscnt 0xc01
	v_mul_f64_e32 v[158:159], v[140:141], v[6:7]
	v_mul_f64_e32 v[162:163], v[138:139], v[6:7]
	s_wait_loadcnt_dscnt 0xb00
	v_mul_f64_e32 v[164:165], v[146:147], v[10:11]
	v_mul_f64_e32 v[10:11], v[148:149], v[10:11]
	s_delay_alu instid0(VALU_DEP_4) | instskip(NEXT) | instid1(VALU_DEP_4)
	v_fma_f64 v[166:167], v[138:139], v[4:5], -v[158:159]
	v_fmac_f64_e32 v[162:163], v[140:141], v[4:5]
	ds_load_b128 v[4:7], v2 offset:1248
	ds_load_b128 v[138:141], v2 offset:1264
	scratch_load_b128 v[158:161], off, off offset:672
	v_fmac_f64_e32 v[164:165], v[148:149], v[8:9]
	v_fma_f64 v[146:147], v[146:147], v[8:9], -v[10:11]
	scratch_load_b128 v[8:11], off, off offset:688
	s_wait_loadcnt_dscnt 0xc01
	v_mul_f64_e32 v[168:169], v[4:5], v[14:15]
	v_mul_f64_e32 v[14:15], v[6:7], v[14:15]
	v_add_f64_e32 v[148:149], 0, v[166:167]
	v_add_f64_e32 v[162:163], 0, v[162:163]
	s_wait_loadcnt_dscnt 0xb00
	v_mul_f64_e32 v[166:167], v[138:139], v[18:19]
	v_mul_f64_e32 v[18:19], v[140:141], v[18:19]
	v_fmac_f64_e32 v[168:169], v[6:7], v[12:13]
	v_fma_f64 v[170:171], v[4:5], v[12:13], -v[14:15]
	ds_load_b128 v[4:7], v2 offset:1280
	ds_load_b128 v[12:15], v2 offset:1296
	v_add_f64_e32 v[172:173], v[148:149], v[146:147]
	v_add_f64_e32 v[162:163], v[162:163], v[164:165]
	scratch_load_b128 v[146:149], off, off offset:704
	v_fmac_f64_e32 v[166:167], v[140:141], v[16:17]
	v_fma_f64 v[138:139], v[138:139], v[16:17], -v[18:19]
	scratch_load_b128 v[16:19], off, off offset:720
	s_wait_loadcnt_dscnt 0xc01
	v_mul_f64_e32 v[164:165], v[4:5], v[22:23]
	v_mul_f64_e32 v[22:23], v[6:7], v[22:23]
	v_add_f64_e32 v[140:141], v[172:173], v[170:171]
	v_add_f64_e32 v[162:163], v[162:163], v[168:169]
	s_wait_loadcnt_dscnt 0xb00
	v_mul_f64_e32 v[168:169], v[12:13], v[26:27]
	v_mul_f64_e32 v[26:27], v[14:15], v[26:27]
	v_fmac_f64_e32 v[164:165], v[6:7], v[20:21]
	v_fma_f64 v[170:171], v[4:5], v[20:21], -v[22:23]
	ds_load_b128 v[4:7], v2 offset:1312
	ds_load_b128 v[20:23], v2 offset:1328
	v_add_f64_e32 v[138:139], v[140:141], v[138:139]
	v_add_f64_e32 v[140:141], v[162:163], v[166:167]
	s_wait_loadcnt_dscnt 0xa01
	v_mul_f64_e32 v[162:163], v[4:5], v[30:31]
	v_mul_f64_e32 v[30:31], v[6:7], v[30:31]
	v_fmac_f64_e32 v[168:169], v[14:15], v[24:25]
	v_fma_f64 v[12:13], v[12:13], v[24:25], -v[26:27]
	s_wait_loadcnt_dscnt 0x900
	v_mul_f64_e32 v[26:27], v[20:21], v[128:129]
	v_mul_f64_e32 v[128:129], v[22:23], v[128:129]
	v_add_f64_e32 v[14:15], v[138:139], v[170:171]
	v_add_f64_e32 v[24:25], v[140:141], v[164:165]
	v_fmac_f64_e32 v[162:163], v[6:7], v[28:29]
	v_fma_f64 v[28:29], v[4:5], v[28:29], -v[30:31]
	v_fmac_f64_e32 v[26:27], v[22:23], v[126:127]
	v_fma_f64 v[20:21], v[20:21], v[126:127], -v[128:129]
	v_add_f64_e32 v[30:31], v[14:15], v[12:13]
	v_add_f64_e32 v[24:25], v[24:25], v[168:169]
	ds_load_b128 v[4:7], v2 offset:1344
	ds_load_b128 v[12:15], v2 offset:1360
	s_wait_loadcnt_dscnt 0x801
	v_mul_f64_e32 v[138:139], v[4:5], v[132:133]
	v_mul_f64_e32 v[132:133], v[6:7], v[132:133]
	v_add_f64_e32 v[22:23], v[30:31], v[28:29]
	v_add_f64_e32 v[24:25], v[24:25], v[162:163]
	s_wait_loadcnt_dscnt 0x700
	v_mul_f64_e32 v[28:29], v[12:13], v[136:137]
	v_mul_f64_e32 v[30:31], v[14:15], v[136:137]
	v_fmac_f64_e32 v[138:139], v[6:7], v[130:131]
	v_fma_f64 v[126:127], v[4:5], v[130:131], -v[132:133]
	v_add_f64_e32 v[128:129], v[22:23], v[20:21]
	v_add_f64_e32 v[24:25], v[24:25], v[26:27]
	ds_load_b128 v[4:7], v2 offset:1376
	ds_load_b128 v[20:23], v2 offset:1392
	v_fmac_f64_e32 v[28:29], v[14:15], v[134:135]
	v_fma_f64 v[12:13], v[12:13], v[134:135], -v[30:31]
	s_wait_loadcnt_dscnt 0x601
	v_mul_f64_e32 v[26:27], v[4:5], v[144:145]
	v_mul_f64_e32 v[130:131], v[6:7], v[144:145]
	s_wait_loadcnt_dscnt 0x400
	v_mul_f64_e32 v[30:31], v[20:21], v[156:157]
	v_add_f64_e32 v[14:15], v[128:129], v[126:127]
	v_add_f64_e32 v[24:25], v[24:25], v[138:139]
	v_mul_f64_e32 v[126:127], v[22:23], v[156:157]
	v_fmac_f64_e32 v[26:27], v[6:7], v[142:143]
	v_fma_f64 v[128:129], v[4:5], v[142:143], -v[130:131]
	v_fmac_f64_e32 v[30:31], v[22:23], v[154:155]
	v_add_f64_e32 v[130:131], v[14:15], v[12:13]
	v_add_f64_e32 v[24:25], v[24:25], v[28:29]
	ds_load_b128 v[4:7], v2 offset:1408
	ds_load_b128 v[12:15], v2 offset:1424
	v_fma_f64 v[20:21], v[20:21], v[154:155], -v[126:127]
	s_wait_loadcnt_dscnt 0x301
	v_mul_f64_e32 v[28:29], v[4:5], v[160:161]
	v_mul_f64_e32 v[132:133], v[6:7], v[160:161]
	v_add_f64_e32 v[22:23], v[130:131], v[128:129]
	v_add_f64_e32 v[24:25], v[24:25], v[26:27]
	s_wait_loadcnt_dscnt 0x200
	v_mul_f64_e32 v[26:27], v[12:13], v[10:11]
	v_mul_f64_e32 v[10:11], v[14:15], v[10:11]
	v_fmac_f64_e32 v[28:29], v[6:7], v[158:159]
	v_fma_f64 v[126:127], v[4:5], v[158:159], -v[132:133]
	v_add_f64_e32 v[128:129], v[22:23], v[20:21]
	v_add_f64_e32 v[24:25], v[24:25], v[30:31]
	ds_load_b128 v[4:7], v2 offset:1440
	ds_load_b128 v[20:23], v2 offset:1456
	v_fmac_f64_e32 v[26:27], v[14:15], v[8:9]
	v_fma_f64 v[8:9], v[12:13], v[8:9], -v[10:11]
	s_wait_loadcnt_dscnt 0x101
	v_mul_f64_e32 v[2:3], v[4:5], v[148:149]
	v_mul_f64_e32 v[30:31], v[6:7], v[148:149]
	s_wait_loadcnt_dscnt 0x0
	v_mul_f64_e32 v[14:15], v[20:21], v[18:19]
	v_mul_f64_e32 v[18:19], v[22:23], v[18:19]
	v_add_f64_e32 v[10:11], v[128:129], v[126:127]
	v_add_f64_e32 v[12:13], v[24:25], v[28:29]
	v_fmac_f64_e32 v[2:3], v[6:7], v[146:147]
	v_fma_f64 v[4:5], v[4:5], v[146:147], -v[30:31]
	v_fmac_f64_e32 v[14:15], v[22:23], v[16:17]
	v_add_f64_e32 v[6:7], v[10:11], v[8:9]
	v_add_f64_e32 v[8:9], v[12:13], v[26:27]
	v_fma_f64 v[10:11], v[20:21], v[16:17], -v[18:19]
	s_delay_alu instid0(VALU_DEP_3) | instskip(NEXT) | instid1(VALU_DEP_3)
	v_add_f64_e32 v[4:5], v[6:7], v[4:5]
	v_add_f64_e32 v[2:3], v[8:9], v[2:3]
	s_delay_alu instid0(VALU_DEP_2) | instskip(NEXT) | instid1(VALU_DEP_2)
	v_add_f64_e32 v[4:5], v[4:5], v[10:11]
	v_add_f64_e32 v[6:7], v[2:3], v[14:15]
	s_delay_alu instid0(VALU_DEP_2) | instskip(NEXT) | instid1(VALU_DEP_2)
	v_add_f64_e64 v[2:3], v[150:151], -v[4:5]
	v_add_f64_e64 v[4:5], v[152:153], -v[6:7]
	scratch_store_b128 off, v[2:5], off offset:464
	s_wait_xcnt 0x0
	v_cmpx_lt_u32_e32 28, v1
	s_cbranch_execz .LBB109_233
; %bb.232:
	scratch_load_b128 v[2:5], off, s34
	v_mov_b32_e32 v6, 0
	s_delay_alu instid0(VALU_DEP_1)
	v_dual_mov_b32 v7, v6 :: v_dual_mov_b32 v8, v6
	v_mov_b32_e32 v9, v6
	scratch_store_b128 off, v[6:9], off offset:448
	s_wait_loadcnt 0x0
	ds_store_b128 v124, v[2:5]
.LBB109_233:
	s_wait_xcnt 0x0
	s_or_b32 exec_lo, exec_lo, s2
	s_wait_storecnt_dscnt 0x0
	s_barrier_signal -1
	s_barrier_wait -1
	s_clause 0x9
	scratch_load_b128 v[4:7], off, off offset:464
	scratch_load_b128 v[8:11], off, off offset:480
	;; [unrolled: 1-line block ×10, first 2 shown]
	v_mov_b32_e32 v2, 0
	s_mov_b32 s2, exec_lo
	ds_load_b128 v[138:141], v2 offset:1200
	s_clause 0x2
	scratch_load_b128 v[142:145], off, off offset:624
	scratch_load_b128 v[146:149], off, off offset:448
	;; [unrolled: 1-line block ×3, first 2 shown]
	s_wait_loadcnt_dscnt 0xc00
	v_mul_f64_e32 v[158:159], v[140:141], v[6:7]
	v_mul_f64_e32 v[162:163], v[138:139], v[6:7]
	ds_load_b128 v[150:153], v2 offset:1216
	v_fma_f64 v[166:167], v[138:139], v[4:5], -v[158:159]
	v_fmac_f64_e32 v[162:163], v[140:141], v[4:5]
	ds_load_b128 v[4:7], v2 offset:1232
	s_wait_loadcnt_dscnt 0xb01
	v_mul_f64_e32 v[164:165], v[150:151], v[10:11]
	v_mul_f64_e32 v[10:11], v[152:153], v[10:11]
	scratch_load_b128 v[138:141], off, off offset:656
	ds_load_b128 v[158:161], v2 offset:1248
	s_wait_loadcnt_dscnt 0xb01
	v_mul_f64_e32 v[168:169], v[4:5], v[14:15]
	v_mul_f64_e32 v[14:15], v[6:7], v[14:15]
	v_add_f64_e32 v[162:163], 0, v[162:163]
	v_fmac_f64_e32 v[164:165], v[152:153], v[8:9]
	v_fma_f64 v[150:151], v[150:151], v[8:9], -v[10:11]
	v_add_f64_e32 v[152:153], 0, v[166:167]
	scratch_load_b128 v[8:11], off, off offset:672
	v_fmac_f64_e32 v[168:169], v[6:7], v[12:13]
	v_fma_f64 v[170:171], v[4:5], v[12:13], -v[14:15]
	ds_load_b128 v[4:7], v2 offset:1264
	s_wait_loadcnt_dscnt 0xb01
	v_mul_f64_e32 v[166:167], v[158:159], v[18:19]
	v_mul_f64_e32 v[18:19], v[160:161], v[18:19]
	scratch_load_b128 v[12:15], off, off offset:688
	v_add_f64_e32 v[162:163], v[162:163], v[164:165]
	v_add_f64_e32 v[172:173], v[152:153], v[150:151]
	ds_load_b128 v[150:153], v2 offset:1280
	s_wait_loadcnt_dscnt 0xb01
	v_mul_f64_e32 v[164:165], v[4:5], v[22:23]
	v_mul_f64_e32 v[22:23], v[6:7], v[22:23]
	v_fmac_f64_e32 v[166:167], v[160:161], v[16:17]
	v_fma_f64 v[158:159], v[158:159], v[16:17], -v[18:19]
	scratch_load_b128 v[16:19], off, off offset:704
	v_add_f64_e32 v[162:163], v[162:163], v[168:169]
	v_add_f64_e32 v[160:161], v[172:173], v[170:171]
	v_fmac_f64_e32 v[164:165], v[6:7], v[20:21]
	v_fma_f64 v[170:171], v[4:5], v[20:21], -v[22:23]
	ds_load_b128 v[4:7], v2 offset:1296
	s_wait_loadcnt_dscnt 0xb01
	v_mul_f64_e32 v[168:169], v[150:151], v[26:27]
	v_mul_f64_e32 v[26:27], v[152:153], v[26:27]
	scratch_load_b128 v[20:23], off, off offset:720
	v_add_f64_e32 v[162:163], v[162:163], v[166:167]
	s_wait_loadcnt_dscnt 0xb00
	v_mul_f64_e32 v[166:167], v[4:5], v[30:31]
	v_add_f64_e32 v[172:173], v[160:161], v[158:159]
	v_mul_f64_e32 v[30:31], v[6:7], v[30:31]
	ds_load_b128 v[158:161], v2 offset:1312
	v_fmac_f64_e32 v[168:169], v[152:153], v[24:25]
	v_fma_f64 v[24:25], v[150:151], v[24:25], -v[26:27]
	s_wait_loadcnt_dscnt 0xa00
	v_mul_f64_e32 v[152:153], v[158:159], v[128:129]
	v_mul_f64_e32 v[128:129], v[160:161], v[128:129]
	v_add_f64_e32 v[150:151], v[162:163], v[164:165]
	v_fmac_f64_e32 v[166:167], v[6:7], v[28:29]
	v_add_f64_e32 v[26:27], v[172:173], v[170:171]
	v_fma_f64 v[28:29], v[4:5], v[28:29], -v[30:31]
	v_fmac_f64_e32 v[152:153], v[160:161], v[126:127]
	v_fma_f64 v[126:127], v[158:159], v[126:127], -v[128:129]
	v_add_f64_e32 v[150:151], v[150:151], v[168:169]
	v_add_f64_e32 v[30:31], v[26:27], v[24:25]
	ds_load_b128 v[4:7], v2 offset:1328
	ds_load_b128 v[24:27], v2 offset:1344
	s_wait_loadcnt_dscnt 0x901
	v_mul_f64_e32 v[162:163], v[4:5], v[132:133]
	v_mul_f64_e32 v[132:133], v[6:7], v[132:133]
	s_wait_loadcnt_dscnt 0x800
	v_mul_f64_e32 v[128:129], v[24:25], v[136:137]
	v_mul_f64_e32 v[136:137], v[26:27], v[136:137]
	v_add_f64_e32 v[28:29], v[30:31], v[28:29]
	v_add_f64_e32 v[30:31], v[150:151], v[166:167]
	v_fmac_f64_e32 v[162:163], v[6:7], v[130:131]
	v_fma_f64 v[130:131], v[4:5], v[130:131], -v[132:133]
	v_fmac_f64_e32 v[128:129], v[26:27], v[134:135]
	v_fma_f64 v[24:25], v[24:25], v[134:135], -v[136:137]
	v_add_f64_e32 v[126:127], v[28:29], v[126:127]
	v_add_f64_e32 v[132:133], v[30:31], v[152:153]
	ds_load_b128 v[4:7], v2 offset:1360
	ds_load_b128 v[28:31], v2 offset:1376
	s_wait_loadcnt_dscnt 0x701
	v_mul_f64_e32 v[150:151], v[4:5], v[144:145]
	v_mul_f64_e32 v[144:145], v[6:7], v[144:145]
	v_add_f64_e32 v[26:27], v[126:127], v[130:131]
	v_add_f64_e32 v[126:127], v[132:133], v[162:163]
	s_wait_loadcnt_dscnt 0x500
	v_mul_f64_e32 v[130:131], v[28:29], v[156:157]
	v_mul_f64_e32 v[132:133], v[30:31], v[156:157]
	v_fmac_f64_e32 v[150:151], v[6:7], v[142:143]
	v_fma_f64 v[134:135], v[4:5], v[142:143], -v[144:145]
	v_add_f64_e32 v[136:137], v[26:27], v[24:25]
	v_add_f64_e32 v[126:127], v[126:127], v[128:129]
	ds_load_b128 v[4:7], v2 offset:1392
	ds_load_b128 v[24:27], v2 offset:1408
	v_fmac_f64_e32 v[130:131], v[30:31], v[154:155]
	v_fma_f64 v[28:29], v[28:29], v[154:155], -v[132:133]
	s_wait_loadcnt_dscnt 0x401
	v_mul_f64_e32 v[128:129], v[4:5], v[140:141]
	v_mul_f64_e32 v[140:141], v[6:7], v[140:141]
	v_add_f64_e32 v[30:31], v[136:137], v[134:135]
	v_add_f64_e32 v[126:127], v[126:127], v[150:151]
	s_wait_loadcnt_dscnt 0x300
	v_mul_f64_e32 v[132:133], v[24:25], v[10:11]
	v_mul_f64_e32 v[10:11], v[26:27], v[10:11]
	v_fmac_f64_e32 v[128:129], v[6:7], v[138:139]
	v_fma_f64 v[134:135], v[4:5], v[138:139], -v[140:141]
	v_add_f64_e32 v[136:137], v[30:31], v[28:29]
	v_add_f64_e32 v[126:127], v[126:127], v[130:131]
	ds_load_b128 v[4:7], v2 offset:1424
	ds_load_b128 v[28:31], v2 offset:1440
	v_fmac_f64_e32 v[132:133], v[26:27], v[8:9]
	v_fma_f64 v[8:9], v[24:25], v[8:9], -v[10:11]
	s_wait_loadcnt_dscnt 0x201
	v_mul_f64_e32 v[130:131], v[4:5], v[14:15]
	v_mul_f64_e32 v[14:15], v[6:7], v[14:15]
	s_wait_loadcnt_dscnt 0x100
	v_mul_f64_e32 v[26:27], v[28:29], v[18:19]
	v_mul_f64_e32 v[18:19], v[30:31], v[18:19]
	v_add_f64_e32 v[10:11], v[136:137], v[134:135]
	v_add_f64_e32 v[24:25], v[126:127], v[128:129]
	v_fmac_f64_e32 v[130:131], v[6:7], v[12:13]
	v_fma_f64 v[12:13], v[4:5], v[12:13], -v[14:15]
	ds_load_b128 v[4:7], v2 offset:1456
	v_fmac_f64_e32 v[26:27], v[30:31], v[16:17]
	v_fma_f64 v[16:17], v[28:29], v[16:17], -v[18:19]
	v_add_f64_e32 v[8:9], v[10:11], v[8:9]
	v_add_f64_e32 v[10:11], v[24:25], v[132:133]
	s_wait_loadcnt_dscnt 0x0
	v_mul_f64_e32 v[14:15], v[4:5], v[22:23]
	v_mul_f64_e32 v[22:23], v[6:7], v[22:23]
	s_delay_alu instid0(VALU_DEP_4) | instskip(NEXT) | instid1(VALU_DEP_4)
	v_add_f64_e32 v[8:9], v[8:9], v[12:13]
	v_add_f64_e32 v[10:11], v[10:11], v[130:131]
	s_delay_alu instid0(VALU_DEP_4) | instskip(NEXT) | instid1(VALU_DEP_4)
	v_fmac_f64_e32 v[14:15], v[6:7], v[20:21]
	v_fma_f64 v[4:5], v[4:5], v[20:21], -v[22:23]
	s_delay_alu instid0(VALU_DEP_4) | instskip(NEXT) | instid1(VALU_DEP_4)
	v_add_f64_e32 v[6:7], v[8:9], v[16:17]
	v_add_f64_e32 v[8:9], v[10:11], v[26:27]
	s_delay_alu instid0(VALU_DEP_2) | instskip(NEXT) | instid1(VALU_DEP_2)
	v_add_f64_e32 v[4:5], v[6:7], v[4:5]
	v_add_f64_e32 v[6:7], v[8:9], v[14:15]
	s_delay_alu instid0(VALU_DEP_2) | instskip(NEXT) | instid1(VALU_DEP_2)
	v_add_f64_e64 v[4:5], v[146:147], -v[4:5]
	v_add_f64_e64 v[6:7], v[148:149], -v[6:7]
	scratch_store_b128 off, v[4:7], off offset:448
	s_wait_xcnt 0x0
	v_cmpx_lt_u32_e32 27, v1
	s_cbranch_execz .LBB109_235
; %bb.234:
	scratch_load_b128 v[6:9], off, s35
	v_dual_mov_b32 v3, v2 :: v_dual_mov_b32 v4, v2
	v_mov_b32_e32 v5, v2
	scratch_store_b128 off, v[2:5], off offset:432
	s_wait_loadcnt 0x0
	ds_store_b128 v124, v[6:9]
.LBB109_235:
	s_wait_xcnt 0x0
	s_or_b32 exec_lo, exec_lo, s2
	s_wait_storecnt_dscnt 0x0
	s_barrier_signal -1
	s_barrier_wait -1
	s_clause 0x9
	scratch_load_b128 v[4:7], off, off offset:448
	scratch_load_b128 v[8:11], off, off offset:464
	;; [unrolled: 1-line block ×10, first 2 shown]
	ds_load_b128 v[138:141], v2 offset:1184
	ds_load_b128 v[146:149], v2 offset:1200
	s_clause 0x2
	scratch_load_b128 v[142:145], off, off offset:608
	scratch_load_b128 v[150:153], off, off offset:432
	;; [unrolled: 1-line block ×3, first 2 shown]
	s_mov_b32 s2, exec_lo
	s_wait_loadcnt_dscnt 0xc01
	v_mul_f64_e32 v[158:159], v[140:141], v[6:7]
	v_mul_f64_e32 v[162:163], v[138:139], v[6:7]
	s_wait_loadcnt_dscnt 0xb00
	v_mul_f64_e32 v[164:165], v[146:147], v[10:11]
	v_mul_f64_e32 v[10:11], v[148:149], v[10:11]
	s_delay_alu instid0(VALU_DEP_4) | instskip(NEXT) | instid1(VALU_DEP_4)
	v_fma_f64 v[166:167], v[138:139], v[4:5], -v[158:159]
	v_fmac_f64_e32 v[162:163], v[140:141], v[4:5]
	ds_load_b128 v[4:7], v2 offset:1216
	ds_load_b128 v[138:141], v2 offset:1232
	scratch_load_b128 v[158:161], off, off offset:640
	v_fmac_f64_e32 v[164:165], v[148:149], v[8:9]
	v_fma_f64 v[146:147], v[146:147], v[8:9], -v[10:11]
	scratch_load_b128 v[8:11], off, off offset:656
	s_wait_loadcnt_dscnt 0xc01
	v_mul_f64_e32 v[168:169], v[4:5], v[14:15]
	v_mul_f64_e32 v[14:15], v[6:7], v[14:15]
	v_add_f64_e32 v[148:149], 0, v[166:167]
	v_add_f64_e32 v[162:163], 0, v[162:163]
	s_wait_loadcnt_dscnt 0xb00
	v_mul_f64_e32 v[166:167], v[138:139], v[18:19]
	v_mul_f64_e32 v[18:19], v[140:141], v[18:19]
	v_fmac_f64_e32 v[168:169], v[6:7], v[12:13]
	v_fma_f64 v[170:171], v[4:5], v[12:13], -v[14:15]
	ds_load_b128 v[4:7], v2 offset:1248
	ds_load_b128 v[12:15], v2 offset:1264
	v_add_f64_e32 v[172:173], v[148:149], v[146:147]
	v_add_f64_e32 v[162:163], v[162:163], v[164:165]
	scratch_load_b128 v[146:149], off, off offset:672
	v_fmac_f64_e32 v[166:167], v[140:141], v[16:17]
	v_fma_f64 v[138:139], v[138:139], v[16:17], -v[18:19]
	scratch_load_b128 v[16:19], off, off offset:688
	s_wait_loadcnt_dscnt 0xc01
	v_mul_f64_e32 v[164:165], v[4:5], v[22:23]
	v_mul_f64_e32 v[22:23], v[6:7], v[22:23]
	v_add_f64_e32 v[140:141], v[172:173], v[170:171]
	v_add_f64_e32 v[162:163], v[162:163], v[168:169]
	s_wait_loadcnt_dscnt 0xb00
	v_mul_f64_e32 v[168:169], v[12:13], v[26:27]
	v_mul_f64_e32 v[26:27], v[14:15], v[26:27]
	v_fmac_f64_e32 v[164:165], v[6:7], v[20:21]
	v_fma_f64 v[170:171], v[4:5], v[20:21], -v[22:23]
	ds_load_b128 v[4:7], v2 offset:1280
	ds_load_b128 v[20:23], v2 offset:1296
	v_add_f64_e32 v[172:173], v[140:141], v[138:139]
	v_add_f64_e32 v[162:163], v[162:163], v[166:167]
	scratch_load_b128 v[138:141], off, off offset:704
	s_wait_loadcnt_dscnt 0xb01
	v_mul_f64_e32 v[166:167], v[4:5], v[30:31]
	v_mul_f64_e32 v[30:31], v[6:7], v[30:31]
	v_fmac_f64_e32 v[168:169], v[14:15], v[24:25]
	v_fma_f64 v[24:25], v[12:13], v[24:25], -v[26:27]
	scratch_load_b128 v[12:15], off, off offset:720
	v_add_f64_e32 v[26:27], v[172:173], v[170:171]
	v_add_f64_e32 v[162:163], v[162:163], v[164:165]
	s_wait_loadcnt_dscnt 0xb00
	v_mul_f64_e32 v[164:165], v[20:21], v[128:129]
	v_mul_f64_e32 v[128:129], v[22:23], v[128:129]
	v_fmac_f64_e32 v[166:167], v[6:7], v[28:29]
	v_fma_f64 v[28:29], v[4:5], v[28:29], -v[30:31]
	v_add_f64_e32 v[30:31], v[26:27], v[24:25]
	v_add_f64_e32 v[162:163], v[162:163], v[168:169]
	ds_load_b128 v[4:7], v2 offset:1312
	ds_load_b128 v[24:27], v2 offset:1328
	v_fmac_f64_e32 v[164:165], v[22:23], v[126:127]
	v_fma_f64 v[20:21], v[20:21], v[126:127], -v[128:129]
	s_wait_loadcnt_dscnt 0xa01
	v_mul_f64_e32 v[168:169], v[4:5], v[132:133]
	v_mul_f64_e32 v[132:133], v[6:7], v[132:133]
	s_wait_loadcnt_dscnt 0x900
	v_mul_f64_e32 v[126:127], v[26:27], v[136:137]
	v_add_f64_e32 v[22:23], v[30:31], v[28:29]
	v_add_f64_e32 v[28:29], v[162:163], v[166:167]
	v_mul_f64_e32 v[30:31], v[24:25], v[136:137]
	v_fmac_f64_e32 v[168:169], v[6:7], v[130:131]
	v_fma_f64 v[128:129], v[4:5], v[130:131], -v[132:133]
	v_fma_f64 v[24:25], v[24:25], v[134:135], -v[126:127]
	v_add_f64_e32 v[130:131], v[22:23], v[20:21]
	v_add_f64_e32 v[28:29], v[28:29], v[164:165]
	ds_load_b128 v[4:7], v2 offset:1344
	ds_load_b128 v[20:23], v2 offset:1360
	v_fmac_f64_e32 v[30:31], v[26:27], v[134:135]
	s_wait_loadcnt_dscnt 0x801
	v_mul_f64_e32 v[132:133], v[4:5], v[144:145]
	v_mul_f64_e32 v[136:137], v[6:7], v[144:145]
	s_wait_loadcnt_dscnt 0x600
	v_mul_f64_e32 v[126:127], v[20:21], v[156:157]
	v_add_f64_e32 v[26:27], v[130:131], v[128:129]
	v_add_f64_e32 v[28:29], v[28:29], v[168:169]
	v_mul_f64_e32 v[128:129], v[22:23], v[156:157]
	v_fmac_f64_e32 v[132:133], v[6:7], v[142:143]
	v_fma_f64 v[130:131], v[4:5], v[142:143], -v[136:137]
	v_fmac_f64_e32 v[126:127], v[22:23], v[154:155]
	v_add_f64_e32 v[134:135], v[26:27], v[24:25]
	v_add_f64_e32 v[28:29], v[28:29], v[30:31]
	ds_load_b128 v[4:7], v2 offset:1376
	ds_load_b128 v[24:27], v2 offset:1392
	v_fma_f64 v[20:21], v[20:21], v[154:155], -v[128:129]
	s_wait_loadcnt_dscnt 0x501
	v_mul_f64_e32 v[30:31], v[4:5], v[160:161]
	v_mul_f64_e32 v[136:137], v[6:7], v[160:161]
	s_wait_loadcnt_dscnt 0x400
	v_mul_f64_e32 v[128:129], v[24:25], v[10:11]
	v_mul_f64_e32 v[10:11], v[26:27], v[10:11]
	v_add_f64_e32 v[22:23], v[134:135], v[130:131]
	v_add_f64_e32 v[28:29], v[28:29], v[132:133]
	v_fmac_f64_e32 v[30:31], v[6:7], v[158:159]
	v_fma_f64 v[130:131], v[4:5], v[158:159], -v[136:137]
	v_fmac_f64_e32 v[128:129], v[26:27], v[8:9]
	v_fma_f64 v[8:9], v[24:25], v[8:9], -v[10:11]
	v_add_f64_e32 v[132:133], v[22:23], v[20:21]
	v_add_f64_e32 v[28:29], v[28:29], v[126:127]
	ds_load_b128 v[4:7], v2 offset:1408
	ds_load_b128 v[20:23], v2 offset:1424
	s_wait_loadcnt_dscnt 0x301
	v_mul_f64_e32 v[126:127], v[4:5], v[148:149]
	v_mul_f64_e32 v[134:135], v[6:7], v[148:149]
	s_wait_loadcnt_dscnt 0x200
	v_mul_f64_e32 v[26:27], v[20:21], v[18:19]
	v_mul_f64_e32 v[18:19], v[22:23], v[18:19]
	v_add_f64_e32 v[10:11], v[132:133], v[130:131]
	v_add_f64_e32 v[24:25], v[28:29], v[30:31]
	v_fmac_f64_e32 v[126:127], v[6:7], v[146:147]
	v_fma_f64 v[28:29], v[4:5], v[146:147], -v[134:135]
	v_fmac_f64_e32 v[26:27], v[22:23], v[16:17]
	v_fma_f64 v[16:17], v[20:21], v[16:17], -v[18:19]
	v_add_f64_e32 v[30:31], v[10:11], v[8:9]
	v_add_f64_e32 v[24:25], v[24:25], v[128:129]
	ds_load_b128 v[4:7], v2 offset:1440
	ds_load_b128 v[8:11], v2 offset:1456
	s_wait_loadcnt_dscnt 0x101
	v_mul_f64_e32 v[2:3], v[4:5], v[140:141]
	v_mul_f64_e32 v[128:129], v[6:7], v[140:141]
	s_wait_loadcnt_dscnt 0x0
	v_mul_f64_e32 v[22:23], v[8:9], v[14:15]
	v_mul_f64_e32 v[14:15], v[10:11], v[14:15]
	v_add_f64_e32 v[18:19], v[30:31], v[28:29]
	v_add_f64_e32 v[20:21], v[24:25], v[126:127]
	v_fmac_f64_e32 v[2:3], v[6:7], v[138:139]
	v_fma_f64 v[4:5], v[4:5], v[138:139], -v[128:129]
	v_fmac_f64_e32 v[22:23], v[10:11], v[12:13]
	v_fma_f64 v[8:9], v[8:9], v[12:13], -v[14:15]
	v_add_f64_e32 v[6:7], v[18:19], v[16:17]
	v_add_f64_e32 v[16:17], v[20:21], v[26:27]
	s_delay_alu instid0(VALU_DEP_2) | instskip(NEXT) | instid1(VALU_DEP_2)
	v_add_f64_e32 v[4:5], v[6:7], v[4:5]
	v_add_f64_e32 v[2:3], v[16:17], v[2:3]
	s_delay_alu instid0(VALU_DEP_2) | instskip(NEXT) | instid1(VALU_DEP_2)
	;; [unrolled: 3-line block ×3, first 2 shown]
	v_add_f64_e64 v[2:3], v[150:151], -v[4:5]
	v_add_f64_e64 v[4:5], v[152:153], -v[6:7]
	scratch_store_b128 off, v[2:5], off offset:432
	s_wait_xcnt 0x0
	v_cmpx_lt_u32_e32 26, v1
	s_cbranch_execz .LBB109_237
; %bb.236:
	scratch_load_b128 v[2:5], off, s36
	v_mov_b32_e32 v6, 0
	s_delay_alu instid0(VALU_DEP_1)
	v_dual_mov_b32 v7, v6 :: v_dual_mov_b32 v8, v6
	v_mov_b32_e32 v9, v6
	scratch_store_b128 off, v[6:9], off offset:416
	s_wait_loadcnt 0x0
	ds_store_b128 v124, v[2:5]
.LBB109_237:
	s_wait_xcnt 0x0
	s_or_b32 exec_lo, exec_lo, s2
	s_wait_storecnt_dscnt 0x0
	s_barrier_signal -1
	s_barrier_wait -1
	s_clause 0x9
	scratch_load_b128 v[4:7], off, off offset:432
	scratch_load_b128 v[8:11], off, off offset:448
	;; [unrolled: 1-line block ×10, first 2 shown]
	v_mov_b32_e32 v2, 0
	s_mov_b32 s2, exec_lo
	ds_load_b128 v[138:141], v2 offset:1168
	s_clause 0x2
	scratch_load_b128 v[142:145], off, off offset:592
	scratch_load_b128 v[146:149], off, off offset:416
	;; [unrolled: 1-line block ×3, first 2 shown]
	s_wait_loadcnt_dscnt 0xc00
	v_mul_f64_e32 v[158:159], v[140:141], v[6:7]
	v_mul_f64_e32 v[162:163], v[138:139], v[6:7]
	ds_load_b128 v[150:153], v2 offset:1184
	v_fma_f64 v[166:167], v[138:139], v[4:5], -v[158:159]
	v_fmac_f64_e32 v[162:163], v[140:141], v[4:5]
	ds_load_b128 v[4:7], v2 offset:1200
	s_wait_loadcnt_dscnt 0xb01
	v_mul_f64_e32 v[164:165], v[150:151], v[10:11]
	v_mul_f64_e32 v[10:11], v[152:153], v[10:11]
	scratch_load_b128 v[138:141], off, off offset:624
	ds_load_b128 v[158:161], v2 offset:1216
	s_wait_loadcnt_dscnt 0xb01
	v_mul_f64_e32 v[168:169], v[4:5], v[14:15]
	v_mul_f64_e32 v[14:15], v[6:7], v[14:15]
	v_add_f64_e32 v[162:163], 0, v[162:163]
	v_fmac_f64_e32 v[164:165], v[152:153], v[8:9]
	v_fma_f64 v[150:151], v[150:151], v[8:9], -v[10:11]
	v_add_f64_e32 v[152:153], 0, v[166:167]
	scratch_load_b128 v[8:11], off, off offset:640
	v_fmac_f64_e32 v[168:169], v[6:7], v[12:13]
	v_fma_f64 v[170:171], v[4:5], v[12:13], -v[14:15]
	ds_load_b128 v[4:7], v2 offset:1232
	s_wait_loadcnt_dscnt 0xb01
	v_mul_f64_e32 v[166:167], v[158:159], v[18:19]
	v_mul_f64_e32 v[18:19], v[160:161], v[18:19]
	scratch_load_b128 v[12:15], off, off offset:656
	v_add_f64_e32 v[162:163], v[162:163], v[164:165]
	v_add_f64_e32 v[172:173], v[152:153], v[150:151]
	ds_load_b128 v[150:153], v2 offset:1248
	s_wait_loadcnt_dscnt 0xb01
	v_mul_f64_e32 v[164:165], v[4:5], v[22:23]
	v_mul_f64_e32 v[22:23], v[6:7], v[22:23]
	v_fmac_f64_e32 v[166:167], v[160:161], v[16:17]
	v_fma_f64 v[158:159], v[158:159], v[16:17], -v[18:19]
	scratch_load_b128 v[16:19], off, off offset:672
	v_add_f64_e32 v[162:163], v[162:163], v[168:169]
	v_add_f64_e32 v[160:161], v[172:173], v[170:171]
	v_fmac_f64_e32 v[164:165], v[6:7], v[20:21]
	v_fma_f64 v[170:171], v[4:5], v[20:21], -v[22:23]
	ds_load_b128 v[4:7], v2 offset:1264
	s_wait_loadcnt_dscnt 0xb01
	v_mul_f64_e32 v[168:169], v[150:151], v[26:27]
	v_mul_f64_e32 v[26:27], v[152:153], v[26:27]
	scratch_load_b128 v[20:23], off, off offset:688
	v_add_f64_e32 v[162:163], v[162:163], v[166:167]
	s_wait_loadcnt_dscnt 0xb00
	v_mul_f64_e32 v[166:167], v[4:5], v[30:31]
	v_add_f64_e32 v[172:173], v[160:161], v[158:159]
	v_mul_f64_e32 v[30:31], v[6:7], v[30:31]
	ds_load_b128 v[158:161], v2 offset:1280
	v_fmac_f64_e32 v[168:169], v[152:153], v[24:25]
	v_fma_f64 v[150:151], v[150:151], v[24:25], -v[26:27]
	scratch_load_b128 v[24:27], off, off offset:704
	v_add_f64_e32 v[162:163], v[162:163], v[164:165]
	v_fmac_f64_e32 v[166:167], v[6:7], v[28:29]
	v_add_f64_e32 v[152:153], v[172:173], v[170:171]
	v_fma_f64 v[170:171], v[4:5], v[28:29], -v[30:31]
	ds_load_b128 v[4:7], v2 offset:1296
	s_wait_loadcnt_dscnt 0xb01
	v_mul_f64_e32 v[164:165], v[158:159], v[128:129]
	v_mul_f64_e32 v[128:129], v[160:161], v[128:129]
	scratch_load_b128 v[28:31], off, off offset:720
	v_add_f64_e32 v[162:163], v[162:163], v[168:169]
	s_wait_loadcnt_dscnt 0xb00
	v_mul_f64_e32 v[168:169], v[4:5], v[132:133]
	v_add_f64_e32 v[172:173], v[152:153], v[150:151]
	v_mul_f64_e32 v[132:133], v[6:7], v[132:133]
	ds_load_b128 v[150:153], v2 offset:1312
	v_fmac_f64_e32 v[164:165], v[160:161], v[126:127]
	v_fma_f64 v[126:127], v[158:159], v[126:127], -v[128:129]
	s_wait_loadcnt_dscnt 0xa00
	v_mul_f64_e32 v[160:161], v[150:151], v[136:137]
	v_mul_f64_e32 v[136:137], v[152:153], v[136:137]
	v_add_f64_e32 v[158:159], v[162:163], v[166:167]
	v_fmac_f64_e32 v[168:169], v[6:7], v[130:131]
	v_add_f64_e32 v[128:129], v[172:173], v[170:171]
	v_fma_f64 v[130:131], v[4:5], v[130:131], -v[132:133]
	v_fmac_f64_e32 v[160:161], v[152:153], v[134:135]
	v_fma_f64 v[134:135], v[150:151], v[134:135], -v[136:137]
	v_add_f64_e32 v[158:159], v[158:159], v[164:165]
	v_add_f64_e32 v[132:133], v[128:129], v[126:127]
	ds_load_b128 v[4:7], v2 offset:1328
	ds_load_b128 v[126:129], v2 offset:1344
	s_wait_loadcnt_dscnt 0x901
	v_mul_f64_e32 v[162:163], v[4:5], v[144:145]
	v_mul_f64_e32 v[144:145], v[6:7], v[144:145]
	s_wait_loadcnt_dscnt 0x700
	v_mul_f64_e32 v[136:137], v[126:127], v[156:157]
	v_mul_f64_e32 v[150:151], v[128:129], v[156:157]
	v_add_f64_e32 v[130:131], v[132:133], v[130:131]
	v_add_f64_e32 v[132:133], v[158:159], v[168:169]
	v_fmac_f64_e32 v[162:163], v[6:7], v[142:143]
	v_fma_f64 v[142:143], v[4:5], v[142:143], -v[144:145]
	v_fmac_f64_e32 v[136:137], v[128:129], v[154:155]
	v_fma_f64 v[126:127], v[126:127], v[154:155], -v[150:151]
	v_add_f64_e32 v[134:135], v[130:131], v[134:135]
	v_add_f64_e32 v[144:145], v[132:133], v[160:161]
	ds_load_b128 v[4:7], v2 offset:1360
	ds_load_b128 v[130:133], v2 offset:1376
	s_wait_loadcnt_dscnt 0x601
	v_mul_f64_e32 v[152:153], v[4:5], v[140:141]
	v_mul_f64_e32 v[140:141], v[6:7], v[140:141]
	v_add_f64_e32 v[128:129], v[134:135], v[142:143]
	v_add_f64_e32 v[134:135], v[144:145], v[162:163]
	s_wait_loadcnt_dscnt 0x500
	v_mul_f64_e32 v[142:143], v[130:131], v[10:11]
	v_mul_f64_e32 v[10:11], v[132:133], v[10:11]
	v_fmac_f64_e32 v[152:153], v[6:7], v[138:139]
	v_fma_f64 v[138:139], v[4:5], v[138:139], -v[140:141]
	v_add_f64_e32 v[140:141], v[128:129], v[126:127]
	v_add_f64_e32 v[134:135], v[134:135], v[136:137]
	ds_load_b128 v[4:7], v2 offset:1392
	ds_load_b128 v[126:129], v2 offset:1408
	v_fmac_f64_e32 v[142:143], v[132:133], v[8:9]
	v_fma_f64 v[8:9], v[130:131], v[8:9], -v[10:11]
	s_wait_loadcnt_dscnt 0x401
	v_mul_f64_e32 v[136:137], v[4:5], v[14:15]
	v_mul_f64_e32 v[14:15], v[6:7], v[14:15]
	s_wait_loadcnt_dscnt 0x300
	v_mul_f64_e32 v[132:133], v[126:127], v[18:19]
	v_mul_f64_e32 v[18:19], v[128:129], v[18:19]
	v_add_f64_e32 v[10:11], v[140:141], v[138:139]
	v_add_f64_e32 v[130:131], v[134:135], v[152:153]
	v_fmac_f64_e32 v[136:137], v[6:7], v[12:13]
	v_fma_f64 v[12:13], v[4:5], v[12:13], -v[14:15]
	v_fmac_f64_e32 v[132:133], v[128:129], v[16:17]
	v_fma_f64 v[16:17], v[126:127], v[16:17], -v[18:19]
	v_add_f64_e32 v[14:15], v[10:11], v[8:9]
	v_add_f64_e32 v[130:131], v[130:131], v[142:143]
	ds_load_b128 v[4:7], v2 offset:1424
	ds_load_b128 v[8:11], v2 offset:1440
	s_wait_loadcnt_dscnt 0x201
	v_mul_f64_e32 v[134:135], v[4:5], v[22:23]
	v_mul_f64_e32 v[22:23], v[6:7], v[22:23]
	s_wait_loadcnt_dscnt 0x100
	v_mul_f64_e32 v[18:19], v[8:9], v[26:27]
	v_mul_f64_e32 v[26:27], v[10:11], v[26:27]
	v_add_f64_e32 v[12:13], v[14:15], v[12:13]
	v_add_f64_e32 v[14:15], v[130:131], v[136:137]
	v_fmac_f64_e32 v[134:135], v[6:7], v[20:21]
	v_fma_f64 v[20:21], v[4:5], v[20:21], -v[22:23]
	ds_load_b128 v[4:7], v2 offset:1456
	v_fmac_f64_e32 v[18:19], v[10:11], v[24:25]
	v_fma_f64 v[8:9], v[8:9], v[24:25], -v[26:27]
	v_add_f64_e32 v[12:13], v[12:13], v[16:17]
	v_add_f64_e32 v[14:15], v[14:15], v[132:133]
	s_wait_loadcnt_dscnt 0x0
	v_mul_f64_e32 v[16:17], v[4:5], v[30:31]
	v_mul_f64_e32 v[22:23], v[6:7], v[30:31]
	s_delay_alu instid0(VALU_DEP_4) | instskip(NEXT) | instid1(VALU_DEP_4)
	v_add_f64_e32 v[10:11], v[12:13], v[20:21]
	v_add_f64_e32 v[12:13], v[14:15], v[134:135]
	s_delay_alu instid0(VALU_DEP_4) | instskip(NEXT) | instid1(VALU_DEP_4)
	v_fmac_f64_e32 v[16:17], v[6:7], v[28:29]
	v_fma_f64 v[4:5], v[4:5], v[28:29], -v[22:23]
	s_delay_alu instid0(VALU_DEP_4) | instskip(NEXT) | instid1(VALU_DEP_4)
	v_add_f64_e32 v[6:7], v[10:11], v[8:9]
	v_add_f64_e32 v[8:9], v[12:13], v[18:19]
	s_delay_alu instid0(VALU_DEP_2) | instskip(NEXT) | instid1(VALU_DEP_2)
	v_add_f64_e32 v[4:5], v[6:7], v[4:5]
	v_add_f64_e32 v[6:7], v[8:9], v[16:17]
	s_delay_alu instid0(VALU_DEP_2) | instskip(NEXT) | instid1(VALU_DEP_2)
	v_add_f64_e64 v[4:5], v[146:147], -v[4:5]
	v_add_f64_e64 v[6:7], v[148:149], -v[6:7]
	scratch_store_b128 off, v[4:7], off offset:416
	s_wait_xcnt 0x0
	v_cmpx_lt_u32_e32 25, v1
	s_cbranch_execz .LBB109_239
; %bb.238:
	scratch_load_b128 v[6:9], off, s37
	v_dual_mov_b32 v3, v2 :: v_dual_mov_b32 v4, v2
	v_mov_b32_e32 v5, v2
	scratch_store_b128 off, v[2:5], off offset:400
	s_wait_loadcnt 0x0
	ds_store_b128 v124, v[6:9]
.LBB109_239:
	s_wait_xcnt 0x0
	s_or_b32 exec_lo, exec_lo, s2
	s_wait_storecnt_dscnt 0x0
	s_barrier_signal -1
	s_barrier_wait -1
	s_clause 0x9
	scratch_load_b128 v[4:7], off, off offset:416
	scratch_load_b128 v[8:11], off, off offset:432
	;; [unrolled: 1-line block ×10, first 2 shown]
	ds_load_b128 v[138:141], v2 offset:1152
	ds_load_b128 v[146:149], v2 offset:1168
	s_clause 0x2
	scratch_load_b128 v[142:145], off, off offset:576
	scratch_load_b128 v[150:153], off, off offset:400
	;; [unrolled: 1-line block ×3, first 2 shown]
	s_mov_b32 s2, exec_lo
	s_wait_loadcnt_dscnt 0xc01
	v_mul_f64_e32 v[158:159], v[140:141], v[6:7]
	v_mul_f64_e32 v[162:163], v[138:139], v[6:7]
	s_wait_loadcnt_dscnt 0xb00
	v_mul_f64_e32 v[164:165], v[146:147], v[10:11]
	v_mul_f64_e32 v[10:11], v[148:149], v[10:11]
	s_delay_alu instid0(VALU_DEP_4) | instskip(NEXT) | instid1(VALU_DEP_4)
	v_fma_f64 v[166:167], v[138:139], v[4:5], -v[158:159]
	v_fmac_f64_e32 v[162:163], v[140:141], v[4:5]
	ds_load_b128 v[4:7], v2 offset:1184
	ds_load_b128 v[138:141], v2 offset:1200
	scratch_load_b128 v[158:161], off, off offset:608
	v_fmac_f64_e32 v[164:165], v[148:149], v[8:9]
	v_fma_f64 v[146:147], v[146:147], v[8:9], -v[10:11]
	scratch_load_b128 v[8:11], off, off offset:624
	s_wait_loadcnt_dscnt 0xc01
	v_mul_f64_e32 v[168:169], v[4:5], v[14:15]
	v_mul_f64_e32 v[14:15], v[6:7], v[14:15]
	v_add_f64_e32 v[148:149], 0, v[166:167]
	v_add_f64_e32 v[162:163], 0, v[162:163]
	s_wait_loadcnt_dscnt 0xb00
	v_mul_f64_e32 v[166:167], v[138:139], v[18:19]
	v_mul_f64_e32 v[18:19], v[140:141], v[18:19]
	v_fmac_f64_e32 v[168:169], v[6:7], v[12:13]
	v_fma_f64 v[170:171], v[4:5], v[12:13], -v[14:15]
	ds_load_b128 v[4:7], v2 offset:1216
	ds_load_b128 v[12:15], v2 offset:1232
	v_add_f64_e32 v[172:173], v[148:149], v[146:147]
	v_add_f64_e32 v[162:163], v[162:163], v[164:165]
	scratch_load_b128 v[146:149], off, off offset:640
	v_fmac_f64_e32 v[166:167], v[140:141], v[16:17]
	v_fma_f64 v[138:139], v[138:139], v[16:17], -v[18:19]
	scratch_load_b128 v[16:19], off, off offset:656
	s_wait_loadcnt_dscnt 0xc01
	v_mul_f64_e32 v[164:165], v[4:5], v[22:23]
	v_mul_f64_e32 v[22:23], v[6:7], v[22:23]
	v_add_f64_e32 v[140:141], v[172:173], v[170:171]
	v_add_f64_e32 v[162:163], v[162:163], v[168:169]
	s_wait_loadcnt_dscnt 0xb00
	v_mul_f64_e32 v[168:169], v[12:13], v[26:27]
	v_mul_f64_e32 v[26:27], v[14:15], v[26:27]
	v_fmac_f64_e32 v[164:165], v[6:7], v[20:21]
	v_fma_f64 v[170:171], v[4:5], v[20:21], -v[22:23]
	ds_load_b128 v[4:7], v2 offset:1248
	ds_load_b128 v[20:23], v2 offset:1264
	v_add_f64_e32 v[172:173], v[140:141], v[138:139]
	v_add_f64_e32 v[162:163], v[162:163], v[166:167]
	scratch_load_b128 v[138:141], off, off offset:672
	s_wait_loadcnt_dscnt 0xb01
	v_mul_f64_e32 v[166:167], v[4:5], v[30:31]
	v_mul_f64_e32 v[30:31], v[6:7], v[30:31]
	v_fmac_f64_e32 v[168:169], v[14:15], v[24:25]
	v_fma_f64 v[24:25], v[12:13], v[24:25], -v[26:27]
	scratch_load_b128 v[12:15], off, off offset:688
	v_add_f64_e32 v[26:27], v[172:173], v[170:171]
	v_add_f64_e32 v[162:163], v[162:163], v[164:165]
	s_wait_loadcnt_dscnt 0xb00
	v_mul_f64_e32 v[164:165], v[20:21], v[128:129]
	v_mul_f64_e32 v[128:129], v[22:23], v[128:129]
	v_fmac_f64_e32 v[166:167], v[6:7], v[28:29]
	v_fma_f64 v[170:171], v[4:5], v[28:29], -v[30:31]
	v_add_f64_e32 v[172:173], v[26:27], v[24:25]
	v_add_f64_e32 v[162:163], v[162:163], v[168:169]
	ds_load_b128 v[4:7], v2 offset:1280
	ds_load_b128 v[24:27], v2 offset:1296
	scratch_load_b128 v[28:31], off, off offset:704
	v_fmac_f64_e32 v[164:165], v[22:23], v[126:127]
	v_fma_f64 v[126:127], v[20:21], v[126:127], -v[128:129]
	scratch_load_b128 v[20:23], off, off offset:720
	s_wait_loadcnt_dscnt 0xc01
	v_mul_f64_e32 v[168:169], v[4:5], v[132:133]
	v_mul_f64_e32 v[132:133], v[6:7], v[132:133]
	v_add_f64_e32 v[128:129], v[172:173], v[170:171]
	v_add_f64_e32 v[162:163], v[162:163], v[166:167]
	s_wait_loadcnt_dscnt 0xb00
	v_mul_f64_e32 v[166:167], v[24:25], v[136:137]
	v_mul_f64_e32 v[136:137], v[26:27], v[136:137]
	v_fmac_f64_e32 v[168:169], v[6:7], v[130:131]
	v_fma_f64 v[130:131], v[4:5], v[130:131], -v[132:133]
	v_add_f64_e32 v[132:133], v[128:129], v[126:127]
	v_add_f64_e32 v[162:163], v[162:163], v[164:165]
	ds_load_b128 v[4:7], v2 offset:1312
	ds_load_b128 v[126:129], v2 offset:1328
	v_fmac_f64_e32 v[166:167], v[26:27], v[134:135]
	v_fma_f64 v[24:25], v[24:25], v[134:135], -v[136:137]
	s_wait_loadcnt_dscnt 0xa01
	v_mul_f64_e32 v[164:165], v[4:5], v[144:145]
	v_mul_f64_e32 v[144:145], v[6:7], v[144:145]
	s_wait_loadcnt_dscnt 0x800
	v_mul_f64_e32 v[134:135], v[128:129], v[156:157]
	v_add_f64_e32 v[26:27], v[132:133], v[130:131]
	v_add_f64_e32 v[130:131], v[162:163], v[168:169]
	v_mul_f64_e32 v[132:133], v[126:127], v[156:157]
	v_fmac_f64_e32 v[164:165], v[6:7], v[142:143]
	v_fma_f64 v[136:137], v[4:5], v[142:143], -v[144:145]
	v_fma_f64 v[126:127], v[126:127], v[154:155], -v[134:135]
	v_add_f64_e32 v[142:143], v[26:27], v[24:25]
	v_add_f64_e32 v[130:131], v[130:131], v[166:167]
	ds_load_b128 v[4:7], v2 offset:1344
	ds_load_b128 v[24:27], v2 offset:1360
	v_fmac_f64_e32 v[132:133], v[128:129], v[154:155]
	s_wait_loadcnt_dscnt 0x701
	v_mul_f64_e32 v[144:145], v[4:5], v[160:161]
	v_mul_f64_e32 v[156:157], v[6:7], v[160:161]
	s_wait_loadcnt_dscnt 0x600
	v_mul_f64_e32 v[134:135], v[24:25], v[10:11]
	v_mul_f64_e32 v[10:11], v[26:27], v[10:11]
	v_add_f64_e32 v[128:129], v[142:143], v[136:137]
	v_add_f64_e32 v[130:131], v[130:131], v[164:165]
	v_fmac_f64_e32 v[144:145], v[6:7], v[158:159]
	v_fma_f64 v[136:137], v[4:5], v[158:159], -v[156:157]
	v_fmac_f64_e32 v[134:135], v[26:27], v[8:9]
	v_fma_f64 v[8:9], v[24:25], v[8:9], -v[10:11]
	v_add_f64_e32 v[142:143], v[128:129], v[126:127]
	v_add_f64_e32 v[130:131], v[130:131], v[132:133]
	ds_load_b128 v[4:7], v2 offset:1376
	ds_load_b128 v[126:129], v2 offset:1392
	s_wait_loadcnt_dscnt 0x501
	v_mul_f64_e32 v[132:133], v[4:5], v[148:149]
	v_mul_f64_e32 v[148:149], v[6:7], v[148:149]
	s_wait_loadcnt_dscnt 0x400
	v_mul_f64_e32 v[26:27], v[126:127], v[18:19]
	v_mul_f64_e32 v[18:19], v[128:129], v[18:19]
	v_add_f64_e32 v[10:11], v[142:143], v[136:137]
	v_add_f64_e32 v[24:25], v[130:131], v[144:145]
	v_fmac_f64_e32 v[132:133], v[6:7], v[146:147]
	v_fma_f64 v[130:131], v[4:5], v[146:147], -v[148:149]
	v_fmac_f64_e32 v[26:27], v[128:129], v[16:17]
	v_fma_f64 v[16:17], v[126:127], v[16:17], -v[18:19]
	v_add_f64_e32 v[136:137], v[10:11], v[8:9]
	v_add_f64_e32 v[24:25], v[24:25], v[134:135]
	ds_load_b128 v[4:7], v2 offset:1408
	ds_load_b128 v[8:11], v2 offset:1424
	;; [unrolled: 16-line block ×3, first 2 shown]
	s_wait_loadcnt_dscnt 0x101
	v_mul_f64_e32 v[2:3], v[4:5], v[30:31]
	v_mul_f64_e32 v[26:27], v[6:7], v[30:31]
	v_add_f64_e32 v[10:11], v[18:19], v[130:131]
	v_add_f64_e32 v[12:13], v[24:25], v[134:135]
	s_wait_loadcnt_dscnt 0x0
	v_mul_f64_e32 v[18:19], v[14:15], v[22:23]
	v_mul_f64_e32 v[22:23], v[16:17], v[22:23]
	v_fmac_f64_e32 v[2:3], v[6:7], v[28:29]
	v_fma_f64 v[4:5], v[4:5], v[28:29], -v[26:27]
	v_add_f64_e32 v[6:7], v[10:11], v[8:9]
	v_add_f64_e32 v[8:9], v[12:13], v[126:127]
	v_fmac_f64_e32 v[18:19], v[16:17], v[20:21]
	v_fma_f64 v[10:11], v[14:15], v[20:21], -v[22:23]
	s_delay_alu instid0(VALU_DEP_4) | instskip(NEXT) | instid1(VALU_DEP_4)
	v_add_f64_e32 v[4:5], v[6:7], v[4:5]
	v_add_f64_e32 v[2:3], v[8:9], v[2:3]
	s_delay_alu instid0(VALU_DEP_2) | instskip(NEXT) | instid1(VALU_DEP_2)
	v_add_f64_e32 v[4:5], v[4:5], v[10:11]
	v_add_f64_e32 v[6:7], v[2:3], v[18:19]
	s_delay_alu instid0(VALU_DEP_2) | instskip(NEXT) | instid1(VALU_DEP_2)
	v_add_f64_e64 v[2:3], v[150:151], -v[4:5]
	v_add_f64_e64 v[4:5], v[152:153], -v[6:7]
	scratch_store_b128 off, v[2:5], off offset:400
	s_wait_xcnt 0x0
	v_cmpx_lt_u32_e32 24, v1
	s_cbranch_execz .LBB109_241
; %bb.240:
	scratch_load_b128 v[2:5], off, s38
	v_mov_b32_e32 v6, 0
	s_delay_alu instid0(VALU_DEP_1)
	v_dual_mov_b32 v7, v6 :: v_dual_mov_b32 v8, v6
	v_mov_b32_e32 v9, v6
	scratch_store_b128 off, v[6:9], off offset:384
	s_wait_loadcnt 0x0
	ds_store_b128 v124, v[2:5]
.LBB109_241:
	s_wait_xcnt 0x0
	s_or_b32 exec_lo, exec_lo, s2
	s_wait_storecnt_dscnt 0x0
	s_barrier_signal -1
	s_barrier_wait -1
	s_clause 0x9
	scratch_load_b128 v[4:7], off, off offset:400
	scratch_load_b128 v[8:11], off, off offset:416
	;; [unrolled: 1-line block ×10, first 2 shown]
	v_mov_b32_e32 v2, 0
	s_mov_b32 s2, exec_lo
	ds_load_b128 v[138:141], v2 offset:1136
	s_clause 0x2
	scratch_load_b128 v[142:145], off, off offset:560
	scratch_load_b128 v[146:149], off, off offset:384
	;; [unrolled: 1-line block ×3, first 2 shown]
	s_wait_loadcnt_dscnt 0xc00
	v_mul_f64_e32 v[158:159], v[140:141], v[6:7]
	v_mul_f64_e32 v[162:163], v[138:139], v[6:7]
	ds_load_b128 v[150:153], v2 offset:1152
	v_fma_f64 v[166:167], v[138:139], v[4:5], -v[158:159]
	v_fmac_f64_e32 v[162:163], v[140:141], v[4:5]
	ds_load_b128 v[4:7], v2 offset:1168
	s_wait_loadcnt_dscnt 0xb01
	v_mul_f64_e32 v[164:165], v[150:151], v[10:11]
	v_mul_f64_e32 v[10:11], v[152:153], v[10:11]
	scratch_load_b128 v[138:141], off, off offset:592
	ds_load_b128 v[158:161], v2 offset:1184
	s_wait_loadcnt_dscnt 0xb01
	v_mul_f64_e32 v[168:169], v[4:5], v[14:15]
	v_mul_f64_e32 v[14:15], v[6:7], v[14:15]
	v_add_f64_e32 v[162:163], 0, v[162:163]
	v_fmac_f64_e32 v[164:165], v[152:153], v[8:9]
	v_fma_f64 v[150:151], v[150:151], v[8:9], -v[10:11]
	v_add_f64_e32 v[152:153], 0, v[166:167]
	scratch_load_b128 v[8:11], off, off offset:608
	v_fmac_f64_e32 v[168:169], v[6:7], v[12:13]
	v_fma_f64 v[170:171], v[4:5], v[12:13], -v[14:15]
	ds_load_b128 v[4:7], v2 offset:1200
	s_wait_loadcnt_dscnt 0xb01
	v_mul_f64_e32 v[166:167], v[158:159], v[18:19]
	v_mul_f64_e32 v[18:19], v[160:161], v[18:19]
	scratch_load_b128 v[12:15], off, off offset:624
	v_add_f64_e32 v[162:163], v[162:163], v[164:165]
	v_add_f64_e32 v[172:173], v[152:153], v[150:151]
	ds_load_b128 v[150:153], v2 offset:1216
	s_wait_loadcnt_dscnt 0xb01
	v_mul_f64_e32 v[164:165], v[4:5], v[22:23]
	v_mul_f64_e32 v[22:23], v[6:7], v[22:23]
	v_fmac_f64_e32 v[166:167], v[160:161], v[16:17]
	v_fma_f64 v[158:159], v[158:159], v[16:17], -v[18:19]
	scratch_load_b128 v[16:19], off, off offset:640
	v_add_f64_e32 v[162:163], v[162:163], v[168:169]
	v_add_f64_e32 v[160:161], v[172:173], v[170:171]
	v_fmac_f64_e32 v[164:165], v[6:7], v[20:21]
	v_fma_f64 v[170:171], v[4:5], v[20:21], -v[22:23]
	ds_load_b128 v[4:7], v2 offset:1232
	s_wait_loadcnt_dscnt 0xb01
	v_mul_f64_e32 v[168:169], v[150:151], v[26:27]
	v_mul_f64_e32 v[26:27], v[152:153], v[26:27]
	scratch_load_b128 v[20:23], off, off offset:656
	v_add_f64_e32 v[162:163], v[162:163], v[166:167]
	s_wait_loadcnt_dscnt 0xb00
	v_mul_f64_e32 v[166:167], v[4:5], v[30:31]
	v_add_f64_e32 v[172:173], v[160:161], v[158:159]
	v_mul_f64_e32 v[30:31], v[6:7], v[30:31]
	ds_load_b128 v[158:161], v2 offset:1248
	v_fmac_f64_e32 v[168:169], v[152:153], v[24:25]
	v_fma_f64 v[150:151], v[150:151], v[24:25], -v[26:27]
	scratch_load_b128 v[24:27], off, off offset:672
	v_add_f64_e32 v[162:163], v[162:163], v[164:165]
	v_fmac_f64_e32 v[166:167], v[6:7], v[28:29]
	v_add_f64_e32 v[152:153], v[172:173], v[170:171]
	v_fma_f64 v[170:171], v[4:5], v[28:29], -v[30:31]
	ds_load_b128 v[4:7], v2 offset:1264
	s_wait_loadcnt_dscnt 0xb01
	v_mul_f64_e32 v[164:165], v[158:159], v[128:129]
	v_mul_f64_e32 v[128:129], v[160:161], v[128:129]
	scratch_load_b128 v[28:31], off, off offset:688
	v_add_f64_e32 v[162:163], v[162:163], v[168:169]
	s_wait_loadcnt_dscnt 0xb00
	v_mul_f64_e32 v[168:169], v[4:5], v[132:133]
	v_add_f64_e32 v[172:173], v[152:153], v[150:151]
	v_mul_f64_e32 v[132:133], v[6:7], v[132:133]
	ds_load_b128 v[150:153], v2 offset:1280
	v_fmac_f64_e32 v[164:165], v[160:161], v[126:127]
	v_fma_f64 v[158:159], v[158:159], v[126:127], -v[128:129]
	scratch_load_b128 v[126:129], off, off offset:704
	v_add_f64_e32 v[162:163], v[162:163], v[166:167]
	v_fmac_f64_e32 v[168:169], v[6:7], v[130:131]
	v_add_f64_e32 v[160:161], v[172:173], v[170:171]
	v_fma_f64 v[170:171], v[4:5], v[130:131], -v[132:133]
	ds_load_b128 v[4:7], v2 offset:1296
	s_wait_loadcnt_dscnt 0xb01
	v_mul_f64_e32 v[166:167], v[150:151], v[136:137]
	v_mul_f64_e32 v[136:137], v[152:153], v[136:137]
	scratch_load_b128 v[130:133], off, off offset:720
	v_add_f64_e32 v[162:163], v[162:163], v[164:165]
	s_wait_loadcnt_dscnt 0xb00
	v_mul_f64_e32 v[164:165], v[4:5], v[144:145]
	v_add_f64_e32 v[172:173], v[160:161], v[158:159]
	v_mul_f64_e32 v[144:145], v[6:7], v[144:145]
	ds_load_b128 v[158:161], v2 offset:1312
	v_fmac_f64_e32 v[166:167], v[152:153], v[134:135]
	v_fma_f64 v[134:135], v[150:151], v[134:135], -v[136:137]
	s_wait_loadcnt_dscnt 0x900
	v_mul_f64_e32 v[152:153], v[158:159], v[156:157]
	v_mul_f64_e32 v[156:157], v[160:161], v[156:157]
	v_add_f64_e32 v[150:151], v[162:163], v[168:169]
	v_fmac_f64_e32 v[164:165], v[6:7], v[142:143]
	v_add_f64_e32 v[136:137], v[172:173], v[170:171]
	v_fma_f64 v[142:143], v[4:5], v[142:143], -v[144:145]
	v_fmac_f64_e32 v[152:153], v[160:161], v[154:155]
	v_fma_f64 v[154:155], v[158:159], v[154:155], -v[156:157]
	v_add_f64_e32 v[150:151], v[150:151], v[166:167]
	v_add_f64_e32 v[144:145], v[136:137], v[134:135]
	ds_load_b128 v[4:7], v2 offset:1328
	ds_load_b128 v[134:137], v2 offset:1344
	s_wait_loadcnt_dscnt 0x801
	v_mul_f64_e32 v[162:163], v[4:5], v[140:141]
	v_mul_f64_e32 v[140:141], v[6:7], v[140:141]
	v_add_f64_e32 v[142:143], v[144:145], v[142:143]
	v_add_f64_e32 v[144:145], v[150:151], v[164:165]
	s_wait_loadcnt_dscnt 0x700
	v_mul_f64_e32 v[150:151], v[134:135], v[10:11]
	v_mul_f64_e32 v[10:11], v[136:137], v[10:11]
	v_fmac_f64_e32 v[162:163], v[6:7], v[138:139]
	v_fma_f64 v[156:157], v[4:5], v[138:139], -v[140:141]
	ds_load_b128 v[4:7], v2 offset:1360
	ds_load_b128 v[138:141], v2 offset:1376
	v_add_f64_e32 v[142:143], v[142:143], v[154:155]
	v_add_f64_e32 v[144:145], v[144:145], v[152:153]
	v_fmac_f64_e32 v[150:151], v[136:137], v[8:9]
	v_fma_f64 v[8:9], v[134:135], v[8:9], -v[10:11]
	s_wait_loadcnt_dscnt 0x601
	v_mul_f64_e32 v[152:153], v[4:5], v[14:15]
	v_mul_f64_e32 v[14:15], v[6:7], v[14:15]
	s_wait_loadcnt_dscnt 0x500
	v_mul_f64_e32 v[136:137], v[138:139], v[18:19]
	v_mul_f64_e32 v[18:19], v[140:141], v[18:19]
	v_add_f64_e32 v[10:11], v[142:143], v[156:157]
	v_add_f64_e32 v[134:135], v[144:145], v[162:163]
	v_fmac_f64_e32 v[152:153], v[6:7], v[12:13]
	v_fma_f64 v[12:13], v[4:5], v[12:13], -v[14:15]
	v_fmac_f64_e32 v[136:137], v[140:141], v[16:17]
	v_fma_f64 v[16:17], v[138:139], v[16:17], -v[18:19]
	v_add_f64_e32 v[14:15], v[10:11], v[8:9]
	v_add_f64_e32 v[134:135], v[134:135], v[150:151]
	ds_load_b128 v[4:7], v2 offset:1392
	ds_load_b128 v[8:11], v2 offset:1408
	s_wait_loadcnt_dscnt 0x401
	v_mul_f64_e32 v[142:143], v[4:5], v[22:23]
	v_mul_f64_e32 v[22:23], v[6:7], v[22:23]
	s_wait_loadcnt_dscnt 0x300
	v_mul_f64_e32 v[18:19], v[8:9], v[26:27]
	v_mul_f64_e32 v[26:27], v[10:11], v[26:27]
	v_add_f64_e32 v[12:13], v[14:15], v[12:13]
	v_add_f64_e32 v[14:15], v[134:135], v[152:153]
	v_fmac_f64_e32 v[142:143], v[6:7], v[20:21]
	v_fma_f64 v[20:21], v[4:5], v[20:21], -v[22:23]
	v_fmac_f64_e32 v[18:19], v[10:11], v[24:25]
	v_fma_f64 v[8:9], v[8:9], v[24:25], -v[26:27]
	v_add_f64_e32 v[16:17], v[12:13], v[16:17]
	v_add_f64_e32 v[22:23], v[14:15], v[136:137]
	ds_load_b128 v[4:7], v2 offset:1424
	ds_load_b128 v[12:15], v2 offset:1440
	s_wait_loadcnt_dscnt 0x201
	v_mul_f64_e32 v[134:135], v[4:5], v[30:31]
	v_mul_f64_e32 v[30:31], v[6:7], v[30:31]
	v_add_f64_e32 v[10:11], v[16:17], v[20:21]
	v_add_f64_e32 v[16:17], v[22:23], v[142:143]
	s_wait_loadcnt_dscnt 0x100
	v_mul_f64_e32 v[20:21], v[12:13], v[128:129]
	v_mul_f64_e32 v[22:23], v[14:15], v[128:129]
	v_fmac_f64_e32 v[134:135], v[6:7], v[28:29]
	v_fma_f64 v[24:25], v[4:5], v[28:29], -v[30:31]
	ds_load_b128 v[4:7], v2 offset:1456
	v_add_f64_e32 v[8:9], v[10:11], v[8:9]
	v_add_f64_e32 v[10:11], v[16:17], v[18:19]
	v_fmac_f64_e32 v[20:21], v[14:15], v[126:127]
	v_fma_f64 v[12:13], v[12:13], v[126:127], -v[22:23]
	s_wait_loadcnt_dscnt 0x0
	v_mul_f64_e32 v[16:17], v[4:5], v[132:133]
	v_mul_f64_e32 v[18:19], v[6:7], v[132:133]
	v_add_f64_e32 v[8:9], v[8:9], v[24:25]
	v_add_f64_e32 v[10:11], v[10:11], v[134:135]
	s_delay_alu instid0(VALU_DEP_4) | instskip(NEXT) | instid1(VALU_DEP_4)
	v_fmac_f64_e32 v[16:17], v[6:7], v[130:131]
	v_fma_f64 v[4:5], v[4:5], v[130:131], -v[18:19]
	s_delay_alu instid0(VALU_DEP_4) | instskip(NEXT) | instid1(VALU_DEP_4)
	v_add_f64_e32 v[6:7], v[8:9], v[12:13]
	v_add_f64_e32 v[8:9], v[10:11], v[20:21]
	s_delay_alu instid0(VALU_DEP_2) | instskip(NEXT) | instid1(VALU_DEP_2)
	v_add_f64_e32 v[4:5], v[6:7], v[4:5]
	v_add_f64_e32 v[6:7], v[8:9], v[16:17]
	s_delay_alu instid0(VALU_DEP_2) | instskip(NEXT) | instid1(VALU_DEP_2)
	v_add_f64_e64 v[4:5], v[146:147], -v[4:5]
	v_add_f64_e64 v[6:7], v[148:149], -v[6:7]
	scratch_store_b128 off, v[4:7], off offset:384
	s_wait_xcnt 0x0
	v_cmpx_lt_u32_e32 23, v1
	s_cbranch_execz .LBB109_243
; %bb.242:
	scratch_load_b128 v[6:9], off, s39
	v_dual_mov_b32 v3, v2 :: v_dual_mov_b32 v4, v2
	v_mov_b32_e32 v5, v2
	scratch_store_b128 off, v[2:5], off offset:368
	s_wait_loadcnt 0x0
	ds_store_b128 v124, v[6:9]
.LBB109_243:
	s_wait_xcnt 0x0
	s_or_b32 exec_lo, exec_lo, s2
	s_wait_storecnt_dscnt 0x0
	s_barrier_signal -1
	s_barrier_wait -1
	s_clause 0x9
	scratch_load_b128 v[4:7], off, off offset:384
	scratch_load_b128 v[8:11], off, off offset:400
	;; [unrolled: 1-line block ×10, first 2 shown]
	ds_load_b128 v[138:141], v2 offset:1120
	ds_load_b128 v[146:149], v2 offset:1136
	s_clause 0x2
	scratch_load_b128 v[142:145], off, off offset:544
	scratch_load_b128 v[150:153], off, off offset:368
	;; [unrolled: 1-line block ×3, first 2 shown]
	s_mov_b32 s2, exec_lo
	s_wait_loadcnt_dscnt 0xc01
	v_mul_f64_e32 v[158:159], v[140:141], v[6:7]
	v_mul_f64_e32 v[162:163], v[138:139], v[6:7]
	s_wait_loadcnt_dscnt 0xb00
	v_mul_f64_e32 v[164:165], v[146:147], v[10:11]
	v_mul_f64_e32 v[10:11], v[148:149], v[10:11]
	s_delay_alu instid0(VALU_DEP_4) | instskip(NEXT) | instid1(VALU_DEP_4)
	v_fma_f64 v[166:167], v[138:139], v[4:5], -v[158:159]
	v_fmac_f64_e32 v[162:163], v[140:141], v[4:5]
	ds_load_b128 v[4:7], v2 offset:1152
	ds_load_b128 v[138:141], v2 offset:1168
	scratch_load_b128 v[158:161], off, off offset:576
	v_fmac_f64_e32 v[164:165], v[148:149], v[8:9]
	v_fma_f64 v[146:147], v[146:147], v[8:9], -v[10:11]
	scratch_load_b128 v[8:11], off, off offset:592
	s_wait_loadcnt_dscnt 0xc01
	v_mul_f64_e32 v[168:169], v[4:5], v[14:15]
	v_mul_f64_e32 v[14:15], v[6:7], v[14:15]
	v_add_f64_e32 v[148:149], 0, v[166:167]
	v_add_f64_e32 v[162:163], 0, v[162:163]
	s_wait_loadcnt_dscnt 0xb00
	v_mul_f64_e32 v[166:167], v[138:139], v[18:19]
	v_mul_f64_e32 v[18:19], v[140:141], v[18:19]
	v_fmac_f64_e32 v[168:169], v[6:7], v[12:13]
	v_fma_f64 v[170:171], v[4:5], v[12:13], -v[14:15]
	ds_load_b128 v[4:7], v2 offset:1184
	ds_load_b128 v[12:15], v2 offset:1200
	v_add_f64_e32 v[172:173], v[148:149], v[146:147]
	v_add_f64_e32 v[162:163], v[162:163], v[164:165]
	scratch_load_b128 v[146:149], off, off offset:608
	v_fmac_f64_e32 v[166:167], v[140:141], v[16:17]
	v_fma_f64 v[138:139], v[138:139], v[16:17], -v[18:19]
	scratch_load_b128 v[16:19], off, off offset:624
	s_wait_loadcnt_dscnt 0xc01
	v_mul_f64_e32 v[164:165], v[4:5], v[22:23]
	v_mul_f64_e32 v[22:23], v[6:7], v[22:23]
	v_add_f64_e32 v[140:141], v[172:173], v[170:171]
	v_add_f64_e32 v[162:163], v[162:163], v[168:169]
	s_wait_loadcnt_dscnt 0xb00
	v_mul_f64_e32 v[168:169], v[12:13], v[26:27]
	v_mul_f64_e32 v[26:27], v[14:15], v[26:27]
	v_fmac_f64_e32 v[164:165], v[6:7], v[20:21]
	v_fma_f64 v[170:171], v[4:5], v[20:21], -v[22:23]
	ds_load_b128 v[4:7], v2 offset:1216
	ds_load_b128 v[20:23], v2 offset:1232
	v_add_f64_e32 v[172:173], v[140:141], v[138:139]
	v_add_f64_e32 v[162:163], v[162:163], v[166:167]
	scratch_load_b128 v[138:141], off, off offset:640
	s_wait_loadcnt_dscnt 0xb01
	v_mul_f64_e32 v[166:167], v[4:5], v[30:31]
	v_mul_f64_e32 v[30:31], v[6:7], v[30:31]
	v_fmac_f64_e32 v[168:169], v[14:15], v[24:25]
	v_fma_f64 v[24:25], v[12:13], v[24:25], -v[26:27]
	scratch_load_b128 v[12:15], off, off offset:656
	v_add_f64_e32 v[26:27], v[172:173], v[170:171]
	v_add_f64_e32 v[162:163], v[162:163], v[164:165]
	s_wait_loadcnt_dscnt 0xb00
	v_mul_f64_e32 v[164:165], v[20:21], v[128:129]
	v_mul_f64_e32 v[128:129], v[22:23], v[128:129]
	v_fmac_f64_e32 v[166:167], v[6:7], v[28:29]
	v_fma_f64 v[170:171], v[4:5], v[28:29], -v[30:31]
	v_add_f64_e32 v[172:173], v[26:27], v[24:25]
	v_add_f64_e32 v[162:163], v[162:163], v[168:169]
	ds_load_b128 v[4:7], v2 offset:1248
	ds_load_b128 v[24:27], v2 offset:1264
	scratch_load_b128 v[28:31], off, off offset:672
	v_fmac_f64_e32 v[164:165], v[22:23], v[126:127]
	v_fma_f64 v[126:127], v[20:21], v[126:127], -v[128:129]
	scratch_load_b128 v[20:23], off, off offset:688
	s_wait_loadcnt_dscnt 0xc01
	v_mul_f64_e32 v[168:169], v[4:5], v[132:133]
	v_mul_f64_e32 v[132:133], v[6:7], v[132:133]
	v_add_f64_e32 v[128:129], v[172:173], v[170:171]
	v_add_f64_e32 v[162:163], v[162:163], v[166:167]
	s_wait_loadcnt_dscnt 0xb00
	v_mul_f64_e32 v[166:167], v[24:25], v[136:137]
	v_mul_f64_e32 v[136:137], v[26:27], v[136:137]
	v_fmac_f64_e32 v[168:169], v[6:7], v[130:131]
	v_fma_f64 v[170:171], v[4:5], v[130:131], -v[132:133]
	v_add_f64_e32 v[172:173], v[128:129], v[126:127]
	v_add_f64_e32 v[162:163], v[162:163], v[164:165]
	ds_load_b128 v[4:7], v2 offset:1280
	ds_load_b128 v[126:129], v2 offset:1296
	scratch_load_b128 v[130:133], off, off offset:704
	v_fmac_f64_e32 v[166:167], v[26:27], v[134:135]
	v_fma_f64 v[134:135], v[24:25], v[134:135], -v[136:137]
	scratch_load_b128 v[24:27], off, off offset:720
	s_wait_loadcnt_dscnt 0xc01
	v_mul_f64_e32 v[164:165], v[4:5], v[144:145]
	v_mul_f64_e32 v[144:145], v[6:7], v[144:145]
	v_add_f64_e32 v[136:137], v[172:173], v[170:171]
	v_add_f64_e32 v[162:163], v[162:163], v[168:169]
	s_wait_loadcnt_dscnt 0xa00
	v_mul_f64_e32 v[168:169], v[126:127], v[156:157]
	v_mul_f64_e32 v[156:157], v[128:129], v[156:157]
	v_fmac_f64_e32 v[164:165], v[6:7], v[142:143]
	v_fma_f64 v[142:143], v[4:5], v[142:143], -v[144:145]
	v_add_f64_e32 v[144:145], v[136:137], v[134:135]
	v_add_f64_e32 v[162:163], v[162:163], v[166:167]
	ds_load_b128 v[4:7], v2 offset:1312
	ds_load_b128 v[134:137], v2 offset:1328
	v_fmac_f64_e32 v[168:169], v[128:129], v[154:155]
	v_fma_f64 v[126:127], v[126:127], v[154:155], -v[156:157]
	s_wait_loadcnt_dscnt 0x901
	v_mul_f64_e32 v[166:167], v[4:5], v[160:161]
	v_mul_f64_e32 v[160:161], v[6:7], v[160:161]
	v_add_f64_e32 v[128:129], v[144:145], v[142:143]
	v_add_f64_e32 v[142:143], v[162:163], v[164:165]
	s_wait_loadcnt_dscnt 0x800
	v_mul_f64_e32 v[144:145], v[134:135], v[10:11]
	v_mul_f64_e32 v[10:11], v[136:137], v[10:11]
	v_fmac_f64_e32 v[166:167], v[6:7], v[158:159]
	v_fma_f64 v[154:155], v[4:5], v[158:159], -v[160:161]
	v_add_f64_e32 v[156:157], v[128:129], v[126:127]
	v_add_f64_e32 v[142:143], v[142:143], v[168:169]
	ds_load_b128 v[4:7], v2 offset:1344
	ds_load_b128 v[126:129], v2 offset:1360
	v_fmac_f64_e32 v[144:145], v[136:137], v[8:9]
	v_fma_f64 v[8:9], v[134:135], v[8:9], -v[10:11]
	s_wait_loadcnt_dscnt 0x701
	v_mul_f64_e32 v[158:159], v[4:5], v[148:149]
	v_mul_f64_e32 v[148:149], v[6:7], v[148:149]
	s_wait_loadcnt_dscnt 0x600
	v_mul_f64_e32 v[136:137], v[126:127], v[18:19]
	v_mul_f64_e32 v[18:19], v[128:129], v[18:19]
	v_add_f64_e32 v[10:11], v[156:157], v[154:155]
	v_add_f64_e32 v[134:135], v[142:143], v[166:167]
	v_fmac_f64_e32 v[158:159], v[6:7], v[146:147]
	v_fma_f64 v[142:143], v[4:5], v[146:147], -v[148:149]
	v_fmac_f64_e32 v[136:137], v[128:129], v[16:17]
	v_fma_f64 v[16:17], v[126:127], v[16:17], -v[18:19]
	v_add_f64_e32 v[146:147], v[10:11], v[8:9]
	v_add_f64_e32 v[134:135], v[134:135], v[144:145]
	ds_load_b128 v[4:7], v2 offset:1376
	ds_load_b128 v[8:11], v2 offset:1392
	s_wait_loadcnt_dscnt 0x501
	v_mul_f64_e32 v[144:145], v[4:5], v[140:141]
	v_mul_f64_e32 v[140:141], v[6:7], v[140:141]
	s_wait_loadcnt_dscnt 0x400
	v_mul_f64_e32 v[128:129], v[8:9], v[14:15]
	v_add_f64_e32 v[18:19], v[146:147], v[142:143]
	v_add_f64_e32 v[126:127], v[134:135], v[158:159]
	v_mul_f64_e32 v[134:135], v[10:11], v[14:15]
	v_fmac_f64_e32 v[144:145], v[6:7], v[138:139]
	v_fma_f64 v[138:139], v[4:5], v[138:139], -v[140:141]
	v_fmac_f64_e32 v[128:129], v[10:11], v[12:13]
	v_add_f64_e32 v[18:19], v[18:19], v[16:17]
	v_add_f64_e32 v[126:127], v[126:127], v[136:137]
	ds_load_b128 v[4:7], v2 offset:1408
	ds_load_b128 v[14:17], v2 offset:1424
	v_fma_f64 v[8:9], v[8:9], v[12:13], -v[134:135]
	s_wait_loadcnt_dscnt 0x301
	v_mul_f64_e32 v[136:137], v[4:5], v[30:31]
	v_mul_f64_e32 v[30:31], v[6:7], v[30:31]
	v_add_f64_e32 v[10:11], v[18:19], v[138:139]
	v_add_f64_e32 v[12:13], v[126:127], v[144:145]
	s_wait_loadcnt_dscnt 0x200
	v_mul_f64_e32 v[18:19], v[14:15], v[22:23]
	v_mul_f64_e32 v[22:23], v[16:17], v[22:23]
	v_fmac_f64_e32 v[136:137], v[6:7], v[28:29]
	v_fma_f64 v[28:29], v[4:5], v[28:29], -v[30:31]
	v_add_f64_e32 v[30:31], v[10:11], v[8:9]
	v_add_f64_e32 v[12:13], v[12:13], v[128:129]
	ds_load_b128 v[4:7], v2 offset:1440
	ds_load_b128 v[8:11], v2 offset:1456
	v_fmac_f64_e32 v[18:19], v[16:17], v[20:21]
	v_fma_f64 v[14:15], v[14:15], v[20:21], -v[22:23]
	s_wait_loadcnt_dscnt 0x101
	v_mul_f64_e32 v[2:3], v[4:5], v[132:133]
	v_mul_f64_e32 v[126:127], v[6:7], v[132:133]
	s_wait_loadcnt_dscnt 0x0
	v_mul_f64_e32 v[20:21], v[8:9], v[26:27]
	v_mul_f64_e32 v[22:23], v[10:11], v[26:27]
	v_add_f64_e32 v[16:17], v[30:31], v[28:29]
	v_add_f64_e32 v[12:13], v[12:13], v[136:137]
	v_fmac_f64_e32 v[2:3], v[6:7], v[130:131]
	v_fma_f64 v[4:5], v[4:5], v[130:131], -v[126:127]
	v_fmac_f64_e32 v[20:21], v[10:11], v[24:25]
	v_fma_f64 v[8:9], v[8:9], v[24:25], -v[22:23]
	v_add_f64_e32 v[6:7], v[16:17], v[14:15]
	v_add_f64_e32 v[12:13], v[12:13], v[18:19]
	s_delay_alu instid0(VALU_DEP_2) | instskip(NEXT) | instid1(VALU_DEP_2)
	v_add_f64_e32 v[4:5], v[6:7], v[4:5]
	v_add_f64_e32 v[2:3], v[12:13], v[2:3]
	s_delay_alu instid0(VALU_DEP_2) | instskip(NEXT) | instid1(VALU_DEP_2)
	;; [unrolled: 3-line block ×3, first 2 shown]
	v_add_f64_e64 v[2:3], v[150:151], -v[4:5]
	v_add_f64_e64 v[4:5], v[152:153], -v[6:7]
	scratch_store_b128 off, v[2:5], off offset:368
	s_wait_xcnt 0x0
	v_cmpx_lt_u32_e32 22, v1
	s_cbranch_execz .LBB109_245
; %bb.244:
	scratch_load_b128 v[2:5], off, s40
	v_mov_b32_e32 v6, 0
	s_delay_alu instid0(VALU_DEP_1)
	v_dual_mov_b32 v7, v6 :: v_dual_mov_b32 v8, v6
	v_mov_b32_e32 v9, v6
	scratch_store_b128 off, v[6:9], off offset:352
	s_wait_loadcnt 0x0
	ds_store_b128 v124, v[2:5]
.LBB109_245:
	s_wait_xcnt 0x0
	s_or_b32 exec_lo, exec_lo, s2
	s_wait_storecnt_dscnt 0x0
	s_barrier_signal -1
	s_barrier_wait -1
	s_clause 0x9
	scratch_load_b128 v[4:7], off, off offset:368
	scratch_load_b128 v[8:11], off, off offset:384
	;; [unrolled: 1-line block ×10, first 2 shown]
	v_mov_b32_e32 v2, 0
	s_mov_b32 s2, exec_lo
	ds_load_b128 v[138:141], v2 offset:1104
	s_clause 0x2
	scratch_load_b128 v[142:145], off, off offset:528
	scratch_load_b128 v[146:149], off, off offset:352
	;; [unrolled: 1-line block ×3, first 2 shown]
	s_wait_loadcnt_dscnt 0xc00
	v_mul_f64_e32 v[158:159], v[140:141], v[6:7]
	v_mul_f64_e32 v[162:163], v[138:139], v[6:7]
	ds_load_b128 v[150:153], v2 offset:1120
	v_fma_f64 v[166:167], v[138:139], v[4:5], -v[158:159]
	v_fmac_f64_e32 v[162:163], v[140:141], v[4:5]
	ds_load_b128 v[4:7], v2 offset:1136
	s_wait_loadcnt_dscnt 0xb01
	v_mul_f64_e32 v[164:165], v[150:151], v[10:11]
	v_mul_f64_e32 v[10:11], v[152:153], v[10:11]
	scratch_load_b128 v[138:141], off, off offset:560
	ds_load_b128 v[158:161], v2 offset:1152
	s_wait_loadcnt_dscnt 0xb01
	v_mul_f64_e32 v[168:169], v[4:5], v[14:15]
	v_mul_f64_e32 v[14:15], v[6:7], v[14:15]
	v_add_f64_e32 v[162:163], 0, v[162:163]
	v_fmac_f64_e32 v[164:165], v[152:153], v[8:9]
	v_fma_f64 v[150:151], v[150:151], v[8:9], -v[10:11]
	v_add_f64_e32 v[152:153], 0, v[166:167]
	scratch_load_b128 v[8:11], off, off offset:576
	v_fmac_f64_e32 v[168:169], v[6:7], v[12:13]
	v_fma_f64 v[170:171], v[4:5], v[12:13], -v[14:15]
	ds_load_b128 v[4:7], v2 offset:1168
	s_wait_loadcnt_dscnt 0xb01
	v_mul_f64_e32 v[166:167], v[158:159], v[18:19]
	v_mul_f64_e32 v[18:19], v[160:161], v[18:19]
	scratch_load_b128 v[12:15], off, off offset:592
	v_add_f64_e32 v[162:163], v[162:163], v[164:165]
	v_add_f64_e32 v[172:173], v[152:153], v[150:151]
	ds_load_b128 v[150:153], v2 offset:1184
	s_wait_loadcnt_dscnt 0xb01
	v_mul_f64_e32 v[164:165], v[4:5], v[22:23]
	v_mul_f64_e32 v[22:23], v[6:7], v[22:23]
	v_fmac_f64_e32 v[166:167], v[160:161], v[16:17]
	v_fma_f64 v[158:159], v[158:159], v[16:17], -v[18:19]
	scratch_load_b128 v[16:19], off, off offset:608
	v_add_f64_e32 v[162:163], v[162:163], v[168:169]
	v_add_f64_e32 v[160:161], v[172:173], v[170:171]
	v_fmac_f64_e32 v[164:165], v[6:7], v[20:21]
	v_fma_f64 v[170:171], v[4:5], v[20:21], -v[22:23]
	ds_load_b128 v[4:7], v2 offset:1200
	s_wait_loadcnt_dscnt 0xb01
	v_mul_f64_e32 v[168:169], v[150:151], v[26:27]
	v_mul_f64_e32 v[26:27], v[152:153], v[26:27]
	scratch_load_b128 v[20:23], off, off offset:624
	v_add_f64_e32 v[162:163], v[162:163], v[166:167]
	s_wait_loadcnt_dscnt 0xb00
	v_mul_f64_e32 v[166:167], v[4:5], v[30:31]
	v_add_f64_e32 v[172:173], v[160:161], v[158:159]
	v_mul_f64_e32 v[30:31], v[6:7], v[30:31]
	ds_load_b128 v[158:161], v2 offset:1216
	v_fmac_f64_e32 v[168:169], v[152:153], v[24:25]
	v_fma_f64 v[150:151], v[150:151], v[24:25], -v[26:27]
	scratch_load_b128 v[24:27], off, off offset:640
	v_add_f64_e32 v[162:163], v[162:163], v[164:165]
	v_fmac_f64_e32 v[166:167], v[6:7], v[28:29]
	v_add_f64_e32 v[152:153], v[172:173], v[170:171]
	v_fma_f64 v[170:171], v[4:5], v[28:29], -v[30:31]
	ds_load_b128 v[4:7], v2 offset:1232
	s_wait_loadcnt_dscnt 0xb01
	v_mul_f64_e32 v[164:165], v[158:159], v[128:129]
	v_mul_f64_e32 v[128:129], v[160:161], v[128:129]
	scratch_load_b128 v[28:31], off, off offset:656
	v_add_f64_e32 v[162:163], v[162:163], v[168:169]
	s_wait_loadcnt_dscnt 0xb00
	v_mul_f64_e32 v[168:169], v[4:5], v[132:133]
	v_add_f64_e32 v[172:173], v[152:153], v[150:151]
	v_mul_f64_e32 v[132:133], v[6:7], v[132:133]
	ds_load_b128 v[150:153], v2 offset:1248
	v_fmac_f64_e32 v[164:165], v[160:161], v[126:127]
	v_fma_f64 v[158:159], v[158:159], v[126:127], -v[128:129]
	scratch_load_b128 v[126:129], off, off offset:672
	v_add_f64_e32 v[162:163], v[162:163], v[166:167]
	v_fmac_f64_e32 v[168:169], v[6:7], v[130:131]
	v_add_f64_e32 v[160:161], v[172:173], v[170:171]
	;; [unrolled: 18-line block ×3, first 2 shown]
	v_fma_f64 v[170:171], v[4:5], v[142:143], -v[144:145]
	ds_load_b128 v[4:7], v2 offset:1296
	s_wait_loadcnt_dscnt 0xa01
	v_mul_f64_e32 v[168:169], v[158:159], v[156:157]
	v_mul_f64_e32 v[156:157], v[160:161], v[156:157]
	scratch_load_b128 v[142:145], off, off offset:720
	v_add_f64_e32 v[162:163], v[162:163], v[166:167]
	v_add_f64_e32 v[172:173], v[152:153], v[150:151]
	s_wait_loadcnt_dscnt 0xa00
	v_mul_f64_e32 v[166:167], v[4:5], v[140:141]
	v_mul_f64_e32 v[140:141], v[6:7], v[140:141]
	v_fmac_f64_e32 v[168:169], v[160:161], v[154:155]
	v_fma_f64 v[154:155], v[158:159], v[154:155], -v[156:157]
	ds_load_b128 v[150:153], v2 offset:1312
	v_add_f64_e32 v[158:159], v[162:163], v[164:165]
	v_add_f64_e32 v[156:157], v[172:173], v[170:171]
	s_wait_loadcnt_dscnt 0x900
	v_mul_f64_e32 v[160:161], v[150:151], v[10:11]
	v_mul_f64_e32 v[10:11], v[152:153], v[10:11]
	v_fmac_f64_e32 v[166:167], v[6:7], v[138:139]
	v_fma_f64 v[162:163], v[4:5], v[138:139], -v[140:141]
	ds_load_b128 v[4:7], v2 offset:1328
	ds_load_b128 v[138:141], v2 offset:1344
	v_add_f64_e32 v[154:155], v[156:157], v[154:155]
	v_add_f64_e32 v[156:157], v[158:159], v[168:169]
	s_wait_loadcnt_dscnt 0x801
	v_mul_f64_e32 v[158:159], v[4:5], v[14:15]
	v_mul_f64_e32 v[14:15], v[6:7], v[14:15]
	v_fmac_f64_e32 v[160:161], v[152:153], v[8:9]
	v_fma_f64 v[8:9], v[150:151], v[8:9], -v[10:11]
	s_wait_loadcnt_dscnt 0x700
	v_mul_f64_e32 v[152:153], v[138:139], v[18:19]
	v_mul_f64_e32 v[18:19], v[140:141], v[18:19]
	v_add_f64_e32 v[10:11], v[154:155], v[162:163]
	v_add_f64_e32 v[150:151], v[156:157], v[166:167]
	v_fmac_f64_e32 v[158:159], v[6:7], v[12:13]
	v_fma_f64 v[12:13], v[4:5], v[12:13], -v[14:15]
	v_fmac_f64_e32 v[152:153], v[140:141], v[16:17]
	v_fma_f64 v[16:17], v[138:139], v[16:17], -v[18:19]
	v_add_f64_e32 v[14:15], v[10:11], v[8:9]
	v_add_f64_e32 v[150:151], v[150:151], v[160:161]
	ds_load_b128 v[4:7], v2 offset:1360
	ds_load_b128 v[8:11], v2 offset:1376
	s_wait_loadcnt_dscnt 0x601
	v_mul_f64_e32 v[154:155], v[4:5], v[22:23]
	v_mul_f64_e32 v[22:23], v[6:7], v[22:23]
	s_wait_loadcnt_dscnt 0x500
	v_mul_f64_e32 v[18:19], v[8:9], v[26:27]
	v_mul_f64_e32 v[26:27], v[10:11], v[26:27]
	v_add_f64_e32 v[12:13], v[14:15], v[12:13]
	v_add_f64_e32 v[14:15], v[150:151], v[158:159]
	v_fmac_f64_e32 v[154:155], v[6:7], v[20:21]
	v_fma_f64 v[20:21], v[4:5], v[20:21], -v[22:23]
	v_fmac_f64_e32 v[18:19], v[10:11], v[24:25]
	v_fma_f64 v[8:9], v[8:9], v[24:25], -v[26:27]
	v_add_f64_e32 v[16:17], v[12:13], v[16:17]
	v_add_f64_e32 v[22:23], v[14:15], v[152:153]
	ds_load_b128 v[4:7], v2 offset:1392
	ds_load_b128 v[12:15], v2 offset:1408
	s_wait_loadcnt_dscnt 0x401
	v_mul_f64_e32 v[138:139], v[4:5], v[30:31]
	v_mul_f64_e32 v[30:31], v[6:7], v[30:31]
	v_add_f64_e32 v[10:11], v[16:17], v[20:21]
	v_add_f64_e32 v[16:17], v[22:23], v[154:155]
	s_wait_loadcnt_dscnt 0x300
	v_mul_f64_e32 v[20:21], v[12:13], v[128:129]
	v_mul_f64_e32 v[22:23], v[14:15], v[128:129]
	v_fmac_f64_e32 v[138:139], v[6:7], v[28:29]
	v_fma_f64 v[24:25], v[4:5], v[28:29], -v[30:31]
	v_add_f64_e32 v[26:27], v[10:11], v[8:9]
	v_add_f64_e32 v[16:17], v[16:17], v[18:19]
	ds_load_b128 v[4:7], v2 offset:1424
	ds_load_b128 v[8:11], v2 offset:1440
	v_fmac_f64_e32 v[20:21], v[14:15], v[126:127]
	v_fma_f64 v[12:13], v[12:13], v[126:127], -v[22:23]
	s_wait_loadcnt_dscnt 0x201
	v_mul_f64_e32 v[18:19], v[4:5], v[132:133]
	v_mul_f64_e32 v[28:29], v[6:7], v[132:133]
	s_wait_loadcnt_dscnt 0x100
	v_mul_f64_e32 v[22:23], v[8:9], v[136:137]
	v_add_f64_e32 v[14:15], v[26:27], v[24:25]
	v_add_f64_e32 v[16:17], v[16:17], v[138:139]
	v_mul_f64_e32 v[24:25], v[10:11], v[136:137]
	v_fmac_f64_e32 v[18:19], v[6:7], v[130:131]
	v_fma_f64 v[26:27], v[4:5], v[130:131], -v[28:29]
	ds_load_b128 v[4:7], v2 offset:1456
	v_fmac_f64_e32 v[22:23], v[10:11], v[134:135]
	v_add_f64_e32 v[12:13], v[14:15], v[12:13]
	v_add_f64_e32 v[14:15], v[16:17], v[20:21]
	v_fma_f64 v[8:9], v[8:9], v[134:135], -v[24:25]
	s_wait_loadcnt_dscnt 0x0
	v_mul_f64_e32 v[16:17], v[4:5], v[144:145]
	v_mul_f64_e32 v[20:21], v[6:7], v[144:145]
	v_add_f64_e32 v[10:11], v[12:13], v[26:27]
	v_add_f64_e32 v[12:13], v[14:15], v[18:19]
	s_delay_alu instid0(VALU_DEP_4) | instskip(NEXT) | instid1(VALU_DEP_4)
	v_fmac_f64_e32 v[16:17], v[6:7], v[142:143]
	v_fma_f64 v[4:5], v[4:5], v[142:143], -v[20:21]
	s_delay_alu instid0(VALU_DEP_4) | instskip(NEXT) | instid1(VALU_DEP_4)
	v_add_f64_e32 v[6:7], v[10:11], v[8:9]
	v_add_f64_e32 v[8:9], v[12:13], v[22:23]
	s_delay_alu instid0(VALU_DEP_2) | instskip(NEXT) | instid1(VALU_DEP_2)
	v_add_f64_e32 v[4:5], v[6:7], v[4:5]
	v_add_f64_e32 v[6:7], v[8:9], v[16:17]
	s_delay_alu instid0(VALU_DEP_2) | instskip(NEXT) | instid1(VALU_DEP_2)
	v_add_f64_e64 v[4:5], v[146:147], -v[4:5]
	v_add_f64_e64 v[6:7], v[148:149], -v[6:7]
	scratch_store_b128 off, v[4:7], off offset:352
	s_wait_xcnt 0x0
	v_cmpx_lt_u32_e32 21, v1
	s_cbranch_execz .LBB109_247
; %bb.246:
	scratch_load_b128 v[6:9], off, s41
	v_dual_mov_b32 v3, v2 :: v_dual_mov_b32 v4, v2
	v_mov_b32_e32 v5, v2
	scratch_store_b128 off, v[2:5], off offset:336
	s_wait_loadcnt 0x0
	ds_store_b128 v124, v[6:9]
.LBB109_247:
	s_wait_xcnt 0x0
	s_or_b32 exec_lo, exec_lo, s2
	s_wait_storecnt_dscnt 0x0
	s_barrier_signal -1
	s_barrier_wait -1
	s_clause 0x9
	scratch_load_b128 v[4:7], off, off offset:352
	scratch_load_b128 v[8:11], off, off offset:368
	;; [unrolled: 1-line block ×10, first 2 shown]
	ds_load_b128 v[138:141], v2 offset:1088
	ds_load_b128 v[146:149], v2 offset:1104
	s_clause 0x2
	scratch_load_b128 v[142:145], off, off offset:512
	scratch_load_b128 v[150:153], off, off offset:336
	;; [unrolled: 1-line block ×3, first 2 shown]
	s_mov_b32 s2, exec_lo
	s_wait_loadcnt_dscnt 0xc01
	v_mul_f64_e32 v[158:159], v[140:141], v[6:7]
	v_mul_f64_e32 v[162:163], v[138:139], v[6:7]
	s_wait_loadcnt_dscnt 0xb00
	v_mul_f64_e32 v[164:165], v[146:147], v[10:11]
	v_mul_f64_e32 v[10:11], v[148:149], v[10:11]
	s_delay_alu instid0(VALU_DEP_4) | instskip(NEXT) | instid1(VALU_DEP_4)
	v_fma_f64 v[166:167], v[138:139], v[4:5], -v[158:159]
	v_fmac_f64_e32 v[162:163], v[140:141], v[4:5]
	ds_load_b128 v[4:7], v2 offset:1120
	ds_load_b128 v[138:141], v2 offset:1136
	scratch_load_b128 v[158:161], off, off offset:544
	v_fmac_f64_e32 v[164:165], v[148:149], v[8:9]
	v_fma_f64 v[146:147], v[146:147], v[8:9], -v[10:11]
	scratch_load_b128 v[8:11], off, off offset:560
	s_wait_loadcnt_dscnt 0xc01
	v_mul_f64_e32 v[168:169], v[4:5], v[14:15]
	v_mul_f64_e32 v[14:15], v[6:7], v[14:15]
	v_add_f64_e32 v[148:149], 0, v[166:167]
	v_add_f64_e32 v[162:163], 0, v[162:163]
	s_wait_loadcnt_dscnt 0xb00
	v_mul_f64_e32 v[166:167], v[138:139], v[18:19]
	v_mul_f64_e32 v[18:19], v[140:141], v[18:19]
	v_fmac_f64_e32 v[168:169], v[6:7], v[12:13]
	v_fma_f64 v[170:171], v[4:5], v[12:13], -v[14:15]
	ds_load_b128 v[4:7], v2 offset:1152
	ds_load_b128 v[12:15], v2 offset:1168
	v_add_f64_e32 v[172:173], v[148:149], v[146:147]
	v_add_f64_e32 v[162:163], v[162:163], v[164:165]
	scratch_load_b128 v[146:149], off, off offset:576
	v_fmac_f64_e32 v[166:167], v[140:141], v[16:17]
	v_fma_f64 v[138:139], v[138:139], v[16:17], -v[18:19]
	scratch_load_b128 v[16:19], off, off offset:592
	s_wait_loadcnt_dscnt 0xc01
	v_mul_f64_e32 v[164:165], v[4:5], v[22:23]
	v_mul_f64_e32 v[22:23], v[6:7], v[22:23]
	v_add_f64_e32 v[140:141], v[172:173], v[170:171]
	v_add_f64_e32 v[162:163], v[162:163], v[168:169]
	s_wait_loadcnt_dscnt 0xb00
	v_mul_f64_e32 v[168:169], v[12:13], v[26:27]
	v_mul_f64_e32 v[26:27], v[14:15], v[26:27]
	v_fmac_f64_e32 v[164:165], v[6:7], v[20:21]
	v_fma_f64 v[170:171], v[4:5], v[20:21], -v[22:23]
	ds_load_b128 v[4:7], v2 offset:1184
	ds_load_b128 v[20:23], v2 offset:1200
	v_add_f64_e32 v[172:173], v[140:141], v[138:139]
	v_add_f64_e32 v[162:163], v[162:163], v[166:167]
	scratch_load_b128 v[138:141], off, off offset:608
	s_wait_loadcnt_dscnt 0xb01
	v_mul_f64_e32 v[166:167], v[4:5], v[30:31]
	v_mul_f64_e32 v[30:31], v[6:7], v[30:31]
	v_fmac_f64_e32 v[168:169], v[14:15], v[24:25]
	v_fma_f64 v[24:25], v[12:13], v[24:25], -v[26:27]
	scratch_load_b128 v[12:15], off, off offset:624
	v_add_f64_e32 v[26:27], v[172:173], v[170:171]
	v_add_f64_e32 v[162:163], v[162:163], v[164:165]
	s_wait_loadcnt_dscnt 0xb00
	v_mul_f64_e32 v[164:165], v[20:21], v[128:129]
	v_mul_f64_e32 v[128:129], v[22:23], v[128:129]
	v_fmac_f64_e32 v[166:167], v[6:7], v[28:29]
	v_fma_f64 v[170:171], v[4:5], v[28:29], -v[30:31]
	v_add_f64_e32 v[172:173], v[26:27], v[24:25]
	v_add_f64_e32 v[162:163], v[162:163], v[168:169]
	ds_load_b128 v[4:7], v2 offset:1216
	ds_load_b128 v[24:27], v2 offset:1232
	scratch_load_b128 v[28:31], off, off offset:640
	v_fmac_f64_e32 v[164:165], v[22:23], v[126:127]
	v_fma_f64 v[126:127], v[20:21], v[126:127], -v[128:129]
	scratch_load_b128 v[20:23], off, off offset:656
	s_wait_loadcnt_dscnt 0xc01
	v_mul_f64_e32 v[168:169], v[4:5], v[132:133]
	v_mul_f64_e32 v[132:133], v[6:7], v[132:133]
	v_add_f64_e32 v[128:129], v[172:173], v[170:171]
	v_add_f64_e32 v[162:163], v[162:163], v[166:167]
	s_wait_loadcnt_dscnt 0xb00
	v_mul_f64_e32 v[166:167], v[24:25], v[136:137]
	v_mul_f64_e32 v[136:137], v[26:27], v[136:137]
	v_fmac_f64_e32 v[168:169], v[6:7], v[130:131]
	v_fma_f64 v[170:171], v[4:5], v[130:131], -v[132:133]
	v_add_f64_e32 v[172:173], v[128:129], v[126:127]
	v_add_f64_e32 v[162:163], v[162:163], v[164:165]
	ds_load_b128 v[4:7], v2 offset:1248
	ds_load_b128 v[126:129], v2 offset:1264
	scratch_load_b128 v[130:133], off, off offset:672
	v_fmac_f64_e32 v[166:167], v[26:27], v[134:135]
	v_fma_f64 v[134:135], v[24:25], v[134:135], -v[136:137]
	scratch_load_b128 v[24:27], off, off offset:688
	s_wait_loadcnt_dscnt 0xc01
	v_mul_f64_e32 v[164:165], v[4:5], v[144:145]
	v_mul_f64_e32 v[144:145], v[6:7], v[144:145]
	v_add_f64_e32 v[136:137], v[172:173], v[170:171]
	v_add_f64_e32 v[162:163], v[162:163], v[168:169]
	s_wait_loadcnt_dscnt 0xa00
	v_mul_f64_e32 v[168:169], v[126:127], v[156:157]
	v_mul_f64_e32 v[156:157], v[128:129], v[156:157]
	v_fmac_f64_e32 v[164:165], v[6:7], v[142:143]
	v_fma_f64 v[170:171], v[4:5], v[142:143], -v[144:145]
	v_add_f64_e32 v[172:173], v[136:137], v[134:135]
	v_add_f64_e32 v[162:163], v[162:163], v[166:167]
	ds_load_b128 v[4:7], v2 offset:1280
	ds_load_b128 v[134:137], v2 offset:1296
	scratch_load_b128 v[142:145], off, off offset:704
	v_fmac_f64_e32 v[168:169], v[128:129], v[154:155]
	v_fma_f64 v[154:155], v[126:127], v[154:155], -v[156:157]
	scratch_load_b128 v[126:129], off, off offset:720
	s_wait_loadcnt_dscnt 0xb01
	v_mul_f64_e32 v[166:167], v[4:5], v[160:161]
	v_mul_f64_e32 v[160:161], v[6:7], v[160:161]
	v_add_f64_e32 v[156:157], v[172:173], v[170:171]
	v_add_f64_e32 v[162:163], v[162:163], v[164:165]
	s_wait_loadcnt_dscnt 0xa00
	v_mul_f64_e32 v[164:165], v[134:135], v[10:11]
	v_mul_f64_e32 v[10:11], v[136:137], v[10:11]
	v_fmac_f64_e32 v[166:167], v[6:7], v[158:159]
	v_fma_f64 v[158:159], v[4:5], v[158:159], -v[160:161]
	v_add_f64_e32 v[160:161], v[156:157], v[154:155]
	v_add_f64_e32 v[162:163], v[162:163], v[168:169]
	ds_load_b128 v[4:7], v2 offset:1312
	ds_load_b128 v[154:157], v2 offset:1328
	v_fmac_f64_e32 v[164:165], v[136:137], v[8:9]
	v_fma_f64 v[8:9], v[134:135], v[8:9], -v[10:11]
	s_wait_loadcnt_dscnt 0x901
	v_mul_f64_e32 v[168:169], v[4:5], v[148:149]
	v_mul_f64_e32 v[148:149], v[6:7], v[148:149]
	s_wait_loadcnt_dscnt 0x800
	v_mul_f64_e32 v[136:137], v[154:155], v[18:19]
	v_mul_f64_e32 v[18:19], v[156:157], v[18:19]
	v_add_f64_e32 v[10:11], v[160:161], v[158:159]
	v_add_f64_e32 v[134:135], v[162:163], v[166:167]
	v_fmac_f64_e32 v[168:169], v[6:7], v[146:147]
	v_fma_f64 v[146:147], v[4:5], v[146:147], -v[148:149]
	v_fmac_f64_e32 v[136:137], v[156:157], v[16:17]
	v_fma_f64 v[16:17], v[154:155], v[16:17], -v[18:19]
	v_add_f64_e32 v[148:149], v[10:11], v[8:9]
	v_add_f64_e32 v[134:135], v[134:135], v[164:165]
	ds_load_b128 v[4:7], v2 offset:1344
	ds_load_b128 v[8:11], v2 offset:1360
	s_wait_loadcnt_dscnt 0x701
	v_mul_f64_e32 v[158:159], v[4:5], v[140:141]
	v_mul_f64_e32 v[140:141], v[6:7], v[140:141]
	v_add_f64_e32 v[18:19], v[148:149], v[146:147]
	v_add_f64_e32 v[134:135], v[134:135], v[168:169]
	s_wait_loadcnt_dscnt 0x600
	v_mul_f64_e32 v[146:147], v[8:9], v[14:15]
	v_mul_f64_e32 v[148:149], v[10:11], v[14:15]
	v_fmac_f64_e32 v[158:159], v[6:7], v[138:139]
	v_fma_f64 v[138:139], v[4:5], v[138:139], -v[140:141]
	v_add_f64_e32 v[18:19], v[18:19], v[16:17]
	v_add_f64_e32 v[134:135], v[134:135], v[136:137]
	ds_load_b128 v[4:7], v2 offset:1376
	ds_load_b128 v[14:17], v2 offset:1392
	v_fmac_f64_e32 v[146:147], v[10:11], v[12:13]
	v_fma_f64 v[8:9], v[8:9], v[12:13], -v[148:149]
	s_wait_loadcnt_dscnt 0x501
	v_mul_f64_e32 v[136:137], v[4:5], v[30:31]
	v_mul_f64_e32 v[30:31], v[6:7], v[30:31]
	v_add_f64_e32 v[10:11], v[18:19], v[138:139]
	v_add_f64_e32 v[12:13], v[134:135], v[158:159]
	s_wait_loadcnt_dscnt 0x400
	v_mul_f64_e32 v[18:19], v[14:15], v[22:23]
	v_mul_f64_e32 v[22:23], v[16:17], v[22:23]
	v_fmac_f64_e32 v[136:137], v[6:7], v[28:29]
	v_fma_f64 v[28:29], v[4:5], v[28:29], -v[30:31]
	v_add_f64_e32 v[30:31], v[10:11], v[8:9]
	v_add_f64_e32 v[12:13], v[12:13], v[146:147]
	ds_load_b128 v[4:7], v2 offset:1408
	ds_load_b128 v[8:11], v2 offset:1424
	v_fmac_f64_e32 v[18:19], v[16:17], v[20:21]
	v_fma_f64 v[14:15], v[14:15], v[20:21], -v[22:23]
	s_wait_loadcnt_dscnt 0x301
	v_mul_f64_e32 v[134:135], v[4:5], v[132:133]
	v_mul_f64_e32 v[132:133], v[6:7], v[132:133]
	s_wait_loadcnt_dscnt 0x200
	v_mul_f64_e32 v[20:21], v[8:9], v[26:27]
	v_mul_f64_e32 v[22:23], v[10:11], v[26:27]
	v_add_f64_e32 v[16:17], v[30:31], v[28:29]
	v_add_f64_e32 v[12:13], v[12:13], v[136:137]
	v_fmac_f64_e32 v[134:135], v[6:7], v[130:131]
	v_fma_f64 v[26:27], v[4:5], v[130:131], -v[132:133]
	v_fmac_f64_e32 v[20:21], v[10:11], v[24:25]
	v_fma_f64 v[8:9], v[8:9], v[24:25], -v[22:23]
	v_add_f64_e32 v[16:17], v[16:17], v[14:15]
	v_add_f64_e32 v[18:19], v[12:13], v[18:19]
	ds_load_b128 v[4:7], v2 offset:1440
	ds_load_b128 v[12:15], v2 offset:1456
	s_wait_loadcnt_dscnt 0x101
	v_mul_f64_e32 v[2:3], v[4:5], v[144:145]
	v_mul_f64_e32 v[28:29], v[6:7], v[144:145]
	s_wait_loadcnt_dscnt 0x0
	v_mul_f64_e32 v[22:23], v[14:15], v[128:129]
	v_add_f64_e32 v[10:11], v[16:17], v[26:27]
	v_add_f64_e32 v[16:17], v[18:19], v[134:135]
	v_mul_f64_e32 v[18:19], v[12:13], v[128:129]
	v_fmac_f64_e32 v[2:3], v[6:7], v[142:143]
	v_fma_f64 v[4:5], v[4:5], v[142:143], -v[28:29]
	v_add_f64_e32 v[6:7], v[10:11], v[8:9]
	v_add_f64_e32 v[8:9], v[16:17], v[20:21]
	v_fmac_f64_e32 v[18:19], v[14:15], v[126:127]
	v_fma_f64 v[10:11], v[12:13], v[126:127], -v[22:23]
	s_delay_alu instid0(VALU_DEP_4) | instskip(NEXT) | instid1(VALU_DEP_4)
	v_add_f64_e32 v[4:5], v[6:7], v[4:5]
	v_add_f64_e32 v[2:3], v[8:9], v[2:3]
	s_delay_alu instid0(VALU_DEP_2) | instskip(NEXT) | instid1(VALU_DEP_2)
	v_add_f64_e32 v[4:5], v[4:5], v[10:11]
	v_add_f64_e32 v[6:7], v[2:3], v[18:19]
	s_delay_alu instid0(VALU_DEP_2) | instskip(NEXT) | instid1(VALU_DEP_2)
	v_add_f64_e64 v[2:3], v[150:151], -v[4:5]
	v_add_f64_e64 v[4:5], v[152:153], -v[6:7]
	scratch_store_b128 off, v[2:5], off offset:336
	s_wait_xcnt 0x0
	v_cmpx_lt_u32_e32 20, v1
	s_cbranch_execz .LBB109_249
; %bb.248:
	scratch_load_b128 v[2:5], off, s42
	v_mov_b32_e32 v6, 0
	s_delay_alu instid0(VALU_DEP_1)
	v_dual_mov_b32 v7, v6 :: v_dual_mov_b32 v8, v6
	v_mov_b32_e32 v9, v6
	scratch_store_b128 off, v[6:9], off offset:320
	s_wait_loadcnt 0x0
	ds_store_b128 v124, v[2:5]
.LBB109_249:
	s_wait_xcnt 0x0
	s_or_b32 exec_lo, exec_lo, s2
	s_wait_storecnt_dscnt 0x0
	s_barrier_signal -1
	s_barrier_wait -1
	s_clause 0x9
	scratch_load_b128 v[4:7], off, off offset:336
	scratch_load_b128 v[8:11], off, off offset:352
	;; [unrolled: 1-line block ×10, first 2 shown]
	v_mov_b32_e32 v2, 0
	s_mov_b32 s2, exec_lo
	ds_load_b128 v[138:141], v2 offset:1072
	s_clause 0x2
	scratch_load_b128 v[142:145], off, off offset:496
	scratch_load_b128 v[146:149], off, off offset:320
	;; [unrolled: 1-line block ×3, first 2 shown]
	s_wait_loadcnt_dscnt 0xc00
	v_mul_f64_e32 v[158:159], v[140:141], v[6:7]
	v_mul_f64_e32 v[162:163], v[138:139], v[6:7]
	ds_load_b128 v[150:153], v2 offset:1088
	v_fma_f64 v[166:167], v[138:139], v[4:5], -v[158:159]
	v_fmac_f64_e32 v[162:163], v[140:141], v[4:5]
	ds_load_b128 v[4:7], v2 offset:1104
	s_wait_loadcnt_dscnt 0xb01
	v_mul_f64_e32 v[164:165], v[150:151], v[10:11]
	v_mul_f64_e32 v[10:11], v[152:153], v[10:11]
	scratch_load_b128 v[138:141], off, off offset:528
	ds_load_b128 v[158:161], v2 offset:1120
	s_wait_loadcnt_dscnt 0xb01
	v_mul_f64_e32 v[168:169], v[4:5], v[14:15]
	v_mul_f64_e32 v[14:15], v[6:7], v[14:15]
	v_add_f64_e32 v[162:163], 0, v[162:163]
	v_fmac_f64_e32 v[164:165], v[152:153], v[8:9]
	v_fma_f64 v[150:151], v[150:151], v[8:9], -v[10:11]
	v_add_f64_e32 v[152:153], 0, v[166:167]
	scratch_load_b128 v[8:11], off, off offset:544
	v_fmac_f64_e32 v[168:169], v[6:7], v[12:13]
	v_fma_f64 v[170:171], v[4:5], v[12:13], -v[14:15]
	ds_load_b128 v[4:7], v2 offset:1136
	s_wait_loadcnt_dscnt 0xb01
	v_mul_f64_e32 v[166:167], v[158:159], v[18:19]
	v_mul_f64_e32 v[18:19], v[160:161], v[18:19]
	scratch_load_b128 v[12:15], off, off offset:560
	v_add_f64_e32 v[162:163], v[162:163], v[164:165]
	v_add_f64_e32 v[172:173], v[152:153], v[150:151]
	ds_load_b128 v[150:153], v2 offset:1152
	s_wait_loadcnt_dscnt 0xb01
	v_mul_f64_e32 v[164:165], v[4:5], v[22:23]
	v_mul_f64_e32 v[22:23], v[6:7], v[22:23]
	v_fmac_f64_e32 v[166:167], v[160:161], v[16:17]
	v_fma_f64 v[158:159], v[158:159], v[16:17], -v[18:19]
	scratch_load_b128 v[16:19], off, off offset:576
	v_add_f64_e32 v[162:163], v[162:163], v[168:169]
	v_add_f64_e32 v[160:161], v[172:173], v[170:171]
	v_fmac_f64_e32 v[164:165], v[6:7], v[20:21]
	v_fma_f64 v[170:171], v[4:5], v[20:21], -v[22:23]
	ds_load_b128 v[4:7], v2 offset:1168
	s_wait_loadcnt_dscnt 0xb01
	v_mul_f64_e32 v[168:169], v[150:151], v[26:27]
	v_mul_f64_e32 v[26:27], v[152:153], v[26:27]
	scratch_load_b128 v[20:23], off, off offset:592
	v_add_f64_e32 v[162:163], v[162:163], v[166:167]
	s_wait_loadcnt_dscnt 0xb00
	v_mul_f64_e32 v[166:167], v[4:5], v[30:31]
	v_add_f64_e32 v[172:173], v[160:161], v[158:159]
	v_mul_f64_e32 v[30:31], v[6:7], v[30:31]
	ds_load_b128 v[158:161], v2 offset:1184
	v_fmac_f64_e32 v[168:169], v[152:153], v[24:25]
	v_fma_f64 v[150:151], v[150:151], v[24:25], -v[26:27]
	scratch_load_b128 v[24:27], off, off offset:608
	v_add_f64_e32 v[162:163], v[162:163], v[164:165]
	v_fmac_f64_e32 v[166:167], v[6:7], v[28:29]
	v_add_f64_e32 v[152:153], v[172:173], v[170:171]
	v_fma_f64 v[170:171], v[4:5], v[28:29], -v[30:31]
	ds_load_b128 v[4:7], v2 offset:1200
	s_wait_loadcnt_dscnt 0xb01
	v_mul_f64_e32 v[164:165], v[158:159], v[128:129]
	v_mul_f64_e32 v[128:129], v[160:161], v[128:129]
	scratch_load_b128 v[28:31], off, off offset:624
	v_add_f64_e32 v[162:163], v[162:163], v[168:169]
	s_wait_loadcnt_dscnt 0xb00
	v_mul_f64_e32 v[168:169], v[4:5], v[132:133]
	v_add_f64_e32 v[172:173], v[152:153], v[150:151]
	v_mul_f64_e32 v[132:133], v[6:7], v[132:133]
	ds_load_b128 v[150:153], v2 offset:1216
	v_fmac_f64_e32 v[164:165], v[160:161], v[126:127]
	v_fma_f64 v[158:159], v[158:159], v[126:127], -v[128:129]
	scratch_load_b128 v[126:129], off, off offset:640
	v_add_f64_e32 v[162:163], v[162:163], v[166:167]
	v_fmac_f64_e32 v[168:169], v[6:7], v[130:131]
	v_add_f64_e32 v[160:161], v[172:173], v[170:171]
	;; [unrolled: 18-line block ×3, first 2 shown]
	v_fma_f64 v[170:171], v[4:5], v[142:143], -v[144:145]
	ds_load_b128 v[4:7], v2 offset:1264
	s_wait_loadcnt_dscnt 0xa01
	v_mul_f64_e32 v[168:169], v[158:159], v[156:157]
	v_mul_f64_e32 v[156:157], v[160:161], v[156:157]
	scratch_load_b128 v[142:145], off, off offset:688
	v_add_f64_e32 v[162:163], v[162:163], v[166:167]
	v_add_f64_e32 v[172:173], v[152:153], v[150:151]
	s_wait_loadcnt_dscnt 0xa00
	v_mul_f64_e32 v[166:167], v[4:5], v[140:141]
	v_mul_f64_e32 v[140:141], v[6:7], v[140:141]
	v_fmac_f64_e32 v[168:169], v[160:161], v[154:155]
	v_fma_f64 v[158:159], v[158:159], v[154:155], -v[156:157]
	ds_load_b128 v[150:153], v2 offset:1280
	scratch_load_b128 v[154:157], off, off offset:704
	v_add_f64_e32 v[162:163], v[162:163], v[164:165]
	v_add_f64_e32 v[160:161], v[172:173], v[170:171]
	v_fmac_f64_e32 v[166:167], v[6:7], v[138:139]
	v_fma_f64 v[170:171], v[4:5], v[138:139], -v[140:141]
	ds_load_b128 v[4:7], v2 offset:1296
	s_wait_loadcnt_dscnt 0xa01
	v_mul_f64_e32 v[164:165], v[150:151], v[10:11]
	v_mul_f64_e32 v[10:11], v[152:153], v[10:11]
	scratch_load_b128 v[138:141], off, off offset:720
	v_add_f64_e32 v[162:163], v[162:163], v[168:169]
	s_wait_loadcnt_dscnt 0xa00
	v_mul_f64_e32 v[168:169], v[4:5], v[14:15]
	v_add_f64_e32 v[172:173], v[160:161], v[158:159]
	v_mul_f64_e32 v[14:15], v[6:7], v[14:15]
	ds_load_b128 v[158:161], v2 offset:1312
	v_fmac_f64_e32 v[164:165], v[152:153], v[8:9]
	v_fma_f64 v[8:9], v[150:151], v[8:9], -v[10:11]
	s_wait_loadcnt_dscnt 0x900
	v_mul_f64_e32 v[152:153], v[158:159], v[18:19]
	v_mul_f64_e32 v[18:19], v[160:161], v[18:19]
	v_add_f64_e32 v[150:151], v[162:163], v[166:167]
	v_fmac_f64_e32 v[168:169], v[6:7], v[12:13]
	v_add_f64_e32 v[10:11], v[172:173], v[170:171]
	v_fma_f64 v[12:13], v[4:5], v[12:13], -v[14:15]
	v_fmac_f64_e32 v[152:153], v[160:161], v[16:17]
	v_fma_f64 v[16:17], v[158:159], v[16:17], -v[18:19]
	v_add_f64_e32 v[150:151], v[150:151], v[164:165]
	v_add_f64_e32 v[14:15], v[10:11], v[8:9]
	ds_load_b128 v[4:7], v2 offset:1328
	ds_load_b128 v[8:11], v2 offset:1344
	s_wait_loadcnt_dscnt 0x801
	v_mul_f64_e32 v[162:163], v[4:5], v[22:23]
	v_mul_f64_e32 v[22:23], v[6:7], v[22:23]
	s_wait_loadcnt_dscnt 0x700
	v_mul_f64_e32 v[18:19], v[8:9], v[26:27]
	v_mul_f64_e32 v[26:27], v[10:11], v[26:27]
	v_add_f64_e32 v[12:13], v[14:15], v[12:13]
	v_add_f64_e32 v[14:15], v[150:151], v[168:169]
	v_fmac_f64_e32 v[162:163], v[6:7], v[20:21]
	v_fma_f64 v[20:21], v[4:5], v[20:21], -v[22:23]
	v_fmac_f64_e32 v[18:19], v[10:11], v[24:25]
	v_fma_f64 v[8:9], v[8:9], v[24:25], -v[26:27]
	v_add_f64_e32 v[16:17], v[12:13], v[16:17]
	v_add_f64_e32 v[22:23], v[14:15], v[152:153]
	ds_load_b128 v[4:7], v2 offset:1360
	ds_load_b128 v[12:15], v2 offset:1376
	s_wait_loadcnt_dscnt 0x601
	v_mul_f64_e32 v[150:151], v[4:5], v[30:31]
	v_mul_f64_e32 v[30:31], v[6:7], v[30:31]
	v_add_f64_e32 v[10:11], v[16:17], v[20:21]
	v_add_f64_e32 v[16:17], v[22:23], v[162:163]
	s_wait_loadcnt_dscnt 0x500
	v_mul_f64_e32 v[20:21], v[12:13], v[128:129]
	v_mul_f64_e32 v[22:23], v[14:15], v[128:129]
	v_fmac_f64_e32 v[150:151], v[6:7], v[28:29]
	v_fma_f64 v[24:25], v[4:5], v[28:29], -v[30:31]
	v_add_f64_e32 v[26:27], v[10:11], v[8:9]
	v_add_f64_e32 v[16:17], v[16:17], v[18:19]
	ds_load_b128 v[4:7], v2 offset:1392
	ds_load_b128 v[8:11], v2 offset:1408
	v_fmac_f64_e32 v[20:21], v[14:15], v[126:127]
	v_fma_f64 v[12:13], v[12:13], v[126:127], -v[22:23]
	s_wait_loadcnt_dscnt 0x401
	v_mul_f64_e32 v[18:19], v[4:5], v[132:133]
	v_mul_f64_e32 v[28:29], v[6:7], v[132:133]
	s_wait_loadcnt_dscnt 0x300
	v_mul_f64_e32 v[22:23], v[8:9], v[136:137]
	v_add_f64_e32 v[14:15], v[26:27], v[24:25]
	v_add_f64_e32 v[16:17], v[16:17], v[150:151]
	v_mul_f64_e32 v[24:25], v[10:11], v[136:137]
	v_fmac_f64_e32 v[18:19], v[6:7], v[130:131]
	v_fma_f64 v[26:27], v[4:5], v[130:131], -v[28:29]
	v_fmac_f64_e32 v[22:23], v[10:11], v[134:135]
	v_add_f64_e32 v[28:29], v[14:15], v[12:13]
	v_add_f64_e32 v[16:17], v[16:17], v[20:21]
	ds_load_b128 v[4:7], v2 offset:1424
	ds_load_b128 v[12:15], v2 offset:1440
	v_fma_f64 v[8:9], v[8:9], v[134:135], -v[24:25]
	s_wait_loadcnt_dscnt 0x201
	v_mul_f64_e32 v[20:21], v[4:5], v[144:145]
	v_mul_f64_e32 v[30:31], v[6:7], v[144:145]
	s_wait_loadcnt_dscnt 0x100
	v_mul_f64_e32 v[24:25], v[14:15], v[156:157]
	v_add_f64_e32 v[10:11], v[28:29], v[26:27]
	v_add_f64_e32 v[16:17], v[16:17], v[18:19]
	v_mul_f64_e32 v[18:19], v[12:13], v[156:157]
	v_fmac_f64_e32 v[20:21], v[6:7], v[142:143]
	v_fma_f64 v[26:27], v[4:5], v[142:143], -v[30:31]
	ds_load_b128 v[4:7], v2 offset:1456
	v_fma_f64 v[12:13], v[12:13], v[154:155], -v[24:25]
	v_add_f64_e32 v[8:9], v[10:11], v[8:9]
	v_add_f64_e32 v[10:11], v[16:17], v[22:23]
	v_fmac_f64_e32 v[18:19], v[14:15], v[154:155]
	s_wait_loadcnt_dscnt 0x0
	v_mul_f64_e32 v[16:17], v[4:5], v[140:141]
	v_mul_f64_e32 v[22:23], v[6:7], v[140:141]
	v_add_f64_e32 v[8:9], v[8:9], v[26:27]
	v_add_f64_e32 v[10:11], v[10:11], v[20:21]
	s_delay_alu instid0(VALU_DEP_4) | instskip(NEXT) | instid1(VALU_DEP_4)
	v_fmac_f64_e32 v[16:17], v[6:7], v[138:139]
	v_fma_f64 v[4:5], v[4:5], v[138:139], -v[22:23]
	s_delay_alu instid0(VALU_DEP_4) | instskip(NEXT) | instid1(VALU_DEP_4)
	v_add_f64_e32 v[6:7], v[8:9], v[12:13]
	v_add_f64_e32 v[8:9], v[10:11], v[18:19]
	s_delay_alu instid0(VALU_DEP_2) | instskip(NEXT) | instid1(VALU_DEP_2)
	v_add_f64_e32 v[4:5], v[6:7], v[4:5]
	v_add_f64_e32 v[6:7], v[8:9], v[16:17]
	s_delay_alu instid0(VALU_DEP_2) | instskip(NEXT) | instid1(VALU_DEP_2)
	v_add_f64_e64 v[4:5], v[146:147], -v[4:5]
	v_add_f64_e64 v[6:7], v[148:149], -v[6:7]
	scratch_store_b128 off, v[4:7], off offset:320
	s_wait_xcnt 0x0
	v_cmpx_lt_u32_e32 19, v1
	s_cbranch_execz .LBB109_251
; %bb.250:
	scratch_load_b128 v[6:9], off, s43
	v_dual_mov_b32 v3, v2 :: v_dual_mov_b32 v4, v2
	v_mov_b32_e32 v5, v2
	scratch_store_b128 off, v[2:5], off offset:304
	s_wait_loadcnt 0x0
	ds_store_b128 v124, v[6:9]
.LBB109_251:
	s_wait_xcnt 0x0
	s_or_b32 exec_lo, exec_lo, s2
	s_wait_storecnt_dscnt 0x0
	s_barrier_signal -1
	s_barrier_wait -1
	s_clause 0x9
	scratch_load_b128 v[4:7], off, off offset:320
	scratch_load_b128 v[8:11], off, off offset:336
	;; [unrolled: 1-line block ×10, first 2 shown]
	ds_load_b128 v[138:141], v2 offset:1056
	ds_load_b128 v[146:149], v2 offset:1072
	s_clause 0x2
	scratch_load_b128 v[142:145], off, off offset:480
	scratch_load_b128 v[150:153], off, off offset:304
	;; [unrolled: 1-line block ×3, first 2 shown]
	s_mov_b32 s2, exec_lo
	s_wait_loadcnt_dscnt 0xc01
	v_mul_f64_e32 v[158:159], v[140:141], v[6:7]
	v_mul_f64_e32 v[162:163], v[138:139], v[6:7]
	s_wait_loadcnt_dscnt 0xb00
	v_mul_f64_e32 v[164:165], v[146:147], v[10:11]
	v_mul_f64_e32 v[10:11], v[148:149], v[10:11]
	s_delay_alu instid0(VALU_DEP_4) | instskip(NEXT) | instid1(VALU_DEP_4)
	v_fma_f64 v[166:167], v[138:139], v[4:5], -v[158:159]
	v_fmac_f64_e32 v[162:163], v[140:141], v[4:5]
	ds_load_b128 v[4:7], v2 offset:1088
	ds_load_b128 v[138:141], v2 offset:1104
	scratch_load_b128 v[158:161], off, off offset:512
	v_fmac_f64_e32 v[164:165], v[148:149], v[8:9]
	v_fma_f64 v[146:147], v[146:147], v[8:9], -v[10:11]
	scratch_load_b128 v[8:11], off, off offset:528
	s_wait_loadcnt_dscnt 0xc01
	v_mul_f64_e32 v[168:169], v[4:5], v[14:15]
	v_mul_f64_e32 v[14:15], v[6:7], v[14:15]
	v_add_f64_e32 v[148:149], 0, v[166:167]
	v_add_f64_e32 v[162:163], 0, v[162:163]
	s_wait_loadcnt_dscnt 0xb00
	v_mul_f64_e32 v[166:167], v[138:139], v[18:19]
	v_mul_f64_e32 v[18:19], v[140:141], v[18:19]
	v_fmac_f64_e32 v[168:169], v[6:7], v[12:13]
	v_fma_f64 v[170:171], v[4:5], v[12:13], -v[14:15]
	ds_load_b128 v[4:7], v2 offset:1120
	ds_load_b128 v[12:15], v2 offset:1136
	v_add_f64_e32 v[172:173], v[148:149], v[146:147]
	v_add_f64_e32 v[162:163], v[162:163], v[164:165]
	scratch_load_b128 v[146:149], off, off offset:544
	v_fmac_f64_e32 v[166:167], v[140:141], v[16:17]
	v_fma_f64 v[138:139], v[138:139], v[16:17], -v[18:19]
	scratch_load_b128 v[16:19], off, off offset:560
	s_wait_loadcnt_dscnt 0xc01
	v_mul_f64_e32 v[164:165], v[4:5], v[22:23]
	v_mul_f64_e32 v[22:23], v[6:7], v[22:23]
	v_add_f64_e32 v[140:141], v[172:173], v[170:171]
	v_add_f64_e32 v[162:163], v[162:163], v[168:169]
	s_wait_loadcnt_dscnt 0xb00
	v_mul_f64_e32 v[168:169], v[12:13], v[26:27]
	v_mul_f64_e32 v[26:27], v[14:15], v[26:27]
	v_fmac_f64_e32 v[164:165], v[6:7], v[20:21]
	v_fma_f64 v[170:171], v[4:5], v[20:21], -v[22:23]
	ds_load_b128 v[4:7], v2 offset:1152
	ds_load_b128 v[20:23], v2 offset:1168
	v_add_f64_e32 v[172:173], v[140:141], v[138:139]
	v_add_f64_e32 v[162:163], v[162:163], v[166:167]
	scratch_load_b128 v[138:141], off, off offset:576
	s_wait_loadcnt_dscnt 0xb01
	v_mul_f64_e32 v[166:167], v[4:5], v[30:31]
	v_mul_f64_e32 v[30:31], v[6:7], v[30:31]
	v_fmac_f64_e32 v[168:169], v[14:15], v[24:25]
	v_fma_f64 v[24:25], v[12:13], v[24:25], -v[26:27]
	scratch_load_b128 v[12:15], off, off offset:592
	v_add_f64_e32 v[26:27], v[172:173], v[170:171]
	v_add_f64_e32 v[162:163], v[162:163], v[164:165]
	s_wait_loadcnt_dscnt 0xb00
	v_mul_f64_e32 v[164:165], v[20:21], v[128:129]
	v_mul_f64_e32 v[128:129], v[22:23], v[128:129]
	v_fmac_f64_e32 v[166:167], v[6:7], v[28:29]
	v_fma_f64 v[170:171], v[4:5], v[28:29], -v[30:31]
	v_add_f64_e32 v[172:173], v[26:27], v[24:25]
	v_add_f64_e32 v[162:163], v[162:163], v[168:169]
	ds_load_b128 v[4:7], v2 offset:1184
	ds_load_b128 v[24:27], v2 offset:1200
	scratch_load_b128 v[28:31], off, off offset:608
	v_fmac_f64_e32 v[164:165], v[22:23], v[126:127]
	v_fma_f64 v[126:127], v[20:21], v[126:127], -v[128:129]
	scratch_load_b128 v[20:23], off, off offset:624
	s_wait_loadcnt_dscnt 0xc01
	v_mul_f64_e32 v[168:169], v[4:5], v[132:133]
	v_mul_f64_e32 v[132:133], v[6:7], v[132:133]
	v_add_f64_e32 v[128:129], v[172:173], v[170:171]
	v_add_f64_e32 v[162:163], v[162:163], v[166:167]
	s_wait_loadcnt_dscnt 0xb00
	v_mul_f64_e32 v[166:167], v[24:25], v[136:137]
	v_mul_f64_e32 v[136:137], v[26:27], v[136:137]
	v_fmac_f64_e32 v[168:169], v[6:7], v[130:131]
	v_fma_f64 v[170:171], v[4:5], v[130:131], -v[132:133]
	v_add_f64_e32 v[172:173], v[128:129], v[126:127]
	v_add_f64_e32 v[162:163], v[162:163], v[164:165]
	ds_load_b128 v[4:7], v2 offset:1216
	ds_load_b128 v[126:129], v2 offset:1232
	scratch_load_b128 v[130:133], off, off offset:640
	v_fmac_f64_e32 v[166:167], v[26:27], v[134:135]
	v_fma_f64 v[134:135], v[24:25], v[134:135], -v[136:137]
	scratch_load_b128 v[24:27], off, off offset:656
	s_wait_loadcnt_dscnt 0xc01
	v_mul_f64_e32 v[164:165], v[4:5], v[144:145]
	v_mul_f64_e32 v[144:145], v[6:7], v[144:145]
	;; [unrolled: 18-line block ×4, first 2 shown]
	v_add_f64_e32 v[136:137], v[172:173], v[170:171]
	v_add_f64_e32 v[162:163], v[162:163], v[166:167]
	s_wait_loadcnt_dscnt 0xa00
	v_mul_f64_e32 v[166:167], v[154:155], v[18:19]
	v_mul_f64_e32 v[18:19], v[156:157], v[18:19]
	v_fmac_f64_e32 v[168:169], v[6:7], v[146:147]
	v_fma_f64 v[146:147], v[4:5], v[146:147], -v[148:149]
	v_add_f64_e32 v[148:149], v[136:137], v[134:135]
	v_add_f64_e32 v[162:163], v[162:163], v[164:165]
	ds_load_b128 v[4:7], v2 offset:1312
	ds_load_b128 v[134:137], v2 offset:1328
	v_fmac_f64_e32 v[166:167], v[156:157], v[16:17]
	v_fma_f64 v[16:17], v[154:155], v[16:17], -v[18:19]
	s_wait_loadcnt_dscnt 0x901
	v_mul_f64_e32 v[164:165], v[4:5], v[140:141]
	v_mul_f64_e32 v[140:141], v[6:7], v[140:141]
	s_wait_loadcnt_dscnt 0x800
	v_mul_f64_e32 v[154:155], v[136:137], v[14:15]
	v_add_f64_e32 v[18:19], v[148:149], v[146:147]
	v_add_f64_e32 v[146:147], v[162:163], v[168:169]
	v_mul_f64_e32 v[148:149], v[134:135], v[14:15]
	v_fmac_f64_e32 v[164:165], v[6:7], v[138:139]
	v_fma_f64 v[138:139], v[4:5], v[138:139], -v[140:141]
	v_add_f64_e32 v[18:19], v[18:19], v[16:17]
	v_add_f64_e32 v[140:141], v[146:147], v[166:167]
	ds_load_b128 v[4:7], v2 offset:1344
	ds_load_b128 v[14:17], v2 offset:1360
	v_fmac_f64_e32 v[148:149], v[136:137], v[12:13]
	v_fma_f64 v[12:13], v[134:135], v[12:13], -v[154:155]
	s_wait_loadcnt_dscnt 0x701
	v_mul_f64_e32 v[146:147], v[4:5], v[30:31]
	v_mul_f64_e32 v[30:31], v[6:7], v[30:31]
	s_wait_loadcnt_dscnt 0x600
	v_mul_f64_e32 v[136:137], v[14:15], v[22:23]
	v_mul_f64_e32 v[22:23], v[16:17], v[22:23]
	v_add_f64_e32 v[18:19], v[18:19], v[138:139]
	v_add_f64_e32 v[134:135], v[140:141], v[164:165]
	v_fmac_f64_e32 v[146:147], v[6:7], v[28:29]
	v_fma_f64 v[138:139], v[4:5], v[28:29], -v[30:31]
	ds_load_b128 v[4:7], v2 offset:1376
	ds_load_b128 v[28:31], v2 offset:1392
	v_fmac_f64_e32 v[136:137], v[16:17], v[20:21]
	v_fma_f64 v[14:15], v[14:15], v[20:21], -v[22:23]
	v_add_f64_e32 v[12:13], v[18:19], v[12:13]
	v_add_f64_e32 v[18:19], v[134:135], v[148:149]
	s_wait_loadcnt_dscnt 0x501
	v_mul_f64_e32 v[134:135], v[4:5], v[132:133]
	v_mul_f64_e32 v[132:133], v[6:7], v[132:133]
	s_wait_loadcnt_dscnt 0x400
	v_mul_f64_e32 v[20:21], v[30:31], v[26:27]
	v_add_f64_e32 v[12:13], v[12:13], v[138:139]
	v_add_f64_e32 v[16:17], v[18:19], v[146:147]
	v_mul_f64_e32 v[18:19], v[28:29], v[26:27]
	v_fmac_f64_e32 v[134:135], v[6:7], v[130:131]
	v_fma_f64 v[22:23], v[4:5], v[130:131], -v[132:133]
	v_fma_f64 v[20:21], v[28:29], v[24:25], -v[20:21]
	v_add_f64_e32 v[26:27], v[12:13], v[14:15]
	v_add_f64_e32 v[16:17], v[16:17], v[136:137]
	ds_load_b128 v[4:7], v2 offset:1408
	ds_load_b128 v[12:15], v2 offset:1424
	v_fmac_f64_e32 v[18:19], v[30:31], v[24:25]
	s_wait_loadcnt_dscnt 0x301
	v_mul_f64_e32 v[130:131], v[4:5], v[144:145]
	v_mul_f64_e32 v[132:133], v[6:7], v[144:145]
	s_wait_loadcnt_dscnt 0x200
	v_mul_f64_e32 v[24:25], v[12:13], v[128:129]
	v_add_f64_e32 v[22:23], v[26:27], v[22:23]
	v_add_f64_e32 v[16:17], v[16:17], v[134:135]
	v_mul_f64_e32 v[26:27], v[14:15], v[128:129]
	v_fmac_f64_e32 v[130:131], v[6:7], v[142:143]
	v_fma_f64 v[28:29], v[4:5], v[142:143], -v[132:133]
	v_fmac_f64_e32 v[24:25], v[14:15], v[126:127]
	v_add_f64_e32 v[20:21], v[22:23], v[20:21]
	v_add_f64_e32 v[22:23], v[16:17], v[18:19]
	ds_load_b128 v[4:7], v2 offset:1440
	ds_load_b128 v[16:19], v2 offset:1456
	v_fma_f64 v[12:13], v[12:13], v[126:127], -v[26:27]
	s_wait_loadcnt_dscnt 0x101
	v_mul_f64_e32 v[2:3], v[4:5], v[160:161]
	v_mul_f64_e32 v[30:31], v[6:7], v[160:161]
	v_add_f64_e32 v[14:15], v[20:21], v[28:29]
	v_add_f64_e32 v[20:21], v[22:23], v[130:131]
	s_wait_loadcnt_dscnt 0x0
	v_mul_f64_e32 v[22:23], v[16:17], v[10:11]
	v_mul_f64_e32 v[10:11], v[18:19], v[10:11]
	v_fmac_f64_e32 v[2:3], v[6:7], v[158:159]
	v_fma_f64 v[4:5], v[4:5], v[158:159], -v[30:31]
	v_add_f64_e32 v[6:7], v[14:15], v[12:13]
	v_add_f64_e32 v[12:13], v[20:21], v[24:25]
	v_fmac_f64_e32 v[22:23], v[18:19], v[8:9]
	v_fma_f64 v[8:9], v[16:17], v[8:9], -v[10:11]
	s_delay_alu instid0(VALU_DEP_4) | instskip(NEXT) | instid1(VALU_DEP_4)
	v_add_f64_e32 v[4:5], v[6:7], v[4:5]
	v_add_f64_e32 v[2:3], v[12:13], v[2:3]
	s_delay_alu instid0(VALU_DEP_2) | instskip(NEXT) | instid1(VALU_DEP_2)
	v_add_f64_e32 v[4:5], v[4:5], v[8:9]
	v_add_f64_e32 v[6:7], v[2:3], v[22:23]
	s_delay_alu instid0(VALU_DEP_2) | instskip(NEXT) | instid1(VALU_DEP_2)
	v_add_f64_e64 v[2:3], v[150:151], -v[4:5]
	v_add_f64_e64 v[4:5], v[152:153], -v[6:7]
	scratch_store_b128 off, v[2:5], off offset:304
	s_wait_xcnt 0x0
	v_cmpx_lt_u32_e32 18, v1
	s_cbranch_execz .LBB109_253
; %bb.252:
	scratch_load_b128 v[2:5], off, s44
	v_mov_b32_e32 v6, 0
	s_delay_alu instid0(VALU_DEP_1)
	v_dual_mov_b32 v7, v6 :: v_dual_mov_b32 v8, v6
	v_mov_b32_e32 v9, v6
	scratch_store_b128 off, v[6:9], off offset:288
	s_wait_loadcnt 0x0
	ds_store_b128 v124, v[2:5]
.LBB109_253:
	s_wait_xcnt 0x0
	s_or_b32 exec_lo, exec_lo, s2
	s_wait_storecnt_dscnt 0x0
	s_barrier_signal -1
	s_barrier_wait -1
	s_clause 0x9
	scratch_load_b128 v[4:7], off, off offset:304
	scratch_load_b128 v[8:11], off, off offset:320
	;; [unrolled: 1-line block ×10, first 2 shown]
	v_mov_b32_e32 v2, 0
	s_mov_b32 s2, exec_lo
	ds_load_b128 v[138:141], v2 offset:1040
	s_clause 0x2
	scratch_load_b128 v[142:145], off, off offset:464
	scratch_load_b128 v[146:149], off, off offset:288
	;; [unrolled: 1-line block ×3, first 2 shown]
	s_wait_loadcnt_dscnt 0xc00
	v_mul_f64_e32 v[158:159], v[140:141], v[6:7]
	v_mul_f64_e32 v[162:163], v[138:139], v[6:7]
	ds_load_b128 v[150:153], v2 offset:1056
	v_fma_f64 v[166:167], v[138:139], v[4:5], -v[158:159]
	v_fmac_f64_e32 v[162:163], v[140:141], v[4:5]
	ds_load_b128 v[4:7], v2 offset:1072
	s_wait_loadcnt_dscnt 0xb01
	v_mul_f64_e32 v[164:165], v[150:151], v[10:11]
	v_mul_f64_e32 v[10:11], v[152:153], v[10:11]
	scratch_load_b128 v[138:141], off, off offset:496
	ds_load_b128 v[158:161], v2 offset:1088
	s_wait_loadcnt_dscnt 0xb01
	v_mul_f64_e32 v[168:169], v[4:5], v[14:15]
	v_mul_f64_e32 v[14:15], v[6:7], v[14:15]
	v_add_f64_e32 v[162:163], 0, v[162:163]
	v_fmac_f64_e32 v[164:165], v[152:153], v[8:9]
	v_fma_f64 v[150:151], v[150:151], v[8:9], -v[10:11]
	v_add_f64_e32 v[152:153], 0, v[166:167]
	scratch_load_b128 v[8:11], off, off offset:512
	v_fmac_f64_e32 v[168:169], v[6:7], v[12:13]
	v_fma_f64 v[170:171], v[4:5], v[12:13], -v[14:15]
	ds_load_b128 v[4:7], v2 offset:1104
	s_wait_loadcnt_dscnt 0xb01
	v_mul_f64_e32 v[166:167], v[158:159], v[18:19]
	v_mul_f64_e32 v[18:19], v[160:161], v[18:19]
	scratch_load_b128 v[12:15], off, off offset:528
	v_add_f64_e32 v[162:163], v[162:163], v[164:165]
	v_add_f64_e32 v[172:173], v[152:153], v[150:151]
	ds_load_b128 v[150:153], v2 offset:1120
	s_wait_loadcnt_dscnt 0xb01
	v_mul_f64_e32 v[164:165], v[4:5], v[22:23]
	v_mul_f64_e32 v[22:23], v[6:7], v[22:23]
	v_fmac_f64_e32 v[166:167], v[160:161], v[16:17]
	v_fma_f64 v[158:159], v[158:159], v[16:17], -v[18:19]
	scratch_load_b128 v[16:19], off, off offset:544
	v_add_f64_e32 v[162:163], v[162:163], v[168:169]
	v_add_f64_e32 v[160:161], v[172:173], v[170:171]
	v_fmac_f64_e32 v[164:165], v[6:7], v[20:21]
	v_fma_f64 v[170:171], v[4:5], v[20:21], -v[22:23]
	ds_load_b128 v[4:7], v2 offset:1136
	s_wait_loadcnt_dscnt 0xb01
	v_mul_f64_e32 v[168:169], v[150:151], v[26:27]
	v_mul_f64_e32 v[26:27], v[152:153], v[26:27]
	scratch_load_b128 v[20:23], off, off offset:560
	v_add_f64_e32 v[162:163], v[162:163], v[166:167]
	s_wait_loadcnt_dscnt 0xb00
	v_mul_f64_e32 v[166:167], v[4:5], v[30:31]
	v_add_f64_e32 v[172:173], v[160:161], v[158:159]
	v_mul_f64_e32 v[30:31], v[6:7], v[30:31]
	ds_load_b128 v[158:161], v2 offset:1152
	v_fmac_f64_e32 v[168:169], v[152:153], v[24:25]
	v_fma_f64 v[150:151], v[150:151], v[24:25], -v[26:27]
	scratch_load_b128 v[24:27], off, off offset:576
	v_add_f64_e32 v[162:163], v[162:163], v[164:165]
	v_fmac_f64_e32 v[166:167], v[6:7], v[28:29]
	v_add_f64_e32 v[152:153], v[172:173], v[170:171]
	v_fma_f64 v[170:171], v[4:5], v[28:29], -v[30:31]
	ds_load_b128 v[4:7], v2 offset:1168
	s_wait_loadcnt_dscnt 0xb01
	v_mul_f64_e32 v[164:165], v[158:159], v[128:129]
	v_mul_f64_e32 v[128:129], v[160:161], v[128:129]
	scratch_load_b128 v[28:31], off, off offset:592
	v_add_f64_e32 v[162:163], v[162:163], v[168:169]
	s_wait_loadcnt_dscnt 0xb00
	v_mul_f64_e32 v[168:169], v[4:5], v[132:133]
	v_add_f64_e32 v[172:173], v[152:153], v[150:151]
	v_mul_f64_e32 v[132:133], v[6:7], v[132:133]
	ds_load_b128 v[150:153], v2 offset:1184
	v_fmac_f64_e32 v[164:165], v[160:161], v[126:127]
	v_fma_f64 v[158:159], v[158:159], v[126:127], -v[128:129]
	scratch_load_b128 v[126:129], off, off offset:608
	v_add_f64_e32 v[162:163], v[162:163], v[166:167]
	v_fmac_f64_e32 v[168:169], v[6:7], v[130:131]
	v_add_f64_e32 v[160:161], v[172:173], v[170:171]
	;; [unrolled: 18-line block ×3, first 2 shown]
	v_fma_f64 v[170:171], v[4:5], v[142:143], -v[144:145]
	ds_load_b128 v[4:7], v2 offset:1232
	s_wait_loadcnt_dscnt 0xa01
	v_mul_f64_e32 v[168:169], v[158:159], v[156:157]
	v_mul_f64_e32 v[156:157], v[160:161], v[156:157]
	scratch_load_b128 v[142:145], off, off offset:656
	v_add_f64_e32 v[162:163], v[162:163], v[166:167]
	v_add_f64_e32 v[172:173], v[152:153], v[150:151]
	s_wait_loadcnt_dscnt 0xa00
	v_mul_f64_e32 v[166:167], v[4:5], v[140:141]
	v_mul_f64_e32 v[140:141], v[6:7], v[140:141]
	v_fmac_f64_e32 v[168:169], v[160:161], v[154:155]
	v_fma_f64 v[158:159], v[158:159], v[154:155], -v[156:157]
	ds_load_b128 v[150:153], v2 offset:1248
	scratch_load_b128 v[154:157], off, off offset:672
	v_add_f64_e32 v[162:163], v[162:163], v[164:165]
	v_add_f64_e32 v[160:161], v[172:173], v[170:171]
	v_fmac_f64_e32 v[166:167], v[6:7], v[138:139]
	v_fma_f64 v[170:171], v[4:5], v[138:139], -v[140:141]
	ds_load_b128 v[4:7], v2 offset:1264
	s_wait_loadcnt_dscnt 0xa01
	v_mul_f64_e32 v[164:165], v[150:151], v[10:11]
	v_mul_f64_e32 v[10:11], v[152:153], v[10:11]
	scratch_load_b128 v[138:141], off, off offset:688
	v_add_f64_e32 v[162:163], v[162:163], v[168:169]
	s_wait_loadcnt_dscnt 0xa00
	v_mul_f64_e32 v[168:169], v[4:5], v[14:15]
	v_add_f64_e32 v[172:173], v[160:161], v[158:159]
	v_mul_f64_e32 v[14:15], v[6:7], v[14:15]
	ds_load_b128 v[158:161], v2 offset:1280
	v_fmac_f64_e32 v[164:165], v[152:153], v[8:9]
	v_fma_f64 v[150:151], v[150:151], v[8:9], -v[10:11]
	scratch_load_b128 v[8:11], off, off offset:704
	v_add_f64_e32 v[162:163], v[162:163], v[166:167]
	v_fmac_f64_e32 v[168:169], v[6:7], v[12:13]
	v_add_f64_e32 v[152:153], v[172:173], v[170:171]
	v_fma_f64 v[170:171], v[4:5], v[12:13], -v[14:15]
	ds_load_b128 v[4:7], v2 offset:1296
	s_wait_loadcnt_dscnt 0xa01
	v_mul_f64_e32 v[166:167], v[158:159], v[18:19]
	v_mul_f64_e32 v[18:19], v[160:161], v[18:19]
	scratch_load_b128 v[12:15], off, off offset:720
	v_add_f64_e32 v[162:163], v[162:163], v[164:165]
	s_wait_loadcnt_dscnt 0xa00
	v_mul_f64_e32 v[164:165], v[4:5], v[22:23]
	v_add_f64_e32 v[172:173], v[152:153], v[150:151]
	v_mul_f64_e32 v[22:23], v[6:7], v[22:23]
	ds_load_b128 v[150:153], v2 offset:1312
	v_fmac_f64_e32 v[166:167], v[160:161], v[16:17]
	v_fma_f64 v[16:17], v[158:159], v[16:17], -v[18:19]
	s_wait_loadcnt_dscnt 0x900
	v_mul_f64_e32 v[160:161], v[150:151], v[26:27]
	v_mul_f64_e32 v[26:27], v[152:153], v[26:27]
	v_add_f64_e32 v[158:159], v[162:163], v[168:169]
	v_fmac_f64_e32 v[164:165], v[6:7], v[20:21]
	v_add_f64_e32 v[18:19], v[172:173], v[170:171]
	v_fma_f64 v[20:21], v[4:5], v[20:21], -v[22:23]
	v_fmac_f64_e32 v[160:161], v[152:153], v[24:25]
	v_fma_f64 v[24:25], v[150:151], v[24:25], -v[26:27]
	v_add_f64_e32 v[158:159], v[158:159], v[166:167]
	v_add_f64_e32 v[22:23], v[18:19], v[16:17]
	ds_load_b128 v[4:7], v2 offset:1328
	ds_load_b128 v[16:19], v2 offset:1344
	s_wait_loadcnt_dscnt 0x801
	v_mul_f64_e32 v[162:163], v[4:5], v[30:31]
	v_mul_f64_e32 v[30:31], v[6:7], v[30:31]
	s_wait_loadcnt_dscnt 0x700
	v_mul_f64_e32 v[26:27], v[16:17], v[128:129]
	v_mul_f64_e32 v[128:129], v[18:19], v[128:129]
	v_add_f64_e32 v[20:21], v[22:23], v[20:21]
	v_add_f64_e32 v[22:23], v[158:159], v[164:165]
	v_fmac_f64_e32 v[162:163], v[6:7], v[28:29]
	v_fma_f64 v[28:29], v[4:5], v[28:29], -v[30:31]
	v_fmac_f64_e32 v[26:27], v[18:19], v[126:127]
	v_fma_f64 v[16:17], v[16:17], v[126:127], -v[128:129]
	v_add_f64_e32 v[24:25], v[20:21], v[24:25]
	v_add_f64_e32 v[30:31], v[22:23], v[160:161]
	ds_load_b128 v[4:7], v2 offset:1360
	ds_load_b128 v[20:23], v2 offset:1376
	s_wait_loadcnt_dscnt 0x601
	v_mul_f64_e32 v[150:151], v[4:5], v[132:133]
	v_mul_f64_e32 v[132:133], v[6:7], v[132:133]
	v_add_f64_e32 v[18:19], v[24:25], v[28:29]
	v_add_f64_e32 v[24:25], v[30:31], v[162:163]
	s_wait_loadcnt_dscnt 0x500
	v_mul_f64_e32 v[28:29], v[20:21], v[136:137]
	v_mul_f64_e32 v[30:31], v[22:23], v[136:137]
	v_fmac_f64_e32 v[150:151], v[6:7], v[130:131]
	v_fma_f64 v[126:127], v[4:5], v[130:131], -v[132:133]
	v_add_f64_e32 v[128:129], v[18:19], v[16:17]
	v_add_f64_e32 v[24:25], v[24:25], v[26:27]
	ds_load_b128 v[4:7], v2 offset:1392
	ds_load_b128 v[16:19], v2 offset:1408
	v_fmac_f64_e32 v[28:29], v[22:23], v[134:135]
	v_fma_f64 v[20:21], v[20:21], v[134:135], -v[30:31]
	s_wait_loadcnt_dscnt 0x401
	v_mul_f64_e32 v[26:27], v[4:5], v[144:145]
	v_mul_f64_e32 v[130:131], v[6:7], v[144:145]
	s_wait_loadcnt_dscnt 0x300
	v_mul_f64_e32 v[30:31], v[16:17], v[156:157]
	v_add_f64_e32 v[22:23], v[128:129], v[126:127]
	v_add_f64_e32 v[24:25], v[24:25], v[150:151]
	v_mul_f64_e32 v[126:127], v[18:19], v[156:157]
	v_fmac_f64_e32 v[26:27], v[6:7], v[142:143]
	v_fma_f64 v[128:129], v[4:5], v[142:143], -v[130:131]
	v_fmac_f64_e32 v[30:31], v[18:19], v[154:155]
	v_add_f64_e32 v[130:131], v[22:23], v[20:21]
	v_add_f64_e32 v[24:25], v[24:25], v[28:29]
	ds_load_b128 v[4:7], v2 offset:1424
	ds_load_b128 v[20:23], v2 offset:1440
	v_fma_f64 v[16:17], v[16:17], v[154:155], -v[126:127]
	s_wait_loadcnt_dscnt 0x201
	v_mul_f64_e32 v[28:29], v[4:5], v[140:141]
	v_mul_f64_e32 v[132:133], v[6:7], v[140:141]
	v_add_f64_e32 v[18:19], v[130:131], v[128:129]
	v_add_f64_e32 v[24:25], v[24:25], v[26:27]
	s_wait_loadcnt_dscnt 0x100
	v_mul_f64_e32 v[26:27], v[20:21], v[10:11]
	v_mul_f64_e32 v[10:11], v[22:23], v[10:11]
	v_fmac_f64_e32 v[28:29], v[6:7], v[138:139]
	v_fma_f64 v[126:127], v[4:5], v[138:139], -v[132:133]
	ds_load_b128 v[4:7], v2 offset:1456
	v_add_f64_e32 v[16:17], v[18:19], v[16:17]
	v_add_f64_e32 v[18:19], v[24:25], v[30:31]
	v_fmac_f64_e32 v[26:27], v[22:23], v[8:9]
	v_fma_f64 v[8:9], v[20:21], v[8:9], -v[10:11]
	s_wait_loadcnt_dscnt 0x0
	v_mul_f64_e32 v[24:25], v[4:5], v[14:15]
	v_mul_f64_e32 v[14:15], v[6:7], v[14:15]
	v_add_f64_e32 v[10:11], v[16:17], v[126:127]
	v_add_f64_e32 v[16:17], v[18:19], v[28:29]
	s_delay_alu instid0(VALU_DEP_4) | instskip(NEXT) | instid1(VALU_DEP_4)
	v_fmac_f64_e32 v[24:25], v[6:7], v[12:13]
	v_fma_f64 v[4:5], v[4:5], v[12:13], -v[14:15]
	s_delay_alu instid0(VALU_DEP_4) | instskip(NEXT) | instid1(VALU_DEP_4)
	v_add_f64_e32 v[6:7], v[10:11], v[8:9]
	v_add_f64_e32 v[8:9], v[16:17], v[26:27]
	s_delay_alu instid0(VALU_DEP_2) | instskip(NEXT) | instid1(VALU_DEP_2)
	v_add_f64_e32 v[4:5], v[6:7], v[4:5]
	v_add_f64_e32 v[6:7], v[8:9], v[24:25]
	s_delay_alu instid0(VALU_DEP_2) | instskip(NEXT) | instid1(VALU_DEP_2)
	v_add_f64_e64 v[4:5], v[146:147], -v[4:5]
	v_add_f64_e64 v[6:7], v[148:149], -v[6:7]
	scratch_store_b128 off, v[4:7], off offset:288
	s_wait_xcnt 0x0
	v_cmpx_lt_u32_e32 17, v1
	s_cbranch_execz .LBB109_255
; %bb.254:
	scratch_load_b128 v[6:9], off, s45
	v_dual_mov_b32 v3, v2 :: v_dual_mov_b32 v4, v2
	v_mov_b32_e32 v5, v2
	scratch_store_b128 off, v[2:5], off offset:272
	s_wait_loadcnt 0x0
	ds_store_b128 v124, v[6:9]
.LBB109_255:
	s_wait_xcnt 0x0
	s_or_b32 exec_lo, exec_lo, s2
	s_wait_storecnt_dscnt 0x0
	s_barrier_signal -1
	s_barrier_wait -1
	s_clause 0x9
	scratch_load_b128 v[4:7], off, off offset:288
	scratch_load_b128 v[8:11], off, off offset:304
	;; [unrolled: 1-line block ×10, first 2 shown]
	ds_load_b128 v[138:141], v2 offset:1024
	ds_load_b128 v[146:149], v2 offset:1040
	s_clause 0x2
	scratch_load_b128 v[142:145], off, off offset:448
	scratch_load_b128 v[150:153], off, off offset:272
	;; [unrolled: 1-line block ×3, first 2 shown]
	s_mov_b32 s2, exec_lo
	s_wait_loadcnt_dscnt 0xc01
	v_mul_f64_e32 v[158:159], v[140:141], v[6:7]
	v_mul_f64_e32 v[162:163], v[138:139], v[6:7]
	s_wait_loadcnt_dscnt 0xb00
	v_mul_f64_e32 v[164:165], v[146:147], v[10:11]
	v_mul_f64_e32 v[10:11], v[148:149], v[10:11]
	s_delay_alu instid0(VALU_DEP_4) | instskip(NEXT) | instid1(VALU_DEP_4)
	v_fma_f64 v[166:167], v[138:139], v[4:5], -v[158:159]
	v_fmac_f64_e32 v[162:163], v[140:141], v[4:5]
	ds_load_b128 v[4:7], v2 offset:1056
	ds_load_b128 v[138:141], v2 offset:1072
	scratch_load_b128 v[158:161], off, off offset:480
	v_fmac_f64_e32 v[164:165], v[148:149], v[8:9]
	v_fma_f64 v[146:147], v[146:147], v[8:9], -v[10:11]
	scratch_load_b128 v[8:11], off, off offset:496
	s_wait_loadcnt_dscnt 0xc01
	v_mul_f64_e32 v[168:169], v[4:5], v[14:15]
	v_mul_f64_e32 v[14:15], v[6:7], v[14:15]
	v_add_f64_e32 v[148:149], 0, v[166:167]
	v_add_f64_e32 v[162:163], 0, v[162:163]
	s_wait_loadcnt_dscnt 0xb00
	v_mul_f64_e32 v[166:167], v[138:139], v[18:19]
	v_mul_f64_e32 v[18:19], v[140:141], v[18:19]
	v_fmac_f64_e32 v[168:169], v[6:7], v[12:13]
	v_fma_f64 v[170:171], v[4:5], v[12:13], -v[14:15]
	ds_load_b128 v[4:7], v2 offset:1088
	ds_load_b128 v[12:15], v2 offset:1104
	v_add_f64_e32 v[172:173], v[148:149], v[146:147]
	v_add_f64_e32 v[162:163], v[162:163], v[164:165]
	scratch_load_b128 v[146:149], off, off offset:512
	v_fmac_f64_e32 v[166:167], v[140:141], v[16:17]
	v_fma_f64 v[138:139], v[138:139], v[16:17], -v[18:19]
	scratch_load_b128 v[16:19], off, off offset:528
	s_wait_loadcnt_dscnt 0xc01
	v_mul_f64_e32 v[164:165], v[4:5], v[22:23]
	v_mul_f64_e32 v[22:23], v[6:7], v[22:23]
	v_add_f64_e32 v[140:141], v[172:173], v[170:171]
	v_add_f64_e32 v[162:163], v[162:163], v[168:169]
	s_wait_loadcnt_dscnt 0xb00
	v_mul_f64_e32 v[168:169], v[12:13], v[26:27]
	v_mul_f64_e32 v[26:27], v[14:15], v[26:27]
	v_fmac_f64_e32 v[164:165], v[6:7], v[20:21]
	v_fma_f64 v[170:171], v[4:5], v[20:21], -v[22:23]
	ds_load_b128 v[4:7], v2 offset:1120
	ds_load_b128 v[20:23], v2 offset:1136
	v_add_f64_e32 v[172:173], v[140:141], v[138:139]
	v_add_f64_e32 v[162:163], v[162:163], v[166:167]
	scratch_load_b128 v[138:141], off, off offset:544
	s_wait_loadcnt_dscnt 0xb01
	v_mul_f64_e32 v[166:167], v[4:5], v[30:31]
	v_mul_f64_e32 v[30:31], v[6:7], v[30:31]
	v_fmac_f64_e32 v[168:169], v[14:15], v[24:25]
	v_fma_f64 v[24:25], v[12:13], v[24:25], -v[26:27]
	scratch_load_b128 v[12:15], off, off offset:560
	v_add_f64_e32 v[26:27], v[172:173], v[170:171]
	v_add_f64_e32 v[162:163], v[162:163], v[164:165]
	s_wait_loadcnt_dscnt 0xb00
	v_mul_f64_e32 v[164:165], v[20:21], v[128:129]
	v_mul_f64_e32 v[128:129], v[22:23], v[128:129]
	v_fmac_f64_e32 v[166:167], v[6:7], v[28:29]
	v_fma_f64 v[170:171], v[4:5], v[28:29], -v[30:31]
	v_add_f64_e32 v[172:173], v[26:27], v[24:25]
	v_add_f64_e32 v[162:163], v[162:163], v[168:169]
	ds_load_b128 v[4:7], v2 offset:1152
	ds_load_b128 v[24:27], v2 offset:1168
	scratch_load_b128 v[28:31], off, off offset:576
	v_fmac_f64_e32 v[164:165], v[22:23], v[126:127]
	v_fma_f64 v[126:127], v[20:21], v[126:127], -v[128:129]
	scratch_load_b128 v[20:23], off, off offset:592
	s_wait_loadcnt_dscnt 0xc01
	v_mul_f64_e32 v[168:169], v[4:5], v[132:133]
	v_mul_f64_e32 v[132:133], v[6:7], v[132:133]
	v_add_f64_e32 v[128:129], v[172:173], v[170:171]
	v_add_f64_e32 v[162:163], v[162:163], v[166:167]
	s_wait_loadcnt_dscnt 0xb00
	v_mul_f64_e32 v[166:167], v[24:25], v[136:137]
	v_mul_f64_e32 v[136:137], v[26:27], v[136:137]
	v_fmac_f64_e32 v[168:169], v[6:7], v[130:131]
	v_fma_f64 v[170:171], v[4:5], v[130:131], -v[132:133]
	v_add_f64_e32 v[172:173], v[128:129], v[126:127]
	v_add_f64_e32 v[162:163], v[162:163], v[164:165]
	ds_load_b128 v[4:7], v2 offset:1184
	ds_load_b128 v[126:129], v2 offset:1200
	scratch_load_b128 v[130:133], off, off offset:608
	v_fmac_f64_e32 v[166:167], v[26:27], v[134:135]
	v_fma_f64 v[134:135], v[24:25], v[134:135], -v[136:137]
	scratch_load_b128 v[24:27], off, off offset:624
	s_wait_loadcnt_dscnt 0xc01
	v_mul_f64_e32 v[164:165], v[4:5], v[144:145]
	v_mul_f64_e32 v[144:145], v[6:7], v[144:145]
	;; [unrolled: 18-line block ×5, first 2 shown]
	v_add_f64_e32 v[156:157], v[172:173], v[170:171]
	v_add_f64_e32 v[162:163], v[162:163], v[168:169]
	s_wait_loadcnt_dscnt 0xa00
	v_mul_f64_e32 v[168:169], v[134:135], v[14:15]
	v_mul_f64_e32 v[14:15], v[136:137], v[14:15]
	v_fmac_f64_e32 v[164:165], v[6:7], v[138:139]
	v_fma_f64 v[170:171], v[4:5], v[138:139], -v[140:141]
	ds_load_b128 v[4:7], v2 offset:1312
	ds_load_b128 v[138:141], v2 offset:1328
	v_add_f64_e32 v[154:155], v[156:157], v[154:155]
	v_add_f64_e32 v[156:157], v[162:163], v[166:167]
	v_fmac_f64_e32 v[168:169], v[136:137], v[12:13]
	v_fma_f64 v[12:13], v[134:135], v[12:13], -v[14:15]
	s_wait_loadcnt_dscnt 0x901
	v_mul_f64_e32 v[162:163], v[4:5], v[30:31]
	v_mul_f64_e32 v[30:31], v[6:7], v[30:31]
	s_wait_loadcnt_dscnt 0x800
	v_mul_f64_e32 v[136:137], v[138:139], v[22:23]
	v_mul_f64_e32 v[22:23], v[140:141], v[22:23]
	v_add_f64_e32 v[14:15], v[154:155], v[170:171]
	v_add_f64_e32 v[134:135], v[156:157], v[164:165]
	v_fmac_f64_e32 v[162:163], v[6:7], v[28:29]
	v_fma_f64 v[28:29], v[4:5], v[28:29], -v[30:31]
	v_fmac_f64_e32 v[136:137], v[140:141], v[20:21]
	v_fma_f64 v[20:21], v[138:139], v[20:21], -v[22:23]
	v_add_f64_e32 v[30:31], v[14:15], v[12:13]
	v_add_f64_e32 v[134:135], v[134:135], v[168:169]
	ds_load_b128 v[4:7], v2 offset:1344
	ds_load_b128 v[12:15], v2 offset:1360
	s_wait_loadcnt_dscnt 0x701
	v_mul_f64_e32 v[154:155], v[4:5], v[132:133]
	v_mul_f64_e32 v[132:133], v[6:7], v[132:133]
	v_add_f64_e32 v[22:23], v[30:31], v[28:29]
	v_add_f64_e32 v[28:29], v[134:135], v[162:163]
	s_wait_loadcnt_dscnt 0x600
	v_mul_f64_e32 v[30:31], v[12:13], v[26:27]
	v_mul_f64_e32 v[26:27], v[14:15], v[26:27]
	v_fmac_f64_e32 v[154:155], v[6:7], v[130:131]
	v_fma_f64 v[130:131], v[4:5], v[130:131], -v[132:133]
	v_add_f64_e32 v[132:133], v[22:23], v[20:21]
	v_add_f64_e32 v[28:29], v[28:29], v[136:137]
	ds_load_b128 v[4:7], v2 offset:1376
	ds_load_b128 v[20:23], v2 offset:1392
	v_fmac_f64_e32 v[30:31], v[14:15], v[24:25]
	v_fma_f64 v[12:13], v[12:13], v[24:25], -v[26:27]
	s_wait_loadcnt_dscnt 0x501
	v_mul_f64_e32 v[134:135], v[4:5], v[144:145]
	v_mul_f64_e32 v[136:137], v[6:7], v[144:145]
	s_wait_loadcnt_dscnt 0x400
	v_mul_f64_e32 v[26:27], v[20:21], v[128:129]
	v_add_f64_e32 v[14:15], v[132:133], v[130:131]
	v_add_f64_e32 v[24:25], v[28:29], v[154:155]
	v_mul_f64_e32 v[28:29], v[22:23], v[128:129]
	v_fmac_f64_e32 v[134:135], v[6:7], v[142:143]
	v_fma_f64 v[128:129], v[4:5], v[142:143], -v[136:137]
	v_fmac_f64_e32 v[26:27], v[22:23], v[126:127]
	v_add_f64_e32 v[130:131], v[14:15], v[12:13]
	v_add_f64_e32 v[24:25], v[24:25], v[30:31]
	ds_load_b128 v[4:7], v2 offset:1408
	ds_load_b128 v[12:15], v2 offset:1424
	v_fma_f64 v[20:21], v[20:21], v[126:127], -v[28:29]
	s_wait_loadcnt_dscnt 0x301
	v_mul_f64_e32 v[30:31], v[4:5], v[160:161]
	v_mul_f64_e32 v[132:133], v[6:7], v[160:161]
	s_wait_loadcnt_dscnt 0x200
	v_mul_f64_e32 v[28:29], v[12:13], v[10:11]
	v_mul_f64_e32 v[10:11], v[14:15], v[10:11]
	v_add_f64_e32 v[22:23], v[130:131], v[128:129]
	v_add_f64_e32 v[24:25], v[24:25], v[134:135]
	v_fmac_f64_e32 v[30:31], v[6:7], v[158:159]
	v_fma_f64 v[126:127], v[4:5], v[158:159], -v[132:133]
	v_fmac_f64_e32 v[28:29], v[14:15], v[8:9]
	v_fma_f64 v[8:9], v[12:13], v[8:9], -v[10:11]
	v_add_f64_e32 v[128:129], v[22:23], v[20:21]
	v_add_f64_e32 v[24:25], v[24:25], v[26:27]
	ds_load_b128 v[4:7], v2 offset:1440
	ds_load_b128 v[20:23], v2 offset:1456
	s_wait_loadcnt_dscnt 0x101
	v_mul_f64_e32 v[2:3], v[4:5], v[148:149]
	v_mul_f64_e32 v[26:27], v[6:7], v[148:149]
	s_wait_loadcnt_dscnt 0x0
	v_mul_f64_e32 v[14:15], v[20:21], v[18:19]
	v_mul_f64_e32 v[18:19], v[22:23], v[18:19]
	v_add_f64_e32 v[10:11], v[128:129], v[126:127]
	v_add_f64_e32 v[12:13], v[24:25], v[30:31]
	v_fmac_f64_e32 v[2:3], v[6:7], v[146:147]
	v_fma_f64 v[4:5], v[4:5], v[146:147], -v[26:27]
	v_fmac_f64_e32 v[14:15], v[22:23], v[16:17]
	v_add_f64_e32 v[6:7], v[10:11], v[8:9]
	v_add_f64_e32 v[8:9], v[12:13], v[28:29]
	v_fma_f64 v[10:11], v[20:21], v[16:17], -v[18:19]
	s_delay_alu instid0(VALU_DEP_3) | instskip(NEXT) | instid1(VALU_DEP_3)
	v_add_f64_e32 v[4:5], v[6:7], v[4:5]
	v_add_f64_e32 v[2:3], v[8:9], v[2:3]
	s_delay_alu instid0(VALU_DEP_2) | instskip(NEXT) | instid1(VALU_DEP_2)
	v_add_f64_e32 v[4:5], v[4:5], v[10:11]
	v_add_f64_e32 v[6:7], v[2:3], v[14:15]
	s_delay_alu instid0(VALU_DEP_2) | instskip(NEXT) | instid1(VALU_DEP_2)
	v_add_f64_e64 v[2:3], v[150:151], -v[4:5]
	v_add_f64_e64 v[4:5], v[152:153], -v[6:7]
	scratch_store_b128 off, v[2:5], off offset:272
	s_wait_xcnt 0x0
	v_cmpx_lt_u32_e32 16, v1
	s_cbranch_execz .LBB109_257
; %bb.256:
	scratch_load_b128 v[2:5], off, s46
	v_mov_b32_e32 v6, 0
	s_delay_alu instid0(VALU_DEP_1)
	v_dual_mov_b32 v7, v6 :: v_dual_mov_b32 v8, v6
	v_mov_b32_e32 v9, v6
	scratch_store_b128 off, v[6:9], off offset:256
	s_wait_loadcnt 0x0
	ds_store_b128 v124, v[2:5]
.LBB109_257:
	s_wait_xcnt 0x0
	s_or_b32 exec_lo, exec_lo, s2
	s_wait_storecnt_dscnt 0x0
	s_barrier_signal -1
	s_barrier_wait -1
	s_clause 0x9
	scratch_load_b128 v[4:7], off, off offset:272
	scratch_load_b128 v[8:11], off, off offset:288
	;; [unrolled: 1-line block ×10, first 2 shown]
	v_mov_b32_e32 v2, 0
	s_mov_b32 s2, exec_lo
	ds_load_b128 v[138:141], v2 offset:1008
	s_clause 0x2
	scratch_load_b128 v[142:145], off, off offset:432
	scratch_load_b128 v[146:149], off, off offset:256
	;; [unrolled: 1-line block ×3, first 2 shown]
	s_wait_loadcnt_dscnt 0xc00
	v_mul_f64_e32 v[158:159], v[140:141], v[6:7]
	v_mul_f64_e32 v[162:163], v[138:139], v[6:7]
	ds_load_b128 v[150:153], v2 offset:1024
	v_fma_f64 v[166:167], v[138:139], v[4:5], -v[158:159]
	v_fmac_f64_e32 v[162:163], v[140:141], v[4:5]
	ds_load_b128 v[4:7], v2 offset:1040
	s_wait_loadcnt_dscnt 0xb01
	v_mul_f64_e32 v[164:165], v[150:151], v[10:11]
	v_mul_f64_e32 v[10:11], v[152:153], v[10:11]
	scratch_load_b128 v[138:141], off, off offset:464
	ds_load_b128 v[158:161], v2 offset:1056
	s_wait_loadcnt_dscnt 0xb01
	v_mul_f64_e32 v[168:169], v[4:5], v[14:15]
	v_mul_f64_e32 v[14:15], v[6:7], v[14:15]
	v_add_f64_e32 v[162:163], 0, v[162:163]
	v_fmac_f64_e32 v[164:165], v[152:153], v[8:9]
	v_fma_f64 v[150:151], v[150:151], v[8:9], -v[10:11]
	v_add_f64_e32 v[152:153], 0, v[166:167]
	scratch_load_b128 v[8:11], off, off offset:480
	v_fmac_f64_e32 v[168:169], v[6:7], v[12:13]
	v_fma_f64 v[170:171], v[4:5], v[12:13], -v[14:15]
	ds_load_b128 v[4:7], v2 offset:1072
	s_wait_loadcnt_dscnt 0xb01
	v_mul_f64_e32 v[166:167], v[158:159], v[18:19]
	v_mul_f64_e32 v[18:19], v[160:161], v[18:19]
	scratch_load_b128 v[12:15], off, off offset:496
	v_add_f64_e32 v[162:163], v[162:163], v[164:165]
	v_add_f64_e32 v[172:173], v[152:153], v[150:151]
	ds_load_b128 v[150:153], v2 offset:1088
	s_wait_loadcnt_dscnt 0xb01
	v_mul_f64_e32 v[164:165], v[4:5], v[22:23]
	v_mul_f64_e32 v[22:23], v[6:7], v[22:23]
	v_fmac_f64_e32 v[166:167], v[160:161], v[16:17]
	v_fma_f64 v[158:159], v[158:159], v[16:17], -v[18:19]
	scratch_load_b128 v[16:19], off, off offset:512
	v_add_f64_e32 v[162:163], v[162:163], v[168:169]
	v_add_f64_e32 v[160:161], v[172:173], v[170:171]
	v_fmac_f64_e32 v[164:165], v[6:7], v[20:21]
	v_fma_f64 v[170:171], v[4:5], v[20:21], -v[22:23]
	ds_load_b128 v[4:7], v2 offset:1104
	s_wait_loadcnt_dscnt 0xb01
	v_mul_f64_e32 v[168:169], v[150:151], v[26:27]
	v_mul_f64_e32 v[26:27], v[152:153], v[26:27]
	scratch_load_b128 v[20:23], off, off offset:528
	v_add_f64_e32 v[162:163], v[162:163], v[166:167]
	s_wait_loadcnt_dscnt 0xb00
	v_mul_f64_e32 v[166:167], v[4:5], v[30:31]
	v_add_f64_e32 v[172:173], v[160:161], v[158:159]
	v_mul_f64_e32 v[30:31], v[6:7], v[30:31]
	ds_load_b128 v[158:161], v2 offset:1120
	v_fmac_f64_e32 v[168:169], v[152:153], v[24:25]
	v_fma_f64 v[150:151], v[150:151], v[24:25], -v[26:27]
	scratch_load_b128 v[24:27], off, off offset:544
	v_add_f64_e32 v[162:163], v[162:163], v[164:165]
	v_fmac_f64_e32 v[166:167], v[6:7], v[28:29]
	v_add_f64_e32 v[152:153], v[172:173], v[170:171]
	v_fma_f64 v[170:171], v[4:5], v[28:29], -v[30:31]
	ds_load_b128 v[4:7], v2 offset:1136
	s_wait_loadcnt_dscnt 0xb01
	v_mul_f64_e32 v[164:165], v[158:159], v[128:129]
	v_mul_f64_e32 v[128:129], v[160:161], v[128:129]
	scratch_load_b128 v[28:31], off, off offset:560
	v_add_f64_e32 v[162:163], v[162:163], v[168:169]
	s_wait_loadcnt_dscnt 0xb00
	v_mul_f64_e32 v[168:169], v[4:5], v[132:133]
	v_add_f64_e32 v[172:173], v[152:153], v[150:151]
	v_mul_f64_e32 v[132:133], v[6:7], v[132:133]
	ds_load_b128 v[150:153], v2 offset:1152
	v_fmac_f64_e32 v[164:165], v[160:161], v[126:127]
	v_fma_f64 v[158:159], v[158:159], v[126:127], -v[128:129]
	scratch_load_b128 v[126:129], off, off offset:576
	v_add_f64_e32 v[162:163], v[162:163], v[166:167]
	v_fmac_f64_e32 v[168:169], v[6:7], v[130:131]
	v_add_f64_e32 v[160:161], v[172:173], v[170:171]
	;; [unrolled: 18-line block ×3, first 2 shown]
	v_fma_f64 v[170:171], v[4:5], v[142:143], -v[144:145]
	ds_load_b128 v[4:7], v2 offset:1200
	s_wait_loadcnt_dscnt 0xa01
	v_mul_f64_e32 v[168:169], v[158:159], v[156:157]
	v_mul_f64_e32 v[156:157], v[160:161], v[156:157]
	scratch_load_b128 v[142:145], off, off offset:624
	v_add_f64_e32 v[162:163], v[162:163], v[166:167]
	v_add_f64_e32 v[172:173], v[152:153], v[150:151]
	s_wait_loadcnt_dscnt 0xa00
	v_mul_f64_e32 v[166:167], v[4:5], v[140:141]
	v_mul_f64_e32 v[140:141], v[6:7], v[140:141]
	v_fmac_f64_e32 v[168:169], v[160:161], v[154:155]
	v_fma_f64 v[158:159], v[158:159], v[154:155], -v[156:157]
	ds_load_b128 v[150:153], v2 offset:1216
	scratch_load_b128 v[154:157], off, off offset:640
	v_add_f64_e32 v[162:163], v[162:163], v[164:165]
	v_add_f64_e32 v[160:161], v[172:173], v[170:171]
	v_fmac_f64_e32 v[166:167], v[6:7], v[138:139]
	v_fma_f64 v[170:171], v[4:5], v[138:139], -v[140:141]
	ds_load_b128 v[4:7], v2 offset:1232
	s_wait_loadcnt_dscnt 0xa01
	v_mul_f64_e32 v[164:165], v[150:151], v[10:11]
	v_mul_f64_e32 v[10:11], v[152:153], v[10:11]
	scratch_load_b128 v[138:141], off, off offset:656
	v_add_f64_e32 v[162:163], v[162:163], v[168:169]
	s_wait_loadcnt_dscnt 0xa00
	v_mul_f64_e32 v[168:169], v[4:5], v[14:15]
	v_add_f64_e32 v[172:173], v[160:161], v[158:159]
	v_mul_f64_e32 v[14:15], v[6:7], v[14:15]
	ds_load_b128 v[158:161], v2 offset:1248
	v_fmac_f64_e32 v[164:165], v[152:153], v[8:9]
	v_fma_f64 v[150:151], v[150:151], v[8:9], -v[10:11]
	scratch_load_b128 v[8:11], off, off offset:672
	v_add_f64_e32 v[162:163], v[162:163], v[166:167]
	v_fmac_f64_e32 v[168:169], v[6:7], v[12:13]
	v_add_f64_e32 v[152:153], v[172:173], v[170:171]
	v_fma_f64 v[170:171], v[4:5], v[12:13], -v[14:15]
	ds_load_b128 v[4:7], v2 offset:1264
	s_wait_loadcnt_dscnt 0xa01
	v_mul_f64_e32 v[166:167], v[158:159], v[18:19]
	v_mul_f64_e32 v[18:19], v[160:161], v[18:19]
	scratch_load_b128 v[12:15], off, off offset:688
	v_add_f64_e32 v[162:163], v[162:163], v[164:165]
	s_wait_loadcnt_dscnt 0xa00
	v_mul_f64_e32 v[164:165], v[4:5], v[22:23]
	v_add_f64_e32 v[172:173], v[152:153], v[150:151]
	v_mul_f64_e32 v[22:23], v[6:7], v[22:23]
	ds_load_b128 v[150:153], v2 offset:1280
	v_fmac_f64_e32 v[166:167], v[160:161], v[16:17]
	v_fma_f64 v[158:159], v[158:159], v[16:17], -v[18:19]
	scratch_load_b128 v[16:19], off, off offset:704
	v_add_f64_e32 v[162:163], v[162:163], v[168:169]
	v_fmac_f64_e32 v[164:165], v[6:7], v[20:21]
	v_add_f64_e32 v[160:161], v[172:173], v[170:171]
	v_fma_f64 v[170:171], v[4:5], v[20:21], -v[22:23]
	ds_load_b128 v[4:7], v2 offset:1296
	s_wait_loadcnt_dscnt 0xa01
	v_mul_f64_e32 v[168:169], v[150:151], v[26:27]
	v_mul_f64_e32 v[26:27], v[152:153], v[26:27]
	scratch_load_b128 v[20:23], off, off offset:720
	v_add_f64_e32 v[162:163], v[162:163], v[166:167]
	s_wait_loadcnt_dscnt 0xa00
	v_mul_f64_e32 v[166:167], v[4:5], v[30:31]
	v_add_f64_e32 v[172:173], v[160:161], v[158:159]
	v_mul_f64_e32 v[30:31], v[6:7], v[30:31]
	ds_load_b128 v[158:161], v2 offset:1312
	v_fmac_f64_e32 v[168:169], v[152:153], v[24:25]
	v_fma_f64 v[24:25], v[150:151], v[24:25], -v[26:27]
	s_wait_loadcnt_dscnt 0x900
	v_mul_f64_e32 v[152:153], v[158:159], v[128:129]
	v_mul_f64_e32 v[128:129], v[160:161], v[128:129]
	v_add_f64_e32 v[150:151], v[162:163], v[164:165]
	v_fmac_f64_e32 v[166:167], v[6:7], v[28:29]
	v_add_f64_e32 v[26:27], v[172:173], v[170:171]
	v_fma_f64 v[28:29], v[4:5], v[28:29], -v[30:31]
	v_fmac_f64_e32 v[152:153], v[160:161], v[126:127]
	v_fma_f64 v[126:127], v[158:159], v[126:127], -v[128:129]
	v_add_f64_e32 v[150:151], v[150:151], v[168:169]
	v_add_f64_e32 v[30:31], v[26:27], v[24:25]
	ds_load_b128 v[4:7], v2 offset:1328
	ds_load_b128 v[24:27], v2 offset:1344
	s_wait_loadcnt_dscnt 0x801
	v_mul_f64_e32 v[162:163], v[4:5], v[132:133]
	v_mul_f64_e32 v[132:133], v[6:7], v[132:133]
	s_wait_loadcnt_dscnt 0x700
	v_mul_f64_e32 v[128:129], v[24:25], v[136:137]
	v_mul_f64_e32 v[136:137], v[26:27], v[136:137]
	v_add_f64_e32 v[28:29], v[30:31], v[28:29]
	v_add_f64_e32 v[30:31], v[150:151], v[166:167]
	v_fmac_f64_e32 v[162:163], v[6:7], v[130:131]
	v_fma_f64 v[130:131], v[4:5], v[130:131], -v[132:133]
	v_fmac_f64_e32 v[128:129], v[26:27], v[134:135]
	v_fma_f64 v[24:25], v[24:25], v[134:135], -v[136:137]
	v_add_f64_e32 v[126:127], v[28:29], v[126:127]
	v_add_f64_e32 v[132:133], v[30:31], v[152:153]
	ds_load_b128 v[4:7], v2 offset:1360
	ds_load_b128 v[28:31], v2 offset:1376
	s_wait_loadcnt_dscnt 0x601
	v_mul_f64_e32 v[150:151], v[4:5], v[144:145]
	v_mul_f64_e32 v[144:145], v[6:7], v[144:145]
	v_add_f64_e32 v[26:27], v[126:127], v[130:131]
	v_add_f64_e32 v[126:127], v[132:133], v[162:163]
	s_wait_loadcnt_dscnt 0x500
	v_mul_f64_e32 v[130:131], v[28:29], v[156:157]
	v_mul_f64_e32 v[132:133], v[30:31], v[156:157]
	v_fmac_f64_e32 v[150:151], v[6:7], v[142:143]
	v_fma_f64 v[134:135], v[4:5], v[142:143], -v[144:145]
	v_add_f64_e32 v[136:137], v[26:27], v[24:25]
	v_add_f64_e32 v[126:127], v[126:127], v[128:129]
	ds_load_b128 v[4:7], v2 offset:1392
	ds_load_b128 v[24:27], v2 offset:1408
	v_fmac_f64_e32 v[130:131], v[30:31], v[154:155]
	v_fma_f64 v[28:29], v[28:29], v[154:155], -v[132:133]
	s_wait_loadcnt_dscnt 0x401
	v_mul_f64_e32 v[128:129], v[4:5], v[140:141]
	v_mul_f64_e32 v[140:141], v[6:7], v[140:141]
	s_wait_loadcnt_dscnt 0x300
	v_mul_f64_e32 v[132:133], v[24:25], v[10:11]
	v_mul_f64_e32 v[10:11], v[26:27], v[10:11]
	v_add_f64_e32 v[30:31], v[136:137], v[134:135]
	v_add_f64_e32 v[126:127], v[126:127], v[150:151]
	v_fmac_f64_e32 v[128:129], v[6:7], v[138:139]
	v_fma_f64 v[134:135], v[4:5], v[138:139], -v[140:141]
	v_fmac_f64_e32 v[132:133], v[26:27], v[8:9]
	v_fma_f64 v[8:9], v[24:25], v[8:9], -v[10:11]
	v_add_f64_e32 v[136:137], v[30:31], v[28:29]
	v_add_f64_e32 v[126:127], v[126:127], v[130:131]
	ds_load_b128 v[4:7], v2 offset:1424
	ds_load_b128 v[28:31], v2 offset:1440
	s_wait_loadcnt_dscnt 0x201
	v_mul_f64_e32 v[130:131], v[4:5], v[14:15]
	v_mul_f64_e32 v[14:15], v[6:7], v[14:15]
	s_wait_loadcnt_dscnt 0x100
	v_mul_f64_e32 v[26:27], v[28:29], v[18:19]
	v_mul_f64_e32 v[18:19], v[30:31], v[18:19]
	v_add_f64_e32 v[10:11], v[136:137], v[134:135]
	v_add_f64_e32 v[24:25], v[126:127], v[128:129]
	v_fmac_f64_e32 v[130:131], v[6:7], v[12:13]
	v_fma_f64 v[12:13], v[4:5], v[12:13], -v[14:15]
	ds_load_b128 v[4:7], v2 offset:1456
	v_fmac_f64_e32 v[26:27], v[30:31], v[16:17]
	v_fma_f64 v[16:17], v[28:29], v[16:17], -v[18:19]
	v_add_f64_e32 v[8:9], v[10:11], v[8:9]
	v_add_f64_e32 v[10:11], v[24:25], v[132:133]
	s_wait_loadcnt_dscnt 0x0
	v_mul_f64_e32 v[14:15], v[4:5], v[22:23]
	v_mul_f64_e32 v[22:23], v[6:7], v[22:23]
	s_delay_alu instid0(VALU_DEP_4) | instskip(NEXT) | instid1(VALU_DEP_4)
	v_add_f64_e32 v[8:9], v[8:9], v[12:13]
	v_add_f64_e32 v[10:11], v[10:11], v[130:131]
	s_delay_alu instid0(VALU_DEP_4) | instskip(NEXT) | instid1(VALU_DEP_4)
	v_fmac_f64_e32 v[14:15], v[6:7], v[20:21]
	v_fma_f64 v[4:5], v[4:5], v[20:21], -v[22:23]
	s_delay_alu instid0(VALU_DEP_4) | instskip(NEXT) | instid1(VALU_DEP_4)
	v_add_f64_e32 v[6:7], v[8:9], v[16:17]
	v_add_f64_e32 v[8:9], v[10:11], v[26:27]
	s_delay_alu instid0(VALU_DEP_2) | instskip(NEXT) | instid1(VALU_DEP_2)
	v_add_f64_e32 v[4:5], v[6:7], v[4:5]
	v_add_f64_e32 v[6:7], v[8:9], v[14:15]
	s_delay_alu instid0(VALU_DEP_2) | instskip(NEXT) | instid1(VALU_DEP_2)
	v_add_f64_e64 v[4:5], v[146:147], -v[4:5]
	v_add_f64_e64 v[6:7], v[148:149], -v[6:7]
	scratch_store_b128 off, v[4:7], off offset:256
	s_wait_xcnt 0x0
	v_cmpx_lt_u32_e32 15, v1
	s_cbranch_execz .LBB109_259
; %bb.258:
	scratch_load_b128 v[6:9], off, s47
	v_dual_mov_b32 v3, v2 :: v_dual_mov_b32 v4, v2
	v_mov_b32_e32 v5, v2
	scratch_store_b128 off, v[2:5], off offset:240
	s_wait_loadcnt 0x0
	ds_store_b128 v124, v[6:9]
.LBB109_259:
	s_wait_xcnt 0x0
	s_or_b32 exec_lo, exec_lo, s2
	s_wait_storecnt_dscnt 0x0
	s_barrier_signal -1
	s_barrier_wait -1
	s_clause 0x9
	scratch_load_b128 v[4:7], off, off offset:256
	scratch_load_b128 v[8:11], off, off offset:272
	;; [unrolled: 1-line block ×10, first 2 shown]
	ds_load_b128 v[138:141], v2 offset:992
	ds_load_b128 v[146:149], v2 offset:1008
	s_clause 0x2
	scratch_load_b128 v[142:145], off, off offset:416
	scratch_load_b128 v[150:153], off, off offset:240
	;; [unrolled: 1-line block ×3, first 2 shown]
	s_mov_b32 s2, exec_lo
	s_wait_loadcnt_dscnt 0xc01
	v_mul_f64_e32 v[158:159], v[140:141], v[6:7]
	v_mul_f64_e32 v[162:163], v[138:139], v[6:7]
	s_wait_loadcnt_dscnt 0xb00
	v_mul_f64_e32 v[164:165], v[146:147], v[10:11]
	v_mul_f64_e32 v[10:11], v[148:149], v[10:11]
	s_delay_alu instid0(VALU_DEP_4) | instskip(NEXT) | instid1(VALU_DEP_4)
	v_fma_f64 v[166:167], v[138:139], v[4:5], -v[158:159]
	v_fmac_f64_e32 v[162:163], v[140:141], v[4:5]
	ds_load_b128 v[4:7], v2 offset:1024
	ds_load_b128 v[138:141], v2 offset:1040
	scratch_load_b128 v[158:161], off, off offset:448
	v_fmac_f64_e32 v[164:165], v[148:149], v[8:9]
	v_fma_f64 v[146:147], v[146:147], v[8:9], -v[10:11]
	scratch_load_b128 v[8:11], off, off offset:464
	s_wait_loadcnt_dscnt 0xc01
	v_mul_f64_e32 v[168:169], v[4:5], v[14:15]
	v_mul_f64_e32 v[14:15], v[6:7], v[14:15]
	v_add_f64_e32 v[148:149], 0, v[166:167]
	v_add_f64_e32 v[162:163], 0, v[162:163]
	s_wait_loadcnt_dscnt 0xb00
	v_mul_f64_e32 v[166:167], v[138:139], v[18:19]
	v_mul_f64_e32 v[18:19], v[140:141], v[18:19]
	v_fmac_f64_e32 v[168:169], v[6:7], v[12:13]
	v_fma_f64 v[170:171], v[4:5], v[12:13], -v[14:15]
	ds_load_b128 v[4:7], v2 offset:1056
	ds_load_b128 v[12:15], v2 offset:1072
	v_add_f64_e32 v[172:173], v[148:149], v[146:147]
	v_add_f64_e32 v[162:163], v[162:163], v[164:165]
	scratch_load_b128 v[146:149], off, off offset:480
	v_fmac_f64_e32 v[166:167], v[140:141], v[16:17]
	v_fma_f64 v[138:139], v[138:139], v[16:17], -v[18:19]
	scratch_load_b128 v[16:19], off, off offset:496
	s_wait_loadcnt_dscnt 0xc01
	v_mul_f64_e32 v[164:165], v[4:5], v[22:23]
	v_mul_f64_e32 v[22:23], v[6:7], v[22:23]
	v_add_f64_e32 v[140:141], v[172:173], v[170:171]
	v_add_f64_e32 v[162:163], v[162:163], v[168:169]
	s_wait_loadcnt_dscnt 0xb00
	v_mul_f64_e32 v[168:169], v[12:13], v[26:27]
	v_mul_f64_e32 v[26:27], v[14:15], v[26:27]
	v_fmac_f64_e32 v[164:165], v[6:7], v[20:21]
	v_fma_f64 v[170:171], v[4:5], v[20:21], -v[22:23]
	ds_load_b128 v[4:7], v2 offset:1088
	ds_load_b128 v[20:23], v2 offset:1104
	v_add_f64_e32 v[172:173], v[140:141], v[138:139]
	v_add_f64_e32 v[162:163], v[162:163], v[166:167]
	scratch_load_b128 v[138:141], off, off offset:512
	s_wait_loadcnt_dscnt 0xb01
	v_mul_f64_e32 v[166:167], v[4:5], v[30:31]
	v_mul_f64_e32 v[30:31], v[6:7], v[30:31]
	v_fmac_f64_e32 v[168:169], v[14:15], v[24:25]
	v_fma_f64 v[24:25], v[12:13], v[24:25], -v[26:27]
	scratch_load_b128 v[12:15], off, off offset:528
	v_add_f64_e32 v[26:27], v[172:173], v[170:171]
	v_add_f64_e32 v[162:163], v[162:163], v[164:165]
	s_wait_loadcnt_dscnt 0xb00
	v_mul_f64_e32 v[164:165], v[20:21], v[128:129]
	v_mul_f64_e32 v[128:129], v[22:23], v[128:129]
	v_fmac_f64_e32 v[166:167], v[6:7], v[28:29]
	v_fma_f64 v[170:171], v[4:5], v[28:29], -v[30:31]
	v_add_f64_e32 v[172:173], v[26:27], v[24:25]
	v_add_f64_e32 v[162:163], v[162:163], v[168:169]
	ds_load_b128 v[4:7], v2 offset:1120
	ds_load_b128 v[24:27], v2 offset:1136
	scratch_load_b128 v[28:31], off, off offset:544
	v_fmac_f64_e32 v[164:165], v[22:23], v[126:127]
	v_fma_f64 v[126:127], v[20:21], v[126:127], -v[128:129]
	scratch_load_b128 v[20:23], off, off offset:560
	s_wait_loadcnt_dscnt 0xc01
	v_mul_f64_e32 v[168:169], v[4:5], v[132:133]
	v_mul_f64_e32 v[132:133], v[6:7], v[132:133]
	v_add_f64_e32 v[128:129], v[172:173], v[170:171]
	v_add_f64_e32 v[162:163], v[162:163], v[166:167]
	s_wait_loadcnt_dscnt 0xb00
	v_mul_f64_e32 v[166:167], v[24:25], v[136:137]
	v_mul_f64_e32 v[136:137], v[26:27], v[136:137]
	v_fmac_f64_e32 v[168:169], v[6:7], v[130:131]
	v_fma_f64 v[170:171], v[4:5], v[130:131], -v[132:133]
	v_add_f64_e32 v[172:173], v[128:129], v[126:127]
	v_add_f64_e32 v[162:163], v[162:163], v[164:165]
	ds_load_b128 v[4:7], v2 offset:1152
	ds_load_b128 v[126:129], v2 offset:1168
	scratch_load_b128 v[130:133], off, off offset:576
	v_fmac_f64_e32 v[166:167], v[26:27], v[134:135]
	v_fma_f64 v[134:135], v[24:25], v[134:135], -v[136:137]
	scratch_load_b128 v[24:27], off, off offset:592
	s_wait_loadcnt_dscnt 0xc01
	v_mul_f64_e32 v[164:165], v[4:5], v[144:145]
	v_mul_f64_e32 v[144:145], v[6:7], v[144:145]
	v_add_f64_e32 v[136:137], v[172:173], v[170:171]
	v_add_f64_e32 v[162:163], v[162:163], v[168:169]
	s_wait_loadcnt_dscnt 0xa00
	v_mul_f64_e32 v[168:169], v[126:127], v[156:157]
	v_mul_f64_e32 v[156:157], v[128:129], v[156:157]
	v_fmac_f64_e32 v[164:165], v[6:7], v[142:143]
	v_fma_f64 v[170:171], v[4:5], v[142:143], -v[144:145]
	v_add_f64_e32 v[172:173], v[136:137], v[134:135]
	v_add_f64_e32 v[162:163], v[162:163], v[166:167]
	ds_load_b128 v[4:7], v2 offset:1184
	ds_load_b128 v[134:137], v2 offset:1200
	scratch_load_b128 v[142:145], off, off offset:608
	v_fmac_f64_e32 v[168:169], v[128:129], v[154:155]
	v_fma_f64 v[154:155], v[126:127], v[154:155], -v[156:157]
	scratch_load_b128 v[126:129], off, off offset:624
	s_wait_loadcnt_dscnt 0xb01
	v_mul_f64_e32 v[166:167], v[4:5], v[160:161]
	v_mul_f64_e32 v[160:161], v[6:7], v[160:161]
	v_add_f64_e32 v[156:157], v[172:173], v[170:171]
	v_add_f64_e32 v[162:163], v[162:163], v[164:165]
	s_wait_loadcnt_dscnt 0xa00
	v_mul_f64_e32 v[164:165], v[134:135], v[10:11]
	v_mul_f64_e32 v[10:11], v[136:137], v[10:11]
	v_fmac_f64_e32 v[166:167], v[6:7], v[158:159]
	v_fma_f64 v[170:171], v[4:5], v[158:159], -v[160:161]
	v_add_f64_e32 v[172:173], v[156:157], v[154:155]
	v_add_f64_e32 v[162:163], v[162:163], v[168:169]
	ds_load_b128 v[4:7], v2 offset:1216
	ds_load_b128 v[154:157], v2 offset:1232
	scratch_load_b128 v[158:161], off, off offset:640
	v_fmac_f64_e32 v[164:165], v[136:137], v[8:9]
	v_fma_f64 v[134:135], v[134:135], v[8:9], -v[10:11]
	scratch_load_b128 v[8:11], off, off offset:656
	s_wait_loadcnt_dscnt 0xb01
	v_mul_f64_e32 v[168:169], v[4:5], v[148:149]
	v_mul_f64_e32 v[148:149], v[6:7], v[148:149]
	v_add_f64_e32 v[136:137], v[172:173], v[170:171]
	v_add_f64_e32 v[162:163], v[162:163], v[166:167]
	s_wait_loadcnt_dscnt 0xa00
	v_mul_f64_e32 v[166:167], v[154:155], v[18:19]
	v_mul_f64_e32 v[18:19], v[156:157], v[18:19]
	v_fmac_f64_e32 v[168:169], v[6:7], v[146:147]
	v_fma_f64 v[170:171], v[4:5], v[146:147], -v[148:149]
	v_add_f64_e32 v[172:173], v[136:137], v[134:135]
	v_add_f64_e32 v[162:163], v[162:163], v[164:165]
	ds_load_b128 v[4:7], v2 offset:1248
	ds_load_b128 v[134:137], v2 offset:1264
	scratch_load_b128 v[146:149], off, off offset:672
	v_fmac_f64_e32 v[166:167], v[156:157], v[16:17]
	v_fma_f64 v[154:155], v[154:155], v[16:17], -v[18:19]
	scratch_load_b128 v[16:19], off, off offset:688
	s_wait_loadcnt_dscnt 0xb01
	v_mul_f64_e32 v[164:165], v[4:5], v[140:141]
	v_mul_f64_e32 v[140:141], v[6:7], v[140:141]
	v_add_f64_e32 v[156:157], v[172:173], v[170:171]
	v_add_f64_e32 v[162:163], v[162:163], v[168:169]
	s_wait_loadcnt_dscnt 0xa00
	v_mul_f64_e32 v[168:169], v[134:135], v[14:15]
	v_mul_f64_e32 v[14:15], v[136:137], v[14:15]
	v_fmac_f64_e32 v[164:165], v[6:7], v[138:139]
	v_fma_f64 v[170:171], v[4:5], v[138:139], -v[140:141]
	ds_load_b128 v[4:7], v2 offset:1280
	ds_load_b128 v[138:141], v2 offset:1296
	v_add_f64_e32 v[172:173], v[156:157], v[154:155]
	v_add_f64_e32 v[162:163], v[162:163], v[166:167]
	scratch_load_b128 v[154:157], off, off offset:704
	v_fmac_f64_e32 v[168:169], v[136:137], v[12:13]
	v_fma_f64 v[134:135], v[134:135], v[12:13], -v[14:15]
	scratch_load_b128 v[12:15], off, off offset:720
	s_wait_loadcnt_dscnt 0xb01
	v_mul_f64_e32 v[166:167], v[4:5], v[30:31]
	v_mul_f64_e32 v[30:31], v[6:7], v[30:31]
	v_add_f64_e32 v[136:137], v[172:173], v[170:171]
	v_add_f64_e32 v[162:163], v[162:163], v[164:165]
	s_wait_loadcnt_dscnt 0xa00
	v_mul_f64_e32 v[164:165], v[138:139], v[22:23]
	v_mul_f64_e32 v[22:23], v[140:141], v[22:23]
	v_fmac_f64_e32 v[166:167], v[6:7], v[28:29]
	v_fma_f64 v[170:171], v[4:5], v[28:29], -v[30:31]
	ds_load_b128 v[4:7], v2 offset:1312
	ds_load_b128 v[28:31], v2 offset:1328
	v_add_f64_e32 v[134:135], v[136:137], v[134:135]
	v_add_f64_e32 v[136:137], v[162:163], v[168:169]
	v_fmac_f64_e32 v[164:165], v[140:141], v[20:21]
	s_wait_loadcnt_dscnt 0x901
	v_mul_f64_e32 v[162:163], v[4:5], v[132:133]
	v_mul_f64_e32 v[132:133], v[6:7], v[132:133]
	v_fma_f64 v[20:21], v[138:139], v[20:21], -v[22:23]
	v_add_f64_e32 v[22:23], v[134:135], v[170:171]
	v_add_f64_e32 v[134:135], v[136:137], v[166:167]
	s_wait_loadcnt_dscnt 0x800
	v_mul_f64_e32 v[136:137], v[28:29], v[26:27]
	v_mul_f64_e32 v[26:27], v[30:31], v[26:27]
	v_fmac_f64_e32 v[162:163], v[6:7], v[130:131]
	v_fma_f64 v[130:131], v[4:5], v[130:131], -v[132:133]
	v_add_f64_e32 v[132:133], v[22:23], v[20:21]
	v_add_f64_e32 v[134:135], v[134:135], v[164:165]
	ds_load_b128 v[4:7], v2 offset:1344
	ds_load_b128 v[20:23], v2 offset:1360
	v_fmac_f64_e32 v[136:137], v[30:31], v[24:25]
	v_fma_f64 v[24:25], v[28:29], v[24:25], -v[26:27]
	s_wait_loadcnt_dscnt 0x701
	v_mul_f64_e32 v[138:139], v[4:5], v[144:145]
	v_mul_f64_e32 v[140:141], v[6:7], v[144:145]
	s_wait_loadcnt_dscnt 0x600
	v_mul_f64_e32 v[30:31], v[20:21], v[128:129]
	v_mul_f64_e32 v[128:129], v[22:23], v[128:129]
	v_add_f64_e32 v[26:27], v[132:133], v[130:131]
	v_add_f64_e32 v[28:29], v[134:135], v[162:163]
	v_fmac_f64_e32 v[138:139], v[6:7], v[142:143]
	v_fma_f64 v[130:131], v[4:5], v[142:143], -v[140:141]
	v_fmac_f64_e32 v[30:31], v[22:23], v[126:127]
	v_fma_f64 v[20:21], v[20:21], v[126:127], -v[128:129]
	v_add_f64_e32 v[132:133], v[26:27], v[24:25]
	v_add_f64_e32 v[28:29], v[28:29], v[136:137]
	ds_load_b128 v[4:7], v2 offset:1376
	ds_load_b128 v[24:27], v2 offset:1392
	s_wait_loadcnt_dscnt 0x501
	v_mul_f64_e32 v[134:135], v[4:5], v[160:161]
	v_mul_f64_e32 v[136:137], v[6:7], v[160:161]
	s_wait_loadcnt_dscnt 0x400
	v_mul_f64_e32 v[126:127], v[24:25], v[10:11]
	v_mul_f64_e32 v[10:11], v[26:27], v[10:11]
	v_add_f64_e32 v[22:23], v[132:133], v[130:131]
	v_add_f64_e32 v[28:29], v[28:29], v[138:139]
	v_fmac_f64_e32 v[134:135], v[6:7], v[158:159]
	v_fma_f64 v[128:129], v[4:5], v[158:159], -v[136:137]
	v_fmac_f64_e32 v[126:127], v[26:27], v[8:9]
	v_fma_f64 v[8:9], v[24:25], v[8:9], -v[10:11]
	v_add_f64_e32 v[130:131], v[22:23], v[20:21]
	v_add_f64_e32 v[28:29], v[28:29], v[30:31]
	ds_load_b128 v[4:7], v2 offset:1408
	ds_load_b128 v[20:23], v2 offset:1424
	;; [unrolled: 16-line block ×3, first 2 shown]
	s_wait_loadcnt_dscnt 0x101
	v_mul_f64_e32 v[2:3], v[4:5], v[156:157]
	v_mul_f64_e32 v[126:127], v[6:7], v[156:157]
	s_wait_loadcnt_dscnt 0x0
	v_mul_f64_e32 v[22:23], v[8:9], v[14:15]
	v_mul_f64_e32 v[14:15], v[10:11], v[14:15]
	v_add_f64_e32 v[18:19], v[128:129], v[28:29]
	v_add_f64_e32 v[20:21], v[24:25], v[30:31]
	v_fmac_f64_e32 v[2:3], v[6:7], v[154:155]
	v_fma_f64 v[4:5], v[4:5], v[154:155], -v[126:127]
	v_fmac_f64_e32 v[22:23], v[10:11], v[12:13]
	v_fma_f64 v[8:9], v[8:9], v[12:13], -v[14:15]
	v_add_f64_e32 v[6:7], v[18:19], v[16:17]
	v_add_f64_e32 v[16:17], v[20:21], v[26:27]
	s_delay_alu instid0(VALU_DEP_2) | instskip(NEXT) | instid1(VALU_DEP_2)
	v_add_f64_e32 v[4:5], v[6:7], v[4:5]
	v_add_f64_e32 v[2:3], v[16:17], v[2:3]
	s_delay_alu instid0(VALU_DEP_2) | instskip(NEXT) | instid1(VALU_DEP_2)
	;; [unrolled: 3-line block ×3, first 2 shown]
	v_add_f64_e64 v[2:3], v[150:151], -v[4:5]
	v_add_f64_e64 v[4:5], v[152:153], -v[6:7]
	scratch_store_b128 off, v[2:5], off offset:240
	s_wait_xcnt 0x0
	v_cmpx_lt_u32_e32 14, v1
	s_cbranch_execz .LBB109_261
; %bb.260:
	scratch_load_b128 v[2:5], off, s48
	v_mov_b32_e32 v6, 0
	s_delay_alu instid0(VALU_DEP_1)
	v_dual_mov_b32 v7, v6 :: v_dual_mov_b32 v8, v6
	v_mov_b32_e32 v9, v6
	scratch_store_b128 off, v[6:9], off offset:224
	s_wait_loadcnt 0x0
	ds_store_b128 v124, v[2:5]
.LBB109_261:
	s_wait_xcnt 0x0
	s_or_b32 exec_lo, exec_lo, s2
	s_wait_storecnt_dscnt 0x0
	s_barrier_signal -1
	s_barrier_wait -1
	s_clause 0x9
	scratch_load_b128 v[4:7], off, off offset:240
	scratch_load_b128 v[8:11], off, off offset:256
	;; [unrolled: 1-line block ×10, first 2 shown]
	v_mov_b32_e32 v2, 0
	s_mov_b32 s2, exec_lo
	ds_load_b128 v[138:141], v2 offset:976
	s_clause 0x2
	scratch_load_b128 v[142:145], off, off offset:400
	scratch_load_b128 v[146:149], off, off offset:224
	;; [unrolled: 1-line block ×3, first 2 shown]
	s_wait_loadcnt_dscnt 0xc00
	v_mul_f64_e32 v[158:159], v[140:141], v[6:7]
	v_mul_f64_e32 v[162:163], v[138:139], v[6:7]
	ds_load_b128 v[150:153], v2 offset:992
	v_fma_f64 v[166:167], v[138:139], v[4:5], -v[158:159]
	v_fmac_f64_e32 v[162:163], v[140:141], v[4:5]
	ds_load_b128 v[4:7], v2 offset:1008
	s_wait_loadcnt_dscnt 0xb01
	v_mul_f64_e32 v[164:165], v[150:151], v[10:11]
	v_mul_f64_e32 v[10:11], v[152:153], v[10:11]
	scratch_load_b128 v[138:141], off, off offset:432
	ds_load_b128 v[158:161], v2 offset:1024
	s_wait_loadcnt_dscnt 0xb01
	v_mul_f64_e32 v[168:169], v[4:5], v[14:15]
	v_mul_f64_e32 v[14:15], v[6:7], v[14:15]
	v_add_f64_e32 v[162:163], 0, v[162:163]
	v_fmac_f64_e32 v[164:165], v[152:153], v[8:9]
	v_fma_f64 v[150:151], v[150:151], v[8:9], -v[10:11]
	v_add_f64_e32 v[152:153], 0, v[166:167]
	scratch_load_b128 v[8:11], off, off offset:448
	v_fmac_f64_e32 v[168:169], v[6:7], v[12:13]
	v_fma_f64 v[170:171], v[4:5], v[12:13], -v[14:15]
	ds_load_b128 v[4:7], v2 offset:1040
	s_wait_loadcnt_dscnt 0xb01
	v_mul_f64_e32 v[166:167], v[158:159], v[18:19]
	v_mul_f64_e32 v[18:19], v[160:161], v[18:19]
	scratch_load_b128 v[12:15], off, off offset:464
	v_add_f64_e32 v[162:163], v[162:163], v[164:165]
	v_add_f64_e32 v[172:173], v[152:153], v[150:151]
	ds_load_b128 v[150:153], v2 offset:1056
	s_wait_loadcnt_dscnt 0xb01
	v_mul_f64_e32 v[164:165], v[4:5], v[22:23]
	v_mul_f64_e32 v[22:23], v[6:7], v[22:23]
	v_fmac_f64_e32 v[166:167], v[160:161], v[16:17]
	v_fma_f64 v[158:159], v[158:159], v[16:17], -v[18:19]
	scratch_load_b128 v[16:19], off, off offset:480
	v_add_f64_e32 v[162:163], v[162:163], v[168:169]
	v_add_f64_e32 v[160:161], v[172:173], v[170:171]
	v_fmac_f64_e32 v[164:165], v[6:7], v[20:21]
	v_fma_f64 v[170:171], v[4:5], v[20:21], -v[22:23]
	ds_load_b128 v[4:7], v2 offset:1072
	s_wait_loadcnt_dscnt 0xb01
	v_mul_f64_e32 v[168:169], v[150:151], v[26:27]
	v_mul_f64_e32 v[26:27], v[152:153], v[26:27]
	scratch_load_b128 v[20:23], off, off offset:496
	v_add_f64_e32 v[162:163], v[162:163], v[166:167]
	s_wait_loadcnt_dscnt 0xb00
	v_mul_f64_e32 v[166:167], v[4:5], v[30:31]
	v_add_f64_e32 v[172:173], v[160:161], v[158:159]
	v_mul_f64_e32 v[30:31], v[6:7], v[30:31]
	ds_load_b128 v[158:161], v2 offset:1088
	v_fmac_f64_e32 v[168:169], v[152:153], v[24:25]
	v_fma_f64 v[150:151], v[150:151], v[24:25], -v[26:27]
	scratch_load_b128 v[24:27], off, off offset:512
	v_add_f64_e32 v[162:163], v[162:163], v[164:165]
	v_fmac_f64_e32 v[166:167], v[6:7], v[28:29]
	v_add_f64_e32 v[152:153], v[172:173], v[170:171]
	v_fma_f64 v[170:171], v[4:5], v[28:29], -v[30:31]
	ds_load_b128 v[4:7], v2 offset:1104
	s_wait_loadcnt_dscnt 0xb01
	v_mul_f64_e32 v[164:165], v[158:159], v[128:129]
	v_mul_f64_e32 v[128:129], v[160:161], v[128:129]
	scratch_load_b128 v[28:31], off, off offset:528
	v_add_f64_e32 v[162:163], v[162:163], v[168:169]
	s_wait_loadcnt_dscnt 0xb00
	v_mul_f64_e32 v[168:169], v[4:5], v[132:133]
	v_add_f64_e32 v[172:173], v[152:153], v[150:151]
	v_mul_f64_e32 v[132:133], v[6:7], v[132:133]
	ds_load_b128 v[150:153], v2 offset:1120
	v_fmac_f64_e32 v[164:165], v[160:161], v[126:127]
	v_fma_f64 v[158:159], v[158:159], v[126:127], -v[128:129]
	scratch_load_b128 v[126:129], off, off offset:544
	v_add_f64_e32 v[162:163], v[162:163], v[166:167]
	v_fmac_f64_e32 v[168:169], v[6:7], v[130:131]
	v_add_f64_e32 v[160:161], v[172:173], v[170:171]
	;; [unrolled: 18-line block ×3, first 2 shown]
	v_fma_f64 v[170:171], v[4:5], v[142:143], -v[144:145]
	ds_load_b128 v[4:7], v2 offset:1168
	s_wait_loadcnt_dscnt 0xa01
	v_mul_f64_e32 v[168:169], v[158:159], v[156:157]
	v_mul_f64_e32 v[156:157], v[160:161], v[156:157]
	scratch_load_b128 v[142:145], off, off offset:592
	v_add_f64_e32 v[162:163], v[162:163], v[166:167]
	v_add_f64_e32 v[172:173], v[152:153], v[150:151]
	s_wait_loadcnt_dscnt 0xa00
	v_mul_f64_e32 v[166:167], v[4:5], v[140:141]
	v_mul_f64_e32 v[140:141], v[6:7], v[140:141]
	v_fmac_f64_e32 v[168:169], v[160:161], v[154:155]
	v_fma_f64 v[158:159], v[158:159], v[154:155], -v[156:157]
	ds_load_b128 v[150:153], v2 offset:1184
	scratch_load_b128 v[154:157], off, off offset:608
	v_add_f64_e32 v[162:163], v[162:163], v[164:165]
	v_add_f64_e32 v[160:161], v[172:173], v[170:171]
	v_fmac_f64_e32 v[166:167], v[6:7], v[138:139]
	v_fma_f64 v[170:171], v[4:5], v[138:139], -v[140:141]
	ds_load_b128 v[4:7], v2 offset:1200
	s_wait_loadcnt_dscnt 0xa01
	v_mul_f64_e32 v[164:165], v[150:151], v[10:11]
	v_mul_f64_e32 v[10:11], v[152:153], v[10:11]
	scratch_load_b128 v[138:141], off, off offset:624
	v_add_f64_e32 v[162:163], v[162:163], v[168:169]
	s_wait_loadcnt_dscnt 0xa00
	v_mul_f64_e32 v[168:169], v[4:5], v[14:15]
	v_add_f64_e32 v[172:173], v[160:161], v[158:159]
	v_mul_f64_e32 v[14:15], v[6:7], v[14:15]
	ds_load_b128 v[158:161], v2 offset:1216
	v_fmac_f64_e32 v[164:165], v[152:153], v[8:9]
	v_fma_f64 v[150:151], v[150:151], v[8:9], -v[10:11]
	scratch_load_b128 v[8:11], off, off offset:640
	v_add_f64_e32 v[162:163], v[162:163], v[166:167]
	v_fmac_f64_e32 v[168:169], v[6:7], v[12:13]
	v_add_f64_e32 v[152:153], v[172:173], v[170:171]
	v_fma_f64 v[170:171], v[4:5], v[12:13], -v[14:15]
	ds_load_b128 v[4:7], v2 offset:1232
	s_wait_loadcnt_dscnt 0xa01
	v_mul_f64_e32 v[166:167], v[158:159], v[18:19]
	v_mul_f64_e32 v[18:19], v[160:161], v[18:19]
	scratch_load_b128 v[12:15], off, off offset:656
	v_add_f64_e32 v[162:163], v[162:163], v[164:165]
	s_wait_loadcnt_dscnt 0xa00
	v_mul_f64_e32 v[164:165], v[4:5], v[22:23]
	v_add_f64_e32 v[172:173], v[152:153], v[150:151]
	v_mul_f64_e32 v[22:23], v[6:7], v[22:23]
	ds_load_b128 v[150:153], v2 offset:1248
	v_fmac_f64_e32 v[166:167], v[160:161], v[16:17]
	v_fma_f64 v[158:159], v[158:159], v[16:17], -v[18:19]
	scratch_load_b128 v[16:19], off, off offset:672
	v_add_f64_e32 v[162:163], v[162:163], v[168:169]
	v_fmac_f64_e32 v[164:165], v[6:7], v[20:21]
	v_add_f64_e32 v[160:161], v[172:173], v[170:171]
	;; [unrolled: 18-line block ×3, first 2 shown]
	v_fma_f64 v[170:171], v[4:5], v[28:29], -v[30:31]
	ds_load_b128 v[4:7], v2 offset:1296
	s_wait_loadcnt_dscnt 0xa01
	v_mul_f64_e32 v[164:165], v[158:159], v[128:129]
	v_mul_f64_e32 v[128:129], v[160:161], v[128:129]
	scratch_load_b128 v[28:31], off, off offset:720
	v_add_f64_e32 v[162:163], v[162:163], v[168:169]
	s_wait_loadcnt_dscnt 0xa00
	v_mul_f64_e32 v[168:169], v[4:5], v[132:133]
	v_add_f64_e32 v[172:173], v[152:153], v[150:151]
	v_mul_f64_e32 v[132:133], v[6:7], v[132:133]
	ds_load_b128 v[150:153], v2 offset:1312
	v_fmac_f64_e32 v[164:165], v[160:161], v[126:127]
	v_fma_f64 v[126:127], v[158:159], v[126:127], -v[128:129]
	s_wait_loadcnt_dscnt 0x900
	v_mul_f64_e32 v[160:161], v[150:151], v[136:137]
	v_mul_f64_e32 v[136:137], v[152:153], v[136:137]
	v_add_f64_e32 v[158:159], v[162:163], v[166:167]
	v_fmac_f64_e32 v[168:169], v[6:7], v[130:131]
	v_add_f64_e32 v[128:129], v[172:173], v[170:171]
	v_fma_f64 v[130:131], v[4:5], v[130:131], -v[132:133]
	v_fmac_f64_e32 v[160:161], v[152:153], v[134:135]
	v_fma_f64 v[134:135], v[150:151], v[134:135], -v[136:137]
	v_add_f64_e32 v[158:159], v[158:159], v[164:165]
	v_add_f64_e32 v[132:133], v[128:129], v[126:127]
	ds_load_b128 v[4:7], v2 offset:1328
	ds_load_b128 v[126:129], v2 offset:1344
	s_wait_loadcnt_dscnt 0x801
	v_mul_f64_e32 v[162:163], v[4:5], v[144:145]
	v_mul_f64_e32 v[144:145], v[6:7], v[144:145]
	s_wait_loadcnt_dscnt 0x700
	v_mul_f64_e32 v[136:137], v[126:127], v[156:157]
	v_mul_f64_e32 v[150:151], v[128:129], v[156:157]
	v_add_f64_e32 v[130:131], v[132:133], v[130:131]
	v_add_f64_e32 v[132:133], v[158:159], v[168:169]
	v_fmac_f64_e32 v[162:163], v[6:7], v[142:143]
	v_fma_f64 v[142:143], v[4:5], v[142:143], -v[144:145]
	v_fmac_f64_e32 v[136:137], v[128:129], v[154:155]
	v_fma_f64 v[126:127], v[126:127], v[154:155], -v[150:151]
	v_add_f64_e32 v[134:135], v[130:131], v[134:135]
	v_add_f64_e32 v[144:145], v[132:133], v[160:161]
	ds_load_b128 v[4:7], v2 offset:1360
	ds_load_b128 v[130:133], v2 offset:1376
	s_wait_loadcnt_dscnt 0x601
	v_mul_f64_e32 v[152:153], v[4:5], v[140:141]
	v_mul_f64_e32 v[140:141], v[6:7], v[140:141]
	v_add_f64_e32 v[128:129], v[134:135], v[142:143]
	v_add_f64_e32 v[134:135], v[144:145], v[162:163]
	s_wait_loadcnt_dscnt 0x500
	v_mul_f64_e32 v[142:143], v[130:131], v[10:11]
	v_mul_f64_e32 v[10:11], v[132:133], v[10:11]
	v_fmac_f64_e32 v[152:153], v[6:7], v[138:139]
	v_fma_f64 v[138:139], v[4:5], v[138:139], -v[140:141]
	v_add_f64_e32 v[140:141], v[128:129], v[126:127]
	v_add_f64_e32 v[134:135], v[134:135], v[136:137]
	ds_load_b128 v[4:7], v2 offset:1392
	ds_load_b128 v[126:129], v2 offset:1408
	v_fmac_f64_e32 v[142:143], v[132:133], v[8:9]
	v_fma_f64 v[8:9], v[130:131], v[8:9], -v[10:11]
	s_wait_loadcnt_dscnt 0x401
	v_mul_f64_e32 v[136:137], v[4:5], v[14:15]
	v_mul_f64_e32 v[14:15], v[6:7], v[14:15]
	s_wait_loadcnt_dscnt 0x300
	v_mul_f64_e32 v[132:133], v[126:127], v[18:19]
	v_mul_f64_e32 v[18:19], v[128:129], v[18:19]
	v_add_f64_e32 v[10:11], v[140:141], v[138:139]
	v_add_f64_e32 v[130:131], v[134:135], v[152:153]
	v_fmac_f64_e32 v[136:137], v[6:7], v[12:13]
	v_fma_f64 v[12:13], v[4:5], v[12:13], -v[14:15]
	v_fmac_f64_e32 v[132:133], v[128:129], v[16:17]
	v_fma_f64 v[16:17], v[126:127], v[16:17], -v[18:19]
	v_add_f64_e32 v[14:15], v[10:11], v[8:9]
	v_add_f64_e32 v[130:131], v[130:131], v[142:143]
	ds_load_b128 v[4:7], v2 offset:1424
	ds_load_b128 v[8:11], v2 offset:1440
	s_wait_loadcnt_dscnt 0x201
	v_mul_f64_e32 v[134:135], v[4:5], v[22:23]
	v_mul_f64_e32 v[22:23], v[6:7], v[22:23]
	s_wait_loadcnt_dscnt 0x100
	v_mul_f64_e32 v[18:19], v[8:9], v[26:27]
	v_mul_f64_e32 v[26:27], v[10:11], v[26:27]
	v_add_f64_e32 v[12:13], v[14:15], v[12:13]
	v_add_f64_e32 v[14:15], v[130:131], v[136:137]
	v_fmac_f64_e32 v[134:135], v[6:7], v[20:21]
	v_fma_f64 v[20:21], v[4:5], v[20:21], -v[22:23]
	ds_load_b128 v[4:7], v2 offset:1456
	v_fmac_f64_e32 v[18:19], v[10:11], v[24:25]
	v_fma_f64 v[8:9], v[8:9], v[24:25], -v[26:27]
	v_add_f64_e32 v[12:13], v[12:13], v[16:17]
	v_add_f64_e32 v[14:15], v[14:15], v[132:133]
	s_wait_loadcnt_dscnt 0x0
	v_mul_f64_e32 v[16:17], v[4:5], v[30:31]
	v_mul_f64_e32 v[22:23], v[6:7], v[30:31]
	s_delay_alu instid0(VALU_DEP_4) | instskip(NEXT) | instid1(VALU_DEP_4)
	v_add_f64_e32 v[10:11], v[12:13], v[20:21]
	v_add_f64_e32 v[12:13], v[14:15], v[134:135]
	s_delay_alu instid0(VALU_DEP_4) | instskip(NEXT) | instid1(VALU_DEP_4)
	v_fmac_f64_e32 v[16:17], v[6:7], v[28:29]
	v_fma_f64 v[4:5], v[4:5], v[28:29], -v[22:23]
	s_delay_alu instid0(VALU_DEP_4) | instskip(NEXT) | instid1(VALU_DEP_4)
	v_add_f64_e32 v[6:7], v[10:11], v[8:9]
	v_add_f64_e32 v[8:9], v[12:13], v[18:19]
	s_delay_alu instid0(VALU_DEP_2) | instskip(NEXT) | instid1(VALU_DEP_2)
	v_add_f64_e32 v[4:5], v[6:7], v[4:5]
	v_add_f64_e32 v[6:7], v[8:9], v[16:17]
	s_delay_alu instid0(VALU_DEP_2) | instskip(NEXT) | instid1(VALU_DEP_2)
	v_add_f64_e64 v[4:5], v[146:147], -v[4:5]
	v_add_f64_e64 v[6:7], v[148:149], -v[6:7]
	scratch_store_b128 off, v[4:7], off offset:224
	s_wait_xcnt 0x0
	v_cmpx_lt_u32_e32 13, v1
	s_cbranch_execz .LBB109_263
; %bb.262:
	scratch_load_b128 v[6:9], off, s49
	v_dual_mov_b32 v3, v2 :: v_dual_mov_b32 v4, v2
	v_mov_b32_e32 v5, v2
	scratch_store_b128 off, v[2:5], off offset:208
	s_wait_loadcnt 0x0
	ds_store_b128 v124, v[6:9]
.LBB109_263:
	s_wait_xcnt 0x0
	s_or_b32 exec_lo, exec_lo, s2
	s_wait_storecnt_dscnt 0x0
	s_barrier_signal -1
	s_barrier_wait -1
	s_clause 0x9
	scratch_load_b128 v[4:7], off, off offset:224
	scratch_load_b128 v[8:11], off, off offset:240
	;; [unrolled: 1-line block ×10, first 2 shown]
	ds_load_b128 v[138:141], v2 offset:960
	ds_load_b128 v[146:149], v2 offset:976
	s_clause 0x2
	scratch_load_b128 v[142:145], off, off offset:384
	scratch_load_b128 v[150:153], off, off offset:208
	;; [unrolled: 1-line block ×3, first 2 shown]
	s_mov_b32 s2, exec_lo
	s_wait_loadcnt_dscnt 0xc01
	v_mul_f64_e32 v[158:159], v[140:141], v[6:7]
	v_mul_f64_e32 v[162:163], v[138:139], v[6:7]
	s_wait_loadcnt_dscnt 0xb00
	v_mul_f64_e32 v[164:165], v[146:147], v[10:11]
	v_mul_f64_e32 v[10:11], v[148:149], v[10:11]
	s_delay_alu instid0(VALU_DEP_4) | instskip(NEXT) | instid1(VALU_DEP_4)
	v_fma_f64 v[166:167], v[138:139], v[4:5], -v[158:159]
	v_fmac_f64_e32 v[162:163], v[140:141], v[4:5]
	ds_load_b128 v[4:7], v2 offset:992
	ds_load_b128 v[138:141], v2 offset:1008
	scratch_load_b128 v[158:161], off, off offset:416
	v_fmac_f64_e32 v[164:165], v[148:149], v[8:9]
	v_fma_f64 v[146:147], v[146:147], v[8:9], -v[10:11]
	scratch_load_b128 v[8:11], off, off offset:432
	s_wait_loadcnt_dscnt 0xc01
	v_mul_f64_e32 v[168:169], v[4:5], v[14:15]
	v_mul_f64_e32 v[14:15], v[6:7], v[14:15]
	v_add_f64_e32 v[148:149], 0, v[166:167]
	v_add_f64_e32 v[162:163], 0, v[162:163]
	s_wait_loadcnt_dscnt 0xb00
	v_mul_f64_e32 v[166:167], v[138:139], v[18:19]
	v_mul_f64_e32 v[18:19], v[140:141], v[18:19]
	v_fmac_f64_e32 v[168:169], v[6:7], v[12:13]
	v_fma_f64 v[170:171], v[4:5], v[12:13], -v[14:15]
	ds_load_b128 v[4:7], v2 offset:1024
	ds_load_b128 v[12:15], v2 offset:1040
	v_add_f64_e32 v[172:173], v[148:149], v[146:147]
	v_add_f64_e32 v[162:163], v[162:163], v[164:165]
	scratch_load_b128 v[146:149], off, off offset:448
	v_fmac_f64_e32 v[166:167], v[140:141], v[16:17]
	v_fma_f64 v[138:139], v[138:139], v[16:17], -v[18:19]
	scratch_load_b128 v[16:19], off, off offset:464
	s_wait_loadcnt_dscnt 0xc01
	v_mul_f64_e32 v[164:165], v[4:5], v[22:23]
	v_mul_f64_e32 v[22:23], v[6:7], v[22:23]
	v_add_f64_e32 v[140:141], v[172:173], v[170:171]
	v_add_f64_e32 v[162:163], v[162:163], v[168:169]
	s_wait_loadcnt_dscnt 0xb00
	v_mul_f64_e32 v[168:169], v[12:13], v[26:27]
	v_mul_f64_e32 v[26:27], v[14:15], v[26:27]
	v_fmac_f64_e32 v[164:165], v[6:7], v[20:21]
	v_fma_f64 v[170:171], v[4:5], v[20:21], -v[22:23]
	ds_load_b128 v[4:7], v2 offset:1056
	ds_load_b128 v[20:23], v2 offset:1072
	v_add_f64_e32 v[172:173], v[140:141], v[138:139]
	v_add_f64_e32 v[162:163], v[162:163], v[166:167]
	scratch_load_b128 v[138:141], off, off offset:480
	s_wait_loadcnt_dscnt 0xb01
	v_mul_f64_e32 v[166:167], v[4:5], v[30:31]
	v_mul_f64_e32 v[30:31], v[6:7], v[30:31]
	v_fmac_f64_e32 v[168:169], v[14:15], v[24:25]
	v_fma_f64 v[24:25], v[12:13], v[24:25], -v[26:27]
	scratch_load_b128 v[12:15], off, off offset:496
	v_add_f64_e32 v[26:27], v[172:173], v[170:171]
	v_add_f64_e32 v[162:163], v[162:163], v[164:165]
	s_wait_loadcnt_dscnt 0xb00
	v_mul_f64_e32 v[164:165], v[20:21], v[128:129]
	v_mul_f64_e32 v[128:129], v[22:23], v[128:129]
	v_fmac_f64_e32 v[166:167], v[6:7], v[28:29]
	v_fma_f64 v[170:171], v[4:5], v[28:29], -v[30:31]
	v_add_f64_e32 v[172:173], v[26:27], v[24:25]
	v_add_f64_e32 v[162:163], v[162:163], v[168:169]
	ds_load_b128 v[4:7], v2 offset:1088
	ds_load_b128 v[24:27], v2 offset:1104
	scratch_load_b128 v[28:31], off, off offset:512
	v_fmac_f64_e32 v[164:165], v[22:23], v[126:127]
	v_fma_f64 v[126:127], v[20:21], v[126:127], -v[128:129]
	scratch_load_b128 v[20:23], off, off offset:528
	s_wait_loadcnt_dscnt 0xc01
	v_mul_f64_e32 v[168:169], v[4:5], v[132:133]
	v_mul_f64_e32 v[132:133], v[6:7], v[132:133]
	v_add_f64_e32 v[128:129], v[172:173], v[170:171]
	v_add_f64_e32 v[162:163], v[162:163], v[166:167]
	s_wait_loadcnt_dscnt 0xb00
	v_mul_f64_e32 v[166:167], v[24:25], v[136:137]
	v_mul_f64_e32 v[136:137], v[26:27], v[136:137]
	v_fmac_f64_e32 v[168:169], v[6:7], v[130:131]
	v_fma_f64 v[170:171], v[4:5], v[130:131], -v[132:133]
	v_add_f64_e32 v[172:173], v[128:129], v[126:127]
	v_add_f64_e32 v[162:163], v[162:163], v[164:165]
	ds_load_b128 v[4:7], v2 offset:1120
	ds_load_b128 v[126:129], v2 offset:1136
	scratch_load_b128 v[130:133], off, off offset:544
	v_fmac_f64_e32 v[166:167], v[26:27], v[134:135]
	v_fma_f64 v[134:135], v[24:25], v[134:135], -v[136:137]
	scratch_load_b128 v[24:27], off, off offset:560
	s_wait_loadcnt_dscnt 0xc01
	v_mul_f64_e32 v[164:165], v[4:5], v[144:145]
	v_mul_f64_e32 v[144:145], v[6:7], v[144:145]
	;; [unrolled: 18-line block ×5, first 2 shown]
	v_add_f64_e32 v[156:157], v[172:173], v[170:171]
	v_add_f64_e32 v[162:163], v[162:163], v[168:169]
	s_wait_loadcnt_dscnt 0xa00
	v_mul_f64_e32 v[168:169], v[134:135], v[14:15]
	v_mul_f64_e32 v[14:15], v[136:137], v[14:15]
	v_fmac_f64_e32 v[164:165], v[6:7], v[138:139]
	v_fma_f64 v[170:171], v[4:5], v[138:139], -v[140:141]
	ds_load_b128 v[4:7], v2 offset:1248
	ds_load_b128 v[138:141], v2 offset:1264
	v_add_f64_e32 v[172:173], v[156:157], v[154:155]
	v_add_f64_e32 v[162:163], v[162:163], v[166:167]
	scratch_load_b128 v[154:157], off, off offset:672
	v_fmac_f64_e32 v[168:169], v[136:137], v[12:13]
	v_fma_f64 v[134:135], v[134:135], v[12:13], -v[14:15]
	scratch_load_b128 v[12:15], off, off offset:688
	s_wait_loadcnt_dscnt 0xb01
	v_mul_f64_e32 v[166:167], v[4:5], v[30:31]
	v_mul_f64_e32 v[30:31], v[6:7], v[30:31]
	v_add_f64_e32 v[136:137], v[172:173], v[170:171]
	v_add_f64_e32 v[162:163], v[162:163], v[164:165]
	s_wait_loadcnt_dscnt 0xa00
	v_mul_f64_e32 v[164:165], v[138:139], v[22:23]
	v_mul_f64_e32 v[22:23], v[140:141], v[22:23]
	v_fmac_f64_e32 v[166:167], v[6:7], v[28:29]
	v_fma_f64 v[170:171], v[4:5], v[28:29], -v[30:31]
	ds_load_b128 v[4:7], v2 offset:1280
	ds_load_b128 v[28:31], v2 offset:1296
	v_add_f64_e32 v[172:173], v[136:137], v[134:135]
	v_add_f64_e32 v[162:163], v[162:163], v[168:169]
	scratch_load_b128 v[134:137], off, off offset:704
	s_wait_loadcnt_dscnt 0xa01
	v_mul_f64_e32 v[168:169], v[4:5], v[132:133]
	v_mul_f64_e32 v[132:133], v[6:7], v[132:133]
	v_fmac_f64_e32 v[164:165], v[140:141], v[20:21]
	v_fma_f64 v[138:139], v[138:139], v[20:21], -v[22:23]
	scratch_load_b128 v[20:23], off, off offset:720
	v_add_f64_e32 v[140:141], v[172:173], v[170:171]
	v_add_f64_e32 v[162:163], v[162:163], v[166:167]
	s_wait_loadcnt_dscnt 0xa00
	v_mul_f64_e32 v[166:167], v[28:29], v[26:27]
	v_mul_f64_e32 v[26:27], v[30:31], v[26:27]
	v_fmac_f64_e32 v[168:169], v[6:7], v[130:131]
	v_fma_f64 v[170:171], v[4:5], v[130:131], -v[132:133]
	ds_load_b128 v[4:7], v2 offset:1312
	ds_load_b128 v[130:133], v2 offset:1328
	v_add_f64_e32 v[138:139], v[140:141], v[138:139]
	v_add_f64_e32 v[140:141], v[162:163], v[164:165]
	v_fmac_f64_e32 v[166:167], v[30:31], v[24:25]
	s_wait_loadcnt_dscnt 0x901
	v_mul_f64_e32 v[162:163], v[4:5], v[144:145]
	v_mul_f64_e32 v[144:145], v[6:7], v[144:145]
	v_fma_f64 v[24:25], v[28:29], v[24:25], -v[26:27]
	s_wait_loadcnt_dscnt 0x800
	v_mul_f64_e32 v[30:31], v[130:131], v[128:129]
	v_mul_f64_e32 v[128:129], v[132:133], v[128:129]
	v_add_f64_e32 v[26:27], v[138:139], v[170:171]
	v_add_f64_e32 v[28:29], v[140:141], v[168:169]
	v_fmac_f64_e32 v[162:163], v[6:7], v[142:143]
	v_fma_f64 v[138:139], v[4:5], v[142:143], -v[144:145]
	v_fmac_f64_e32 v[30:31], v[132:133], v[126:127]
	v_fma_f64 v[126:127], v[130:131], v[126:127], -v[128:129]
	v_add_f64_e32 v[140:141], v[26:27], v[24:25]
	v_add_f64_e32 v[28:29], v[28:29], v[166:167]
	ds_load_b128 v[4:7], v2 offset:1344
	ds_load_b128 v[24:27], v2 offset:1360
	s_wait_loadcnt_dscnt 0x701
	v_mul_f64_e32 v[142:143], v[4:5], v[160:161]
	v_mul_f64_e32 v[144:145], v[6:7], v[160:161]
	s_wait_loadcnt_dscnt 0x600
	v_mul_f64_e32 v[130:131], v[24:25], v[10:11]
	v_mul_f64_e32 v[10:11], v[26:27], v[10:11]
	v_add_f64_e32 v[128:129], v[140:141], v[138:139]
	v_add_f64_e32 v[28:29], v[28:29], v[162:163]
	v_fmac_f64_e32 v[142:143], v[6:7], v[158:159]
	v_fma_f64 v[132:133], v[4:5], v[158:159], -v[144:145]
	v_fmac_f64_e32 v[130:131], v[26:27], v[8:9]
	v_fma_f64 v[8:9], v[24:25], v[8:9], -v[10:11]
	v_add_f64_e32 v[126:127], v[128:129], v[126:127]
	v_add_f64_e32 v[128:129], v[28:29], v[30:31]
	ds_load_b128 v[4:7], v2 offset:1376
	ds_load_b128 v[28:31], v2 offset:1392
	s_wait_loadcnt_dscnt 0x501
	v_mul_f64_e32 v[138:139], v[4:5], v[148:149]
	v_mul_f64_e32 v[140:141], v[6:7], v[148:149]
	;; [unrolled: 16-line block ×4, first 2 shown]
	v_add_f64_e32 v[10:11], v[18:19], v[126:127]
	v_add_f64_e32 v[12:13], v[24:25], v[130:131]
	s_wait_loadcnt_dscnt 0x0
	v_mul_f64_e32 v[18:19], v[14:15], v[22:23]
	v_mul_f64_e32 v[22:23], v[16:17], v[22:23]
	v_fmac_f64_e32 v[2:3], v[6:7], v[134:135]
	v_fma_f64 v[4:5], v[4:5], v[134:135], -v[26:27]
	v_add_f64_e32 v[6:7], v[10:11], v[8:9]
	v_add_f64_e32 v[8:9], v[12:13], v[28:29]
	v_fmac_f64_e32 v[18:19], v[16:17], v[20:21]
	v_fma_f64 v[10:11], v[14:15], v[20:21], -v[22:23]
	s_delay_alu instid0(VALU_DEP_4) | instskip(NEXT) | instid1(VALU_DEP_4)
	v_add_f64_e32 v[4:5], v[6:7], v[4:5]
	v_add_f64_e32 v[2:3], v[8:9], v[2:3]
	s_delay_alu instid0(VALU_DEP_2) | instskip(NEXT) | instid1(VALU_DEP_2)
	v_add_f64_e32 v[4:5], v[4:5], v[10:11]
	v_add_f64_e32 v[6:7], v[2:3], v[18:19]
	s_delay_alu instid0(VALU_DEP_2) | instskip(NEXT) | instid1(VALU_DEP_2)
	v_add_f64_e64 v[2:3], v[150:151], -v[4:5]
	v_add_f64_e64 v[4:5], v[152:153], -v[6:7]
	scratch_store_b128 off, v[2:5], off offset:208
	s_wait_xcnt 0x0
	v_cmpx_lt_u32_e32 12, v1
	s_cbranch_execz .LBB109_265
; %bb.264:
	scratch_load_b128 v[2:5], off, s50
	v_mov_b32_e32 v6, 0
	s_delay_alu instid0(VALU_DEP_1)
	v_dual_mov_b32 v7, v6 :: v_dual_mov_b32 v8, v6
	v_mov_b32_e32 v9, v6
	scratch_store_b128 off, v[6:9], off offset:192
	s_wait_loadcnt 0x0
	ds_store_b128 v124, v[2:5]
.LBB109_265:
	s_wait_xcnt 0x0
	s_or_b32 exec_lo, exec_lo, s2
	s_wait_storecnt_dscnt 0x0
	s_barrier_signal -1
	s_barrier_wait -1
	s_clause 0x9
	scratch_load_b128 v[4:7], off, off offset:208
	scratch_load_b128 v[8:11], off, off offset:224
	;; [unrolled: 1-line block ×10, first 2 shown]
	v_mov_b32_e32 v2, 0
	s_mov_b32 s2, exec_lo
	ds_load_b128 v[138:141], v2 offset:944
	s_clause 0x2
	scratch_load_b128 v[142:145], off, off offset:368
	scratch_load_b128 v[146:149], off, off offset:192
	;; [unrolled: 1-line block ×3, first 2 shown]
	s_wait_loadcnt_dscnt 0xc00
	v_mul_f64_e32 v[158:159], v[140:141], v[6:7]
	v_mul_f64_e32 v[162:163], v[138:139], v[6:7]
	ds_load_b128 v[150:153], v2 offset:960
	v_fma_f64 v[166:167], v[138:139], v[4:5], -v[158:159]
	v_fmac_f64_e32 v[162:163], v[140:141], v[4:5]
	ds_load_b128 v[4:7], v2 offset:976
	s_wait_loadcnt_dscnt 0xb01
	v_mul_f64_e32 v[164:165], v[150:151], v[10:11]
	v_mul_f64_e32 v[10:11], v[152:153], v[10:11]
	scratch_load_b128 v[138:141], off, off offset:400
	ds_load_b128 v[158:161], v2 offset:992
	s_wait_loadcnt_dscnt 0xb01
	v_mul_f64_e32 v[168:169], v[4:5], v[14:15]
	v_mul_f64_e32 v[14:15], v[6:7], v[14:15]
	v_add_f64_e32 v[162:163], 0, v[162:163]
	v_fmac_f64_e32 v[164:165], v[152:153], v[8:9]
	v_fma_f64 v[150:151], v[150:151], v[8:9], -v[10:11]
	v_add_f64_e32 v[152:153], 0, v[166:167]
	scratch_load_b128 v[8:11], off, off offset:416
	v_fmac_f64_e32 v[168:169], v[6:7], v[12:13]
	v_fma_f64 v[170:171], v[4:5], v[12:13], -v[14:15]
	ds_load_b128 v[4:7], v2 offset:1008
	s_wait_loadcnt_dscnt 0xb01
	v_mul_f64_e32 v[166:167], v[158:159], v[18:19]
	v_mul_f64_e32 v[18:19], v[160:161], v[18:19]
	scratch_load_b128 v[12:15], off, off offset:432
	v_add_f64_e32 v[162:163], v[162:163], v[164:165]
	v_add_f64_e32 v[172:173], v[152:153], v[150:151]
	ds_load_b128 v[150:153], v2 offset:1024
	s_wait_loadcnt_dscnt 0xb01
	v_mul_f64_e32 v[164:165], v[4:5], v[22:23]
	v_mul_f64_e32 v[22:23], v[6:7], v[22:23]
	v_fmac_f64_e32 v[166:167], v[160:161], v[16:17]
	v_fma_f64 v[158:159], v[158:159], v[16:17], -v[18:19]
	scratch_load_b128 v[16:19], off, off offset:448
	v_add_f64_e32 v[162:163], v[162:163], v[168:169]
	v_add_f64_e32 v[160:161], v[172:173], v[170:171]
	v_fmac_f64_e32 v[164:165], v[6:7], v[20:21]
	v_fma_f64 v[170:171], v[4:5], v[20:21], -v[22:23]
	ds_load_b128 v[4:7], v2 offset:1040
	s_wait_loadcnt_dscnt 0xb01
	v_mul_f64_e32 v[168:169], v[150:151], v[26:27]
	v_mul_f64_e32 v[26:27], v[152:153], v[26:27]
	scratch_load_b128 v[20:23], off, off offset:464
	v_add_f64_e32 v[162:163], v[162:163], v[166:167]
	s_wait_loadcnt_dscnt 0xb00
	v_mul_f64_e32 v[166:167], v[4:5], v[30:31]
	v_add_f64_e32 v[172:173], v[160:161], v[158:159]
	v_mul_f64_e32 v[30:31], v[6:7], v[30:31]
	ds_load_b128 v[158:161], v2 offset:1056
	v_fmac_f64_e32 v[168:169], v[152:153], v[24:25]
	v_fma_f64 v[150:151], v[150:151], v[24:25], -v[26:27]
	scratch_load_b128 v[24:27], off, off offset:480
	v_add_f64_e32 v[162:163], v[162:163], v[164:165]
	v_fmac_f64_e32 v[166:167], v[6:7], v[28:29]
	v_add_f64_e32 v[152:153], v[172:173], v[170:171]
	v_fma_f64 v[170:171], v[4:5], v[28:29], -v[30:31]
	ds_load_b128 v[4:7], v2 offset:1072
	s_wait_loadcnt_dscnt 0xb01
	v_mul_f64_e32 v[164:165], v[158:159], v[128:129]
	v_mul_f64_e32 v[128:129], v[160:161], v[128:129]
	scratch_load_b128 v[28:31], off, off offset:496
	v_add_f64_e32 v[162:163], v[162:163], v[168:169]
	s_wait_loadcnt_dscnt 0xb00
	v_mul_f64_e32 v[168:169], v[4:5], v[132:133]
	v_add_f64_e32 v[172:173], v[152:153], v[150:151]
	v_mul_f64_e32 v[132:133], v[6:7], v[132:133]
	ds_load_b128 v[150:153], v2 offset:1088
	v_fmac_f64_e32 v[164:165], v[160:161], v[126:127]
	v_fma_f64 v[158:159], v[158:159], v[126:127], -v[128:129]
	scratch_load_b128 v[126:129], off, off offset:512
	v_add_f64_e32 v[162:163], v[162:163], v[166:167]
	v_fmac_f64_e32 v[168:169], v[6:7], v[130:131]
	v_add_f64_e32 v[160:161], v[172:173], v[170:171]
	v_fma_f64 v[170:171], v[4:5], v[130:131], -v[132:133]
	ds_load_b128 v[4:7], v2 offset:1104
	s_wait_loadcnt_dscnt 0xb01
	v_mul_f64_e32 v[166:167], v[150:151], v[136:137]
	v_mul_f64_e32 v[136:137], v[152:153], v[136:137]
	scratch_load_b128 v[130:133], off, off offset:528
	v_add_f64_e32 v[162:163], v[162:163], v[164:165]
	s_wait_loadcnt_dscnt 0xb00
	v_mul_f64_e32 v[164:165], v[4:5], v[144:145]
	v_add_f64_e32 v[172:173], v[160:161], v[158:159]
	v_mul_f64_e32 v[144:145], v[6:7], v[144:145]
	ds_load_b128 v[158:161], v2 offset:1120
	v_fmac_f64_e32 v[166:167], v[152:153], v[134:135]
	v_fma_f64 v[150:151], v[150:151], v[134:135], -v[136:137]
	scratch_load_b128 v[134:137], off, off offset:544
	v_add_f64_e32 v[162:163], v[162:163], v[168:169]
	v_fmac_f64_e32 v[164:165], v[6:7], v[142:143]
	v_add_f64_e32 v[152:153], v[172:173], v[170:171]
	v_fma_f64 v[170:171], v[4:5], v[142:143], -v[144:145]
	ds_load_b128 v[4:7], v2 offset:1136
	s_wait_loadcnt_dscnt 0xa01
	v_mul_f64_e32 v[168:169], v[158:159], v[156:157]
	v_mul_f64_e32 v[156:157], v[160:161], v[156:157]
	scratch_load_b128 v[142:145], off, off offset:560
	v_add_f64_e32 v[162:163], v[162:163], v[166:167]
	v_add_f64_e32 v[172:173], v[152:153], v[150:151]
	s_wait_loadcnt_dscnt 0xa00
	v_mul_f64_e32 v[166:167], v[4:5], v[140:141]
	v_mul_f64_e32 v[140:141], v[6:7], v[140:141]
	v_fmac_f64_e32 v[168:169], v[160:161], v[154:155]
	v_fma_f64 v[158:159], v[158:159], v[154:155], -v[156:157]
	ds_load_b128 v[150:153], v2 offset:1152
	scratch_load_b128 v[154:157], off, off offset:576
	v_add_f64_e32 v[162:163], v[162:163], v[164:165]
	v_add_f64_e32 v[160:161], v[172:173], v[170:171]
	v_fmac_f64_e32 v[166:167], v[6:7], v[138:139]
	v_fma_f64 v[170:171], v[4:5], v[138:139], -v[140:141]
	ds_load_b128 v[4:7], v2 offset:1168
	s_wait_loadcnt_dscnt 0xa01
	v_mul_f64_e32 v[164:165], v[150:151], v[10:11]
	v_mul_f64_e32 v[10:11], v[152:153], v[10:11]
	scratch_load_b128 v[138:141], off, off offset:592
	v_add_f64_e32 v[162:163], v[162:163], v[168:169]
	s_wait_loadcnt_dscnt 0xa00
	v_mul_f64_e32 v[168:169], v[4:5], v[14:15]
	v_add_f64_e32 v[172:173], v[160:161], v[158:159]
	v_mul_f64_e32 v[14:15], v[6:7], v[14:15]
	ds_load_b128 v[158:161], v2 offset:1184
	v_fmac_f64_e32 v[164:165], v[152:153], v[8:9]
	v_fma_f64 v[150:151], v[150:151], v[8:9], -v[10:11]
	scratch_load_b128 v[8:11], off, off offset:608
	v_add_f64_e32 v[162:163], v[162:163], v[166:167]
	v_fmac_f64_e32 v[168:169], v[6:7], v[12:13]
	v_add_f64_e32 v[152:153], v[172:173], v[170:171]
	v_fma_f64 v[170:171], v[4:5], v[12:13], -v[14:15]
	ds_load_b128 v[4:7], v2 offset:1200
	s_wait_loadcnt_dscnt 0xa01
	v_mul_f64_e32 v[166:167], v[158:159], v[18:19]
	v_mul_f64_e32 v[18:19], v[160:161], v[18:19]
	scratch_load_b128 v[12:15], off, off offset:624
	v_add_f64_e32 v[162:163], v[162:163], v[164:165]
	s_wait_loadcnt_dscnt 0xa00
	v_mul_f64_e32 v[164:165], v[4:5], v[22:23]
	v_add_f64_e32 v[172:173], v[152:153], v[150:151]
	v_mul_f64_e32 v[22:23], v[6:7], v[22:23]
	ds_load_b128 v[150:153], v2 offset:1216
	v_fmac_f64_e32 v[166:167], v[160:161], v[16:17]
	v_fma_f64 v[158:159], v[158:159], v[16:17], -v[18:19]
	scratch_load_b128 v[16:19], off, off offset:640
	v_add_f64_e32 v[162:163], v[162:163], v[168:169]
	v_fmac_f64_e32 v[164:165], v[6:7], v[20:21]
	v_add_f64_e32 v[160:161], v[172:173], v[170:171]
	;; [unrolled: 18-line block ×4, first 2 shown]
	v_fma_f64 v[170:171], v[4:5], v[130:131], -v[132:133]
	ds_load_b128 v[4:7], v2 offset:1296
	s_wait_loadcnt_dscnt 0xa01
	v_mul_f64_e32 v[166:167], v[150:151], v[136:137]
	v_mul_f64_e32 v[136:137], v[152:153], v[136:137]
	scratch_load_b128 v[130:133], off, off offset:720
	v_add_f64_e32 v[162:163], v[162:163], v[164:165]
	s_wait_loadcnt_dscnt 0xa00
	v_mul_f64_e32 v[164:165], v[4:5], v[144:145]
	v_add_f64_e32 v[172:173], v[160:161], v[158:159]
	v_mul_f64_e32 v[144:145], v[6:7], v[144:145]
	ds_load_b128 v[158:161], v2 offset:1312
	v_fmac_f64_e32 v[166:167], v[152:153], v[134:135]
	v_fma_f64 v[134:135], v[150:151], v[134:135], -v[136:137]
	s_wait_loadcnt_dscnt 0x900
	v_mul_f64_e32 v[152:153], v[158:159], v[156:157]
	v_mul_f64_e32 v[156:157], v[160:161], v[156:157]
	v_add_f64_e32 v[150:151], v[162:163], v[168:169]
	v_fmac_f64_e32 v[164:165], v[6:7], v[142:143]
	v_add_f64_e32 v[136:137], v[172:173], v[170:171]
	v_fma_f64 v[142:143], v[4:5], v[142:143], -v[144:145]
	v_fmac_f64_e32 v[152:153], v[160:161], v[154:155]
	v_fma_f64 v[154:155], v[158:159], v[154:155], -v[156:157]
	v_add_f64_e32 v[150:151], v[150:151], v[166:167]
	v_add_f64_e32 v[144:145], v[136:137], v[134:135]
	ds_load_b128 v[4:7], v2 offset:1328
	ds_load_b128 v[134:137], v2 offset:1344
	s_wait_loadcnt_dscnt 0x801
	v_mul_f64_e32 v[162:163], v[4:5], v[140:141]
	v_mul_f64_e32 v[140:141], v[6:7], v[140:141]
	v_add_f64_e32 v[142:143], v[144:145], v[142:143]
	v_add_f64_e32 v[144:145], v[150:151], v[164:165]
	s_wait_loadcnt_dscnt 0x700
	v_mul_f64_e32 v[150:151], v[134:135], v[10:11]
	v_mul_f64_e32 v[10:11], v[136:137], v[10:11]
	v_fmac_f64_e32 v[162:163], v[6:7], v[138:139]
	v_fma_f64 v[156:157], v[4:5], v[138:139], -v[140:141]
	ds_load_b128 v[4:7], v2 offset:1360
	ds_load_b128 v[138:141], v2 offset:1376
	v_add_f64_e32 v[142:143], v[142:143], v[154:155]
	v_add_f64_e32 v[144:145], v[144:145], v[152:153]
	v_fmac_f64_e32 v[150:151], v[136:137], v[8:9]
	v_fma_f64 v[8:9], v[134:135], v[8:9], -v[10:11]
	s_wait_loadcnt_dscnt 0x601
	v_mul_f64_e32 v[152:153], v[4:5], v[14:15]
	v_mul_f64_e32 v[14:15], v[6:7], v[14:15]
	s_wait_loadcnt_dscnt 0x500
	v_mul_f64_e32 v[136:137], v[138:139], v[18:19]
	v_mul_f64_e32 v[18:19], v[140:141], v[18:19]
	v_add_f64_e32 v[10:11], v[142:143], v[156:157]
	v_add_f64_e32 v[134:135], v[144:145], v[162:163]
	v_fmac_f64_e32 v[152:153], v[6:7], v[12:13]
	v_fma_f64 v[12:13], v[4:5], v[12:13], -v[14:15]
	v_fmac_f64_e32 v[136:137], v[140:141], v[16:17]
	v_fma_f64 v[16:17], v[138:139], v[16:17], -v[18:19]
	v_add_f64_e32 v[14:15], v[10:11], v[8:9]
	v_add_f64_e32 v[134:135], v[134:135], v[150:151]
	ds_load_b128 v[4:7], v2 offset:1392
	ds_load_b128 v[8:11], v2 offset:1408
	s_wait_loadcnt_dscnt 0x401
	v_mul_f64_e32 v[142:143], v[4:5], v[22:23]
	v_mul_f64_e32 v[22:23], v[6:7], v[22:23]
	s_wait_loadcnt_dscnt 0x300
	v_mul_f64_e32 v[18:19], v[8:9], v[26:27]
	v_mul_f64_e32 v[26:27], v[10:11], v[26:27]
	v_add_f64_e32 v[12:13], v[14:15], v[12:13]
	v_add_f64_e32 v[14:15], v[134:135], v[152:153]
	v_fmac_f64_e32 v[142:143], v[6:7], v[20:21]
	v_fma_f64 v[20:21], v[4:5], v[20:21], -v[22:23]
	v_fmac_f64_e32 v[18:19], v[10:11], v[24:25]
	v_fma_f64 v[8:9], v[8:9], v[24:25], -v[26:27]
	v_add_f64_e32 v[16:17], v[12:13], v[16:17]
	v_add_f64_e32 v[22:23], v[14:15], v[136:137]
	ds_load_b128 v[4:7], v2 offset:1424
	ds_load_b128 v[12:15], v2 offset:1440
	s_wait_loadcnt_dscnt 0x201
	v_mul_f64_e32 v[134:135], v[4:5], v[30:31]
	v_mul_f64_e32 v[30:31], v[6:7], v[30:31]
	v_add_f64_e32 v[10:11], v[16:17], v[20:21]
	v_add_f64_e32 v[16:17], v[22:23], v[142:143]
	s_wait_loadcnt_dscnt 0x100
	v_mul_f64_e32 v[20:21], v[12:13], v[128:129]
	v_mul_f64_e32 v[22:23], v[14:15], v[128:129]
	v_fmac_f64_e32 v[134:135], v[6:7], v[28:29]
	v_fma_f64 v[24:25], v[4:5], v[28:29], -v[30:31]
	ds_load_b128 v[4:7], v2 offset:1456
	v_add_f64_e32 v[8:9], v[10:11], v[8:9]
	v_add_f64_e32 v[10:11], v[16:17], v[18:19]
	v_fmac_f64_e32 v[20:21], v[14:15], v[126:127]
	v_fma_f64 v[12:13], v[12:13], v[126:127], -v[22:23]
	s_wait_loadcnt_dscnt 0x0
	v_mul_f64_e32 v[16:17], v[4:5], v[132:133]
	v_mul_f64_e32 v[18:19], v[6:7], v[132:133]
	v_add_f64_e32 v[8:9], v[8:9], v[24:25]
	v_add_f64_e32 v[10:11], v[10:11], v[134:135]
	s_delay_alu instid0(VALU_DEP_4) | instskip(NEXT) | instid1(VALU_DEP_4)
	v_fmac_f64_e32 v[16:17], v[6:7], v[130:131]
	v_fma_f64 v[4:5], v[4:5], v[130:131], -v[18:19]
	s_delay_alu instid0(VALU_DEP_4) | instskip(NEXT) | instid1(VALU_DEP_4)
	v_add_f64_e32 v[6:7], v[8:9], v[12:13]
	v_add_f64_e32 v[8:9], v[10:11], v[20:21]
	s_delay_alu instid0(VALU_DEP_2) | instskip(NEXT) | instid1(VALU_DEP_2)
	v_add_f64_e32 v[4:5], v[6:7], v[4:5]
	v_add_f64_e32 v[6:7], v[8:9], v[16:17]
	s_delay_alu instid0(VALU_DEP_2) | instskip(NEXT) | instid1(VALU_DEP_2)
	v_add_f64_e64 v[4:5], v[146:147], -v[4:5]
	v_add_f64_e64 v[6:7], v[148:149], -v[6:7]
	scratch_store_b128 off, v[4:7], off offset:192
	s_wait_xcnt 0x0
	v_cmpx_lt_u32_e32 11, v1
	s_cbranch_execz .LBB109_267
; %bb.266:
	scratch_load_b128 v[6:9], off, s51
	v_dual_mov_b32 v3, v2 :: v_dual_mov_b32 v4, v2
	v_mov_b32_e32 v5, v2
	scratch_store_b128 off, v[2:5], off offset:176
	s_wait_loadcnt 0x0
	ds_store_b128 v124, v[6:9]
.LBB109_267:
	s_wait_xcnt 0x0
	s_or_b32 exec_lo, exec_lo, s2
	s_wait_storecnt_dscnt 0x0
	s_barrier_signal -1
	s_barrier_wait -1
	s_clause 0x9
	scratch_load_b128 v[4:7], off, off offset:192
	scratch_load_b128 v[8:11], off, off offset:208
	;; [unrolled: 1-line block ×10, first 2 shown]
	ds_load_b128 v[138:141], v2 offset:928
	ds_load_b128 v[146:149], v2 offset:944
	s_clause 0x2
	scratch_load_b128 v[142:145], off, off offset:352
	scratch_load_b128 v[150:153], off, off offset:176
	;; [unrolled: 1-line block ×3, first 2 shown]
	s_mov_b32 s2, exec_lo
	s_wait_loadcnt_dscnt 0xc01
	v_mul_f64_e32 v[158:159], v[140:141], v[6:7]
	v_mul_f64_e32 v[162:163], v[138:139], v[6:7]
	s_wait_loadcnt_dscnt 0xb00
	v_mul_f64_e32 v[164:165], v[146:147], v[10:11]
	v_mul_f64_e32 v[10:11], v[148:149], v[10:11]
	s_delay_alu instid0(VALU_DEP_4) | instskip(NEXT) | instid1(VALU_DEP_4)
	v_fma_f64 v[166:167], v[138:139], v[4:5], -v[158:159]
	v_fmac_f64_e32 v[162:163], v[140:141], v[4:5]
	ds_load_b128 v[4:7], v2 offset:960
	ds_load_b128 v[138:141], v2 offset:976
	scratch_load_b128 v[158:161], off, off offset:384
	v_fmac_f64_e32 v[164:165], v[148:149], v[8:9]
	v_fma_f64 v[146:147], v[146:147], v[8:9], -v[10:11]
	scratch_load_b128 v[8:11], off, off offset:400
	s_wait_loadcnt_dscnt 0xc01
	v_mul_f64_e32 v[168:169], v[4:5], v[14:15]
	v_mul_f64_e32 v[14:15], v[6:7], v[14:15]
	v_add_f64_e32 v[148:149], 0, v[166:167]
	v_add_f64_e32 v[162:163], 0, v[162:163]
	s_wait_loadcnt_dscnt 0xb00
	v_mul_f64_e32 v[166:167], v[138:139], v[18:19]
	v_mul_f64_e32 v[18:19], v[140:141], v[18:19]
	v_fmac_f64_e32 v[168:169], v[6:7], v[12:13]
	v_fma_f64 v[170:171], v[4:5], v[12:13], -v[14:15]
	ds_load_b128 v[4:7], v2 offset:992
	ds_load_b128 v[12:15], v2 offset:1008
	v_add_f64_e32 v[172:173], v[148:149], v[146:147]
	v_add_f64_e32 v[162:163], v[162:163], v[164:165]
	scratch_load_b128 v[146:149], off, off offset:416
	v_fmac_f64_e32 v[166:167], v[140:141], v[16:17]
	v_fma_f64 v[138:139], v[138:139], v[16:17], -v[18:19]
	scratch_load_b128 v[16:19], off, off offset:432
	s_wait_loadcnt_dscnt 0xc01
	v_mul_f64_e32 v[164:165], v[4:5], v[22:23]
	v_mul_f64_e32 v[22:23], v[6:7], v[22:23]
	v_add_f64_e32 v[140:141], v[172:173], v[170:171]
	v_add_f64_e32 v[162:163], v[162:163], v[168:169]
	s_wait_loadcnt_dscnt 0xb00
	v_mul_f64_e32 v[168:169], v[12:13], v[26:27]
	v_mul_f64_e32 v[26:27], v[14:15], v[26:27]
	v_fmac_f64_e32 v[164:165], v[6:7], v[20:21]
	v_fma_f64 v[170:171], v[4:5], v[20:21], -v[22:23]
	ds_load_b128 v[4:7], v2 offset:1024
	ds_load_b128 v[20:23], v2 offset:1040
	v_add_f64_e32 v[172:173], v[140:141], v[138:139]
	v_add_f64_e32 v[162:163], v[162:163], v[166:167]
	scratch_load_b128 v[138:141], off, off offset:448
	s_wait_loadcnt_dscnt 0xb01
	v_mul_f64_e32 v[166:167], v[4:5], v[30:31]
	v_mul_f64_e32 v[30:31], v[6:7], v[30:31]
	v_fmac_f64_e32 v[168:169], v[14:15], v[24:25]
	v_fma_f64 v[24:25], v[12:13], v[24:25], -v[26:27]
	scratch_load_b128 v[12:15], off, off offset:464
	v_add_f64_e32 v[26:27], v[172:173], v[170:171]
	v_add_f64_e32 v[162:163], v[162:163], v[164:165]
	s_wait_loadcnt_dscnt 0xb00
	v_mul_f64_e32 v[164:165], v[20:21], v[128:129]
	v_mul_f64_e32 v[128:129], v[22:23], v[128:129]
	v_fmac_f64_e32 v[166:167], v[6:7], v[28:29]
	v_fma_f64 v[170:171], v[4:5], v[28:29], -v[30:31]
	v_add_f64_e32 v[172:173], v[26:27], v[24:25]
	v_add_f64_e32 v[162:163], v[162:163], v[168:169]
	ds_load_b128 v[4:7], v2 offset:1056
	ds_load_b128 v[24:27], v2 offset:1072
	scratch_load_b128 v[28:31], off, off offset:480
	v_fmac_f64_e32 v[164:165], v[22:23], v[126:127]
	v_fma_f64 v[126:127], v[20:21], v[126:127], -v[128:129]
	scratch_load_b128 v[20:23], off, off offset:496
	s_wait_loadcnt_dscnt 0xc01
	v_mul_f64_e32 v[168:169], v[4:5], v[132:133]
	v_mul_f64_e32 v[132:133], v[6:7], v[132:133]
	v_add_f64_e32 v[128:129], v[172:173], v[170:171]
	v_add_f64_e32 v[162:163], v[162:163], v[166:167]
	s_wait_loadcnt_dscnt 0xb00
	v_mul_f64_e32 v[166:167], v[24:25], v[136:137]
	v_mul_f64_e32 v[136:137], v[26:27], v[136:137]
	v_fmac_f64_e32 v[168:169], v[6:7], v[130:131]
	v_fma_f64 v[170:171], v[4:5], v[130:131], -v[132:133]
	v_add_f64_e32 v[172:173], v[128:129], v[126:127]
	v_add_f64_e32 v[162:163], v[162:163], v[164:165]
	ds_load_b128 v[4:7], v2 offset:1088
	ds_load_b128 v[126:129], v2 offset:1104
	scratch_load_b128 v[130:133], off, off offset:512
	v_fmac_f64_e32 v[166:167], v[26:27], v[134:135]
	v_fma_f64 v[134:135], v[24:25], v[134:135], -v[136:137]
	scratch_load_b128 v[24:27], off, off offset:528
	s_wait_loadcnt_dscnt 0xc01
	v_mul_f64_e32 v[164:165], v[4:5], v[144:145]
	v_mul_f64_e32 v[144:145], v[6:7], v[144:145]
	;; [unrolled: 18-line block ×5, first 2 shown]
	v_add_f64_e32 v[156:157], v[172:173], v[170:171]
	v_add_f64_e32 v[162:163], v[162:163], v[168:169]
	s_wait_loadcnt_dscnt 0xa00
	v_mul_f64_e32 v[168:169], v[134:135], v[14:15]
	v_mul_f64_e32 v[14:15], v[136:137], v[14:15]
	v_fmac_f64_e32 v[164:165], v[6:7], v[138:139]
	v_fma_f64 v[170:171], v[4:5], v[138:139], -v[140:141]
	ds_load_b128 v[4:7], v2 offset:1216
	ds_load_b128 v[138:141], v2 offset:1232
	v_add_f64_e32 v[172:173], v[156:157], v[154:155]
	v_add_f64_e32 v[162:163], v[162:163], v[166:167]
	scratch_load_b128 v[154:157], off, off offset:640
	v_fmac_f64_e32 v[168:169], v[136:137], v[12:13]
	v_fma_f64 v[134:135], v[134:135], v[12:13], -v[14:15]
	scratch_load_b128 v[12:15], off, off offset:656
	s_wait_loadcnt_dscnt 0xb01
	v_mul_f64_e32 v[166:167], v[4:5], v[30:31]
	v_mul_f64_e32 v[30:31], v[6:7], v[30:31]
	v_add_f64_e32 v[136:137], v[172:173], v[170:171]
	v_add_f64_e32 v[162:163], v[162:163], v[164:165]
	s_wait_loadcnt_dscnt 0xa00
	v_mul_f64_e32 v[164:165], v[138:139], v[22:23]
	v_mul_f64_e32 v[22:23], v[140:141], v[22:23]
	v_fmac_f64_e32 v[166:167], v[6:7], v[28:29]
	v_fma_f64 v[170:171], v[4:5], v[28:29], -v[30:31]
	ds_load_b128 v[4:7], v2 offset:1248
	ds_load_b128 v[28:31], v2 offset:1264
	v_add_f64_e32 v[172:173], v[136:137], v[134:135]
	v_add_f64_e32 v[162:163], v[162:163], v[168:169]
	scratch_load_b128 v[134:137], off, off offset:672
	s_wait_loadcnt_dscnt 0xa01
	v_mul_f64_e32 v[168:169], v[4:5], v[132:133]
	v_mul_f64_e32 v[132:133], v[6:7], v[132:133]
	v_fmac_f64_e32 v[164:165], v[140:141], v[20:21]
	v_fma_f64 v[138:139], v[138:139], v[20:21], -v[22:23]
	scratch_load_b128 v[20:23], off, off offset:688
	v_add_f64_e32 v[140:141], v[172:173], v[170:171]
	v_add_f64_e32 v[162:163], v[162:163], v[166:167]
	s_wait_loadcnt_dscnt 0xa00
	v_mul_f64_e32 v[166:167], v[28:29], v[26:27]
	v_mul_f64_e32 v[26:27], v[30:31], v[26:27]
	v_fmac_f64_e32 v[168:169], v[6:7], v[130:131]
	v_fma_f64 v[170:171], v[4:5], v[130:131], -v[132:133]
	ds_load_b128 v[4:7], v2 offset:1280
	ds_load_b128 v[130:133], v2 offset:1296
	v_add_f64_e32 v[172:173], v[140:141], v[138:139]
	v_add_f64_e32 v[162:163], v[162:163], v[164:165]
	scratch_load_b128 v[138:141], off, off offset:704
	s_wait_loadcnt_dscnt 0xa01
	v_mul_f64_e32 v[164:165], v[4:5], v[144:145]
	v_mul_f64_e32 v[144:145], v[6:7], v[144:145]
	v_fmac_f64_e32 v[166:167], v[30:31], v[24:25]
	v_fma_f64 v[28:29], v[28:29], v[24:25], -v[26:27]
	scratch_load_b128 v[24:27], off, off offset:720
	v_add_f64_e32 v[30:31], v[172:173], v[170:171]
	v_add_f64_e32 v[162:163], v[162:163], v[168:169]
	s_wait_loadcnt_dscnt 0xa00
	v_mul_f64_e32 v[168:169], v[130:131], v[128:129]
	v_mul_f64_e32 v[128:129], v[132:133], v[128:129]
	v_fmac_f64_e32 v[164:165], v[6:7], v[142:143]
	v_fma_f64 v[142:143], v[4:5], v[142:143], -v[144:145]
	v_add_f64_e32 v[144:145], v[30:31], v[28:29]
	v_add_f64_e32 v[162:163], v[162:163], v[166:167]
	ds_load_b128 v[4:7], v2 offset:1312
	ds_load_b128 v[28:31], v2 offset:1328
	v_fmac_f64_e32 v[168:169], v[132:133], v[126:127]
	v_fma_f64 v[126:127], v[130:131], v[126:127], -v[128:129]
	s_wait_loadcnt_dscnt 0x901
	v_mul_f64_e32 v[166:167], v[4:5], v[160:161]
	v_mul_f64_e32 v[160:161], v[6:7], v[160:161]
	s_wait_loadcnt_dscnt 0x800
	v_mul_f64_e32 v[132:133], v[28:29], v[10:11]
	v_mul_f64_e32 v[10:11], v[30:31], v[10:11]
	v_add_f64_e32 v[128:129], v[144:145], v[142:143]
	v_add_f64_e32 v[130:131], v[162:163], v[164:165]
	v_fmac_f64_e32 v[166:167], v[6:7], v[158:159]
	v_fma_f64 v[142:143], v[4:5], v[158:159], -v[160:161]
	v_fmac_f64_e32 v[132:133], v[30:31], v[8:9]
	v_fma_f64 v[8:9], v[28:29], v[8:9], -v[10:11]
	v_add_f64_e32 v[144:145], v[128:129], v[126:127]
	v_add_f64_e32 v[130:131], v[130:131], v[168:169]
	ds_load_b128 v[4:7], v2 offset:1344
	ds_load_b128 v[126:129], v2 offset:1360
	s_wait_loadcnt_dscnt 0x701
	v_mul_f64_e32 v[158:159], v[4:5], v[148:149]
	v_mul_f64_e32 v[148:149], v[6:7], v[148:149]
	s_wait_loadcnt_dscnt 0x600
	v_mul_f64_e32 v[30:31], v[126:127], v[18:19]
	v_mul_f64_e32 v[18:19], v[128:129], v[18:19]
	v_add_f64_e32 v[10:11], v[144:145], v[142:143]
	v_add_f64_e32 v[28:29], v[130:131], v[166:167]
	v_fmac_f64_e32 v[158:159], v[6:7], v[146:147]
	v_fma_f64 v[130:131], v[4:5], v[146:147], -v[148:149]
	v_fmac_f64_e32 v[30:31], v[128:129], v[16:17]
	v_fma_f64 v[16:17], v[126:127], v[16:17], -v[18:19]
	v_add_f64_e32 v[142:143], v[10:11], v[8:9]
	v_add_f64_e32 v[28:29], v[28:29], v[132:133]
	ds_load_b128 v[4:7], v2 offset:1376
	ds_load_b128 v[8:11], v2 offset:1392
	;; [unrolled: 16-line block ×3, first 2 shown]
	s_wait_loadcnt_dscnt 0x301
	v_mul_f64_e32 v[30:31], v[4:5], v[136:137]
	v_mul_f64_e32 v[136:137], v[6:7], v[136:137]
	v_add_f64_e32 v[10:11], v[18:19], v[130:131]
	v_add_f64_e32 v[12:13], v[28:29], v[132:133]
	s_wait_loadcnt_dscnt 0x200
	v_mul_f64_e32 v[18:19], v[14:15], v[22:23]
	v_mul_f64_e32 v[22:23], v[16:17], v[22:23]
	v_fmac_f64_e32 v[30:31], v[6:7], v[134:135]
	v_fma_f64 v[28:29], v[4:5], v[134:135], -v[136:137]
	v_add_f64_e32 v[128:129], v[10:11], v[8:9]
	v_add_f64_e32 v[12:13], v[12:13], v[126:127]
	ds_load_b128 v[4:7], v2 offset:1440
	ds_load_b128 v[8:11], v2 offset:1456
	v_fmac_f64_e32 v[18:19], v[16:17], v[20:21]
	v_fma_f64 v[14:15], v[14:15], v[20:21], -v[22:23]
	s_wait_loadcnt_dscnt 0x101
	v_mul_f64_e32 v[2:3], v[4:5], v[140:141]
	v_mul_f64_e32 v[126:127], v[6:7], v[140:141]
	s_wait_loadcnt_dscnt 0x0
	v_mul_f64_e32 v[20:21], v[8:9], v[26:27]
	v_mul_f64_e32 v[22:23], v[10:11], v[26:27]
	v_add_f64_e32 v[16:17], v[128:129], v[28:29]
	v_add_f64_e32 v[12:13], v[12:13], v[30:31]
	v_fmac_f64_e32 v[2:3], v[6:7], v[138:139]
	v_fma_f64 v[4:5], v[4:5], v[138:139], -v[126:127]
	v_fmac_f64_e32 v[20:21], v[10:11], v[24:25]
	v_fma_f64 v[8:9], v[8:9], v[24:25], -v[22:23]
	v_add_f64_e32 v[6:7], v[16:17], v[14:15]
	v_add_f64_e32 v[12:13], v[12:13], v[18:19]
	s_delay_alu instid0(VALU_DEP_2) | instskip(NEXT) | instid1(VALU_DEP_2)
	v_add_f64_e32 v[4:5], v[6:7], v[4:5]
	v_add_f64_e32 v[2:3], v[12:13], v[2:3]
	s_delay_alu instid0(VALU_DEP_2) | instskip(NEXT) | instid1(VALU_DEP_2)
	;; [unrolled: 3-line block ×3, first 2 shown]
	v_add_f64_e64 v[2:3], v[150:151], -v[4:5]
	v_add_f64_e64 v[4:5], v[152:153], -v[6:7]
	scratch_store_b128 off, v[2:5], off offset:176
	s_wait_xcnt 0x0
	v_cmpx_lt_u32_e32 10, v1
	s_cbranch_execz .LBB109_269
; %bb.268:
	scratch_load_b128 v[2:5], off, s52
	v_mov_b32_e32 v6, 0
	s_delay_alu instid0(VALU_DEP_1)
	v_dual_mov_b32 v7, v6 :: v_dual_mov_b32 v8, v6
	v_mov_b32_e32 v9, v6
	scratch_store_b128 off, v[6:9], off offset:160
	s_wait_loadcnt 0x0
	ds_store_b128 v124, v[2:5]
.LBB109_269:
	s_wait_xcnt 0x0
	s_or_b32 exec_lo, exec_lo, s2
	s_wait_storecnt_dscnt 0x0
	s_barrier_signal -1
	s_barrier_wait -1
	s_clause 0x9
	scratch_load_b128 v[4:7], off, off offset:176
	scratch_load_b128 v[8:11], off, off offset:192
	;; [unrolled: 1-line block ×10, first 2 shown]
	v_mov_b32_e32 v2, 0
	s_mov_b32 s2, exec_lo
	ds_load_b128 v[138:141], v2 offset:912
	s_clause 0x2
	scratch_load_b128 v[142:145], off, off offset:336
	scratch_load_b128 v[146:149], off, off offset:160
	;; [unrolled: 1-line block ×3, first 2 shown]
	s_wait_loadcnt_dscnt 0xc00
	v_mul_f64_e32 v[158:159], v[140:141], v[6:7]
	v_mul_f64_e32 v[162:163], v[138:139], v[6:7]
	ds_load_b128 v[150:153], v2 offset:928
	v_fma_f64 v[166:167], v[138:139], v[4:5], -v[158:159]
	v_fmac_f64_e32 v[162:163], v[140:141], v[4:5]
	ds_load_b128 v[4:7], v2 offset:944
	s_wait_loadcnt_dscnt 0xb01
	v_mul_f64_e32 v[164:165], v[150:151], v[10:11]
	v_mul_f64_e32 v[10:11], v[152:153], v[10:11]
	scratch_load_b128 v[138:141], off, off offset:368
	ds_load_b128 v[158:161], v2 offset:960
	s_wait_loadcnt_dscnt 0xb01
	v_mul_f64_e32 v[168:169], v[4:5], v[14:15]
	v_mul_f64_e32 v[14:15], v[6:7], v[14:15]
	v_add_f64_e32 v[162:163], 0, v[162:163]
	v_fmac_f64_e32 v[164:165], v[152:153], v[8:9]
	v_fma_f64 v[150:151], v[150:151], v[8:9], -v[10:11]
	v_add_f64_e32 v[152:153], 0, v[166:167]
	scratch_load_b128 v[8:11], off, off offset:384
	v_fmac_f64_e32 v[168:169], v[6:7], v[12:13]
	v_fma_f64 v[170:171], v[4:5], v[12:13], -v[14:15]
	ds_load_b128 v[4:7], v2 offset:976
	s_wait_loadcnt_dscnt 0xb01
	v_mul_f64_e32 v[166:167], v[158:159], v[18:19]
	v_mul_f64_e32 v[18:19], v[160:161], v[18:19]
	scratch_load_b128 v[12:15], off, off offset:400
	v_add_f64_e32 v[162:163], v[162:163], v[164:165]
	v_add_f64_e32 v[172:173], v[152:153], v[150:151]
	ds_load_b128 v[150:153], v2 offset:992
	s_wait_loadcnt_dscnt 0xb01
	v_mul_f64_e32 v[164:165], v[4:5], v[22:23]
	v_mul_f64_e32 v[22:23], v[6:7], v[22:23]
	v_fmac_f64_e32 v[166:167], v[160:161], v[16:17]
	v_fma_f64 v[158:159], v[158:159], v[16:17], -v[18:19]
	scratch_load_b128 v[16:19], off, off offset:416
	v_add_f64_e32 v[162:163], v[162:163], v[168:169]
	v_add_f64_e32 v[160:161], v[172:173], v[170:171]
	v_fmac_f64_e32 v[164:165], v[6:7], v[20:21]
	v_fma_f64 v[170:171], v[4:5], v[20:21], -v[22:23]
	ds_load_b128 v[4:7], v2 offset:1008
	s_wait_loadcnt_dscnt 0xb01
	v_mul_f64_e32 v[168:169], v[150:151], v[26:27]
	v_mul_f64_e32 v[26:27], v[152:153], v[26:27]
	scratch_load_b128 v[20:23], off, off offset:432
	v_add_f64_e32 v[162:163], v[162:163], v[166:167]
	s_wait_loadcnt_dscnt 0xb00
	v_mul_f64_e32 v[166:167], v[4:5], v[30:31]
	v_add_f64_e32 v[172:173], v[160:161], v[158:159]
	v_mul_f64_e32 v[30:31], v[6:7], v[30:31]
	ds_load_b128 v[158:161], v2 offset:1024
	v_fmac_f64_e32 v[168:169], v[152:153], v[24:25]
	v_fma_f64 v[150:151], v[150:151], v[24:25], -v[26:27]
	scratch_load_b128 v[24:27], off, off offset:448
	v_add_f64_e32 v[162:163], v[162:163], v[164:165]
	v_fmac_f64_e32 v[166:167], v[6:7], v[28:29]
	v_add_f64_e32 v[152:153], v[172:173], v[170:171]
	v_fma_f64 v[170:171], v[4:5], v[28:29], -v[30:31]
	ds_load_b128 v[4:7], v2 offset:1040
	s_wait_loadcnt_dscnt 0xb01
	v_mul_f64_e32 v[164:165], v[158:159], v[128:129]
	v_mul_f64_e32 v[128:129], v[160:161], v[128:129]
	scratch_load_b128 v[28:31], off, off offset:464
	v_add_f64_e32 v[162:163], v[162:163], v[168:169]
	s_wait_loadcnt_dscnt 0xb00
	v_mul_f64_e32 v[168:169], v[4:5], v[132:133]
	v_add_f64_e32 v[172:173], v[152:153], v[150:151]
	v_mul_f64_e32 v[132:133], v[6:7], v[132:133]
	ds_load_b128 v[150:153], v2 offset:1056
	v_fmac_f64_e32 v[164:165], v[160:161], v[126:127]
	v_fma_f64 v[158:159], v[158:159], v[126:127], -v[128:129]
	scratch_load_b128 v[126:129], off, off offset:480
	v_add_f64_e32 v[162:163], v[162:163], v[166:167]
	v_fmac_f64_e32 v[168:169], v[6:7], v[130:131]
	v_add_f64_e32 v[160:161], v[172:173], v[170:171]
	;; [unrolled: 18-line block ×3, first 2 shown]
	v_fma_f64 v[170:171], v[4:5], v[142:143], -v[144:145]
	ds_load_b128 v[4:7], v2 offset:1104
	s_wait_loadcnt_dscnt 0xa01
	v_mul_f64_e32 v[168:169], v[158:159], v[156:157]
	v_mul_f64_e32 v[156:157], v[160:161], v[156:157]
	scratch_load_b128 v[142:145], off, off offset:528
	v_add_f64_e32 v[162:163], v[162:163], v[166:167]
	v_add_f64_e32 v[172:173], v[152:153], v[150:151]
	s_wait_loadcnt_dscnt 0xa00
	v_mul_f64_e32 v[166:167], v[4:5], v[140:141]
	v_mul_f64_e32 v[140:141], v[6:7], v[140:141]
	v_fmac_f64_e32 v[168:169], v[160:161], v[154:155]
	v_fma_f64 v[158:159], v[158:159], v[154:155], -v[156:157]
	ds_load_b128 v[150:153], v2 offset:1120
	scratch_load_b128 v[154:157], off, off offset:544
	v_add_f64_e32 v[162:163], v[162:163], v[164:165]
	v_add_f64_e32 v[160:161], v[172:173], v[170:171]
	v_fmac_f64_e32 v[166:167], v[6:7], v[138:139]
	v_fma_f64 v[170:171], v[4:5], v[138:139], -v[140:141]
	ds_load_b128 v[4:7], v2 offset:1136
	s_wait_loadcnt_dscnt 0xa01
	v_mul_f64_e32 v[164:165], v[150:151], v[10:11]
	v_mul_f64_e32 v[10:11], v[152:153], v[10:11]
	scratch_load_b128 v[138:141], off, off offset:560
	v_add_f64_e32 v[162:163], v[162:163], v[168:169]
	s_wait_loadcnt_dscnt 0xa00
	v_mul_f64_e32 v[168:169], v[4:5], v[14:15]
	v_add_f64_e32 v[172:173], v[160:161], v[158:159]
	v_mul_f64_e32 v[14:15], v[6:7], v[14:15]
	ds_load_b128 v[158:161], v2 offset:1152
	v_fmac_f64_e32 v[164:165], v[152:153], v[8:9]
	v_fma_f64 v[150:151], v[150:151], v[8:9], -v[10:11]
	scratch_load_b128 v[8:11], off, off offset:576
	v_add_f64_e32 v[162:163], v[162:163], v[166:167]
	v_fmac_f64_e32 v[168:169], v[6:7], v[12:13]
	v_add_f64_e32 v[152:153], v[172:173], v[170:171]
	v_fma_f64 v[170:171], v[4:5], v[12:13], -v[14:15]
	ds_load_b128 v[4:7], v2 offset:1168
	s_wait_loadcnt_dscnt 0xa01
	v_mul_f64_e32 v[166:167], v[158:159], v[18:19]
	v_mul_f64_e32 v[18:19], v[160:161], v[18:19]
	scratch_load_b128 v[12:15], off, off offset:592
	v_add_f64_e32 v[162:163], v[162:163], v[164:165]
	s_wait_loadcnt_dscnt 0xa00
	v_mul_f64_e32 v[164:165], v[4:5], v[22:23]
	v_add_f64_e32 v[172:173], v[152:153], v[150:151]
	v_mul_f64_e32 v[22:23], v[6:7], v[22:23]
	ds_load_b128 v[150:153], v2 offset:1184
	v_fmac_f64_e32 v[166:167], v[160:161], v[16:17]
	v_fma_f64 v[158:159], v[158:159], v[16:17], -v[18:19]
	scratch_load_b128 v[16:19], off, off offset:608
	v_add_f64_e32 v[162:163], v[162:163], v[168:169]
	v_fmac_f64_e32 v[164:165], v[6:7], v[20:21]
	v_add_f64_e32 v[160:161], v[172:173], v[170:171]
	;; [unrolled: 18-line block ×5, first 2 shown]
	v_fma_f64 v[170:171], v[4:5], v[142:143], -v[144:145]
	ds_load_b128 v[4:7], v2 offset:1296
	s_wait_loadcnt_dscnt 0xa01
	v_mul_f64_e32 v[168:169], v[158:159], v[156:157]
	v_mul_f64_e32 v[156:157], v[160:161], v[156:157]
	scratch_load_b128 v[142:145], off, off offset:720
	v_add_f64_e32 v[162:163], v[162:163], v[166:167]
	s_wait_loadcnt_dscnt 0xa00
	v_mul_f64_e32 v[166:167], v[4:5], v[140:141]
	v_add_f64_e32 v[172:173], v[152:153], v[150:151]
	v_mul_f64_e32 v[140:141], v[6:7], v[140:141]
	ds_load_b128 v[150:153], v2 offset:1312
	v_fmac_f64_e32 v[168:169], v[160:161], v[154:155]
	v_fma_f64 v[154:155], v[158:159], v[154:155], -v[156:157]
	s_wait_loadcnt_dscnt 0x900
	v_mul_f64_e32 v[160:161], v[150:151], v[10:11]
	v_mul_f64_e32 v[10:11], v[152:153], v[10:11]
	v_add_f64_e32 v[158:159], v[162:163], v[164:165]
	v_fmac_f64_e32 v[166:167], v[6:7], v[138:139]
	v_add_f64_e32 v[156:157], v[172:173], v[170:171]
	v_fma_f64 v[162:163], v[4:5], v[138:139], -v[140:141]
	ds_load_b128 v[4:7], v2 offset:1328
	ds_load_b128 v[138:141], v2 offset:1344
	v_fmac_f64_e32 v[160:161], v[152:153], v[8:9]
	v_fma_f64 v[8:9], v[150:151], v[8:9], -v[10:11]
	v_add_f64_e32 v[154:155], v[156:157], v[154:155]
	v_add_f64_e32 v[156:157], v[158:159], v[168:169]
	s_wait_loadcnt_dscnt 0x801
	v_mul_f64_e32 v[158:159], v[4:5], v[14:15]
	v_mul_f64_e32 v[14:15], v[6:7], v[14:15]
	s_wait_loadcnt_dscnt 0x700
	v_mul_f64_e32 v[152:153], v[138:139], v[18:19]
	v_mul_f64_e32 v[18:19], v[140:141], v[18:19]
	v_add_f64_e32 v[10:11], v[154:155], v[162:163]
	v_add_f64_e32 v[150:151], v[156:157], v[166:167]
	v_fmac_f64_e32 v[158:159], v[6:7], v[12:13]
	v_fma_f64 v[12:13], v[4:5], v[12:13], -v[14:15]
	v_fmac_f64_e32 v[152:153], v[140:141], v[16:17]
	v_fma_f64 v[16:17], v[138:139], v[16:17], -v[18:19]
	v_add_f64_e32 v[14:15], v[10:11], v[8:9]
	v_add_f64_e32 v[150:151], v[150:151], v[160:161]
	ds_load_b128 v[4:7], v2 offset:1360
	ds_load_b128 v[8:11], v2 offset:1376
	s_wait_loadcnt_dscnt 0x601
	v_mul_f64_e32 v[154:155], v[4:5], v[22:23]
	v_mul_f64_e32 v[22:23], v[6:7], v[22:23]
	s_wait_loadcnt_dscnt 0x500
	v_mul_f64_e32 v[18:19], v[8:9], v[26:27]
	v_mul_f64_e32 v[26:27], v[10:11], v[26:27]
	v_add_f64_e32 v[12:13], v[14:15], v[12:13]
	v_add_f64_e32 v[14:15], v[150:151], v[158:159]
	v_fmac_f64_e32 v[154:155], v[6:7], v[20:21]
	v_fma_f64 v[20:21], v[4:5], v[20:21], -v[22:23]
	v_fmac_f64_e32 v[18:19], v[10:11], v[24:25]
	v_fma_f64 v[8:9], v[8:9], v[24:25], -v[26:27]
	v_add_f64_e32 v[16:17], v[12:13], v[16:17]
	v_add_f64_e32 v[22:23], v[14:15], v[152:153]
	ds_load_b128 v[4:7], v2 offset:1392
	ds_load_b128 v[12:15], v2 offset:1408
	s_wait_loadcnt_dscnt 0x401
	v_mul_f64_e32 v[138:139], v[4:5], v[30:31]
	v_mul_f64_e32 v[30:31], v[6:7], v[30:31]
	v_add_f64_e32 v[10:11], v[16:17], v[20:21]
	v_add_f64_e32 v[16:17], v[22:23], v[154:155]
	s_wait_loadcnt_dscnt 0x300
	v_mul_f64_e32 v[20:21], v[12:13], v[128:129]
	v_mul_f64_e32 v[22:23], v[14:15], v[128:129]
	v_fmac_f64_e32 v[138:139], v[6:7], v[28:29]
	v_fma_f64 v[24:25], v[4:5], v[28:29], -v[30:31]
	v_add_f64_e32 v[26:27], v[10:11], v[8:9]
	v_add_f64_e32 v[16:17], v[16:17], v[18:19]
	ds_load_b128 v[4:7], v2 offset:1424
	ds_load_b128 v[8:11], v2 offset:1440
	v_fmac_f64_e32 v[20:21], v[14:15], v[126:127]
	v_fma_f64 v[12:13], v[12:13], v[126:127], -v[22:23]
	s_wait_loadcnt_dscnt 0x201
	v_mul_f64_e32 v[18:19], v[4:5], v[132:133]
	v_mul_f64_e32 v[28:29], v[6:7], v[132:133]
	s_wait_loadcnt_dscnt 0x100
	v_mul_f64_e32 v[22:23], v[8:9], v[136:137]
	v_add_f64_e32 v[14:15], v[26:27], v[24:25]
	v_add_f64_e32 v[16:17], v[16:17], v[138:139]
	v_mul_f64_e32 v[24:25], v[10:11], v[136:137]
	v_fmac_f64_e32 v[18:19], v[6:7], v[130:131]
	v_fma_f64 v[26:27], v[4:5], v[130:131], -v[28:29]
	ds_load_b128 v[4:7], v2 offset:1456
	v_fmac_f64_e32 v[22:23], v[10:11], v[134:135]
	v_add_f64_e32 v[12:13], v[14:15], v[12:13]
	v_add_f64_e32 v[14:15], v[16:17], v[20:21]
	v_fma_f64 v[8:9], v[8:9], v[134:135], -v[24:25]
	s_wait_loadcnt_dscnt 0x0
	v_mul_f64_e32 v[16:17], v[4:5], v[144:145]
	v_mul_f64_e32 v[20:21], v[6:7], v[144:145]
	v_add_f64_e32 v[10:11], v[12:13], v[26:27]
	v_add_f64_e32 v[12:13], v[14:15], v[18:19]
	s_delay_alu instid0(VALU_DEP_4) | instskip(NEXT) | instid1(VALU_DEP_4)
	v_fmac_f64_e32 v[16:17], v[6:7], v[142:143]
	v_fma_f64 v[4:5], v[4:5], v[142:143], -v[20:21]
	s_delay_alu instid0(VALU_DEP_4) | instskip(NEXT) | instid1(VALU_DEP_4)
	v_add_f64_e32 v[6:7], v[10:11], v[8:9]
	v_add_f64_e32 v[8:9], v[12:13], v[22:23]
	s_delay_alu instid0(VALU_DEP_2) | instskip(NEXT) | instid1(VALU_DEP_2)
	v_add_f64_e32 v[4:5], v[6:7], v[4:5]
	v_add_f64_e32 v[6:7], v[8:9], v[16:17]
	s_delay_alu instid0(VALU_DEP_2) | instskip(NEXT) | instid1(VALU_DEP_2)
	v_add_f64_e64 v[4:5], v[146:147], -v[4:5]
	v_add_f64_e64 v[6:7], v[148:149], -v[6:7]
	scratch_store_b128 off, v[4:7], off offset:160
	s_wait_xcnt 0x0
	v_cmpx_lt_u32_e32 9, v1
	s_cbranch_execz .LBB109_271
; %bb.270:
	scratch_load_b128 v[6:9], off, s53
	v_dual_mov_b32 v3, v2 :: v_dual_mov_b32 v4, v2
	v_mov_b32_e32 v5, v2
	scratch_store_b128 off, v[2:5], off offset:144
	s_wait_loadcnt 0x0
	ds_store_b128 v124, v[6:9]
.LBB109_271:
	s_wait_xcnt 0x0
	s_or_b32 exec_lo, exec_lo, s2
	s_wait_storecnt_dscnt 0x0
	s_barrier_signal -1
	s_barrier_wait -1
	s_clause 0x9
	scratch_load_b128 v[4:7], off, off offset:160
	scratch_load_b128 v[8:11], off, off offset:176
	;; [unrolled: 1-line block ×10, first 2 shown]
	ds_load_b128 v[138:141], v2 offset:896
	ds_load_b128 v[146:149], v2 offset:912
	s_clause 0x2
	scratch_load_b128 v[142:145], off, off offset:320
	scratch_load_b128 v[150:153], off, off offset:144
	;; [unrolled: 1-line block ×3, first 2 shown]
	s_mov_b32 s2, exec_lo
	s_wait_loadcnt_dscnt 0xc01
	v_mul_f64_e32 v[158:159], v[140:141], v[6:7]
	v_mul_f64_e32 v[162:163], v[138:139], v[6:7]
	s_wait_loadcnt_dscnt 0xb00
	v_mul_f64_e32 v[164:165], v[146:147], v[10:11]
	v_mul_f64_e32 v[10:11], v[148:149], v[10:11]
	s_delay_alu instid0(VALU_DEP_4) | instskip(NEXT) | instid1(VALU_DEP_4)
	v_fma_f64 v[166:167], v[138:139], v[4:5], -v[158:159]
	v_fmac_f64_e32 v[162:163], v[140:141], v[4:5]
	ds_load_b128 v[4:7], v2 offset:928
	ds_load_b128 v[138:141], v2 offset:944
	scratch_load_b128 v[158:161], off, off offset:352
	v_fmac_f64_e32 v[164:165], v[148:149], v[8:9]
	v_fma_f64 v[146:147], v[146:147], v[8:9], -v[10:11]
	scratch_load_b128 v[8:11], off, off offset:368
	s_wait_loadcnt_dscnt 0xc01
	v_mul_f64_e32 v[168:169], v[4:5], v[14:15]
	v_mul_f64_e32 v[14:15], v[6:7], v[14:15]
	v_add_f64_e32 v[148:149], 0, v[166:167]
	v_add_f64_e32 v[162:163], 0, v[162:163]
	s_wait_loadcnt_dscnt 0xb00
	v_mul_f64_e32 v[166:167], v[138:139], v[18:19]
	v_mul_f64_e32 v[18:19], v[140:141], v[18:19]
	v_fmac_f64_e32 v[168:169], v[6:7], v[12:13]
	v_fma_f64 v[170:171], v[4:5], v[12:13], -v[14:15]
	ds_load_b128 v[4:7], v2 offset:960
	ds_load_b128 v[12:15], v2 offset:976
	v_add_f64_e32 v[172:173], v[148:149], v[146:147]
	v_add_f64_e32 v[162:163], v[162:163], v[164:165]
	scratch_load_b128 v[146:149], off, off offset:384
	v_fmac_f64_e32 v[166:167], v[140:141], v[16:17]
	v_fma_f64 v[138:139], v[138:139], v[16:17], -v[18:19]
	scratch_load_b128 v[16:19], off, off offset:400
	s_wait_loadcnt_dscnt 0xc01
	v_mul_f64_e32 v[164:165], v[4:5], v[22:23]
	v_mul_f64_e32 v[22:23], v[6:7], v[22:23]
	v_add_f64_e32 v[140:141], v[172:173], v[170:171]
	v_add_f64_e32 v[162:163], v[162:163], v[168:169]
	s_wait_loadcnt_dscnt 0xb00
	v_mul_f64_e32 v[168:169], v[12:13], v[26:27]
	v_mul_f64_e32 v[26:27], v[14:15], v[26:27]
	v_fmac_f64_e32 v[164:165], v[6:7], v[20:21]
	v_fma_f64 v[170:171], v[4:5], v[20:21], -v[22:23]
	ds_load_b128 v[4:7], v2 offset:992
	ds_load_b128 v[20:23], v2 offset:1008
	v_add_f64_e32 v[172:173], v[140:141], v[138:139]
	v_add_f64_e32 v[162:163], v[162:163], v[166:167]
	scratch_load_b128 v[138:141], off, off offset:416
	s_wait_loadcnt_dscnt 0xb01
	v_mul_f64_e32 v[166:167], v[4:5], v[30:31]
	v_mul_f64_e32 v[30:31], v[6:7], v[30:31]
	v_fmac_f64_e32 v[168:169], v[14:15], v[24:25]
	v_fma_f64 v[24:25], v[12:13], v[24:25], -v[26:27]
	scratch_load_b128 v[12:15], off, off offset:432
	v_add_f64_e32 v[26:27], v[172:173], v[170:171]
	v_add_f64_e32 v[162:163], v[162:163], v[164:165]
	s_wait_loadcnt_dscnt 0xb00
	v_mul_f64_e32 v[164:165], v[20:21], v[128:129]
	v_mul_f64_e32 v[128:129], v[22:23], v[128:129]
	v_fmac_f64_e32 v[166:167], v[6:7], v[28:29]
	v_fma_f64 v[170:171], v[4:5], v[28:29], -v[30:31]
	v_add_f64_e32 v[172:173], v[26:27], v[24:25]
	v_add_f64_e32 v[162:163], v[162:163], v[168:169]
	ds_load_b128 v[4:7], v2 offset:1024
	ds_load_b128 v[24:27], v2 offset:1040
	scratch_load_b128 v[28:31], off, off offset:448
	v_fmac_f64_e32 v[164:165], v[22:23], v[126:127]
	v_fma_f64 v[126:127], v[20:21], v[126:127], -v[128:129]
	scratch_load_b128 v[20:23], off, off offset:464
	s_wait_loadcnt_dscnt 0xc01
	v_mul_f64_e32 v[168:169], v[4:5], v[132:133]
	v_mul_f64_e32 v[132:133], v[6:7], v[132:133]
	v_add_f64_e32 v[128:129], v[172:173], v[170:171]
	v_add_f64_e32 v[162:163], v[162:163], v[166:167]
	s_wait_loadcnt_dscnt 0xb00
	v_mul_f64_e32 v[166:167], v[24:25], v[136:137]
	v_mul_f64_e32 v[136:137], v[26:27], v[136:137]
	v_fmac_f64_e32 v[168:169], v[6:7], v[130:131]
	v_fma_f64 v[170:171], v[4:5], v[130:131], -v[132:133]
	v_add_f64_e32 v[172:173], v[128:129], v[126:127]
	v_add_f64_e32 v[162:163], v[162:163], v[164:165]
	ds_load_b128 v[4:7], v2 offset:1056
	ds_load_b128 v[126:129], v2 offset:1072
	scratch_load_b128 v[130:133], off, off offset:480
	v_fmac_f64_e32 v[166:167], v[26:27], v[134:135]
	v_fma_f64 v[134:135], v[24:25], v[134:135], -v[136:137]
	scratch_load_b128 v[24:27], off, off offset:496
	s_wait_loadcnt_dscnt 0xc01
	v_mul_f64_e32 v[164:165], v[4:5], v[144:145]
	v_mul_f64_e32 v[144:145], v[6:7], v[144:145]
	;; [unrolled: 18-line block ×5, first 2 shown]
	v_add_f64_e32 v[156:157], v[172:173], v[170:171]
	v_add_f64_e32 v[162:163], v[162:163], v[168:169]
	s_wait_loadcnt_dscnt 0xa00
	v_mul_f64_e32 v[168:169], v[134:135], v[14:15]
	v_mul_f64_e32 v[14:15], v[136:137], v[14:15]
	v_fmac_f64_e32 v[164:165], v[6:7], v[138:139]
	v_fma_f64 v[170:171], v[4:5], v[138:139], -v[140:141]
	ds_load_b128 v[4:7], v2 offset:1184
	ds_load_b128 v[138:141], v2 offset:1200
	v_add_f64_e32 v[172:173], v[156:157], v[154:155]
	v_add_f64_e32 v[162:163], v[162:163], v[166:167]
	scratch_load_b128 v[154:157], off, off offset:608
	v_fmac_f64_e32 v[168:169], v[136:137], v[12:13]
	v_fma_f64 v[134:135], v[134:135], v[12:13], -v[14:15]
	scratch_load_b128 v[12:15], off, off offset:624
	s_wait_loadcnt_dscnt 0xb01
	v_mul_f64_e32 v[166:167], v[4:5], v[30:31]
	v_mul_f64_e32 v[30:31], v[6:7], v[30:31]
	v_add_f64_e32 v[136:137], v[172:173], v[170:171]
	v_add_f64_e32 v[162:163], v[162:163], v[164:165]
	s_wait_loadcnt_dscnt 0xa00
	v_mul_f64_e32 v[164:165], v[138:139], v[22:23]
	v_mul_f64_e32 v[22:23], v[140:141], v[22:23]
	v_fmac_f64_e32 v[166:167], v[6:7], v[28:29]
	v_fma_f64 v[170:171], v[4:5], v[28:29], -v[30:31]
	ds_load_b128 v[4:7], v2 offset:1216
	ds_load_b128 v[28:31], v2 offset:1232
	v_add_f64_e32 v[172:173], v[136:137], v[134:135]
	v_add_f64_e32 v[162:163], v[162:163], v[168:169]
	scratch_load_b128 v[134:137], off, off offset:640
	s_wait_loadcnt_dscnt 0xa01
	v_mul_f64_e32 v[168:169], v[4:5], v[132:133]
	v_mul_f64_e32 v[132:133], v[6:7], v[132:133]
	v_fmac_f64_e32 v[164:165], v[140:141], v[20:21]
	v_fma_f64 v[138:139], v[138:139], v[20:21], -v[22:23]
	scratch_load_b128 v[20:23], off, off offset:656
	v_add_f64_e32 v[140:141], v[172:173], v[170:171]
	v_add_f64_e32 v[162:163], v[162:163], v[166:167]
	s_wait_loadcnt_dscnt 0xa00
	v_mul_f64_e32 v[166:167], v[28:29], v[26:27]
	v_mul_f64_e32 v[26:27], v[30:31], v[26:27]
	v_fmac_f64_e32 v[168:169], v[6:7], v[130:131]
	v_fma_f64 v[170:171], v[4:5], v[130:131], -v[132:133]
	ds_load_b128 v[4:7], v2 offset:1248
	ds_load_b128 v[130:133], v2 offset:1264
	v_add_f64_e32 v[172:173], v[140:141], v[138:139]
	v_add_f64_e32 v[162:163], v[162:163], v[164:165]
	scratch_load_b128 v[138:141], off, off offset:672
	s_wait_loadcnt_dscnt 0xa01
	v_mul_f64_e32 v[164:165], v[4:5], v[144:145]
	v_mul_f64_e32 v[144:145], v[6:7], v[144:145]
	v_fmac_f64_e32 v[166:167], v[30:31], v[24:25]
	v_fma_f64 v[28:29], v[28:29], v[24:25], -v[26:27]
	scratch_load_b128 v[24:27], off, off offset:688
	v_add_f64_e32 v[30:31], v[172:173], v[170:171]
	v_add_f64_e32 v[162:163], v[162:163], v[168:169]
	s_wait_loadcnt_dscnt 0xa00
	v_mul_f64_e32 v[168:169], v[130:131], v[128:129]
	v_mul_f64_e32 v[128:129], v[132:133], v[128:129]
	v_fmac_f64_e32 v[164:165], v[6:7], v[142:143]
	v_fma_f64 v[170:171], v[4:5], v[142:143], -v[144:145]
	v_add_f64_e32 v[172:173], v[30:31], v[28:29]
	v_add_f64_e32 v[162:163], v[162:163], v[166:167]
	ds_load_b128 v[4:7], v2 offset:1280
	ds_load_b128 v[28:31], v2 offset:1296
	scratch_load_b128 v[142:145], off, off offset:704
	v_fmac_f64_e32 v[168:169], v[132:133], v[126:127]
	v_fma_f64 v[130:131], v[130:131], v[126:127], -v[128:129]
	scratch_load_b128 v[126:129], off, off offset:720
	s_wait_loadcnt_dscnt 0xb01
	v_mul_f64_e32 v[166:167], v[4:5], v[160:161]
	v_mul_f64_e32 v[160:161], v[6:7], v[160:161]
	v_add_f64_e32 v[132:133], v[172:173], v[170:171]
	v_add_f64_e32 v[162:163], v[162:163], v[164:165]
	s_wait_loadcnt_dscnt 0xa00
	v_mul_f64_e32 v[164:165], v[28:29], v[10:11]
	v_mul_f64_e32 v[10:11], v[30:31], v[10:11]
	v_fmac_f64_e32 v[166:167], v[6:7], v[158:159]
	v_fma_f64 v[158:159], v[4:5], v[158:159], -v[160:161]
	v_add_f64_e32 v[160:161], v[132:133], v[130:131]
	v_add_f64_e32 v[162:163], v[162:163], v[168:169]
	ds_load_b128 v[4:7], v2 offset:1312
	ds_load_b128 v[130:133], v2 offset:1328
	v_fmac_f64_e32 v[164:165], v[30:31], v[8:9]
	v_fma_f64 v[8:9], v[28:29], v[8:9], -v[10:11]
	s_wait_loadcnt_dscnt 0x901
	v_mul_f64_e32 v[168:169], v[4:5], v[148:149]
	v_mul_f64_e32 v[148:149], v[6:7], v[148:149]
	s_wait_loadcnt_dscnt 0x800
	v_mul_f64_e32 v[30:31], v[130:131], v[18:19]
	v_mul_f64_e32 v[18:19], v[132:133], v[18:19]
	v_add_f64_e32 v[10:11], v[160:161], v[158:159]
	v_add_f64_e32 v[28:29], v[162:163], v[166:167]
	v_fmac_f64_e32 v[168:169], v[6:7], v[146:147]
	v_fma_f64 v[146:147], v[4:5], v[146:147], -v[148:149]
	v_fmac_f64_e32 v[30:31], v[132:133], v[16:17]
	v_fma_f64 v[16:17], v[130:131], v[16:17], -v[18:19]
	v_add_f64_e32 v[148:149], v[10:11], v[8:9]
	v_add_f64_e32 v[28:29], v[28:29], v[164:165]
	ds_load_b128 v[4:7], v2 offset:1344
	ds_load_b128 v[8:11], v2 offset:1360
	s_wait_loadcnt_dscnt 0x701
	v_mul_f64_e32 v[158:159], v[4:5], v[156:157]
	v_mul_f64_e32 v[156:157], v[6:7], v[156:157]
	s_wait_loadcnt_dscnt 0x600
	v_mul_f64_e32 v[130:131], v[8:9], v[14:15]
	v_mul_f64_e32 v[132:133], v[10:11], v[14:15]
	v_add_f64_e32 v[18:19], v[148:149], v[146:147]
	v_add_f64_e32 v[28:29], v[28:29], v[168:169]
	v_fmac_f64_e32 v[158:159], v[6:7], v[154:155]
	v_fma_f64 v[146:147], v[4:5], v[154:155], -v[156:157]
	v_fmac_f64_e32 v[130:131], v[10:11], v[12:13]
	v_fma_f64 v[8:9], v[8:9], v[12:13], -v[132:133]
	v_add_f64_e32 v[18:19], v[18:19], v[16:17]
	v_add_f64_e32 v[28:29], v[28:29], v[30:31]
	ds_load_b128 v[4:7], v2 offset:1376
	ds_load_b128 v[14:17], v2 offset:1392
	s_wait_loadcnt_dscnt 0x501
	v_mul_f64_e32 v[30:31], v[4:5], v[136:137]
	v_mul_f64_e32 v[136:137], v[6:7], v[136:137]
	v_add_f64_e32 v[10:11], v[18:19], v[146:147]
	v_add_f64_e32 v[12:13], v[28:29], v[158:159]
	s_wait_loadcnt_dscnt 0x400
	v_mul_f64_e32 v[18:19], v[14:15], v[22:23]
	v_mul_f64_e32 v[22:23], v[16:17], v[22:23]
	v_fmac_f64_e32 v[30:31], v[6:7], v[134:135]
	v_fma_f64 v[28:29], v[4:5], v[134:135], -v[136:137]
	v_add_f64_e32 v[132:133], v[10:11], v[8:9]
	v_add_f64_e32 v[12:13], v[12:13], v[130:131]
	ds_load_b128 v[4:7], v2 offset:1408
	ds_load_b128 v[8:11], v2 offset:1424
	v_fmac_f64_e32 v[18:19], v[16:17], v[20:21]
	v_fma_f64 v[14:15], v[14:15], v[20:21], -v[22:23]
	s_wait_loadcnt_dscnt 0x301
	v_mul_f64_e32 v[130:131], v[4:5], v[140:141]
	v_mul_f64_e32 v[134:135], v[6:7], v[140:141]
	s_wait_loadcnt_dscnt 0x200
	v_mul_f64_e32 v[20:21], v[8:9], v[26:27]
	v_mul_f64_e32 v[22:23], v[10:11], v[26:27]
	v_add_f64_e32 v[16:17], v[132:133], v[28:29]
	v_add_f64_e32 v[12:13], v[12:13], v[30:31]
	v_fmac_f64_e32 v[130:131], v[6:7], v[138:139]
	v_fma_f64 v[26:27], v[4:5], v[138:139], -v[134:135]
	v_fmac_f64_e32 v[20:21], v[10:11], v[24:25]
	v_fma_f64 v[8:9], v[8:9], v[24:25], -v[22:23]
	v_add_f64_e32 v[16:17], v[16:17], v[14:15]
	v_add_f64_e32 v[18:19], v[12:13], v[18:19]
	ds_load_b128 v[4:7], v2 offset:1440
	ds_load_b128 v[12:15], v2 offset:1456
	s_wait_loadcnt_dscnt 0x101
	v_mul_f64_e32 v[2:3], v[4:5], v[144:145]
	v_mul_f64_e32 v[28:29], v[6:7], v[144:145]
	s_wait_loadcnt_dscnt 0x0
	v_mul_f64_e32 v[22:23], v[14:15], v[128:129]
	v_add_f64_e32 v[10:11], v[16:17], v[26:27]
	v_add_f64_e32 v[16:17], v[18:19], v[130:131]
	v_mul_f64_e32 v[18:19], v[12:13], v[128:129]
	v_fmac_f64_e32 v[2:3], v[6:7], v[142:143]
	v_fma_f64 v[4:5], v[4:5], v[142:143], -v[28:29]
	v_add_f64_e32 v[6:7], v[10:11], v[8:9]
	v_add_f64_e32 v[8:9], v[16:17], v[20:21]
	v_fmac_f64_e32 v[18:19], v[14:15], v[126:127]
	v_fma_f64 v[10:11], v[12:13], v[126:127], -v[22:23]
	s_delay_alu instid0(VALU_DEP_4) | instskip(NEXT) | instid1(VALU_DEP_4)
	v_add_f64_e32 v[4:5], v[6:7], v[4:5]
	v_add_f64_e32 v[2:3], v[8:9], v[2:3]
	s_delay_alu instid0(VALU_DEP_2) | instskip(NEXT) | instid1(VALU_DEP_2)
	v_add_f64_e32 v[4:5], v[4:5], v[10:11]
	v_add_f64_e32 v[6:7], v[2:3], v[18:19]
	s_delay_alu instid0(VALU_DEP_2) | instskip(NEXT) | instid1(VALU_DEP_2)
	v_add_f64_e64 v[2:3], v[150:151], -v[4:5]
	v_add_f64_e64 v[4:5], v[152:153], -v[6:7]
	scratch_store_b128 off, v[2:5], off offset:144
	s_wait_xcnt 0x0
	v_cmpx_lt_u32_e32 8, v1
	s_cbranch_execz .LBB109_273
; %bb.272:
	scratch_load_b128 v[2:5], off, s54
	v_mov_b32_e32 v6, 0
	s_delay_alu instid0(VALU_DEP_1)
	v_dual_mov_b32 v7, v6 :: v_dual_mov_b32 v8, v6
	v_mov_b32_e32 v9, v6
	scratch_store_b128 off, v[6:9], off offset:128
	s_wait_loadcnt 0x0
	ds_store_b128 v124, v[2:5]
.LBB109_273:
	s_wait_xcnt 0x0
	s_or_b32 exec_lo, exec_lo, s2
	s_wait_storecnt_dscnt 0x0
	s_barrier_signal -1
	s_barrier_wait -1
	s_clause 0x9
	scratch_load_b128 v[4:7], off, off offset:144
	scratch_load_b128 v[8:11], off, off offset:160
	;; [unrolled: 1-line block ×10, first 2 shown]
	v_mov_b32_e32 v2, 0
	s_mov_b32 s2, exec_lo
	ds_load_b128 v[138:141], v2 offset:880
	s_clause 0x2
	scratch_load_b128 v[142:145], off, off offset:304
	scratch_load_b128 v[146:149], off, off offset:128
	;; [unrolled: 1-line block ×3, first 2 shown]
	s_wait_loadcnt_dscnt 0xc00
	v_mul_f64_e32 v[158:159], v[140:141], v[6:7]
	v_mul_f64_e32 v[162:163], v[138:139], v[6:7]
	ds_load_b128 v[150:153], v2 offset:896
	v_fma_f64 v[166:167], v[138:139], v[4:5], -v[158:159]
	v_fmac_f64_e32 v[162:163], v[140:141], v[4:5]
	ds_load_b128 v[4:7], v2 offset:912
	s_wait_loadcnt_dscnt 0xb01
	v_mul_f64_e32 v[164:165], v[150:151], v[10:11]
	v_mul_f64_e32 v[10:11], v[152:153], v[10:11]
	scratch_load_b128 v[138:141], off, off offset:336
	ds_load_b128 v[158:161], v2 offset:928
	s_wait_loadcnt_dscnt 0xb01
	v_mul_f64_e32 v[168:169], v[4:5], v[14:15]
	v_mul_f64_e32 v[14:15], v[6:7], v[14:15]
	v_add_f64_e32 v[162:163], 0, v[162:163]
	v_fmac_f64_e32 v[164:165], v[152:153], v[8:9]
	v_fma_f64 v[150:151], v[150:151], v[8:9], -v[10:11]
	v_add_f64_e32 v[152:153], 0, v[166:167]
	scratch_load_b128 v[8:11], off, off offset:352
	v_fmac_f64_e32 v[168:169], v[6:7], v[12:13]
	v_fma_f64 v[170:171], v[4:5], v[12:13], -v[14:15]
	ds_load_b128 v[4:7], v2 offset:944
	s_wait_loadcnt_dscnt 0xb01
	v_mul_f64_e32 v[166:167], v[158:159], v[18:19]
	v_mul_f64_e32 v[18:19], v[160:161], v[18:19]
	scratch_load_b128 v[12:15], off, off offset:368
	v_add_f64_e32 v[162:163], v[162:163], v[164:165]
	v_add_f64_e32 v[172:173], v[152:153], v[150:151]
	ds_load_b128 v[150:153], v2 offset:960
	s_wait_loadcnt_dscnt 0xb01
	v_mul_f64_e32 v[164:165], v[4:5], v[22:23]
	v_mul_f64_e32 v[22:23], v[6:7], v[22:23]
	v_fmac_f64_e32 v[166:167], v[160:161], v[16:17]
	v_fma_f64 v[158:159], v[158:159], v[16:17], -v[18:19]
	scratch_load_b128 v[16:19], off, off offset:384
	v_add_f64_e32 v[162:163], v[162:163], v[168:169]
	v_add_f64_e32 v[160:161], v[172:173], v[170:171]
	v_fmac_f64_e32 v[164:165], v[6:7], v[20:21]
	v_fma_f64 v[170:171], v[4:5], v[20:21], -v[22:23]
	ds_load_b128 v[4:7], v2 offset:976
	s_wait_loadcnt_dscnt 0xb01
	v_mul_f64_e32 v[168:169], v[150:151], v[26:27]
	v_mul_f64_e32 v[26:27], v[152:153], v[26:27]
	scratch_load_b128 v[20:23], off, off offset:400
	v_add_f64_e32 v[162:163], v[162:163], v[166:167]
	s_wait_loadcnt_dscnt 0xb00
	v_mul_f64_e32 v[166:167], v[4:5], v[30:31]
	v_add_f64_e32 v[172:173], v[160:161], v[158:159]
	v_mul_f64_e32 v[30:31], v[6:7], v[30:31]
	ds_load_b128 v[158:161], v2 offset:992
	v_fmac_f64_e32 v[168:169], v[152:153], v[24:25]
	v_fma_f64 v[150:151], v[150:151], v[24:25], -v[26:27]
	scratch_load_b128 v[24:27], off, off offset:416
	v_add_f64_e32 v[162:163], v[162:163], v[164:165]
	v_fmac_f64_e32 v[166:167], v[6:7], v[28:29]
	v_add_f64_e32 v[152:153], v[172:173], v[170:171]
	v_fma_f64 v[170:171], v[4:5], v[28:29], -v[30:31]
	ds_load_b128 v[4:7], v2 offset:1008
	s_wait_loadcnt_dscnt 0xb01
	v_mul_f64_e32 v[164:165], v[158:159], v[128:129]
	v_mul_f64_e32 v[128:129], v[160:161], v[128:129]
	scratch_load_b128 v[28:31], off, off offset:432
	v_add_f64_e32 v[162:163], v[162:163], v[168:169]
	s_wait_loadcnt_dscnt 0xb00
	v_mul_f64_e32 v[168:169], v[4:5], v[132:133]
	v_add_f64_e32 v[172:173], v[152:153], v[150:151]
	v_mul_f64_e32 v[132:133], v[6:7], v[132:133]
	ds_load_b128 v[150:153], v2 offset:1024
	v_fmac_f64_e32 v[164:165], v[160:161], v[126:127]
	v_fma_f64 v[158:159], v[158:159], v[126:127], -v[128:129]
	scratch_load_b128 v[126:129], off, off offset:448
	v_add_f64_e32 v[162:163], v[162:163], v[166:167]
	v_fmac_f64_e32 v[168:169], v[6:7], v[130:131]
	v_add_f64_e32 v[160:161], v[172:173], v[170:171]
	v_fma_f64 v[170:171], v[4:5], v[130:131], -v[132:133]
	ds_load_b128 v[4:7], v2 offset:1040
	s_wait_loadcnt_dscnt 0xb01
	v_mul_f64_e32 v[166:167], v[150:151], v[136:137]
	v_mul_f64_e32 v[136:137], v[152:153], v[136:137]
	scratch_load_b128 v[130:133], off, off offset:464
	v_add_f64_e32 v[162:163], v[162:163], v[164:165]
	s_wait_loadcnt_dscnt 0xb00
	v_mul_f64_e32 v[164:165], v[4:5], v[144:145]
	v_add_f64_e32 v[172:173], v[160:161], v[158:159]
	v_mul_f64_e32 v[144:145], v[6:7], v[144:145]
	ds_load_b128 v[158:161], v2 offset:1056
	v_fmac_f64_e32 v[166:167], v[152:153], v[134:135]
	v_fma_f64 v[150:151], v[150:151], v[134:135], -v[136:137]
	scratch_load_b128 v[134:137], off, off offset:480
	v_add_f64_e32 v[162:163], v[162:163], v[168:169]
	v_fmac_f64_e32 v[164:165], v[6:7], v[142:143]
	v_add_f64_e32 v[152:153], v[172:173], v[170:171]
	v_fma_f64 v[170:171], v[4:5], v[142:143], -v[144:145]
	ds_load_b128 v[4:7], v2 offset:1072
	s_wait_loadcnt_dscnt 0xa01
	v_mul_f64_e32 v[168:169], v[158:159], v[156:157]
	v_mul_f64_e32 v[156:157], v[160:161], v[156:157]
	scratch_load_b128 v[142:145], off, off offset:496
	v_add_f64_e32 v[162:163], v[162:163], v[166:167]
	v_add_f64_e32 v[172:173], v[152:153], v[150:151]
	s_wait_loadcnt_dscnt 0xa00
	v_mul_f64_e32 v[166:167], v[4:5], v[140:141]
	v_mul_f64_e32 v[140:141], v[6:7], v[140:141]
	v_fmac_f64_e32 v[168:169], v[160:161], v[154:155]
	v_fma_f64 v[158:159], v[158:159], v[154:155], -v[156:157]
	ds_load_b128 v[150:153], v2 offset:1088
	scratch_load_b128 v[154:157], off, off offset:512
	v_add_f64_e32 v[162:163], v[162:163], v[164:165]
	v_add_f64_e32 v[160:161], v[172:173], v[170:171]
	v_fmac_f64_e32 v[166:167], v[6:7], v[138:139]
	v_fma_f64 v[170:171], v[4:5], v[138:139], -v[140:141]
	ds_load_b128 v[4:7], v2 offset:1104
	s_wait_loadcnt_dscnt 0xa01
	v_mul_f64_e32 v[164:165], v[150:151], v[10:11]
	v_mul_f64_e32 v[10:11], v[152:153], v[10:11]
	scratch_load_b128 v[138:141], off, off offset:528
	v_add_f64_e32 v[162:163], v[162:163], v[168:169]
	s_wait_loadcnt_dscnt 0xa00
	v_mul_f64_e32 v[168:169], v[4:5], v[14:15]
	v_add_f64_e32 v[172:173], v[160:161], v[158:159]
	v_mul_f64_e32 v[14:15], v[6:7], v[14:15]
	ds_load_b128 v[158:161], v2 offset:1120
	v_fmac_f64_e32 v[164:165], v[152:153], v[8:9]
	v_fma_f64 v[150:151], v[150:151], v[8:9], -v[10:11]
	scratch_load_b128 v[8:11], off, off offset:544
	v_add_f64_e32 v[162:163], v[162:163], v[166:167]
	v_fmac_f64_e32 v[168:169], v[6:7], v[12:13]
	v_add_f64_e32 v[152:153], v[172:173], v[170:171]
	v_fma_f64 v[170:171], v[4:5], v[12:13], -v[14:15]
	ds_load_b128 v[4:7], v2 offset:1136
	s_wait_loadcnt_dscnt 0xa01
	v_mul_f64_e32 v[166:167], v[158:159], v[18:19]
	v_mul_f64_e32 v[18:19], v[160:161], v[18:19]
	scratch_load_b128 v[12:15], off, off offset:560
	v_add_f64_e32 v[162:163], v[162:163], v[164:165]
	s_wait_loadcnt_dscnt 0xa00
	v_mul_f64_e32 v[164:165], v[4:5], v[22:23]
	v_add_f64_e32 v[172:173], v[152:153], v[150:151]
	v_mul_f64_e32 v[22:23], v[6:7], v[22:23]
	ds_load_b128 v[150:153], v2 offset:1152
	v_fmac_f64_e32 v[166:167], v[160:161], v[16:17]
	v_fma_f64 v[158:159], v[158:159], v[16:17], -v[18:19]
	scratch_load_b128 v[16:19], off, off offset:576
	v_add_f64_e32 v[162:163], v[162:163], v[168:169]
	v_fmac_f64_e32 v[164:165], v[6:7], v[20:21]
	v_add_f64_e32 v[160:161], v[172:173], v[170:171]
	;; [unrolled: 18-line block ×6, first 2 shown]
	v_fma_f64 v[170:171], v[4:5], v[138:139], -v[140:141]
	ds_load_b128 v[4:7], v2 offset:1296
	s_wait_loadcnt_dscnt 0xa01
	v_mul_f64_e32 v[164:165], v[150:151], v[10:11]
	v_mul_f64_e32 v[10:11], v[152:153], v[10:11]
	scratch_load_b128 v[138:141], off, off offset:720
	v_add_f64_e32 v[162:163], v[162:163], v[168:169]
	s_wait_loadcnt_dscnt 0xa00
	v_mul_f64_e32 v[168:169], v[4:5], v[14:15]
	v_add_f64_e32 v[172:173], v[160:161], v[158:159]
	v_mul_f64_e32 v[14:15], v[6:7], v[14:15]
	ds_load_b128 v[158:161], v2 offset:1312
	v_fmac_f64_e32 v[164:165], v[152:153], v[8:9]
	v_fma_f64 v[8:9], v[150:151], v[8:9], -v[10:11]
	s_wait_loadcnt_dscnt 0x900
	v_mul_f64_e32 v[152:153], v[158:159], v[18:19]
	v_mul_f64_e32 v[18:19], v[160:161], v[18:19]
	v_add_f64_e32 v[150:151], v[162:163], v[166:167]
	v_fmac_f64_e32 v[168:169], v[6:7], v[12:13]
	v_add_f64_e32 v[10:11], v[172:173], v[170:171]
	v_fma_f64 v[12:13], v[4:5], v[12:13], -v[14:15]
	v_fmac_f64_e32 v[152:153], v[160:161], v[16:17]
	v_fma_f64 v[16:17], v[158:159], v[16:17], -v[18:19]
	v_add_f64_e32 v[150:151], v[150:151], v[164:165]
	v_add_f64_e32 v[14:15], v[10:11], v[8:9]
	ds_load_b128 v[4:7], v2 offset:1328
	ds_load_b128 v[8:11], v2 offset:1344
	s_wait_loadcnt_dscnt 0x801
	v_mul_f64_e32 v[162:163], v[4:5], v[22:23]
	v_mul_f64_e32 v[22:23], v[6:7], v[22:23]
	s_wait_loadcnt_dscnt 0x700
	v_mul_f64_e32 v[18:19], v[8:9], v[26:27]
	v_mul_f64_e32 v[26:27], v[10:11], v[26:27]
	v_add_f64_e32 v[12:13], v[14:15], v[12:13]
	v_add_f64_e32 v[14:15], v[150:151], v[168:169]
	v_fmac_f64_e32 v[162:163], v[6:7], v[20:21]
	v_fma_f64 v[20:21], v[4:5], v[20:21], -v[22:23]
	v_fmac_f64_e32 v[18:19], v[10:11], v[24:25]
	v_fma_f64 v[8:9], v[8:9], v[24:25], -v[26:27]
	v_add_f64_e32 v[16:17], v[12:13], v[16:17]
	v_add_f64_e32 v[22:23], v[14:15], v[152:153]
	ds_load_b128 v[4:7], v2 offset:1360
	ds_load_b128 v[12:15], v2 offset:1376
	s_wait_loadcnt_dscnt 0x601
	v_mul_f64_e32 v[150:151], v[4:5], v[30:31]
	v_mul_f64_e32 v[30:31], v[6:7], v[30:31]
	v_add_f64_e32 v[10:11], v[16:17], v[20:21]
	v_add_f64_e32 v[16:17], v[22:23], v[162:163]
	s_wait_loadcnt_dscnt 0x500
	v_mul_f64_e32 v[20:21], v[12:13], v[128:129]
	v_mul_f64_e32 v[22:23], v[14:15], v[128:129]
	v_fmac_f64_e32 v[150:151], v[6:7], v[28:29]
	v_fma_f64 v[24:25], v[4:5], v[28:29], -v[30:31]
	v_add_f64_e32 v[26:27], v[10:11], v[8:9]
	v_add_f64_e32 v[16:17], v[16:17], v[18:19]
	ds_load_b128 v[4:7], v2 offset:1392
	ds_load_b128 v[8:11], v2 offset:1408
	v_fmac_f64_e32 v[20:21], v[14:15], v[126:127]
	v_fma_f64 v[12:13], v[12:13], v[126:127], -v[22:23]
	s_wait_loadcnt_dscnt 0x401
	v_mul_f64_e32 v[18:19], v[4:5], v[132:133]
	v_mul_f64_e32 v[28:29], v[6:7], v[132:133]
	s_wait_loadcnt_dscnt 0x300
	v_mul_f64_e32 v[22:23], v[8:9], v[136:137]
	v_add_f64_e32 v[14:15], v[26:27], v[24:25]
	v_add_f64_e32 v[16:17], v[16:17], v[150:151]
	v_mul_f64_e32 v[24:25], v[10:11], v[136:137]
	v_fmac_f64_e32 v[18:19], v[6:7], v[130:131]
	v_fma_f64 v[26:27], v[4:5], v[130:131], -v[28:29]
	v_fmac_f64_e32 v[22:23], v[10:11], v[134:135]
	v_add_f64_e32 v[28:29], v[14:15], v[12:13]
	v_add_f64_e32 v[16:17], v[16:17], v[20:21]
	ds_load_b128 v[4:7], v2 offset:1424
	ds_load_b128 v[12:15], v2 offset:1440
	v_fma_f64 v[8:9], v[8:9], v[134:135], -v[24:25]
	s_wait_loadcnt_dscnt 0x201
	v_mul_f64_e32 v[20:21], v[4:5], v[144:145]
	v_mul_f64_e32 v[30:31], v[6:7], v[144:145]
	s_wait_loadcnt_dscnt 0x100
	v_mul_f64_e32 v[24:25], v[14:15], v[156:157]
	v_add_f64_e32 v[10:11], v[28:29], v[26:27]
	v_add_f64_e32 v[16:17], v[16:17], v[18:19]
	v_mul_f64_e32 v[18:19], v[12:13], v[156:157]
	v_fmac_f64_e32 v[20:21], v[6:7], v[142:143]
	v_fma_f64 v[26:27], v[4:5], v[142:143], -v[30:31]
	ds_load_b128 v[4:7], v2 offset:1456
	v_fma_f64 v[12:13], v[12:13], v[154:155], -v[24:25]
	v_add_f64_e32 v[8:9], v[10:11], v[8:9]
	v_add_f64_e32 v[10:11], v[16:17], v[22:23]
	v_fmac_f64_e32 v[18:19], v[14:15], v[154:155]
	s_wait_loadcnt_dscnt 0x0
	v_mul_f64_e32 v[16:17], v[4:5], v[140:141]
	v_mul_f64_e32 v[22:23], v[6:7], v[140:141]
	v_add_f64_e32 v[8:9], v[8:9], v[26:27]
	v_add_f64_e32 v[10:11], v[10:11], v[20:21]
	s_delay_alu instid0(VALU_DEP_4) | instskip(NEXT) | instid1(VALU_DEP_4)
	v_fmac_f64_e32 v[16:17], v[6:7], v[138:139]
	v_fma_f64 v[4:5], v[4:5], v[138:139], -v[22:23]
	s_delay_alu instid0(VALU_DEP_4) | instskip(NEXT) | instid1(VALU_DEP_4)
	v_add_f64_e32 v[6:7], v[8:9], v[12:13]
	v_add_f64_e32 v[8:9], v[10:11], v[18:19]
	s_delay_alu instid0(VALU_DEP_2) | instskip(NEXT) | instid1(VALU_DEP_2)
	v_add_f64_e32 v[4:5], v[6:7], v[4:5]
	v_add_f64_e32 v[6:7], v[8:9], v[16:17]
	s_delay_alu instid0(VALU_DEP_2) | instskip(NEXT) | instid1(VALU_DEP_2)
	v_add_f64_e64 v[4:5], v[146:147], -v[4:5]
	v_add_f64_e64 v[6:7], v[148:149], -v[6:7]
	scratch_store_b128 off, v[4:7], off offset:128
	s_wait_xcnt 0x0
	v_cmpx_lt_u32_e32 7, v1
	s_cbranch_execz .LBB109_275
; %bb.274:
	scratch_load_b128 v[6:9], off, s55
	v_dual_mov_b32 v3, v2 :: v_dual_mov_b32 v4, v2
	v_mov_b32_e32 v5, v2
	scratch_store_b128 off, v[2:5], off offset:112
	s_wait_loadcnt 0x0
	ds_store_b128 v124, v[6:9]
.LBB109_275:
	s_wait_xcnt 0x0
	s_or_b32 exec_lo, exec_lo, s2
	s_wait_storecnt_dscnt 0x0
	s_barrier_signal -1
	s_barrier_wait -1
	s_clause 0x9
	scratch_load_b128 v[4:7], off, off offset:128
	scratch_load_b128 v[8:11], off, off offset:144
	;; [unrolled: 1-line block ×10, first 2 shown]
	ds_load_b128 v[138:141], v2 offset:864
	ds_load_b128 v[146:149], v2 offset:880
	s_clause 0x2
	scratch_load_b128 v[142:145], off, off offset:288
	scratch_load_b128 v[150:153], off, off offset:112
	;; [unrolled: 1-line block ×3, first 2 shown]
	s_mov_b32 s2, exec_lo
	s_wait_loadcnt_dscnt 0xc01
	v_mul_f64_e32 v[158:159], v[140:141], v[6:7]
	v_mul_f64_e32 v[162:163], v[138:139], v[6:7]
	s_wait_loadcnt_dscnt 0xb00
	v_mul_f64_e32 v[164:165], v[146:147], v[10:11]
	v_mul_f64_e32 v[10:11], v[148:149], v[10:11]
	s_delay_alu instid0(VALU_DEP_4) | instskip(NEXT) | instid1(VALU_DEP_4)
	v_fma_f64 v[166:167], v[138:139], v[4:5], -v[158:159]
	v_fmac_f64_e32 v[162:163], v[140:141], v[4:5]
	ds_load_b128 v[4:7], v2 offset:896
	ds_load_b128 v[138:141], v2 offset:912
	scratch_load_b128 v[158:161], off, off offset:320
	v_fmac_f64_e32 v[164:165], v[148:149], v[8:9]
	v_fma_f64 v[146:147], v[146:147], v[8:9], -v[10:11]
	scratch_load_b128 v[8:11], off, off offset:336
	s_wait_loadcnt_dscnt 0xc01
	v_mul_f64_e32 v[168:169], v[4:5], v[14:15]
	v_mul_f64_e32 v[14:15], v[6:7], v[14:15]
	v_add_f64_e32 v[148:149], 0, v[166:167]
	v_add_f64_e32 v[162:163], 0, v[162:163]
	s_wait_loadcnt_dscnt 0xb00
	v_mul_f64_e32 v[166:167], v[138:139], v[18:19]
	v_mul_f64_e32 v[18:19], v[140:141], v[18:19]
	v_fmac_f64_e32 v[168:169], v[6:7], v[12:13]
	v_fma_f64 v[170:171], v[4:5], v[12:13], -v[14:15]
	ds_load_b128 v[4:7], v2 offset:928
	ds_load_b128 v[12:15], v2 offset:944
	v_add_f64_e32 v[172:173], v[148:149], v[146:147]
	v_add_f64_e32 v[162:163], v[162:163], v[164:165]
	scratch_load_b128 v[146:149], off, off offset:352
	v_fmac_f64_e32 v[166:167], v[140:141], v[16:17]
	v_fma_f64 v[138:139], v[138:139], v[16:17], -v[18:19]
	scratch_load_b128 v[16:19], off, off offset:368
	s_wait_loadcnt_dscnt 0xc01
	v_mul_f64_e32 v[164:165], v[4:5], v[22:23]
	v_mul_f64_e32 v[22:23], v[6:7], v[22:23]
	v_add_f64_e32 v[140:141], v[172:173], v[170:171]
	v_add_f64_e32 v[162:163], v[162:163], v[168:169]
	s_wait_loadcnt_dscnt 0xb00
	v_mul_f64_e32 v[168:169], v[12:13], v[26:27]
	v_mul_f64_e32 v[26:27], v[14:15], v[26:27]
	v_fmac_f64_e32 v[164:165], v[6:7], v[20:21]
	v_fma_f64 v[170:171], v[4:5], v[20:21], -v[22:23]
	ds_load_b128 v[4:7], v2 offset:960
	ds_load_b128 v[20:23], v2 offset:976
	v_add_f64_e32 v[172:173], v[140:141], v[138:139]
	v_add_f64_e32 v[162:163], v[162:163], v[166:167]
	scratch_load_b128 v[138:141], off, off offset:384
	s_wait_loadcnt_dscnt 0xb01
	v_mul_f64_e32 v[166:167], v[4:5], v[30:31]
	v_mul_f64_e32 v[30:31], v[6:7], v[30:31]
	v_fmac_f64_e32 v[168:169], v[14:15], v[24:25]
	v_fma_f64 v[24:25], v[12:13], v[24:25], -v[26:27]
	scratch_load_b128 v[12:15], off, off offset:400
	v_add_f64_e32 v[26:27], v[172:173], v[170:171]
	v_add_f64_e32 v[162:163], v[162:163], v[164:165]
	s_wait_loadcnt_dscnt 0xb00
	v_mul_f64_e32 v[164:165], v[20:21], v[128:129]
	v_mul_f64_e32 v[128:129], v[22:23], v[128:129]
	v_fmac_f64_e32 v[166:167], v[6:7], v[28:29]
	v_fma_f64 v[170:171], v[4:5], v[28:29], -v[30:31]
	v_add_f64_e32 v[172:173], v[26:27], v[24:25]
	v_add_f64_e32 v[162:163], v[162:163], v[168:169]
	ds_load_b128 v[4:7], v2 offset:992
	ds_load_b128 v[24:27], v2 offset:1008
	scratch_load_b128 v[28:31], off, off offset:416
	v_fmac_f64_e32 v[164:165], v[22:23], v[126:127]
	v_fma_f64 v[126:127], v[20:21], v[126:127], -v[128:129]
	scratch_load_b128 v[20:23], off, off offset:432
	s_wait_loadcnt_dscnt 0xc01
	v_mul_f64_e32 v[168:169], v[4:5], v[132:133]
	v_mul_f64_e32 v[132:133], v[6:7], v[132:133]
	v_add_f64_e32 v[128:129], v[172:173], v[170:171]
	v_add_f64_e32 v[162:163], v[162:163], v[166:167]
	s_wait_loadcnt_dscnt 0xb00
	v_mul_f64_e32 v[166:167], v[24:25], v[136:137]
	v_mul_f64_e32 v[136:137], v[26:27], v[136:137]
	v_fmac_f64_e32 v[168:169], v[6:7], v[130:131]
	v_fma_f64 v[170:171], v[4:5], v[130:131], -v[132:133]
	v_add_f64_e32 v[172:173], v[128:129], v[126:127]
	v_add_f64_e32 v[162:163], v[162:163], v[164:165]
	ds_load_b128 v[4:7], v2 offset:1024
	ds_load_b128 v[126:129], v2 offset:1040
	scratch_load_b128 v[130:133], off, off offset:448
	v_fmac_f64_e32 v[166:167], v[26:27], v[134:135]
	v_fma_f64 v[134:135], v[24:25], v[134:135], -v[136:137]
	scratch_load_b128 v[24:27], off, off offset:464
	s_wait_loadcnt_dscnt 0xc01
	v_mul_f64_e32 v[164:165], v[4:5], v[144:145]
	v_mul_f64_e32 v[144:145], v[6:7], v[144:145]
	;; [unrolled: 18-line block ×5, first 2 shown]
	v_add_f64_e32 v[156:157], v[172:173], v[170:171]
	v_add_f64_e32 v[162:163], v[162:163], v[168:169]
	s_wait_loadcnt_dscnt 0xa00
	v_mul_f64_e32 v[168:169], v[134:135], v[14:15]
	v_mul_f64_e32 v[14:15], v[136:137], v[14:15]
	v_fmac_f64_e32 v[164:165], v[6:7], v[138:139]
	v_fma_f64 v[170:171], v[4:5], v[138:139], -v[140:141]
	ds_load_b128 v[4:7], v2 offset:1152
	ds_load_b128 v[138:141], v2 offset:1168
	v_add_f64_e32 v[172:173], v[156:157], v[154:155]
	v_add_f64_e32 v[162:163], v[162:163], v[166:167]
	scratch_load_b128 v[154:157], off, off offset:576
	v_fmac_f64_e32 v[168:169], v[136:137], v[12:13]
	v_fma_f64 v[134:135], v[134:135], v[12:13], -v[14:15]
	scratch_load_b128 v[12:15], off, off offset:592
	s_wait_loadcnt_dscnt 0xb01
	v_mul_f64_e32 v[166:167], v[4:5], v[30:31]
	v_mul_f64_e32 v[30:31], v[6:7], v[30:31]
	v_add_f64_e32 v[136:137], v[172:173], v[170:171]
	v_add_f64_e32 v[162:163], v[162:163], v[164:165]
	s_wait_loadcnt_dscnt 0xa00
	v_mul_f64_e32 v[164:165], v[138:139], v[22:23]
	v_mul_f64_e32 v[22:23], v[140:141], v[22:23]
	v_fmac_f64_e32 v[166:167], v[6:7], v[28:29]
	v_fma_f64 v[170:171], v[4:5], v[28:29], -v[30:31]
	ds_load_b128 v[4:7], v2 offset:1184
	ds_load_b128 v[28:31], v2 offset:1200
	v_add_f64_e32 v[172:173], v[136:137], v[134:135]
	v_add_f64_e32 v[162:163], v[162:163], v[168:169]
	scratch_load_b128 v[134:137], off, off offset:608
	s_wait_loadcnt_dscnt 0xa01
	v_mul_f64_e32 v[168:169], v[4:5], v[132:133]
	v_mul_f64_e32 v[132:133], v[6:7], v[132:133]
	v_fmac_f64_e32 v[164:165], v[140:141], v[20:21]
	v_fma_f64 v[138:139], v[138:139], v[20:21], -v[22:23]
	scratch_load_b128 v[20:23], off, off offset:624
	v_add_f64_e32 v[140:141], v[172:173], v[170:171]
	v_add_f64_e32 v[162:163], v[162:163], v[166:167]
	s_wait_loadcnt_dscnt 0xa00
	v_mul_f64_e32 v[166:167], v[28:29], v[26:27]
	v_mul_f64_e32 v[26:27], v[30:31], v[26:27]
	v_fmac_f64_e32 v[168:169], v[6:7], v[130:131]
	v_fma_f64 v[170:171], v[4:5], v[130:131], -v[132:133]
	ds_load_b128 v[4:7], v2 offset:1216
	ds_load_b128 v[130:133], v2 offset:1232
	v_add_f64_e32 v[172:173], v[140:141], v[138:139]
	v_add_f64_e32 v[162:163], v[162:163], v[164:165]
	scratch_load_b128 v[138:141], off, off offset:640
	s_wait_loadcnt_dscnt 0xa01
	v_mul_f64_e32 v[164:165], v[4:5], v[144:145]
	v_mul_f64_e32 v[144:145], v[6:7], v[144:145]
	v_fmac_f64_e32 v[166:167], v[30:31], v[24:25]
	v_fma_f64 v[28:29], v[28:29], v[24:25], -v[26:27]
	scratch_load_b128 v[24:27], off, off offset:656
	v_add_f64_e32 v[30:31], v[172:173], v[170:171]
	v_add_f64_e32 v[162:163], v[162:163], v[168:169]
	s_wait_loadcnt_dscnt 0xa00
	v_mul_f64_e32 v[168:169], v[130:131], v[128:129]
	v_mul_f64_e32 v[128:129], v[132:133], v[128:129]
	v_fmac_f64_e32 v[164:165], v[6:7], v[142:143]
	v_fma_f64 v[170:171], v[4:5], v[142:143], -v[144:145]
	v_add_f64_e32 v[172:173], v[30:31], v[28:29]
	v_add_f64_e32 v[162:163], v[162:163], v[166:167]
	ds_load_b128 v[4:7], v2 offset:1248
	ds_load_b128 v[28:31], v2 offset:1264
	scratch_load_b128 v[142:145], off, off offset:672
	v_fmac_f64_e32 v[168:169], v[132:133], v[126:127]
	v_fma_f64 v[130:131], v[130:131], v[126:127], -v[128:129]
	scratch_load_b128 v[126:129], off, off offset:688
	s_wait_loadcnt_dscnt 0xb01
	v_mul_f64_e32 v[166:167], v[4:5], v[160:161]
	v_mul_f64_e32 v[160:161], v[6:7], v[160:161]
	v_add_f64_e32 v[132:133], v[172:173], v[170:171]
	v_add_f64_e32 v[162:163], v[162:163], v[164:165]
	s_wait_loadcnt_dscnt 0xa00
	v_mul_f64_e32 v[164:165], v[28:29], v[10:11]
	v_mul_f64_e32 v[10:11], v[30:31], v[10:11]
	v_fmac_f64_e32 v[166:167], v[6:7], v[158:159]
	v_fma_f64 v[170:171], v[4:5], v[158:159], -v[160:161]
	v_add_f64_e32 v[172:173], v[132:133], v[130:131]
	v_add_f64_e32 v[162:163], v[162:163], v[168:169]
	ds_load_b128 v[4:7], v2 offset:1280
	ds_load_b128 v[130:133], v2 offset:1296
	scratch_load_b128 v[158:161], off, off offset:704
	v_fmac_f64_e32 v[164:165], v[30:31], v[8:9]
	v_fma_f64 v[28:29], v[28:29], v[8:9], -v[10:11]
	scratch_load_b128 v[8:11], off, off offset:720
	s_wait_loadcnt_dscnt 0xb01
	v_mul_f64_e32 v[168:169], v[4:5], v[148:149]
	v_mul_f64_e32 v[148:149], v[6:7], v[148:149]
	v_add_f64_e32 v[30:31], v[172:173], v[170:171]
	v_add_f64_e32 v[162:163], v[162:163], v[166:167]
	s_wait_loadcnt_dscnt 0xa00
	v_mul_f64_e32 v[166:167], v[130:131], v[18:19]
	v_mul_f64_e32 v[18:19], v[132:133], v[18:19]
	v_fmac_f64_e32 v[168:169], v[6:7], v[146:147]
	v_fma_f64 v[146:147], v[4:5], v[146:147], -v[148:149]
	v_add_f64_e32 v[148:149], v[30:31], v[28:29]
	v_add_f64_e32 v[162:163], v[162:163], v[164:165]
	ds_load_b128 v[4:7], v2 offset:1312
	ds_load_b128 v[28:31], v2 offset:1328
	v_fmac_f64_e32 v[166:167], v[132:133], v[16:17]
	v_fma_f64 v[16:17], v[130:131], v[16:17], -v[18:19]
	s_wait_loadcnt_dscnt 0x901
	v_mul_f64_e32 v[164:165], v[4:5], v[156:157]
	v_mul_f64_e32 v[156:157], v[6:7], v[156:157]
	s_wait_loadcnt_dscnt 0x800
	v_mul_f64_e32 v[132:133], v[28:29], v[14:15]
	v_add_f64_e32 v[18:19], v[148:149], v[146:147]
	v_add_f64_e32 v[130:131], v[162:163], v[168:169]
	v_mul_f64_e32 v[146:147], v[30:31], v[14:15]
	v_fmac_f64_e32 v[164:165], v[6:7], v[154:155]
	v_fma_f64 v[148:149], v[4:5], v[154:155], -v[156:157]
	v_fmac_f64_e32 v[132:133], v[30:31], v[12:13]
	v_add_f64_e32 v[18:19], v[18:19], v[16:17]
	v_add_f64_e32 v[130:131], v[130:131], v[166:167]
	ds_load_b128 v[4:7], v2 offset:1344
	ds_load_b128 v[14:17], v2 offset:1360
	v_fma_f64 v[12:13], v[28:29], v[12:13], -v[146:147]
	s_wait_loadcnt_dscnt 0x701
	v_mul_f64_e32 v[154:155], v[4:5], v[136:137]
	v_mul_f64_e32 v[136:137], v[6:7], v[136:137]
	v_add_f64_e32 v[18:19], v[18:19], v[148:149]
	v_add_f64_e32 v[28:29], v[130:131], v[164:165]
	s_wait_loadcnt_dscnt 0x600
	v_mul_f64_e32 v[130:131], v[14:15], v[22:23]
	v_mul_f64_e32 v[22:23], v[16:17], v[22:23]
	v_fmac_f64_e32 v[154:155], v[6:7], v[134:135]
	v_fma_f64 v[134:135], v[4:5], v[134:135], -v[136:137]
	v_add_f64_e32 v[12:13], v[18:19], v[12:13]
	v_add_f64_e32 v[18:19], v[28:29], v[132:133]
	ds_load_b128 v[4:7], v2 offset:1376
	ds_load_b128 v[28:31], v2 offset:1392
	v_fmac_f64_e32 v[130:131], v[16:17], v[20:21]
	v_fma_f64 v[14:15], v[14:15], v[20:21], -v[22:23]
	s_wait_loadcnt_dscnt 0x501
	v_mul_f64_e32 v[132:133], v[4:5], v[140:141]
	v_mul_f64_e32 v[136:137], v[6:7], v[140:141]
	s_wait_loadcnt_dscnt 0x400
	v_mul_f64_e32 v[20:21], v[30:31], v[26:27]
	v_add_f64_e32 v[12:13], v[12:13], v[134:135]
	v_add_f64_e32 v[16:17], v[18:19], v[154:155]
	v_mul_f64_e32 v[18:19], v[28:29], v[26:27]
	v_fmac_f64_e32 v[132:133], v[6:7], v[138:139]
	v_fma_f64 v[22:23], v[4:5], v[138:139], -v[136:137]
	v_fma_f64 v[20:21], v[28:29], v[24:25], -v[20:21]
	v_add_f64_e32 v[26:27], v[12:13], v[14:15]
	v_add_f64_e32 v[16:17], v[16:17], v[130:131]
	ds_load_b128 v[4:7], v2 offset:1408
	ds_load_b128 v[12:15], v2 offset:1424
	v_fmac_f64_e32 v[18:19], v[30:31], v[24:25]
	s_wait_loadcnt_dscnt 0x301
	v_mul_f64_e32 v[130:131], v[4:5], v[144:145]
	v_mul_f64_e32 v[134:135], v[6:7], v[144:145]
	s_wait_loadcnt_dscnt 0x200
	v_mul_f64_e32 v[24:25], v[12:13], v[128:129]
	v_add_f64_e32 v[22:23], v[26:27], v[22:23]
	v_add_f64_e32 v[16:17], v[16:17], v[132:133]
	v_mul_f64_e32 v[26:27], v[14:15], v[128:129]
	v_fmac_f64_e32 v[130:131], v[6:7], v[142:143]
	v_fma_f64 v[28:29], v[4:5], v[142:143], -v[134:135]
	v_fmac_f64_e32 v[24:25], v[14:15], v[126:127]
	v_add_f64_e32 v[20:21], v[22:23], v[20:21]
	v_add_f64_e32 v[22:23], v[16:17], v[18:19]
	ds_load_b128 v[4:7], v2 offset:1440
	ds_load_b128 v[16:19], v2 offset:1456
	v_fma_f64 v[12:13], v[12:13], v[126:127], -v[26:27]
	s_wait_loadcnt_dscnt 0x101
	v_mul_f64_e32 v[2:3], v[4:5], v[160:161]
	v_mul_f64_e32 v[30:31], v[6:7], v[160:161]
	v_add_f64_e32 v[14:15], v[20:21], v[28:29]
	v_add_f64_e32 v[20:21], v[22:23], v[130:131]
	s_wait_loadcnt_dscnt 0x0
	v_mul_f64_e32 v[22:23], v[16:17], v[10:11]
	v_mul_f64_e32 v[10:11], v[18:19], v[10:11]
	v_fmac_f64_e32 v[2:3], v[6:7], v[158:159]
	v_fma_f64 v[4:5], v[4:5], v[158:159], -v[30:31]
	v_add_f64_e32 v[6:7], v[14:15], v[12:13]
	v_add_f64_e32 v[12:13], v[20:21], v[24:25]
	v_fmac_f64_e32 v[22:23], v[18:19], v[8:9]
	v_fma_f64 v[8:9], v[16:17], v[8:9], -v[10:11]
	s_delay_alu instid0(VALU_DEP_4) | instskip(NEXT) | instid1(VALU_DEP_4)
	v_add_f64_e32 v[4:5], v[6:7], v[4:5]
	v_add_f64_e32 v[2:3], v[12:13], v[2:3]
	s_delay_alu instid0(VALU_DEP_2) | instskip(NEXT) | instid1(VALU_DEP_2)
	v_add_f64_e32 v[4:5], v[4:5], v[8:9]
	v_add_f64_e32 v[6:7], v[2:3], v[22:23]
	s_delay_alu instid0(VALU_DEP_2) | instskip(NEXT) | instid1(VALU_DEP_2)
	v_add_f64_e64 v[2:3], v[150:151], -v[4:5]
	v_add_f64_e64 v[4:5], v[152:153], -v[6:7]
	scratch_store_b128 off, v[2:5], off offset:112
	s_wait_xcnt 0x0
	v_cmpx_lt_u32_e32 6, v1
	s_cbranch_execz .LBB109_277
; %bb.276:
	scratch_load_b128 v[2:5], off, s56
	v_mov_b32_e32 v6, 0
	s_delay_alu instid0(VALU_DEP_1)
	v_dual_mov_b32 v7, v6 :: v_dual_mov_b32 v8, v6
	v_mov_b32_e32 v9, v6
	scratch_store_b128 off, v[6:9], off offset:96
	s_wait_loadcnt 0x0
	ds_store_b128 v124, v[2:5]
.LBB109_277:
	s_wait_xcnt 0x0
	s_or_b32 exec_lo, exec_lo, s2
	s_wait_storecnt_dscnt 0x0
	s_barrier_signal -1
	s_barrier_wait -1
	s_clause 0x9
	scratch_load_b128 v[4:7], off, off offset:112
	scratch_load_b128 v[8:11], off, off offset:128
	;; [unrolled: 1-line block ×10, first 2 shown]
	v_mov_b32_e32 v2, 0
	s_mov_b32 s2, exec_lo
	ds_load_b128 v[138:141], v2 offset:848
	s_clause 0x2
	scratch_load_b128 v[142:145], off, off offset:272
	scratch_load_b128 v[146:149], off, off offset:96
	;; [unrolled: 1-line block ×3, first 2 shown]
	s_wait_loadcnt_dscnt 0xc00
	v_mul_f64_e32 v[158:159], v[140:141], v[6:7]
	v_mul_f64_e32 v[162:163], v[138:139], v[6:7]
	ds_load_b128 v[150:153], v2 offset:864
	v_fma_f64 v[166:167], v[138:139], v[4:5], -v[158:159]
	v_fmac_f64_e32 v[162:163], v[140:141], v[4:5]
	ds_load_b128 v[4:7], v2 offset:880
	s_wait_loadcnt_dscnt 0xb01
	v_mul_f64_e32 v[164:165], v[150:151], v[10:11]
	v_mul_f64_e32 v[10:11], v[152:153], v[10:11]
	scratch_load_b128 v[138:141], off, off offset:304
	ds_load_b128 v[158:161], v2 offset:896
	s_wait_loadcnt_dscnt 0xb01
	v_mul_f64_e32 v[168:169], v[4:5], v[14:15]
	v_mul_f64_e32 v[14:15], v[6:7], v[14:15]
	v_add_f64_e32 v[162:163], 0, v[162:163]
	v_fmac_f64_e32 v[164:165], v[152:153], v[8:9]
	v_fma_f64 v[150:151], v[150:151], v[8:9], -v[10:11]
	v_add_f64_e32 v[152:153], 0, v[166:167]
	scratch_load_b128 v[8:11], off, off offset:320
	v_fmac_f64_e32 v[168:169], v[6:7], v[12:13]
	v_fma_f64 v[170:171], v[4:5], v[12:13], -v[14:15]
	ds_load_b128 v[4:7], v2 offset:912
	s_wait_loadcnt_dscnt 0xb01
	v_mul_f64_e32 v[166:167], v[158:159], v[18:19]
	v_mul_f64_e32 v[18:19], v[160:161], v[18:19]
	scratch_load_b128 v[12:15], off, off offset:336
	v_add_f64_e32 v[162:163], v[162:163], v[164:165]
	v_add_f64_e32 v[172:173], v[152:153], v[150:151]
	ds_load_b128 v[150:153], v2 offset:928
	s_wait_loadcnt_dscnt 0xb01
	v_mul_f64_e32 v[164:165], v[4:5], v[22:23]
	v_mul_f64_e32 v[22:23], v[6:7], v[22:23]
	v_fmac_f64_e32 v[166:167], v[160:161], v[16:17]
	v_fma_f64 v[158:159], v[158:159], v[16:17], -v[18:19]
	scratch_load_b128 v[16:19], off, off offset:352
	v_add_f64_e32 v[162:163], v[162:163], v[168:169]
	v_add_f64_e32 v[160:161], v[172:173], v[170:171]
	v_fmac_f64_e32 v[164:165], v[6:7], v[20:21]
	v_fma_f64 v[170:171], v[4:5], v[20:21], -v[22:23]
	ds_load_b128 v[4:7], v2 offset:944
	s_wait_loadcnt_dscnt 0xb01
	v_mul_f64_e32 v[168:169], v[150:151], v[26:27]
	v_mul_f64_e32 v[26:27], v[152:153], v[26:27]
	scratch_load_b128 v[20:23], off, off offset:368
	v_add_f64_e32 v[162:163], v[162:163], v[166:167]
	s_wait_loadcnt_dscnt 0xb00
	v_mul_f64_e32 v[166:167], v[4:5], v[30:31]
	v_add_f64_e32 v[172:173], v[160:161], v[158:159]
	v_mul_f64_e32 v[30:31], v[6:7], v[30:31]
	ds_load_b128 v[158:161], v2 offset:960
	v_fmac_f64_e32 v[168:169], v[152:153], v[24:25]
	v_fma_f64 v[150:151], v[150:151], v[24:25], -v[26:27]
	scratch_load_b128 v[24:27], off, off offset:384
	v_add_f64_e32 v[162:163], v[162:163], v[164:165]
	v_fmac_f64_e32 v[166:167], v[6:7], v[28:29]
	v_add_f64_e32 v[152:153], v[172:173], v[170:171]
	v_fma_f64 v[170:171], v[4:5], v[28:29], -v[30:31]
	ds_load_b128 v[4:7], v2 offset:976
	s_wait_loadcnt_dscnt 0xb01
	v_mul_f64_e32 v[164:165], v[158:159], v[128:129]
	v_mul_f64_e32 v[128:129], v[160:161], v[128:129]
	scratch_load_b128 v[28:31], off, off offset:400
	v_add_f64_e32 v[162:163], v[162:163], v[168:169]
	s_wait_loadcnt_dscnt 0xb00
	v_mul_f64_e32 v[168:169], v[4:5], v[132:133]
	v_add_f64_e32 v[172:173], v[152:153], v[150:151]
	v_mul_f64_e32 v[132:133], v[6:7], v[132:133]
	ds_load_b128 v[150:153], v2 offset:992
	v_fmac_f64_e32 v[164:165], v[160:161], v[126:127]
	v_fma_f64 v[158:159], v[158:159], v[126:127], -v[128:129]
	scratch_load_b128 v[126:129], off, off offset:416
	v_add_f64_e32 v[162:163], v[162:163], v[166:167]
	v_fmac_f64_e32 v[168:169], v[6:7], v[130:131]
	v_add_f64_e32 v[160:161], v[172:173], v[170:171]
	;; [unrolled: 18-line block ×3, first 2 shown]
	v_fma_f64 v[170:171], v[4:5], v[142:143], -v[144:145]
	ds_load_b128 v[4:7], v2 offset:1040
	s_wait_loadcnt_dscnt 0xa01
	v_mul_f64_e32 v[168:169], v[158:159], v[156:157]
	v_mul_f64_e32 v[156:157], v[160:161], v[156:157]
	scratch_load_b128 v[142:145], off, off offset:464
	v_add_f64_e32 v[162:163], v[162:163], v[166:167]
	v_add_f64_e32 v[172:173], v[152:153], v[150:151]
	s_wait_loadcnt_dscnt 0xa00
	v_mul_f64_e32 v[166:167], v[4:5], v[140:141]
	v_mul_f64_e32 v[140:141], v[6:7], v[140:141]
	v_fmac_f64_e32 v[168:169], v[160:161], v[154:155]
	v_fma_f64 v[158:159], v[158:159], v[154:155], -v[156:157]
	ds_load_b128 v[150:153], v2 offset:1056
	scratch_load_b128 v[154:157], off, off offset:480
	v_add_f64_e32 v[162:163], v[162:163], v[164:165]
	v_add_f64_e32 v[160:161], v[172:173], v[170:171]
	v_fmac_f64_e32 v[166:167], v[6:7], v[138:139]
	v_fma_f64 v[170:171], v[4:5], v[138:139], -v[140:141]
	ds_load_b128 v[4:7], v2 offset:1072
	s_wait_loadcnt_dscnt 0xa01
	v_mul_f64_e32 v[164:165], v[150:151], v[10:11]
	v_mul_f64_e32 v[10:11], v[152:153], v[10:11]
	scratch_load_b128 v[138:141], off, off offset:496
	v_add_f64_e32 v[162:163], v[162:163], v[168:169]
	s_wait_loadcnt_dscnt 0xa00
	v_mul_f64_e32 v[168:169], v[4:5], v[14:15]
	v_add_f64_e32 v[172:173], v[160:161], v[158:159]
	v_mul_f64_e32 v[14:15], v[6:7], v[14:15]
	ds_load_b128 v[158:161], v2 offset:1088
	v_fmac_f64_e32 v[164:165], v[152:153], v[8:9]
	v_fma_f64 v[150:151], v[150:151], v[8:9], -v[10:11]
	scratch_load_b128 v[8:11], off, off offset:512
	v_add_f64_e32 v[162:163], v[162:163], v[166:167]
	v_fmac_f64_e32 v[168:169], v[6:7], v[12:13]
	v_add_f64_e32 v[152:153], v[172:173], v[170:171]
	v_fma_f64 v[170:171], v[4:5], v[12:13], -v[14:15]
	ds_load_b128 v[4:7], v2 offset:1104
	s_wait_loadcnt_dscnt 0xa01
	v_mul_f64_e32 v[166:167], v[158:159], v[18:19]
	v_mul_f64_e32 v[18:19], v[160:161], v[18:19]
	scratch_load_b128 v[12:15], off, off offset:528
	v_add_f64_e32 v[162:163], v[162:163], v[164:165]
	s_wait_loadcnt_dscnt 0xa00
	v_mul_f64_e32 v[164:165], v[4:5], v[22:23]
	v_add_f64_e32 v[172:173], v[152:153], v[150:151]
	v_mul_f64_e32 v[22:23], v[6:7], v[22:23]
	ds_load_b128 v[150:153], v2 offset:1120
	v_fmac_f64_e32 v[166:167], v[160:161], v[16:17]
	v_fma_f64 v[158:159], v[158:159], v[16:17], -v[18:19]
	scratch_load_b128 v[16:19], off, off offset:544
	v_add_f64_e32 v[162:163], v[162:163], v[168:169]
	v_fmac_f64_e32 v[164:165], v[6:7], v[20:21]
	v_add_f64_e32 v[160:161], v[172:173], v[170:171]
	;; [unrolled: 18-line block ×7, first 2 shown]
	v_fma_f64 v[170:171], v[4:5], v[12:13], -v[14:15]
	ds_load_b128 v[4:7], v2 offset:1296
	s_wait_loadcnt_dscnt 0xa01
	v_mul_f64_e32 v[166:167], v[158:159], v[18:19]
	v_mul_f64_e32 v[18:19], v[160:161], v[18:19]
	scratch_load_b128 v[12:15], off, off offset:720
	v_add_f64_e32 v[162:163], v[162:163], v[164:165]
	s_wait_loadcnt_dscnt 0xa00
	v_mul_f64_e32 v[164:165], v[4:5], v[22:23]
	v_add_f64_e32 v[172:173], v[152:153], v[150:151]
	v_mul_f64_e32 v[22:23], v[6:7], v[22:23]
	ds_load_b128 v[150:153], v2 offset:1312
	v_fmac_f64_e32 v[166:167], v[160:161], v[16:17]
	v_fma_f64 v[16:17], v[158:159], v[16:17], -v[18:19]
	s_wait_loadcnt_dscnt 0x900
	v_mul_f64_e32 v[160:161], v[150:151], v[26:27]
	v_mul_f64_e32 v[26:27], v[152:153], v[26:27]
	v_add_f64_e32 v[158:159], v[162:163], v[168:169]
	v_fmac_f64_e32 v[164:165], v[6:7], v[20:21]
	v_add_f64_e32 v[18:19], v[172:173], v[170:171]
	v_fma_f64 v[20:21], v[4:5], v[20:21], -v[22:23]
	v_fmac_f64_e32 v[160:161], v[152:153], v[24:25]
	v_fma_f64 v[24:25], v[150:151], v[24:25], -v[26:27]
	v_add_f64_e32 v[158:159], v[158:159], v[166:167]
	v_add_f64_e32 v[22:23], v[18:19], v[16:17]
	ds_load_b128 v[4:7], v2 offset:1328
	ds_load_b128 v[16:19], v2 offset:1344
	s_wait_loadcnt_dscnt 0x801
	v_mul_f64_e32 v[162:163], v[4:5], v[30:31]
	v_mul_f64_e32 v[30:31], v[6:7], v[30:31]
	s_wait_loadcnt_dscnt 0x700
	v_mul_f64_e32 v[26:27], v[16:17], v[128:129]
	v_mul_f64_e32 v[128:129], v[18:19], v[128:129]
	v_add_f64_e32 v[20:21], v[22:23], v[20:21]
	v_add_f64_e32 v[22:23], v[158:159], v[164:165]
	v_fmac_f64_e32 v[162:163], v[6:7], v[28:29]
	v_fma_f64 v[28:29], v[4:5], v[28:29], -v[30:31]
	v_fmac_f64_e32 v[26:27], v[18:19], v[126:127]
	v_fma_f64 v[16:17], v[16:17], v[126:127], -v[128:129]
	v_add_f64_e32 v[24:25], v[20:21], v[24:25]
	v_add_f64_e32 v[30:31], v[22:23], v[160:161]
	ds_load_b128 v[4:7], v2 offset:1360
	ds_load_b128 v[20:23], v2 offset:1376
	s_wait_loadcnt_dscnt 0x601
	v_mul_f64_e32 v[150:151], v[4:5], v[132:133]
	v_mul_f64_e32 v[132:133], v[6:7], v[132:133]
	v_add_f64_e32 v[18:19], v[24:25], v[28:29]
	v_add_f64_e32 v[24:25], v[30:31], v[162:163]
	s_wait_loadcnt_dscnt 0x500
	v_mul_f64_e32 v[28:29], v[20:21], v[136:137]
	v_mul_f64_e32 v[30:31], v[22:23], v[136:137]
	v_fmac_f64_e32 v[150:151], v[6:7], v[130:131]
	v_fma_f64 v[126:127], v[4:5], v[130:131], -v[132:133]
	v_add_f64_e32 v[128:129], v[18:19], v[16:17]
	v_add_f64_e32 v[24:25], v[24:25], v[26:27]
	ds_load_b128 v[4:7], v2 offset:1392
	ds_load_b128 v[16:19], v2 offset:1408
	v_fmac_f64_e32 v[28:29], v[22:23], v[134:135]
	v_fma_f64 v[20:21], v[20:21], v[134:135], -v[30:31]
	s_wait_loadcnt_dscnt 0x401
	v_mul_f64_e32 v[26:27], v[4:5], v[144:145]
	v_mul_f64_e32 v[130:131], v[6:7], v[144:145]
	s_wait_loadcnt_dscnt 0x300
	v_mul_f64_e32 v[30:31], v[16:17], v[156:157]
	v_add_f64_e32 v[22:23], v[128:129], v[126:127]
	v_add_f64_e32 v[24:25], v[24:25], v[150:151]
	v_mul_f64_e32 v[126:127], v[18:19], v[156:157]
	v_fmac_f64_e32 v[26:27], v[6:7], v[142:143]
	v_fma_f64 v[128:129], v[4:5], v[142:143], -v[130:131]
	v_fmac_f64_e32 v[30:31], v[18:19], v[154:155]
	v_add_f64_e32 v[130:131], v[22:23], v[20:21]
	v_add_f64_e32 v[24:25], v[24:25], v[28:29]
	ds_load_b128 v[4:7], v2 offset:1424
	ds_load_b128 v[20:23], v2 offset:1440
	v_fma_f64 v[16:17], v[16:17], v[154:155], -v[126:127]
	s_wait_loadcnt_dscnt 0x201
	v_mul_f64_e32 v[28:29], v[4:5], v[140:141]
	v_mul_f64_e32 v[132:133], v[6:7], v[140:141]
	v_add_f64_e32 v[18:19], v[130:131], v[128:129]
	v_add_f64_e32 v[24:25], v[24:25], v[26:27]
	s_wait_loadcnt_dscnt 0x100
	v_mul_f64_e32 v[26:27], v[20:21], v[10:11]
	v_mul_f64_e32 v[10:11], v[22:23], v[10:11]
	v_fmac_f64_e32 v[28:29], v[6:7], v[138:139]
	v_fma_f64 v[126:127], v[4:5], v[138:139], -v[132:133]
	ds_load_b128 v[4:7], v2 offset:1456
	v_add_f64_e32 v[16:17], v[18:19], v[16:17]
	v_add_f64_e32 v[18:19], v[24:25], v[30:31]
	v_fmac_f64_e32 v[26:27], v[22:23], v[8:9]
	v_fma_f64 v[8:9], v[20:21], v[8:9], -v[10:11]
	s_wait_loadcnt_dscnt 0x0
	v_mul_f64_e32 v[24:25], v[4:5], v[14:15]
	v_mul_f64_e32 v[14:15], v[6:7], v[14:15]
	v_add_f64_e32 v[10:11], v[16:17], v[126:127]
	v_add_f64_e32 v[16:17], v[18:19], v[28:29]
	s_delay_alu instid0(VALU_DEP_4) | instskip(NEXT) | instid1(VALU_DEP_4)
	v_fmac_f64_e32 v[24:25], v[6:7], v[12:13]
	v_fma_f64 v[4:5], v[4:5], v[12:13], -v[14:15]
	s_delay_alu instid0(VALU_DEP_4) | instskip(NEXT) | instid1(VALU_DEP_4)
	v_add_f64_e32 v[6:7], v[10:11], v[8:9]
	v_add_f64_e32 v[8:9], v[16:17], v[26:27]
	s_delay_alu instid0(VALU_DEP_2) | instskip(NEXT) | instid1(VALU_DEP_2)
	v_add_f64_e32 v[4:5], v[6:7], v[4:5]
	v_add_f64_e32 v[6:7], v[8:9], v[24:25]
	s_delay_alu instid0(VALU_DEP_2) | instskip(NEXT) | instid1(VALU_DEP_2)
	v_add_f64_e64 v[4:5], v[146:147], -v[4:5]
	v_add_f64_e64 v[6:7], v[148:149], -v[6:7]
	scratch_store_b128 off, v[4:7], off offset:96
	s_wait_xcnt 0x0
	v_cmpx_lt_u32_e32 5, v1
	s_cbranch_execz .LBB109_279
; %bb.278:
	scratch_load_b128 v[6:9], off, s57
	v_dual_mov_b32 v3, v2 :: v_dual_mov_b32 v4, v2
	v_mov_b32_e32 v5, v2
	scratch_store_b128 off, v[2:5], off offset:80
	s_wait_loadcnt 0x0
	ds_store_b128 v124, v[6:9]
.LBB109_279:
	s_wait_xcnt 0x0
	s_or_b32 exec_lo, exec_lo, s2
	s_wait_storecnt_dscnt 0x0
	s_barrier_signal -1
	s_barrier_wait -1
	s_clause 0x9
	scratch_load_b128 v[4:7], off, off offset:96
	scratch_load_b128 v[8:11], off, off offset:112
	;; [unrolled: 1-line block ×10, first 2 shown]
	ds_load_b128 v[138:141], v2 offset:832
	ds_load_b128 v[146:149], v2 offset:848
	s_clause 0x2
	scratch_load_b128 v[142:145], off, off offset:256
	scratch_load_b128 v[150:153], off, off offset:80
	;; [unrolled: 1-line block ×3, first 2 shown]
	s_mov_b32 s2, exec_lo
	s_wait_loadcnt_dscnt 0xc01
	v_mul_f64_e32 v[158:159], v[140:141], v[6:7]
	v_mul_f64_e32 v[162:163], v[138:139], v[6:7]
	s_wait_loadcnt_dscnt 0xb00
	v_mul_f64_e32 v[164:165], v[146:147], v[10:11]
	v_mul_f64_e32 v[10:11], v[148:149], v[10:11]
	s_delay_alu instid0(VALU_DEP_4) | instskip(NEXT) | instid1(VALU_DEP_4)
	v_fma_f64 v[166:167], v[138:139], v[4:5], -v[158:159]
	v_fmac_f64_e32 v[162:163], v[140:141], v[4:5]
	ds_load_b128 v[4:7], v2 offset:864
	ds_load_b128 v[138:141], v2 offset:880
	scratch_load_b128 v[158:161], off, off offset:288
	v_fmac_f64_e32 v[164:165], v[148:149], v[8:9]
	v_fma_f64 v[146:147], v[146:147], v[8:9], -v[10:11]
	scratch_load_b128 v[8:11], off, off offset:304
	s_wait_loadcnt_dscnt 0xc01
	v_mul_f64_e32 v[168:169], v[4:5], v[14:15]
	v_mul_f64_e32 v[14:15], v[6:7], v[14:15]
	v_add_f64_e32 v[148:149], 0, v[166:167]
	v_add_f64_e32 v[162:163], 0, v[162:163]
	s_wait_loadcnt_dscnt 0xb00
	v_mul_f64_e32 v[166:167], v[138:139], v[18:19]
	v_mul_f64_e32 v[18:19], v[140:141], v[18:19]
	v_fmac_f64_e32 v[168:169], v[6:7], v[12:13]
	v_fma_f64 v[170:171], v[4:5], v[12:13], -v[14:15]
	ds_load_b128 v[4:7], v2 offset:896
	ds_load_b128 v[12:15], v2 offset:912
	v_add_f64_e32 v[172:173], v[148:149], v[146:147]
	v_add_f64_e32 v[162:163], v[162:163], v[164:165]
	scratch_load_b128 v[146:149], off, off offset:320
	v_fmac_f64_e32 v[166:167], v[140:141], v[16:17]
	v_fma_f64 v[138:139], v[138:139], v[16:17], -v[18:19]
	scratch_load_b128 v[16:19], off, off offset:336
	s_wait_loadcnt_dscnt 0xc01
	v_mul_f64_e32 v[164:165], v[4:5], v[22:23]
	v_mul_f64_e32 v[22:23], v[6:7], v[22:23]
	v_add_f64_e32 v[140:141], v[172:173], v[170:171]
	v_add_f64_e32 v[162:163], v[162:163], v[168:169]
	s_wait_loadcnt_dscnt 0xb00
	v_mul_f64_e32 v[168:169], v[12:13], v[26:27]
	v_mul_f64_e32 v[26:27], v[14:15], v[26:27]
	v_fmac_f64_e32 v[164:165], v[6:7], v[20:21]
	v_fma_f64 v[170:171], v[4:5], v[20:21], -v[22:23]
	ds_load_b128 v[4:7], v2 offset:928
	ds_load_b128 v[20:23], v2 offset:944
	v_add_f64_e32 v[172:173], v[140:141], v[138:139]
	v_add_f64_e32 v[162:163], v[162:163], v[166:167]
	scratch_load_b128 v[138:141], off, off offset:352
	s_wait_loadcnt_dscnt 0xb01
	v_mul_f64_e32 v[166:167], v[4:5], v[30:31]
	v_mul_f64_e32 v[30:31], v[6:7], v[30:31]
	v_fmac_f64_e32 v[168:169], v[14:15], v[24:25]
	v_fma_f64 v[24:25], v[12:13], v[24:25], -v[26:27]
	scratch_load_b128 v[12:15], off, off offset:368
	v_add_f64_e32 v[26:27], v[172:173], v[170:171]
	v_add_f64_e32 v[162:163], v[162:163], v[164:165]
	s_wait_loadcnt_dscnt 0xb00
	v_mul_f64_e32 v[164:165], v[20:21], v[128:129]
	v_mul_f64_e32 v[128:129], v[22:23], v[128:129]
	v_fmac_f64_e32 v[166:167], v[6:7], v[28:29]
	v_fma_f64 v[170:171], v[4:5], v[28:29], -v[30:31]
	v_add_f64_e32 v[172:173], v[26:27], v[24:25]
	v_add_f64_e32 v[162:163], v[162:163], v[168:169]
	ds_load_b128 v[4:7], v2 offset:960
	ds_load_b128 v[24:27], v2 offset:976
	scratch_load_b128 v[28:31], off, off offset:384
	v_fmac_f64_e32 v[164:165], v[22:23], v[126:127]
	v_fma_f64 v[126:127], v[20:21], v[126:127], -v[128:129]
	scratch_load_b128 v[20:23], off, off offset:400
	s_wait_loadcnt_dscnt 0xc01
	v_mul_f64_e32 v[168:169], v[4:5], v[132:133]
	v_mul_f64_e32 v[132:133], v[6:7], v[132:133]
	v_add_f64_e32 v[128:129], v[172:173], v[170:171]
	v_add_f64_e32 v[162:163], v[162:163], v[166:167]
	s_wait_loadcnt_dscnt 0xb00
	v_mul_f64_e32 v[166:167], v[24:25], v[136:137]
	v_mul_f64_e32 v[136:137], v[26:27], v[136:137]
	v_fmac_f64_e32 v[168:169], v[6:7], v[130:131]
	v_fma_f64 v[170:171], v[4:5], v[130:131], -v[132:133]
	v_add_f64_e32 v[172:173], v[128:129], v[126:127]
	v_add_f64_e32 v[162:163], v[162:163], v[164:165]
	ds_load_b128 v[4:7], v2 offset:992
	ds_load_b128 v[126:129], v2 offset:1008
	scratch_load_b128 v[130:133], off, off offset:416
	v_fmac_f64_e32 v[166:167], v[26:27], v[134:135]
	v_fma_f64 v[134:135], v[24:25], v[134:135], -v[136:137]
	scratch_load_b128 v[24:27], off, off offset:432
	s_wait_loadcnt_dscnt 0xc01
	v_mul_f64_e32 v[164:165], v[4:5], v[144:145]
	v_mul_f64_e32 v[144:145], v[6:7], v[144:145]
	;; [unrolled: 18-line block ×5, first 2 shown]
	v_add_f64_e32 v[156:157], v[172:173], v[170:171]
	v_add_f64_e32 v[162:163], v[162:163], v[168:169]
	s_wait_loadcnt_dscnt 0xa00
	v_mul_f64_e32 v[168:169], v[134:135], v[14:15]
	v_mul_f64_e32 v[14:15], v[136:137], v[14:15]
	v_fmac_f64_e32 v[164:165], v[6:7], v[138:139]
	v_fma_f64 v[170:171], v[4:5], v[138:139], -v[140:141]
	ds_load_b128 v[4:7], v2 offset:1120
	ds_load_b128 v[138:141], v2 offset:1136
	v_add_f64_e32 v[172:173], v[156:157], v[154:155]
	v_add_f64_e32 v[162:163], v[162:163], v[166:167]
	scratch_load_b128 v[154:157], off, off offset:544
	v_fmac_f64_e32 v[168:169], v[136:137], v[12:13]
	v_fma_f64 v[134:135], v[134:135], v[12:13], -v[14:15]
	scratch_load_b128 v[12:15], off, off offset:560
	s_wait_loadcnt_dscnt 0xb01
	v_mul_f64_e32 v[166:167], v[4:5], v[30:31]
	v_mul_f64_e32 v[30:31], v[6:7], v[30:31]
	v_add_f64_e32 v[136:137], v[172:173], v[170:171]
	v_add_f64_e32 v[162:163], v[162:163], v[164:165]
	s_wait_loadcnt_dscnt 0xa00
	v_mul_f64_e32 v[164:165], v[138:139], v[22:23]
	v_mul_f64_e32 v[22:23], v[140:141], v[22:23]
	v_fmac_f64_e32 v[166:167], v[6:7], v[28:29]
	v_fma_f64 v[170:171], v[4:5], v[28:29], -v[30:31]
	ds_load_b128 v[4:7], v2 offset:1152
	ds_load_b128 v[28:31], v2 offset:1168
	v_add_f64_e32 v[172:173], v[136:137], v[134:135]
	v_add_f64_e32 v[162:163], v[162:163], v[168:169]
	scratch_load_b128 v[134:137], off, off offset:576
	s_wait_loadcnt_dscnt 0xa01
	v_mul_f64_e32 v[168:169], v[4:5], v[132:133]
	v_mul_f64_e32 v[132:133], v[6:7], v[132:133]
	v_fmac_f64_e32 v[164:165], v[140:141], v[20:21]
	v_fma_f64 v[138:139], v[138:139], v[20:21], -v[22:23]
	scratch_load_b128 v[20:23], off, off offset:592
	v_add_f64_e32 v[140:141], v[172:173], v[170:171]
	v_add_f64_e32 v[162:163], v[162:163], v[166:167]
	s_wait_loadcnt_dscnt 0xa00
	v_mul_f64_e32 v[166:167], v[28:29], v[26:27]
	v_mul_f64_e32 v[26:27], v[30:31], v[26:27]
	v_fmac_f64_e32 v[168:169], v[6:7], v[130:131]
	v_fma_f64 v[170:171], v[4:5], v[130:131], -v[132:133]
	ds_load_b128 v[4:7], v2 offset:1184
	ds_load_b128 v[130:133], v2 offset:1200
	v_add_f64_e32 v[172:173], v[140:141], v[138:139]
	v_add_f64_e32 v[162:163], v[162:163], v[164:165]
	scratch_load_b128 v[138:141], off, off offset:608
	s_wait_loadcnt_dscnt 0xa01
	v_mul_f64_e32 v[164:165], v[4:5], v[144:145]
	v_mul_f64_e32 v[144:145], v[6:7], v[144:145]
	v_fmac_f64_e32 v[166:167], v[30:31], v[24:25]
	v_fma_f64 v[28:29], v[28:29], v[24:25], -v[26:27]
	scratch_load_b128 v[24:27], off, off offset:624
	v_add_f64_e32 v[30:31], v[172:173], v[170:171]
	v_add_f64_e32 v[162:163], v[162:163], v[168:169]
	s_wait_loadcnt_dscnt 0xa00
	v_mul_f64_e32 v[168:169], v[130:131], v[128:129]
	v_mul_f64_e32 v[128:129], v[132:133], v[128:129]
	v_fmac_f64_e32 v[164:165], v[6:7], v[142:143]
	v_fma_f64 v[170:171], v[4:5], v[142:143], -v[144:145]
	v_add_f64_e32 v[172:173], v[30:31], v[28:29]
	v_add_f64_e32 v[162:163], v[162:163], v[166:167]
	ds_load_b128 v[4:7], v2 offset:1216
	ds_load_b128 v[28:31], v2 offset:1232
	scratch_load_b128 v[142:145], off, off offset:640
	v_fmac_f64_e32 v[168:169], v[132:133], v[126:127]
	v_fma_f64 v[130:131], v[130:131], v[126:127], -v[128:129]
	scratch_load_b128 v[126:129], off, off offset:656
	s_wait_loadcnt_dscnt 0xb01
	v_mul_f64_e32 v[166:167], v[4:5], v[160:161]
	v_mul_f64_e32 v[160:161], v[6:7], v[160:161]
	v_add_f64_e32 v[132:133], v[172:173], v[170:171]
	v_add_f64_e32 v[162:163], v[162:163], v[164:165]
	s_wait_loadcnt_dscnt 0xa00
	v_mul_f64_e32 v[164:165], v[28:29], v[10:11]
	v_mul_f64_e32 v[10:11], v[30:31], v[10:11]
	v_fmac_f64_e32 v[166:167], v[6:7], v[158:159]
	v_fma_f64 v[170:171], v[4:5], v[158:159], -v[160:161]
	v_add_f64_e32 v[172:173], v[132:133], v[130:131]
	v_add_f64_e32 v[162:163], v[162:163], v[168:169]
	ds_load_b128 v[4:7], v2 offset:1248
	ds_load_b128 v[130:133], v2 offset:1264
	scratch_load_b128 v[158:161], off, off offset:672
	v_fmac_f64_e32 v[164:165], v[30:31], v[8:9]
	v_fma_f64 v[28:29], v[28:29], v[8:9], -v[10:11]
	scratch_load_b128 v[8:11], off, off offset:688
	s_wait_loadcnt_dscnt 0xb01
	v_mul_f64_e32 v[168:169], v[4:5], v[148:149]
	v_mul_f64_e32 v[148:149], v[6:7], v[148:149]
	;; [unrolled: 18-line block ×3, first 2 shown]
	v_add_f64_e32 v[132:133], v[172:173], v[170:171]
	v_add_f64_e32 v[162:163], v[162:163], v[168:169]
	s_wait_loadcnt_dscnt 0xa00
	v_mul_f64_e32 v[168:169], v[28:29], v[14:15]
	v_mul_f64_e32 v[14:15], v[30:31], v[14:15]
	v_fmac_f64_e32 v[164:165], v[6:7], v[154:155]
	v_fma_f64 v[154:155], v[4:5], v[154:155], -v[156:157]
	v_add_f64_e32 v[156:157], v[132:133], v[130:131]
	v_add_f64_e32 v[162:163], v[162:163], v[166:167]
	ds_load_b128 v[4:7], v2 offset:1312
	ds_load_b128 v[130:133], v2 offset:1328
	v_fmac_f64_e32 v[168:169], v[30:31], v[12:13]
	v_fma_f64 v[12:13], v[28:29], v[12:13], -v[14:15]
	s_wait_loadcnt_dscnt 0x901
	v_mul_f64_e32 v[166:167], v[4:5], v[136:137]
	v_mul_f64_e32 v[136:137], v[6:7], v[136:137]
	s_wait_loadcnt_dscnt 0x800
	v_mul_f64_e32 v[30:31], v[130:131], v[22:23]
	v_mul_f64_e32 v[22:23], v[132:133], v[22:23]
	v_add_f64_e32 v[14:15], v[156:157], v[154:155]
	v_add_f64_e32 v[28:29], v[162:163], v[164:165]
	v_fmac_f64_e32 v[166:167], v[6:7], v[134:135]
	v_fma_f64 v[134:135], v[4:5], v[134:135], -v[136:137]
	v_fmac_f64_e32 v[30:31], v[132:133], v[20:21]
	v_fma_f64 v[20:21], v[130:131], v[20:21], -v[22:23]
	v_add_f64_e32 v[136:137], v[14:15], v[12:13]
	v_add_f64_e32 v[28:29], v[28:29], v[168:169]
	ds_load_b128 v[4:7], v2 offset:1344
	ds_load_b128 v[12:15], v2 offset:1360
	s_wait_loadcnt_dscnt 0x701
	v_mul_f64_e32 v[154:155], v[4:5], v[140:141]
	v_mul_f64_e32 v[140:141], v[6:7], v[140:141]
	s_wait_loadcnt_dscnt 0x600
	v_mul_f64_e32 v[130:131], v[12:13], v[26:27]
	v_mul_f64_e32 v[26:27], v[14:15], v[26:27]
	v_add_f64_e32 v[22:23], v[136:137], v[134:135]
	v_add_f64_e32 v[28:29], v[28:29], v[166:167]
	v_fmac_f64_e32 v[154:155], v[6:7], v[138:139]
	v_fma_f64 v[132:133], v[4:5], v[138:139], -v[140:141]
	v_fmac_f64_e32 v[130:131], v[14:15], v[24:25]
	v_fma_f64 v[12:13], v[12:13], v[24:25], -v[26:27]
	v_add_f64_e32 v[134:135], v[22:23], v[20:21]
	v_add_f64_e32 v[28:29], v[28:29], v[30:31]
	ds_load_b128 v[4:7], v2 offset:1376
	ds_load_b128 v[20:23], v2 offset:1392
	s_wait_loadcnt_dscnt 0x501
	v_mul_f64_e32 v[30:31], v[4:5], v[144:145]
	v_mul_f64_e32 v[136:137], v[6:7], v[144:145]
	s_wait_loadcnt_dscnt 0x400
	v_mul_f64_e32 v[26:27], v[20:21], v[128:129]
	v_add_f64_e32 v[14:15], v[134:135], v[132:133]
	v_add_f64_e32 v[24:25], v[28:29], v[154:155]
	v_mul_f64_e32 v[28:29], v[22:23], v[128:129]
	v_fmac_f64_e32 v[30:31], v[6:7], v[142:143]
	v_fma_f64 v[128:129], v[4:5], v[142:143], -v[136:137]
	v_fmac_f64_e32 v[26:27], v[22:23], v[126:127]
	v_add_f64_e32 v[132:133], v[14:15], v[12:13]
	v_add_f64_e32 v[24:25], v[24:25], v[130:131]
	ds_load_b128 v[4:7], v2 offset:1408
	ds_load_b128 v[12:15], v2 offset:1424
	v_fma_f64 v[20:21], v[20:21], v[126:127], -v[28:29]
	s_wait_loadcnt_dscnt 0x301
	v_mul_f64_e32 v[130:131], v[4:5], v[160:161]
	v_mul_f64_e32 v[134:135], v[6:7], v[160:161]
	s_wait_loadcnt_dscnt 0x200
	v_mul_f64_e32 v[28:29], v[12:13], v[10:11]
	v_mul_f64_e32 v[10:11], v[14:15], v[10:11]
	v_add_f64_e32 v[22:23], v[132:133], v[128:129]
	v_add_f64_e32 v[24:25], v[24:25], v[30:31]
	v_fmac_f64_e32 v[130:131], v[6:7], v[158:159]
	v_fma_f64 v[30:31], v[4:5], v[158:159], -v[134:135]
	v_fmac_f64_e32 v[28:29], v[14:15], v[8:9]
	v_fma_f64 v[8:9], v[12:13], v[8:9], -v[10:11]
	v_add_f64_e32 v[126:127], v[22:23], v[20:21]
	v_add_f64_e32 v[24:25], v[24:25], v[26:27]
	ds_load_b128 v[4:7], v2 offset:1440
	ds_load_b128 v[20:23], v2 offset:1456
	s_wait_loadcnt_dscnt 0x101
	v_mul_f64_e32 v[2:3], v[4:5], v[148:149]
	v_mul_f64_e32 v[26:27], v[6:7], v[148:149]
	s_wait_loadcnt_dscnt 0x0
	v_mul_f64_e32 v[14:15], v[20:21], v[18:19]
	v_mul_f64_e32 v[18:19], v[22:23], v[18:19]
	v_add_f64_e32 v[10:11], v[126:127], v[30:31]
	v_add_f64_e32 v[12:13], v[24:25], v[130:131]
	v_fmac_f64_e32 v[2:3], v[6:7], v[146:147]
	v_fma_f64 v[4:5], v[4:5], v[146:147], -v[26:27]
	v_fmac_f64_e32 v[14:15], v[22:23], v[16:17]
	v_add_f64_e32 v[6:7], v[10:11], v[8:9]
	v_add_f64_e32 v[8:9], v[12:13], v[28:29]
	v_fma_f64 v[10:11], v[20:21], v[16:17], -v[18:19]
	s_delay_alu instid0(VALU_DEP_3) | instskip(NEXT) | instid1(VALU_DEP_3)
	v_add_f64_e32 v[4:5], v[6:7], v[4:5]
	v_add_f64_e32 v[2:3], v[8:9], v[2:3]
	s_delay_alu instid0(VALU_DEP_2) | instskip(NEXT) | instid1(VALU_DEP_2)
	v_add_f64_e32 v[4:5], v[4:5], v[10:11]
	v_add_f64_e32 v[6:7], v[2:3], v[14:15]
	s_delay_alu instid0(VALU_DEP_2) | instskip(NEXT) | instid1(VALU_DEP_2)
	v_add_f64_e64 v[2:3], v[150:151], -v[4:5]
	v_add_f64_e64 v[4:5], v[152:153], -v[6:7]
	scratch_store_b128 off, v[2:5], off offset:80
	s_wait_xcnt 0x0
	v_cmpx_lt_u32_e32 4, v1
	s_cbranch_execz .LBB109_281
; %bb.280:
	scratch_load_b128 v[2:5], off, s12
	v_mov_b32_e32 v6, 0
	s_delay_alu instid0(VALU_DEP_1)
	v_dual_mov_b32 v7, v6 :: v_dual_mov_b32 v8, v6
	v_mov_b32_e32 v9, v6
	scratch_store_b128 off, v[6:9], off offset:64
	s_wait_loadcnt 0x0
	ds_store_b128 v124, v[2:5]
.LBB109_281:
	s_wait_xcnt 0x0
	s_or_b32 exec_lo, exec_lo, s2
	s_wait_storecnt_dscnt 0x0
	s_barrier_signal -1
	s_barrier_wait -1
	s_clause 0x9
	scratch_load_b128 v[4:7], off, off offset:80
	scratch_load_b128 v[8:11], off, off offset:96
	;; [unrolled: 1-line block ×10, first 2 shown]
	v_mov_b32_e32 v2, 0
	s_mov_b32 s2, exec_lo
	ds_load_b128 v[138:141], v2 offset:816
	s_clause 0x2
	scratch_load_b128 v[142:145], off, off offset:240
	scratch_load_b128 v[146:149], off, off offset:64
	;; [unrolled: 1-line block ×3, first 2 shown]
	s_wait_loadcnt_dscnt 0xc00
	v_mul_f64_e32 v[158:159], v[140:141], v[6:7]
	v_mul_f64_e32 v[162:163], v[138:139], v[6:7]
	ds_load_b128 v[150:153], v2 offset:832
	v_fma_f64 v[166:167], v[138:139], v[4:5], -v[158:159]
	v_fmac_f64_e32 v[162:163], v[140:141], v[4:5]
	ds_load_b128 v[4:7], v2 offset:848
	s_wait_loadcnt_dscnt 0xb01
	v_mul_f64_e32 v[164:165], v[150:151], v[10:11]
	v_mul_f64_e32 v[10:11], v[152:153], v[10:11]
	scratch_load_b128 v[138:141], off, off offset:272
	ds_load_b128 v[158:161], v2 offset:864
	s_wait_loadcnt_dscnt 0xb01
	v_mul_f64_e32 v[168:169], v[4:5], v[14:15]
	v_mul_f64_e32 v[14:15], v[6:7], v[14:15]
	v_add_f64_e32 v[162:163], 0, v[162:163]
	v_fmac_f64_e32 v[164:165], v[152:153], v[8:9]
	v_fma_f64 v[150:151], v[150:151], v[8:9], -v[10:11]
	v_add_f64_e32 v[152:153], 0, v[166:167]
	scratch_load_b128 v[8:11], off, off offset:288
	v_fmac_f64_e32 v[168:169], v[6:7], v[12:13]
	v_fma_f64 v[170:171], v[4:5], v[12:13], -v[14:15]
	ds_load_b128 v[4:7], v2 offset:880
	s_wait_loadcnt_dscnt 0xb01
	v_mul_f64_e32 v[166:167], v[158:159], v[18:19]
	v_mul_f64_e32 v[18:19], v[160:161], v[18:19]
	scratch_load_b128 v[12:15], off, off offset:304
	v_add_f64_e32 v[162:163], v[162:163], v[164:165]
	v_add_f64_e32 v[172:173], v[152:153], v[150:151]
	ds_load_b128 v[150:153], v2 offset:896
	s_wait_loadcnt_dscnt 0xb01
	v_mul_f64_e32 v[164:165], v[4:5], v[22:23]
	v_mul_f64_e32 v[22:23], v[6:7], v[22:23]
	v_fmac_f64_e32 v[166:167], v[160:161], v[16:17]
	v_fma_f64 v[158:159], v[158:159], v[16:17], -v[18:19]
	scratch_load_b128 v[16:19], off, off offset:320
	v_add_f64_e32 v[162:163], v[162:163], v[168:169]
	v_add_f64_e32 v[160:161], v[172:173], v[170:171]
	v_fmac_f64_e32 v[164:165], v[6:7], v[20:21]
	v_fma_f64 v[170:171], v[4:5], v[20:21], -v[22:23]
	ds_load_b128 v[4:7], v2 offset:912
	s_wait_loadcnt_dscnt 0xb01
	v_mul_f64_e32 v[168:169], v[150:151], v[26:27]
	v_mul_f64_e32 v[26:27], v[152:153], v[26:27]
	scratch_load_b128 v[20:23], off, off offset:336
	v_add_f64_e32 v[162:163], v[162:163], v[166:167]
	s_wait_loadcnt_dscnt 0xb00
	v_mul_f64_e32 v[166:167], v[4:5], v[30:31]
	v_add_f64_e32 v[172:173], v[160:161], v[158:159]
	v_mul_f64_e32 v[30:31], v[6:7], v[30:31]
	ds_load_b128 v[158:161], v2 offset:928
	v_fmac_f64_e32 v[168:169], v[152:153], v[24:25]
	v_fma_f64 v[150:151], v[150:151], v[24:25], -v[26:27]
	scratch_load_b128 v[24:27], off, off offset:352
	v_add_f64_e32 v[162:163], v[162:163], v[164:165]
	v_fmac_f64_e32 v[166:167], v[6:7], v[28:29]
	v_add_f64_e32 v[152:153], v[172:173], v[170:171]
	v_fma_f64 v[170:171], v[4:5], v[28:29], -v[30:31]
	ds_load_b128 v[4:7], v2 offset:944
	s_wait_loadcnt_dscnt 0xb01
	v_mul_f64_e32 v[164:165], v[158:159], v[128:129]
	v_mul_f64_e32 v[128:129], v[160:161], v[128:129]
	scratch_load_b128 v[28:31], off, off offset:368
	v_add_f64_e32 v[162:163], v[162:163], v[168:169]
	s_wait_loadcnt_dscnt 0xb00
	v_mul_f64_e32 v[168:169], v[4:5], v[132:133]
	v_add_f64_e32 v[172:173], v[152:153], v[150:151]
	v_mul_f64_e32 v[132:133], v[6:7], v[132:133]
	ds_load_b128 v[150:153], v2 offset:960
	v_fmac_f64_e32 v[164:165], v[160:161], v[126:127]
	v_fma_f64 v[158:159], v[158:159], v[126:127], -v[128:129]
	scratch_load_b128 v[126:129], off, off offset:384
	v_add_f64_e32 v[162:163], v[162:163], v[166:167]
	v_fmac_f64_e32 v[168:169], v[6:7], v[130:131]
	v_add_f64_e32 v[160:161], v[172:173], v[170:171]
	;; [unrolled: 18-line block ×3, first 2 shown]
	v_fma_f64 v[170:171], v[4:5], v[142:143], -v[144:145]
	ds_load_b128 v[4:7], v2 offset:1008
	s_wait_loadcnt_dscnt 0xa01
	v_mul_f64_e32 v[168:169], v[158:159], v[156:157]
	v_mul_f64_e32 v[156:157], v[160:161], v[156:157]
	scratch_load_b128 v[142:145], off, off offset:432
	v_add_f64_e32 v[162:163], v[162:163], v[166:167]
	v_add_f64_e32 v[172:173], v[152:153], v[150:151]
	s_wait_loadcnt_dscnt 0xa00
	v_mul_f64_e32 v[166:167], v[4:5], v[140:141]
	v_mul_f64_e32 v[140:141], v[6:7], v[140:141]
	v_fmac_f64_e32 v[168:169], v[160:161], v[154:155]
	v_fma_f64 v[158:159], v[158:159], v[154:155], -v[156:157]
	ds_load_b128 v[150:153], v2 offset:1024
	scratch_load_b128 v[154:157], off, off offset:448
	v_add_f64_e32 v[162:163], v[162:163], v[164:165]
	v_add_f64_e32 v[160:161], v[172:173], v[170:171]
	v_fmac_f64_e32 v[166:167], v[6:7], v[138:139]
	v_fma_f64 v[170:171], v[4:5], v[138:139], -v[140:141]
	ds_load_b128 v[4:7], v2 offset:1040
	s_wait_loadcnt_dscnt 0xa01
	v_mul_f64_e32 v[164:165], v[150:151], v[10:11]
	v_mul_f64_e32 v[10:11], v[152:153], v[10:11]
	scratch_load_b128 v[138:141], off, off offset:464
	v_add_f64_e32 v[162:163], v[162:163], v[168:169]
	s_wait_loadcnt_dscnt 0xa00
	v_mul_f64_e32 v[168:169], v[4:5], v[14:15]
	v_add_f64_e32 v[172:173], v[160:161], v[158:159]
	v_mul_f64_e32 v[14:15], v[6:7], v[14:15]
	ds_load_b128 v[158:161], v2 offset:1056
	v_fmac_f64_e32 v[164:165], v[152:153], v[8:9]
	v_fma_f64 v[150:151], v[150:151], v[8:9], -v[10:11]
	scratch_load_b128 v[8:11], off, off offset:480
	v_add_f64_e32 v[162:163], v[162:163], v[166:167]
	v_fmac_f64_e32 v[168:169], v[6:7], v[12:13]
	v_add_f64_e32 v[152:153], v[172:173], v[170:171]
	v_fma_f64 v[170:171], v[4:5], v[12:13], -v[14:15]
	ds_load_b128 v[4:7], v2 offset:1072
	s_wait_loadcnt_dscnt 0xa01
	v_mul_f64_e32 v[166:167], v[158:159], v[18:19]
	v_mul_f64_e32 v[18:19], v[160:161], v[18:19]
	scratch_load_b128 v[12:15], off, off offset:496
	v_add_f64_e32 v[162:163], v[162:163], v[164:165]
	s_wait_loadcnt_dscnt 0xa00
	v_mul_f64_e32 v[164:165], v[4:5], v[22:23]
	v_add_f64_e32 v[172:173], v[152:153], v[150:151]
	v_mul_f64_e32 v[22:23], v[6:7], v[22:23]
	ds_load_b128 v[150:153], v2 offset:1088
	v_fmac_f64_e32 v[166:167], v[160:161], v[16:17]
	v_fma_f64 v[158:159], v[158:159], v[16:17], -v[18:19]
	scratch_load_b128 v[16:19], off, off offset:512
	v_add_f64_e32 v[162:163], v[162:163], v[168:169]
	v_fmac_f64_e32 v[164:165], v[6:7], v[20:21]
	v_add_f64_e32 v[160:161], v[172:173], v[170:171]
	;; [unrolled: 18-line block ×8, first 2 shown]
	v_fma_f64 v[170:171], v[4:5], v[20:21], -v[22:23]
	ds_load_b128 v[4:7], v2 offset:1296
	s_wait_loadcnt_dscnt 0xa01
	v_mul_f64_e32 v[168:169], v[150:151], v[26:27]
	v_mul_f64_e32 v[26:27], v[152:153], v[26:27]
	scratch_load_b128 v[20:23], off, off offset:720
	v_add_f64_e32 v[162:163], v[162:163], v[166:167]
	s_wait_loadcnt_dscnt 0xa00
	v_mul_f64_e32 v[166:167], v[4:5], v[30:31]
	v_add_f64_e32 v[172:173], v[160:161], v[158:159]
	v_mul_f64_e32 v[30:31], v[6:7], v[30:31]
	ds_load_b128 v[158:161], v2 offset:1312
	v_fmac_f64_e32 v[168:169], v[152:153], v[24:25]
	v_fma_f64 v[24:25], v[150:151], v[24:25], -v[26:27]
	s_wait_loadcnt_dscnt 0x900
	v_mul_f64_e32 v[152:153], v[158:159], v[128:129]
	v_mul_f64_e32 v[128:129], v[160:161], v[128:129]
	v_add_f64_e32 v[150:151], v[162:163], v[164:165]
	v_fmac_f64_e32 v[166:167], v[6:7], v[28:29]
	v_add_f64_e32 v[26:27], v[172:173], v[170:171]
	v_fma_f64 v[28:29], v[4:5], v[28:29], -v[30:31]
	v_fmac_f64_e32 v[152:153], v[160:161], v[126:127]
	v_fma_f64 v[126:127], v[158:159], v[126:127], -v[128:129]
	v_add_f64_e32 v[150:151], v[150:151], v[168:169]
	v_add_f64_e32 v[30:31], v[26:27], v[24:25]
	ds_load_b128 v[4:7], v2 offset:1328
	ds_load_b128 v[24:27], v2 offset:1344
	s_wait_loadcnt_dscnt 0x801
	v_mul_f64_e32 v[162:163], v[4:5], v[132:133]
	v_mul_f64_e32 v[132:133], v[6:7], v[132:133]
	s_wait_loadcnt_dscnt 0x700
	v_mul_f64_e32 v[128:129], v[24:25], v[136:137]
	v_mul_f64_e32 v[136:137], v[26:27], v[136:137]
	v_add_f64_e32 v[28:29], v[30:31], v[28:29]
	v_add_f64_e32 v[30:31], v[150:151], v[166:167]
	v_fmac_f64_e32 v[162:163], v[6:7], v[130:131]
	v_fma_f64 v[130:131], v[4:5], v[130:131], -v[132:133]
	v_fmac_f64_e32 v[128:129], v[26:27], v[134:135]
	v_fma_f64 v[24:25], v[24:25], v[134:135], -v[136:137]
	v_add_f64_e32 v[126:127], v[28:29], v[126:127]
	v_add_f64_e32 v[132:133], v[30:31], v[152:153]
	ds_load_b128 v[4:7], v2 offset:1360
	ds_load_b128 v[28:31], v2 offset:1376
	s_wait_loadcnt_dscnt 0x601
	v_mul_f64_e32 v[150:151], v[4:5], v[144:145]
	v_mul_f64_e32 v[144:145], v[6:7], v[144:145]
	v_add_f64_e32 v[26:27], v[126:127], v[130:131]
	v_add_f64_e32 v[126:127], v[132:133], v[162:163]
	s_wait_loadcnt_dscnt 0x500
	v_mul_f64_e32 v[130:131], v[28:29], v[156:157]
	v_mul_f64_e32 v[132:133], v[30:31], v[156:157]
	v_fmac_f64_e32 v[150:151], v[6:7], v[142:143]
	v_fma_f64 v[134:135], v[4:5], v[142:143], -v[144:145]
	v_add_f64_e32 v[136:137], v[26:27], v[24:25]
	v_add_f64_e32 v[126:127], v[126:127], v[128:129]
	ds_load_b128 v[4:7], v2 offset:1392
	ds_load_b128 v[24:27], v2 offset:1408
	v_fmac_f64_e32 v[130:131], v[30:31], v[154:155]
	v_fma_f64 v[28:29], v[28:29], v[154:155], -v[132:133]
	s_wait_loadcnt_dscnt 0x401
	v_mul_f64_e32 v[128:129], v[4:5], v[140:141]
	v_mul_f64_e32 v[140:141], v[6:7], v[140:141]
	s_wait_loadcnt_dscnt 0x300
	v_mul_f64_e32 v[132:133], v[24:25], v[10:11]
	v_mul_f64_e32 v[10:11], v[26:27], v[10:11]
	v_add_f64_e32 v[30:31], v[136:137], v[134:135]
	v_add_f64_e32 v[126:127], v[126:127], v[150:151]
	v_fmac_f64_e32 v[128:129], v[6:7], v[138:139]
	v_fma_f64 v[134:135], v[4:5], v[138:139], -v[140:141]
	v_fmac_f64_e32 v[132:133], v[26:27], v[8:9]
	v_fma_f64 v[8:9], v[24:25], v[8:9], -v[10:11]
	v_add_f64_e32 v[136:137], v[30:31], v[28:29]
	v_add_f64_e32 v[126:127], v[126:127], v[130:131]
	ds_load_b128 v[4:7], v2 offset:1424
	ds_load_b128 v[28:31], v2 offset:1440
	s_wait_loadcnt_dscnt 0x201
	v_mul_f64_e32 v[130:131], v[4:5], v[14:15]
	v_mul_f64_e32 v[14:15], v[6:7], v[14:15]
	s_wait_loadcnt_dscnt 0x100
	v_mul_f64_e32 v[26:27], v[28:29], v[18:19]
	v_mul_f64_e32 v[18:19], v[30:31], v[18:19]
	v_add_f64_e32 v[10:11], v[136:137], v[134:135]
	v_add_f64_e32 v[24:25], v[126:127], v[128:129]
	v_fmac_f64_e32 v[130:131], v[6:7], v[12:13]
	v_fma_f64 v[12:13], v[4:5], v[12:13], -v[14:15]
	ds_load_b128 v[4:7], v2 offset:1456
	v_fmac_f64_e32 v[26:27], v[30:31], v[16:17]
	v_fma_f64 v[16:17], v[28:29], v[16:17], -v[18:19]
	v_add_f64_e32 v[8:9], v[10:11], v[8:9]
	v_add_f64_e32 v[10:11], v[24:25], v[132:133]
	s_wait_loadcnt_dscnt 0x0
	v_mul_f64_e32 v[14:15], v[4:5], v[22:23]
	v_mul_f64_e32 v[22:23], v[6:7], v[22:23]
	s_delay_alu instid0(VALU_DEP_4) | instskip(NEXT) | instid1(VALU_DEP_4)
	v_add_f64_e32 v[8:9], v[8:9], v[12:13]
	v_add_f64_e32 v[10:11], v[10:11], v[130:131]
	s_delay_alu instid0(VALU_DEP_4) | instskip(NEXT) | instid1(VALU_DEP_4)
	v_fmac_f64_e32 v[14:15], v[6:7], v[20:21]
	v_fma_f64 v[4:5], v[4:5], v[20:21], -v[22:23]
	s_delay_alu instid0(VALU_DEP_4) | instskip(NEXT) | instid1(VALU_DEP_4)
	v_add_f64_e32 v[6:7], v[8:9], v[16:17]
	v_add_f64_e32 v[8:9], v[10:11], v[26:27]
	s_delay_alu instid0(VALU_DEP_2) | instskip(NEXT) | instid1(VALU_DEP_2)
	v_add_f64_e32 v[4:5], v[6:7], v[4:5]
	v_add_f64_e32 v[6:7], v[8:9], v[14:15]
	s_delay_alu instid0(VALU_DEP_2) | instskip(NEXT) | instid1(VALU_DEP_2)
	v_add_f64_e64 v[4:5], v[146:147], -v[4:5]
	v_add_f64_e64 v[6:7], v[148:149], -v[6:7]
	scratch_store_b128 off, v[4:7], off offset:64
	s_wait_xcnt 0x0
	v_cmpx_lt_u32_e32 3, v1
	s_cbranch_execz .LBB109_283
; %bb.282:
	scratch_load_b128 v[6:9], off, s14
	v_dual_mov_b32 v3, v2 :: v_dual_mov_b32 v4, v2
	v_mov_b32_e32 v5, v2
	scratch_store_b128 off, v[2:5], off offset:48
	s_wait_loadcnt 0x0
	ds_store_b128 v124, v[6:9]
.LBB109_283:
	s_wait_xcnt 0x0
	s_or_b32 exec_lo, exec_lo, s2
	s_wait_storecnt_dscnt 0x0
	s_barrier_signal -1
	s_barrier_wait -1
	s_clause 0x9
	scratch_load_b128 v[4:7], off, off offset:64
	scratch_load_b128 v[8:11], off, off offset:80
	;; [unrolled: 1-line block ×10, first 2 shown]
	ds_load_b128 v[138:141], v2 offset:800
	ds_load_b128 v[146:149], v2 offset:816
	s_clause 0x2
	scratch_load_b128 v[142:145], off, off offset:224
	scratch_load_b128 v[150:153], off, off offset:48
	;; [unrolled: 1-line block ×3, first 2 shown]
	s_mov_b32 s2, exec_lo
	s_wait_loadcnt_dscnt 0xc01
	v_mul_f64_e32 v[158:159], v[140:141], v[6:7]
	v_mul_f64_e32 v[162:163], v[138:139], v[6:7]
	s_wait_loadcnt_dscnt 0xb00
	v_mul_f64_e32 v[164:165], v[146:147], v[10:11]
	v_mul_f64_e32 v[10:11], v[148:149], v[10:11]
	s_delay_alu instid0(VALU_DEP_4) | instskip(NEXT) | instid1(VALU_DEP_4)
	v_fma_f64 v[166:167], v[138:139], v[4:5], -v[158:159]
	v_fmac_f64_e32 v[162:163], v[140:141], v[4:5]
	ds_load_b128 v[4:7], v2 offset:832
	ds_load_b128 v[138:141], v2 offset:848
	scratch_load_b128 v[158:161], off, off offset:256
	v_fmac_f64_e32 v[164:165], v[148:149], v[8:9]
	v_fma_f64 v[146:147], v[146:147], v[8:9], -v[10:11]
	scratch_load_b128 v[8:11], off, off offset:272
	s_wait_loadcnt_dscnt 0xc01
	v_mul_f64_e32 v[168:169], v[4:5], v[14:15]
	v_mul_f64_e32 v[14:15], v[6:7], v[14:15]
	v_add_f64_e32 v[148:149], 0, v[166:167]
	v_add_f64_e32 v[162:163], 0, v[162:163]
	s_wait_loadcnt_dscnt 0xb00
	v_mul_f64_e32 v[166:167], v[138:139], v[18:19]
	v_mul_f64_e32 v[18:19], v[140:141], v[18:19]
	v_fmac_f64_e32 v[168:169], v[6:7], v[12:13]
	v_fma_f64 v[170:171], v[4:5], v[12:13], -v[14:15]
	ds_load_b128 v[4:7], v2 offset:864
	ds_load_b128 v[12:15], v2 offset:880
	v_add_f64_e32 v[172:173], v[148:149], v[146:147]
	v_add_f64_e32 v[162:163], v[162:163], v[164:165]
	scratch_load_b128 v[146:149], off, off offset:288
	v_fmac_f64_e32 v[166:167], v[140:141], v[16:17]
	v_fma_f64 v[138:139], v[138:139], v[16:17], -v[18:19]
	scratch_load_b128 v[16:19], off, off offset:304
	s_wait_loadcnt_dscnt 0xc01
	v_mul_f64_e32 v[164:165], v[4:5], v[22:23]
	v_mul_f64_e32 v[22:23], v[6:7], v[22:23]
	v_add_f64_e32 v[140:141], v[172:173], v[170:171]
	v_add_f64_e32 v[162:163], v[162:163], v[168:169]
	s_wait_loadcnt_dscnt 0xb00
	v_mul_f64_e32 v[168:169], v[12:13], v[26:27]
	v_mul_f64_e32 v[26:27], v[14:15], v[26:27]
	v_fmac_f64_e32 v[164:165], v[6:7], v[20:21]
	v_fma_f64 v[170:171], v[4:5], v[20:21], -v[22:23]
	ds_load_b128 v[4:7], v2 offset:896
	ds_load_b128 v[20:23], v2 offset:912
	v_add_f64_e32 v[172:173], v[140:141], v[138:139]
	v_add_f64_e32 v[162:163], v[162:163], v[166:167]
	scratch_load_b128 v[138:141], off, off offset:320
	s_wait_loadcnt_dscnt 0xb01
	v_mul_f64_e32 v[166:167], v[4:5], v[30:31]
	v_mul_f64_e32 v[30:31], v[6:7], v[30:31]
	v_fmac_f64_e32 v[168:169], v[14:15], v[24:25]
	v_fma_f64 v[24:25], v[12:13], v[24:25], -v[26:27]
	scratch_load_b128 v[12:15], off, off offset:336
	v_add_f64_e32 v[26:27], v[172:173], v[170:171]
	v_add_f64_e32 v[162:163], v[162:163], v[164:165]
	s_wait_loadcnt_dscnt 0xb00
	v_mul_f64_e32 v[164:165], v[20:21], v[128:129]
	v_mul_f64_e32 v[128:129], v[22:23], v[128:129]
	v_fmac_f64_e32 v[166:167], v[6:7], v[28:29]
	v_fma_f64 v[170:171], v[4:5], v[28:29], -v[30:31]
	v_add_f64_e32 v[172:173], v[26:27], v[24:25]
	v_add_f64_e32 v[162:163], v[162:163], v[168:169]
	ds_load_b128 v[4:7], v2 offset:928
	ds_load_b128 v[24:27], v2 offset:944
	scratch_load_b128 v[28:31], off, off offset:352
	v_fmac_f64_e32 v[164:165], v[22:23], v[126:127]
	v_fma_f64 v[126:127], v[20:21], v[126:127], -v[128:129]
	scratch_load_b128 v[20:23], off, off offset:368
	s_wait_loadcnt_dscnt 0xc01
	v_mul_f64_e32 v[168:169], v[4:5], v[132:133]
	v_mul_f64_e32 v[132:133], v[6:7], v[132:133]
	v_add_f64_e32 v[128:129], v[172:173], v[170:171]
	v_add_f64_e32 v[162:163], v[162:163], v[166:167]
	s_wait_loadcnt_dscnt 0xb00
	v_mul_f64_e32 v[166:167], v[24:25], v[136:137]
	v_mul_f64_e32 v[136:137], v[26:27], v[136:137]
	v_fmac_f64_e32 v[168:169], v[6:7], v[130:131]
	v_fma_f64 v[170:171], v[4:5], v[130:131], -v[132:133]
	v_add_f64_e32 v[172:173], v[128:129], v[126:127]
	v_add_f64_e32 v[162:163], v[162:163], v[164:165]
	ds_load_b128 v[4:7], v2 offset:960
	ds_load_b128 v[126:129], v2 offset:976
	scratch_load_b128 v[130:133], off, off offset:384
	v_fmac_f64_e32 v[166:167], v[26:27], v[134:135]
	v_fma_f64 v[134:135], v[24:25], v[134:135], -v[136:137]
	scratch_load_b128 v[24:27], off, off offset:400
	s_wait_loadcnt_dscnt 0xc01
	v_mul_f64_e32 v[164:165], v[4:5], v[144:145]
	v_mul_f64_e32 v[144:145], v[6:7], v[144:145]
	;; [unrolled: 18-line block ×5, first 2 shown]
	v_add_f64_e32 v[156:157], v[172:173], v[170:171]
	v_add_f64_e32 v[162:163], v[162:163], v[168:169]
	s_wait_loadcnt_dscnt 0xa00
	v_mul_f64_e32 v[168:169], v[134:135], v[14:15]
	v_mul_f64_e32 v[14:15], v[136:137], v[14:15]
	v_fmac_f64_e32 v[164:165], v[6:7], v[138:139]
	v_fma_f64 v[170:171], v[4:5], v[138:139], -v[140:141]
	ds_load_b128 v[4:7], v2 offset:1088
	ds_load_b128 v[138:141], v2 offset:1104
	v_add_f64_e32 v[172:173], v[156:157], v[154:155]
	v_add_f64_e32 v[162:163], v[162:163], v[166:167]
	scratch_load_b128 v[154:157], off, off offset:512
	v_fmac_f64_e32 v[168:169], v[136:137], v[12:13]
	v_fma_f64 v[134:135], v[134:135], v[12:13], -v[14:15]
	scratch_load_b128 v[12:15], off, off offset:528
	s_wait_loadcnt_dscnt 0xb01
	v_mul_f64_e32 v[166:167], v[4:5], v[30:31]
	v_mul_f64_e32 v[30:31], v[6:7], v[30:31]
	v_add_f64_e32 v[136:137], v[172:173], v[170:171]
	v_add_f64_e32 v[162:163], v[162:163], v[164:165]
	s_wait_loadcnt_dscnt 0xa00
	v_mul_f64_e32 v[164:165], v[138:139], v[22:23]
	v_mul_f64_e32 v[22:23], v[140:141], v[22:23]
	v_fmac_f64_e32 v[166:167], v[6:7], v[28:29]
	v_fma_f64 v[170:171], v[4:5], v[28:29], -v[30:31]
	ds_load_b128 v[4:7], v2 offset:1120
	ds_load_b128 v[28:31], v2 offset:1136
	v_add_f64_e32 v[172:173], v[136:137], v[134:135]
	v_add_f64_e32 v[162:163], v[162:163], v[168:169]
	scratch_load_b128 v[134:137], off, off offset:544
	s_wait_loadcnt_dscnt 0xa01
	v_mul_f64_e32 v[168:169], v[4:5], v[132:133]
	v_mul_f64_e32 v[132:133], v[6:7], v[132:133]
	v_fmac_f64_e32 v[164:165], v[140:141], v[20:21]
	v_fma_f64 v[138:139], v[138:139], v[20:21], -v[22:23]
	scratch_load_b128 v[20:23], off, off offset:560
	v_add_f64_e32 v[140:141], v[172:173], v[170:171]
	v_add_f64_e32 v[162:163], v[162:163], v[166:167]
	s_wait_loadcnt_dscnt 0xa00
	v_mul_f64_e32 v[166:167], v[28:29], v[26:27]
	v_mul_f64_e32 v[26:27], v[30:31], v[26:27]
	v_fmac_f64_e32 v[168:169], v[6:7], v[130:131]
	v_fma_f64 v[170:171], v[4:5], v[130:131], -v[132:133]
	ds_load_b128 v[4:7], v2 offset:1152
	ds_load_b128 v[130:133], v2 offset:1168
	v_add_f64_e32 v[172:173], v[140:141], v[138:139]
	v_add_f64_e32 v[162:163], v[162:163], v[164:165]
	scratch_load_b128 v[138:141], off, off offset:576
	s_wait_loadcnt_dscnt 0xa01
	v_mul_f64_e32 v[164:165], v[4:5], v[144:145]
	v_mul_f64_e32 v[144:145], v[6:7], v[144:145]
	v_fmac_f64_e32 v[166:167], v[30:31], v[24:25]
	v_fma_f64 v[28:29], v[28:29], v[24:25], -v[26:27]
	scratch_load_b128 v[24:27], off, off offset:592
	v_add_f64_e32 v[30:31], v[172:173], v[170:171]
	v_add_f64_e32 v[162:163], v[162:163], v[168:169]
	s_wait_loadcnt_dscnt 0xa00
	v_mul_f64_e32 v[168:169], v[130:131], v[128:129]
	v_mul_f64_e32 v[128:129], v[132:133], v[128:129]
	v_fmac_f64_e32 v[164:165], v[6:7], v[142:143]
	v_fma_f64 v[170:171], v[4:5], v[142:143], -v[144:145]
	v_add_f64_e32 v[172:173], v[30:31], v[28:29]
	v_add_f64_e32 v[162:163], v[162:163], v[166:167]
	ds_load_b128 v[4:7], v2 offset:1184
	ds_load_b128 v[28:31], v2 offset:1200
	scratch_load_b128 v[142:145], off, off offset:608
	v_fmac_f64_e32 v[168:169], v[132:133], v[126:127]
	v_fma_f64 v[130:131], v[130:131], v[126:127], -v[128:129]
	scratch_load_b128 v[126:129], off, off offset:624
	s_wait_loadcnt_dscnt 0xb01
	v_mul_f64_e32 v[166:167], v[4:5], v[160:161]
	v_mul_f64_e32 v[160:161], v[6:7], v[160:161]
	v_add_f64_e32 v[132:133], v[172:173], v[170:171]
	v_add_f64_e32 v[162:163], v[162:163], v[164:165]
	s_wait_loadcnt_dscnt 0xa00
	v_mul_f64_e32 v[164:165], v[28:29], v[10:11]
	v_mul_f64_e32 v[10:11], v[30:31], v[10:11]
	v_fmac_f64_e32 v[166:167], v[6:7], v[158:159]
	v_fma_f64 v[170:171], v[4:5], v[158:159], -v[160:161]
	v_add_f64_e32 v[172:173], v[132:133], v[130:131]
	v_add_f64_e32 v[162:163], v[162:163], v[168:169]
	ds_load_b128 v[4:7], v2 offset:1216
	ds_load_b128 v[130:133], v2 offset:1232
	scratch_load_b128 v[158:161], off, off offset:640
	v_fmac_f64_e32 v[164:165], v[30:31], v[8:9]
	v_fma_f64 v[28:29], v[28:29], v[8:9], -v[10:11]
	scratch_load_b128 v[8:11], off, off offset:656
	s_wait_loadcnt_dscnt 0xb01
	v_mul_f64_e32 v[168:169], v[4:5], v[148:149]
	v_mul_f64_e32 v[148:149], v[6:7], v[148:149]
	;; [unrolled: 18-line block ×4, first 2 shown]
	v_add_f64_e32 v[30:31], v[172:173], v[170:171]
	v_add_f64_e32 v[162:163], v[162:163], v[164:165]
	s_wait_loadcnt_dscnt 0xa00
	v_mul_f64_e32 v[164:165], v[130:131], v[22:23]
	v_mul_f64_e32 v[22:23], v[132:133], v[22:23]
	v_fmac_f64_e32 v[166:167], v[6:7], v[134:135]
	v_fma_f64 v[134:135], v[4:5], v[134:135], -v[136:137]
	v_add_f64_e32 v[136:137], v[30:31], v[28:29]
	v_add_f64_e32 v[162:163], v[162:163], v[168:169]
	ds_load_b128 v[4:7], v2 offset:1312
	ds_load_b128 v[28:31], v2 offset:1328
	v_fmac_f64_e32 v[164:165], v[132:133], v[20:21]
	v_fma_f64 v[20:21], v[130:131], v[20:21], -v[22:23]
	s_wait_loadcnt_dscnt 0x901
	v_mul_f64_e32 v[168:169], v[4:5], v[140:141]
	v_mul_f64_e32 v[140:141], v[6:7], v[140:141]
	s_wait_loadcnt_dscnt 0x800
	v_mul_f64_e32 v[132:133], v[28:29], v[26:27]
	v_mul_f64_e32 v[26:27], v[30:31], v[26:27]
	v_add_f64_e32 v[22:23], v[136:137], v[134:135]
	v_add_f64_e32 v[130:131], v[162:163], v[166:167]
	v_fmac_f64_e32 v[168:169], v[6:7], v[138:139]
	v_fma_f64 v[134:135], v[4:5], v[138:139], -v[140:141]
	v_fmac_f64_e32 v[132:133], v[30:31], v[24:25]
	v_fma_f64 v[24:25], v[28:29], v[24:25], -v[26:27]
	v_add_f64_e32 v[136:137], v[22:23], v[20:21]
	v_add_f64_e32 v[130:131], v[130:131], v[164:165]
	ds_load_b128 v[4:7], v2 offset:1344
	ds_load_b128 v[20:23], v2 offset:1360
	s_wait_loadcnt_dscnt 0x701
	v_mul_f64_e32 v[138:139], v[4:5], v[144:145]
	v_mul_f64_e32 v[140:141], v[6:7], v[144:145]
	s_wait_loadcnt_dscnt 0x600
	v_mul_f64_e32 v[30:31], v[20:21], v[128:129]
	v_mul_f64_e32 v[128:129], v[22:23], v[128:129]
	v_add_f64_e32 v[26:27], v[136:137], v[134:135]
	v_add_f64_e32 v[28:29], v[130:131], v[168:169]
	v_fmac_f64_e32 v[138:139], v[6:7], v[142:143]
	v_fma_f64 v[130:131], v[4:5], v[142:143], -v[140:141]
	v_fmac_f64_e32 v[30:31], v[22:23], v[126:127]
	v_fma_f64 v[20:21], v[20:21], v[126:127], -v[128:129]
	v_add_f64_e32 v[134:135], v[26:27], v[24:25]
	v_add_f64_e32 v[28:29], v[28:29], v[132:133]
	ds_load_b128 v[4:7], v2 offset:1376
	ds_load_b128 v[24:27], v2 offset:1392
	;; [unrolled: 16-line block ×4, first 2 shown]
	s_wait_loadcnt_dscnt 0x101
	v_mul_f64_e32 v[2:3], v[4:5], v[156:157]
	v_mul_f64_e32 v[126:127], v[6:7], v[156:157]
	s_wait_loadcnt_dscnt 0x0
	v_mul_f64_e32 v[22:23], v[8:9], v[14:15]
	v_mul_f64_e32 v[14:15], v[10:11], v[14:15]
	v_add_f64_e32 v[18:19], v[128:129], v[28:29]
	v_add_f64_e32 v[20:21], v[24:25], v[30:31]
	v_fmac_f64_e32 v[2:3], v[6:7], v[154:155]
	v_fma_f64 v[4:5], v[4:5], v[154:155], -v[126:127]
	v_fmac_f64_e32 v[22:23], v[10:11], v[12:13]
	v_fma_f64 v[8:9], v[8:9], v[12:13], -v[14:15]
	v_add_f64_e32 v[6:7], v[18:19], v[16:17]
	v_add_f64_e32 v[16:17], v[20:21], v[26:27]
	s_delay_alu instid0(VALU_DEP_2) | instskip(NEXT) | instid1(VALU_DEP_2)
	v_add_f64_e32 v[4:5], v[6:7], v[4:5]
	v_add_f64_e32 v[2:3], v[16:17], v[2:3]
	s_delay_alu instid0(VALU_DEP_2) | instskip(NEXT) | instid1(VALU_DEP_2)
	;; [unrolled: 3-line block ×3, first 2 shown]
	v_add_f64_e64 v[2:3], v[150:151], -v[4:5]
	v_add_f64_e64 v[4:5], v[152:153], -v[6:7]
	scratch_store_b128 off, v[2:5], off offset:48
	s_wait_xcnt 0x0
	v_cmpx_lt_u32_e32 2, v1
	s_cbranch_execz .LBB109_285
; %bb.284:
	scratch_load_b128 v[2:5], off, s16
	v_mov_b32_e32 v6, 0
	s_delay_alu instid0(VALU_DEP_1)
	v_dual_mov_b32 v7, v6 :: v_dual_mov_b32 v8, v6
	v_mov_b32_e32 v9, v6
	scratch_store_b128 off, v[6:9], off offset:32
	s_wait_loadcnt 0x0
	ds_store_b128 v124, v[2:5]
.LBB109_285:
	s_wait_xcnt 0x0
	s_or_b32 exec_lo, exec_lo, s2
	s_wait_storecnt_dscnt 0x0
	s_barrier_signal -1
	s_barrier_wait -1
	s_clause 0x9
	scratch_load_b128 v[4:7], off, off offset:48
	scratch_load_b128 v[8:11], off, off offset:64
	;; [unrolled: 1-line block ×10, first 2 shown]
	v_mov_b32_e32 v2, 0
	s_mov_b32 s2, exec_lo
	v_dual_ashrrev_i32 v37, 31, v36 :: v_dual_ashrrev_i32 v39, 31, v38
	v_ashrrev_i32_e32 v41, 31, v40
	ds_load_b128 v[138:141], v2 offset:784
	s_clause 0x2
	scratch_load_b128 v[142:145], off, off offset:208
	scratch_load_b128 v[146:149], off, off offset:32
	;; [unrolled: 1-line block ×3, first 2 shown]
	v_ashrrev_i32_e32 v45, 31, v44
	v_ashrrev_i32_e32 v49, 31, v48
	v_dual_ashrrev_i32 v53, 31, v52 :: v_dual_ashrrev_i32 v43, 31, v42
	v_ashrrev_i32_e32 v57, 31, v56
	v_dual_ashrrev_i32 v61, 31, v60 :: v_dual_ashrrev_i32 v47, 31, v46
	;; [unrolled: 2-line block ×3, first 2 shown]
	v_ashrrev_i32_e32 v73, 31, v72
	v_ashrrev_i32_e32 v77, 31, v76
	v_dual_ashrrev_i32 v81, 31, v80 :: v_dual_ashrrev_i32 v55, 31, v54
	v_dual_ashrrev_i32 v59, 31, v58 :: v_dual_ashrrev_i32 v85, 31, v84
	;; [unrolled: 1-line block ×3, first 2 shown]
	v_ashrrev_i32_e32 v93, 31, v92
	v_ashrrev_i32_e32 v97, 31, v96
	;; [unrolled: 1-line block ×4, first 2 shown]
	v_dual_ashrrev_i32 v109, 31, v108 :: v_dual_ashrrev_i32 v67, 31, v66
	v_dual_ashrrev_i32 v71, 31, v70 :: v_dual_ashrrev_i32 v113, 31, v112
	v_ashrrev_i32_e32 v75, 31, v74
	v_ashrrev_i32_e32 v79, 31, v78
	;; [unrolled: 1-line block ×3, first 2 shown]
	v_dual_ashrrev_i32 v87, 31, v86 :: v_dual_ashrrev_i32 v117, 31, v116
	v_ashrrev_i32_e32 v91, 31, v90
	v_dual_ashrrev_i32 v95, 31, v94 :: v_dual_ashrrev_i32 v121, 31, v120
	v_ashrrev_i32_e32 v99, 31, v98
	v_ashrrev_i32_e32 v103, 31, v102
	;; [unrolled: 1-line block ×7, first 2 shown]
	s_wait_loadcnt_dscnt 0xc00
	v_mul_f64_e32 v[158:159], v[140:141], v[6:7]
	v_mul_f64_e32 v[162:163], v[138:139], v[6:7]
	ds_load_b128 v[150:153], v2 offset:800
	v_fma_f64 v[166:167], v[138:139], v[4:5], -v[158:159]
	v_fmac_f64_e32 v[162:163], v[140:141], v[4:5]
	ds_load_b128 v[4:7], v2 offset:816
	s_wait_loadcnt_dscnt 0xb01
	v_mul_f64_e32 v[164:165], v[150:151], v[10:11]
	v_mul_f64_e32 v[10:11], v[152:153], v[10:11]
	scratch_load_b128 v[138:141], off, off offset:240
	ds_load_b128 v[158:161], v2 offset:832
	s_wait_loadcnt_dscnt 0xb01
	v_mul_f64_e32 v[168:169], v[4:5], v[14:15]
	v_mul_f64_e32 v[14:15], v[6:7], v[14:15]
	v_add_f64_e32 v[162:163], 0, v[162:163]
	v_fmac_f64_e32 v[164:165], v[152:153], v[8:9]
	v_fma_f64 v[150:151], v[150:151], v[8:9], -v[10:11]
	v_add_f64_e32 v[152:153], 0, v[166:167]
	scratch_load_b128 v[8:11], off, off offset:256
	v_fmac_f64_e32 v[168:169], v[6:7], v[12:13]
	v_fma_f64 v[170:171], v[4:5], v[12:13], -v[14:15]
	ds_load_b128 v[4:7], v2 offset:848
	s_wait_loadcnt_dscnt 0xb01
	v_mul_f64_e32 v[166:167], v[158:159], v[18:19]
	v_mul_f64_e32 v[18:19], v[160:161], v[18:19]
	scratch_load_b128 v[12:15], off, off offset:272
	v_add_f64_e32 v[162:163], v[162:163], v[164:165]
	v_add_f64_e32 v[172:173], v[152:153], v[150:151]
	ds_load_b128 v[150:153], v2 offset:864
	s_wait_loadcnt_dscnt 0xb01
	v_mul_f64_e32 v[164:165], v[4:5], v[22:23]
	v_mul_f64_e32 v[22:23], v[6:7], v[22:23]
	v_fmac_f64_e32 v[166:167], v[160:161], v[16:17]
	v_fma_f64 v[158:159], v[158:159], v[16:17], -v[18:19]
	scratch_load_b128 v[16:19], off, off offset:288
	v_add_f64_e32 v[162:163], v[162:163], v[168:169]
	v_add_f64_e32 v[160:161], v[172:173], v[170:171]
	v_fmac_f64_e32 v[164:165], v[6:7], v[20:21]
	v_fma_f64 v[170:171], v[4:5], v[20:21], -v[22:23]
	ds_load_b128 v[4:7], v2 offset:880
	s_wait_loadcnt_dscnt 0xb01
	v_mul_f64_e32 v[168:169], v[150:151], v[26:27]
	v_mul_f64_e32 v[26:27], v[152:153], v[26:27]
	scratch_load_b128 v[20:23], off, off offset:304
	v_add_f64_e32 v[162:163], v[162:163], v[166:167]
	s_wait_loadcnt_dscnt 0xb00
	v_mul_f64_e32 v[166:167], v[4:5], v[30:31]
	v_add_f64_e32 v[172:173], v[160:161], v[158:159]
	v_mul_f64_e32 v[30:31], v[6:7], v[30:31]
	ds_load_b128 v[158:161], v2 offset:896
	v_fmac_f64_e32 v[168:169], v[152:153], v[24:25]
	v_fma_f64 v[150:151], v[150:151], v[24:25], -v[26:27]
	scratch_load_b128 v[24:27], off, off offset:320
	v_add_f64_e32 v[162:163], v[162:163], v[164:165]
	v_fmac_f64_e32 v[166:167], v[6:7], v[28:29]
	v_add_f64_e32 v[152:153], v[172:173], v[170:171]
	v_fma_f64 v[170:171], v[4:5], v[28:29], -v[30:31]
	ds_load_b128 v[4:7], v2 offset:912
	s_wait_loadcnt_dscnt 0xb01
	v_mul_f64_e32 v[164:165], v[158:159], v[128:129]
	v_mul_f64_e32 v[128:129], v[160:161], v[128:129]
	scratch_load_b128 v[28:31], off, off offset:336
	v_add_f64_e32 v[162:163], v[162:163], v[168:169]
	s_wait_loadcnt_dscnt 0xb00
	v_mul_f64_e32 v[168:169], v[4:5], v[132:133]
	v_add_f64_e32 v[172:173], v[152:153], v[150:151]
	v_mul_f64_e32 v[132:133], v[6:7], v[132:133]
	ds_load_b128 v[150:153], v2 offset:928
	v_fmac_f64_e32 v[164:165], v[160:161], v[126:127]
	v_fma_f64 v[158:159], v[158:159], v[126:127], -v[128:129]
	scratch_load_b128 v[126:129], off, off offset:352
	v_add_f64_e32 v[162:163], v[162:163], v[166:167]
	v_fmac_f64_e32 v[168:169], v[6:7], v[130:131]
	v_add_f64_e32 v[160:161], v[172:173], v[170:171]
	;; [unrolled: 18-line block ×3, first 2 shown]
	v_fma_f64 v[170:171], v[4:5], v[142:143], -v[144:145]
	ds_load_b128 v[4:7], v2 offset:976
	s_wait_loadcnt_dscnt 0xa01
	v_mul_f64_e32 v[168:169], v[158:159], v[156:157]
	v_mul_f64_e32 v[156:157], v[160:161], v[156:157]
	scratch_load_b128 v[142:145], off, off offset:400
	v_add_f64_e32 v[162:163], v[162:163], v[166:167]
	v_add_f64_e32 v[172:173], v[152:153], v[150:151]
	s_wait_loadcnt_dscnt 0xa00
	v_mul_f64_e32 v[166:167], v[4:5], v[140:141]
	v_mul_f64_e32 v[140:141], v[6:7], v[140:141]
	v_fmac_f64_e32 v[168:169], v[160:161], v[154:155]
	v_fma_f64 v[158:159], v[158:159], v[154:155], -v[156:157]
	ds_load_b128 v[150:153], v2 offset:992
	scratch_load_b128 v[154:157], off, off offset:416
	v_add_f64_e32 v[162:163], v[162:163], v[164:165]
	v_add_f64_e32 v[160:161], v[172:173], v[170:171]
	v_fmac_f64_e32 v[166:167], v[6:7], v[138:139]
	v_fma_f64 v[170:171], v[4:5], v[138:139], -v[140:141]
	ds_load_b128 v[4:7], v2 offset:1008
	s_wait_loadcnt_dscnt 0xa01
	v_mul_f64_e32 v[164:165], v[150:151], v[10:11]
	v_mul_f64_e32 v[10:11], v[152:153], v[10:11]
	scratch_load_b128 v[138:141], off, off offset:432
	v_add_f64_e32 v[162:163], v[162:163], v[168:169]
	s_wait_loadcnt_dscnt 0xa00
	v_mul_f64_e32 v[168:169], v[4:5], v[14:15]
	v_add_f64_e32 v[172:173], v[160:161], v[158:159]
	v_mul_f64_e32 v[14:15], v[6:7], v[14:15]
	ds_load_b128 v[158:161], v2 offset:1024
	v_fmac_f64_e32 v[164:165], v[152:153], v[8:9]
	v_fma_f64 v[150:151], v[150:151], v[8:9], -v[10:11]
	scratch_load_b128 v[8:11], off, off offset:448
	v_add_f64_e32 v[162:163], v[162:163], v[166:167]
	v_fmac_f64_e32 v[168:169], v[6:7], v[12:13]
	v_add_f64_e32 v[152:153], v[172:173], v[170:171]
	v_fma_f64 v[170:171], v[4:5], v[12:13], -v[14:15]
	ds_load_b128 v[4:7], v2 offset:1040
	s_wait_loadcnt_dscnt 0xa01
	v_mul_f64_e32 v[166:167], v[158:159], v[18:19]
	v_mul_f64_e32 v[18:19], v[160:161], v[18:19]
	scratch_load_b128 v[12:15], off, off offset:464
	v_add_f64_e32 v[162:163], v[162:163], v[164:165]
	s_wait_loadcnt_dscnt 0xa00
	v_mul_f64_e32 v[164:165], v[4:5], v[22:23]
	v_add_f64_e32 v[172:173], v[152:153], v[150:151]
	v_mul_f64_e32 v[22:23], v[6:7], v[22:23]
	ds_load_b128 v[150:153], v2 offset:1056
	v_fmac_f64_e32 v[166:167], v[160:161], v[16:17]
	v_fma_f64 v[158:159], v[158:159], v[16:17], -v[18:19]
	scratch_load_b128 v[16:19], off, off offset:480
	v_add_f64_e32 v[162:163], v[162:163], v[168:169]
	v_fmac_f64_e32 v[164:165], v[6:7], v[20:21]
	v_add_f64_e32 v[160:161], v[172:173], v[170:171]
	;; [unrolled: 18-line block ×9, first 2 shown]
	v_fma_f64 v[170:171], v[4:5], v[28:29], -v[30:31]
	ds_load_b128 v[4:7], v2 offset:1296
	s_wait_loadcnt_dscnt 0xa01
	v_mul_f64_e32 v[164:165], v[158:159], v[128:129]
	v_mul_f64_e32 v[128:129], v[160:161], v[128:129]
	scratch_load_b128 v[28:31], off, off offset:720
	v_add_f64_e32 v[162:163], v[162:163], v[168:169]
	s_wait_loadcnt_dscnt 0xa00
	v_mul_f64_e32 v[168:169], v[4:5], v[132:133]
	v_add_f64_e32 v[172:173], v[152:153], v[150:151]
	v_mul_f64_e32 v[132:133], v[6:7], v[132:133]
	ds_load_b128 v[150:153], v2 offset:1312
	v_fmac_f64_e32 v[164:165], v[160:161], v[126:127]
	v_fma_f64 v[126:127], v[158:159], v[126:127], -v[128:129]
	s_wait_loadcnt_dscnt 0x900
	v_mul_f64_e32 v[160:161], v[150:151], v[136:137]
	v_mul_f64_e32 v[136:137], v[152:153], v[136:137]
	v_add_f64_e32 v[158:159], v[162:163], v[166:167]
	v_fmac_f64_e32 v[168:169], v[6:7], v[130:131]
	v_add_f64_e32 v[128:129], v[172:173], v[170:171]
	v_fma_f64 v[130:131], v[4:5], v[130:131], -v[132:133]
	v_fmac_f64_e32 v[160:161], v[152:153], v[134:135]
	v_fma_f64 v[134:135], v[150:151], v[134:135], -v[136:137]
	v_add_f64_e32 v[158:159], v[158:159], v[164:165]
	v_add_f64_e32 v[132:133], v[128:129], v[126:127]
	ds_load_b128 v[4:7], v2 offset:1328
	ds_load_b128 v[126:129], v2 offset:1344
	s_wait_loadcnt_dscnt 0x801
	v_mul_f64_e32 v[162:163], v[4:5], v[144:145]
	v_mul_f64_e32 v[144:145], v[6:7], v[144:145]
	s_wait_loadcnt_dscnt 0x700
	v_mul_f64_e32 v[136:137], v[126:127], v[156:157]
	v_mul_f64_e32 v[150:151], v[128:129], v[156:157]
	v_add_f64_e32 v[130:131], v[132:133], v[130:131]
	v_add_f64_e32 v[132:133], v[158:159], v[168:169]
	v_fmac_f64_e32 v[162:163], v[6:7], v[142:143]
	v_fma_f64 v[142:143], v[4:5], v[142:143], -v[144:145]
	v_fmac_f64_e32 v[136:137], v[128:129], v[154:155]
	v_fma_f64 v[126:127], v[126:127], v[154:155], -v[150:151]
	v_add_f64_e32 v[134:135], v[130:131], v[134:135]
	v_add_f64_e32 v[144:145], v[132:133], v[160:161]
	ds_load_b128 v[4:7], v2 offset:1360
	ds_load_b128 v[130:133], v2 offset:1376
	s_wait_loadcnt_dscnt 0x601
	v_mul_f64_e32 v[152:153], v[4:5], v[140:141]
	v_mul_f64_e32 v[140:141], v[6:7], v[140:141]
	v_add_f64_e32 v[128:129], v[134:135], v[142:143]
	v_add_f64_e32 v[134:135], v[144:145], v[162:163]
	s_wait_loadcnt_dscnt 0x500
	v_mul_f64_e32 v[142:143], v[130:131], v[10:11]
	v_mul_f64_e32 v[10:11], v[132:133], v[10:11]
	v_fmac_f64_e32 v[152:153], v[6:7], v[138:139]
	v_fma_f64 v[138:139], v[4:5], v[138:139], -v[140:141]
	v_add_f64_e32 v[140:141], v[128:129], v[126:127]
	v_add_f64_e32 v[134:135], v[134:135], v[136:137]
	ds_load_b128 v[4:7], v2 offset:1392
	ds_load_b128 v[126:129], v2 offset:1408
	v_fmac_f64_e32 v[142:143], v[132:133], v[8:9]
	v_fma_f64 v[8:9], v[130:131], v[8:9], -v[10:11]
	s_wait_loadcnt_dscnt 0x401
	v_mul_f64_e32 v[136:137], v[4:5], v[14:15]
	v_mul_f64_e32 v[14:15], v[6:7], v[14:15]
	s_wait_loadcnt_dscnt 0x300
	v_mul_f64_e32 v[132:133], v[126:127], v[18:19]
	v_mul_f64_e32 v[18:19], v[128:129], v[18:19]
	v_add_f64_e32 v[10:11], v[140:141], v[138:139]
	v_add_f64_e32 v[130:131], v[134:135], v[152:153]
	v_fmac_f64_e32 v[136:137], v[6:7], v[12:13]
	v_fma_f64 v[12:13], v[4:5], v[12:13], -v[14:15]
	v_fmac_f64_e32 v[132:133], v[128:129], v[16:17]
	v_fma_f64 v[16:17], v[126:127], v[16:17], -v[18:19]
	v_add_f64_e32 v[14:15], v[10:11], v[8:9]
	v_add_f64_e32 v[130:131], v[130:131], v[142:143]
	ds_load_b128 v[4:7], v2 offset:1424
	ds_load_b128 v[8:11], v2 offset:1440
	s_wait_loadcnt_dscnt 0x201
	v_mul_f64_e32 v[134:135], v[4:5], v[22:23]
	v_mul_f64_e32 v[22:23], v[6:7], v[22:23]
	s_wait_loadcnt_dscnt 0x100
	v_mul_f64_e32 v[18:19], v[8:9], v[26:27]
	v_mul_f64_e32 v[26:27], v[10:11], v[26:27]
	v_add_f64_e32 v[12:13], v[14:15], v[12:13]
	v_add_f64_e32 v[14:15], v[130:131], v[136:137]
	v_fmac_f64_e32 v[134:135], v[6:7], v[20:21]
	v_fma_f64 v[20:21], v[4:5], v[20:21], -v[22:23]
	ds_load_b128 v[4:7], v2 offset:1456
	v_fmac_f64_e32 v[18:19], v[10:11], v[24:25]
	v_fma_f64 v[8:9], v[8:9], v[24:25], -v[26:27]
	v_add_f64_e32 v[12:13], v[12:13], v[16:17]
	v_add_f64_e32 v[14:15], v[14:15], v[132:133]
	s_wait_loadcnt_dscnt 0x0
	v_mul_f64_e32 v[16:17], v[4:5], v[30:31]
	v_mul_f64_e32 v[22:23], v[6:7], v[30:31]
	s_delay_alu instid0(VALU_DEP_4) | instskip(NEXT) | instid1(VALU_DEP_4)
	v_add_f64_e32 v[10:11], v[12:13], v[20:21]
	v_add_f64_e32 v[12:13], v[14:15], v[134:135]
	s_delay_alu instid0(VALU_DEP_4) | instskip(NEXT) | instid1(VALU_DEP_4)
	v_fmac_f64_e32 v[16:17], v[6:7], v[28:29]
	v_fma_f64 v[4:5], v[4:5], v[28:29], -v[22:23]
	s_delay_alu instid0(VALU_DEP_4) | instskip(NEXT) | instid1(VALU_DEP_4)
	v_add_f64_e32 v[6:7], v[10:11], v[8:9]
	v_add_f64_e32 v[8:9], v[12:13], v[18:19]
	s_delay_alu instid0(VALU_DEP_2) | instskip(NEXT) | instid1(VALU_DEP_2)
	v_add_f64_e32 v[4:5], v[6:7], v[4:5]
	v_add_f64_e32 v[6:7], v[8:9], v[16:17]
	s_delay_alu instid0(VALU_DEP_2) | instskip(NEXT) | instid1(VALU_DEP_2)
	v_add_f64_e64 v[4:5], v[146:147], -v[4:5]
	v_add_f64_e64 v[6:7], v[148:149], -v[6:7]
	scratch_store_b128 off, v[4:7], off offset:32
	s_wait_xcnt 0x0
	v_cmpx_lt_u32_e32 1, v1
	s_cbranch_execz .LBB109_287
; %bb.286:
	scratch_load_b128 v[6:9], off, s18
	v_dual_mov_b32 v3, v2 :: v_dual_mov_b32 v4, v2
	v_mov_b32_e32 v5, v2
	scratch_store_b128 off, v[2:5], off offset:16
	s_wait_loadcnt 0x0
	ds_store_b128 v124, v[6:9]
.LBB109_287:
	s_wait_xcnt 0x0
	s_or_b32 exec_lo, exec_lo, s2
	s_wait_storecnt_dscnt 0x0
	s_barrier_signal -1
	s_barrier_wait -1
	s_clause 0x9
	scratch_load_b128 v[4:7], off, off offset:32
	scratch_load_b128 v[8:11], off, off offset:48
	;; [unrolled: 1-line block ×10, first 2 shown]
	ds_load_b128 v[138:141], v2 offset:768
	ds_load_b128 v[146:149], v2 offset:784
	s_clause 0x2
	scratch_load_b128 v[142:145], off, off offset:192
	scratch_load_b128 v[150:153], off, off offset:16
	scratch_load_b128 v[154:157], off, off offset:208
	s_mov_b32 s2, exec_lo
	s_wait_loadcnt_dscnt 0xc01
	v_mul_f64_e32 v[158:159], v[140:141], v[6:7]
	v_mul_f64_e32 v[162:163], v[138:139], v[6:7]
	s_wait_loadcnt_dscnt 0xb00
	v_mul_f64_e32 v[164:165], v[146:147], v[10:11]
	v_mul_f64_e32 v[10:11], v[148:149], v[10:11]
	s_delay_alu instid0(VALU_DEP_4) | instskip(NEXT) | instid1(VALU_DEP_4)
	v_fma_f64 v[166:167], v[138:139], v[4:5], -v[158:159]
	v_fmac_f64_e32 v[162:163], v[140:141], v[4:5]
	ds_load_b128 v[4:7], v2 offset:800
	ds_load_b128 v[138:141], v2 offset:816
	scratch_load_b128 v[158:161], off, off offset:224
	v_fmac_f64_e32 v[164:165], v[148:149], v[8:9]
	v_fma_f64 v[146:147], v[146:147], v[8:9], -v[10:11]
	scratch_load_b128 v[8:11], off, off offset:240
	s_wait_loadcnt_dscnt 0xc01
	v_mul_f64_e32 v[168:169], v[4:5], v[14:15]
	v_mul_f64_e32 v[14:15], v[6:7], v[14:15]
	v_add_f64_e32 v[148:149], 0, v[166:167]
	v_add_f64_e32 v[162:163], 0, v[162:163]
	s_wait_loadcnt_dscnt 0xb00
	v_mul_f64_e32 v[166:167], v[138:139], v[18:19]
	v_mul_f64_e32 v[18:19], v[140:141], v[18:19]
	v_fmac_f64_e32 v[168:169], v[6:7], v[12:13]
	v_fma_f64 v[170:171], v[4:5], v[12:13], -v[14:15]
	ds_load_b128 v[4:7], v2 offset:832
	ds_load_b128 v[12:15], v2 offset:848
	v_add_f64_e32 v[172:173], v[148:149], v[146:147]
	v_add_f64_e32 v[162:163], v[162:163], v[164:165]
	scratch_load_b128 v[146:149], off, off offset:256
	v_fmac_f64_e32 v[166:167], v[140:141], v[16:17]
	v_fma_f64 v[138:139], v[138:139], v[16:17], -v[18:19]
	scratch_load_b128 v[16:19], off, off offset:272
	s_wait_loadcnt_dscnt 0xc01
	v_mul_f64_e32 v[164:165], v[4:5], v[22:23]
	v_mul_f64_e32 v[22:23], v[6:7], v[22:23]
	v_add_f64_e32 v[140:141], v[172:173], v[170:171]
	v_add_f64_e32 v[162:163], v[162:163], v[168:169]
	s_wait_loadcnt_dscnt 0xb00
	v_mul_f64_e32 v[168:169], v[12:13], v[26:27]
	v_mul_f64_e32 v[26:27], v[14:15], v[26:27]
	v_fmac_f64_e32 v[164:165], v[6:7], v[20:21]
	v_fma_f64 v[170:171], v[4:5], v[20:21], -v[22:23]
	ds_load_b128 v[4:7], v2 offset:864
	ds_load_b128 v[20:23], v2 offset:880
	v_add_f64_e32 v[172:173], v[140:141], v[138:139]
	v_add_f64_e32 v[162:163], v[162:163], v[166:167]
	scratch_load_b128 v[138:141], off, off offset:288
	s_wait_loadcnt_dscnt 0xb01
	v_mul_f64_e32 v[166:167], v[4:5], v[30:31]
	v_mul_f64_e32 v[30:31], v[6:7], v[30:31]
	v_fmac_f64_e32 v[168:169], v[14:15], v[24:25]
	v_fma_f64 v[24:25], v[12:13], v[24:25], -v[26:27]
	scratch_load_b128 v[12:15], off, off offset:304
	v_add_f64_e32 v[26:27], v[172:173], v[170:171]
	v_add_f64_e32 v[162:163], v[162:163], v[164:165]
	s_wait_loadcnt_dscnt 0xb00
	v_mul_f64_e32 v[164:165], v[20:21], v[128:129]
	v_mul_f64_e32 v[128:129], v[22:23], v[128:129]
	v_fmac_f64_e32 v[166:167], v[6:7], v[28:29]
	v_fma_f64 v[170:171], v[4:5], v[28:29], -v[30:31]
	v_add_f64_e32 v[172:173], v[26:27], v[24:25]
	v_add_f64_e32 v[162:163], v[162:163], v[168:169]
	ds_load_b128 v[4:7], v2 offset:896
	ds_load_b128 v[24:27], v2 offset:912
	scratch_load_b128 v[28:31], off, off offset:320
	v_fmac_f64_e32 v[164:165], v[22:23], v[126:127]
	v_fma_f64 v[126:127], v[20:21], v[126:127], -v[128:129]
	scratch_load_b128 v[20:23], off, off offset:336
	s_wait_loadcnt_dscnt 0xc01
	v_mul_f64_e32 v[168:169], v[4:5], v[132:133]
	v_mul_f64_e32 v[132:133], v[6:7], v[132:133]
	v_add_f64_e32 v[128:129], v[172:173], v[170:171]
	v_add_f64_e32 v[162:163], v[162:163], v[166:167]
	s_wait_loadcnt_dscnt 0xb00
	v_mul_f64_e32 v[166:167], v[24:25], v[136:137]
	v_mul_f64_e32 v[136:137], v[26:27], v[136:137]
	v_fmac_f64_e32 v[168:169], v[6:7], v[130:131]
	v_fma_f64 v[170:171], v[4:5], v[130:131], -v[132:133]
	v_add_f64_e32 v[172:173], v[128:129], v[126:127]
	v_add_f64_e32 v[162:163], v[162:163], v[164:165]
	ds_load_b128 v[4:7], v2 offset:928
	ds_load_b128 v[126:129], v2 offset:944
	scratch_load_b128 v[130:133], off, off offset:352
	v_fmac_f64_e32 v[166:167], v[26:27], v[134:135]
	v_fma_f64 v[134:135], v[24:25], v[134:135], -v[136:137]
	scratch_load_b128 v[24:27], off, off offset:368
	s_wait_loadcnt_dscnt 0xc01
	v_mul_f64_e32 v[164:165], v[4:5], v[144:145]
	v_mul_f64_e32 v[144:145], v[6:7], v[144:145]
	;; [unrolled: 18-line block ×5, first 2 shown]
	v_add_f64_e32 v[156:157], v[172:173], v[170:171]
	v_add_f64_e32 v[162:163], v[162:163], v[168:169]
	s_wait_loadcnt_dscnt 0xa00
	v_mul_f64_e32 v[168:169], v[134:135], v[14:15]
	v_mul_f64_e32 v[14:15], v[136:137], v[14:15]
	v_fmac_f64_e32 v[164:165], v[6:7], v[138:139]
	v_fma_f64 v[170:171], v[4:5], v[138:139], -v[140:141]
	ds_load_b128 v[4:7], v2 offset:1056
	ds_load_b128 v[138:141], v2 offset:1072
	v_add_f64_e32 v[172:173], v[156:157], v[154:155]
	v_add_f64_e32 v[162:163], v[162:163], v[166:167]
	scratch_load_b128 v[154:157], off, off offset:480
	v_fmac_f64_e32 v[168:169], v[136:137], v[12:13]
	v_fma_f64 v[134:135], v[134:135], v[12:13], -v[14:15]
	scratch_load_b128 v[12:15], off, off offset:496
	s_wait_loadcnt_dscnt 0xb01
	v_mul_f64_e32 v[166:167], v[4:5], v[30:31]
	v_mul_f64_e32 v[30:31], v[6:7], v[30:31]
	v_add_f64_e32 v[136:137], v[172:173], v[170:171]
	v_add_f64_e32 v[162:163], v[162:163], v[164:165]
	s_wait_loadcnt_dscnt 0xa00
	v_mul_f64_e32 v[164:165], v[138:139], v[22:23]
	v_mul_f64_e32 v[22:23], v[140:141], v[22:23]
	v_fmac_f64_e32 v[166:167], v[6:7], v[28:29]
	v_fma_f64 v[170:171], v[4:5], v[28:29], -v[30:31]
	ds_load_b128 v[4:7], v2 offset:1088
	ds_load_b128 v[28:31], v2 offset:1104
	v_add_f64_e32 v[172:173], v[136:137], v[134:135]
	v_add_f64_e32 v[162:163], v[162:163], v[168:169]
	scratch_load_b128 v[134:137], off, off offset:512
	s_wait_loadcnt_dscnt 0xa01
	v_mul_f64_e32 v[168:169], v[4:5], v[132:133]
	v_mul_f64_e32 v[132:133], v[6:7], v[132:133]
	v_fmac_f64_e32 v[164:165], v[140:141], v[20:21]
	v_fma_f64 v[138:139], v[138:139], v[20:21], -v[22:23]
	scratch_load_b128 v[20:23], off, off offset:528
	v_add_f64_e32 v[140:141], v[172:173], v[170:171]
	v_add_f64_e32 v[162:163], v[162:163], v[166:167]
	s_wait_loadcnt_dscnt 0xa00
	v_mul_f64_e32 v[166:167], v[28:29], v[26:27]
	v_mul_f64_e32 v[26:27], v[30:31], v[26:27]
	v_fmac_f64_e32 v[168:169], v[6:7], v[130:131]
	v_fma_f64 v[170:171], v[4:5], v[130:131], -v[132:133]
	ds_load_b128 v[4:7], v2 offset:1120
	ds_load_b128 v[130:133], v2 offset:1136
	v_add_f64_e32 v[172:173], v[140:141], v[138:139]
	v_add_f64_e32 v[162:163], v[162:163], v[164:165]
	scratch_load_b128 v[138:141], off, off offset:544
	s_wait_loadcnt_dscnt 0xa01
	v_mul_f64_e32 v[164:165], v[4:5], v[144:145]
	v_mul_f64_e32 v[144:145], v[6:7], v[144:145]
	v_fmac_f64_e32 v[166:167], v[30:31], v[24:25]
	v_fma_f64 v[28:29], v[28:29], v[24:25], -v[26:27]
	scratch_load_b128 v[24:27], off, off offset:560
	v_add_f64_e32 v[30:31], v[172:173], v[170:171]
	v_add_f64_e32 v[162:163], v[162:163], v[168:169]
	s_wait_loadcnt_dscnt 0xa00
	v_mul_f64_e32 v[168:169], v[130:131], v[128:129]
	v_mul_f64_e32 v[128:129], v[132:133], v[128:129]
	v_fmac_f64_e32 v[164:165], v[6:7], v[142:143]
	v_fma_f64 v[170:171], v[4:5], v[142:143], -v[144:145]
	v_add_f64_e32 v[172:173], v[30:31], v[28:29]
	v_add_f64_e32 v[162:163], v[162:163], v[166:167]
	ds_load_b128 v[4:7], v2 offset:1152
	ds_load_b128 v[28:31], v2 offset:1168
	scratch_load_b128 v[142:145], off, off offset:576
	v_fmac_f64_e32 v[168:169], v[132:133], v[126:127]
	v_fma_f64 v[130:131], v[130:131], v[126:127], -v[128:129]
	scratch_load_b128 v[126:129], off, off offset:592
	s_wait_loadcnt_dscnt 0xb01
	v_mul_f64_e32 v[166:167], v[4:5], v[160:161]
	v_mul_f64_e32 v[160:161], v[6:7], v[160:161]
	v_add_f64_e32 v[132:133], v[172:173], v[170:171]
	v_add_f64_e32 v[162:163], v[162:163], v[164:165]
	s_wait_loadcnt_dscnt 0xa00
	v_mul_f64_e32 v[164:165], v[28:29], v[10:11]
	v_mul_f64_e32 v[10:11], v[30:31], v[10:11]
	v_fmac_f64_e32 v[166:167], v[6:7], v[158:159]
	v_fma_f64 v[170:171], v[4:5], v[158:159], -v[160:161]
	v_add_f64_e32 v[172:173], v[132:133], v[130:131]
	v_add_f64_e32 v[162:163], v[162:163], v[168:169]
	ds_load_b128 v[4:7], v2 offset:1184
	ds_load_b128 v[130:133], v2 offset:1200
	scratch_load_b128 v[158:161], off, off offset:608
	v_fmac_f64_e32 v[164:165], v[30:31], v[8:9]
	v_fma_f64 v[28:29], v[28:29], v[8:9], -v[10:11]
	scratch_load_b128 v[8:11], off, off offset:624
	s_wait_loadcnt_dscnt 0xb01
	v_mul_f64_e32 v[168:169], v[4:5], v[148:149]
	v_mul_f64_e32 v[148:149], v[6:7], v[148:149]
	;; [unrolled: 18-line block ×5, first 2 shown]
	v_add_f64_e32 v[132:133], v[172:173], v[170:171]
	v_add_f64_e32 v[162:163], v[162:163], v[166:167]
	s_wait_loadcnt_dscnt 0xa00
	v_mul_f64_e32 v[166:167], v[28:29], v[26:27]
	v_mul_f64_e32 v[26:27], v[30:31], v[26:27]
	v_fmac_f64_e32 v[168:169], v[6:7], v[138:139]
	v_fma_f64 v[138:139], v[4:5], v[138:139], -v[140:141]
	v_add_f64_e32 v[140:141], v[132:133], v[130:131]
	v_add_f64_e32 v[162:163], v[162:163], v[164:165]
	ds_load_b128 v[4:7], v2 offset:1312
	ds_load_b128 v[130:133], v2 offset:1328
	v_fmac_f64_e32 v[166:167], v[30:31], v[24:25]
	v_fma_f64 v[24:25], v[28:29], v[24:25], -v[26:27]
	s_wait_loadcnt_dscnt 0x901
	v_mul_f64_e32 v[164:165], v[4:5], v[144:145]
	v_mul_f64_e32 v[144:145], v[6:7], v[144:145]
	s_wait_loadcnt_dscnt 0x800
	v_mul_f64_e32 v[30:31], v[130:131], v[128:129]
	v_mul_f64_e32 v[128:129], v[132:133], v[128:129]
	v_add_f64_e32 v[26:27], v[140:141], v[138:139]
	v_add_f64_e32 v[28:29], v[162:163], v[168:169]
	v_fmac_f64_e32 v[164:165], v[6:7], v[142:143]
	v_fma_f64 v[138:139], v[4:5], v[142:143], -v[144:145]
	v_fmac_f64_e32 v[30:31], v[132:133], v[126:127]
	v_fma_f64 v[126:127], v[130:131], v[126:127], -v[128:129]
	v_add_f64_e32 v[140:141], v[26:27], v[24:25]
	v_add_f64_e32 v[28:29], v[28:29], v[166:167]
	ds_load_b128 v[4:7], v2 offset:1344
	ds_load_b128 v[24:27], v2 offset:1360
	s_wait_loadcnt_dscnt 0x701
	v_mul_f64_e32 v[142:143], v[4:5], v[160:161]
	v_mul_f64_e32 v[144:145], v[6:7], v[160:161]
	s_wait_loadcnt_dscnt 0x600
	v_mul_f64_e32 v[130:131], v[24:25], v[10:11]
	v_mul_f64_e32 v[10:11], v[26:27], v[10:11]
	v_add_f64_e32 v[128:129], v[140:141], v[138:139]
	v_add_f64_e32 v[28:29], v[28:29], v[164:165]
	v_fmac_f64_e32 v[142:143], v[6:7], v[158:159]
	v_fma_f64 v[132:133], v[4:5], v[158:159], -v[144:145]
	v_fmac_f64_e32 v[130:131], v[26:27], v[8:9]
	v_fma_f64 v[8:9], v[24:25], v[8:9], -v[10:11]
	v_add_f64_e32 v[126:127], v[128:129], v[126:127]
	v_add_f64_e32 v[128:129], v[28:29], v[30:31]
	ds_load_b128 v[4:7], v2 offset:1376
	ds_load_b128 v[28:31], v2 offset:1392
	s_wait_loadcnt_dscnt 0x501
	v_mul_f64_e32 v[138:139], v[4:5], v[148:149]
	v_mul_f64_e32 v[140:141], v[6:7], v[148:149]
	s_wait_loadcnt_dscnt 0x400
	v_mul_f64_e32 v[26:27], v[28:29], v[18:19]
	v_mul_f64_e32 v[18:19], v[30:31], v[18:19]
	v_add_f64_e32 v[10:11], v[126:127], v[132:133]
	v_add_f64_e32 v[24:25], v[128:129], v[142:143]
	v_fmac_f64_e32 v[138:139], v[6:7], v[146:147]
	v_fma_f64 v[126:127], v[4:5], v[146:147], -v[140:141]
	v_fmac_f64_e32 v[26:27], v[30:31], v[16:17]
	v_fma_f64 v[16:17], v[28:29], v[16:17], -v[18:19]
	v_add_f64_e32 v[128:129], v[10:11], v[8:9]
	v_add_f64_e32 v[24:25], v[24:25], v[130:131]
	ds_load_b128 v[4:7], v2 offset:1408
	ds_load_b128 v[8:11], v2 offset:1424
	s_wait_loadcnt_dscnt 0x301
	v_mul_f64_e32 v[130:131], v[4:5], v[156:157]
	v_mul_f64_e32 v[132:133], v[6:7], v[156:157]
	s_wait_loadcnt_dscnt 0x200
	v_mul_f64_e32 v[28:29], v[8:9], v[14:15]
	v_mul_f64_e32 v[30:31], v[10:11], v[14:15]
	v_add_f64_e32 v[18:19], v[128:129], v[126:127]
	v_add_f64_e32 v[24:25], v[24:25], v[138:139]
	v_fmac_f64_e32 v[130:131], v[6:7], v[154:155]
	v_fma_f64 v[126:127], v[4:5], v[154:155], -v[132:133]
	v_fmac_f64_e32 v[28:29], v[10:11], v[12:13]
	v_fma_f64 v[8:9], v[8:9], v[12:13], -v[30:31]
	v_add_f64_e32 v[18:19], v[18:19], v[16:17]
	v_add_f64_e32 v[24:25], v[24:25], v[26:27]
	ds_load_b128 v[4:7], v2 offset:1440
	ds_load_b128 v[14:17], v2 offset:1456
	s_wait_loadcnt_dscnt 0x101
	v_mul_f64_e32 v[2:3], v[4:5], v[136:137]
	v_mul_f64_e32 v[26:27], v[6:7], v[136:137]
	v_add_f64_e32 v[10:11], v[18:19], v[126:127]
	v_add_f64_e32 v[12:13], v[24:25], v[130:131]
	s_wait_loadcnt_dscnt 0x0
	v_mul_f64_e32 v[18:19], v[14:15], v[22:23]
	v_mul_f64_e32 v[22:23], v[16:17], v[22:23]
	v_fmac_f64_e32 v[2:3], v[6:7], v[134:135]
	v_fma_f64 v[4:5], v[4:5], v[134:135], -v[26:27]
	v_add_f64_e32 v[6:7], v[10:11], v[8:9]
	v_add_f64_e32 v[8:9], v[12:13], v[28:29]
	v_fmac_f64_e32 v[18:19], v[16:17], v[20:21]
	v_fma_f64 v[10:11], v[14:15], v[20:21], -v[22:23]
	s_delay_alu instid0(VALU_DEP_4) | instskip(NEXT) | instid1(VALU_DEP_4)
	v_add_f64_e32 v[4:5], v[6:7], v[4:5]
	v_add_f64_e32 v[2:3], v[8:9], v[2:3]
	s_delay_alu instid0(VALU_DEP_2) | instskip(NEXT) | instid1(VALU_DEP_2)
	v_add_f64_e32 v[4:5], v[4:5], v[10:11]
	v_add_f64_e32 v[6:7], v[2:3], v[18:19]
	s_delay_alu instid0(VALU_DEP_2) | instskip(NEXT) | instid1(VALU_DEP_2)
	v_add_f64_e64 v[2:3], v[150:151], -v[4:5]
	v_add_f64_e64 v[4:5], v[152:153], -v[6:7]
	scratch_store_b128 off, v[2:5], off offset:16
	s_wait_xcnt 0x0
	v_cmpx_ne_u32_e32 0, v1
	s_cbranch_execz .LBB109_289
; %bb.288:
	scratch_load_b128 v[2:5], off, off
	v_mov_b32_e32 v6, 0
	s_delay_alu instid0(VALU_DEP_1)
	v_dual_mov_b32 v7, v6 :: v_dual_mov_b32 v8, v6
	v_mov_b32_e32 v9, v6
	scratch_store_b128 off, v[6:9], off
	s_wait_loadcnt 0x0
	ds_store_b128 v124, v[2:5]
.LBB109_289:
	s_wait_xcnt 0x0
	s_or_b32 exec_lo, exec_lo, s2
	s_wait_storecnt_dscnt 0x0
	s_barrier_signal -1
	s_barrier_wait -1
	s_clause 0x9
	scratch_load_b128 v[2:5], off, off offset:16
	scratch_load_b128 v[6:9], off, off offset:32
	;; [unrolled: 1-line block ×10, first 2 shown]
	v_mov_b32_e32 v150, 0
	v_lshl_add_u64 v[66:67], v[66:67], 4, s[4:5]
	s_and_b32 vcc_lo, exec_lo, s58
	ds_load_b128 v[136:139], v150 offset:752
	s_clause 0x2
	scratch_load_b128 v[140:143], off, off offset:176
	scratch_load_b128 v[152:155], off, off
	scratch_load_b128 v[156:159], off, off offset:192
	s_wait_loadcnt_dscnt 0xc00
	v_mul_f64_e32 v[30:31], v[138:139], v[4:5]
	v_mul_f64_e32 v[148:149], v[136:137], v[4:5]
	ds_load_b128 v[144:147], v150 offset:768
	ds_load_b128 v[160:163], v150 offset:800
	v_fma_f64 v[30:31], v[136:137], v[2:3], -v[30:31]
	v_fmac_f64_e32 v[148:149], v[138:139], v[2:3]
	ds_load_b128 v[2:5], v150 offset:784
	s_wait_loadcnt_dscnt 0xb02
	v_mul_f64_e32 v[164:165], v[144:145], v[8:9]
	v_mul_f64_e32 v[8:9], v[146:147], v[8:9]
	scratch_load_b128 v[136:139], off, off offset:208
	s_wait_loadcnt_dscnt 0xb00
	v_mul_f64_e32 v[166:167], v[2:3], v[12:13]
	v_mul_f64_e32 v[12:13], v[4:5], v[12:13]
	v_add_f64_e32 v[30:31], 0, v[30:31]
	v_fmac_f64_e32 v[164:165], v[146:147], v[6:7]
	v_fma_f64 v[144:145], v[144:145], v[6:7], -v[8:9]
	v_add_f64_e32 v[146:147], 0, v[148:149]
	scratch_load_b128 v[6:9], off, off offset:224
	v_fmac_f64_e32 v[166:167], v[4:5], v[10:11]
	v_fma_f64 v[168:169], v[2:3], v[10:11], -v[12:13]
	ds_load_b128 v[2:5], v150 offset:816
	s_wait_loadcnt 0xb
	v_mul_f64_e32 v[148:149], v[160:161], v[16:17]
	v_mul_f64_e32 v[16:17], v[162:163], v[16:17]
	scratch_load_b128 v[10:13], off, off offset:240
	v_add_f64_e32 v[30:31], v[30:31], v[144:145]
	v_add_f64_e32 v[164:165], v[146:147], v[164:165]
	ds_load_b128 v[144:147], v150 offset:832
	s_wait_loadcnt_dscnt 0xb01
	v_mul_f64_e32 v[170:171], v[2:3], v[20:21]
	v_mul_f64_e32 v[20:21], v[4:5], v[20:21]
	v_fmac_f64_e32 v[148:149], v[162:163], v[14:15]
	v_fma_f64 v[160:161], v[160:161], v[14:15], -v[16:17]
	scratch_load_b128 v[14:17], off, off offset:256
	v_add_f64_e32 v[30:31], v[30:31], v[168:169]
	v_add_f64_e32 v[162:163], v[164:165], v[166:167]
	v_fmac_f64_e32 v[170:171], v[4:5], v[18:19]
	v_fma_f64 v[166:167], v[2:3], v[18:19], -v[20:21]
	ds_load_b128 v[2:5], v150 offset:848
	s_wait_loadcnt_dscnt 0xb01
	v_mul_f64_e32 v[164:165], v[144:145], v[24:25]
	v_mul_f64_e32 v[24:25], v[146:147], v[24:25]
	scratch_load_b128 v[18:21], off, off offset:272
	s_wait_loadcnt_dscnt 0xb00
	v_mul_f64_e32 v[168:169], v[2:3], v[28:29]
	v_mul_f64_e32 v[28:29], v[4:5], v[28:29]
	v_add_f64_e32 v[30:31], v[30:31], v[160:161]
	v_add_f64_e32 v[148:149], v[162:163], v[148:149]
	ds_load_b128 v[160:163], v150 offset:864
	v_fmac_f64_e32 v[164:165], v[146:147], v[22:23]
	v_fma_f64 v[144:145], v[144:145], v[22:23], -v[24:25]
	scratch_load_b128 v[22:25], off, off offset:288
	v_fmac_f64_e32 v[168:169], v[4:5], v[26:27]
	v_add_f64_e32 v[30:31], v[30:31], v[166:167]
	v_add_f64_e32 v[146:147], v[148:149], v[170:171]
	v_fma_f64 v[166:167], v[2:3], v[26:27], -v[28:29]
	ds_load_b128 v[2:5], v150 offset:880
	s_wait_loadcnt_dscnt 0xb01
	v_mul_f64_e32 v[148:149], v[160:161], v[126:127]
	v_mul_f64_e32 v[126:127], v[162:163], v[126:127]
	scratch_load_b128 v[26:29], off, off offset:304
	s_wait_loadcnt_dscnt 0xb00
	v_mul_f64_e32 v[170:171], v[2:3], v[130:131]
	v_mul_f64_e32 v[130:131], v[4:5], v[130:131]
	v_add_f64_e32 v[30:31], v[30:31], v[144:145]
	v_add_f64_e32 v[164:165], v[146:147], v[164:165]
	ds_load_b128 v[144:147], v150 offset:896
	v_fmac_f64_e32 v[148:149], v[162:163], v[124:125]
	v_fma_f64 v[160:161], v[160:161], v[124:125], -v[126:127]
	scratch_load_b128 v[124:127], off, off offset:320
	v_fmac_f64_e32 v[170:171], v[4:5], v[128:129]
	v_add_f64_e32 v[30:31], v[30:31], v[166:167]
	v_add_f64_e32 v[162:163], v[164:165], v[168:169]
	;; [unrolled: 18-line block ×3, first 2 shown]
	v_fma_f64 v[166:167], v[2:3], v[140:141], -v[142:143]
	ds_load_b128 v[2:5], v150 offset:944
	s_wait_loadcnt_dscnt 0xa01
	v_mul_f64_e32 v[148:149], v[160:161], v[158:159]
	v_mul_f64_e32 v[158:159], v[162:163], v[158:159]
	scratch_load_b128 v[140:143], off, off offset:368
	v_add_f64_e32 v[30:31], v[30:31], v[144:145]
	v_add_f64_e32 v[164:165], v[146:147], v[164:165]
	s_wait_loadcnt_dscnt 0xa00
	v_mul_f64_e32 v[170:171], v[2:3], v[138:139]
	v_mul_f64_e32 v[138:139], v[4:5], v[138:139]
	v_fmac_f64_e32 v[148:149], v[162:163], v[156:157]
	v_fma_f64 v[160:161], v[160:161], v[156:157], -v[158:159]
	ds_load_b128 v[144:147], v150 offset:960
	scratch_load_b128 v[156:159], off, off offset:384
	v_add_f64_e32 v[30:31], v[30:31], v[166:167]
	v_add_f64_e32 v[162:163], v[164:165], v[168:169]
	v_fmac_f64_e32 v[170:171], v[4:5], v[136:137]
	v_fma_f64 v[166:167], v[2:3], v[136:137], -v[138:139]
	ds_load_b128 v[2:5], v150 offset:976
	s_wait_loadcnt_dscnt 0xa01
	v_mul_f64_e32 v[164:165], v[144:145], v[8:9]
	v_mul_f64_e32 v[8:9], v[146:147], v[8:9]
	scratch_load_b128 v[136:139], off, off offset:400
	s_wait_loadcnt_dscnt 0xa00
	v_mul_f64_e32 v[168:169], v[2:3], v[12:13]
	v_mul_f64_e32 v[12:13], v[4:5], v[12:13]
	v_add_f64_e32 v[30:31], v[30:31], v[160:161]
	v_add_f64_e32 v[148:149], v[162:163], v[148:149]
	ds_load_b128 v[160:163], v150 offset:992
	v_fmac_f64_e32 v[164:165], v[146:147], v[6:7]
	v_fma_f64 v[144:145], v[144:145], v[6:7], -v[8:9]
	scratch_load_b128 v[6:9], off, off offset:416
	v_fmac_f64_e32 v[168:169], v[4:5], v[10:11]
	v_add_f64_e32 v[30:31], v[30:31], v[166:167]
	v_add_f64_e32 v[146:147], v[148:149], v[170:171]
	v_fma_f64 v[166:167], v[2:3], v[10:11], -v[12:13]
	ds_load_b128 v[2:5], v150 offset:1008
	s_wait_loadcnt_dscnt 0xa01
	v_mul_f64_e32 v[148:149], v[160:161], v[16:17]
	v_mul_f64_e32 v[16:17], v[162:163], v[16:17]
	scratch_load_b128 v[10:13], off, off offset:432
	s_wait_loadcnt_dscnt 0xa00
	v_mul_f64_e32 v[170:171], v[2:3], v[20:21]
	v_mul_f64_e32 v[20:21], v[4:5], v[20:21]
	v_add_f64_e32 v[30:31], v[30:31], v[144:145]
	v_add_f64_e32 v[164:165], v[146:147], v[164:165]
	ds_load_b128 v[144:147], v150 offset:1024
	v_fmac_f64_e32 v[148:149], v[162:163], v[14:15]
	v_fma_f64 v[160:161], v[160:161], v[14:15], -v[16:17]
	scratch_load_b128 v[14:17], off, off offset:448
	v_fmac_f64_e32 v[170:171], v[4:5], v[18:19]
	v_add_f64_e32 v[30:31], v[30:31], v[166:167]
	v_add_f64_e32 v[162:163], v[164:165], v[168:169]
	;; [unrolled: 18-line block ×10, first 2 shown]
	v_fma_f64 v[166:167], v[2:3], v[128:129], -v[130:131]
	ds_load_b128 v[2:5], v150 offset:1296
	s_wait_loadcnt_dscnt 0xa01
	v_mul_f64_e32 v[164:165], v[144:145], v[134:135]
	v_mul_f64_e32 v[134:135], v[146:147], v[134:135]
	scratch_load_b128 v[128:131], off, off offset:720
	s_wait_loadcnt_dscnt 0xa00
	v_mul_f64_e32 v[168:169], v[2:3], v[142:143]
	v_mul_f64_e32 v[142:143], v[4:5], v[142:143]
	v_add_f64_e32 v[30:31], v[30:31], v[160:161]
	v_add_f64_e32 v[148:149], v[162:163], v[148:149]
	ds_load_b128 v[160:163], v150 offset:1312
	v_fmac_f64_e32 v[164:165], v[146:147], v[132:133]
	v_fma_f64 v[132:133], v[144:145], v[132:133], -v[134:135]
	s_wait_loadcnt_dscnt 0x900
	v_mul_f64_e32 v[144:145], v[160:161], v[158:159]
	v_mul_f64_e32 v[146:147], v[162:163], v[158:159]
	v_fmac_f64_e32 v[168:169], v[4:5], v[140:141]
	v_fma_f64 v[140:141], v[2:3], v[140:141], -v[142:143]
	v_add_f64_e32 v[30:31], v[30:31], v[166:167]
	v_add_f64_e32 v[134:135], v[148:149], v[170:171]
	v_fmac_f64_e32 v[144:145], v[162:163], v[156:157]
	v_fma_f64 v[146:147], v[160:161], v[156:157], -v[146:147]
	s_delay_alu instid0(VALU_DEP_4) | instskip(NEXT) | instid1(VALU_DEP_4)
	v_add_f64_e32 v[30:31], v[30:31], v[132:133]
	v_add_f64_e32 v[142:143], v[134:135], v[164:165]
	ds_load_b128 v[2:5], v150 offset:1328
	ds_load_b128 v[132:135], v150 offset:1344
	s_wait_loadcnt_dscnt 0x801
	v_mul_f64_e32 v[148:149], v[2:3], v[138:139]
	v_mul_f64_e32 v[138:139], v[4:5], v[138:139]
	v_add_f64_e32 v[30:31], v[30:31], v[140:141]
	v_add_f64_e32 v[140:141], v[142:143], v[168:169]
	s_wait_loadcnt_dscnt 0x700
	v_mul_f64_e32 v[142:143], v[132:133], v[8:9]
	v_mul_f64_e32 v[8:9], v[134:135], v[8:9]
	v_fmac_f64_e32 v[148:149], v[4:5], v[136:137]
	v_fma_f64 v[156:157], v[2:3], v[136:137], -v[138:139]
	ds_load_b128 v[2:5], v150 offset:1360
	ds_load_b128 v[136:139], v150 offset:1376
	v_add_f64_e32 v[30:31], v[30:31], v[146:147]
	v_add_f64_e32 v[140:141], v[140:141], v[144:145]
	v_fmac_f64_e32 v[142:143], v[134:135], v[6:7]
	v_fma_f64 v[6:7], v[132:133], v[6:7], -v[8:9]
	v_lshl_add_u64 v[146:147], v[38:39], 4, s[4:5]
	v_lshl_add_u64 v[38:39], v[90:91], 4, s[4:5]
	s_wait_loadcnt_dscnt 0x601
	v_mul_f64_e32 v[144:145], v[2:3], v[12:13]
	v_mul_f64_e32 v[12:13], v[4:5], v[12:13]
	s_wait_loadcnt_dscnt 0x500
	v_mul_f64_e32 v[132:133], v[136:137], v[16:17]
	v_mul_f64_e32 v[16:17], v[138:139], v[16:17]
	v_add_f64_e32 v[8:9], v[30:31], v[156:157]
	v_add_f64_e32 v[30:31], v[140:141], v[148:149]
	v_lshl_add_u64 v[148:149], v[36:37], 4, s[4:5]
	v_lshl_add_u64 v[140:141], v[44:45], 4, s[4:5]
	v_lshl_add_u64 v[44:45], v[84:85], 4, s[4:5]
	v_lshl_add_u64 v[36:37], v[92:93], 4, s[4:5]
	v_fmac_f64_e32 v[144:145], v[4:5], v[10:11]
	v_fma_f64 v[10:11], v[2:3], v[10:11], -v[12:13]
	v_fmac_f64_e32 v[132:133], v[138:139], v[14:15]
	v_fma_f64 v[14:15], v[136:137], v[14:15], -v[16:17]
	v_lshl_add_u64 v[138:139], v[46:47], 4, s[4:5]
	v_lshl_add_u64 v[136:137], v[48:49], 4, s[4:5]
	;; [unrolled: 1-line block ×4, first 2 shown]
	v_add_f64_e32 v[12:13], v[8:9], v[6:7]
	v_add_f64_e32 v[30:31], v[30:31], v[142:143]
	ds_load_b128 v[2:5], v150 offset:1392
	ds_load_b128 v[6:9], v150 offset:1408
	v_lshl_add_u64 v[142:143], v[42:43], 4, s[4:5]
	v_lshl_add_u64 v[42:43], v[86:87], 4, s[4:5]
	s_wait_loadcnt_dscnt 0x401
	v_mul_f64_e32 v[134:135], v[2:3], v[20:21]
	v_mul_f64_e32 v[20:21], v[4:5], v[20:21]
	s_wait_loadcnt_dscnt 0x300
	v_mul_f64_e32 v[16:17], v[6:7], v[24:25]
	v_mul_f64_e32 v[24:25], v[8:9], v[24:25]
	v_add_f64_e32 v[10:11], v[12:13], v[10:11]
	v_add_f64_e32 v[12:13], v[30:31], v[144:145]
	v_lshl_add_u64 v[144:145], v[40:41], 4, s[4:5]
	v_lshl_add_u64 v[40:41], v[88:89], 4, s[4:5]
	v_fmac_f64_e32 v[134:135], v[4:5], v[18:19]
	v_fma_f64 v[18:19], v[2:3], v[18:19], -v[20:21]
	v_fmac_f64_e32 v[16:17], v[8:9], v[22:23]
	v_fma_f64 v[6:7], v[6:7], v[22:23], -v[24:25]
	v_lshl_add_u64 v[24:25], v[100:101], 4, s[4:5]
	v_add_f64_e32 v[14:15], v[10:11], v[14:15]
	v_add_f64_e32 v[20:21], v[12:13], v[132:133]
	ds_load_b128 v[2:5], v150 offset:1424
	ds_load_b128 v[10:13], v150 offset:1440
	v_lshl_add_u64 v[132:133], v[62:63], 4, s[4:5]
	v_lshl_add_u64 v[62:63], v[70:71], 4, s[4:5]
	s_wait_loadcnt_dscnt 0x201
	v_mul_f64_e32 v[30:31], v[2:3], v[28:29]
	v_mul_f64_e32 v[28:29], v[4:5], v[28:29]
	v_add_f64_e32 v[8:9], v[14:15], v[18:19]
	v_add_f64_e32 v[14:15], v[20:21], v[134:135]
	s_wait_loadcnt_dscnt 0x100
	v_mul_f64_e32 v[18:19], v[10:11], v[126:127]
	v_mul_f64_e32 v[20:21], v[12:13], v[126:127]
	v_lshl_add_u64 v[134:135], v[50:51], 4, s[4:5]
	v_lshl_add_u64 v[126:127], v[56:57], 4, s[4:5]
	v_lshl_add_u64 v[56:57], v[74:75], 4, s[4:5]
	v_lshl_add_u64 v[50:51], v[78:79], 4, s[4:5]
	v_fmac_f64_e32 v[30:31], v[4:5], v[26:27]
	v_fma_f64 v[22:23], v[2:3], v[26:27], -v[28:29]
	ds_load_b128 v[2:5], v150 offset:1456
	v_lshl_add_u64 v[28:29], v[96:97], 4, s[4:5]
	v_lshl_add_u64 v[26:27], v[98:99], 4, s[4:5]
	v_add_f64_e32 v[6:7], v[8:9], v[6:7]
	v_add_f64_e32 v[8:9], v[14:15], v[16:17]
	v_fmac_f64_e32 v[18:19], v[12:13], v[124:125]
	v_fma_f64 v[10:11], v[10:11], v[124:125], -v[20:21]
	v_lshl_add_u64 v[124:125], v[58:59], 4, s[4:5]
	v_lshl_add_u64 v[58:59], v[60:61], 4, s[4:5]
	;; [unrolled: 1-line block ×5, first 2 shown]
	s_wait_loadcnt_dscnt 0x0
	v_mul_f64_e32 v[14:15], v[2:3], v[130:131]
	v_mul_f64_e32 v[16:17], v[4:5], v[130:131]
	v_lshl_add_u64 v[130:131], v[52:53], 4, s[4:5]
	v_lshl_add_u64 v[52:53], v[76:77], 4, s[4:5]
	v_add_f64_e32 v[6:7], v[6:7], v[22:23]
	v_add_f64_e32 v[8:9], v[8:9], v[30:31]
	v_lshl_add_u64 v[30:31], v[94:95], 4, s[4:5]
	v_lshl_add_u64 v[22:23], v[102:103], 4, s[4:5]
	v_fmac_f64_e32 v[14:15], v[4:5], v[128:129]
	v_fma_f64 v[2:3], v[2:3], v[128:129], -v[16:17]
	v_lshl_add_u64 v[128:129], v[54:55], 4, s[4:5]
	v_lshl_add_u64 v[54:55], v[64:65], 4, s[4:5]
	v_lshl_add_u64 v[64:65], v[68:69], 4, s[4:5]
	v_lshl_add_u64 v[16:17], v[108:109], 4, s[4:5]
	v_add_f64_e32 v[4:5], v[6:7], v[10:11]
	v_add_f64_e32 v[6:7], v[8:9], v[18:19]
	v_lshl_add_u64 v[18:19], v[106:107], 4, s[4:5]
	v_lshl_add_u64 v[10:11], v[114:115], 4, s[4:5]
	v_lshl_add_u64 v[8:9], v[116:117], 4, s[4:5]
	v_add_f64_e32 v[2:3], v[4:5], v[2:3]
	v_add_f64_e32 v[4:5], v[6:7], v[14:15]
	v_lshl_add_u64 v[14:15], v[110:111], 4, s[4:5]
	v_lshl_add_u64 v[6:7], v[118:119], 4, s[4:5]
	s_delay_alu instid0(VALU_DEP_4) | instskip(NEXT) | instid1(VALU_DEP_4)
	v_add_f64_e64 v[152:153], v[152:153], -v[2:3]
	v_add_f64_e64 v[154:155], v[154:155], -v[4:5]
	v_lshl_add_u64 v[4:5], v[120:121], 4, s[4:5]
	v_lshl_add_u64 v[2:3], v[122:123], 4, s[4:5]
	scratch_store_b128 off, v[152:155], off
	s_cbranch_vccz .LBB109_380
; %bb.290:
	global_load_b32 v68, v150, s[8:9] offset:176
	s_load_b64 s[2:3], s[0:1], 0x4
	v_bfe_u32 v69, v0, 10, 10
	v_bfe_u32 v0, v0, 20, 10
	s_wait_kmcnt 0x0
	s_lshr_b32 s0, s2, 16
	s_delay_alu instid0(VALU_DEP_2) | instskip(SKIP_1) | instid1(SALU_CYCLE_1)
	v_mul_u32_u24_e32 v69, s3, v69
	s_mul_i32 s0, s0, s3
	v_mul_u32_u24_e32 v1, s0, v1
	s_delay_alu instid0(VALU_DEP_1) | instskip(NEXT) | instid1(VALU_DEP_1)
	v_add3_u32 v0, v1, v69, v0
	v_lshl_add_u32 v0, v0, 4, 0x5c8
	s_wait_loadcnt 0x0
	v_cmp_ne_u32_e32 vcc_lo, 45, v68
	s_cbranch_vccz .LBB109_292
; %bb.291:
	v_lshlrev_b32_e32 v1, 4, v68
	s_clause 0x1
	scratch_load_b128 v[68:71], off, s15
	scratch_load_b128 v[72:75], v1, off offset:-16
	s_wait_loadcnt 0x1
	ds_store_2addr_b64 v0, v[68:69], v[70:71] offset1:1
	s_wait_loadcnt 0x0
	s_clause 0x1
	scratch_store_b128 off, v[72:75], s15
	scratch_store_b128 v1, v[68:71], off offset:-16
.LBB109_292:
	s_wait_xcnt 0x0
	v_mov_b32_e32 v1, 0
	global_load_b32 v68, v1, s[8:9] offset:172
	s_wait_loadcnt 0x0
	v_cmp_eq_u32_e32 vcc_lo, 44, v68
	s_cbranch_vccnz .LBB109_294
; %bb.293:
	v_lshlrev_b32_e32 v68, 4, v68
	s_delay_alu instid0(VALU_DEP_1)
	v_mov_b32_e32 v76, v68
	s_clause 0x1
	scratch_load_b128 v[68:71], off, s17
	scratch_load_b128 v[72:75], v76, off offset:-16
	s_wait_loadcnt 0x1
	ds_store_2addr_b64 v0, v[68:69], v[70:71] offset1:1
	s_wait_loadcnt 0x0
	s_clause 0x1
	scratch_store_b128 off, v[72:75], s17
	scratch_store_b128 v76, v[68:71], off offset:-16
.LBB109_294:
	global_load_b32 v1, v1, s[8:9] offset:168
	s_wait_loadcnt 0x0
	v_cmp_eq_u32_e32 vcc_lo, 43, v1
	s_cbranch_vccnz .LBB109_296
; %bb.295:
	s_wait_xcnt 0x0
	v_lshlrev_b32_e32 v1, 4, v1
	s_clause 0x1
	scratch_load_b128 v[68:71], off, s19
	scratch_load_b128 v[72:75], v1, off offset:-16
	s_wait_loadcnt 0x1
	ds_store_2addr_b64 v0, v[68:69], v[70:71] offset1:1
	s_wait_loadcnt 0x0
	s_clause 0x1
	scratch_store_b128 off, v[72:75], s19
	scratch_store_b128 v1, v[68:71], off offset:-16
.LBB109_296:
	s_wait_xcnt 0x0
	v_mov_b32_e32 v1, 0
	global_load_b32 v68, v1, s[8:9] offset:164
	s_wait_loadcnt 0x0
	v_cmp_eq_u32_e32 vcc_lo, 42, v68
	s_cbranch_vccnz .LBB109_298
; %bb.297:
	v_lshlrev_b32_e32 v68, 4, v68
	s_delay_alu instid0(VALU_DEP_1)
	v_mov_b32_e32 v76, v68
	s_clause 0x1
	scratch_load_b128 v[68:71], off, s20
	scratch_load_b128 v[72:75], v76, off offset:-16
	s_wait_loadcnt 0x1
	ds_store_2addr_b64 v0, v[68:69], v[70:71] offset1:1
	s_wait_loadcnt 0x0
	s_clause 0x1
	scratch_store_b128 off, v[72:75], s20
	scratch_store_b128 v76, v[68:71], off offset:-16
.LBB109_298:
	global_load_b32 v1, v1, s[8:9] offset:160
	s_wait_loadcnt 0x0
	v_cmp_eq_u32_e32 vcc_lo, 41, v1
	s_cbranch_vccnz .LBB109_300
; %bb.299:
	s_wait_xcnt 0x0
	v_lshlrev_b32_e32 v1, 4, v1
	s_clause 0x1
	scratch_load_b128 v[68:71], off, s21
	scratch_load_b128 v[72:75], v1, off offset:-16
	s_wait_loadcnt 0x1
	ds_store_2addr_b64 v0, v[68:69], v[70:71] offset1:1
	s_wait_loadcnt 0x0
	s_clause 0x1
	scratch_store_b128 off, v[72:75], s21
	scratch_store_b128 v1, v[68:71], off offset:-16
.LBB109_300:
	s_wait_xcnt 0x0
	v_mov_b32_e32 v1, 0
	global_load_b32 v68, v1, s[8:9] offset:156
	s_wait_loadcnt 0x0
	v_cmp_eq_u32_e32 vcc_lo, 40, v68
	s_cbranch_vccnz .LBB109_302
; %bb.301:
	v_lshlrev_b32_e32 v68, 4, v68
	s_delay_alu instid0(VALU_DEP_1)
	v_mov_b32_e32 v76, v68
	s_clause 0x1
	scratch_load_b128 v[68:71], off, s22
	scratch_load_b128 v[72:75], v76, off offset:-16
	s_wait_loadcnt 0x1
	ds_store_2addr_b64 v0, v[68:69], v[70:71] offset1:1
	s_wait_loadcnt 0x0
	s_clause 0x1
	scratch_store_b128 off, v[72:75], s22
	scratch_store_b128 v76, v[68:71], off offset:-16
.LBB109_302:
	global_load_b32 v1, v1, s[8:9] offset:152
	s_wait_loadcnt 0x0
	v_cmp_eq_u32_e32 vcc_lo, 39, v1
	s_cbranch_vccnz .LBB109_304
; %bb.303:
	s_wait_xcnt 0x0
	v_lshlrev_b32_e32 v1, 4, v1
	s_clause 0x1
	scratch_load_b128 v[68:71], off, s23
	scratch_load_b128 v[72:75], v1, off offset:-16
	s_wait_loadcnt 0x1
	ds_store_2addr_b64 v0, v[68:69], v[70:71] offset1:1
	s_wait_loadcnt 0x0
	s_clause 0x1
	scratch_store_b128 off, v[72:75], s23
	scratch_store_b128 v1, v[68:71], off offset:-16
.LBB109_304:
	s_wait_xcnt 0x0
	v_mov_b32_e32 v1, 0
	global_load_b32 v68, v1, s[8:9] offset:148
	s_wait_loadcnt 0x0
	v_cmp_eq_u32_e32 vcc_lo, 38, v68
	s_cbranch_vccnz .LBB109_306
; %bb.305:
	v_lshlrev_b32_e32 v68, 4, v68
	s_delay_alu instid0(VALU_DEP_1)
	v_mov_b32_e32 v76, v68
	s_clause 0x1
	scratch_load_b128 v[68:71], off, s24
	scratch_load_b128 v[72:75], v76, off offset:-16
	s_wait_loadcnt 0x1
	ds_store_2addr_b64 v0, v[68:69], v[70:71] offset1:1
	s_wait_loadcnt 0x0
	s_clause 0x1
	scratch_store_b128 off, v[72:75], s24
	scratch_store_b128 v76, v[68:71], off offset:-16
.LBB109_306:
	global_load_b32 v1, v1, s[8:9] offset:144
	s_wait_loadcnt 0x0
	v_cmp_eq_u32_e32 vcc_lo, 37, v1
	s_cbranch_vccnz .LBB109_308
; %bb.307:
	s_wait_xcnt 0x0
	v_lshlrev_b32_e32 v1, 4, v1
	s_clause 0x1
	scratch_load_b128 v[68:71], off, s25
	scratch_load_b128 v[72:75], v1, off offset:-16
	s_wait_loadcnt 0x1
	ds_store_2addr_b64 v0, v[68:69], v[70:71] offset1:1
	s_wait_loadcnt 0x0
	s_clause 0x1
	scratch_store_b128 off, v[72:75], s25
	scratch_store_b128 v1, v[68:71], off offset:-16
.LBB109_308:
	s_wait_xcnt 0x0
	v_mov_b32_e32 v1, 0
	global_load_b32 v68, v1, s[8:9] offset:140
	s_wait_loadcnt 0x0
	v_cmp_eq_u32_e32 vcc_lo, 36, v68
	s_cbranch_vccnz .LBB109_310
; %bb.309:
	v_lshlrev_b32_e32 v68, 4, v68
	s_delay_alu instid0(VALU_DEP_1)
	v_mov_b32_e32 v76, v68
	s_clause 0x1
	scratch_load_b128 v[68:71], off, s26
	scratch_load_b128 v[72:75], v76, off offset:-16
	s_wait_loadcnt 0x1
	ds_store_2addr_b64 v0, v[68:69], v[70:71] offset1:1
	s_wait_loadcnt 0x0
	s_clause 0x1
	scratch_store_b128 off, v[72:75], s26
	scratch_store_b128 v76, v[68:71], off offset:-16
.LBB109_310:
	global_load_b32 v1, v1, s[8:9] offset:136
	s_wait_loadcnt 0x0
	v_cmp_eq_u32_e32 vcc_lo, 35, v1
	s_cbranch_vccnz .LBB109_312
; %bb.311:
	s_wait_xcnt 0x0
	v_lshlrev_b32_e32 v1, 4, v1
	s_clause 0x1
	scratch_load_b128 v[68:71], off, s27
	scratch_load_b128 v[72:75], v1, off offset:-16
	s_wait_loadcnt 0x1
	ds_store_2addr_b64 v0, v[68:69], v[70:71] offset1:1
	s_wait_loadcnt 0x0
	s_clause 0x1
	scratch_store_b128 off, v[72:75], s27
	scratch_store_b128 v1, v[68:71], off offset:-16
.LBB109_312:
	s_wait_xcnt 0x0
	v_mov_b32_e32 v1, 0
	global_load_b32 v68, v1, s[8:9] offset:132
	s_wait_loadcnt 0x0
	v_cmp_eq_u32_e32 vcc_lo, 34, v68
	s_cbranch_vccnz .LBB109_314
; %bb.313:
	v_lshlrev_b32_e32 v68, 4, v68
	s_delay_alu instid0(VALU_DEP_1)
	v_mov_b32_e32 v76, v68
	s_clause 0x1
	scratch_load_b128 v[68:71], off, s28
	scratch_load_b128 v[72:75], v76, off offset:-16
	s_wait_loadcnt 0x1
	ds_store_2addr_b64 v0, v[68:69], v[70:71] offset1:1
	s_wait_loadcnt 0x0
	s_clause 0x1
	scratch_store_b128 off, v[72:75], s28
	scratch_store_b128 v76, v[68:71], off offset:-16
.LBB109_314:
	global_load_b32 v1, v1, s[8:9] offset:128
	s_wait_loadcnt 0x0
	v_cmp_eq_u32_e32 vcc_lo, 33, v1
	s_cbranch_vccnz .LBB109_316
; %bb.315:
	s_wait_xcnt 0x0
	v_lshlrev_b32_e32 v1, 4, v1
	s_clause 0x1
	scratch_load_b128 v[68:71], off, s29
	scratch_load_b128 v[72:75], v1, off offset:-16
	s_wait_loadcnt 0x1
	ds_store_2addr_b64 v0, v[68:69], v[70:71] offset1:1
	s_wait_loadcnt 0x0
	s_clause 0x1
	scratch_store_b128 off, v[72:75], s29
	scratch_store_b128 v1, v[68:71], off offset:-16
.LBB109_316:
	s_wait_xcnt 0x0
	v_mov_b32_e32 v1, 0
	global_load_b32 v68, v1, s[8:9] offset:124
	s_wait_loadcnt 0x0
	v_cmp_eq_u32_e32 vcc_lo, 32, v68
	s_cbranch_vccnz .LBB109_318
; %bb.317:
	v_lshlrev_b32_e32 v68, 4, v68
	s_delay_alu instid0(VALU_DEP_1)
	v_mov_b32_e32 v76, v68
	s_clause 0x1
	scratch_load_b128 v[68:71], off, s30
	scratch_load_b128 v[72:75], v76, off offset:-16
	s_wait_loadcnt 0x1
	ds_store_2addr_b64 v0, v[68:69], v[70:71] offset1:1
	s_wait_loadcnt 0x0
	s_clause 0x1
	scratch_store_b128 off, v[72:75], s30
	scratch_store_b128 v76, v[68:71], off offset:-16
.LBB109_318:
	global_load_b32 v1, v1, s[8:9] offset:120
	s_wait_loadcnt 0x0
	v_cmp_eq_u32_e32 vcc_lo, 31, v1
	s_cbranch_vccnz .LBB109_320
; %bb.319:
	s_wait_xcnt 0x0
	v_lshlrev_b32_e32 v1, 4, v1
	s_clause 0x1
	scratch_load_b128 v[68:71], off, s31
	scratch_load_b128 v[72:75], v1, off offset:-16
	s_wait_loadcnt 0x1
	ds_store_2addr_b64 v0, v[68:69], v[70:71] offset1:1
	s_wait_loadcnt 0x0
	s_clause 0x1
	scratch_store_b128 off, v[72:75], s31
	scratch_store_b128 v1, v[68:71], off offset:-16
.LBB109_320:
	s_wait_xcnt 0x0
	v_mov_b32_e32 v1, 0
	global_load_b32 v68, v1, s[8:9] offset:116
	s_wait_loadcnt 0x0
	v_cmp_eq_u32_e32 vcc_lo, 30, v68
	s_cbranch_vccnz .LBB109_322
; %bb.321:
	v_lshlrev_b32_e32 v68, 4, v68
	s_delay_alu instid0(VALU_DEP_1)
	v_mov_b32_e32 v76, v68
	s_clause 0x1
	scratch_load_b128 v[68:71], off, s33
	scratch_load_b128 v[72:75], v76, off offset:-16
	s_wait_loadcnt 0x1
	ds_store_2addr_b64 v0, v[68:69], v[70:71] offset1:1
	s_wait_loadcnt 0x0
	s_clause 0x1
	scratch_store_b128 off, v[72:75], s33
	scratch_store_b128 v76, v[68:71], off offset:-16
.LBB109_322:
	global_load_b32 v1, v1, s[8:9] offset:112
	s_wait_loadcnt 0x0
	v_cmp_eq_u32_e32 vcc_lo, 29, v1
	s_cbranch_vccnz .LBB109_324
; %bb.323:
	s_wait_xcnt 0x0
	v_lshlrev_b32_e32 v1, 4, v1
	s_clause 0x1
	scratch_load_b128 v[68:71], off, s34
	scratch_load_b128 v[72:75], v1, off offset:-16
	s_wait_loadcnt 0x1
	ds_store_2addr_b64 v0, v[68:69], v[70:71] offset1:1
	s_wait_loadcnt 0x0
	s_clause 0x1
	scratch_store_b128 off, v[72:75], s34
	scratch_store_b128 v1, v[68:71], off offset:-16
.LBB109_324:
	s_wait_xcnt 0x0
	v_mov_b32_e32 v1, 0
	global_load_b32 v68, v1, s[8:9] offset:108
	s_wait_loadcnt 0x0
	v_cmp_eq_u32_e32 vcc_lo, 28, v68
	s_cbranch_vccnz .LBB109_326
; %bb.325:
	v_lshlrev_b32_e32 v68, 4, v68
	s_delay_alu instid0(VALU_DEP_1)
	v_mov_b32_e32 v76, v68
	s_clause 0x1
	scratch_load_b128 v[68:71], off, s35
	scratch_load_b128 v[72:75], v76, off offset:-16
	s_wait_loadcnt 0x1
	ds_store_2addr_b64 v0, v[68:69], v[70:71] offset1:1
	s_wait_loadcnt 0x0
	s_clause 0x1
	scratch_store_b128 off, v[72:75], s35
	scratch_store_b128 v76, v[68:71], off offset:-16
.LBB109_326:
	global_load_b32 v1, v1, s[8:9] offset:104
	s_wait_loadcnt 0x0
	v_cmp_eq_u32_e32 vcc_lo, 27, v1
	s_cbranch_vccnz .LBB109_328
; %bb.327:
	s_wait_xcnt 0x0
	v_lshlrev_b32_e32 v1, 4, v1
	s_clause 0x1
	scratch_load_b128 v[68:71], off, s36
	scratch_load_b128 v[72:75], v1, off offset:-16
	s_wait_loadcnt 0x1
	ds_store_2addr_b64 v0, v[68:69], v[70:71] offset1:1
	s_wait_loadcnt 0x0
	s_clause 0x1
	scratch_store_b128 off, v[72:75], s36
	scratch_store_b128 v1, v[68:71], off offset:-16
.LBB109_328:
	s_wait_xcnt 0x0
	v_mov_b32_e32 v1, 0
	global_load_b32 v68, v1, s[8:9] offset:100
	s_wait_loadcnt 0x0
	v_cmp_eq_u32_e32 vcc_lo, 26, v68
	s_cbranch_vccnz .LBB109_330
; %bb.329:
	v_lshlrev_b32_e32 v68, 4, v68
	s_delay_alu instid0(VALU_DEP_1)
	v_mov_b32_e32 v76, v68
	s_clause 0x1
	scratch_load_b128 v[68:71], off, s37
	scratch_load_b128 v[72:75], v76, off offset:-16
	s_wait_loadcnt 0x1
	ds_store_2addr_b64 v0, v[68:69], v[70:71] offset1:1
	s_wait_loadcnt 0x0
	s_clause 0x1
	scratch_store_b128 off, v[72:75], s37
	scratch_store_b128 v76, v[68:71], off offset:-16
.LBB109_330:
	global_load_b32 v1, v1, s[8:9] offset:96
	s_wait_loadcnt 0x0
	v_cmp_eq_u32_e32 vcc_lo, 25, v1
	s_cbranch_vccnz .LBB109_332
; %bb.331:
	s_wait_xcnt 0x0
	v_lshlrev_b32_e32 v1, 4, v1
	s_clause 0x1
	scratch_load_b128 v[68:71], off, s38
	scratch_load_b128 v[72:75], v1, off offset:-16
	s_wait_loadcnt 0x1
	ds_store_2addr_b64 v0, v[68:69], v[70:71] offset1:1
	s_wait_loadcnt 0x0
	s_clause 0x1
	scratch_store_b128 off, v[72:75], s38
	scratch_store_b128 v1, v[68:71], off offset:-16
.LBB109_332:
	s_wait_xcnt 0x0
	v_mov_b32_e32 v1, 0
	global_load_b32 v68, v1, s[8:9] offset:92
	s_wait_loadcnt 0x0
	v_cmp_eq_u32_e32 vcc_lo, 24, v68
	s_cbranch_vccnz .LBB109_334
; %bb.333:
	v_lshlrev_b32_e32 v68, 4, v68
	s_delay_alu instid0(VALU_DEP_1)
	v_mov_b32_e32 v76, v68
	s_clause 0x1
	scratch_load_b128 v[68:71], off, s39
	scratch_load_b128 v[72:75], v76, off offset:-16
	s_wait_loadcnt 0x1
	ds_store_2addr_b64 v0, v[68:69], v[70:71] offset1:1
	s_wait_loadcnt 0x0
	s_clause 0x1
	scratch_store_b128 off, v[72:75], s39
	scratch_store_b128 v76, v[68:71], off offset:-16
.LBB109_334:
	global_load_b32 v1, v1, s[8:9] offset:88
	s_wait_loadcnt 0x0
	v_cmp_eq_u32_e32 vcc_lo, 23, v1
	s_cbranch_vccnz .LBB109_336
; %bb.335:
	s_wait_xcnt 0x0
	v_lshlrev_b32_e32 v1, 4, v1
	s_clause 0x1
	scratch_load_b128 v[68:71], off, s40
	scratch_load_b128 v[72:75], v1, off offset:-16
	s_wait_loadcnt 0x1
	ds_store_2addr_b64 v0, v[68:69], v[70:71] offset1:1
	s_wait_loadcnt 0x0
	s_clause 0x1
	scratch_store_b128 off, v[72:75], s40
	scratch_store_b128 v1, v[68:71], off offset:-16
.LBB109_336:
	s_wait_xcnt 0x0
	v_mov_b32_e32 v1, 0
	global_load_b32 v68, v1, s[8:9] offset:84
	s_wait_loadcnt 0x0
	v_cmp_eq_u32_e32 vcc_lo, 22, v68
	s_cbranch_vccnz .LBB109_338
; %bb.337:
	v_lshlrev_b32_e32 v68, 4, v68
	s_delay_alu instid0(VALU_DEP_1)
	v_mov_b32_e32 v76, v68
	s_clause 0x1
	scratch_load_b128 v[68:71], off, s41
	scratch_load_b128 v[72:75], v76, off offset:-16
	s_wait_loadcnt 0x1
	ds_store_2addr_b64 v0, v[68:69], v[70:71] offset1:1
	s_wait_loadcnt 0x0
	s_clause 0x1
	scratch_store_b128 off, v[72:75], s41
	scratch_store_b128 v76, v[68:71], off offset:-16
.LBB109_338:
	global_load_b32 v1, v1, s[8:9] offset:80
	s_wait_loadcnt 0x0
	v_cmp_eq_u32_e32 vcc_lo, 21, v1
	s_cbranch_vccnz .LBB109_340
; %bb.339:
	s_wait_xcnt 0x0
	v_lshlrev_b32_e32 v1, 4, v1
	s_clause 0x1
	scratch_load_b128 v[68:71], off, s42
	scratch_load_b128 v[72:75], v1, off offset:-16
	s_wait_loadcnt 0x1
	ds_store_2addr_b64 v0, v[68:69], v[70:71] offset1:1
	s_wait_loadcnt 0x0
	s_clause 0x1
	scratch_store_b128 off, v[72:75], s42
	scratch_store_b128 v1, v[68:71], off offset:-16
.LBB109_340:
	s_wait_xcnt 0x0
	v_mov_b32_e32 v1, 0
	global_load_b32 v68, v1, s[8:9] offset:76
	s_wait_loadcnt 0x0
	v_cmp_eq_u32_e32 vcc_lo, 20, v68
	s_cbranch_vccnz .LBB109_342
; %bb.341:
	v_lshlrev_b32_e32 v68, 4, v68
	s_delay_alu instid0(VALU_DEP_1)
	v_mov_b32_e32 v76, v68
	s_clause 0x1
	scratch_load_b128 v[68:71], off, s43
	scratch_load_b128 v[72:75], v76, off offset:-16
	s_wait_loadcnt 0x1
	ds_store_2addr_b64 v0, v[68:69], v[70:71] offset1:1
	s_wait_loadcnt 0x0
	s_clause 0x1
	scratch_store_b128 off, v[72:75], s43
	scratch_store_b128 v76, v[68:71], off offset:-16
.LBB109_342:
	global_load_b32 v1, v1, s[8:9] offset:72
	s_wait_loadcnt 0x0
	v_cmp_eq_u32_e32 vcc_lo, 19, v1
	s_cbranch_vccnz .LBB109_344
; %bb.343:
	s_wait_xcnt 0x0
	v_lshlrev_b32_e32 v1, 4, v1
	s_clause 0x1
	scratch_load_b128 v[68:71], off, s44
	scratch_load_b128 v[72:75], v1, off offset:-16
	s_wait_loadcnt 0x1
	ds_store_2addr_b64 v0, v[68:69], v[70:71] offset1:1
	s_wait_loadcnt 0x0
	s_clause 0x1
	scratch_store_b128 off, v[72:75], s44
	scratch_store_b128 v1, v[68:71], off offset:-16
.LBB109_344:
	s_wait_xcnt 0x0
	v_mov_b32_e32 v1, 0
	global_load_b32 v68, v1, s[8:9] offset:68
	s_wait_loadcnt 0x0
	v_cmp_eq_u32_e32 vcc_lo, 18, v68
	s_cbranch_vccnz .LBB109_346
; %bb.345:
	v_lshlrev_b32_e32 v68, 4, v68
	s_delay_alu instid0(VALU_DEP_1)
	v_mov_b32_e32 v76, v68
	s_clause 0x1
	scratch_load_b128 v[68:71], off, s45
	scratch_load_b128 v[72:75], v76, off offset:-16
	s_wait_loadcnt 0x1
	ds_store_2addr_b64 v0, v[68:69], v[70:71] offset1:1
	s_wait_loadcnt 0x0
	s_clause 0x1
	scratch_store_b128 off, v[72:75], s45
	scratch_store_b128 v76, v[68:71], off offset:-16
.LBB109_346:
	global_load_b32 v1, v1, s[8:9] offset:64
	s_wait_loadcnt 0x0
	v_cmp_eq_u32_e32 vcc_lo, 17, v1
	s_cbranch_vccnz .LBB109_348
; %bb.347:
	s_wait_xcnt 0x0
	v_lshlrev_b32_e32 v1, 4, v1
	s_clause 0x1
	scratch_load_b128 v[68:71], off, s46
	scratch_load_b128 v[72:75], v1, off offset:-16
	s_wait_loadcnt 0x1
	ds_store_2addr_b64 v0, v[68:69], v[70:71] offset1:1
	s_wait_loadcnt 0x0
	s_clause 0x1
	scratch_store_b128 off, v[72:75], s46
	scratch_store_b128 v1, v[68:71], off offset:-16
.LBB109_348:
	s_wait_xcnt 0x0
	v_mov_b32_e32 v1, 0
	global_load_b32 v68, v1, s[8:9] offset:60
	s_wait_loadcnt 0x0
	v_cmp_eq_u32_e32 vcc_lo, 16, v68
	s_cbranch_vccnz .LBB109_350
; %bb.349:
	v_lshlrev_b32_e32 v68, 4, v68
	s_delay_alu instid0(VALU_DEP_1)
	v_mov_b32_e32 v76, v68
	s_clause 0x1
	scratch_load_b128 v[68:71], off, s47
	scratch_load_b128 v[72:75], v76, off offset:-16
	s_wait_loadcnt 0x1
	ds_store_2addr_b64 v0, v[68:69], v[70:71] offset1:1
	s_wait_loadcnt 0x0
	s_clause 0x1
	scratch_store_b128 off, v[72:75], s47
	scratch_store_b128 v76, v[68:71], off offset:-16
.LBB109_350:
	global_load_b32 v1, v1, s[8:9] offset:56
	s_wait_loadcnt 0x0
	v_cmp_eq_u32_e32 vcc_lo, 15, v1
	s_cbranch_vccnz .LBB109_352
; %bb.351:
	s_wait_xcnt 0x0
	v_lshlrev_b32_e32 v1, 4, v1
	s_clause 0x1
	scratch_load_b128 v[68:71], off, s48
	scratch_load_b128 v[72:75], v1, off offset:-16
	s_wait_loadcnt 0x1
	ds_store_2addr_b64 v0, v[68:69], v[70:71] offset1:1
	s_wait_loadcnt 0x0
	s_clause 0x1
	scratch_store_b128 off, v[72:75], s48
	scratch_store_b128 v1, v[68:71], off offset:-16
.LBB109_352:
	s_wait_xcnt 0x0
	v_mov_b32_e32 v1, 0
	global_load_b32 v68, v1, s[8:9] offset:52
	s_wait_loadcnt 0x0
	v_cmp_eq_u32_e32 vcc_lo, 14, v68
	s_cbranch_vccnz .LBB109_354
; %bb.353:
	v_lshlrev_b32_e32 v68, 4, v68
	s_delay_alu instid0(VALU_DEP_1)
	v_mov_b32_e32 v76, v68
	s_clause 0x1
	scratch_load_b128 v[68:71], off, s49
	scratch_load_b128 v[72:75], v76, off offset:-16
	s_wait_loadcnt 0x1
	ds_store_2addr_b64 v0, v[68:69], v[70:71] offset1:1
	s_wait_loadcnt 0x0
	s_clause 0x1
	scratch_store_b128 off, v[72:75], s49
	scratch_store_b128 v76, v[68:71], off offset:-16
.LBB109_354:
	global_load_b32 v1, v1, s[8:9] offset:48
	s_wait_loadcnt 0x0
	v_cmp_eq_u32_e32 vcc_lo, 13, v1
	s_cbranch_vccnz .LBB109_356
; %bb.355:
	s_wait_xcnt 0x0
	v_lshlrev_b32_e32 v1, 4, v1
	s_clause 0x1
	scratch_load_b128 v[68:71], off, s50
	scratch_load_b128 v[72:75], v1, off offset:-16
	s_wait_loadcnt 0x1
	ds_store_2addr_b64 v0, v[68:69], v[70:71] offset1:1
	s_wait_loadcnt 0x0
	s_clause 0x1
	scratch_store_b128 off, v[72:75], s50
	scratch_store_b128 v1, v[68:71], off offset:-16
.LBB109_356:
	s_wait_xcnt 0x0
	v_mov_b32_e32 v1, 0
	global_load_b32 v68, v1, s[8:9] offset:44
	s_wait_loadcnt 0x0
	v_cmp_eq_u32_e32 vcc_lo, 12, v68
	s_cbranch_vccnz .LBB109_358
; %bb.357:
	v_lshlrev_b32_e32 v68, 4, v68
	s_delay_alu instid0(VALU_DEP_1)
	v_mov_b32_e32 v76, v68
	s_clause 0x1
	scratch_load_b128 v[68:71], off, s51
	scratch_load_b128 v[72:75], v76, off offset:-16
	s_wait_loadcnt 0x1
	ds_store_2addr_b64 v0, v[68:69], v[70:71] offset1:1
	s_wait_loadcnt 0x0
	s_clause 0x1
	scratch_store_b128 off, v[72:75], s51
	scratch_store_b128 v76, v[68:71], off offset:-16
.LBB109_358:
	global_load_b32 v1, v1, s[8:9] offset:40
	s_wait_loadcnt 0x0
	v_cmp_eq_u32_e32 vcc_lo, 11, v1
	s_cbranch_vccnz .LBB109_360
; %bb.359:
	s_wait_xcnt 0x0
	v_lshlrev_b32_e32 v1, 4, v1
	s_clause 0x1
	scratch_load_b128 v[68:71], off, s52
	scratch_load_b128 v[72:75], v1, off offset:-16
	s_wait_loadcnt 0x1
	ds_store_2addr_b64 v0, v[68:69], v[70:71] offset1:1
	s_wait_loadcnt 0x0
	s_clause 0x1
	scratch_store_b128 off, v[72:75], s52
	scratch_store_b128 v1, v[68:71], off offset:-16
.LBB109_360:
	s_wait_xcnt 0x0
	v_mov_b32_e32 v1, 0
	global_load_b32 v68, v1, s[8:9] offset:36
	s_wait_loadcnt 0x0
	v_cmp_eq_u32_e32 vcc_lo, 10, v68
	s_cbranch_vccnz .LBB109_362
; %bb.361:
	v_lshlrev_b32_e32 v68, 4, v68
	s_delay_alu instid0(VALU_DEP_1)
	v_mov_b32_e32 v76, v68
	s_clause 0x1
	scratch_load_b128 v[68:71], off, s53
	scratch_load_b128 v[72:75], v76, off offset:-16
	s_wait_loadcnt 0x1
	ds_store_2addr_b64 v0, v[68:69], v[70:71] offset1:1
	s_wait_loadcnt 0x0
	s_clause 0x1
	scratch_store_b128 off, v[72:75], s53
	scratch_store_b128 v76, v[68:71], off offset:-16
.LBB109_362:
	global_load_b32 v1, v1, s[8:9] offset:32
	s_wait_loadcnt 0x0
	v_cmp_eq_u32_e32 vcc_lo, 9, v1
	s_cbranch_vccnz .LBB109_364
; %bb.363:
	s_wait_xcnt 0x0
	v_lshlrev_b32_e32 v1, 4, v1
	s_clause 0x1
	scratch_load_b128 v[68:71], off, s54
	scratch_load_b128 v[72:75], v1, off offset:-16
	s_wait_loadcnt 0x1
	ds_store_2addr_b64 v0, v[68:69], v[70:71] offset1:1
	s_wait_loadcnt 0x0
	s_clause 0x1
	scratch_store_b128 off, v[72:75], s54
	scratch_store_b128 v1, v[68:71], off offset:-16
.LBB109_364:
	s_wait_xcnt 0x0
	v_mov_b32_e32 v1, 0
	global_load_b32 v68, v1, s[8:9] offset:28
	s_wait_loadcnt 0x0
	v_cmp_eq_u32_e32 vcc_lo, 8, v68
	s_cbranch_vccnz .LBB109_366
; %bb.365:
	v_lshlrev_b32_e32 v68, 4, v68
	s_delay_alu instid0(VALU_DEP_1)
	v_mov_b32_e32 v76, v68
	s_clause 0x1
	scratch_load_b128 v[68:71], off, s55
	scratch_load_b128 v[72:75], v76, off offset:-16
	s_wait_loadcnt 0x1
	ds_store_2addr_b64 v0, v[68:69], v[70:71] offset1:1
	s_wait_loadcnt 0x0
	s_clause 0x1
	scratch_store_b128 off, v[72:75], s55
	scratch_store_b128 v76, v[68:71], off offset:-16
.LBB109_366:
	global_load_b32 v1, v1, s[8:9] offset:24
	s_wait_loadcnt 0x0
	v_cmp_eq_u32_e32 vcc_lo, 7, v1
	s_cbranch_vccnz .LBB109_368
; %bb.367:
	s_wait_xcnt 0x0
	v_lshlrev_b32_e32 v1, 4, v1
	s_clause 0x1
	scratch_load_b128 v[68:71], off, s56
	scratch_load_b128 v[72:75], v1, off offset:-16
	s_wait_loadcnt 0x1
	ds_store_2addr_b64 v0, v[68:69], v[70:71] offset1:1
	s_wait_loadcnt 0x0
	s_clause 0x1
	scratch_store_b128 off, v[72:75], s56
	scratch_store_b128 v1, v[68:71], off offset:-16
.LBB109_368:
	s_wait_xcnt 0x0
	v_mov_b32_e32 v1, 0
	global_load_b32 v68, v1, s[8:9] offset:20
	s_wait_loadcnt 0x0
	v_cmp_eq_u32_e32 vcc_lo, 6, v68
	s_cbranch_vccnz .LBB109_370
; %bb.369:
	v_lshlrev_b32_e32 v68, 4, v68
	s_delay_alu instid0(VALU_DEP_1)
	v_mov_b32_e32 v76, v68
	s_clause 0x1
	scratch_load_b128 v[68:71], off, s57
	scratch_load_b128 v[72:75], v76, off offset:-16
	s_wait_loadcnt 0x1
	ds_store_2addr_b64 v0, v[68:69], v[70:71] offset1:1
	s_wait_loadcnt 0x0
	s_clause 0x1
	scratch_store_b128 off, v[72:75], s57
	scratch_store_b128 v76, v[68:71], off offset:-16
.LBB109_370:
	global_load_b32 v1, v1, s[8:9] offset:16
	s_wait_loadcnt 0x0
	v_cmp_eq_u32_e32 vcc_lo, 5, v1
	s_cbranch_vccnz .LBB109_372
; %bb.371:
	s_wait_xcnt 0x0
	v_lshlrev_b32_e32 v1, 4, v1
	s_clause 0x1
	scratch_load_b128 v[68:71], off, s12
	scratch_load_b128 v[72:75], v1, off offset:-16
	s_wait_loadcnt 0x1
	ds_store_2addr_b64 v0, v[68:69], v[70:71] offset1:1
	s_wait_loadcnt 0x0
	s_clause 0x1
	scratch_store_b128 off, v[72:75], s12
	scratch_store_b128 v1, v[68:71], off offset:-16
.LBB109_372:
	s_wait_xcnt 0x0
	v_mov_b32_e32 v1, 0
	global_load_b32 v68, v1, s[8:9] offset:12
	s_wait_loadcnt 0x0
	v_cmp_eq_u32_e32 vcc_lo, 4, v68
	s_cbranch_vccnz .LBB109_374
; %bb.373:
	v_lshlrev_b32_e32 v68, 4, v68
	s_delay_alu instid0(VALU_DEP_1)
	v_mov_b32_e32 v76, v68
	s_clause 0x1
	scratch_load_b128 v[68:71], off, s14
	scratch_load_b128 v[72:75], v76, off offset:-16
	s_wait_loadcnt 0x1
	ds_store_2addr_b64 v0, v[68:69], v[70:71] offset1:1
	s_wait_loadcnt 0x0
	s_clause 0x1
	scratch_store_b128 off, v[72:75], s14
	scratch_store_b128 v76, v[68:71], off offset:-16
.LBB109_374:
	global_load_b32 v1, v1, s[8:9] offset:8
	s_wait_loadcnt 0x0
	v_cmp_eq_u32_e32 vcc_lo, 3, v1
	s_cbranch_vccnz .LBB109_376
; %bb.375:
	s_wait_xcnt 0x0
	v_lshlrev_b32_e32 v1, 4, v1
	s_clause 0x1
	scratch_load_b128 v[68:71], off, s16
	scratch_load_b128 v[72:75], v1, off offset:-16
	s_wait_loadcnt 0x1
	ds_store_2addr_b64 v0, v[68:69], v[70:71] offset1:1
	s_wait_loadcnt 0x0
	s_clause 0x1
	scratch_store_b128 off, v[72:75], s16
	scratch_store_b128 v1, v[68:71], off offset:-16
.LBB109_376:
	s_wait_xcnt 0x0
	v_mov_b32_e32 v1, 0
	global_load_b32 v68, v1, s[8:9] offset:4
	s_wait_loadcnt 0x0
	v_cmp_eq_u32_e32 vcc_lo, 2, v68
	s_cbranch_vccnz .LBB109_378
; %bb.377:
	v_lshlrev_b32_e32 v68, 4, v68
	s_delay_alu instid0(VALU_DEP_1)
	v_mov_b32_e32 v76, v68
	s_clause 0x1
	scratch_load_b128 v[68:71], off, s18
	scratch_load_b128 v[72:75], v76, off offset:-16
	s_wait_loadcnt 0x1
	ds_store_2addr_b64 v0, v[68:69], v[70:71] offset1:1
	s_wait_loadcnt 0x0
	s_clause 0x1
	scratch_store_b128 off, v[72:75], s18
	scratch_store_b128 v76, v[68:71], off offset:-16
.LBB109_378:
	global_load_b32 v1, v1, s[8:9]
	s_wait_loadcnt 0x0
	v_cmp_eq_u32_e32 vcc_lo, 1, v1
	s_cbranch_vccnz .LBB109_380
; %bb.379:
	s_wait_xcnt 0x0
	v_lshlrev_b32_e32 v1, 4, v1
	scratch_load_b128 v[68:71], off, off
	scratch_load_b128 v[72:75], v1, off offset:-16
	s_wait_loadcnt 0x1
	ds_store_2addr_b64 v0, v[68:69], v[70:71] offset1:1
	s_wait_loadcnt 0x0
	scratch_store_b128 off, v[72:75], off
	scratch_store_b128 v1, v[68:71], off offset:-16
.LBB109_380:
	scratch_load_b128 v[68:71], off, off
	s_wait_loadcnt 0x0
	flat_store_b128 v[32:33], v[68:71]
	scratch_load_b128 v[68:71], off, s18
	s_wait_loadcnt 0x0
	flat_store_b128 v[34:35], v[68:71]
	scratch_load_b128 v[32:35], off, s16
	;; [unrolled: 3-line block ×45, first 2 shown]
	s_wait_loadcnt 0x0
	flat_store_b128 v[2:3], v[4:7]
	s_sendmsg sendmsg(MSG_DEALLOC_VGPRS)
	s_endpgm
	.section	.rodata,"a",@progbits
	.p2align	6, 0x0
	.amdhsa_kernel _ZN9rocsolver6v33100L18getri_kernel_smallILi46E19rocblas_complex_numIdEPKPS3_EEvT1_iilPiilS8_bb
		.amdhsa_group_segment_fixed_size 2504
		.amdhsa_private_segment_fixed_size 752
		.amdhsa_kernarg_size 60
		.amdhsa_user_sgpr_count 4
		.amdhsa_user_sgpr_dispatch_ptr 1
		.amdhsa_user_sgpr_queue_ptr 0
		.amdhsa_user_sgpr_kernarg_segment_ptr 1
		.amdhsa_user_sgpr_dispatch_id 0
		.amdhsa_user_sgpr_kernarg_preload_length 0
		.amdhsa_user_sgpr_kernarg_preload_offset 0
		.amdhsa_user_sgpr_private_segment_size 0
		.amdhsa_wavefront_size32 1
		.amdhsa_uses_dynamic_stack 0
		.amdhsa_enable_private_segment 1
		.amdhsa_system_sgpr_workgroup_id_x 1
		.amdhsa_system_sgpr_workgroup_id_y 0
		.amdhsa_system_sgpr_workgroup_id_z 0
		.amdhsa_system_sgpr_workgroup_info 0
		.amdhsa_system_vgpr_workitem_id 2
		.amdhsa_next_free_vgpr 174
		.amdhsa_next_free_sgpr 79
		.amdhsa_named_barrier_count 0
		.amdhsa_reserve_vcc 1
		.amdhsa_float_round_mode_32 0
		.amdhsa_float_round_mode_16_64 0
		.amdhsa_float_denorm_mode_32 3
		.amdhsa_float_denorm_mode_16_64 3
		.amdhsa_fp16_overflow 0
		.amdhsa_memory_ordered 1
		.amdhsa_forward_progress 1
		.amdhsa_inst_pref_size 255
		.amdhsa_round_robin_scheduling 0
		.amdhsa_exception_fp_ieee_invalid_op 0
		.amdhsa_exception_fp_denorm_src 0
		.amdhsa_exception_fp_ieee_div_zero 0
		.amdhsa_exception_fp_ieee_overflow 0
		.amdhsa_exception_fp_ieee_underflow 0
		.amdhsa_exception_fp_ieee_inexact 0
		.amdhsa_exception_int_div_zero 0
	.end_amdhsa_kernel
	.section	.text._ZN9rocsolver6v33100L18getri_kernel_smallILi46E19rocblas_complex_numIdEPKPS3_EEvT1_iilPiilS8_bb,"axG",@progbits,_ZN9rocsolver6v33100L18getri_kernel_smallILi46E19rocblas_complex_numIdEPKPS3_EEvT1_iilPiilS8_bb,comdat
.Lfunc_end109:
	.size	_ZN9rocsolver6v33100L18getri_kernel_smallILi46E19rocblas_complex_numIdEPKPS3_EEvT1_iilPiilS8_bb, .Lfunc_end109-_ZN9rocsolver6v33100L18getri_kernel_smallILi46E19rocblas_complex_numIdEPKPS3_EEvT1_iilPiilS8_bb
                                        ; -- End function
	.set _ZN9rocsolver6v33100L18getri_kernel_smallILi46E19rocblas_complex_numIdEPKPS3_EEvT1_iilPiilS8_bb.num_vgpr, 174
	.set _ZN9rocsolver6v33100L18getri_kernel_smallILi46E19rocblas_complex_numIdEPKPS3_EEvT1_iilPiilS8_bb.num_agpr, 0
	.set _ZN9rocsolver6v33100L18getri_kernel_smallILi46E19rocblas_complex_numIdEPKPS3_EEvT1_iilPiilS8_bb.numbered_sgpr, 79
	.set _ZN9rocsolver6v33100L18getri_kernel_smallILi46E19rocblas_complex_numIdEPKPS3_EEvT1_iilPiilS8_bb.num_named_barrier, 0
	.set _ZN9rocsolver6v33100L18getri_kernel_smallILi46E19rocblas_complex_numIdEPKPS3_EEvT1_iilPiilS8_bb.private_seg_size, 752
	.set _ZN9rocsolver6v33100L18getri_kernel_smallILi46E19rocblas_complex_numIdEPKPS3_EEvT1_iilPiilS8_bb.uses_vcc, 1
	.set _ZN9rocsolver6v33100L18getri_kernel_smallILi46E19rocblas_complex_numIdEPKPS3_EEvT1_iilPiilS8_bb.uses_flat_scratch, 1
	.set _ZN9rocsolver6v33100L18getri_kernel_smallILi46E19rocblas_complex_numIdEPKPS3_EEvT1_iilPiilS8_bb.has_dyn_sized_stack, 0
	.set _ZN9rocsolver6v33100L18getri_kernel_smallILi46E19rocblas_complex_numIdEPKPS3_EEvT1_iilPiilS8_bb.has_recursion, 0
	.set _ZN9rocsolver6v33100L18getri_kernel_smallILi46E19rocblas_complex_numIdEPKPS3_EEvT1_iilPiilS8_bb.has_indirect_call, 0
	.section	.AMDGPU.csdata,"",@progbits
; Kernel info:
; codeLenInByte = 82444
; TotalNumSgprs: 81
; NumVgprs: 174
; ScratchSize: 752
; MemoryBound: 0
; FloatMode: 240
; IeeeMode: 1
; LDSByteSize: 2504 bytes/workgroup (compile time only)
; SGPRBlocks: 0
; VGPRBlocks: 10
; NumSGPRsForWavesPerEU: 81
; NumVGPRsForWavesPerEU: 174
; NamedBarCnt: 0
; Occupancy: 5
; WaveLimiterHint : 1
; COMPUTE_PGM_RSRC2:SCRATCH_EN: 1
; COMPUTE_PGM_RSRC2:USER_SGPR: 4
; COMPUTE_PGM_RSRC2:TRAP_HANDLER: 0
; COMPUTE_PGM_RSRC2:TGID_X_EN: 1
; COMPUTE_PGM_RSRC2:TGID_Y_EN: 0
; COMPUTE_PGM_RSRC2:TGID_Z_EN: 0
; COMPUTE_PGM_RSRC2:TIDIG_COMP_CNT: 2
	.section	.text._ZN9rocsolver6v33100L18getri_kernel_smallILi47E19rocblas_complex_numIdEPKPS3_EEvT1_iilPiilS8_bb,"axG",@progbits,_ZN9rocsolver6v33100L18getri_kernel_smallILi47E19rocblas_complex_numIdEPKPS3_EEvT1_iilPiilS8_bb,comdat
	.globl	_ZN9rocsolver6v33100L18getri_kernel_smallILi47E19rocblas_complex_numIdEPKPS3_EEvT1_iilPiilS8_bb ; -- Begin function _ZN9rocsolver6v33100L18getri_kernel_smallILi47E19rocblas_complex_numIdEPKPS3_EEvT1_iilPiilS8_bb
	.p2align	8
	.type	_ZN9rocsolver6v33100L18getri_kernel_smallILi47E19rocblas_complex_numIdEPKPS3_EEvT1_iilPiilS8_bb,@function
_ZN9rocsolver6v33100L18getri_kernel_smallILi47E19rocblas_complex_numIdEPKPS3_EEvT1_iilPiilS8_bb: ; @_ZN9rocsolver6v33100L18getri_kernel_smallILi47E19rocblas_complex_numIdEPKPS3_EEvT1_iilPiilS8_bb
; %bb.0:
	v_and_b32_e32 v1, 0x3ff, v0
	s_mov_b32 s4, exec_lo
	s_delay_alu instid0(VALU_DEP_1)
	v_cmpx_gt_u32_e32 47, v1
	s_cbranch_execz .LBB110_202
; %bb.1:
	s_clause 0x1
	s_load_b32 s16, s[2:3], 0x38
	s_load_b64 s[8:9], s[2:3], 0x0
	s_getreg_b32 s6, hwreg(HW_REG_IB_STS2, 6, 4)
	s_wait_kmcnt 0x0
	s_bitcmp1_b32 s16, 8
	s_cselect_b32 s59, -1, 0
	s_bfe_u32 s4, ttmp6, 0x4000c
	s_and_b32 s5, ttmp6, 15
	s_add_co_i32 s4, s4, 1
	s_delay_alu instid0(SALU_CYCLE_1) | instskip(NEXT) | instid1(SALU_CYCLE_1)
	s_mul_i32 s4, ttmp9, s4
	s_add_co_i32 s5, s5, s4
	s_cmp_eq_u32 s6, 0
	s_cselect_b32 s10, ttmp9, s5
	s_load_b128 s[4:7], s[2:3], 0x28
	s_ashr_i32 s11, s10, 31
	s_delay_alu instid0(SALU_CYCLE_1) | instskip(NEXT) | instid1(SALU_CYCLE_1)
	s_lshl_b64 s[12:13], s[10:11], 3
	s_add_nc_u64 s[8:9], s[8:9], s[12:13]
	s_load_b64 s[14:15], s[8:9], 0x0
	s_wait_xcnt 0x0
	s_bfe_u32 s8, s16, 0x10008
	s_delay_alu instid0(SALU_CYCLE_1)
	s_cmp_eq_u32 s8, 0
                                        ; implicit-def: $sgpr8_sgpr9
	s_cbranch_scc1 .LBB110_3
; %bb.2:
	s_load_b96 s[16:18], s[2:3], 0x18
	s_wait_kmcnt 0x0
	s_mul_u64 s[4:5], s[4:5], s[10:11]
	s_delay_alu instid0(SALU_CYCLE_1) | instskip(SKIP_4) | instid1(SALU_CYCLE_1)
	s_lshl_b64 s[4:5], s[4:5], 2
	s_ashr_i32 s9, s18, 31
	s_mov_b32 s8, s18
	s_add_nc_u64 s[4:5], s[16:17], s[4:5]
	s_lshl_b64 s[8:9], s[8:9], 2
	s_add_nc_u64 s[8:9], s[4:5], s[8:9]
.LBB110_3:
	s_clause 0x1
	s_load_b64 s[12:13], s[2:3], 0x8
	s_load_b32 s60, s[2:3], 0x38
	v_dual_mov_b32 v15, 0 :: v_dual_lshlrev_b32 v14, 4, v1
	s_movk_i32 s61, 0x1b0
	s_movk_i32 s62, 0x1c0
	;; [unrolled: 1-line block ×16, first 2 shown]
	s_wait_kmcnt 0x0
	s_ashr_i32 s3, s12, 31
	s_mov_b32 s2, s12
	v_add3_u32 v36, s13, s13, v1
	s_lshl_b64 s[2:3], s[2:3], 4
	s_movk_i32 s77, 0x2b0
	s_add_nc_u64 s[4:5], s[14:15], s[2:3]
	s_ashr_i32 s3, s13, 31
	flat_load_b128 v[2:5], v1, s[4:5] scale_offset
	v_add_nc_u64_e32 v[32:33], s[4:5], v[14:15]
	s_mov_b32 s2, s13
	v_add_nc_u32_e32 v38, s13, v36
	s_movk_i32 s78, 0x2c0
	s_movk_i32 s79, 0x2d0
	;; [unrolled: 1-line block ×3, first 2 shown]
	s_mov_b32 s18, 16
	v_lshl_add_u64 v[34:35], s[2:3], 4, v[32:33]
	v_add_nc_u32_e32 v40, s13, v38
	s_mov_b32 s16, 32
	s_mov_b32 s14, 48
	;; [unrolled: 1-line block ×3, first 2 shown]
	s_movk_i32 s58, 0x50
	v_add_nc_u32_e32 v42, s13, v40
	s_movk_i32 s57, 0x60
	s_movk_i32 s56, 0x70
	s_movk_i32 s55, 0x80
	s_movk_i32 s54, 0x90
	v_add_nc_u32_e32 v44, s13, v42
	s_movk_i32 s53, 0xa0
	s_movk_i32 s52, 0xb0
	s_movk_i32 s51, 0xc0
	;; [unrolled: 5-line block ×5, first 2 shown]
	s_movk_i32 s38, 0x190
	v_add_nc_u32_e32 v52, s13, v50
	s_movk_i32 s37, 0x1a0
	s_mov_b32 s36, s61
	s_mov_b32 s35, s62
	s_mov_b32 s34, s63
	v_add_nc_u32_e32 v54, s13, v52
	s_mov_b32 s33, s64
	s_mov_b32 s31, s65
	s_mov_b32 s30, s66
	s_mov_b32 s29, s67
	v_add_nc_u32_e32 v56, s13, v54
	s_mov_b32 s28, s68
	;; [unrolled: 5-line block ×4, first 2 shown]
	s_mov_b32 s19, s77
	s_mov_b32 s17, s78
	;; [unrolled: 1-line block ×3, first 2 shown]
	v_add_nc_u32_e32 v62, s13, v60
	s_bitcmp0_b32 s60, 0
	s_mov_b32 s3, -1
	s_delay_alu instid0(VALU_DEP_1) | instskip(NEXT) | instid1(VALU_DEP_1)
	v_add_nc_u32_e32 v66, s13, v62
	v_add_nc_u32_e32 v64, s13, v66
	s_delay_alu instid0(VALU_DEP_1) | instskip(NEXT) | instid1(VALU_DEP_1)
	v_add_nc_u32_e32 v68, s13, v64
	v_add_nc_u32_e32 v70, s13, v68
	;; [unrolled: 3-line block ×15, first 2 shown]
	s_delay_alu instid0(VALU_DEP_1)
	v_add_nc_u32_e32 v124, s13, v122
	s_mov_b32 s13, s80
	s_wait_loadcnt_dscnt 0x0
	scratch_store_b128 off, v[2:5], off
	flat_load_b128 v[2:5], v[34:35]
	s_wait_loadcnt_dscnt 0x0
	scratch_store_b128 off, v[2:5], off offset:16
	flat_load_b128 v[2:5], v36, s[4:5] scale_offset
	s_wait_loadcnt_dscnt 0x0
	scratch_store_b128 off, v[2:5], off offset:32
	flat_load_b128 v[2:5], v38, s[4:5] scale_offset
	;; [unrolled: 3-line block ×45, first 2 shown]
	s_wait_loadcnt_dscnt 0x0
	scratch_store_b128 off, v[2:5], off offset:736
	s_cbranch_scc1 .LBB110_200
; %bb.4:
	v_cmp_eq_u32_e64 s2, 0, v1
	s_wait_xcnt 0x0
	s_and_saveexec_b32 s3, s2
; %bb.5:
	v_mov_b32_e32 v2, 0
	ds_store_b32 v2, v2 offset:1504
; %bb.6:
	s_or_b32 exec_lo, exec_lo, s3
	s_wait_storecnt_dscnt 0x0
	s_barrier_signal -1
	s_barrier_wait -1
	scratch_load_b128 v[2:5], v1, off scale_offset
	s_wait_loadcnt 0x0
	v_cmp_eq_f64_e32 vcc_lo, 0, v[2:3]
	v_cmp_eq_f64_e64 s3, 0, v[4:5]
	s_and_b32 s3, vcc_lo, s3
	s_delay_alu instid0(SALU_CYCLE_1)
	s_and_saveexec_b32 s60, s3
	s_cbranch_execz .LBB110_10
; %bb.7:
	v_mov_b32_e32 v2, 0
	s_mov_b32 s61, 0
	ds_load_b32 v3, v2 offset:1504
	s_wait_dscnt 0x0
	v_readfirstlane_b32 s3, v3
	v_add_nc_u32_e32 v3, 1, v1
	s_cmp_eq_u32 s3, 0
	s_delay_alu instid0(VALU_DEP_1) | instskip(SKIP_1) | instid1(SALU_CYCLE_1)
	v_cmp_gt_i32_e32 vcc_lo, s3, v3
	s_cselect_b32 s62, -1, 0
	s_or_b32 s62, s62, vcc_lo
	s_delay_alu instid0(SALU_CYCLE_1)
	s_and_b32 exec_lo, exec_lo, s62
	s_cbranch_execz .LBB110_10
; %bb.8:
	v_mov_b32_e32 v4, s3
.LBB110_9:                              ; =>This Inner Loop Header: Depth=1
	ds_cmpstore_rtn_b32 v4, v2, v3, v4 offset:1504
	s_wait_dscnt 0x0
	v_cmp_ne_u32_e32 vcc_lo, 0, v4
	v_cmp_le_i32_e64 s3, v4, v3
	s_and_b32 s3, vcc_lo, s3
	s_delay_alu instid0(SALU_CYCLE_1) | instskip(NEXT) | instid1(SALU_CYCLE_1)
	s_and_b32 s3, exec_lo, s3
	s_or_b32 s61, s3, s61
	s_delay_alu instid0(SALU_CYCLE_1)
	s_and_not1_b32 exec_lo, exec_lo, s61
	s_cbranch_execnz .LBB110_9
.LBB110_10:
	s_or_b32 exec_lo, exec_lo, s60
	v_mov_b32_e32 v2, 0
	s_barrier_signal -1
	s_barrier_wait -1
	ds_load_b32 v3, v2 offset:1504
	s_and_saveexec_b32 s3, s2
	s_cbranch_execz .LBB110_12
; %bb.11:
	s_lshl_b64 s[60:61], s[10:11], 2
	s_delay_alu instid0(SALU_CYCLE_1)
	s_add_nc_u64 s[60:61], s[6:7], s[60:61]
	s_wait_dscnt 0x0
	global_store_b32 v2, v3, s[60:61]
.LBB110_12:
	s_wait_xcnt 0x0
	s_or_b32 exec_lo, exec_lo, s3
	s_wait_dscnt 0x0
	v_cmp_ne_u32_e32 vcc_lo, 0, v3
	s_mov_b32 s3, 0
	s_cbranch_vccnz .LBB110_200
; %bb.13:
	v_lshl_add_u32 v15, v1, 4, 0
                                        ; implicit-def: $vgpr6_vgpr7
                                        ; implicit-def: $vgpr10_vgpr11
	scratch_load_b128 v[2:5], v15, off
	s_wait_loadcnt 0x0
	v_cmp_ngt_f64_e64 s3, |v[2:3]|, |v[4:5]|
	s_wait_xcnt 0x0
	s_and_saveexec_b32 s60, s3
	s_delay_alu instid0(SALU_CYCLE_1)
	s_xor_b32 s3, exec_lo, s60
	s_cbranch_execz .LBB110_15
; %bb.14:
	v_div_scale_f64 v[6:7], null, v[4:5], v[4:5], v[2:3]
	v_div_scale_f64 v[12:13], vcc_lo, v[2:3], v[4:5], v[2:3]
	s_delay_alu instid0(VALU_DEP_2) | instskip(SKIP_1) | instid1(TRANS32_DEP_1)
	v_rcp_f64_e32 v[8:9], v[6:7]
	v_nop
	v_fma_f64 v[10:11], -v[6:7], v[8:9], 1.0
	s_delay_alu instid0(VALU_DEP_1) | instskip(NEXT) | instid1(VALU_DEP_1)
	v_fmac_f64_e32 v[8:9], v[8:9], v[10:11]
	v_fma_f64 v[10:11], -v[6:7], v[8:9], 1.0
	s_delay_alu instid0(VALU_DEP_1) | instskip(NEXT) | instid1(VALU_DEP_1)
	v_fmac_f64_e32 v[8:9], v[8:9], v[10:11]
	v_mul_f64_e32 v[10:11], v[12:13], v[8:9]
	s_delay_alu instid0(VALU_DEP_1) | instskip(NEXT) | instid1(VALU_DEP_1)
	v_fma_f64 v[6:7], -v[6:7], v[10:11], v[12:13]
	v_div_fmas_f64 v[6:7], v[6:7], v[8:9], v[10:11]
	s_delay_alu instid0(VALU_DEP_1) | instskip(NEXT) | instid1(VALU_DEP_1)
	v_div_fixup_f64 v[6:7], v[6:7], v[4:5], v[2:3]
	v_fmac_f64_e32 v[4:5], v[2:3], v[6:7]
	s_delay_alu instid0(VALU_DEP_1) | instskip(SKIP_1) | instid1(VALU_DEP_2)
	v_div_scale_f64 v[2:3], null, v[4:5], v[4:5], 1.0
	v_div_scale_f64 v[12:13], vcc_lo, 1.0, v[4:5], 1.0
	v_rcp_f64_e32 v[8:9], v[2:3]
	v_nop
	s_delay_alu instid0(TRANS32_DEP_1) | instskip(NEXT) | instid1(VALU_DEP_1)
	v_fma_f64 v[10:11], -v[2:3], v[8:9], 1.0
	v_fmac_f64_e32 v[8:9], v[8:9], v[10:11]
	s_delay_alu instid0(VALU_DEP_1) | instskip(NEXT) | instid1(VALU_DEP_1)
	v_fma_f64 v[10:11], -v[2:3], v[8:9], 1.0
	v_fmac_f64_e32 v[8:9], v[8:9], v[10:11]
	s_delay_alu instid0(VALU_DEP_1) | instskip(NEXT) | instid1(VALU_DEP_1)
	v_mul_f64_e32 v[10:11], v[12:13], v[8:9]
	v_fma_f64 v[2:3], -v[2:3], v[10:11], v[12:13]
	s_delay_alu instid0(VALU_DEP_1) | instskip(NEXT) | instid1(VALU_DEP_1)
	v_div_fmas_f64 v[2:3], v[2:3], v[8:9], v[10:11]
	v_div_fixup_f64 v[8:9], v[2:3], v[4:5], 1.0
                                        ; implicit-def: $vgpr2_vgpr3
	s_delay_alu instid0(VALU_DEP_1) | instskip(SKIP_1) | instid1(VALU_DEP_2)
	v_mul_f64_e32 v[6:7], v[6:7], v[8:9]
	v_xor_b32_e32 v9, 0x80000000, v9
	v_xor_b32_e32 v11, 0x80000000, v7
	s_delay_alu instid0(VALU_DEP_3)
	v_mov_b32_e32 v10, v6
.LBB110_15:
	s_and_not1_saveexec_b32 s3, s3
	s_cbranch_execz .LBB110_17
; %bb.16:
	v_div_scale_f64 v[6:7], null, v[2:3], v[2:3], v[4:5]
	v_div_scale_f64 v[12:13], vcc_lo, v[4:5], v[2:3], v[4:5]
	s_delay_alu instid0(VALU_DEP_2) | instskip(SKIP_1) | instid1(TRANS32_DEP_1)
	v_rcp_f64_e32 v[8:9], v[6:7]
	v_nop
	v_fma_f64 v[10:11], -v[6:7], v[8:9], 1.0
	s_delay_alu instid0(VALU_DEP_1) | instskip(NEXT) | instid1(VALU_DEP_1)
	v_fmac_f64_e32 v[8:9], v[8:9], v[10:11]
	v_fma_f64 v[10:11], -v[6:7], v[8:9], 1.0
	s_delay_alu instid0(VALU_DEP_1) | instskip(NEXT) | instid1(VALU_DEP_1)
	v_fmac_f64_e32 v[8:9], v[8:9], v[10:11]
	v_mul_f64_e32 v[10:11], v[12:13], v[8:9]
	s_delay_alu instid0(VALU_DEP_1) | instskip(NEXT) | instid1(VALU_DEP_1)
	v_fma_f64 v[6:7], -v[6:7], v[10:11], v[12:13]
	v_div_fmas_f64 v[6:7], v[6:7], v[8:9], v[10:11]
	s_delay_alu instid0(VALU_DEP_1) | instskip(NEXT) | instid1(VALU_DEP_1)
	v_div_fixup_f64 v[8:9], v[6:7], v[2:3], v[4:5]
	v_fmac_f64_e32 v[2:3], v[4:5], v[8:9]
	s_delay_alu instid0(VALU_DEP_1) | instskip(NEXT) | instid1(VALU_DEP_1)
	v_div_scale_f64 v[4:5], null, v[2:3], v[2:3], 1.0
	v_rcp_f64_e32 v[6:7], v[4:5]
	v_nop
	s_delay_alu instid0(TRANS32_DEP_1) | instskip(NEXT) | instid1(VALU_DEP_1)
	v_fma_f64 v[10:11], -v[4:5], v[6:7], 1.0
	v_fmac_f64_e32 v[6:7], v[6:7], v[10:11]
	s_delay_alu instid0(VALU_DEP_1) | instskip(NEXT) | instid1(VALU_DEP_1)
	v_fma_f64 v[10:11], -v[4:5], v[6:7], 1.0
	v_fmac_f64_e32 v[6:7], v[6:7], v[10:11]
	v_div_scale_f64 v[10:11], vcc_lo, 1.0, v[2:3], 1.0
	s_delay_alu instid0(VALU_DEP_1) | instskip(NEXT) | instid1(VALU_DEP_1)
	v_mul_f64_e32 v[12:13], v[10:11], v[6:7]
	v_fma_f64 v[4:5], -v[4:5], v[12:13], v[10:11]
	s_delay_alu instid0(VALU_DEP_1) | instskip(NEXT) | instid1(VALU_DEP_1)
	v_div_fmas_f64 v[4:5], v[4:5], v[6:7], v[12:13]
	v_div_fixup_f64 v[6:7], v[4:5], v[2:3], 1.0
	s_delay_alu instid0(VALU_DEP_1)
	v_mul_f64_e64 v[8:9], v[8:9], -v[6:7]
	v_xor_b32_e32 v11, 0x80000000, v7
	v_mov_b32_e32 v10, v6
.LBB110_17:
	s_or_b32 exec_lo, exec_lo, s3
	s_clause 0x1
	scratch_store_b128 v15, v[6:9], off
	scratch_load_b128 v[2:5], off, s18
	v_xor_b32_e32 v13, 0x80000000, v9
	v_mov_b32_e32 v12, v8
	s_wait_xcnt 0x1
	v_add_nc_u32_e32 v6, 0x2f0, v14
	ds_store_b128 v14, v[10:13]
	s_wait_loadcnt 0x0
	ds_store_b128 v14, v[2:5] offset:752
	s_wait_storecnt_dscnt 0x0
	s_barrier_signal -1
	s_barrier_wait -1
	s_wait_xcnt 0x0
	s_and_saveexec_b32 s3, s2
	s_cbranch_execz .LBB110_19
; %bb.18:
	scratch_load_b128 v[2:5], v15, off
	ds_load_b128 v[8:11], v6
	v_mov_b32_e32 v7, 0
	ds_load_b128 v[16:19], v7 offset:16
	s_wait_loadcnt_dscnt 0x1
	v_mul_f64_e32 v[12:13], v[8:9], v[4:5]
	v_mul_f64_e32 v[4:5], v[10:11], v[4:5]
	s_delay_alu instid0(VALU_DEP_2) | instskip(NEXT) | instid1(VALU_DEP_2)
	v_fmac_f64_e32 v[12:13], v[10:11], v[2:3]
	v_fma_f64 v[2:3], v[8:9], v[2:3], -v[4:5]
	s_delay_alu instid0(VALU_DEP_2) | instskip(NEXT) | instid1(VALU_DEP_2)
	v_add_f64_e32 v[8:9], 0, v[12:13]
	v_add_f64_e32 v[2:3], 0, v[2:3]
	s_wait_dscnt 0x0
	s_delay_alu instid0(VALU_DEP_2) | instskip(NEXT) | instid1(VALU_DEP_2)
	v_mul_f64_e32 v[10:11], v[8:9], v[18:19]
	v_mul_f64_e32 v[4:5], v[2:3], v[18:19]
	s_delay_alu instid0(VALU_DEP_2) | instskip(NEXT) | instid1(VALU_DEP_2)
	v_fma_f64 v[2:3], v[2:3], v[16:17], -v[10:11]
	v_fmac_f64_e32 v[4:5], v[8:9], v[16:17]
	scratch_store_b128 off, v[2:5], off offset:16
.LBB110_19:
	s_wait_xcnt 0x0
	s_or_b32 exec_lo, exec_lo, s3
	s_wait_storecnt 0x0
	s_barrier_signal -1
	s_barrier_wait -1
	scratch_load_b128 v[2:5], off, s16
	s_mov_b32 s3, exec_lo
	s_wait_loadcnt 0x0
	ds_store_b128 v6, v[2:5]
	s_wait_dscnt 0x0
	s_barrier_signal -1
	s_barrier_wait -1
	v_cmpx_gt_u32_e32 2, v1
	s_cbranch_execz .LBB110_23
; %bb.20:
	scratch_load_b128 v[2:5], v15, off
	ds_load_b128 v[8:11], v6
	s_wait_loadcnt_dscnt 0x0
	v_mul_f64_e32 v[12:13], v[10:11], v[4:5]
	v_mul_f64_e32 v[16:17], v[8:9], v[4:5]
	s_delay_alu instid0(VALU_DEP_2) | instskip(NEXT) | instid1(VALU_DEP_2)
	v_fma_f64 v[4:5], v[8:9], v[2:3], -v[12:13]
	v_fmac_f64_e32 v[16:17], v[10:11], v[2:3]
	s_delay_alu instid0(VALU_DEP_2) | instskip(NEXT) | instid1(VALU_DEP_2)
	v_add_f64_e32 v[4:5], 0, v[4:5]
	v_add_f64_e32 v[2:3], 0, v[16:17]
	s_and_saveexec_b32 s60, s2
	s_cbranch_execz .LBB110_22
; %bb.21:
	scratch_load_b128 v[8:11], off, off offset:16
	v_mov_b32_e32 v7, 0
	ds_load_b128 v[16:19], v7 offset:768
	s_wait_loadcnt_dscnt 0x0
	v_mul_f64_e32 v[12:13], v[16:17], v[10:11]
	v_mul_f64_e32 v[10:11], v[18:19], v[10:11]
	s_delay_alu instid0(VALU_DEP_2) | instskip(NEXT) | instid1(VALU_DEP_2)
	v_fmac_f64_e32 v[12:13], v[18:19], v[8:9]
	v_fma_f64 v[8:9], v[16:17], v[8:9], -v[10:11]
	s_delay_alu instid0(VALU_DEP_2) | instskip(NEXT) | instid1(VALU_DEP_2)
	v_add_f64_e32 v[2:3], v[2:3], v[12:13]
	v_add_f64_e32 v[4:5], v[4:5], v[8:9]
.LBB110_22:
	s_or_b32 exec_lo, exec_lo, s60
	v_mov_b32_e32 v7, 0
	ds_load_b128 v[8:11], v7 offset:32
	s_wait_dscnt 0x0
	v_mul_f64_e32 v[16:17], v[2:3], v[10:11]
	v_mul_f64_e32 v[12:13], v[4:5], v[10:11]
	s_delay_alu instid0(VALU_DEP_2) | instskip(NEXT) | instid1(VALU_DEP_2)
	v_fma_f64 v[10:11], v[4:5], v[8:9], -v[16:17]
	v_fmac_f64_e32 v[12:13], v[2:3], v[8:9]
	scratch_store_b128 off, v[10:13], off offset:32
.LBB110_23:
	s_wait_xcnt 0x0
	s_or_b32 exec_lo, exec_lo, s3
	s_wait_storecnt 0x0
	s_barrier_signal -1
	s_barrier_wait -1
	scratch_load_b128 v[2:5], off, s14
	v_add_nc_u32_e32 v7, -1, v1
	s_mov_b32 s2, exec_lo
	s_wait_loadcnt 0x0
	ds_store_b128 v6, v[2:5]
	s_wait_dscnt 0x0
	s_barrier_signal -1
	s_barrier_wait -1
	v_cmpx_gt_u32_e32 3, v1
	s_cbranch_execz .LBB110_27
; %bb.24:
	v_dual_mov_b32 v10, v14 :: v_dual_add_nc_u32 v8, -1, v1
	v_mov_b64_e32 v[2:3], 0
	v_mov_b64_e32 v[4:5], 0
	v_add_nc_u32_e32 v9, 0x2f0, v14
	s_delay_alu instid0(VALU_DEP_4)
	v_or_b32_e32 v10, 8, v10
	s_mov_b32 s3, 0
.LBB110_25:                             ; =>This Inner Loop Header: Depth=1
	scratch_load_b128 v[16:19], v10, off offset:-8
	ds_load_b128 v[20:23], v9
	v_dual_add_nc_u32 v8, 1, v8 :: v_dual_add_nc_u32 v9, 16, v9
	s_wait_xcnt 0x0
	v_add_nc_u32_e32 v10, 16, v10
	s_delay_alu instid0(VALU_DEP_2) | instskip(SKIP_4) | instid1(VALU_DEP_2)
	v_cmp_lt_u32_e32 vcc_lo, 1, v8
	s_or_b32 s3, vcc_lo, s3
	s_wait_loadcnt_dscnt 0x0
	v_mul_f64_e32 v[12:13], v[22:23], v[18:19]
	v_mul_f64_e32 v[18:19], v[20:21], v[18:19]
	v_fma_f64 v[12:13], v[20:21], v[16:17], -v[12:13]
	s_delay_alu instid0(VALU_DEP_2) | instskip(NEXT) | instid1(VALU_DEP_2)
	v_fmac_f64_e32 v[18:19], v[22:23], v[16:17]
	v_add_f64_e32 v[4:5], v[4:5], v[12:13]
	s_delay_alu instid0(VALU_DEP_2)
	v_add_f64_e32 v[2:3], v[2:3], v[18:19]
	s_and_not1_b32 exec_lo, exec_lo, s3
	s_cbranch_execnz .LBB110_25
; %bb.26:
	s_or_b32 exec_lo, exec_lo, s3
	v_mov_b32_e32 v8, 0
	ds_load_b128 v[8:11], v8 offset:48
	s_wait_dscnt 0x0
	v_mul_f64_e32 v[16:17], v[2:3], v[10:11]
	v_mul_f64_e32 v[12:13], v[4:5], v[10:11]
	s_delay_alu instid0(VALU_DEP_2) | instskip(NEXT) | instid1(VALU_DEP_2)
	v_fma_f64 v[10:11], v[4:5], v[8:9], -v[16:17]
	v_fmac_f64_e32 v[12:13], v[2:3], v[8:9]
	scratch_store_b128 off, v[10:13], off offset:48
.LBB110_27:
	s_wait_xcnt 0x0
	s_or_b32 exec_lo, exec_lo, s2
	s_wait_storecnt 0x0
	s_barrier_signal -1
	s_barrier_wait -1
	scratch_load_b128 v[2:5], off, s12
	s_mov_b32 s2, exec_lo
	s_wait_loadcnt 0x0
	ds_store_b128 v6, v[2:5]
	s_wait_dscnt 0x0
	s_barrier_signal -1
	s_barrier_wait -1
	v_cmpx_gt_u32_e32 4, v1
	s_cbranch_execz .LBB110_31
; %bb.28:
	v_dual_mov_b32 v10, v14 :: v_dual_add_nc_u32 v8, -1, v1
	v_mov_b64_e32 v[2:3], 0
	v_mov_b64_e32 v[4:5], 0
	v_add_nc_u32_e32 v9, 0x2f0, v14
	s_delay_alu instid0(VALU_DEP_4)
	v_or_b32_e32 v10, 8, v10
	s_mov_b32 s3, 0
.LBB110_29:                             ; =>This Inner Loop Header: Depth=1
	scratch_load_b128 v[16:19], v10, off offset:-8
	ds_load_b128 v[20:23], v9
	v_dual_add_nc_u32 v8, 1, v8 :: v_dual_add_nc_u32 v9, 16, v9
	s_wait_xcnt 0x0
	v_add_nc_u32_e32 v10, 16, v10
	s_delay_alu instid0(VALU_DEP_2) | instskip(SKIP_4) | instid1(VALU_DEP_2)
	v_cmp_lt_u32_e32 vcc_lo, 2, v8
	s_or_b32 s3, vcc_lo, s3
	s_wait_loadcnt_dscnt 0x0
	v_mul_f64_e32 v[12:13], v[22:23], v[18:19]
	v_mul_f64_e32 v[18:19], v[20:21], v[18:19]
	v_fma_f64 v[12:13], v[20:21], v[16:17], -v[12:13]
	s_delay_alu instid0(VALU_DEP_2) | instskip(NEXT) | instid1(VALU_DEP_2)
	v_fmac_f64_e32 v[18:19], v[22:23], v[16:17]
	v_add_f64_e32 v[4:5], v[4:5], v[12:13]
	s_delay_alu instid0(VALU_DEP_2)
	v_add_f64_e32 v[2:3], v[2:3], v[18:19]
	s_and_not1_b32 exec_lo, exec_lo, s3
	s_cbranch_execnz .LBB110_29
; %bb.30:
	s_or_b32 exec_lo, exec_lo, s3
	v_mov_b32_e32 v8, 0
	ds_load_b128 v[8:11], v8 offset:64
	s_wait_dscnt 0x0
	v_mul_f64_e32 v[16:17], v[2:3], v[10:11]
	v_mul_f64_e32 v[12:13], v[4:5], v[10:11]
	s_delay_alu instid0(VALU_DEP_2) | instskip(NEXT) | instid1(VALU_DEP_2)
	v_fma_f64 v[10:11], v[4:5], v[8:9], -v[16:17]
	v_fmac_f64_e32 v[12:13], v[2:3], v[8:9]
	scratch_store_b128 off, v[10:13], off offset:64
.LBB110_31:
	s_wait_xcnt 0x0
	s_or_b32 exec_lo, exec_lo, s2
	s_wait_storecnt 0x0
	s_barrier_signal -1
	s_barrier_wait -1
	scratch_load_b128 v[2:5], off, s58
	;; [unrolled: 54-line block ×19, first 2 shown]
	s_mov_b32 s2, exec_lo
	s_wait_loadcnt 0x0
	ds_store_b128 v6, v[2:5]
	s_wait_dscnt 0x0
	s_barrier_signal -1
	s_barrier_wait -1
	v_cmpx_gt_u32_e32 22, v1
	s_cbranch_execz .LBB110_103
; %bb.100:
	v_dual_mov_b32 v10, v14 :: v_dual_add_nc_u32 v8, -1, v1
	v_mov_b64_e32 v[2:3], 0
	v_mov_b64_e32 v[4:5], 0
	v_add_nc_u32_e32 v9, 0x2f0, v14
	s_delay_alu instid0(VALU_DEP_4)
	v_or_b32_e32 v10, 8, v10
	s_mov_b32 s3, 0
.LBB110_101:                            ; =>This Inner Loop Header: Depth=1
	scratch_load_b128 v[16:19], v10, off offset:-8
	ds_load_b128 v[20:23], v9
	v_dual_add_nc_u32 v8, 1, v8 :: v_dual_add_nc_u32 v9, 16, v9
	s_wait_xcnt 0x0
	v_add_nc_u32_e32 v10, 16, v10
	s_delay_alu instid0(VALU_DEP_2) | instskip(SKIP_4) | instid1(VALU_DEP_2)
	v_cmp_lt_u32_e32 vcc_lo, 20, v8
	s_or_b32 s3, vcc_lo, s3
	s_wait_loadcnt_dscnt 0x0
	v_mul_f64_e32 v[12:13], v[22:23], v[18:19]
	v_mul_f64_e32 v[18:19], v[20:21], v[18:19]
	v_fma_f64 v[12:13], v[20:21], v[16:17], -v[12:13]
	s_delay_alu instid0(VALU_DEP_2) | instskip(NEXT) | instid1(VALU_DEP_2)
	v_fmac_f64_e32 v[18:19], v[22:23], v[16:17]
	v_add_f64_e32 v[4:5], v[4:5], v[12:13]
	s_delay_alu instid0(VALU_DEP_2)
	v_add_f64_e32 v[2:3], v[2:3], v[18:19]
	s_and_not1_b32 exec_lo, exec_lo, s3
	s_cbranch_execnz .LBB110_101
; %bb.102:
	s_or_b32 exec_lo, exec_lo, s3
	v_mov_b32_e32 v8, 0
	ds_load_b128 v[8:11], v8 offset:352
	s_wait_dscnt 0x0
	v_mul_f64_e32 v[16:17], v[2:3], v[10:11]
	v_mul_f64_e32 v[12:13], v[4:5], v[10:11]
	s_delay_alu instid0(VALU_DEP_2) | instskip(NEXT) | instid1(VALU_DEP_2)
	v_fma_f64 v[10:11], v[4:5], v[8:9], -v[16:17]
	v_fmac_f64_e32 v[12:13], v[2:3], v[8:9]
	scratch_store_b128 off, v[10:13], off offset:352
.LBB110_103:
	s_wait_xcnt 0x0
	s_or_b32 exec_lo, exec_lo, s2
	s_wait_storecnt 0x0
	s_barrier_signal -1
	s_barrier_wait -1
	scratch_load_b128 v[2:5], off, s40
	s_mov_b32 s2, exec_lo
	s_wait_loadcnt 0x0
	ds_store_b128 v6, v[2:5]
	s_wait_dscnt 0x0
	s_barrier_signal -1
	s_barrier_wait -1
	v_cmpx_gt_u32_e32 23, v1
	s_cbranch_execz .LBB110_107
; %bb.104:
	v_dual_mov_b32 v10, v14 :: v_dual_add_nc_u32 v8, -1, v1
	v_mov_b64_e32 v[2:3], 0
	v_mov_b64_e32 v[4:5], 0
	v_add_nc_u32_e32 v9, 0x2f0, v14
	s_delay_alu instid0(VALU_DEP_4)
	v_or_b32_e32 v10, 8, v10
	s_mov_b32 s3, 0
.LBB110_105:                            ; =>This Inner Loop Header: Depth=1
	scratch_load_b128 v[16:19], v10, off offset:-8
	ds_load_b128 v[20:23], v9
	v_dual_add_nc_u32 v8, 1, v8 :: v_dual_add_nc_u32 v9, 16, v9
	s_wait_xcnt 0x0
	v_add_nc_u32_e32 v10, 16, v10
	s_delay_alu instid0(VALU_DEP_2) | instskip(SKIP_4) | instid1(VALU_DEP_2)
	v_cmp_lt_u32_e32 vcc_lo, 21, v8
	s_or_b32 s3, vcc_lo, s3
	s_wait_loadcnt_dscnt 0x0
	v_mul_f64_e32 v[12:13], v[22:23], v[18:19]
	v_mul_f64_e32 v[18:19], v[20:21], v[18:19]
	v_fma_f64 v[12:13], v[20:21], v[16:17], -v[12:13]
	s_delay_alu instid0(VALU_DEP_2) | instskip(NEXT) | instid1(VALU_DEP_2)
	v_fmac_f64_e32 v[18:19], v[22:23], v[16:17]
	v_add_f64_e32 v[4:5], v[4:5], v[12:13]
	s_delay_alu instid0(VALU_DEP_2)
	v_add_f64_e32 v[2:3], v[2:3], v[18:19]
	s_and_not1_b32 exec_lo, exec_lo, s3
	s_cbranch_execnz .LBB110_105
; %bb.106:
	s_or_b32 exec_lo, exec_lo, s3
	v_mov_b32_e32 v8, 0
	ds_load_b128 v[8:11], v8 offset:368
	s_wait_dscnt 0x0
	v_mul_f64_e32 v[16:17], v[2:3], v[10:11]
	v_mul_f64_e32 v[12:13], v[4:5], v[10:11]
	s_delay_alu instid0(VALU_DEP_2) | instskip(NEXT) | instid1(VALU_DEP_2)
	v_fma_f64 v[10:11], v[4:5], v[8:9], -v[16:17]
	v_fmac_f64_e32 v[12:13], v[2:3], v[8:9]
	scratch_store_b128 off, v[10:13], off offset:368
.LBB110_107:
	s_wait_xcnt 0x0
	s_or_b32 exec_lo, exec_lo, s2
	s_wait_storecnt 0x0
	s_barrier_signal -1
	s_barrier_wait -1
	scratch_load_b128 v[2:5], off, s39
	;; [unrolled: 54-line block ×24, first 2 shown]
	s_mov_b32 s2, exec_lo
	s_wait_loadcnt 0x0
	ds_store_b128 v6, v[2:5]
	s_wait_dscnt 0x0
	s_barrier_signal -1
	s_barrier_wait -1
	v_cmpx_ne_u32_e32 46, v1
	s_cbranch_execz .LBB110_199
; %bb.196:
	v_mov_b32_e32 v8, v14
	v_mov_b64_e32 v[2:3], 0
	v_mov_b64_e32 v[4:5], 0
	s_mov_b32 s3, 0
	s_delay_alu instid0(VALU_DEP_3)
	v_or_b32_e32 v8, 8, v8
.LBB110_197:                            ; =>This Inner Loop Header: Depth=1
	scratch_load_b128 v[10:13], v8, off offset:-8
	ds_load_b128 v[14:17], v6
	v_dual_add_nc_u32 v7, 1, v7 :: v_dual_add_nc_u32 v6, 16, v6
	s_wait_xcnt 0x0
	v_add_nc_u32_e32 v8, 16, v8
	s_delay_alu instid0(VALU_DEP_2) | instskip(SKIP_4) | instid1(VALU_DEP_2)
	v_cmp_lt_u32_e32 vcc_lo, 44, v7
	s_or_b32 s3, vcc_lo, s3
	s_wait_loadcnt_dscnt 0x0
	v_mul_f64_e32 v[18:19], v[16:17], v[12:13]
	v_mul_f64_e32 v[12:13], v[14:15], v[12:13]
	v_fma_f64 v[14:15], v[14:15], v[10:11], -v[18:19]
	s_delay_alu instid0(VALU_DEP_2) | instskip(NEXT) | instid1(VALU_DEP_2)
	v_fmac_f64_e32 v[12:13], v[16:17], v[10:11]
	v_add_f64_e32 v[4:5], v[4:5], v[14:15]
	s_delay_alu instid0(VALU_DEP_2)
	v_add_f64_e32 v[2:3], v[2:3], v[12:13]
	s_and_not1_b32 exec_lo, exec_lo, s3
	s_cbranch_execnz .LBB110_197
; %bb.198:
	s_or_b32 exec_lo, exec_lo, s3
	v_mov_b32_e32 v6, 0
	ds_load_b128 v[6:9], v6 offset:736
	s_wait_dscnt 0x0
	v_mul_f64_e32 v[12:13], v[2:3], v[8:9]
	v_mul_f64_e32 v[10:11], v[4:5], v[8:9]
	s_delay_alu instid0(VALU_DEP_2) | instskip(NEXT) | instid1(VALU_DEP_2)
	v_fma_f64 v[8:9], v[4:5], v[6:7], -v[12:13]
	v_fmac_f64_e32 v[10:11], v[2:3], v[6:7]
	scratch_store_b128 off, v[8:11], off offset:736
.LBB110_199:
	s_wait_xcnt 0x0
	s_or_b32 exec_lo, exec_lo, s2
	s_mov_b32 s3, -1
	s_wait_storecnt 0x0
	s_barrier_signal -1
	s_barrier_wait -1
.LBB110_200:
	s_and_b32 vcc_lo, exec_lo, s3
	s_cbranch_vccz .LBB110_202
; %bb.201:
	s_wait_xcnt 0x0
	v_mov_b32_e32 v2, 0
	s_lshl_b64 s[2:3], s[10:11], 2
	s_delay_alu instid0(SALU_CYCLE_1)
	s_add_nc_u64 s[2:3], s[6:7], s[2:3]
	global_load_b32 v2, v2, s[2:3]
	s_wait_loadcnt 0x0
	v_cmp_ne_u32_e32 vcc_lo, 0, v2
	s_cbranch_vccz .LBB110_203
.LBB110_202:
	s_sendmsg sendmsg(MSG_DEALLOC_VGPRS)
	s_endpgm
.LBB110_203:
	v_lshl_add_u32 v126, v1, 4, 0x2f0
	s_wait_xcnt 0x0
	s_mov_b32 s2, exec_lo
	v_cmpx_eq_u32_e32 46, v1
	s_cbranch_execz .LBB110_205
; %bb.204:
	scratch_load_b128 v[2:5], off, s15
	v_mov_b32_e32 v6, 0
	s_delay_alu instid0(VALU_DEP_1)
	v_dual_mov_b32 v7, v6 :: v_dual_mov_b32 v8, v6
	v_mov_b32_e32 v9, v6
	scratch_store_b128 off, v[6:9], off offset:720
	s_wait_loadcnt 0x0
	ds_store_b128 v126, v[2:5]
.LBB110_205:
	s_wait_xcnt 0x0
	s_or_b32 exec_lo, exec_lo, s2
	s_wait_storecnt_dscnt 0x0
	s_barrier_signal -1
	s_barrier_wait -1
	s_clause 0x1
	scratch_load_b128 v[4:7], off, off offset:736
	scratch_load_b128 v[8:11], off, off offset:720
	v_mov_b32_e32 v2, 0
	s_mov_b32 s2, exec_lo
	ds_load_b128 v[12:15], v2 offset:1488
	s_wait_loadcnt_dscnt 0x100
	v_mul_f64_e32 v[16:17], v[14:15], v[6:7]
	v_mul_f64_e32 v[6:7], v[12:13], v[6:7]
	s_delay_alu instid0(VALU_DEP_2) | instskip(NEXT) | instid1(VALU_DEP_2)
	v_fma_f64 v[12:13], v[12:13], v[4:5], -v[16:17]
	v_fmac_f64_e32 v[6:7], v[14:15], v[4:5]
	s_delay_alu instid0(VALU_DEP_2) | instskip(NEXT) | instid1(VALU_DEP_2)
	v_add_f64_e32 v[4:5], 0, v[12:13]
	v_add_f64_e32 v[6:7], 0, v[6:7]
	s_wait_loadcnt 0x0
	s_delay_alu instid0(VALU_DEP_2) | instskip(NEXT) | instid1(VALU_DEP_2)
	v_add_f64_e64 v[4:5], v[8:9], -v[4:5]
	v_add_f64_e64 v[6:7], v[10:11], -v[6:7]
	scratch_store_b128 off, v[4:7], off offset:720
	s_wait_xcnt 0x0
	v_cmpx_lt_u32_e32 44, v1
	s_cbranch_execz .LBB110_207
; %bb.206:
	scratch_load_b128 v[6:9], off, s17
	v_dual_mov_b32 v3, v2 :: v_dual_mov_b32 v4, v2
	v_mov_b32_e32 v5, v2
	scratch_store_b128 off, v[2:5], off offset:704
	s_wait_loadcnt 0x0
	ds_store_b128 v126, v[6:9]
.LBB110_207:
	s_wait_xcnt 0x0
	s_or_b32 exec_lo, exec_lo, s2
	s_wait_storecnt_dscnt 0x0
	s_barrier_signal -1
	s_barrier_wait -1
	s_clause 0x2
	scratch_load_b128 v[4:7], off, off offset:720
	scratch_load_b128 v[8:11], off, off offset:736
	;; [unrolled: 1-line block ×3, first 2 shown]
	ds_load_b128 v[16:19], v2 offset:1472
	ds_load_b128 v[20:23], v2 offset:1488
	s_mov_b32 s2, exec_lo
	s_wait_loadcnt_dscnt 0x201
	v_mul_f64_e32 v[2:3], v[18:19], v[6:7]
	v_mul_f64_e32 v[6:7], v[16:17], v[6:7]
	s_wait_loadcnt_dscnt 0x100
	v_mul_f64_e32 v[24:25], v[20:21], v[10:11]
	v_mul_f64_e32 v[10:11], v[22:23], v[10:11]
	s_delay_alu instid0(VALU_DEP_4) | instskip(NEXT) | instid1(VALU_DEP_4)
	v_fma_f64 v[2:3], v[16:17], v[4:5], -v[2:3]
	v_fmac_f64_e32 v[6:7], v[18:19], v[4:5]
	s_delay_alu instid0(VALU_DEP_4) | instskip(NEXT) | instid1(VALU_DEP_4)
	v_fmac_f64_e32 v[24:25], v[22:23], v[8:9]
	v_fma_f64 v[4:5], v[20:21], v[8:9], -v[10:11]
	s_delay_alu instid0(VALU_DEP_4) | instskip(NEXT) | instid1(VALU_DEP_4)
	v_add_f64_e32 v[2:3], 0, v[2:3]
	v_add_f64_e32 v[6:7], 0, v[6:7]
	s_delay_alu instid0(VALU_DEP_2) | instskip(NEXT) | instid1(VALU_DEP_2)
	v_add_f64_e32 v[2:3], v[2:3], v[4:5]
	v_add_f64_e32 v[4:5], v[6:7], v[24:25]
	s_wait_loadcnt 0x0
	s_delay_alu instid0(VALU_DEP_2) | instskip(NEXT) | instid1(VALU_DEP_2)
	v_add_f64_e64 v[2:3], v[12:13], -v[2:3]
	v_add_f64_e64 v[4:5], v[14:15], -v[4:5]
	scratch_store_b128 off, v[2:5], off offset:704
	s_wait_xcnt 0x0
	v_cmpx_lt_u32_e32 43, v1
	s_cbranch_execz .LBB110_209
; %bb.208:
	scratch_load_b128 v[2:5], off, s19
	v_mov_b32_e32 v6, 0
	s_delay_alu instid0(VALU_DEP_1)
	v_dual_mov_b32 v7, v6 :: v_dual_mov_b32 v8, v6
	v_mov_b32_e32 v9, v6
	scratch_store_b128 off, v[6:9], off offset:688
	s_wait_loadcnt 0x0
	ds_store_b128 v126, v[2:5]
.LBB110_209:
	s_wait_xcnt 0x0
	s_or_b32 exec_lo, exec_lo, s2
	s_wait_storecnt_dscnt 0x0
	s_barrier_signal -1
	s_barrier_wait -1
	s_clause 0x3
	scratch_load_b128 v[4:7], off, off offset:704
	scratch_load_b128 v[8:11], off, off offset:720
	;; [unrolled: 1-line block ×4, first 2 shown]
	v_mov_b32_e32 v2, 0
	ds_load_b128 v[20:23], v2 offset:1456
	ds_load_b128 v[24:27], v2 offset:1472
	s_mov_b32 s2, exec_lo
	s_wait_loadcnt_dscnt 0x301
	v_mul_f64_e32 v[28:29], v[22:23], v[6:7]
	v_mul_f64_e32 v[30:31], v[20:21], v[6:7]
	s_wait_loadcnt_dscnt 0x200
	v_mul_f64_e32 v[128:129], v[24:25], v[10:11]
	v_mul_f64_e32 v[10:11], v[26:27], v[10:11]
	s_delay_alu instid0(VALU_DEP_4) | instskip(NEXT) | instid1(VALU_DEP_4)
	v_fma_f64 v[20:21], v[20:21], v[4:5], -v[28:29]
	v_fmac_f64_e32 v[30:31], v[22:23], v[4:5]
	ds_load_b128 v[4:7], v2 offset:1488
	v_fmac_f64_e32 v[128:129], v[26:27], v[8:9]
	v_fma_f64 v[8:9], v[24:25], v[8:9], -v[10:11]
	s_wait_loadcnt_dscnt 0x100
	v_mul_f64_e32 v[22:23], v[4:5], v[14:15]
	v_mul_f64_e32 v[14:15], v[6:7], v[14:15]
	v_add_f64_e32 v[10:11], 0, v[20:21]
	v_add_f64_e32 v[20:21], 0, v[30:31]
	s_delay_alu instid0(VALU_DEP_4) | instskip(NEXT) | instid1(VALU_DEP_4)
	v_fmac_f64_e32 v[22:23], v[6:7], v[12:13]
	v_fma_f64 v[4:5], v[4:5], v[12:13], -v[14:15]
	s_delay_alu instid0(VALU_DEP_4) | instskip(NEXT) | instid1(VALU_DEP_4)
	v_add_f64_e32 v[6:7], v[10:11], v[8:9]
	v_add_f64_e32 v[8:9], v[20:21], v[128:129]
	s_delay_alu instid0(VALU_DEP_2) | instskip(NEXT) | instid1(VALU_DEP_2)
	v_add_f64_e32 v[4:5], v[6:7], v[4:5]
	v_add_f64_e32 v[6:7], v[8:9], v[22:23]
	s_wait_loadcnt 0x0
	s_delay_alu instid0(VALU_DEP_2) | instskip(NEXT) | instid1(VALU_DEP_2)
	v_add_f64_e64 v[4:5], v[16:17], -v[4:5]
	v_add_f64_e64 v[6:7], v[18:19], -v[6:7]
	scratch_store_b128 off, v[4:7], off offset:688
	s_wait_xcnt 0x0
	v_cmpx_lt_u32_e32 42, v1
	s_cbranch_execz .LBB110_211
; %bb.210:
	scratch_load_b128 v[6:9], off, s20
	v_dual_mov_b32 v3, v2 :: v_dual_mov_b32 v4, v2
	v_mov_b32_e32 v5, v2
	scratch_store_b128 off, v[2:5], off offset:672
	s_wait_loadcnt 0x0
	ds_store_b128 v126, v[6:9]
.LBB110_211:
	s_wait_xcnt 0x0
	s_or_b32 exec_lo, exec_lo, s2
	s_wait_storecnt_dscnt 0x0
	s_barrier_signal -1
	s_barrier_wait -1
	s_clause 0x4
	scratch_load_b128 v[4:7], off, off offset:688
	scratch_load_b128 v[8:11], off, off offset:704
	;; [unrolled: 1-line block ×5, first 2 shown]
	ds_load_b128 v[24:27], v2 offset:1440
	ds_load_b128 v[28:31], v2 offset:1456
	s_mov_b32 s2, exec_lo
	s_wait_loadcnt_dscnt 0x401
	v_mul_f64_e32 v[128:129], v[26:27], v[6:7]
	v_mul_f64_e32 v[130:131], v[24:25], v[6:7]
	s_wait_loadcnt_dscnt 0x300
	v_mul_f64_e32 v[132:133], v[28:29], v[10:11]
	v_mul_f64_e32 v[10:11], v[30:31], v[10:11]
	s_delay_alu instid0(VALU_DEP_4) | instskip(NEXT) | instid1(VALU_DEP_4)
	v_fma_f64 v[128:129], v[24:25], v[4:5], -v[128:129]
	v_fmac_f64_e32 v[130:131], v[26:27], v[4:5]
	ds_load_b128 v[4:7], v2 offset:1472
	ds_load_b128 v[24:27], v2 offset:1488
	v_fmac_f64_e32 v[132:133], v[30:31], v[8:9]
	v_fma_f64 v[8:9], v[28:29], v[8:9], -v[10:11]
	s_wait_loadcnt_dscnt 0x201
	v_mul_f64_e32 v[2:3], v[4:5], v[14:15]
	v_mul_f64_e32 v[14:15], v[6:7], v[14:15]
	s_wait_loadcnt_dscnt 0x100
	v_mul_f64_e32 v[30:31], v[24:25], v[18:19]
	v_mul_f64_e32 v[18:19], v[26:27], v[18:19]
	v_add_f64_e32 v[10:11], 0, v[128:129]
	v_add_f64_e32 v[28:29], 0, v[130:131]
	v_fmac_f64_e32 v[2:3], v[6:7], v[12:13]
	v_fma_f64 v[4:5], v[4:5], v[12:13], -v[14:15]
	v_fmac_f64_e32 v[30:31], v[26:27], v[16:17]
	v_add_f64_e32 v[6:7], v[10:11], v[8:9]
	v_add_f64_e32 v[8:9], v[28:29], v[132:133]
	v_fma_f64 v[10:11], v[24:25], v[16:17], -v[18:19]
	s_delay_alu instid0(VALU_DEP_3) | instskip(NEXT) | instid1(VALU_DEP_3)
	v_add_f64_e32 v[4:5], v[6:7], v[4:5]
	v_add_f64_e32 v[2:3], v[8:9], v[2:3]
	s_delay_alu instid0(VALU_DEP_2) | instskip(NEXT) | instid1(VALU_DEP_2)
	v_add_f64_e32 v[4:5], v[4:5], v[10:11]
	v_add_f64_e32 v[6:7], v[2:3], v[30:31]
	s_wait_loadcnt 0x0
	s_delay_alu instid0(VALU_DEP_2) | instskip(NEXT) | instid1(VALU_DEP_2)
	v_add_f64_e64 v[2:3], v[20:21], -v[4:5]
	v_add_f64_e64 v[4:5], v[22:23], -v[6:7]
	scratch_store_b128 off, v[2:5], off offset:672
	s_wait_xcnt 0x0
	v_cmpx_lt_u32_e32 41, v1
	s_cbranch_execz .LBB110_213
; %bb.212:
	scratch_load_b128 v[2:5], off, s21
	v_mov_b32_e32 v6, 0
	s_delay_alu instid0(VALU_DEP_1)
	v_dual_mov_b32 v7, v6 :: v_dual_mov_b32 v8, v6
	v_mov_b32_e32 v9, v6
	scratch_store_b128 off, v[6:9], off offset:656
	s_wait_loadcnt 0x0
	ds_store_b128 v126, v[2:5]
.LBB110_213:
	s_wait_xcnt 0x0
	s_or_b32 exec_lo, exec_lo, s2
	s_wait_storecnt_dscnt 0x0
	s_barrier_signal -1
	s_barrier_wait -1
	s_clause 0x5
	scratch_load_b128 v[4:7], off, off offset:672
	scratch_load_b128 v[8:11], off, off offset:688
	;; [unrolled: 1-line block ×6, first 2 shown]
	v_mov_b32_e32 v2, 0
	ds_load_b128 v[28:31], v2 offset:1424
	ds_load_b128 v[128:131], v2 offset:1440
	s_mov_b32 s2, exec_lo
	s_wait_loadcnt_dscnt 0x501
	v_mul_f64_e32 v[132:133], v[30:31], v[6:7]
	v_mul_f64_e32 v[134:135], v[28:29], v[6:7]
	s_wait_loadcnt_dscnt 0x400
	v_mul_f64_e32 v[136:137], v[128:129], v[10:11]
	v_mul_f64_e32 v[10:11], v[130:131], v[10:11]
	s_delay_alu instid0(VALU_DEP_4) | instskip(NEXT) | instid1(VALU_DEP_4)
	v_fma_f64 v[132:133], v[28:29], v[4:5], -v[132:133]
	v_fmac_f64_e32 v[134:135], v[30:31], v[4:5]
	ds_load_b128 v[4:7], v2 offset:1456
	ds_load_b128 v[28:31], v2 offset:1472
	v_fmac_f64_e32 v[136:137], v[130:131], v[8:9]
	v_fma_f64 v[8:9], v[128:129], v[8:9], -v[10:11]
	s_wait_loadcnt_dscnt 0x301
	v_mul_f64_e32 v[138:139], v[4:5], v[14:15]
	v_mul_f64_e32 v[14:15], v[6:7], v[14:15]
	s_wait_loadcnt_dscnt 0x200
	v_mul_f64_e32 v[130:131], v[28:29], v[18:19]
	v_mul_f64_e32 v[18:19], v[30:31], v[18:19]
	v_add_f64_e32 v[10:11], 0, v[132:133]
	v_add_f64_e32 v[128:129], 0, v[134:135]
	v_fmac_f64_e32 v[138:139], v[6:7], v[12:13]
	v_fma_f64 v[12:13], v[4:5], v[12:13], -v[14:15]
	ds_load_b128 v[4:7], v2 offset:1488
	v_fmac_f64_e32 v[130:131], v[30:31], v[16:17]
	v_fma_f64 v[16:17], v[28:29], v[16:17], -v[18:19]
	v_add_f64_e32 v[8:9], v[10:11], v[8:9]
	v_add_f64_e32 v[10:11], v[128:129], v[136:137]
	s_wait_loadcnt_dscnt 0x100
	v_mul_f64_e32 v[14:15], v[4:5], v[22:23]
	v_mul_f64_e32 v[22:23], v[6:7], v[22:23]
	s_delay_alu instid0(VALU_DEP_4) | instskip(NEXT) | instid1(VALU_DEP_4)
	v_add_f64_e32 v[8:9], v[8:9], v[12:13]
	v_add_f64_e32 v[10:11], v[10:11], v[138:139]
	s_delay_alu instid0(VALU_DEP_4) | instskip(NEXT) | instid1(VALU_DEP_4)
	v_fmac_f64_e32 v[14:15], v[6:7], v[20:21]
	v_fma_f64 v[4:5], v[4:5], v[20:21], -v[22:23]
	s_delay_alu instid0(VALU_DEP_4) | instskip(NEXT) | instid1(VALU_DEP_4)
	v_add_f64_e32 v[6:7], v[8:9], v[16:17]
	v_add_f64_e32 v[8:9], v[10:11], v[130:131]
	s_delay_alu instid0(VALU_DEP_2) | instskip(NEXT) | instid1(VALU_DEP_2)
	v_add_f64_e32 v[4:5], v[6:7], v[4:5]
	v_add_f64_e32 v[6:7], v[8:9], v[14:15]
	s_wait_loadcnt 0x0
	s_delay_alu instid0(VALU_DEP_2) | instskip(NEXT) | instid1(VALU_DEP_2)
	v_add_f64_e64 v[4:5], v[24:25], -v[4:5]
	v_add_f64_e64 v[6:7], v[26:27], -v[6:7]
	scratch_store_b128 off, v[4:7], off offset:656
	s_wait_xcnt 0x0
	v_cmpx_lt_u32_e32 40, v1
	s_cbranch_execz .LBB110_215
; %bb.214:
	scratch_load_b128 v[6:9], off, s22
	v_dual_mov_b32 v3, v2 :: v_dual_mov_b32 v4, v2
	v_mov_b32_e32 v5, v2
	scratch_store_b128 off, v[2:5], off offset:640
	s_wait_loadcnt 0x0
	ds_store_b128 v126, v[6:9]
.LBB110_215:
	s_wait_xcnt 0x0
	s_or_b32 exec_lo, exec_lo, s2
	s_wait_storecnt_dscnt 0x0
	s_barrier_signal -1
	s_barrier_wait -1
	s_clause 0x6
	scratch_load_b128 v[4:7], off, off offset:656
	scratch_load_b128 v[8:11], off, off offset:672
	;; [unrolled: 1-line block ×7, first 2 shown]
	ds_load_b128 v[128:131], v2 offset:1408
	ds_load_b128 v[132:135], v2 offset:1424
	s_mov_b32 s2, exec_lo
	s_wait_loadcnt_dscnt 0x601
	v_mul_f64_e32 v[136:137], v[130:131], v[6:7]
	v_mul_f64_e32 v[138:139], v[128:129], v[6:7]
	s_wait_loadcnt_dscnt 0x500
	v_mul_f64_e32 v[140:141], v[132:133], v[10:11]
	v_mul_f64_e32 v[10:11], v[134:135], v[10:11]
	s_delay_alu instid0(VALU_DEP_4) | instskip(NEXT) | instid1(VALU_DEP_4)
	v_fma_f64 v[136:137], v[128:129], v[4:5], -v[136:137]
	v_fmac_f64_e32 v[138:139], v[130:131], v[4:5]
	ds_load_b128 v[4:7], v2 offset:1440
	ds_load_b128 v[128:131], v2 offset:1456
	v_fmac_f64_e32 v[140:141], v[134:135], v[8:9]
	v_fma_f64 v[8:9], v[132:133], v[8:9], -v[10:11]
	s_wait_loadcnt_dscnt 0x401
	v_mul_f64_e32 v[142:143], v[4:5], v[14:15]
	v_mul_f64_e32 v[14:15], v[6:7], v[14:15]
	s_wait_loadcnt_dscnt 0x300
	v_mul_f64_e32 v[134:135], v[128:129], v[18:19]
	v_mul_f64_e32 v[18:19], v[130:131], v[18:19]
	v_add_f64_e32 v[10:11], 0, v[136:137]
	v_add_f64_e32 v[132:133], 0, v[138:139]
	v_fmac_f64_e32 v[142:143], v[6:7], v[12:13]
	v_fma_f64 v[12:13], v[4:5], v[12:13], -v[14:15]
	v_fmac_f64_e32 v[134:135], v[130:131], v[16:17]
	v_fma_f64 v[16:17], v[128:129], v[16:17], -v[18:19]
	v_add_f64_e32 v[14:15], v[10:11], v[8:9]
	v_add_f64_e32 v[132:133], v[132:133], v[140:141]
	ds_load_b128 v[4:7], v2 offset:1472
	ds_load_b128 v[8:11], v2 offset:1488
	s_wait_loadcnt_dscnt 0x201
	v_mul_f64_e32 v[2:3], v[4:5], v[22:23]
	v_mul_f64_e32 v[22:23], v[6:7], v[22:23]
	s_wait_loadcnt_dscnt 0x100
	v_mul_f64_e32 v[18:19], v[8:9], v[26:27]
	v_mul_f64_e32 v[26:27], v[10:11], v[26:27]
	v_add_f64_e32 v[12:13], v[14:15], v[12:13]
	v_add_f64_e32 v[14:15], v[132:133], v[142:143]
	v_fmac_f64_e32 v[2:3], v[6:7], v[20:21]
	v_fma_f64 v[4:5], v[4:5], v[20:21], -v[22:23]
	v_fmac_f64_e32 v[18:19], v[10:11], v[24:25]
	v_fma_f64 v[8:9], v[8:9], v[24:25], -v[26:27]
	v_add_f64_e32 v[6:7], v[12:13], v[16:17]
	v_add_f64_e32 v[12:13], v[14:15], v[134:135]
	s_delay_alu instid0(VALU_DEP_2) | instskip(NEXT) | instid1(VALU_DEP_2)
	v_add_f64_e32 v[4:5], v[6:7], v[4:5]
	v_add_f64_e32 v[2:3], v[12:13], v[2:3]
	s_delay_alu instid0(VALU_DEP_2) | instskip(NEXT) | instid1(VALU_DEP_2)
	v_add_f64_e32 v[4:5], v[4:5], v[8:9]
	v_add_f64_e32 v[6:7], v[2:3], v[18:19]
	s_wait_loadcnt 0x0
	s_delay_alu instid0(VALU_DEP_2) | instskip(NEXT) | instid1(VALU_DEP_2)
	v_add_f64_e64 v[2:3], v[28:29], -v[4:5]
	v_add_f64_e64 v[4:5], v[30:31], -v[6:7]
	scratch_store_b128 off, v[2:5], off offset:640
	s_wait_xcnt 0x0
	v_cmpx_lt_u32_e32 39, v1
	s_cbranch_execz .LBB110_217
; %bb.216:
	scratch_load_b128 v[2:5], off, s23
	v_mov_b32_e32 v6, 0
	s_delay_alu instid0(VALU_DEP_1)
	v_dual_mov_b32 v7, v6 :: v_dual_mov_b32 v8, v6
	v_mov_b32_e32 v9, v6
	scratch_store_b128 off, v[6:9], off offset:624
	s_wait_loadcnt 0x0
	ds_store_b128 v126, v[2:5]
.LBB110_217:
	s_wait_xcnt 0x0
	s_or_b32 exec_lo, exec_lo, s2
	s_wait_storecnt_dscnt 0x0
	s_barrier_signal -1
	s_barrier_wait -1
	s_clause 0x7
	scratch_load_b128 v[4:7], off, off offset:640
	scratch_load_b128 v[8:11], off, off offset:656
	;; [unrolled: 1-line block ×8, first 2 shown]
	v_mov_b32_e32 v2, 0
	ds_load_b128 v[132:135], v2 offset:1392
	ds_load_b128 v[136:139], v2 offset:1408
	s_mov_b32 s2, exec_lo
	s_wait_loadcnt_dscnt 0x701
	v_mul_f64_e32 v[140:141], v[134:135], v[6:7]
	v_mul_f64_e32 v[142:143], v[132:133], v[6:7]
	s_wait_loadcnt_dscnt 0x600
	v_mul_f64_e32 v[144:145], v[136:137], v[10:11]
	v_mul_f64_e32 v[10:11], v[138:139], v[10:11]
	s_delay_alu instid0(VALU_DEP_4) | instskip(NEXT) | instid1(VALU_DEP_4)
	v_fma_f64 v[140:141], v[132:133], v[4:5], -v[140:141]
	v_fmac_f64_e32 v[142:143], v[134:135], v[4:5]
	ds_load_b128 v[4:7], v2 offset:1424
	ds_load_b128 v[132:135], v2 offset:1440
	v_fmac_f64_e32 v[144:145], v[138:139], v[8:9]
	v_fma_f64 v[8:9], v[136:137], v[8:9], -v[10:11]
	s_wait_loadcnt_dscnt 0x501
	v_mul_f64_e32 v[146:147], v[4:5], v[14:15]
	v_mul_f64_e32 v[14:15], v[6:7], v[14:15]
	s_wait_loadcnt_dscnt 0x400
	v_mul_f64_e32 v[138:139], v[132:133], v[18:19]
	v_mul_f64_e32 v[18:19], v[134:135], v[18:19]
	v_add_f64_e32 v[10:11], 0, v[140:141]
	v_add_f64_e32 v[136:137], 0, v[142:143]
	v_fmac_f64_e32 v[146:147], v[6:7], v[12:13]
	v_fma_f64 v[12:13], v[4:5], v[12:13], -v[14:15]
	v_fmac_f64_e32 v[138:139], v[134:135], v[16:17]
	v_fma_f64 v[16:17], v[132:133], v[16:17], -v[18:19]
	v_add_f64_e32 v[14:15], v[10:11], v[8:9]
	v_add_f64_e32 v[136:137], v[136:137], v[144:145]
	ds_load_b128 v[4:7], v2 offset:1456
	ds_load_b128 v[8:11], v2 offset:1472
	s_wait_loadcnt_dscnt 0x301
	v_mul_f64_e32 v[140:141], v[4:5], v[22:23]
	v_mul_f64_e32 v[22:23], v[6:7], v[22:23]
	s_wait_loadcnt_dscnt 0x200
	v_mul_f64_e32 v[18:19], v[8:9], v[26:27]
	v_mul_f64_e32 v[26:27], v[10:11], v[26:27]
	v_add_f64_e32 v[12:13], v[14:15], v[12:13]
	v_add_f64_e32 v[14:15], v[136:137], v[146:147]
	v_fmac_f64_e32 v[140:141], v[6:7], v[20:21]
	v_fma_f64 v[20:21], v[4:5], v[20:21], -v[22:23]
	ds_load_b128 v[4:7], v2 offset:1488
	v_fmac_f64_e32 v[18:19], v[10:11], v[24:25]
	v_fma_f64 v[8:9], v[8:9], v[24:25], -v[26:27]
	v_add_f64_e32 v[12:13], v[12:13], v[16:17]
	v_add_f64_e32 v[14:15], v[14:15], v[138:139]
	s_wait_loadcnt_dscnt 0x100
	v_mul_f64_e32 v[16:17], v[4:5], v[30:31]
	v_mul_f64_e32 v[22:23], v[6:7], v[30:31]
	s_delay_alu instid0(VALU_DEP_4) | instskip(NEXT) | instid1(VALU_DEP_4)
	v_add_f64_e32 v[10:11], v[12:13], v[20:21]
	v_add_f64_e32 v[12:13], v[14:15], v[140:141]
	s_delay_alu instid0(VALU_DEP_4) | instskip(NEXT) | instid1(VALU_DEP_4)
	v_fmac_f64_e32 v[16:17], v[6:7], v[28:29]
	v_fma_f64 v[4:5], v[4:5], v[28:29], -v[22:23]
	s_delay_alu instid0(VALU_DEP_4) | instskip(NEXT) | instid1(VALU_DEP_4)
	v_add_f64_e32 v[6:7], v[10:11], v[8:9]
	v_add_f64_e32 v[8:9], v[12:13], v[18:19]
	s_delay_alu instid0(VALU_DEP_2) | instskip(NEXT) | instid1(VALU_DEP_2)
	v_add_f64_e32 v[4:5], v[6:7], v[4:5]
	v_add_f64_e32 v[6:7], v[8:9], v[16:17]
	s_wait_loadcnt 0x0
	s_delay_alu instid0(VALU_DEP_2) | instskip(NEXT) | instid1(VALU_DEP_2)
	v_add_f64_e64 v[4:5], v[128:129], -v[4:5]
	v_add_f64_e64 v[6:7], v[130:131], -v[6:7]
	scratch_store_b128 off, v[4:7], off offset:624
	s_wait_xcnt 0x0
	v_cmpx_lt_u32_e32 38, v1
	s_cbranch_execz .LBB110_219
; %bb.218:
	scratch_load_b128 v[6:9], off, s24
	v_dual_mov_b32 v3, v2 :: v_dual_mov_b32 v4, v2
	v_mov_b32_e32 v5, v2
	scratch_store_b128 off, v[2:5], off offset:608
	s_wait_loadcnt 0x0
	ds_store_b128 v126, v[6:9]
.LBB110_219:
	s_wait_xcnt 0x0
	s_or_b32 exec_lo, exec_lo, s2
	s_wait_storecnt_dscnt 0x0
	s_barrier_signal -1
	s_barrier_wait -1
	s_clause 0x7
	scratch_load_b128 v[4:7], off, off offset:624
	scratch_load_b128 v[8:11], off, off offset:640
	;; [unrolled: 1-line block ×8, first 2 shown]
	ds_load_b128 v[132:135], v2 offset:1376
	ds_load_b128 v[136:139], v2 offset:1392
	scratch_load_b128 v[140:143], off, off offset:608
	s_mov_b32 s2, exec_lo
	s_wait_loadcnt_dscnt 0x801
	v_mul_f64_e32 v[144:145], v[134:135], v[6:7]
	v_mul_f64_e32 v[146:147], v[132:133], v[6:7]
	s_wait_loadcnt_dscnt 0x700
	v_mul_f64_e32 v[148:149], v[136:137], v[10:11]
	v_mul_f64_e32 v[10:11], v[138:139], v[10:11]
	s_delay_alu instid0(VALU_DEP_4) | instskip(NEXT) | instid1(VALU_DEP_4)
	v_fma_f64 v[144:145], v[132:133], v[4:5], -v[144:145]
	v_fmac_f64_e32 v[146:147], v[134:135], v[4:5]
	ds_load_b128 v[4:7], v2 offset:1408
	ds_load_b128 v[132:135], v2 offset:1424
	v_fmac_f64_e32 v[148:149], v[138:139], v[8:9]
	v_fma_f64 v[8:9], v[136:137], v[8:9], -v[10:11]
	s_wait_loadcnt_dscnt 0x601
	v_mul_f64_e32 v[150:151], v[4:5], v[14:15]
	v_mul_f64_e32 v[14:15], v[6:7], v[14:15]
	s_wait_loadcnt_dscnt 0x500
	v_mul_f64_e32 v[138:139], v[132:133], v[18:19]
	v_mul_f64_e32 v[18:19], v[134:135], v[18:19]
	v_add_f64_e32 v[10:11], 0, v[144:145]
	v_add_f64_e32 v[136:137], 0, v[146:147]
	v_fmac_f64_e32 v[150:151], v[6:7], v[12:13]
	v_fma_f64 v[12:13], v[4:5], v[12:13], -v[14:15]
	v_fmac_f64_e32 v[138:139], v[134:135], v[16:17]
	v_fma_f64 v[16:17], v[132:133], v[16:17], -v[18:19]
	v_add_f64_e32 v[14:15], v[10:11], v[8:9]
	v_add_f64_e32 v[136:137], v[136:137], v[148:149]
	ds_load_b128 v[4:7], v2 offset:1440
	ds_load_b128 v[8:11], v2 offset:1456
	s_wait_loadcnt_dscnt 0x401
	v_mul_f64_e32 v[144:145], v[4:5], v[22:23]
	v_mul_f64_e32 v[22:23], v[6:7], v[22:23]
	s_wait_loadcnt_dscnt 0x300
	v_mul_f64_e32 v[18:19], v[8:9], v[26:27]
	v_mul_f64_e32 v[26:27], v[10:11], v[26:27]
	v_add_f64_e32 v[12:13], v[14:15], v[12:13]
	v_add_f64_e32 v[14:15], v[136:137], v[150:151]
	v_fmac_f64_e32 v[144:145], v[6:7], v[20:21]
	v_fma_f64 v[20:21], v[4:5], v[20:21], -v[22:23]
	v_fmac_f64_e32 v[18:19], v[10:11], v[24:25]
	v_fma_f64 v[8:9], v[8:9], v[24:25], -v[26:27]
	v_add_f64_e32 v[16:17], v[12:13], v[16:17]
	v_add_f64_e32 v[22:23], v[14:15], v[138:139]
	ds_load_b128 v[4:7], v2 offset:1472
	ds_load_b128 v[12:15], v2 offset:1488
	s_wait_loadcnt_dscnt 0x201
	v_mul_f64_e32 v[2:3], v[4:5], v[30:31]
	v_mul_f64_e32 v[30:31], v[6:7], v[30:31]
	v_add_f64_e32 v[10:11], v[16:17], v[20:21]
	v_add_f64_e32 v[16:17], v[22:23], v[144:145]
	s_wait_loadcnt_dscnt 0x100
	v_mul_f64_e32 v[20:21], v[12:13], v[130:131]
	v_mul_f64_e32 v[22:23], v[14:15], v[130:131]
	v_fmac_f64_e32 v[2:3], v[6:7], v[28:29]
	v_fma_f64 v[4:5], v[4:5], v[28:29], -v[30:31]
	v_add_f64_e32 v[6:7], v[10:11], v[8:9]
	v_add_f64_e32 v[8:9], v[16:17], v[18:19]
	v_fmac_f64_e32 v[20:21], v[14:15], v[128:129]
	v_fma_f64 v[10:11], v[12:13], v[128:129], -v[22:23]
	s_delay_alu instid0(VALU_DEP_4) | instskip(NEXT) | instid1(VALU_DEP_4)
	v_add_f64_e32 v[4:5], v[6:7], v[4:5]
	v_add_f64_e32 v[2:3], v[8:9], v[2:3]
	s_delay_alu instid0(VALU_DEP_2) | instskip(NEXT) | instid1(VALU_DEP_2)
	v_add_f64_e32 v[4:5], v[4:5], v[10:11]
	v_add_f64_e32 v[6:7], v[2:3], v[20:21]
	s_wait_loadcnt 0x0
	s_delay_alu instid0(VALU_DEP_2) | instskip(NEXT) | instid1(VALU_DEP_2)
	v_add_f64_e64 v[2:3], v[140:141], -v[4:5]
	v_add_f64_e64 v[4:5], v[142:143], -v[6:7]
	scratch_store_b128 off, v[2:5], off offset:608
	s_wait_xcnt 0x0
	v_cmpx_lt_u32_e32 37, v1
	s_cbranch_execz .LBB110_221
; %bb.220:
	scratch_load_b128 v[2:5], off, s25
	v_mov_b32_e32 v6, 0
	s_delay_alu instid0(VALU_DEP_1)
	v_dual_mov_b32 v7, v6 :: v_dual_mov_b32 v8, v6
	v_mov_b32_e32 v9, v6
	scratch_store_b128 off, v[6:9], off offset:592
	s_wait_loadcnt 0x0
	ds_store_b128 v126, v[2:5]
.LBB110_221:
	s_wait_xcnt 0x0
	s_or_b32 exec_lo, exec_lo, s2
	s_wait_storecnt_dscnt 0x0
	s_barrier_signal -1
	s_barrier_wait -1
	s_clause 0x8
	scratch_load_b128 v[4:7], off, off offset:608
	scratch_load_b128 v[8:11], off, off offset:624
	;; [unrolled: 1-line block ×9, first 2 shown]
	v_mov_b32_e32 v2, 0
	scratch_load_b128 v[140:143], off, off offset:592
	s_mov_b32 s2, exec_lo
	ds_load_b128 v[136:139], v2 offset:1360
	ds_load_b128 v[144:147], v2 offset:1376
	s_wait_loadcnt_dscnt 0x901
	v_mul_f64_e32 v[148:149], v[138:139], v[6:7]
	v_mul_f64_e32 v[150:151], v[136:137], v[6:7]
	s_wait_loadcnt_dscnt 0x800
	v_mul_f64_e32 v[152:153], v[144:145], v[10:11]
	v_mul_f64_e32 v[10:11], v[146:147], v[10:11]
	s_delay_alu instid0(VALU_DEP_4) | instskip(NEXT) | instid1(VALU_DEP_4)
	v_fma_f64 v[148:149], v[136:137], v[4:5], -v[148:149]
	v_fmac_f64_e32 v[150:151], v[138:139], v[4:5]
	ds_load_b128 v[4:7], v2 offset:1392
	ds_load_b128 v[136:139], v2 offset:1408
	v_fmac_f64_e32 v[152:153], v[146:147], v[8:9]
	v_fma_f64 v[8:9], v[144:145], v[8:9], -v[10:11]
	s_wait_loadcnt_dscnt 0x701
	v_mul_f64_e32 v[154:155], v[4:5], v[14:15]
	v_mul_f64_e32 v[14:15], v[6:7], v[14:15]
	s_wait_loadcnt_dscnt 0x600
	v_mul_f64_e32 v[146:147], v[136:137], v[18:19]
	v_mul_f64_e32 v[18:19], v[138:139], v[18:19]
	v_add_f64_e32 v[10:11], 0, v[148:149]
	v_add_f64_e32 v[144:145], 0, v[150:151]
	v_fmac_f64_e32 v[154:155], v[6:7], v[12:13]
	v_fma_f64 v[12:13], v[4:5], v[12:13], -v[14:15]
	v_fmac_f64_e32 v[146:147], v[138:139], v[16:17]
	v_fma_f64 v[16:17], v[136:137], v[16:17], -v[18:19]
	v_add_f64_e32 v[14:15], v[10:11], v[8:9]
	v_add_f64_e32 v[144:145], v[144:145], v[152:153]
	ds_load_b128 v[4:7], v2 offset:1424
	ds_load_b128 v[8:11], v2 offset:1440
	s_wait_loadcnt_dscnt 0x501
	v_mul_f64_e32 v[148:149], v[4:5], v[22:23]
	v_mul_f64_e32 v[22:23], v[6:7], v[22:23]
	s_wait_loadcnt_dscnt 0x400
	v_mul_f64_e32 v[18:19], v[8:9], v[26:27]
	v_mul_f64_e32 v[26:27], v[10:11], v[26:27]
	v_add_f64_e32 v[12:13], v[14:15], v[12:13]
	v_add_f64_e32 v[14:15], v[144:145], v[154:155]
	v_fmac_f64_e32 v[148:149], v[6:7], v[20:21]
	v_fma_f64 v[20:21], v[4:5], v[20:21], -v[22:23]
	v_fmac_f64_e32 v[18:19], v[10:11], v[24:25]
	v_fma_f64 v[8:9], v[8:9], v[24:25], -v[26:27]
	v_add_f64_e32 v[16:17], v[12:13], v[16:17]
	v_add_f64_e32 v[22:23], v[14:15], v[146:147]
	ds_load_b128 v[4:7], v2 offset:1456
	ds_load_b128 v[12:15], v2 offset:1472
	s_wait_loadcnt_dscnt 0x301
	v_mul_f64_e32 v[136:137], v[4:5], v[30:31]
	v_mul_f64_e32 v[30:31], v[6:7], v[30:31]
	v_add_f64_e32 v[10:11], v[16:17], v[20:21]
	v_add_f64_e32 v[16:17], v[22:23], v[148:149]
	s_wait_loadcnt_dscnt 0x200
	v_mul_f64_e32 v[20:21], v[12:13], v[130:131]
	v_mul_f64_e32 v[22:23], v[14:15], v[130:131]
	v_fmac_f64_e32 v[136:137], v[6:7], v[28:29]
	v_fma_f64 v[24:25], v[4:5], v[28:29], -v[30:31]
	ds_load_b128 v[4:7], v2 offset:1488
	v_add_f64_e32 v[8:9], v[10:11], v[8:9]
	v_add_f64_e32 v[10:11], v[16:17], v[18:19]
	v_fmac_f64_e32 v[20:21], v[14:15], v[128:129]
	v_fma_f64 v[12:13], v[12:13], v[128:129], -v[22:23]
	s_wait_loadcnt_dscnt 0x100
	v_mul_f64_e32 v[16:17], v[4:5], v[134:135]
	v_mul_f64_e32 v[18:19], v[6:7], v[134:135]
	v_add_f64_e32 v[8:9], v[8:9], v[24:25]
	v_add_f64_e32 v[10:11], v[10:11], v[136:137]
	s_delay_alu instid0(VALU_DEP_4) | instskip(NEXT) | instid1(VALU_DEP_4)
	v_fmac_f64_e32 v[16:17], v[6:7], v[132:133]
	v_fma_f64 v[4:5], v[4:5], v[132:133], -v[18:19]
	s_delay_alu instid0(VALU_DEP_4) | instskip(NEXT) | instid1(VALU_DEP_4)
	v_add_f64_e32 v[6:7], v[8:9], v[12:13]
	v_add_f64_e32 v[8:9], v[10:11], v[20:21]
	s_delay_alu instid0(VALU_DEP_2) | instskip(NEXT) | instid1(VALU_DEP_2)
	v_add_f64_e32 v[4:5], v[6:7], v[4:5]
	v_add_f64_e32 v[6:7], v[8:9], v[16:17]
	s_wait_loadcnt 0x0
	s_delay_alu instid0(VALU_DEP_2) | instskip(NEXT) | instid1(VALU_DEP_2)
	v_add_f64_e64 v[4:5], v[140:141], -v[4:5]
	v_add_f64_e64 v[6:7], v[142:143], -v[6:7]
	scratch_store_b128 off, v[4:7], off offset:592
	s_wait_xcnt 0x0
	v_cmpx_lt_u32_e32 36, v1
	s_cbranch_execz .LBB110_223
; %bb.222:
	scratch_load_b128 v[6:9], off, s26
	v_dual_mov_b32 v3, v2 :: v_dual_mov_b32 v4, v2
	v_mov_b32_e32 v5, v2
	scratch_store_b128 off, v[2:5], off offset:576
	s_wait_loadcnt 0x0
	ds_store_b128 v126, v[6:9]
.LBB110_223:
	s_wait_xcnt 0x0
	s_or_b32 exec_lo, exec_lo, s2
	s_wait_storecnt_dscnt 0x0
	s_barrier_signal -1
	s_barrier_wait -1
	s_clause 0x9
	scratch_load_b128 v[4:7], off, off offset:592
	scratch_load_b128 v[8:11], off, off offset:608
	;; [unrolled: 1-line block ×10, first 2 shown]
	ds_load_b128 v[140:143], v2 offset:1344
	ds_load_b128 v[144:147], v2 offset:1360
	scratch_load_b128 v[148:151], off, off offset:576
	s_mov_b32 s2, exec_lo
	s_wait_loadcnt_dscnt 0xa01
	v_mul_f64_e32 v[152:153], v[142:143], v[6:7]
	v_mul_f64_e32 v[154:155], v[140:141], v[6:7]
	s_wait_loadcnt_dscnt 0x900
	v_mul_f64_e32 v[156:157], v[144:145], v[10:11]
	v_mul_f64_e32 v[10:11], v[146:147], v[10:11]
	s_delay_alu instid0(VALU_DEP_4) | instskip(NEXT) | instid1(VALU_DEP_4)
	v_fma_f64 v[152:153], v[140:141], v[4:5], -v[152:153]
	v_fmac_f64_e32 v[154:155], v[142:143], v[4:5]
	ds_load_b128 v[4:7], v2 offset:1376
	ds_load_b128 v[140:143], v2 offset:1392
	v_fmac_f64_e32 v[156:157], v[146:147], v[8:9]
	v_fma_f64 v[8:9], v[144:145], v[8:9], -v[10:11]
	s_wait_loadcnt_dscnt 0x801
	v_mul_f64_e32 v[158:159], v[4:5], v[14:15]
	v_mul_f64_e32 v[14:15], v[6:7], v[14:15]
	s_wait_loadcnt_dscnt 0x700
	v_mul_f64_e32 v[146:147], v[140:141], v[18:19]
	v_mul_f64_e32 v[18:19], v[142:143], v[18:19]
	v_add_f64_e32 v[10:11], 0, v[152:153]
	v_add_f64_e32 v[144:145], 0, v[154:155]
	v_fmac_f64_e32 v[158:159], v[6:7], v[12:13]
	v_fma_f64 v[12:13], v[4:5], v[12:13], -v[14:15]
	v_fmac_f64_e32 v[146:147], v[142:143], v[16:17]
	v_fma_f64 v[16:17], v[140:141], v[16:17], -v[18:19]
	v_add_f64_e32 v[14:15], v[10:11], v[8:9]
	v_add_f64_e32 v[144:145], v[144:145], v[156:157]
	ds_load_b128 v[4:7], v2 offset:1408
	ds_load_b128 v[8:11], v2 offset:1424
	s_wait_loadcnt_dscnt 0x601
	v_mul_f64_e32 v[152:153], v[4:5], v[22:23]
	v_mul_f64_e32 v[22:23], v[6:7], v[22:23]
	s_wait_loadcnt_dscnt 0x500
	v_mul_f64_e32 v[18:19], v[8:9], v[26:27]
	v_mul_f64_e32 v[26:27], v[10:11], v[26:27]
	v_add_f64_e32 v[12:13], v[14:15], v[12:13]
	v_add_f64_e32 v[14:15], v[144:145], v[158:159]
	v_fmac_f64_e32 v[152:153], v[6:7], v[20:21]
	v_fma_f64 v[20:21], v[4:5], v[20:21], -v[22:23]
	v_fmac_f64_e32 v[18:19], v[10:11], v[24:25]
	v_fma_f64 v[8:9], v[8:9], v[24:25], -v[26:27]
	v_add_f64_e32 v[16:17], v[12:13], v[16:17]
	v_add_f64_e32 v[22:23], v[14:15], v[146:147]
	ds_load_b128 v[4:7], v2 offset:1440
	ds_load_b128 v[12:15], v2 offset:1456
	s_wait_loadcnt_dscnt 0x401
	v_mul_f64_e32 v[140:141], v[4:5], v[30:31]
	v_mul_f64_e32 v[30:31], v[6:7], v[30:31]
	v_add_f64_e32 v[10:11], v[16:17], v[20:21]
	v_add_f64_e32 v[16:17], v[22:23], v[152:153]
	s_wait_loadcnt_dscnt 0x300
	v_mul_f64_e32 v[20:21], v[12:13], v[130:131]
	v_mul_f64_e32 v[22:23], v[14:15], v[130:131]
	v_fmac_f64_e32 v[140:141], v[6:7], v[28:29]
	v_fma_f64 v[24:25], v[4:5], v[28:29], -v[30:31]
	v_add_f64_e32 v[26:27], v[10:11], v[8:9]
	v_add_f64_e32 v[16:17], v[16:17], v[18:19]
	ds_load_b128 v[4:7], v2 offset:1472
	ds_load_b128 v[8:11], v2 offset:1488
	v_fmac_f64_e32 v[20:21], v[14:15], v[128:129]
	v_fma_f64 v[12:13], v[12:13], v[128:129], -v[22:23]
	s_wait_loadcnt_dscnt 0x201
	v_mul_f64_e32 v[2:3], v[4:5], v[134:135]
	v_mul_f64_e32 v[18:19], v[6:7], v[134:135]
	s_wait_loadcnt_dscnt 0x100
	v_mul_f64_e32 v[22:23], v[8:9], v[138:139]
	v_add_f64_e32 v[14:15], v[26:27], v[24:25]
	v_add_f64_e32 v[16:17], v[16:17], v[140:141]
	v_mul_f64_e32 v[24:25], v[10:11], v[138:139]
	v_fmac_f64_e32 v[2:3], v[6:7], v[132:133]
	v_fma_f64 v[4:5], v[4:5], v[132:133], -v[18:19]
	v_fmac_f64_e32 v[22:23], v[10:11], v[136:137]
	v_add_f64_e32 v[6:7], v[14:15], v[12:13]
	v_add_f64_e32 v[12:13], v[16:17], v[20:21]
	v_fma_f64 v[8:9], v[8:9], v[136:137], -v[24:25]
	s_delay_alu instid0(VALU_DEP_3) | instskip(NEXT) | instid1(VALU_DEP_3)
	v_add_f64_e32 v[4:5], v[6:7], v[4:5]
	v_add_f64_e32 v[2:3], v[12:13], v[2:3]
	s_delay_alu instid0(VALU_DEP_2) | instskip(NEXT) | instid1(VALU_DEP_2)
	v_add_f64_e32 v[4:5], v[4:5], v[8:9]
	v_add_f64_e32 v[6:7], v[2:3], v[22:23]
	s_wait_loadcnt 0x0
	s_delay_alu instid0(VALU_DEP_2) | instskip(NEXT) | instid1(VALU_DEP_2)
	v_add_f64_e64 v[2:3], v[148:149], -v[4:5]
	v_add_f64_e64 v[4:5], v[150:151], -v[6:7]
	scratch_store_b128 off, v[2:5], off offset:576
	s_wait_xcnt 0x0
	v_cmpx_lt_u32_e32 35, v1
	s_cbranch_execz .LBB110_225
; %bb.224:
	scratch_load_b128 v[2:5], off, s27
	v_mov_b32_e32 v6, 0
	s_delay_alu instid0(VALU_DEP_1)
	v_dual_mov_b32 v7, v6 :: v_dual_mov_b32 v8, v6
	v_mov_b32_e32 v9, v6
	scratch_store_b128 off, v[6:9], off offset:560
	s_wait_loadcnt 0x0
	ds_store_b128 v126, v[2:5]
.LBB110_225:
	s_wait_xcnt 0x0
	s_or_b32 exec_lo, exec_lo, s2
	s_wait_storecnt_dscnt 0x0
	s_barrier_signal -1
	s_barrier_wait -1
	s_clause 0x9
	scratch_load_b128 v[4:7], off, off offset:576
	scratch_load_b128 v[8:11], off, off offset:592
	;; [unrolled: 1-line block ×10, first 2 shown]
	v_mov_b32_e32 v2, 0
	s_mov_b32 s2, exec_lo
	ds_load_b128 v[140:143], v2 offset:1328
	s_clause 0x1
	scratch_load_b128 v[144:147], off, off offset:736
	scratch_load_b128 v[148:151], off, off offset:560
	s_wait_loadcnt_dscnt 0xb00
	v_mul_f64_e32 v[156:157], v[142:143], v[6:7]
	v_mul_f64_e32 v[158:159], v[140:141], v[6:7]
	ds_load_b128 v[152:155], v2 offset:1344
	s_wait_loadcnt_dscnt 0xa00
	v_mul_f64_e32 v[160:161], v[152:153], v[10:11]
	v_mul_f64_e32 v[10:11], v[154:155], v[10:11]
	v_fma_f64 v[156:157], v[140:141], v[4:5], -v[156:157]
	v_fmac_f64_e32 v[158:159], v[142:143], v[4:5]
	ds_load_b128 v[4:7], v2 offset:1360
	ds_load_b128 v[140:143], v2 offset:1376
	s_wait_loadcnt_dscnt 0x901
	v_mul_f64_e32 v[162:163], v[4:5], v[14:15]
	v_mul_f64_e32 v[14:15], v[6:7], v[14:15]
	v_fmac_f64_e32 v[160:161], v[154:155], v[8:9]
	v_fma_f64 v[8:9], v[152:153], v[8:9], -v[10:11]
	s_wait_loadcnt_dscnt 0x800
	v_mul_f64_e32 v[154:155], v[140:141], v[18:19]
	v_mul_f64_e32 v[18:19], v[142:143], v[18:19]
	v_add_f64_e32 v[10:11], 0, v[156:157]
	v_add_f64_e32 v[152:153], 0, v[158:159]
	v_fmac_f64_e32 v[162:163], v[6:7], v[12:13]
	v_fma_f64 v[12:13], v[4:5], v[12:13], -v[14:15]
	v_fmac_f64_e32 v[154:155], v[142:143], v[16:17]
	v_fma_f64 v[16:17], v[140:141], v[16:17], -v[18:19]
	v_add_f64_e32 v[14:15], v[10:11], v[8:9]
	v_add_f64_e32 v[152:153], v[152:153], v[160:161]
	ds_load_b128 v[4:7], v2 offset:1392
	ds_load_b128 v[8:11], v2 offset:1408
	s_wait_loadcnt_dscnt 0x701
	v_mul_f64_e32 v[156:157], v[4:5], v[22:23]
	v_mul_f64_e32 v[22:23], v[6:7], v[22:23]
	s_wait_loadcnt_dscnt 0x600
	v_mul_f64_e32 v[18:19], v[8:9], v[26:27]
	v_mul_f64_e32 v[26:27], v[10:11], v[26:27]
	v_add_f64_e32 v[12:13], v[14:15], v[12:13]
	v_add_f64_e32 v[14:15], v[152:153], v[162:163]
	v_fmac_f64_e32 v[156:157], v[6:7], v[20:21]
	v_fma_f64 v[20:21], v[4:5], v[20:21], -v[22:23]
	v_fmac_f64_e32 v[18:19], v[10:11], v[24:25]
	v_fma_f64 v[8:9], v[8:9], v[24:25], -v[26:27]
	v_add_f64_e32 v[16:17], v[12:13], v[16:17]
	v_add_f64_e32 v[22:23], v[14:15], v[154:155]
	ds_load_b128 v[4:7], v2 offset:1424
	ds_load_b128 v[12:15], v2 offset:1440
	s_wait_loadcnt_dscnt 0x501
	v_mul_f64_e32 v[140:141], v[4:5], v[30:31]
	v_mul_f64_e32 v[30:31], v[6:7], v[30:31]
	v_add_f64_e32 v[10:11], v[16:17], v[20:21]
	v_add_f64_e32 v[16:17], v[22:23], v[156:157]
	s_wait_loadcnt_dscnt 0x400
	v_mul_f64_e32 v[20:21], v[12:13], v[130:131]
	v_mul_f64_e32 v[22:23], v[14:15], v[130:131]
	v_fmac_f64_e32 v[140:141], v[6:7], v[28:29]
	v_fma_f64 v[24:25], v[4:5], v[28:29], -v[30:31]
	v_add_f64_e32 v[26:27], v[10:11], v[8:9]
	v_add_f64_e32 v[16:17], v[16:17], v[18:19]
	ds_load_b128 v[4:7], v2 offset:1456
	ds_load_b128 v[8:11], v2 offset:1472
	v_fmac_f64_e32 v[20:21], v[14:15], v[128:129]
	v_fma_f64 v[12:13], v[12:13], v[128:129], -v[22:23]
	s_wait_loadcnt_dscnt 0x301
	v_mul_f64_e32 v[18:19], v[4:5], v[134:135]
	v_mul_f64_e32 v[28:29], v[6:7], v[134:135]
	s_wait_loadcnt_dscnt 0x200
	v_mul_f64_e32 v[22:23], v[8:9], v[138:139]
	v_add_f64_e32 v[14:15], v[26:27], v[24:25]
	v_add_f64_e32 v[16:17], v[16:17], v[140:141]
	v_mul_f64_e32 v[24:25], v[10:11], v[138:139]
	v_fmac_f64_e32 v[18:19], v[6:7], v[132:133]
	v_fma_f64 v[26:27], v[4:5], v[132:133], -v[28:29]
	ds_load_b128 v[4:7], v2 offset:1488
	v_fmac_f64_e32 v[22:23], v[10:11], v[136:137]
	v_add_f64_e32 v[12:13], v[14:15], v[12:13]
	v_add_f64_e32 v[14:15], v[16:17], v[20:21]
	v_fma_f64 v[8:9], v[8:9], v[136:137], -v[24:25]
	s_wait_loadcnt_dscnt 0x100
	v_mul_f64_e32 v[16:17], v[4:5], v[146:147]
	v_mul_f64_e32 v[20:21], v[6:7], v[146:147]
	v_add_f64_e32 v[10:11], v[12:13], v[26:27]
	v_add_f64_e32 v[12:13], v[14:15], v[18:19]
	s_delay_alu instid0(VALU_DEP_4) | instskip(NEXT) | instid1(VALU_DEP_4)
	v_fmac_f64_e32 v[16:17], v[6:7], v[144:145]
	v_fma_f64 v[4:5], v[4:5], v[144:145], -v[20:21]
	s_delay_alu instid0(VALU_DEP_4) | instskip(NEXT) | instid1(VALU_DEP_4)
	v_add_f64_e32 v[6:7], v[10:11], v[8:9]
	v_add_f64_e32 v[8:9], v[12:13], v[22:23]
	s_delay_alu instid0(VALU_DEP_2) | instskip(NEXT) | instid1(VALU_DEP_2)
	v_add_f64_e32 v[4:5], v[6:7], v[4:5]
	v_add_f64_e32 v[6:7], v[8:9], v[16:17]
	s_wait_loadcnt 0x0
	s_delay_alu instid0(VALU_DEP_2) | instskip(NEXT) | instid1(VALU_DEP_2)
	v_add_f64_e64 v[4:5], v[148:149], -v[4:5]
	v_add_f64_e64 v[6:7], v[150:151], -v[6:7]
	scratch_store_b128 off, v[4:7], off offset:560
	s_wait_xcnt 0x0
	v_cmpx_lt_u32_e32 34, v1
	s_cbranch_execz .LBB110_227
; %bb.226:
	scratch_load_b128 v[6:9], off, s28
	v_dual_mov_b32 v3, v2 :: v_dual_mov_b32 v4, v2
	v_mov_b32_e32 v5, v2
	scratch_store_b128 off, v[2:5], off offset:544
	s_wait_loadcnt 0x0
	ds_store_b128 v126, v[6:9]
.LBB110_227:
	s_wait_xcnt 0x0
	s_or_b32 exec_lo, exec_lo, s2
	s_wait_storecnt_dscnt 0x0
	s_barrier_signal -1
	s_barrier_wait -1
	s_clause 0x9
	scratch_load_b128 v[4:7], off, off offset:560
	scratch_load_b128 v[8:11], off, off offset:576
	;; [unrolled: 1-line block ×10, first 2 shown]
	ds_load_b128 v[140:143], v2 offset:1312
	ds_load_b128 v[148:151], v2 offset:1328
	s_clause 0x2
	scratch_load_b128 v[144:147], off, off offset:720
	scratch_load_b128 v[152:155], off, off offset:544
	;; [unrolled: 1-line block ×3, first 2 shown]
	s_mov_b32 s2, exec_lo
	s_wait_loadcnt_dscnt 0xc01
	v_mul_f64_e32 v[160:161], v[142:143], v[6:7]
	v_mul_f64_e32 v[162:163], v[140:141], v[6:7]
	s_wait_loadcnt_dscnt 0xb00
	v_mul_f64_e32 v[164:165], v[148:149], v[10:11]
	v_mul_f64_e32 v[10:11], v[150:151], v[10:11]
	s_delay_alu instid0(VALU_DEP_4) | instskip(NEXT) | instid1(VALU_DEP_4)
	v_fma_f64 v[160:161], v[140:141], v[4:5], -v[160:161]
	v_fmac_f64_e32 v[162:163], v[142:143], v[4:5]
	ds_load_b128 v[4:7], v2 offset:1344
	ds_load_b128 v[140:143], v2 offset:1360
	v_fmac_f64_e32 v[164:165], v[150:151], v[8:9]
	v_fma_f64 v[8:9], v[148:149], v[8:9], -v[10:11]
	s_wait_loadcnt_dscnt 0xa01
	v_mul_f64_e32 v[166:167], v[4:5], v[14:15]
	v_mul_f64_e32 v[14:15], v[6:7], v[14:15]
	s_wait_loadcnt_dscnt 0x900
	v_mul_f64_e32 v[150:151], v[140:141], v[18:19]
	v_mul_f64_e32 v[18:19], v[142:143], v[18:19]
	v_add_f64_e32 v[10:11], 0, v[160:161]
	v_add_f64_e32 v[148:149], 0, v[162:163]
	v_fmac_f64_e32 v[166:167], v[6:7], v[12:13]
	v_fma_f64 v[12:13], v[4:5], v[12:13], -v[14:15]
	v_fmac_f64_e32 v[150:151], v[142:143], v[16:17]
	v_fma_f64 v[16:17], v[140:141], v[16:17], -v[18:19]
	v_add_f64_e32 v[14:15], v[10:11], v[8:9]
	v_add_f64_e32 v[148:149], v[148:149], v[164:165]
	ds_load_b128 v[4:7], v2 offset:1376
	ds_load_b128 v[8:11], v2 offset:1392
	s_wait_loadcnt_dscnt 0x801
	v_mul_f64_e32 v[160:161], v[4:5], v[22:23]
	v_mul_f64_e32 v[22:23], v[6:7], v[22:23]
	s_wait_loadcnt_dscnt 0x700
	v_mul_f64_e32 v[18:19], v[8:9], v[26:27]
	v_mul_f64_e32 v[26:27], v[10:11], v[26:27]
	v_add_f64_e32 v[12:13], v[14:15], v[12:13]
	v_add_f64_e32 v[14:15], v[148:149], v[166:167]
	v_fmac_f64_e32 v[160:161], v[6:7], v[20:21]
	v_fma_f64 v[20:21], v[4:5], v[20:21], -v[22:23]
	v_fmac_f64_e32 v[18:19], v[10:11], v[24:25]
	v_fma_f64 v[8:9], v[8:9], v[24:25], -v[26:27]
	v_add_f64_e32 v[16:17], v[12:13], v[16:17]
	v_add_f64_e32 v[22:23], v[14:15], v[150:151]
	ds_load_b128 v[4:7], v2 offset:1408
	ds_load_b128 v[12:15], v2 offset:1424
	s_wait_loadcnt_dscnt 0x601
	v_mul_f64_e32 v[140:141], v[4:5], v[30:31]
	v_mul_f64_e32 v[30:31], v[6:7], v[30:31]
	v_add_f64_e32 v[10:11], v[16:17], v[20:21]
	v_add_f64_e32 v[16:17], v[22:23], v[160:161]
	s_wait_loadcnt_dscnt 0x500
	v_mul_f64_e32 v[20:21], v[12:13], v[130:131]
	v_mul_f64_e32 v[22:23], v[14:15], v[130:131]
	v_fmac_f64_e32 v[140:141], v[6:7], v[28:29]
	v_fma_f64 v[24:25], v[4:5], v[28:29], -v[30:31]
	v_add_f64_e32 v[26:27], v[10:11], v[8:9]
	v_add_f64_e32 v[16:17], v[16:17], v[18:19]
	ds_load_b128 v[4:7], v2 offset:1440
	ds_load_b128 v[8:11], v2 offset:1456
	v_fmac_f64_e32 v[20:21], v[14:15], v[128:129]
	v_fma_f64 v[12:13], v[12:13], v[128:129], -v[22:23]
	s_wait_loadcnt_dscnt 0x401
	v_mul_f64_e32 v[18:19], v[4:5], v[134:135]
	v_mul_f64_e32 v[28:29], v[6:7], v[134:135]
	s_wait_loadcnt_dscnt 0x300
	v_mul_f64_e32 v[22:23], v[8:9], v[138:139]
	v_add_f64_e32 v[14:15], v[26:27], v[24:25]
	v_add_f64_e32 v[16:17], v[16:17], v[140:141]
	v_mul_f64_e32 v[24:25], v[10:11], v[138:139]
	v_fmac_f64_e32 v[18:19], v[6:7], v[132:133]
	v_fma_f64 v[26:27], v[4:5], v[132:133], -v[28:29]
	v_fmac_f64_e32 v[22:23], v[10:11], v[136:137]
	v_add_f64_e32 v[28:29], v[14:15], v[12:13]
	v_add_f64_e32 v[16:17], v[16:17], v[20:21]
	ds_load_b128 v[4:7], v2 offset:1472
	ds_load_b128 v[12:15], v2 offset:1488
	v_fma_f64 v[8:9], v[8:9], v[136:137], -v[24:25]
	s_wait_loadcnt_dscnt 0x201
	v_mul_f64_e32 v[2:3], v[4:5], v[146:147]
	v_mul_f64_e32 v[20:21], v[6:7], v[146:147]
	s_wait_loadcnt_dscnt 0x0
	v_mul_f64_e32 v[24:25], v[14:15], v[158:159]
	v_add_f64_e32 v[10:11], v[28:29], v[26:27]
	v_add_f64_e32 v[16:17], v[16:17], v[18:19]
	v_mul_f64_e32 v[18:19], v[12:13], v[158:159]
	v_fmac_f64_e32 v[2:3], v[6:7], v[144:145]
	v_fma_f64 v[4:5], v[4:5], v[144:145], -v[20:21]
	v_add_f64_e32 v[6:7], v[10:11], v[8:9]
	v_add_f64_e32 v[8:9], v[16:17], v[22:23]
	v_fmac_f64_e32 v[18:19], v[14:15], v[156:157]
	v_fma_f64 v[10:11], v[12:13], v[156:157], -v[24:25]
	s_delay_alu instid0(VALU_DEP_4) | instskip(NEXT) | instid1(VALU_DEP_4)
	v_add_f64_e32 v[4:5], v[6:7], v[4:5]
	v_add_f64_e32 v[2:3], v[8:9], v[2:3]
	s_delay_alu instid0(VALU_DEP_2) | instskip(NEXT) | instid1(VALU_DEP_2)
	v_add_f64_e32 v[4:5], v[4:5], v[10:11]
	v_add_f64_e32 v[6:7], v[2:3], v[18:19]
	s_delay_alu instid0(VALU_DEP_2) | instskip(NEXT) | instid1(VALU_DEP_2)
	v_add_f64_e64 v[2:3], v[152:153], -v[4:5]
	v_add_f64_e64 v[4:5], v[154:155], -v[6:7]
	scratch_store_b128 off, v[2:5], off offset:544
	s_wait_xcnt 0x0
	v_cmpx_lt_u32_e32 33, v1
	s_cbranch_execz .LBB110_229
; %bb.228:
	scratch_load_b128 v[2:5], off, s29
	v_mov_b32_e32 v6, 0
	s_delay_alu instid0(VALU_DEP_1)
	v_dual_mov_b32 v7, v6 :: v_dual_mov_b32 v8, v6
	v_mov_b32_e32 v9, v6
	scratch_store_b128 off, v[6:9], off offset:528
	s_wait_loadcnt 0x0
	ds_store_b128 v126, v[2:5]
.LBB110_229:
	s_wait_xcnt 0x0
	s_or_b32 exec_lo, exec_lo, s2
	s_wait_storecnt_dscnt 0x0
	s_barrier_signal -1
	s_barrier_wait -1
	s_clause 0x9
	scratch_load_b128 v[4:7], off, off offset:544
	scratch_load_b128 v[8:11], off, off offset:560
	;; [unrolled: 1-line block ×10, first 2 shown]
	v_mov_b32_e32 v2, 0
	s_mov_b32 s2, exec_lo
	ds_load_b128 v[140:143], v2 offset:1296
	s_clause 0x2
	scratch_load_b128 v[144:147], off, off offset:704
	scratch_load_b128 v[148:151], off, off offset:528
	;; [unrolled: 1-line block ×3, first 2 shown]
	s_wait_loadcnt_dscnt 0xc00
	v_mul_f64_e32 v[160:161], v[142:143], v[6:7]
	v_mul_f64_e32 v[164:165], v[140:141], v[6:7]
	ds_load_b128 v[152:155], v2 offset:1312
	v_fma_f64 v[168:169], v[140:141], v[4:5], -v[160:161]
	v_fmac_f64_e32 v[164:165], v[142:143], v[4:5]
	ds_load_b128 v[4:7], v2 offset:1328
	s_wait_loadcnt_dscnt 0xb01
	v_mul_f64_e32 v[166:167], v[152:153], v[10:11]
	v_mul_f64_e32 v[10:11], v[154:155], v[10:11]
	scratch_load_b128 v[140:143], off, off offset:736
	ds_load_b128 v[160:163], v2 offset:1344
	s_wait_loadcnt_dscnt 0xb01
	v_mul_f64_e32 v[170:171], v[4:5], v[14:15]
	v_mul_f64_e32 v[14:15], v[6:7], v[14:15]
	v_fmac_f64_e32 v[166:167], v[154:155], v[8:9]
	v_fma_f64 v[8:9], v[152:153], v[8:9], -v[10:11]
	v_add_f64_e32 v[10:11], 0, v[168:169]
	v_add_f64_e32 v[152:153], 0, v[164:165]
	s_wait_loadcnt_dscnt 0xa00
	v_mul_f64_e32 v[154:155], v[160:161], v[18:19]
	v_mul_f64_e32 v[18:19], v[162:163], v[18:19]
	v_fmac_f64_e32 v[170:171], v[6:7], v[12:13]
	v_fma_f64 v[12:13], v[4:5], v[12:13], -v[14:15]
	v_add_f64_e32 v[14:15], v[10:11], v[8:9]
	v_add_f64_e32 v[152:153], v[152:153], v[166:167]
	ds_load_b128 v[4:7], v2 offset:1360
	ds_load_b128 v[8:11], v2 offset:1376
	v_fmac_f64_e32 v[154:155], v[162:163], v[16:17]
	v_fma_f64 v[16:17], v[160:161], v[16:17], -v[18:19]
	s_wait_loadcnt_dscnt 0x901
	v_mul_f64_e32 v[164:165], v[4:5], v[22:23]
	v_mul_f64_e32 v[22:23], v[6:7], v[22:23]
	s_wait_loadcnt_dscnt 0x800
	v_mul_f64_e32 v[18:19], v[8:9], v[26:27]
	v_mul_f64_e32 v[26:27], v[10:11], v[26:27]
	v_add_f64_e32 v[12:13], v[14:15], v[12:13]
	v_add_f64_e32 v[14:15], v[152:153], v[170:171]
	v_fmac_f64_e32 v[164:165], v[6:7], v[20:21]
	v_fma_f64 v[20:21], v[4:5], v[20:21], -v[22:23]
	v_fmac_f64_e32 v[18:19], v[10:11], v[24:25]
	v_fma_f64 v[8:9], v[8:9], v[24:25], -v[26:27]
	v_add_f64_e32 v[16:17], v[12:13], v[16:17]
	v_add_f64_e32 v[22:23], v[14:15], v[154:155]
	ds_load_b128 v[4:7], v2 offset:1392
	ds_load_b128 v[12:15], v2 offset:1408
	s_wait_loadcnt_dscnt 0x701
	v_mul_f64_e32 v[152:153], v[4:5], v[30:31]
	v_mul_f64_e32 v[30:31], v[6:7], v[30:31]
	v_add_f64_e32 v[10:11], v[16:17], v[20:21]
	v_add_f64_e32 v[16:17], v[22:23], v[164:165]
	s_wait_loadcnt_dscnt 0x600
	v_mul_f64_e32 v[20:21], v[12:13], v[130:131]
	v_mul_f64_e32 v[22:23], v[14:15], v[130:131]
	v_fmac_f64_e32 v[152:153], v[6:7], v[28:29]
	v_fma_f64 v[24:25], v[4:5], v[28:29], -v[30:31]
	v_add_f64_e32 v[26:27], v[10:11], v[8:9]
	v_add_f64_e32 v[16:17], v[16:17], v[18:19]
	ds_load_b128 v[4:7], v2 offset:1424
	ds_load_b128 v[8:11], v2 offset:1440
	v_fmac_f64_e32 v[20:21], v[14:15], v[128:129]
	v_fma_f64 v[12:13], v[12:13], v[128:129], -v[22:23]
	s_wait_loadcnt_dscnt 0x501
	v_mul_f64_e32 v[18:19], v[4:5], v[134:135]
	v_mul_f64_e32 v[28:29], v[6:7], v[134:135]
	s_wait_loadcnt_dscnt 0x400
	v_mul_f64_e32 v[22:23], v[8:9], v[138:139]
	v_add_f64_e32 v[14:15], v[26:27], v[24:25]
	v_add_f64_e32 v[16:17], v[16:17], v[152:153]
	v_mul_f64_e32 v[24:25], v[10:11], v[138:139]
	v_fmac_f64_e32 v[18:19], v[6:7], v[132:133]
	v_fma_f64 v[26:27], v[4:5], v[132:133], -v[28:29]
	v_fmac_f64_e32 v[22:23], v[10:11], v[136:137]
	v_add_f64_e32 v[28:29], v[14:15], v[12:13]
	v_add_f64_e32 v[16:17], v[16:17], v[20:21]
	ds_load_b128 v[4:7], v2 offset:1456
	ds_load_b128 v[12:15], v2 offset:1472
	v_fma_f64 v[8:9], v[8:9], v[136:137], -v[24:25]
	s_wait_loadcnt_dscnt 0x301
	v_mul_f64_e32 v[20:21], v[4:5], v[146:147]
	v_mul_f64_e32 v[30:31], v[6:7], v[146:147]
	s_wait_loadcnt_dscnt 0x100
	v_mul_f64_e32 v[24:25], v[14:15], v[158:159]
	v_add_f64_e32 v[10:11], v[28:29], v[26:27]
	v_add_f64_e32 v[16:17], v[16:17], v[18:19]
	v_mul_f64_e32 v[18:19], v[12:13], v[158:159]
	v_fmac_f64_e32 v[20:21], v[6:7], v[144:145]
	v_fma_f64 v[26:27], v[4:5], v[144:145], -v[30:31]
	ds_load_b128 v[4:7], v2 offset:1488
	v_fma_f64 v[12:13], v[12:13], v[156:157], -v[24:25]
	v_add_f64_e32 v[8:9], v[10:11], v[8:9]
	v_add_f64_e32 v[10:11], v[16:17], v[22:23]
	v_fmac_f64_e32 v[18:19], v[14:15], v[156:157]
	s_wait_loadcnt_dscnt 0x0
	v_mul_f64_e32 v[16:17], v[4:5], v[142:143]
	v_mul_f64_e32 v[22:23], v[6:7], v[142:143]
	v_add_f64_e32 v[8:9], v[8:9], v[26:27]
	v_add_f64_e32 v[10:11], v[10:11], v[20:21]
	s_delay_alu instid0(VALU_DEP_4) | instskip(NEXT) | instid1(VALU_DEP_4)
	v_fmac_f64_e32 v[16:17], v[6:7], v[140:141]
	v_fma_f64 v[4:5], v[4:5], v[140:141], -v[22:23]
	s_delay_alu instid0(VALU_DEP_4) | instskip(NEXT) | instid1(VALU_DEP_4)
	v_add_f64_e32 v[6:7], v[8:9], v[12:13]
	v_add_f64_e32 v[8:9], v[10:11], v[18:19]
	s_delay_alu instid0(VALU_DEP_2) | instskip(NEXT) | instid1(VALU_DEP_2)
	v_add_f64_e32 v[4:5], v[6:7], v[4:5]
	v_add_f64_e32 v[6:7], v[8:9], v[16:17]
	s_delay_alu instid0(VALU_DEP_2) | instskip(NEXT) | instid1(VALU_DEP_2)
	v_add_f64_e64 v[4:5], v[148:149], -v[4:5]
	v_add_f64_e64 v[6:7], v[150:151], -v[6:7]
	scratch_store_b128 off, v[4:7], off offset:528
	s_wait_xcnt 0x0
	v_cmpx_lt_u32_e32 32, v1
	s_cbranch_execz .LBB110_231
; %bb.230:
	scratch_load_b128 v[6:9], off, s30
	v_dual_mov_b32 v3, v2 :: v_dual_mov_b32 v4, v2
	v_mov_b32_e32 v5, v2
	scratch_store_b128 off, v[2:5], off offset:512
	s_wait_loadcnt 0x0
	ds_store_b128 v126, v[6:9]
.LBB110_231:
	s_wait_xcnt 0x0
	s_or_b32 exec_lo, exec_lo, s2
	s_wait_storecnt_dscnt 0x0
	s_barrier_signal -1
	s_barrier_wait -1
	s_clause 0x9
	scratch_load_b128 v[4:7], off, off offset:528
	scratch_load_b128 v[8:11], off, off offset:544
	;; [unrolled: 1-line block ×10, first 2 shown]
	ds_load_b128 v[140:143], v2 offset:1280
	ds_load_b128 v[148:151], v2 offset:1296
	s_clause 0x2
	scratch_load_b128 v[144:147], off, off offset:688
	scratch_load_b128 v[152:155], off, off offset:512
	;; [unrolled: 1-line block ×3, first 2 shown]
	s_mov_b32 s2, exec_lo
	s_wait_loadcnt_dscnt 0xc01
	v_mul_f64_e32 v[160:161], v[142:143], v[6:7]
	v_mul_f64_e32 v[164:165], v[140:141], v[6:7]
	s_wait_loadcnt_dscnt 0xb00
	v_mul_f64_e32 v[166:167], v[148:149], v[10:11]
	v_mul_f64_e32 v[10:11], v[150:151], v[10:11]
	s_delay_alu instid0(VALU_DEP_4) | instskip(NEXT) | instid1(VALU_DEP_4)
	v_fma_f64 v[168:169], v[140:141], v[4:5], -v[160:161]
	v_fmac_f64_e32 v[164:165], v[142:143], v[4:5]
	ds_load_b128 v[4:7], v2 offset:1312
	ds_load_b128 v[140:143], v2 offset:1328
	scratch_load_b128 v[160:163], off, off offset:720
	v_fmac_f64_e32 v[166:167], v[150:151], v[8:9]
	v_fma_f64 v[148:149], v[148:149], v[8:9], -v[10:11]
	scratch_load_b128 v[8:11], off, off offset:736
	s_wait_loadcnt_dscnt 0xc01
	v_mul_f64_e32 v[170:171], v[4:5], v[14:15]
	v_mul_f64_e32 v[14:15], v[6:7], v[14:15]
	v_add_f64_e32 v[150:151], 0, v[168:169]
	v_add_f64_e32 v[164:165], 0, v[164:165]
	s_wait_loadcnt_dscnt 0xb00
	v_mul_f64_e32 v[168:169], v[140:141], v[18:19]
	v_mul_f64_e32 v[18:19], v[142:143], v[18:19]
	v_fmac_f64_e32 v[170:171], v[6:7], v[12:13]
	v_fma_f64 v[172:173], v[4:5], v[12:13], -v[14:15]
	ds_load_b128 v[4:7], v2 offset:1344
	ds_load_b128 v[12:15], v2 offset:1360
	v_add_f64_e32 v[148:149], v[150:151], v[148:149]
	v_add_f64_e32 v[150:151], v[164:165], v[166:167]
	v_fmac_f64_e32 v[168:169], v[142:143], v[16:17]
	v_fma_f64 v[16:17], v[140:141], v[16:17], -v[18:19]
	s_wait_loadcnt_dscnt 0xa01
	v_mul_f64_e32 v[164:165], v[4:5], v[22:23]
	v_mul_f64_e32 v[22:23], v[6:7], v[22:23]
	s_wait_loadcnt_dscnt 0x900
	v_mul_f64_e32 v[142:143], v[12:13], v[26:27]
	v_mul_f64_e32 v[26:27], v[14:15], v[26:27]
	v_add_f64_e32 v[18:19], v[148:149], v[172:173]
	v_add_f64_e32 v[140:141], v[150:151], v[170:171]
	v_fmac_f64_e32 v[164:165], v[6:7], v[20:21]
	v_fma_f64 v[20:21], v[4:5], v[20:21], -v[22:23]
	v_fmac_f64_e32 v[142:143], v[14:15], v[24:25]
	v_fma_f64 v[12:13], v[12:13], v[24:25], -v[26:27]
	v_add_f64_e32 v[22:23], v[18:19], v[16:17]
	v_add_f64_e32 v[140:141], v[140:141], v[168:169]
	ds_load_b128 v[4:7], v2 offset:1376
	ds_load_b128 v[16:19], v2 offset:1392
	s_wait_loadcnt_dscnt 0x801
	v_mul_f64_e32 v[148:149], v[4:5], v[30:31]
	v_mul_f64_e32 v[30:31], v[6:7], v[30:31]
	s_wait_loadcnt_dscnt 0x700
	v_mul_f64_e32 v[24:25], v[18:19], v[130:131]
	v_add_f64_e32 v[14:15], v[22:23], v[20:21]
	v_add_f64_e32 v[20:21], v[140:141], v[164:165]
	v_mul_f64_e32 v[22:23], v[16:17], v[130:131]
	v_fmac_f64_e32 v[148:149], v[6:7], v[28:29]
	v_fma_f64 v[26:27], v[4:5], v[28:29], -v[30:31]
	v_fma_f64 v[16:17], v[16:17], v[128:129], -v[24:25]
	v_add_f64_e32 v[28:29], v[14:15], v[12:13]
	v_add_f64_e32 v[20:21], v[20:21], v[142:143]
	ds_load_b128 v[4:7], v2 offset:1408
	ds_load_b128 v[12:15], v2 offset:1424
	v_fmac_f64_e32 v[22:23], v[18:19], v[128:129]
	s_wait_loadcnt_dscnt 0x601
	v_mul_f64_e32 v[30:31], v[4:5], v[134:135]
	v_mul_f64_e32 v[130:131], v[6:7], v[134:135]
	s_wait_loadcnt_dscnt 0x500
	v_mul_f64_e32 v[24:25], v[12:13], v[138:139]
	v_add_f64_e32 v[18:19], v[28:29], v[26:27]
	v_add_f64_e32 v[20:21], v[20:21], v[148:149]
	v_mul_f64_e32 v[26:27], v[14:15], v[138:139]
	v_fmac_f64_e32 v[30:31], v[6:7], v[132:133]
	v_fma_f64 v[28:29], v[4:5], v[132:133], -v[130:131]
	v_fmac_f64_e32 v[24:25], v[14:15], v[136:137]
	v_add_f64_e32 v[128:129], v[18:19], v[16:17]
	v_add_f64_e32 v[20:21], v[20:21], v[22:23]
	ds_load_b128 v[4:7], v2 offset:1440
	ds_load_b128 v[16:19], v2 offset:1456
	v_fma_f64 v[12:13], v[12:13], v[136:137], -v[26:27]
	s_wait_loadcnt_dscnt 0x401
	v_mul_f64_e32 v[22:23], v[4:5], v[146:147]
	v_mul_f64_e32 v[130:131], v[6:7], v[146:147]
	s_wait_loadcnt_dscnt 0x200
	v_mul_f64_e32 v[26:27], v[16:17], v[158:159]
	v_add_f64_e32 v[14:15], v[128:129], v[28:29]
	v_add_f64_e32 v[20:21], v[20:21], v[30:31]
	v_mul_f64_e32 v[28:29], v[18:19], v[158:159]
	v_fmac_f64_e32 v[22:23], v[6:7], v[144:145]
	v_fma_f64 v[30:31], v[4:5], v[144:145], -v[130:131]
	v_fmac_f64_e32 v[26:27], v[18:19], v[156:157]
	v_add_f64_e32 v[128:129], v[14:15], v[12:13]
	v_add_f64_e32 v[20:21], v[20:21], v[24:25]
	ds_load_b128 v[4:7], v2 offset:1472
	ds_load_b128 v[12:15], v2 offset:1488
	v_fma_f64 v[16:17], v[16:17], v[156:157], -v[28:29]
	s_wait_loadcnt_dscnt 0x101
	v_mul_f64_e32 v[2:3], v[4:5], v[162:163]
	v_mul_f64_e32 v[24:25], v[6:7], v[162:163]
	v_add_f64_e32 v[18:19], v[128:129], v[30:31]
	v_add_f64_e32 v[20:21], v[20:21], v[22:23]
	s_wait_loadcnt_dscnt 0x0
	v_mul_f64_e32 v[22:23], v[12:13], v[10:11]
	v_mul_f64_e32 v[10:11], v[14:15], v[10:11]
	v_fmac_f64_e32 v[2:3], v[6:7], v[160:161]
	v_fma_f64 v[4:5], v[4:5], v[160:161], -v[24:25]
	v_add_f64_e32 v[6:7], v[18:19], v[16:17]
	v_add_f64_e32 v[16:17], v[20:21], v[26:27]
	v_fmac_f64_e32 v[22:23], v[14:15], v[8:9]
	v_fma_f64 v[8:9], v[12:13], v[8:9], -v[10:11]
	s_delay_alu instid0(VALU_DEP_4) | instskip(NEXT) | instid1(VALU_DEP_4)
	v_add_f64_e32 v[4:5], v[6:7], v[4:5]
	v_add_f64_e32 v[2:3], v[16:17], v[2:3]
	s_delay_alu instid0(VALU_DEP_2) | instskip(NEXT) | instid1(VALU_DEP_2)
	v_add_f64_e32 v[4:5], v[4:5], v[8:9]
	v_add_f64_e32 v[6:7], v[2:3], v[22:23]
	s_delay_alu instid0(VALU_DEP_2) | instskip(NEXT) | instid1(VALU_DEP_2)
	v_add_f64_e64 v[2:3], v[152:153], -v[4:5]
	v_add_f64_e64 v[4:5], v[154:155], -v[6:7]
	scratch_store_b128 off, v[2:5], off offset:512
	s_wait_xcnt 0x0
	v_cmpx_lt_u32_e32 31, v1
	s_cbranch_execz .LBB110_233
; %bb.232:
	scratch_load_b128 v[2:5], off, s31
	v_mov_b32_e32 v6, 0
	s_delay_alu instid0(VALU_DEP_1)
	v_dual_mov_b32 v7, v6 :: v_dual_mov_b32 v8, v6
	v_mov_b32_e32 v9, v6
	scratch_store_b128 off, v[6:9], off offset:496
	s_wait_loadcnt 0x0
	ds_store_b128 v126, v[2:5]
.LBB110_233:
	s_wait_xcnt 0x0
	s_or_b32 exec_lo, exec_lo, s2
	s_wait_storecnt_dscnt 0x0
	s_barrier_signal -1
	s_barrier_wait -1
	s_clause 0x9
	scratch_load_b128 v[4:7], off, off offset:512
	scratch_load_b128 v[8:11], off, off offset:528
	;; [unrolled: 1-line block ×10, first 2 shown]
	v_mov_b32_e32 v2, 0
	s_mov_b32 s2, exec_lo
	ds_load_b128 v[140:143], v2 offset:1264
	s_clause 0x2
	scratch_load_b128 v[144:147], off, off offset:672
	scratch_load_b128 v[148:151], off, off offset:496
	;; [unrolled: 1-line block ×3, first 2 shown]
	s_wait_loadcnt_dscnt 0xc00
	v_mul_f64_e32 v[160:161], v[142:143], v[6:7]
	v_mul_f64_e32 v[164:165], v[140:141], v[6:7]
	ds_load_b128 v[152:155], v2 offset:1280
	v_fma_f64 v[168:169], v[140:141], v[4:5], -v[160:161]
	v_fmac_f64_e32 v[164:165], v[142:143], v[4:5]
	ds_load_b128 v[4:7], v2 offset:1296
	s_wait_loadcnt_dscnt 0xb01
	v_mul_f64_e32 v[166:167], v[152:153], v[10:11]
	v_mul_f64_e32 v[10:11], v[154:155], v[10:11]
	scratch_load_b128 v[140:143], off, off offset:704
	ds_load_b128 v[160:163], v2 offset:1312
	s_wait_loadcnt_dscnt 0xb01
	v_mul_f64_e32 v[170:171], v[4:5], v[14:15]
	v_mul_f64_e32 v[14:15], v[6:7], v[14:15]
	v_add_f64_e32 v[164:165], 0, v[164:165]
	v_fmac_f64_e32 v[166:167], v[154:155], v[8:9]
	v_fma_f64 v[152:153], v[152:153], v[8:9], -v[10:11]
	v_add_f64_e32 v[154:155], 0, v[168:169]
	scratch_load_b128 v[8:11], off, off offset:720
	v_fmac_f64_e32 v[170:171], v[6:7], v[12:13]
	v_fma_f64 v[172:173], v[4:5], v[12:13], -v[14:15]
	ds_load_b128 v[4:7], v2 offset:1328
	s_wait_loadcnt_dscnt 0xb01
	v_mul_f64_e32 v[168:169], v[160:161], v[18:19]
	v_mul_f64_e32 v[18:19], v[162:163], v[18:19]
	scratch_load_b128 v[12:15], off, off offset:736
	v_add_f64_e32 v[164:165], v[164:165], v[166:167]
	v_add_f64_e32 v[174:175], v[154:155], v[152:153]
	ds_load_b128 v[152:155], v2 offset:1344
	s_wait_loadcnt_dscnt 0xb01
	v_mul_f64_e32 v[166:167], v[4:5], v[22:23]
	v_mul_f64_e32 v[22:23], v[6:7], v[22:23]
	v_fmac_f64_e32 v[168:169], v[162:163], v[16:17]
	v_fma_f64 v[16:17], v[160:161], v[16:17], -v[18:19]
	s_wait_loadcnt_dscnt 0xa00
	v_mul_f64_e32 v[162:163], v[152:153], v[26:27]
	v_mul_f64_e32 v[26:27], v[154:155], v[26:27]
	v_add_f64_e32 v[160:161], v[164:165], v[170:171]
	v_add_f64_e32 v[18:19], v[174:175], v[172:173]
	v_fmac_f64_e32 v[166:167], v[6:7], v[20:21]
	v_fma_f64 v[20:21], v[4:5], v[20:21], -v[22:23]
	v_fmac_f64_e32 v[162:163], v[154:155], v[24:25]
	v_fma_f64 v[24:25], v[152:153], v[24:25], -v[26:27]
	v_add_f64_e32 v[160:161], v[160:161], v[168:169]
	v_add_f64_e32 v[22:23], v[18:19], v[16:17]
	ds_load_b128 v[4:7], v2 offset:1360
	ds_load_b128 v[16:19], v2 offset:1376
	s_wait_loadcnt_dscnt 0x901
	v_mul_f64_e32 v[164:165], v[4:5], v[30:31]
	v_mul_f64_e32 v[30:31], v[6:7], v[30:31]
	s_wait_loadcnt_dscnt 0x800
	v_mul_f64_e32 v[26:27], v[16:17], v[130:131]
	v_mul_f64_e32 v[130:131], v[18:19], v[130:131]
	v_add_f64_e32 v[20:21], v[22:23], v[20:21]
	v_add_f64_e32 v[22:23], v[160:161], v[166:167]
	v_fmac_f64_e32 v[164:165], v[6:7], v[28:29]
	v_fma_f64 v[28:29], v[4:5], v[28:29], -v[30:31]
	v_fmac_f64_e32 v[26:27], v[18:19], v[128:129]
	v_fma_f64 v[16:17], v[16:17], v[128:129], -v[130:131]
	v_add_f64_e32 v[24:25], v[20:21], v[24:25]
	v_add_f64_e32 v[30:31], v[22:23], v[162:163]
	ds_load_b128 v[4:7], v2 offset:1392
	ds_load_b128 v[20:23], v2 offset:1408
	s_wait_loadcnt_dscnt 0x701
	v_mul_f64_e32 v[152:153], v[4:5], v[134:135]
	v_mul_f64_e32 v[134:135], v[6:7], v[134:135]
	v_add_f64_e32 v[18:19], v[24:25], v[28:29]
	v_add_f64_e32 v[24:25], v[30:31], v[164:165]
	s_wait_loadcnt_dscnt 0x600
	v_mul_f64_e32 v[28:29], v[20:21], v[138:139]
	v_mul_f64_e32 v[30:31], v[22:23], v[138:139]
	v_fmac_f64_e32 v[152:153], v[6:7], v[132:133]
	v_fma_f64 v[128:129], v[4:5], v[132:133], -v[134:135]
	v_add_f64_e32 v[130:131], v[18:19], v[16:17]
	v_add_f64_e32 v[24:25], v[24:25], v[26:27]
	ds_load_b128 v[4:7], v2 offset:1424
	ds_load_b128 v[16:19], v2 offset:1440
	v_fmac_f64_e32 v[28:29], v[22:23], v[136:137]
	v_fma_f64 v[20:21], v[20:21], v[136:137], -v[30:31]
	s_wait_loadcnt_dscnt 0x501
	v_mul_f64_e32 v[26:27], v[4:5], v[146:147]
	v_mul_f64_e32 v[132:133], v[6:7], v[146:147]
	s_wait_loadcnt_dscnt 0x300
	v_mul_f64_e32 v[30:31], v[16:17], v[158:159]
	v_add_f64_e32 v[22:23], v[130:131], v[128:129]
	v_add_f64_e32 v[24:25], v[24:25], v[152:153]
	v_mul_f64_e32 v[128:129], v[18:19], v[158:159]
	v_fmac_f64_e32 v[26:27], v[6:7], v[144:145]
	v_fma_f64 v[130:131], v[4:5], v[144:145], -v[132:133]
	v_fmac_f64_e32 v[30:31], v[18:19], v[156:157]
	v_add_f64_e32 v[132:133], v[22:23], v[20:21]
	v_add_f64_e32 v[24:25], v[24:25], v[28:29]
	ds_load_b128 v[4:7], v2 offset:1456
	ds_load_b128 v[20:23], v2 offset:1472
	v_fma_f64 v[16:17], v[16:17], v[156:157], -v[128:129]
	s_wait_loadcnt_dscnt 0x201
	v_mul_f64_e32 v[28:29], v[4:5], v[142:143]
	v_mul_f64_e32 v[134:135], v[6:7], v[142:143]
	v_add_f64_e32 v[18:19], v[132:133], v[130:131]
	v_add_f64_e32 v[24:25], v[24:25], v[26:27]
	s_wait_loadcnt_dscnt 0x100
	v_mul_f64_e32 v[26:27], v[20:21], v[10:11]
	v_mul_f64_e32 v[10:11], v[22:23], v[10:11]
	v_fmac_f64_e32 v[28:29], v[6:7], v[140:141]
	v_fma_f64 v[128:129], v[4:5], v[140:141], -v[134:135]
	ds_load_b128 v[4:7], v2 offset:1488
	v_add_f64_e32 v[16:17], v[18:19], v[16:17]
	v_add_f64_e32 v[18:19], v[24:25], v[30:31]
	v_fmac_f64_e32 v[26:27], v[22:23], v[8:9]
	v_fma_f64 v[8:9], v[20:21], v[8:9], -v[10:11]
	s_wait_loadcnt_dscnt 0x0
	v_mul_f64_e32 v[24:25], v[4:5], v[14:15]
	v_mul_f64_e32 v[14:15], v[6:7], v[14:15]
	v_add_f64_e32 v[10:11], v[16:17], v[128:129]
	v_add_f64_e32 v[16:17], v[18:19], v[28:29]
	s_delay_alu instid0(VALU_DEP_4) | instskip(NEXT) | instid1(VALU_DEP_4)
	v_fmac_f64_e32 v[24:25], v[6:7], v[12:13]
	v_fma_f64 v[4:5], v[4:5], v[12:13], -v[14:15]
	s_delay_alu instid0(VALU_DEP_4) | instskip(NEXT) | instid1(VALU_DEP_4)
	v_add_f64_e32 v[6:7], v[10:11], v[8:9]
	v_add_f64_e32 v[8:9], v[16:17], v[26:27]
	s_delay_alu instid0(VALU_DEP_2) | instskip(NEXT) | instid1(VALU_DEP_2)
	v_add_f64_e32 v[4:5], v[6:7], v[4:5]
	v_add_f64_e32 v[6:7], v[8:9], v[24:25]
	s_delay_alu instid0(VALU_DEP_2) | instskip(NEXT) | instid1(VALU_DEP_2)
	v_add_f64_e64 v[4:5], v[148:149], -v[4:5]
	v_add_f64_e64 v[6:7], v[150:151], -v[6:7]
	scratch_store_b128 off, v[4:7], off offset:496
	s_wait_xcnt 0x0
	v_cmpx_lt_u32_e32 30, v1
	s_cbranch_execz .LBB110_235
; %bb.234:
	scratch_load_b128 v[6:9], off, s33
	v_dual_mov_b32 v3, v2 :: v_dual_mov_b32 v4, v2
	v_mov_b32_e32 v5, v2
	scratch_store_b128 off, v[2:5], off offset:480
	s_wait_loadcnt 0x0
	ds_store_b128 v126, v[6:9]
.LBB110_235:
	s_wait_xcnt 0x0
	s_or_b32 exec_lo, exec_lo, s2
	s_wait_storecnt_dscnt 0x0
	s_barrier_signal -1
	s_barrier_wait -1
	s_clause 0x9
	scratch_load_b128 v[4:7], off, off offset:496
	scratch_load_b128 v[8:11], off, off offset:512
	;; [unrolled: 1-line block ×10, first 2 shown]
	ds_load_b128 v[140:143], v2 offset:1248
	ds_load_b128 v[148:151], v2 offset:1264
	s_clause 0x2
	scratch_load_b128 v[144:147], off, off offset:656
	scratch_load_b128 v[152:155], off, off offset:480
	;; [unrolled: 1-line block ×3, first 2 shown]
	s_mov_b32 s2, exec_lo
	s_wait_loadcnt_dscnt 0xc01
	v_mul_f64_e32 v[160:161], v[142:143], v[6:7]
	v_mul_f64_e32 v[164:165], v[140:141], v[6:7]
	s_wait_loadcnt_dscnt 0xb00
	v_mul_f64_e32 v[166:167], v[148:149], v[10:11]
	v_mul_f64_e32 v[10:11], v[150:151], v[10:11]
	s_delay_alu instid0(VALU_DEP_4) | instskip(NEXT) | instid1(VALU_DEP_4)
	v_fma_f64 v[168:169], v[140:141], v[4:5], -v[160:161]
	v_fmac_f64_e32 v[164:165], v[142:143], v[4:5]
	ds_load_b128 v[4:7], v2 offset:1280
	ds_load_b128 v[140:143], v2 offset:1296
	scratch_load_b128 v[160:163], off, off offset:688
	v_fmac_f64_e32 v[166:167], v[150:151], v[8:9]
	v_fma_f64 v[148:149], v[148:149], v[8:9], -v[10:11]
	scratch_load_b128 v[8:11], off, off offset:704
	s_wait_loadcnt_dscnt 0xc01
	v_mul_f64_e32 v[170:171], v[4:5], v[14:15]
	v_mul_f64_e32 v[14:15], v[6:7], v[14:15]
	v_add_f64_e32 v[150:151], 0, v[168:169]
	v_add_f64_e32 v[164:165], 0, v[164:165]
	s_wait_loadcnt_dscnt 0xb00
	v_mul_f64_e32 v[168:169], v[140:141], v[18:19]
	v_mul_f64_e32 v[18:19], v[142:143], v[18:19]
	v_fmac_f64_e32 v[170:171], v[6:7], v[12:13]
	v_fma_f64 v[172:173], v[4:5], v[12:13], -v[14:15]
	ds_load_b128 v[4:7], v2 offset:1312
	ds_load_b128 v[12:15], v2 offset:1328
	v_add_f64_e32 v[174:175], v[150:151], v[148:149]
	v_add_f64_e32 v[164:165], v[164:165], v[166:167]
	scratch_load_b128 v[148:151], off, off offset:720
	v_fmac_f64_e32 v[168:169], v[142:143], v[16:17]
	v_fma_f64 v[140:141], v[140:141], v[16:17], -v[18:19]
	scratch_load_b128 v[16:19], off, off offset:736
	s_wait_loadcnt_dscnt 0xc01
	v_mul_f64_e32 v[166:167], v[4:5], v[22:23]
	v_mul_f64_e32 v[22:23], v[6:7], v[22:23]
	v_add_f64_e32 v[142:143], v[174:175], v[172:173]
	v_add_f64_e32 v[164:165], v[164:165], v[170:171]
	s_wait_loadcnt_dscnt 0xb00
	v_mul_f64_e32 v[170:171], v[12:13], v[26:27]
	v_mul_f64_e32 v[26:27], v[14:15], v[26:27]
	v_fmac_f64_e32 v[166:167], v[6:7], v[20:21]
	v_fma_f64 v[172:173], v[4:5], v[20:21], -v[22:23]
	ds_load_b128 v[4:7], v2 offset:1344
	ds_load_b128 v[20:23], v2 offset:1360
	v_add_f64_e32 v[140:141], v[142:143], v[140:141]
	v_add_f64_e32 v[142:143], v[164:165], v[168:169]
	s_wait_loadcnt_dscnt 0xa01
	v_mul_f64_e32 v[164:165], v[4:5], v[30:31]
	v_mul_f64_e32 v[30:31], v[6:7], v[30:31]
	v_fmac_f64_e32 v[170:171], v[14:15], v[24:25]
	v_fma_f64 v[12:13], v[12:13], v[24:25], -v[26:27]
	s_wait_loadcnt_dscnt 0x900
	v_mul_f64_e32 v[26:27], v[20:21], v[130:131]
	v_mul_f64_e32 v[130:131], v[22:23], v[130:131]
	v_add_f64_e32 v[14:15], v[140:141], v[172:173]
	v_add_f64_e32 v[24:25], v[142:143], v[166:167]
	v_fmac_f64_e32 v[164:165], v[6:7], v[28:29]
	v_fma_f64 v[28:29], v[4:5], v[28:29], -v[30:31]
	v_fmac_f64_e32 v[26:27], v[22:23], v[128:129]
	v_fma_f64 v[20:21], v[20:21], v[128:129], -v[130:131]
	v_add_f64_e32 v[30:31], v[14:15], v[12:13]
	v_add_f64_e32 v[24:25], v[24:25], v[170:171]
	ds_load_b128 v[4:7], v2 offset:1376
	ds_load_b128 v[12:15], v2 offset:1392
	s_wait_loadcnt_dscnt 0x801
	v_mul_f64_e32 v[140:141], v[4:5], v[134:135]
	v_mul_f64_e32 v[134:135], v[6:7], v[134:135]
	v_add_f64_e32 v[22:23], v[30:31], v[28:29]
	v_add_f64_e32 v[24:25], v[24:25], v[164:165]
	s_wait_loadcnt_dscnt 0x700
	v_mul_f64_e32 v[28:29], v[12:13], v[138:139]
	v_mul_f64_e32 v[30:31], v[14:15], v[138:139]
	v_fmac_f64_e32 v[140:141], v[6:7], v[132:133]
	v_fma_f64 v[128:129], v[4:5], v[132:133], -v[134:135]
	v_add_f64_e32 v[130:131], v[22:23], v[20:21]
	v_add_f64_e32 v[24:25], v[24:25], v[26:27]
	ds_load_b128 v[4:7], v2 offset:1408
	ds_load_b128 v[20:23], v2 offset:1424
	v_fmac_f64_e32 v[28:29], v[14:15], v[136:137]
	v_fma_f64 v[12:13], v[12:13], v[136:137], -v[30:31]
	s_wait_loadcnt_dscnt 0x601
	v_mul_f64_e32 v[26:27], v[4:5], v[146:147]
	v_mul_f64_e32 v[132:133], v[6:7], v[146:147]
	s_wait_loadcnt_dscnt 0x400
	v_mul_f64_e32 v[30:31], v[20:21], v[158:159]
	v_add_f64_e32 v[14:15], v[130:131], v[128:129]
	v_add_f64_e32 v[24:25], v[24:25], v[140:141]
	v_mul_f64_e32 v[128:129], v[22:23], v[158:159]
	v_fmac_f64_e32 v[26:27], v[6:7], v[144:145]
	v_fma_f64 v[130:131], v[4:5], v[144:145], -v[132:133]
	v_fmac_f64_e32 v[30:31], v[22:23], v[156:157]
	v_add_f64_e32 v[132:133], v[14:15], v[12:13]
	v_add_f64_e32 v[24:25], v[24:25], v[28:29]
	ds_load_b128 v[4:7], v2 offset:1440
	ds_load_b128 v[12:15], v2 offset:1456
	v_fma_f64 v[20:21], v[20:21], v[156:157], -v[128:129]
	s_wait_loadcnt_dscnt 0x301
	v_mul_f64_e32 v[28:29], v[4:5], v[162:163]
	v_mul_f64_e32 v[134:135], v[6:7], v[162:163]
	v_add_f64_e32 v[22:23], v[132:133], v[130:131]
	v_add_f64_e32 v[24:25], v[24:25], v[26:27]
	s_wait_loadcnt_dscnt 0x200
	v_mul_f64_e32 v[26:27], v[12:13], v[10:11]
	v_mul_f64_e32 v[10:11], v[14:15], v[10:11]
	v_fmac_f64_e32 v[28:29], v[6:7], v[160:161]
	v_fma_f64 v[128:129], v[4:5], v[160:161], -v[134:135]
	v_add_f64_e32 v[130:131], v[22:23], v[20:21]
	v_add_f64_e32 v[24:25], v[24:25], v[30:31]
	ds_load_b128 v[4:7], v2 offset:1472
	ds_load_b128 v[20:23], v2 offset:1488
	v_fmac_f64_e32 v[26:27], v[14:15], v[8:9]
	v_fma_f64 v[8:9], v[12:13], v[8:9], -v[10:11]
	s_wait_loadcnt_dscnt 0x101
	v_mul_f64_e32 v[2:3], v[4:5], v[150:151]
	v_mul_f64_e32 v[30:31], v[6:7], v[150:151]
	s_wait_loadcnt_dscnt 0x0
	v_mul_f64_e32 v[14:15], v[20:21], v[18:19]
	v_mul_f64_e32 v[18:19], v[22:23], v[18:19]
	v_add_f64_e32 v[10:11], v[130:131], v[128:129]
	v_add_f64_e32 v[12:13], v[24:25], v[28:29]
	v_fmac_f64_e32 v[2:3], v[6:7], v[148:149]
	v_fma_f64 v[4:5], v[4:5], v[148:149], -v[30:31]
	v_fmac_f64_e32 v[14:15], v[22:23], v[16:17]
	v_add_f64_e32 v[6:7], v[10:11], v[8:9]
	v_add_f64_e32 v[8:9], v[12:13], v[26:27]
	v_fma_f64 v[10:11], v[20:21], v[16:17], -v[18:19]
	s_delay_alu instid0(VALU_DEP_3) | instskip(NEXT) | instid1(VALU_DEP_3)
	v_add_f64_e32 v[4:5], v[6:7], v[4:5]
	v_add_f64_e32 v[2:3], v[8:9], v[2:3]
	s_delay_alu instid0(VALU_DEP_2) | instskip(NEXT) | instid1(VALU_DEP_2)
	v_add_f64_e32 v[4:5], v[4:5], v[10:11]
	v_add_f64_e32 v[6:7], v[2:3], v[14:15]
	s_delay_alu instid0(VALU_DEP_2) | instskip(NEXT) | instid1(VALU_DEP_2)
	v_add_f64_e64 v[2:3], v[152:153], -v[4:5]
	v_add_f64_e64 v[4:5], v[154:155], -v[6:7]
	scratch_store_b128 off, v[2:5], off offset:480
	s_wait_xcnt 0x0
	v_cmpx_lt_u32_e32 29, v1
	s_cbranch_execz .LBB110_237
; %bb.236:
	scratch_load_b128 v[2:5], off, s34
	v_mov_b32_e32 v6, 0
	s_delay_alu instid0(VALU_DEP_1)
	v_dual_mov_b32 v7, v6 :: v_dual_mov_b32 v8, v6
	v_mov_b32_e32 v9, v6
	scratch_store_b128 off, v[6:9], off offset:464
	s_wait_loadcnt 0x0
	ds_store_b128 v126, v[2:5]
.LBB110_237:
	s_wait_xcnt 0x0
	s_or_b32 exec_lo, exec_lo, s2
	s_wait_storecnt_dscnt 0x0
	s_barrier_signal -1
	s_barrier_wait -1
	s_clause 0x9
	scratch_load_b128 v[4:7], off, off offset:480
	scratch_load_b128 v[8:11], off, off offset:496
	;; [unrolled: 1-line block ×10, first 2 shown]
	v_mov_b32_e32 v2, 0
	s_mov_b32 s2, exec_lo
	ds_load_b128 v[140:143], v2 offset:1232
	s_clause 0x2
	scratch_load_b128 v[144:147], off, off offset:640
	scratch_load_b128 v[148:151], off, off offset:464
	;; [unrolled: 1-line block ×3, first 2 shown]
	s_wait_loadcnt_dscnt 0xc00
	v_mul_f64_e32 v[160:161], v[142:143], v[6:7]
	v_mul_f64_e32 v[164:165], v[140:141], v[6:7]
	ds_load_b128 v[152:155], v2 offset:1248
	v_fma_f64 v[168:169], v[140:141], v[4:5], -v[160:161]
	v_fmac_f64_e32 v[164:165], v[142:143], v[4:5]
	ds_load_b128 v[4:7], v2 offset:1264
	s_wait_loadcnt_dscnt 0xb01
	v_mul_f64_e32 v[166:167], v[152:153], v[10:11]
	v_mul_f64_e32 v[10:11], v[154:155], v[10:11]
	scratch_load_b128 v[140:143], off, off offset:672
	ds_load_b128 v[160:163], v2 offset:1280
	s_wait_loadcnt_dscnt 0xb01
	v_mul_f64_e32 v[170:171], v[4:5], v[14:15]
	v_mul_f64_e32 v[14:15], v[6:7], v[14:15]
	v_add_f64_e32 v[164:165], 0, v[164:165]
	v_fmac_f64_e32 v[166:167], v[154:155], v[8:9]
	v_fma_f64 v[152:153], v[152:153], v[8:9], -v[10:11]
	v_add_f64_e32 v[154:155], 0, v[168:169]
	scratch_load_b128 v[8:11], off, off offset:688
	v_fmac_f64_e32 v[170:171], v[6:7], v[12:13]
	v_fma_f64 v[172:173], v[4:5], v[12:13], -v[14:15]
	ds_load_b128 v[4:7], v2 offset:1296
	s_wait_loadcnt_dscnt 0xb01
	v_mul_f64_e32 v[168:169], v[160:161], v[18:19]
	v_mul_f64_e32 v[18:19], v[162:163], v[18:19]
	scratch_load_b128 v[12:15], off, off offset:704
	v_add_f64_e32 v[164:165], v[164:165], v[166:167]
	v_add_f64_e32 v[174:175], v[154:155], v[152:153]
	ds_load_b128 v[152:155], v2 offset:1312
	s_wait_loadcnt_dscnt 0xb01
	v_mul_f64_e32 v[166:167], v[4:5], v[22:23]
	v_mul_f64_e32 v[22:23], v[6:7], v[22:23]
	v_fmac_f64_e32 v[168:169], v[162:163], v[16:17]
	v_fma_f64 v[160:161], v[160:161], v[16:17], -v[18:19]
	scratch_load_b128 v[16:19], off, off offset:720
	v_add_f64_e32 v[164:165], v[164:165], v[170:171]
	v_add_f64_e32 v[162:163], v[174:175], v[172:173]
	v_fmac_f64_e32 v[166:167], v[6:7], v[20:21]
	v_fma_f64 v[172:173], v[4:5], v[20:21], -v[22:23]
	ds_load_b128 v[4:7], v2 offset:1328
	s_wait_loadcnt_dscnt 0xb01
	v_mul_f64_e32 v[170:171], v[152:153], v[26:27]
	v_mul_f64_e32 v[26:27], v[154:155], v[26:27]
	scratch_load_b128 v[20:23], off, off offset:736
	v_add_f64_e32 v[164:165], v[164:165], v[168:169]
	s_wait_loadcnt_dscnt 0xb00
	v_mul_f64_e32 v[168:169], v[4:5], v[30:31]
	v_add_f64_e32 v[174:175], v[162:163], v[160:161]
	v_mul_f64_e32 v[30:31], v[6:7], v[30:31]
	ds_load_b128 v[160:163], v2 offset:1344
	v_fmac_f64_e32 v[170:171], v[154:155], v[24:25]
	v_fma_f64 v[24:25], v[152:153], v[24:25], -v[26:27]
	s_wait_loadcnt_dscnt 0xa00
	v_mul_f64_e32 v[154:155], v[160:161], v[130:131]
	v_mul_f64_e32 v[130:131], v[162:163], v[130:131]
	v_add_f64_e32 v[152:153], v[164:165], v[166:167]
	v_fmac_f64_e32 v[168:169], v[6:7], v[28:29]
	v_add_f64_e32 v[26:27], v[174:175], v[172:173]
	v_fma_f64 v[28:29], v[4:5], v[28:29], -v[30:31]
	v_fmac_f64_e32 v[154:155], v[162:163], v[128:129]
	v_fma_f64 v[128:129], v[160:161], v[128:129], -v[130:131]
	v_add_f64_e32 v[152:153], v[152:153], v[170:171]
	v_add_f64_e32 v[30:31], v[26:27], v[24:25]
	ds_load_b128 v[4:7], v2 offset:1360
	ds_load_b128 v[24:27], v2 offset:1376
	s_wait_loadcnt_dscnt 0x901
	v_mul_f64_e32 v[164:165], v[4:5], v[134:135]
	v_mul_f64_e32 v[134:135], v[6:7], v[134:135]
	s_wait_loadcnt_dscnt 0x800
	v_mul_f64_e32 v[130:131], v[24:25], v[138:139]
	v_mul_f64_e32 v[138:139], v[26:27], v[138:139]
	v_add_f64_e32 v[28:29], v[30:31], v[28:29]
	v_add_f64_e32 v[30:31], v[152:153], v[168:169]
	v_fmac_f64_e32 v[164:165], v[6:7], v[132:133]
	v_fma_f64 v[132:133], v[4:5], v[132:133], -v[134:135]
	v_fmac_f64_e32 v[130:131], v[26:27], v[136:137]
	v_fma_f64 v[24:25], v[24:25], v[136:137], -v[138:139]
	v_add_f64_e32 v[128:129], v[28:29], v[128:129]
	v_add_f64_e32 v[134:135], v[30:31], v[154:155]
	ds_load_b128 v[4:7], v2 offset:1392
	ds_load_b128 v[28:31], v2 offset:1408
	s_wait_loadcnt_dscnt 0x701
	v_mul_f64_e32 v[152:153], v[4:5], v[146:147]
	v_mul_f64_e32 v[146:147], v[6:7], v[146:147]
	v_add_f64_e32 v[26:27], v[128:129], v[132:133]
	v_add_f64_e32 v[128:129], v[134:135], v[164:165]
	s_wait_loadcnt_dscnt 0x500
	v_mul_f64_e32 v[132:133], v[28:29], v[158:159]
	v_mul_f64_e32 v[134:135], v[30:31], v[158:159]
	v_fmac_f64_e32 v[152:153], v[6:7], v[144:145]
	v_fma_f64 v[136:137], v[4:5], v[144:145], -v[146:147]
	v_add_f64_e32 v[138:139], v[26:27], v[24:25]
	v_add_f64_e32 v[128:129], v[128:129], v[130:131]
	ds_load_b128 v[4:7], v2 offset:1424
	ds_load_b128 v[24:27], v2 offset:1440
	v_fmac_f64_e32 v[132:133], v[30:31], v[156:157]
	v_fma_f64 v[28:29], v[28:29], v[156:157], -v[134:135]
	s_wait_loadcnt_dscnt 0x401
	v_mul_f64_e32 v[130:131], v[4:5], v[142:143]
	v_mul_f64_e32 v[142:143], v[6:7], v[142:143]
	v_add_f64_e32 v[30:31], v[138:139], v[136:137]
	v_add_f64_e32 v[128:129], v[128:129], v[152:153]
	s_wait_loadcnt_dscnt 0x300
	v_mul_f64_e32 v[134:135], v[24:25], v[10:11]
	v_mul_f64_e32 v[10:11], v[26:27], v[10:11]
	v_fmac_f64_e32 v[130:131], v[6:7], v[140:141]
	v_fma_f64 v[136:137], v[4:5], v[140:141], -v[142:143]
	v_add_f64_e32 v[138:139], v[30:31], v[28:29]
	v_add_f64_e32 v[128:129], v[128:129], v[132:133]
	ds_load_b128 v[4:7], v2 offset:1456
	ds_load_b128 v[28:31], v2 offset:1472
	v_fmac_f64_e32 v[134:135], v[26:27], v[8:9]
	v_fma_f64 v[8:9], v[24:25], v[8:9], -v[10:11]
	s_wait_loadcnt_dscnt 0x201
	v_mul_f64_e32 v[132:133], v[4:5], v[14:15]
	v_mul_f64_e32 v[14:15], v[6:7], v[14:15]
	s_wait_loadcnt_dscnt 0x100
	v_mul_f64_e32 v[26:27], v[28:29], v[18:19]
	v_mul_f64_e32 v[18:19], v[30:31], v[18:19]
	v_add_f64_e32 v[10:11], v[138:139], v[136:137]
	v_add_f64_e32 v[24:25], v[128:129], v[130:131]
	v_fmac_f64_e32 v[132:133], v[6:7], v[12:13]
	v_fma_f64 v[12:13], v[4:5], v[12:13], -v[14:15]
	ds_load_b128 v[4:7], v2 offset:1488
	v_fmac_f64_e32 v[26:27], v[30:31], v[16:17]
	v_fma_f64 v[16:17], v[28:29], v[16:17], -v[18:19]
	v_add_f64_e32 v[8:9], v[10:11], v[8:9]
	v_add_f64_e32 v[10:11], v[24:25], v[134:135]
	s_wait_loadcnt_dscnt 0x0
	v_mul_f64_e32 v[14:15], v[4:5], v[22:23]
	v_mul_f64_e32 v[22:23], v[6:7], v[22:23]
	s_delay_alu instid0(VALU_DEP_4) | instskip(NEXT) | instid1(VALU_DEP_4)
	v_add_f64_e32 v[8:9], v[8:9], v[12:13]
	v_add_f64_e32 v[10:11], v[10:11], v[132:133]
	s_delay_alu instid0(VALU_DEP_4) | instskip(NEXT) | instid1(VALU_DEP_4)
	v_fmac_f64_e32 v[14:15], v[6:7], v[20:21]
	v_fma_f64 v[4:5], v[4:5], v[20:21], -v[22:23]
	s_delay_alu instid0(VALU_DEP_4) | instskip(NEXT) | instid1(VALU_DEP_4)
	v_add_f64_e32 v[6:7], v[8:9], v[16:17]
	v_add_f64_e32 v[8:9], v[10:11], v[26:27]
	s_delay_alu instid0(VALU_DEP_2) | instskip(NEXT) | instid1(VALU_DEP_2)
	v_add_f64_e32 v[4:5], v[6:7], v[4:5]
	v_add_f64_e32 v[6:7], v[8:9], v[14:15]
	s_delay_alu instid0(VALU_DEP_2) | instskip(NEXT) | instid1(VALU_DEP_2)
	v_add_f64_e64 v[4:5], v[148:149], -v[4:5]
	v_add_f64_e64 v[6:7], v[150:151], -v[6:7]
	scratch_store_b128 off, v[4:7], off offset:464
	s_wait_xcnt 0x0
	v_cmpx_lt_u32_e32 28, v1
	s_cbranch_execz .LBB110_239
; %bb.238:
	scratch_load_b128 v[6:9], off, s35
	v_dual_mov_b32 v3, v2 :: v_dual_mov_b32 v4, v2
	v_mov_b32_e32 v5, v2
	scratch_store_b128 off, v[2:5], off offset:448
	s_wait_loadcnt 0x0
	ds_store_b128 v126, v[6:9]
.LBB110_239:
	s_wait_xcnt 0x0
	s_or_b32 exec_lo, exec_lo, s2
	s_wait_storecnt_dscnt 0x0
	s_barrier_signal -1
	s_barrier_wait -1
	s_clause 0x9
	scratch_load_b128 v[4:7], off, off offset:464
	scratch_load_b128 v[8:11], off, off offset:480
	;; [unrolled: 1-line block ×10, first 2 shown]
	ds_load_b128 v[140:143], v2 offset:1216
	ds_load_b128 v[148:151], v2 offset:1232
	s_clause 0x2
	scratch_load_b128 v[144:147], off, off offset:624
	scratch_load_b128 v[152:155], off, off offset:448
	;; [unrolled: 1-line block ×3, first 2 shown]
	s_mov_b32 s2, exec_lo
	s_wait_loadcnt_dscnt 0xc01
	v_mul_f64_e32 v[160:161], v[142:143], v[6:7]
	v_mul_f64_e32 v[164:165], v[140:141], v[6:7]
	s_wait_loadcnt_dscnt 0xb00
	v_mul_f64_e32 v[166:167], v[148:149], v[10:11]
	v_mul_f64_e32 v[10:11], v[150:151], v[10:11]
	s_delay_alu instid0(VALU_DEP_4) | instskip(NEXT) | instid1(VALU_DEP_4)
	v_fma_f64 v[168:169], v[140:141], v[4:5], -v[160:161]
	v_fmac_f64_e32 v[164:165], v[142:143], v[4:5]
	ds_load_b128 v[4:7], v2 offset:1248
	ds_load_b128 v[140:143], v2 offset:1264
	scratch_load_b128 v[160:163], off, off offset:656
	v_fmac_f64_e32 v[166:167], v[150:151], v[8:9]
	v_fma_f64 v[148:149], v[148:149], v[8:9], -v[10:11]
	scratch_load_b128 v[8:11], off, off offset:672
	s_wait_loadcnt_dscnt 0xc01
	v_mul_f64_e32 v[170:171], v[4:5], v[14:15]
	v_mul_f64_e32 v[14:15], v[6:7], v[14:15]
	v_add_f64_e32 v[150:151], 0, v[168:169]
	v_add_f64_e32 v[164:165], 0, v[164:165]
	s_wait_loadcnt_dscnt 0xb00
	v_mul_f64_e32 v[168:169], v[140:141], v[18:19]
	v_mul_f64_e32 v[18:19], v[142:143], v[18:19]
	v_fmac_f64_e32 v[170:171], v[6:7], v[12:13]
	v_fma_f64 v[172:173], v[4:5], v[12:13], -v[14:15]
	ds_load_b128 v[4:7], v2 offset:1280
	ds_load_b128 v[12:15], v2 offset:1296
	v_add_f64_e32 v[174:175], v[150:151], v[148:149]
	v_add_f64_e32 v[164:165], v[164:165], v[166:167]
	scratch_load_b128 v[148:151], off, off offset:688
	v_fmac_f64_e32 v[168:169], v[142:143], v[16:17]
	v_fma_f64 v[140:141], v[140:141], v[16:17], -v[18:19]
	scratch_load_b128 v[16:19], off, off offset:704
	s_wait_loadcnt_dscnt 0xc01
	v_mul_f64_e32 v[166:167], v[4:5], v[22:23]
	v_mul_f64_e32 v[22:23], v[6:7], v[22:23]
	v_add_f64_e32 v[142:143], v[174:175], v[172:173]
	v_add_f64_e32 v[164:165], v[164:165], v[170:171]
	s_wait_loadcnt_dscnt 0xb00
	v_mul_f64_e32 v[170:171], v[12:13], v[26:27]
	v_mul_f64_e32 v[26:27], v[14:15], v[26:27]
	v_fmac_f64_e32 v[166:167], v[6:7], v[20:21]
	v_fma_f64 v[172:173], v[4:5], v[20:21], -v[22:23]
	ds_load_b128 v[4:7], v2 offset:1312
	ds_load_b128 v[20:23], v2 offset:1328
	v_add_f64_e32 v[174:175], v[142:143], v[140:141]
	v_add_f64_e32 v[164:165], v[164:165], v[168:169]
	scratch_load_b128 v[140:143], off, off offset:720
	s_wait_loadcnt_dscnt 0xb01
	v_mul_f64_e32 v[168:169], v[4:5], v[30:31]
	v_mul_f64_e32 v[30:31], v[6:7], v[30:31]
	v_fmac_f64_e32 v[170:171], v[14:15], v[24:25]
	v_fma_f64 v[24:25], v[12:13], v[24:25], -v[26:27]
	scratch_load_b128 v[12:15], off, off offset:736
	v_add_f64_e32 v[26:27], v[174:175], v[172:173]
	v_add_f64_e32 v[164:165], v[164:165], v[166:167]
	s_wait_loadcnt_dscnt 0xb00
	v_mul_f64_e32 v[166:167], v[20:21], v[130:131]
	v_mul_f64_e32 v[130:131], v[22:23], v[130:131]
	v_fmac_f64_e32 v[168:169], v[6:7], v[28:29]
	v_fma_f64 v[28:29], v[4:5], v[28:29], -v[30:31]
	v_add_f64_e32 v[30:31], v[26:27], v[24:25]
	v_add_f64_e32 v[164:165], v[164:165], v[170:171]
	ds_load_b128 v[4:7], v2 offset:1344
	ds_load_b128 v[24:27], v2 offset:1360
	v_fmac_f64_e32 v[166:167], v[22:23], v[128:129]
	v_fma_f64 v[20:21], v[20:21], v[128:129], -v[130:131]
	s_wait_loadcnt_dscnt 0xa01
	v_mul_f64_e32 v[170:171], v[4:5], v[134:135]
	v_mul_f64_e32 v[134:135], v[6:7], v[134:135]
	s_wait_loadcnt_dscnt 0x900
	v_mul_f64_e32 v[128:129], v[26:27], v[138:139]
	v_add_f64_e32 v[22:23], v[30:31], v[28:29]
	v_add_f64_e32 v[28:29], v[164:165], v[168:169]
	v_mul_f64_e32 v[30:31], v[24:25], v[138:139]
	v_fmac_f64_e32 v[170:171], v[6:7], v[132:133]
	v_fma_f64 v[130:131], v[4:5], v[132:133], -v[134:135]
	v_fma_f64 v[24:25], v[24:25], v[136:137], -v[128:129]
	v_add_f64_e32 v[132:133], v[22:23], v[20:21]
	v_add_f64_e32 v[28:29], v[28:29], v[166:167]
	ds_load_b128 v[4:7], v2 offset:1376
	ds_load_b128 v[20:23], v2 offset:1392
	v_fmac_f64_e32 v[30:31], v[26:27], v[136:137]
	s_wait_loadcnt_dscnt 0x801
	v_mul_f64_e32 v[134:135], v[4:5], v[146:147]
	v_mul_f64_e32 v[138:139], v[6:7], v[146:147]
	s_wait_loadcnt_dscnt 0x600
	v_mul_f64_e32 v[128:129], v[20:21], v[158:159]
	v_add_f64_e32 v[26:27], v[132:133], v[130:131]
	v_add_f64_e32 v[28:29], v[28:29], v[170:171]
	v_mul_f64_e32 v[130:131], v[22:23], v[158:159]
	v_fmac_f64_e32 v[134:135], v[6:7], v[144:145]
	v_fma_f64 v[132:133], v[4:5], v[144:145], -v[138:139]
	v_fmac_f64_e32 v[128:129], v[22:23], v[156:157]
	v_add_f64_e32 v[136:137], v[26:27], v[24:25]
	v_add_f64_e32 v[28:29], v[28:29], v[30:31]
	ds_load_b128 v[4:7], v2 offset:1408
	ds_load_b128 v[24:27], v2 offset:1424
	v_fma_f64 v[20:21], v[20:21], v[156:157], -v[130:131]
	s_wait_loadcnt_dscnt 0x501
	v_mul_f64_e32 v[30:31], v[4:5], v[162:163]
	v_mul_f64_e32 v[138:139], v[6:7], v[162:163]
	s_wait_loadcnt_dscnt 0x400
	v_mul_f64_e32 v[130:131], v[24:25], v[10:11]
	v_mul_f64_e32 v[10:11], v[26:27], v[10:11]
	v_add_f64_e32 v[22:23], v[136:137], v[132:133]
	v_add_f64_e32 v[28:29], v[28:29], v[134:135]
	v_fmac_f64_e32 v[30:31], v[6:7], v[160:161]
	v_fma_f64 v[132:133], v[4:5], v[160:161], -v[138:139]
	v_fmac_f64_e32 v[130:131], v[26:27], v[8:9]
	v_fma_f64 v[8:9], v[24:25], v[8:9], -v[10:11]
	v_add_f64_e32 v[134:135], v[22:23], v[20:21]
	v_add_f64_e32 v[28:29], v[28:29], v[128:129]
	ds_load_b128 v[4:7], v2 offset:1440
	ds_load_b128 v[20:23], v2 offset:1456
	s_wait_loadcnt_dscnt 0x301
	v_mul_f64_e32 v[128:129], v[4:5], v[150:151]
	v_mul_f64_e32 v[136:137], v[6:7], v[150:151]
	s_wait_loadcnt_dscnt 0x200
	v_mul_f64_e32 v[26:27], v[20:21], v[18:19]
	v_mul_f64_e32 v[18:19], v[22:23], v[18:19]
	v_add_f64_e32 v[10:11], v[134:135], v[132:133]
	v_add_f64_e32 v[24:25], v[28:29], v[30:31]
	v_fmac_f64_e32 v[128:129], v[6:7], v[148:149]
	v_fma_f64 v[28:29], v[4:5], v[148:149], -v[136:137]
	v_fmac_f64_e32 v[26:27], v[22:23], v[16:17]
	v_fma_f64 v[16:17], v[20:21], v[16:17], -v[18:19]
	v_add_f64_e32 v[30:31], v[10:11], v[8:9]
	v_add_f64_e32 v[24:25], v[24:25], v[130:131]
	ds_load_b128 v[4:7], v2 offset:1472
	ds_load_b128 v[8:11], v2 offset:1488
	s_wait_loadcnt_dscnt 0x101
	v_mul_f64_e32 v[2:3], v[4:5], v[142:143]
	v_mul_f64_e32 v[130:131], v[6:7], v[142:143]
	s_wait_loadcnt_dscnt 0x0
	v_mul_f64_e32 v[22:23], v[8:9], v[14:15]
	v_mul_f64_e32 v[14:15], v[10:11], v[14:15]
	v_add_f64_e32 v[18:19], v[30:31], v[28:29]
	v_add_f64_e32 v[20:21], v[24:25], v[128:129]
	v_fmac_f64_e32 v[2:3], v[6:7], v[140:141]
	v_fma_f64 v[4:5], v[4:5], v[140:141], -v[130:131]
	v_fmac_f64_e32 v[22:23], v[10:11], v[12:13]
	v_fma_f64 v[8:9], v[8:9], v[12:13], -v[14:15]
	v_add_f64_e32 v[6:7], v[18:19], v[16:17]
	v_add_f64_e32 v[16:17], v[20:21], v[26:27]
	s_delay_alu instid0(VALU_DEP_2) | instskip(NEXT) | instid1(VALU_DEP_2)
	v_add_f64_e32 v[4:5], v[6:7], v[4:5]
	v_add_f64_e32 v[2:3], v[16:17], v[2:3]
	s_delay_alu instid0(VALU_DEP_2) | instskip(NEXT) | instid1(VALU_DEP_2)
	v_add_f64_e32 v[4:5], v[4:5], v[8:9]
	v_add_f64_e32 v[6:7], v[2:3], v[22:23]
	s_delay_alu instid0(VALU_DEP_2) | instskip(NEXT) | instid1(VALU_DEP_2)
	v_add_f64_e64 v[2:3], v[152:153], -v[4:5]
	v_add_f64_e64 v[4:5], v[154:155], -v[6:7]
	scratch_store_b128 off, v[2:5], off offset:448
	s_wait_xcnt 0x0
	v_cmpx_lt_u32_e32 27, v1
	s_cbranch_execz .LBB110_241
; %bb.240:
	scratch_load_b128 v[2:5], off, s36
	v_mov_b32_e32 v6, 0
	s_delay_alu instid0(VALU_DEP_1)
	v_dual_mov_b32 v7, v6 :: v_dual_mov_b32 v8, v6
	v_mov_b32_e32 v9, v6
	scratch_store_b128 off, v[6:9], off offset:432
	s_wait_loadcnt 0x0
	ds_store_b128 v126, v[2:5]
.LBB110_241:
	s_wait_xcnt 0x0
	s_or_b32 exec_lo, exec_lo, s2
	s_wait_storecnt_dscnt 0x0
	s_barrier_signal -1
	s_barrier_wait -1
	s_clause 0x9
	scratch_load_b128 v[4:7], off, off offset:448
	scratch_load_b128 v[8:11], off, off offset:464
	;; [unrolled: 1-line block ×10, first 2 shown]
	v_mov_b32_e32 v2, 0
	s_mov_b32 s2, exec_lo
	ds_load_b128 v[140:143], v2 offset:1200
	s_clause 0x2
	scratch_load_b128 v[144:147], off, off offset:608
	scratch_load_b128 v[148:151], off, off offset:432
	;; [unrolled: 1-line block ×3, first 2 shown]
	s_wait_loadcnt_dscnt 0xc00
	v_mul_f64_e32 v[160:161], v[142:143], v[6:7]
	v_mul_f64_e32 v[164:165], v[140:141], v[6:7]
	ds_load_b128 v[152:155], v2 offset:1216
	v_fma_f64 v[168:169], v[140:141], v[4:5], -v[160:161]
	v_fmac_f64_e32 v[164:165], v[142:143], v[4:5]
	ds_load_b128 v[4:7], v2 offset:1232
	s_wait_loadcnt_dscnt 0xb01
	v_mul_f64_e32 v[166:167], v[152:153], v[10:11]
	v_mul_f64_e32 v[10:11], v[154:155], v[10:11]
	scratch_load_b128 v[140:143], off, off offset:640
	ds_load_b128 v[160:163], v2 offset:1248
	s_wait_loadcnt_dscnt 0xb01
	v_mul_f64_e32 v[170:171], v[4:5], v[14:15]
	v_mul_f64_e32 v[14:15], v[6:7], v[14:15]
	v_add_f64_e32 v[164:165], 0, v[164:165]
	v_fmac_f64_e32 v[166:167], v[154:155], v[8:9]
	v_fma_f64 v[152:153], v[152:153], v[8:9], -v[10:11]
	v_add_f64_e32 v[154:155], 0, v[168:169]
	scratch_load_b128 v[8:11], off, off offset:656
	v_fmac_f64_e32 v[170:171], v[6:7], v[12:13]
	v_fma_f64 v[172:173], v[4:5], v[12:13], -v[14:15]
	ds_load_b128 v[4:7], v2 offset:1264
	s_wait_loadcnt_dscnt 0xb01
	v_mul_f64_e32 v[168:169], v[160:161], v[18:19]
	v_mul_f64_e32 v[18:19], v[162:163], v[18:19]
	scratch_load_b128 v[12:15], off, off offset:672
	v_add_f64_e32 v[164:165], v[164:165], v[166:167]
	v_add_f64_e32 v[174:175], v[154:155], v[152:153]
	ds_load_b128 v[152:155], v2 offset:1280
	s_wait_loadcnt_dscnt 0xb01
	v_mul_f64_e32 v[166:167], v[4:5], v[22:23]
	v_mul_f64_e32 v[22:23], v[6:7], v[22:23]
	v_fmac_f64_e32 v[168:169], v[162:163], v[16:17]
	v_fma_f64 v[160:161], v[160:161], v[16:17], -v[18:19]
	scratch_load_b128 v[16:19], off, off offset:688
	v_add_f64_e32 v[164:165], v[164:165], v[170:171]
	v_add_f64_e32 v[162:163], v[174:175], v[172:173]
	v_fmac_f64_e32 v[166:167], v[6:7], v[20:21]
	v_fma_f64 v[172:173], v[4:5], v[20:21], -v[22:23]
	ds_load_b128 v[4:7], v2 offset:1296
	s_wait_loadcnt_dscnt 0xb01
	v_mul_f64_e32 v[170:171], v[152:153], v[26:27]
	v_mul_f64_e32 v[26:27], v[154:155], v[26:27]
	scratch_load_b128 v[20:23], off, off offset:704
	v_add_f64_e32 v[164:165], v[164:165], v[168:169]
	s_wait_loadcnt_dscnt 0xb00
	v_mul_f64_e32 v[168:169], v[4:5], v[30:31]
	v_add_f64_e32 v[174:175], v[162:163], v[160:161]
	v_mul_f64_e32 v[30:31], v[6:7], v[30:31]
	ds_load_b128 v[160:163], v2 offset:1312
	v_fmac_f64_e32 v[170:171], v[154:155], v[24:25]
	v_fma_f64 v[152:153], v[152:153], v[24:25], -v[26:27]
	scratch_load_b128 v[24:27], off, off offset:720
	v_add_f64_e32 v[164:165], v[164:165], v[166:167]
	v_fmac_f64_e32 v[168:169], v[6:7], v[28:29]
	v_add_f64_e32 v[154:155], v[174:175], v[172:173]
	v_fma_f64 v[172:173], v[4:5], v[28:29], -v[30:31]
	ds_load_b128 v[4:7], v2 offset:1328
	s_wait_loadcnt_dscnt 0xb01
	v_mul_f64_e32 v[166:167], v[160:161], v[130:131]
	v_mul_f64_e32 v[130:131], v[162:163], v[130:131]
	scratch_load_b128 v[28:31], off, off offset:736
	v_add_f64_e32 v[164:165], v[164:165], v[170:171]
	s_wait_loadcnt_dscnt 0xb00
	v_mul_f64_e32 v[170:171], v[4:5], v[134:135]
	v_add_f64_e32 v[174:175], v[154:155], v[152:153]
	v_mul_f64_e32 v[134:135], v[6:7], v[134:135]
	ds_load_b128 v[152:155], v2 offset:1344
	v_fmac_f64_e32 v[166:167], v[162:163], v[128:129]
	v_fma_f64 v[128:129], v[160:161], v[128:129], -v[130:131]
	s_wait_loadcnt_dscnt 0xa00
	v_mul_f64_e32 v[162:163], v[152:153], v[138:139]
	v_mul_f64_e32 v[138:139], v[154:155], v[138:139]
	v_add_f64_e32 v[160:161], v[164:165], v[168:169]
	v_fmac_f64_e32 v[170:171], v[6:7], v[132:133]
	v_add_f64_e32 v[130:131], v[174:175], v[172:173]
	v_fma_f64 v[132:133], v[4:5], v[132:133], -v[134:135]
	v_fmac_f64_e32 v[162:163], v[154:155], v[136:137]
	v_fma_f64 v[136:137], v[152:153], v[136:137], -v[138:139]
	v_add_f64_e32 v[160:161], v[160:161], v[166:167]
	v_add_f64_e32 v[134:135], v[130:131], v[128:129]
	ds_load_b128 v[4:7], v2 offset:1360
	ds_load_b128 v[128:131], v2 offset:1376
	s_wait_loadcnt_dscnt 0x901
	v_mul_f64_e32 v[164:165], v[4:5], v[146:147]
	v_mul_f64_e32 v[146:147], v[6:7], v[146:147]
	s_wait_loadcnt_dscnt 0x700
	v_mul_f64_e32 v[138:139], v[128:129], v[158:159]
	v_mul_f64_e32 v[152:153], v[130:131], v[158:159]
	v_add_f64_e32 v[132:133], v[134:135], v[132:133]
	v_add_f64_e32 v[134:135], v[160:161], v[170:171]
	v_fmac_f64_e32 v[164:165], v[6:7], v[144:145]
	v_fma_f64 v[144:145], v[4:5], v[144:145], -v[146:147]
	v_fmac_f64_e32 v[138:139], v[130:131], v[156:157]
	v_fma_f64 v[128:129], v[128:129], v[156:157], -v[152:153]
	v_add_f64_e32 v[136:137], v[132:133], v[136:137]
	v_add_f64_e32 v[146:147], v[134:135], v[162:163]
	ds_load_b128 v[4:7], v2 offset:1392
	ds_load_b128 v[132:135], v2 offset:1408
	s_wait_loadcnt_dscnt 0x601
	v_mul_f64_e32 v[154:155], v[4:5], v[142:143]
	v_mul_f64_e32 v[142:143], v[6:7], v[142:143]
	v_add_f64_e32 v[130:131], v[136:137], v[144:145]
	v_add_f64_e32 v[136:137], v[146:147], v[164:165]
	s_wait_loadcnt_dscnt 0x500
	v_mul_f64_e32 v[144:145], v[132:133], v[10:11]
	v_mul_f64_e32 v[10:11], v[134:135], v[10:11]
	v_fmac_f64_e32 v[154:155], v[6:7], v[140:141]
	v_fma_f64 v[140:141], v[4:5], v[140:141], -v[142:143]
	v_add_f64_e32 v[142:143], v[130:131], v[128:129]
	v_add_f64_e32 v[136:137], v[136:137], v[138:139]
	ds_load_b128 v[4:7], v2 offset:1424
	ds_load_b128 v[128:131], v2 offset:1440
	v_fmac_f64_e32 v[144:145], v[134:135], v[8:9]
	v_fma_f64 v[8:9], v[132:133], v[8:9], -v[10:11]
	s_wait_loadcnt_dscnt 0x401
	v_mul_f64_e32 v[138:139], v[4:5], v[14:15]
	v_mul_f64_e32 v[14:15], v[6:7], v[14:15]
	s_wait_loadcnt_dscnt 0x300
	v_mul_f64_e32 v[134:135], v[128:129], v[18:19]
	v_mul_f64_e32 v[18:19], v[130:131], v[18:19]
	v_add_f64_e32 v[10:11], v[142:143], v[140:141]
	v_add_f64_e32 v[132:133], v[136:137], v[154:155]
	v_fmac_f64_e32 v[138:139], v[6:7], v[12:13]
	v_fma_f64 v[12:13], v[4:5], v[12:13], -v[14:15]
	v_fmac_f64_e32 v[134:135], v[130:131], v[16:17]
	v_fma_f64 v[16:17], v[128:129], v[16:17], -v[18:19]
	v_add_f64_e32 v[14:15], v[10:11], v[8:9]
	v_add_f64_e32 v[132:133], v[132:133], v[144:145]
	ds_load_b128 v[4:7], v2 offset:1456
	ds_load_b128 v[8:11], v2 offset:1472
	s_wait_loadcnt_dscnt 0x201
	v_mul_f64_e32 v[136:137], v[4:5], v[22:23]
	v_mul_f64_e32 v[22:23], v[6:7], v[22:23]
	s_wait_loadcnt_dscnt 0x100
	v_mul_f64_e32 v[18:19], v[8:9], v[26:27]
	v_mul_f64_e32 v[26:27], v[10:11], v[26:27]
	v_add_f64_e32 v[12:13], v[14:15], v[12:13]
	v_add_f64_e32 v[14:15], v[132:133], v[138:139]
	v_fmac_f64_e32 v[136:137], v[6:7], v[20:21]
	v_fma_f64 v[20:21], v[4:5], v[20:21], -v[22:23]
	ds_load_b128 v[4:7], v2 offset:1488
	v_fmac_f64_e32 v[18:19], v[10:11], v[24:25]
	v_fma_f64 v[8:9], v[8:9], v[24:25], -v[26:27]
	v_add_f64_e32 v[12:13], v[12:13], v[16:17]
	v_add_f64_e32 v[14:15], v[14:15], v[134:135]
	s_wait_loadcnt_dscnt 0x0
	v_mul_f64_e32 v[16:17], v[4:5], v[30:31]
	v_mul_f64_e32 v[22:23], v[6:7], v[30:31]
	s_delay_alu instid0(VALU_DEP_4) | instskip(NEXT) | instid1(VALU_DEP_4)
	v_add_f64_e32 v[10:11], v[12:13], v[20:21]
	v_add_f64_e32 v[12:13], v[14:15], v[136:137]
	s_delay_alu instid0(VALU_DEP_4) | instskip(NEXT) | instid1(VALU_DEP_4)
	v_fmac_f64_e32 v[16:17], v[6:7], v[28:29]
	v_fma_f64 v[4:5], v[4:5], v[28:29], -v[22:23]
	s_delay_alu instid0(VALU_DEP_4) | instskip(NEXT) | instid1(VALU_DEP_4)
	v_add_f64_e32 v[6:7], v[10:11], v[8:9]
	v_add_f64_e32 v[8:9], v[12:13], v[18:19]
	s_delay_alu instid0(VALU_DEP_2) | instskip(NEXT) | instid1(VALU_DEP_2)
	v_add_f64_e32 v[4:5], v[6:7], v[4:5]
	v_add_f64_e32 v[6:7], v[8:9], v[16:17]
	s_delay_alu instid0(VALU_DEP_2) | instskip(NEXT) | instid1(VALU_DEP_2)
	v_add_f64_e64 v[4:5], v[148:149], -v[4:5]
	v_add_f64_e64 v[6:7], v[150:151], -v[6:7]
	scratch_store_b128 off, v[4:7], off offset:432
	s_wait_xcnt 0x0
	v_cmpx_lt_u32_e32 26, v1
	s_cbranch_execz .LBB110_243
; %bb.242:
	scratch_load_b128 v[6:9], off, s37
	v_dual_mov_b32 v3, v2 :: v_dual_mov_b32 v4, v2
	v_mov_b32_e32 v5, v2
	scratch_store_b128 off, v[2:5], off offset:416
	s_wait_loadcnt 0x0
	ds_store_b128 v126, v[6:9]
.LBB110_243:
	s_wait_xcnt 0x0
	s_or_b32 exec_lo, exec_lo, s2
	s_wait_storecnt_dscnt 0x0
	s_barrier_signal -1
	s_barrier_wait -1
	s_clause 0x9
	scratch_load_b128 v[4:7], off, off offset:432
	scratch_load_b128 v[8:11], off, off offset:448
	;; [unrolled: 1-line block ×10, first 2 shown]
	ds_load_b128 v[140:143], v2 offset:1184
	ds_load_b128 v[148:151], v2 offset:1200
	s_clause 0x2
	scratch_load_b128 v[144:147], off, off offset:592
	scratch_load_b128 v[152:155], off, off offset:416
	;; [unrolled: 1-line block ×3, first 2 shown]
	s_mov_b32 s2, exec_lo
	s_wait_loadcnt_dscnt 0xc01
	v_mul_f64_e32 v[160:161], v[142:143], v[6:7]
	v_mul_f64_e32 v[164:165], v[140:141], v[6:7]
	s_wait_loadcnt_dscnt 0xb00
	v_mul_f64_e32 v[166:167], v[148:149], v[10:11]
	v_mul_f64_e32 v[10:11], v[150:151], v[10:11]
	s_delay_alu instid0(VALU_DEP_4) | instskip(NEXT) | instid1(VALU_DEP_4)
	v_fma_f64 v[168:169], v[140:141], v[4:5], -v[160:161]
	v_fmac_f64_e32 v[164:165], v[142:143], v[4:5]
	ds_load_b128 v[4:7], v2 offset:1216
	ds_load_b128 v[140:143], v2 offset:1232
	scratch_load_b128 v[160:163], off, off offset:624
	v_fmac_f64_e32 v[166:167], v[150:151], v[8:9]
	v_fma_f64 v[148:149], v[148:149], v[8:9], -v[10:11]
	scratch_load_b128 v[8:11], off, off offset:640
	s_wait_loadcnt_dscnt 0xc01
	v_mul_f64_e32 v[170:171], v[4:5], v[14:15]
	v_mul_f64_e32 v[14:15], v[6:7], v[14:15]
	v_add_f64_e32 v[150:151], 0, v[168:169]
	v_add_f64_e32 v[164:165], 0, v[164:165]
	s_wait_loadcnt_dscnt 0xb00
	v_mul_f64_e32 v[168:169], v[140:141], v[18:19]
	v_mul_f64_e32 v[18:19], v[142:143], v[18:19]
	v_fmac_f64_e32 v[170:171], v[6:7], v[12:13]
	v_fma_f64 v[172:173], v[4:5], v[12:13], -v[14:15]
	ds_load_b128 v[4:7], v2 offset:1248
	ds_load_b128 v[12:15], v2 offset:1264
	v_add_f64_e32 v[174:175], v[150:151], v[148:149]
	v_add_f64_e32 v[164:165], v[164:165], v[166:167]
	scratch_load_b128 v[148:151], off, off offset:656
	v_fmac_f64_e32 v[168:169], v[142:143], v[16:17]
	v_fma_f64 v[140:141], v[140:141], v[16:17], -v[18:19]
	scratch_load_b128 v[16:19], off, off offset:672
	s_wait_loadcnt_dscnt 0xc01
	v_mul_f64_e32 v[166:167], v[4:5], v[22:23]
	v_mul_f64_e32 v[22:23], v[6:7], v[22:23]
	v_add_f64_e32 v[142:143], v[174:175], v[172:173]
	v_add_f64_e32 v[164:165], v[164:165], v[170:171]
	s_wait_loadcnt_dscnt 0xb00
	v_mul_f64_e32 v[170:171], v[12:13], v[26:27]
	v_mul_f64_e32 v[26:27], v[14:15], v[26:27]
	v_fmac_f64_e32 v[166:167], v[6:7], v[20:21]
	v_fma_f64 v[172:173], v[4:5], v[20:21], -v[22:23]
	ds_load_b128 v[4:7], v2 offset:1280
	ds_load_b128 v[20:23], v2 offset:1296
	v_add_f64_e32 v[174:175], v[142:143], v[140:141]
	v_add_f64_e32 v[164:165], v[164:165], v[168:169]
	scratch_load_b128 v[140:143], off, off offset:688
	s_wait_loadcnt_dscnt 0xb01
	v_mul_f64_e32 v[168:169], v[4:5], v[30:31]
	v_mul_f64_e32 v[30:31], v[6:7], v[30:31]
	v_fmac_f64_e32 v[170:171], v[14:15], v[24:25]
	v_fma_f64 v[24:25], v[12:13], v[24:25], -v[26:27]
	scratch_load_b128 v[12:15], off, off offset:704
	v_add_f64_e32 v[26:27], v[174:175], v[172:173]
	v_add_f64_e32 v[164:165], v[164:165], v[166:167]
	s_wait_loadcnt_dscnt 0xb00
	v_mul_f64_e32 v[166:167], v[20:21], v[130:131]
	v_mul_f64_e32 v[130:131], v[22:23], v[130:131]
	v_fmac_f64_e32 v[168:169], v[6:7], v[28:29]
	v_fma_f64 v[172:173], v[4:5], v[28:29], -v[30:31]
	v_add_f64_e32 v[174:175], v[26:27], v[24:25]
	v_add_f64_e32 v[164:165], v[164:165], v[170:171]
	ds_load_b128 v[4:7], v2 offset:1312
	ds_load_b128 v[24:27], v2 offset:1328
	scratch_load_b128 v[28:31], off, off offset:720
	v_fmac_f64_e32 v[166:167], v[22:23], v[128:129]
	v_fma_f64 v[128:129], v[20:21], v[128:129], -v[130:131]
	scratch_load_b128 v[20:23], off, off offset:736
	s_wait_loadcnt_dscnt 0xc01
	v_mul_f64_e32 v[170:171], v[4:5], v[134:135]
	v_mul_f64_e32 v[134:135], v[6:7], v[134:135]
	v_add_f64_e32 v[130:131], v[174:175], v[172:173]
	v_add_f64_e32 v[164:165], v[164:165], v[168:169]
	s_wait_loadcnt_dscnt 0xb00
	v_mul_f64_e32 v[168:169], v[24:25], v[138:139]
	v_mul_f64_e32 v[138:139], v[26:27], v[138:139]
	v_fmac_f64_e32 v[170:171], v[6:7], v[132:133]
	v_fma_f64 v[132:133], v[4:5], v[132:133], -v[134:135]
	v_add_f64_e32 v[134:135], v[130:131], v[128:129]
	v_add_f64_e32 v[164:165], v[164:165], v[166:167]
	ds_load_b128 v[4:7], v2 offset:1344
	ds_load_b128 v[128:131], v2 offset:1360
	v_fmac_f64_e32 v[168:169], v[26:27], v[136:137]
	v_fma_f64 v[24:25], v[24:25], v[136:137], -v[138:139]
	s_wait_loadcnt_dscnt 0xa01
	v_mul_f64_e32 v[166:167], v[4:5], v[146:147]
	v_mul_f64_e32 v[146:147], v[6:7], v[146:147]
	s_wait_loadcnt_dscnt 0x800
	v_mul_f64_e32 v[136:137], v[130:131], v[158:159]
	v_add_f64_e32 v[26:27], v[134:135], v[132:133]
	v_add_f64_e32 v[132:133], v[164:165], v[170:171]
	v_mul_f64_e32 v[134:135], v[128:129], v[158:159]
	v_fmac_f64_e32 v[166:167], v[6:7], v[144:145]
	v_fma_f64 v[138:139], v[4:5], v[144:145], -v[146:147]
	v_fma_f64 v[128:129], v[128:129], v[156:157], -v[136:137]
	v_add_f64_e32 v[144:145], v[26:27], v[24:25]
	v_add_f64_e32 v[132:133], v[132:133], v[168:169]
	ds_load_b128 v[4:7], v2 offset:1376
	ds_load_b128 v[24:27], v2 offset:1392
	v_fmac_f64_e32 v[134:135], v[130:131], v[156:157]
	s_wait_loadcnt_dscnt 0x701
	v_mul_f64_e32 v[146:147], v[4:5], v[162:163]
	v_mul_f64_e32 v[158:159], v[6:7], v[162:163]
	s_wait_loadcnt_dscnt 0x600
	v_mul_f64_e32 v[136:137], v[24:25], v[10:11]
	v_mul_f64_e32 v[10:11], v[26:27], v[10:11]
	v_add_f64_e32 v[130:131], v[144:145], v[138:139]
	v_add_f64_e32 v[132:133], v[132:133], v[166:167]
	v_fmac_f64_e32 v[146:147], v[6:7], v[160:161]
	v_fma_f64 v[138:139], v[4:5], v[160:161], -v[158:159]
	v_fmac_f64_e32 v[136:137], v[26:27], v[8:9]
	v_fma_f64 v[8:9], v[24:25], v[8:9], -v[10:11]
	v_add_f64_e32 v[144:145], v[130:131], v[128:129]
	v_add_f64_e32 v[132:133], v[132:133], v[134:135]
	ds_load_b128 v[4:7], v2 offset:1408
	ds_load_b128 v[128:131], v2 offset:1424
	s_wait_loadcnt_dscnt 0x501
	v_mul_f64_e32 v[134:135], v[4:5], v[150:151]
	v_mul_f64_e32 v[150:151], v[6:7], v[150:151]
	s_wait_loadcnt_dscnt 0x400
	v_mul_f64_e32 v[26:27], v[128:129], v[18:19]
	v_mul_f64_e32 v[18:19], v[130:131], v[18:19]
	v_add_f64_e32 v[10:11], v[144:145], v[138:139]
	v_add_f64_e32 v[24:25], v[132:133], v[146:147]
	v_fmac_f64_e32 v[134:135], v[6:7], v[148:149]
	v_fma_f64 v[132:133], v[4:5], v[148:149], -v[150:151]
	v_fmac_f64_e32 v[26:27], v[130:131], v[16:17]
	v_fma_f64 v[16:17], v[128:129], v[16:17], -v[18:19]
	v_add_f64_e32 v[138:139], v[10:11], v[8:9]
	v_add_f64_e32 v[24:25], v[24:25], v[136:137]
	ds_load_b128 v[4:7], v2 offset:1440
	ds_load_b128 v[8:11], v2 offset:1456
	;; [unrolled: 16-line block ×3, first 2 shown]
	s_wait_loadcnt_dscnt 0x101
	v_mul_f64_e32 v[2:3], v[4:5], v[30:31]
	v_mul_f64_e32 v[26:27], v[6:7], v[30:31]
	v_add_f64_e32 v[10:11], v[18:19], v[132:133]
	v_add_f64_e32 v[12:13], v[24:25], v[136:137]
	s_wait_loadcnt_dscnt 0x0
	v_mul_f64_e32 v[18:19], v[14:15], v[22:23]
	v_mul_f64_e32 v[22:23], v[16:17], v[22:23]
	v_fmac_f64_e32 v[2:3], v[6:7], v[28:29]
	v_fma_f64 v[4:5], v[4:5], v[28:29], -v[26:27]
	v_add_f64_e32 v[6:7], v[10:11], v[8:9]
	v_add_f64_e32 v[8:9], v[12:13], v[128:129]
	v_fmac_f64_e32 v[18:19], v[16:17], v[20:21]
	v_fma_f64 v[10:11], v[14:15], v[20:21], -v[22:23]
	s_delay_alu instid0(VALU_DEP_4) | instskip(NEXT) | instid1(VALU_DEP_4)
	v_add_f64_e32 v[4:5], v[6:7], v[4:5]
	v_add_f64_e32 v[2:3], v[8:9], v[2:3]
	s_delay_alu instid0(VALU_DEP_2) | instskip(NEXT) | instid1(VALU_DEP_2)
	v_add_f64_e32 v[4:5], v[4:5], v[10:11]
	v_add_f64_e32 v[6:7], v[2:3], v[18:19]
	s_delay_alu instid0(VALU_DEP_2) | instskip(NEXT) | instid1(VALU_DEP_2)
	v_add_f64_e64 v[2:3], v[152:153], -v[4:5]
	v_add_f64_e64 v[4:5], v[154:155], -v[6:7]
	scratch_store_b128 off, v[2:5], off offset:416
	s_wait_xcnt 0x0
	v_cmpx_lt_u32_e32 25, v1
	s_cbranch_execz .LBB110_245
; %bb.244:
	scratch_load_b128 v[2:5], off, s38
	v_mov_b32_e32 v6, 0
	s_delay_alu instid0(VALU_DEP_1)
	v_dual_mov_b32 v7, v6 :: v_dual_mov_b32 v8, v6
	v_mov_b32_e32 v9, v6
	scratch_store_b128 off, v[6:9], off offset:400
	s_wait_loadcnt 0x0
	ds_store_b128 v126, v[2:5]
.LBB110_245:
	s_wait_xcnt 0x0
	s_or_b32 exec_lo, exec_lo, s2
	s_wait_storecnt_dscnt 0x0
	s_barrier_signal -1
	s_barrier_wait -1
	s_clause 0x9
	scratch_load_b128 v[4:7], off, off offset:416
	scratch_load_b128 v[8:11], off, off offset:432
	;; [unrolled: 1-line block ×10, first 2 shown]
	v_mov_b32_e32 v2, 0
	s_mov_b32 s2, exec_lo
	ds_load_b128 v[140:143], v2 offset:1168
	s_clause 0x2
	scratch_load_b128 v[144:147], off, off offset:576
	scratch_load_b128 v[148:151], off, off offset:400
	;; [unrolled: 1-line block ×3, first 2 shown]
	s_wait_loadcnt_dscnt 0xc00
	v_mul_f64_e32 v[160:161], v[142:143], v[6:7]
	v_mul_f64_e32 v[164:165], v[140:141], v[6:7]
	ds_load_b128 v[152:155], v2 offset:1184
	v_fma_f64 v[168:169], v[140:141], v[4:5], -v[160:161]
	v_fmac_f64_e32 v[164:165], v[142:143], v[4:5]
	ds_load_b128 v[4:7], v2 offset:1200
	s_wait_loadcnt_dscnt 0xb01
	v_mul_f64_e32 v[166:167], v[152:153], v[10:11]
	v_mul_f64_e32 v[10:11], v[154:155], v[10:11]
	scratch_load_b128 v[140:143], off, off offset:608
	ds_load_b128 v[160:163], v2 offset:1216
	s_wait_loadcnt_dscnt 0xb01
	v_mul_f64_e32 v[170:171], v[4:5], v[14:15]
	v_mul_f64_e32 v[14:15], v[6:7], v[14:15]
	v_add_f64_e32 v[164:165], 0, v[164:165]
	v_fmac_f64_e32 v[166:167], v[154:155], v[8:9]
	v_fma_f64 v[152:153], v[152:153], v[8:9], -v[10:11]
	v_add_f64_e32 v[154:155], 0, v[168:169]
	scratch_load_b128 v[8:11], off, off offset:624
	v_fmac_f64_e32 v[170:171], v[6:7], v[12:13]
	v_fma_f64 v[172:173], v[4:5], v[12:13], -v[14:15]
	ds_load_b128 v[4:7], v2 offset:1232
	s_wait_loadcnt_dscnt 0xb01
	v_mul_f64_e32 v[168:169], v[160:161], v[18:19]
	v_mul_f64_e32 v[18:19], v[162:163], v[18:19]
	scratch_load_b128 v[12:15], off, off offset:640
	v_add_f64_e32 v[164:165], v[164:165], v[166:167]
	v_add_f64_e32 v[174:175], v[154:155], v[152:153]
	ds_load_b128 v[152:155], v2 offset:1248
	s_wait_loadcnt_dscnt 0xb01
	v_mul_f64_e32 v[166:167], v[4:5], v[22:23]
	v_mul_f64_e32 v[22:23], v[6:7], v[22:23]
	v_fmac_f64_e32 v[168:169], v[162:163], v[16:17]
	v_fma_f64 v[160:161], v[160:161], v[16:17], -v[18:19]
	scratch_load_b128 v[16:19], off, off offset:656
	v_add_f64_e32 v[164:165], v[164:165], v[170:171]
	v_add_f64_e32 v[162:163], v[174:175], v[172:173]
	v_fmac_f64_e32 v[166:167], v[6:7], v[20:21]
	v_fma_f64 v[172:173], v[4:5], v[20:21], -v[22:23]
	ds_load_b128 v[4:7], v2 offset:1264
	s_wait_loadcnt_dscnt 0xb01
	v_mul_f64_e32 v[170:171], v[152:153], v[26:27]
	v_mul_f64_e32 v[26:27], v[154:155], v[26:27]
	scratch_load_b128 v[20:23], off, off offset:672
	v_add_f64_e32 v[164:165], v[164:165], v[168:169]
	s_wait_loadcnt_dscnt 0xb00
	v_mul_f64_e32 v[168:169], v[4:5], v[30:31]
	v_add_f64_e32 v[174:175], v[162:163], v[160:161]
	v_mul_f64_e32 v[30:31], v[6:7], v[30:31]
	ds_load_b128 v[160:163], v2 offset:1280
	v_fmac_f64_e32 v[170:171], v[154:155], v[24:25]
	v_fma_f64 v[152:153], v[152:153], v[24:25], -v[26:27]
	scratch_load_b128 v[24:27], off, off offset:688
	v_add_f64_e32 v[164:165], v[164:165], v[166:167]
	v_fmac_f64_e32 v[168:169], v[6:7], v[28:29]
	v_add_f64_e32 v[154:155], v[174:175], v[172:173]
	v_fma_f64 v[172:173], v[4:5], v[28:29], -v[30:31]
	ds_load_b128 v[4:7], v2 offset:1296
	s_wait_loadcnt_dscnt 0xb01
	v_mul_f64_e32 v[166:167], v[160:161], v[130:131]
	v_mul_f64_e32 v[130:131], v[162:163], v[130:131]
	scratch_load_b128 v[28:31], off, off offset:704
	v_add_f64_e32 v[164:165], v[164:165], v[170:171]
	s_wait_loadcnt_dscnt 0xb00
	v_mul_f64_e32 v[170:171], v[4:5], v[134:135]
	v_add_f64_e32 v[174:175], v[154:155], v[152:153]
	v_mul_f64_e32 v[134:135], v[6:7], v[134:135]
	ds_load_b128 v[152:155], v2 offset:1312
	v_fmac_f64_e32 v[166:167], v[162:163], v[128:129]
	v_fma_f64 v[160:161], v[160:161], v[128:129], -v[130:131]
	scratch_load_b128 v[128:131], off, off offset:720
	v_add_f64_e32 v[164:165], v[164:165], v[168:169]
	v_fmac_f64_e32 v[170:171], v[6:7], v[132:133]
	v_add_f64_e32 v[162:163], v[174:175], v[172:173]
	v_fma_f64 v[172:173], v[4:5], v[132:133], -v[134:135]
	ds_load_b128 v[4:7], v2 offset:1328
	s_wait_loadcnt_dscnt 0xb01
	v_mul_f64_e32 v[168:169], v[152:153], v[138:139]
	v_mul_f64_e32 v[138:139], v[154:155], v[138:139]
	scratch_load_b128 v[132:135], off, off offset:736
	v_add_f64_e32 v[164:165], v[164:165], v[166:167]
	s_wait_loadcnt_dscnt 0xb00
	v_mul_f64_e32 v[166:167], v[4:5], v[146:147]
	v_add_f64_e32 v[174:175], v[162:163], v[160:161]
	v_mul_f64_e32 v[146:147], v[6:7], v[146:147]
	ds_load_b128 v[160:163], v2 offset:1344
	v_fmac_f64_e32 v[168:169], v[154:155], v[136:137]
	v_fma_f64 v[136:137], v[152:153], v[136:137], -v[138:139]
	s_wait_loadcnt_dscnt 0x900
	v_mul_f64_e32 v[154:155], v[160:161], v[158:159]
	v_mul_f64_e32 v[158:159], v[162:163], v[158:159]
	v_add_f64_e32 v[152:153], v[164:165], v[170:171]
	v_fmac_f64_e32 v[166:167], v[6:7], v[144:145]
	v_add_f64_e32 v[138:139], v[174:175], v[172:173]
	v_fma_f64 v[144:145], v[4:5], v[144:145], -v[146:147]
	v_fmac_f64_e32 v[154:155], v[162:163], v[156:157]
	v_fma_f64 v[156:157], v[160:161], v[156:157], -v[158:159]
	v_add_f64_e32 v[152:153], v[152:153], v[168:169]
	v_add_f64_e32 v[146:147], v[138:139], v[136:137]
	ds_load_b128 v[4:7], v2 offset:1360
	ds_load_b128 v[136:139], v2 offset:1376
	s_wait_loadcnt_dscnt 0x801
	v_mul_f64_e32 v[164:165], v[4:5], v[142:143]
	v_mul_f64_e32 v[142:143], v[6:7], v[142:143]
	v_add_f64_e32 v[144:145], v[146:147], v[144:145]
	v_add_f64_e32 v[146:147], v[152:153], v[166:167]
	s_wait_loadcnt_dscnt 0x700
	v_mul_f64_e32 v[152:153], v[136:137], v[10:11]
	v_mul_f64_e32 v[10:11], v[138:139], v[10:11]
	v_fmac_f64_e32 v[164:165], v[6:7], v[140:141]
	v_fma_f64 v[158:159], v[4:5], v[140:141], -v[142:143]
	ds_load_b128 v[4:7], v2 offset:1392
	ds_load_b128 v[140:143], v2 offset:1408
	v_add_f64_e32 v[144:145], v[144:145], v[156:157]
	v_add_f64_e32 v[146:147], v[146:147], v[154:155]
	v_fmac_f64_e32 v[152:153], v[138:139], v[8:9]
	v_fma_f64 v[8:9], v[136:137], v[8:9], -v[10:11]
	s_wait_loadcnt_dscnt 0x601
	v_mul_f64_e32 v[154:155], v[4:5], v[14:15]
	v_mul_f64_e32 v[14:15], v[6:7], v[14:15]
	s_wait_loadcnt_dscnt 0x500
	v_mul_f64_e32 v[138:139], v[140:141], v[18:19]
	v_mul_f64_e32 v[18:19], v[142:143], v[18:19]
	v_add_f64_e32 v[10:11], v[144:145], v[158:159]
	v_add_f64_e32 v[136:137], v[146:147], v[164:165]
	v_fmac_f64_e32 v[154:155], v[6:7], v[12:13]
	v_fma_f64 v[12:13], v[4:5], v[12:13], -v[14:15]
	v_fmac_f64_e32 v[138:139], v[142:143], v[16:17]
	v_fma_f64 v[16:17], v[140:141], v[16:17], -v[18:19]
	v_add_f64_e32 v[14:15], v[10:11], v[8:9]
	v_add_f64_e32 v[136:137], v[136:137], v[152:153]
	ds_load_b128 v[4:7], v2 offset:1424
	ds_load_b128 v[8:11], v2 offset:1440
	s_wait_loadcnt_dscnt 0x401
	v_mul_f64_e32 v[144:145], v[4:5], v[22:23]
	v_mul_f64_e32 v[22:23], v[6:7], v[22:23]
	s_wait_loadcnt_dscnt 0x300
	v_mul_f64_e32 v[18:19], v[8:9], v[26:27]
	v_mul_f64_e32 v[26:27], v[10:11], v[26:27]
	v_add_f64_e32 v[12:13], v[14:15], v[12:13]
	v_add_f64_e32 v[14:15], v[136:137], v[154:155]
	v_fmac_f64_e32 v[144:145], v[6:7], v[20:21]
	v_fma_f64 v[20:21], v[4:5], v[20:21], -v[22:23]
	v_fmac_f64_e32 v[18:19], v[10:11], v[24:25]
	v_fma_f64 v[8:9], v[8:9], v[24:25], -v[26:27]
	v_add_f64_e32 v[16:17], v[12:13], v[16:17]
	v_add_f64_e32 v[22:23], v[14:15], v[138:139]
	ds_load_b128 v[4:7], v2 offset:1456
	ds_load_b128 v[12:15], v2 offset:1472
	s_wait_loadcnt_dscnt 0x201
	v_mul_f64_e32 v[136:137], v[4:5], v[30:31]
	v_mul_f64_e32 v[30:31], v[6:7], v[30:31]
	v_add_f64_e32 v[10:11], v[16:17], v[20:21]
	v_add_f64_e32 v[16:17], v[22:23], v[144:145]
	s_wait_loadcnt_dscnt 0x100
	v_mul_f64_e32 v[20:21], v[12:13], v[130:131]
	v_mul_f64_e32 v[22:23], v[14:15], v[130:131]
	v_fmac_f64_e32 v[136:137], v[6:7], v[28:29]
	v_fma_f64 v[24:25], v[4:5], v[28:29], -v[30:31]
	ds_load_b128 v[4:7], v2 offset:1488
	v_add_f64_e32 v[8:9], v[10:11], v[8:9]
	v_add_f64_e32 v[10:11], v[16:17], v[18:19]
	v_fmac_f64_e32 v[20:21], v[14:15], v[128:129]
	v_fma_f64 v[12:13], v[12:13], v[128:129], -v[22:23]
	s_wait_loadcnt_dscnt 0x0
	v_mul_f64_e32 v[16:17], v[4:5], v[134:135]
	v_mul_f64_e32 v[18:19], v[6:7], v[134:135]
	v_add_f64_e32 v[8:9], v[8:9], v[24:25]
	v_add_f64_e32 v[10:11], v[10:11], v[136:137]
	s_delay_alu instid0(VALU_DEP_4) | instskip(NEXT) | instid1(VALU_DEP_4)
	v_fmac_f64_e32 v[16:17], v[6:7], v[132:133]
	v_fma_f64 v[4:5], v[4:5], v[132:133], -v[18:19]
	s_delay_alu instid0(VALU_DEP_4) | instskip(NEXT) | instid1(VALU_DEP_4)
	v_add_f64_e32 v[6:7], v[8:9], v[12:13]
	v_add_f64_e32 v[8:9], v[10:11], v[20:21]
	s_delay_alu instid0(VALU_DEP_2) | instskip(NEXT) | instid1(VALU_DEP_2)
	v_add_f64_e32 v[4:5], v[6:7], v[4:5]
	v_add_f64_e32 v[6:7], v[8:9], v[16:17]
	s_delay_alu instid0(VALU_DEP_2) | instskip(NEXT) | instid1(VALU_DEP_2)
	v_add_f64_e64 v[4:5], v[148:149], -v[4:5]
	v_add_f64_e64 v[6:7], v[150:151], -v[6:7]
	scratch_store_b128 off, v[4:7], off offset:400
	s_wait_xcnt 0x0
	v_cmpx_lt_u32_e32 24, v1
	s_cbranch_execz .LBB110_247
; %bb.246:
	scratch_load_b128 v[6:9], off, s39
	v_dual_mov_b32 v3, v2 :: v_dual_mov_b32 v4, v2
	v_mov_b32_e32 v5, v2
	scratch_store_b128 off, v[2:5], off offset:384
	s_wait_loadcnt 0x0
	ds_store_b128 v126, v[6:9]
.LBB110_247:
	s_wait_xcnt 0x0
	s_or_b32 exec_lo, exec_lo, s2
	s_wait_storecnt_dscnt 0x0
	s_barrier_signal -1
	s_barrier_wait -1
	s_clause 0x9
	scratch_load_b128 v[4:7], off, off offset:400
	scratch_load_b128 v[8:11], off, off offset:416
	;; [unrolled: 1-line block ×10, first 2 shown]
	ds_load_b128 v[140:143], v2 offset:1152
	ds_load_b128 v[148:151], v2 offset:1168
	s_clause 0x2
	scratch_load_b128 v[144:147], off, off offset:560
	scratch_load_b128 v[152:155], off, off offset:384
	scratch_load_b128 v[156:159], off, off offset:576
	s_mov_b32 s2, exec_lo
	s_wait_loadcnt_dscnt 0xc01
	v_mul_f64_e32 v[160:161], v[142:143], v[6:7]
	v_mul_f64_e32 v[164:165], v[140:141], v[6:7]
	s_wait_loadcnt_dscnt 0xb00
	v_mul_f64_e32 v[166:167], v[148:149], v[10:11]
	v_mul_f64_e32 v[10:11], v[150:151], v[10:11]
	s_delay_alu instid0(VALU_DEP_4) | instskip(NEXT) | instid1(VALU_DEP_4)
	v_fma_f64 v[168:169], v[140:141], v[4:5], -v[160:161]
	v_fmac_f64_e32 v[164:165], v[142:143], v[4:5]
	ds_load_b128 v[4:7], v2 offset:1184
	ds_load_b128 v[140:143], v2 offset:1200
	scratch_load_b128 v[160:163], off, off offset:592
	v_fmac_f64_e32 v[166:167], v[150:151], v[8:9]
	v_fma_f64 v[148:149], v[148:149], v[8:9], -v[10:11]
	scratch_load_b128 v[8:11], off, off offset:608
	s_wait_loadcnt_dscnt 0xc01
	v_mul_f64_e32 v[170:171], v[4:5], v[14:15]
	v_mul_f64_e32 v[14:15], v[6:7], v[14:15]
	v_add_f64_e32 v[150:151], 0, v[168:169]
	v_add_f64_e32 v[164:165], 0, v[164:165]
	s_wait_loadcnt_dscnt 0xb00
	v_mul_f64_e32 v[168:169], v[140:141], v[18:19]
	v_mul_f64_e32 v[18:19], v[142:143], v[18:19]
	v_fmac_f64_e32 v[170:171], v[6:7], v[12:13]
	v_fma_f64 v[172:173], v[4:5], v[12:13], -v[14:15]
	ds_load_b128 v[4:7], v2 offset:1216
	ds_load_b128 v[12:15], v2 offset:1232
	v_add_f64_e32 v[174:175], v[150:151], v[148:149]
	v_add_f64_e32 v[164:165], v[164:165], v[166:167]
	scratch_load_b128 v[148:151], off, off offset:624
	v_fmac_f64_e32 v[168:169], v[142:143], v[16:17]
	v_fma_f64 v[140:141], v[140:141], v[16:17], -v[18:19]
	scratch_load_b128 v[16:19], off, off offset:640
	s_wait_loadcnt_dscnt 0xc01
	v_mul_f64_e32 v[166:167], v[4:5], v[22:23]
	v_mul_f64_e32 v[22:23], v[6:7], v[22:23]
	v_add_f64_e32 v[142:143], v[174:175], v[172:173]
	v_add_f64_e32 v[164:165], v[164:165], v[170:171]
	s_wait_loadcnt_dscnt 0xb00
	v_mul_f64_e32 v[170:171], v[12:13], v[26:27]
	v_mul_f64_e32 v[26:27], v[14:15], v[26:27]
	v_fmac_f64_e32 v[166:167], v[6:7], v[20:21]
	v_fma_f64 v[172:173], v[4:5], v[20:21], -v[22:23]
	ds_load_b128 v[4:7], v2 offset:1248
	ds_load_b128 v[20:23], v2 offset:1264
	v_add_f64_e32 v[174:175], v[142:143], v[140:141]
	v_add_f64_e32 v[164:165], v[164:165], v[168:169]
	scratch_load_b128 v[140:143], off, off offset:656
	s_wait_loadcnt_dscnt 0xb01
	v_mul_f64_e32 v[168:169], v[4:5], v[30:31]
	v_mul_f64_e32 v[30:31], v[6:7], v[30:31]
	v_fmac_f64_e32 v[170:171], v[14:15], v[24:25]
	v_fma_f64 v[24:25], v[12:13], v[24:25], -v[26:27]
	scratch_load_b128 v[12:15], off, off offset:672
	v_add_f64_e32 v[26:27], v[174:175], v[172:173]
	v_add_f64_e32 v[164:165], v[164:165], v[166:167]
	s_wait_loadcnt_dscnt 0xb00
	v_mul_f64_e32 v[166:167], v[20:21], v[130:131]
	v_mul_f64_e32 v[130:131], v[22:23], v[130:131]
	v_fmac_f64_e32 v[168:169], v[6:7], v[28:29]
	v_fma_f64 v[172:173], v[4:5], v[28:29], -v[30:31]
	v_add_f64_e32 v[174:175], v[26:27], v[24:25]
	v_add_f64_e32 v[164:165], v[164:165], v[170:171]
	ds_load_b128 v[4:7], v2 offset:1280
	ds_load_b128 v[24:27], v2 offset:1296
	scratch_load_b128 v[28:31], off, off offset:688
	v_fmac_f64_e32 v[166:167], v[22:23], v[128:129]
	v_fma_f64 v[128:129], v[20:21], v[128:129], -v[130:131]
	scratch_load_b128 v[20:23], off, off offset:704
	s_wait_loadcnt_dscnt 0xc01
	v_mul_f64_e32 v[170:171], v[4:5], v[134:135]
	v_mul_f64_e32 v[134:135], v[6:7], v[134:135]
	v_add_f64_e32 v[130:131], v[174:175], v[172:173]
	v_add_f64_e32 v[164:165], v[164:165], v[168:169]
	s_wait_loadcnt_dscnt 0xb00
	v_mul_f64_e32 v[168:169], v[24:25], v[138:139]
	v_mul_f64_e32 v[138:139], v[26:27], v[138:139]
	v_fmac_f64_e32 v[170:171], v[6:7], v[132:133]
	v_fma_f64 v[172:173], v[4:5], v[132:133], -v[134:135]
	v_add_f64_e32 v[174:175], v[130:131], v[128:129]
	v_add_f64_e32 v[164:165], v[164:165], v[166:167]
	ds_load_b128 v[4:7], v2 offset:1312
	ds_load_b128 v[128:131], v2 offset:1328
	scratch_load_b128 v[132:135], off, off offset:720
	v_fmac_f64_e32 v[168:169], v[26:27], v[136:137]
	v_fma_f64 v[136:137], v[24:25], v[136:137], -v[138:139]
	scratch_load_b128 v[24:27], off, off offset:736
	s_wait_loadcnt_dscnt 0xc01
	v_mul_f64_e32 v[166:167], v[4:5], v[146:147]
	v_mul_f64_e32 v[146:147], v[6:7], v[146:147]
	v_add_f64_e32 v[138:139], v[174:175], v[172:173]
	v_add_f64_e32 v[164:165], v[164:165], v[170:171]
	s_wait_loadcnt_dscnt 0xa00
	v_mul_f64_e32 v[170:171], v[128:129], v[158:159]
	v_mul_f64_e32 v[158:159], v[130:131], v[158:159]
	v_fmac_f64_e32 v[166:167], v[6:7], v[144:145]
	v_fma_f64 v[144:145], v[4:5], v[144:145], -v[146:147]
	v_add_f64_e32 v[146:147], v[138:139], v[136:137]
	v_add_f64_e32 v[164:165], v[164:165], v[168:169]
	ds_load_b128 v[4:7], v2 offset:1344
	ds_load_b128 v[136:139], v2 offset:1360
	v_fmac_f64_e32 v[170:171], v[130:131], v[156:157]
	v_fma_f64 v[128:129], v[128:129], v[156:157], -v[158:159]
	s_wait_loadcnt_dscnt 0x901
	v_mul_f64_e32 v[168:169], v[4:5], v[162:163]
	v_mul_f64_e32 v[162:163], v[6:7], v[162:163]
	v_add_f64_e32 v[130:131], v[146:147], v[144:145]
	v_add_f64_e32 v[144:145], v[164:165], v[166:167]
	s_wait_loadcnt_dscnt 0x800
	v_mul_f64_e32 v[146:147], v[136:137], v[10:11]
	v_mul_f64_e32 v[10:11], v[138:139], v[10:11]
	v_fmac_f64_e32 v[168:169], v[6:7], v[160:161]
	v_fma_f64 v[156:157], v[4:5], v[160:161], -v[162:163]
	v_add_f64_e32 v[158:159], v[130:131], v[128:129]
	v_add_f64_e32 v[144:145], v[144:145], v[170:171]
	ds_load_b128 v[4:7], v2 offset:1376
	ds_load_b128 v[128:131], v2 offset:1392
	v_fmac_f64_e32 v[146:147], v[138:139], v[8:9]
	v_fma_f64 v[8:9], v[136:137], v[8:9], -v[10:11]
	s_wait_loadcnt_dscnt 0x701
	v_mul_f64_e32 v[160:161], v[4:5], v[150:151]
	v_mul_f64_e32 v[150:151], v[6:7], v[150:151]
	s_wait_loadcnt_dscnt 0x600
	v_mul_f64_e32 v[138:139], v[128:129], v[18:19]
	v_mul_f64_e32 v[18:19], v[130:131], v[18:19]
	v_add_f64_e32 v[10:11], v[158:159], v[156:157]
	v_add_f64_e32 v[136:137], v[144:145], v[168:169]
	v_fmac_f64_e32 v[160:161], v[6:7], v[148:149]
	v_fma_f64 v[144:145], v[4:5], v[148:149], -v[150:151]
	v_fmac_f64_e32 v[138:139], v[130:131], v[16:17]
	v_fma_f64 v[16:17], v[128:129], v[16:17], -v[18:19]
	v_add_f64_e32 v[148:149], v[10:11], v[8:9]
	v_add_f64_e32 v[136:137], v[136:137], v[146:147]
	ds_load_b128 v[4:7], v2 offset:1408
	ds_load_b128 v[8:11], v2 offset:1424
	s_wait_loadcnt_dscnt 0x501
	v_mul_f64_e32 v[146:147], v[4:5], v[142:143]
	v_mul_f64_e32 v[142:143], v[6:7], v[142:143]
	s_wait_loadcnt_dscnt 0x400
	v_mul_f64_e32 v[130:131], v[8:9], v[14:15]
	v_add_f64_e32 v[18:19], v[148:149], v[144:145]
	v_add_f64_e32 v[128:129], v[136:137], v[160:161]
	v_mul_f64_e32 v[136:137], v[10:11], v[14:15]
	v_fmac_f64_e32 v[146:147], v[6:7], v[140:141]
	v_fma_f64 v[140:141], v[4:5], v[140:141], -v[142:143]
	v_fmac_f64_e32 v[130:131], v[10:11], v[12:13]
	v_add_f64_e32 v[18:19], v[18:19], v[16:17]
	v_add_f64_e32 v[128:129], v[128:129], v[138:139]
	ds_load_b128 v[4:7], v2 offset:1440
	ds_load_b128 v[14:17], v2 offset:1456
	v_fma_f64 v[8:9], v[8:9], v[12:13], -v[136:137]
	s_wait_loadcnt_dscnt 0x301
	v_mul_f64_e32 v[138:139], v[4:5], v[30:31]
	v_mul_f64_e32 v[30:31], v[6:7], v[30:31]
	v_add_f64_e32 v[10:11], v[18:19], v[140:141]
	v_add_f64_e32 v[12:13], v[128:129], v[146:147]
	s_wait_loadcnt_dscnt 0x200
	v_mul_f64_e32 v[18:19], v[14:15], v[22:23]
	v_mul_f64_e32 v[22:23], v[16:17], v[22:23]
	v_fmac_f64_e32 v[138:139], v[6:7], v[28:29]
	v_fma_f64 v[28:29], v[4:5], v[28:29], -v[30:31]
	v_add_f64_e32 v[30:31], v[10:11], v[8:9]
	v_add_f64_e32 v[12:13], v[12:13], v[130:131]
	ds_load_b128 v[4:7], v2 offset:1472
	ds_load_b128 v[8:11], v2 offset:1488
	v_fmac_f64_e32 v[18:19], v[16:17], v[20:21]
	v_fma_f64 v[14:15], v[14:15], v[20:21], -v[22:23]
	s_wait_loadcnt_dscnt 0x101
	v_mul_f64_e32 v[2:3], v[4:5], v[134:135]
	v_mul_f64_e32 v[128:129], v[6:7], v[134:135]
	s_wait_loadcnt_dscnt 0x0
	v_mul_f64_e32 v[20:21], v[8:9], v[26:27]
	v_mul_f64_e32 v[22:23], v[10:11], v[26:27]
	v_add_f64_e32 v[16:17], v[30:31], v[28:29]
	v_add_f64_e32 v[12:13], v[12:13], v[138:139]
	v_fmac_f64_e32 v[2:3], v[6:7], v[132:133]
	v_fma_f64 v[4:5], v[4:5], v[132:133], -v[128:129]
	v_fmac_f64_e32 v[20:21], v[10:11], v[24:25]
	v_fma_f64 v[8:9], v[8:9], v[24:25], -v[22:23]
	v_add_f64_e32 v[6:7], v[16:17], v[14:15]
	v_add_f64_e32 v[12:13], v[12:13], v[18:19]
	s_delay_alu instid0(VALU_DEP_2) | instskip(NEXT) | instid1(VALU_DEP_2)
	v_add_f64_e32 v[4:5], v[6:7], v[4:5]
	v_add_f64_e32 v[2:3], v[12:13], v[2:3]
	s_delay_alu instid0(VALU_DEP_2) | instskip(NEXT) | instid1(VALU_DEP_2)
	v_add_f64_e32 v[4:5], v[4:5], v[8:9]
	v_add_f64_e32 v[6:7], v[2:3], v[20:21]
	s_delay_alu instid0(VALU_DEP_2) | instskip(NEXT) | instid1(VALU_DEP_2)
	v_add_f64_e64 v[2:3], v[152:153], -v[4:5]
	v_add_f64_e64 v[4:5], v[154:155], -v[6:7]
	scratch_store_b128 off, v[2:5], off offset:384
	s_wait_xcnt 0x0
	v_cmpx_lt_u32_e32 23, v1
	s_cbranch_execz .LBB110_249
; %bb.248:
	scratch_load_b128 v[2:5], off, s40
	v_mov_b32_e32 v6, 0
	s_delay_alu instid0(VALU_DEP_1)
	v_dual_mov_b32 v7, v6 :: v_dual_mov_b32 v8, v6
	v_mov_b32_e32 v9, v6
	scratch_store_b128 off, v[6:9], off offset:368
	s_wait_loadcnt 0x0
	ds_store_b128 v126, v[2:5]
.LBB110_249:
	s_wait_xcnt 0x0
	s_or_b32 exec_lo, exec_lo, s2
	s_wait_storecnt_dscnt 0x0
	s_barrier_signal -1
	s_barrier_wait -1
	s_clause 0x9
	scratch_load_b128 v[4:7], off, off offset:384
	scratch_load_b128 v[8:11], off, off offset:400
	;; [unrolled: 1-line block ×10, first 2 shown]
	v_mov_b32_e32 v2, 0
	s_mov_b32 s2, exec_lo
	ds_load_b128 v[140:143], v2 offset:1136
	s_clause 0x2
	scratch_load_b128 v[144:147], off, off offset:544
	scratch_load_b128 v[148:151], off, off offset:368
	;; [unrolled: 1-line block ×3, first 2 shown]
	s_wait_loadcnt_dscnt 0xc00
	v_mul_f64_e32 v[160:161], v[142:143], v[6:7]
	v_mul_f64_e32 v[164:165], v[140:141], v[6:7]
	ds_load_b128 v[152:155], v2 offset:1152
	v_fma_f64 v[168:169], v[140:141], v[4:5], -v[160:161]
	v_fmac_f64_e32 v[164:165], v[142:143], v[4:5]
	ds_load_b128 v[4:7], v2 offset:1168
	s_wait_loadcnt_dscnt 0xb01
	v_mul_f64_e32 v[166:167], v[152:153], v[10:11]
	v_mul_f64_e32 v[10:11], v[154:155], v[10:11]
	scratch_load_b128 v[140:143], off, off offset:576
	ds_load_b128 v[160:163], v2 offset:1184
	s_wait_loadcnt_dscnt 0xb01
	v_mul_f64_e32 v[170:171], v[4:5], v[14:15]
	v_mul_f64_e32 v[14:15], v[6:7], v[14:15]
	v_add_f64_e32 v[164:165], 0, v[164:165]
	v_fmac_f64_e32 v[166:167], v[154:155], v[8:9]
	v_fma_f64 v[152:153], v[152:153], v[8:9], -v[10:11]
	v_add_f64_e32 v[154:155], 0, v[168:169]
	scratch_load_b128 v[8:11], off, off offset:592
	v_fmac_f64_e32 v[170:171], v[6:7], v[12:13]
	v_fma_f64 v[172:173], v[4:5], v[12:13], -v[14:15]
	ds_load_b128 v[4:7], v2 offset:1200
	s_wait_loadcnt_dscnt 0xb01
	v_mul_f64_e32 v[168:169], v[160:161], v[18:19]
	v_mul_f64_e32 v[18:19], v[162:163], v[18:19]
	scratch_load_b128 v[12:15], off, off offset:608
	v_add_f64_e32 v[164:165], v[164:165], v[166:167]
	v_add_f64_e32 v[174:175], v[154:155], v[152:153]
	ds_load_b128 v[152:155], v2 offset:1216
	s_wait_loadcnt_dscnt 0xb01
	v_mul_f64_e32 v[166:167], v[4:5], v[22:23]
	v_mul_f64_e32 v[22:23], v[6:7], v[22:23]
	v_fmac_f64_e32 v[168:169], v[162:163], v[16:17]
	v_fma_f64 v[160:161], v[160:161], v[16:17], -v[18:19]
	scratch_load_b128 v[16:19], off, off offset:624
	v_add_f64_e32 v[164:165], v[164:165], v[170:171]
	v_add_f64_e32 v[162:163], v[174:175], v[172:173]
	v_fmac_f64_e32 v[166:167], v[6:7], v[20:21]
	v_fma_f64 v[172:173], v[4:5], v[20:21], -v[22:23]
	ds_load_b128 v[4:7], v2 offset:1232
	s_wait_loadcnt_dscnt 0xb01
	v_mul_f64_e32 v[170:171], v[152:153], v[26:27]
	v_mul_f64_e32 v[26:27], v[154:155], v[26:27]
	scratch_load_b128 v[20:23], off, off offset:640
	v_add_f64_e32 v[164:165], v[164:165], v[168:169]
	s_wait_loadcnt_dscnt 0xb00
	v_mul_f64_e32 v[168:169], v[4:5], v[30:31]
	v_add_f64_e32 v[174:175], v[162:163], v[160:161]
	v_mul_f64_e32 v[30:31], v[6:7], v[30:31]
	ds_load_b128 v[160:163], v2 offset:1248
	v_fmac_f64_e32 v[170:171], v[154:155], v[24:25]
	v_fma_f64 v[152:153], v[152:153], v[24:25], -v[26:27]
	scratch_load_b128 v[24:27], off, off offset:656
	v_add_f64_e32 v[164:165], v[164:165], v[166:167]
	v_fmac_f64_e32 v[168:169], v[6:7], v[28:29]
	v_add_f64_e32 v[154:155], v[174:175], v[172:173]
	v_fma_f64 v[172:173], v[4:5], v[28:29], -v[30:31]
	ds_load_b128 v[4:7], v2 offset:1264
	s_wait_loadcnt_dscnt 0xb01
	v_mul_f64_e32 v[166:167], v[160:161], v[130:131]
	v_mul_f64_e32 v[130:131], v[162:163], v[130:131]
	scratch_load_b128 v[28:31], off, off offset:672
	v_add_f64_e32 v[164:165], v[164:165], v[170:171]
	s_wait_loadcnt_dscnt 0xb00
	v_mul_f64_e32 v[170:171], v[4:5], v[134:135]
	v_add_f64_e32 v[174:175], v[154:155], v[152:153]
	v_mul_f64_e32 v[134:135], v[6:7], v[134:135]
	ds_load_b128 v[152:155], v2 offset:1280
	v_fmac_f64_e32 v[166:167], v[162:163], v[128:129]
	v_fma_f64 v[160:161], v[160:161], v[128:129], -v[130:131]
	scratch_load_b128 v[128:131], off, off offset:688
	v_add_f64_e32 v[164:165], v[164:165], v[168:169]
	v_fmac_f64_e32 v[170:171], v[6:7], v[132:133]
	v_add_f64_e32 v[162:163], v[174:175], v[172:173]
	;; [unrolled: 18-line block ×3, first 2 shown]
	v_fma_f64 v[172:173], v[4:5], v[144:145], -v[146:147]
	ds_load_b128 v[4:7], v2 offset:1328
	s_wait_loadcnt_dscnt 0xa01
	v_mul_f64_e32 v[170:171], v[160:161], v[158:159]
	v_mul_f64_e32 v[158:159], v[162:163], v[158:159]
	scratch_load_b128 v[144:147], off, off offset:736
	v_add_f64_e32 v[164:165], v[164:165], v[168:169]
	v_add_f64_e32 v[174:175], v[154:155], v[152:153]
	s_wait_loadcnt_dscnt 0xa00
	v_mul_f64_e32 v[168:169], v[4:5], v[142:143]
	v_mul_f64_e32 v[142:143], v[6:7], v[142:143]
	v_fmac_f64_e32 v[170:171], v[162:163], v[156:157]
	v_fma_f64 v[156:157], v[160:161], v[156:157], -v[158:159]
	ds_load_b128 v[152:155], v2 offset:1344
	v_add_f64_e32 v[160:161], v[164:165], v[166:167]
	v_add_f64_e32 v[158:159], v[174:175], v[172:173]
	s_wait_loadcnt_dscnt 0x900
	v_mul_f64_e32 v[162:163], v[152:153], v[10:11]
	v_mul_f64_e32 v[10:11], v[154:155], v[10:11]
	v_fmac_f64_e32 v[168:169], v[6:7], v[140:141]
	v_fma_f64 v[164:165], v[4:5], v[140:141], -v[142:143]
	ds_load_b128 v[4:7], v2 offset:1360
	ds_load_b128 v[140:143], v2 offset:1376
	v_add_f64_e32 v[156:157], v[158:159], v[156:157]
	v_add_f64_e32 v[158:159], v[160:161], v[170:171]
	s_wait_loadcnt_dscnt 0x801
	v_mul_f64_e32 v[160:161], v[4:5], v[14:15]
	v_mul_f64_e32 v[14:15], v[6:7], v[14:15]
	v_fmac_f64_e32 v[162:163], v[154:155], v[8:9]
	v_fma_f64 v[8:9], v[152:153], v[8:9], -v[10:11]
	s_wait_loadcnt_dscnt 0x700
	v_mul_f64_e32 v[154:155], v[140:141], v[18:19]
	v_mul_f64_e32 v[18:19], v[142:143], v[18:19]
	v_add_f64_e32 v[10:11], v[156:157], v[164:165]
	v_add_f64_e32 v[152:153], v[158:159], v[168:169]
	v_fmac_f64_e32 v[160:161], v[6:7], v[12:13]
	v_fma_f64 v[12:13], v[4:5], v[12:13], -v[14:15]
	v_fmac_f64_e32 v[154:155], v[142:143], v[16:17]
	v_fma_f64 v[16:17], v[140:141], v[16:17], -v[18:19]
	v_add_f64_e32 v[14:15], v[10:11], v[8:9]
	v_add_f64_e32 v[152:153], v[152:153], v[162:163]
	ds_load_b128 v[4:7], v2 offset:1392
	ds_load_b128 v[8:11], v2 offset:1408
	s_wait_loadcnt_dscnt 0x601
	v_mul_f64_e32 v[156:157], v[4:5], v[22:23]
	v_mul_f64_e32 v[22:23], v[6:7], v[22:23]
	s_wait_loadcnt_dscnt 0x500
	v_mul_f64_e32 v[18:19], v[8:9], v[26:27]
	v_mul_f64_e32 v[26:27], v[10:11], v[26:27]
	v_add_f64_e32 v[12:13], v[14:15], v[12:13]
	v_add_f64_e32 v[14:15], v[152:153], v[160:161]
	v_fmac_f64_e32 v[156:157], v[6:7], v[20:21]
	v_fma_f64 v[20:21], v[4:5], v[20:21], -v[22:23]
	v_fmac_f64_e32 v[18:19], v[10:11], v[24:25]
	v_fma_f64 v[8:9], v[8:9], v[24:25], -v[26:27]
	v_add_f64_e32 v[16:17], v[12:13], v[16:17]
	v_add_f64_e32 v[22:23], v[14:15], v[154:155]
	ds_load_b128 v[4:7], v2 offset:1424
	ds_load_b128 v[12:15], v2 offset:1440
	s_wait_loadcnt_dscnt 0x401
	v_mul_f64_e32 v[140:141], v[4:5], v[30:31]
	v_mul_f64_e32 v[30:31], v[6:7], v[30:31]
	v_add_f64_e32 v[10:11], v[16:17], v[20:21]
	v_add_f64_e32 v[16:17], v[22:23], v[156:157]
	s_wait_loadcnt_dscnt 0x300
	v_mul_f64_e32 v[20:21], v[12:13], v[130:131]
	v_mul_f64_e32 v[22:23], v[14:15], v[130:131]
	v_fmac_f64_e32 v[140:141], v[6:7], v[28:29]
	v_fma_f64 v[24:25], v[4:5], v[28:29], -v[30:31]
	v_add_f64_e32 v[26:27], v[10:11], v[8:9]
	v_add_f64_e32 v[16:17], v[16:17], v[18:19]
	ds_load_b128 v[4:7], v2 offset:1456
	ds_load_b128 v[8:11], v2 offset:1472
	v_fmac_f64_e32 v[20:21], v[14:15], v[128:129]
	v_fma_f64 v[12:13], v[12:13], v[128:129], -v[22:23]
	s_wait_loadcnt_dscnt 0x201
	v_mul_f64_e32 v[18:19], v[4:5], v[134:135]
	v_mul_f64_e32 v[28:29], v[6:7], v[134:135]
	s_wait_loadcnt_dscnt 0x100
	v_mul_f64_e32 v[22:23], v[8:9], v[138:139]
	v_add_f64_e32 v[14:15], v[26:27], v[24:25]
	v_add_f64_e32 v[16:17], v[16:17], v[140:141]
	v_mul_f64_e32 v[24:25], v[10:11], v[138:139]
	v_fmac_f64_e32 v[18:19], v[6:7], v[132:133]
	v_fma_f64 v[26:27], v[4:5], v[132:133], -v[28:29]
	ds_load_b128 v[4:7], v2 offset:1488
	v_fmac_f64_e32 v[22:23], v[10:11], v[136:137]
	v_add_f64_e32 v[12:13], v[14:15], v[12:13]
	v_add_f64_e32 v[14:15], v[16:17], v[20:21]
	v_fma_f64 v[8:9], v[8:9], v[136:137], -v[24:25]
	s_wait_loadcnt_dscnt 0x0
	v_mul_f64_e32 v[16:17], v[4:5], v[146:147]
	v_mul_f64_e32 v[20:21], v[6:7], v[146:147]
	v_add_f64_e32 v[10:11], v[12:13], v[26:27]
	v_add_f64_e32 v[12:13], v[14:15], v[18:19]
	s_delay_alu instid0(VALU_DEP_4) | instskip(NEXT) | instid1(VALU_DEP_4)
	v_fmac_f64_e32 v[16:17], v[6:7], v[144:145]
	v_fma_f64 v[4:5], v[4:5], v[144:145], -v[20:21]
	s_delay_alu instid0(VALU_DEP_4) | instskip(NEXT) | instid1(VALU_DEP_4)
	v_add_f64_e32 v[6:7], v[10:11], v[8:9]
	v_add_f64_e32 v[8:9], v[12:13], v[22:23]
	s_delay_alu instid0(VALU_DEP_2) | instskip(NEXT) | instid1(VALU_DEP_2)
	v_add_f64_e32 v[4:5], v[6:7], v[4:5]
	v_add_f64_e32 v[6:7], v[8:9], v[16:17]
	s_delay_alu instid0(VALU_DEP_2) | instskip(NEXT) | instid1(VALU_DEP_2)
	v_add_f64_e64 v[4:5], v[148:149], -v[4:5]
	v_add_f64_e64 v[6:7], v[150:151], -v[6:7]
	scratch_store_b128 off, v[4:7], off offset:368
	s_wait_xcnt 0x0
	v_cmpx_lt_u32_e32 22, v1
	s_cbranch_execz .LBB110_251
; %bb.250:
	scratch_load_b128 v[6:9], off, s41
	v_dual_mov_b32 v3, v2 :: v_dual_mov_b32 v4, v2
	v_mov_b32_e32 v5, v2
	scratch_store_b128 off, v[2:5], off offset:352
	s_wait_loadcnt 0x0
	ds_store_b128 v126, v[6:9]
.LBB110_251:
	s_wait_xcnt 0x0
	s_or_b32 exec_lo, exec_lo, s2
	s_wait_storecnt_dscnt 0x0
	s_barrier_signal -1
	s_barrier_wait -1
	s_clause 0x9
	scratch_load_b128 v[4:7], off, off offset:368
	scratch_load_b128 v[8:11], off, off offset:384
	;; [unrolled: 1-line block ×10, first 2 shown]
	ds_load_b128 v[140:143], v2 offset:1120
	ds_load_b128 v[148:151], v2 offset:1136
	s_clause 0x2
	scratch_load_b128 v[144:147], off, off offset:528
	scratch_load_b128 v[152:155], off, off offset:352
	;; [unrolled: 1-line block ×3, first 2 shown]
	s_mov_b32 s2, exec_lo
	s_wait_loadcnt_dscnt 0xc01
	v_mul_f64_e32 v[160:161], v[142:143], v[6:7]
	v_mul_f64_e32 v[164:165], v[140:141], v[6:7]
	s_wait_loadcnt_dscnt 0xb00
	v_mul_f64_e32 v[166:167], v[148:149], v[10:11]
	v_mul_f64_e32 v[10:11], v[150:151], v[10:11]
	s_delay_alu instid0(VALU_DEP_4) | instskip(NEXT) | instid1(VALU_DEP_4)
	v_fma_f64 v[168:169], v[140:141], v[4:5], -v[160:161]
	v_fmac_f64_e32 v[164:165], v[142:143], v[4:5]
	ds_load_b128 v[4:7], v2 offset:1152
	ds_load_b128 v[140:143], v2 offset:1168
	scratch_load_b128 v[160:163], off, off offset:560
	v_fmac_f64_e32 v[166:167], v[150:151], v[8:9]
	v_fma_f64 v[148:149], v[148:149], v[8:9], -v[10:11]
	scratch_load_b128 v[8:11], off, off offset:576
	s_wait_loadcnt_dscnt 0xc01
	v_mul_f64_e32 v[170:171], v[4:5], v[14:15]
	v_mul_f64_e32 v[14:15], v[6:7], v[14:15]
	v_add_f64_e32 v[150:151], 0, v[168:169]
	v_add_f64_e32 v[164:165], 0, v[164:165]
	s_wait_loadcnt_dscnt 0xb00
	v_mul_f64_e32 v[168:169], v[140:141], v[18:19]
	v_mul_f64_e32 v[18:19], v[142:143], v[18:19]
	v_fmac_f64_e32 v[170:171], v[6:7], v[12:13]
	v_fma_f64 v[172:173], v[4:5], v[12:13], -v[14:15]
	ds_load_b128 v[4:7], v2 offset:1184
	ds_load_b128 v[12:15], v2 offset:1200
	v_add_f64_e32 v[174:175], v[150:151], v[148:149]
	v_add_f64_e32 v[164:165], v[164:165], v[166:167]
	scratch_load_b128 v[148:151], off, off offset:592
	v_fmac_f64_e32 v[168:169], v[142:143], v[16:17]
	v_fma_f64 v[140:141], v[140:141], v[16:17], -v[18:19]
	scratch_load_b128 v[16:19], off, off offset:608
	s_wait_loadcnt_dscnt 0xc01
	v_mul_f64_e32 v[166:167], v[4:5], v[22:23]
	v_mul_f64_e32 v[22:23], v[6:7], v[22:23]
	v_add_f64_e32 v[142:143], v[174:175], v[172:173]
	v_add_f64_e32 v[164:165], v[164:165], v[170:171]
	s_wait_loadcnt_dscnt 0xb00
	v_mul_f64_e32 v[170:171], v[12:13], v[26:27]
	v_mul_f64_e32 v[26:27], v[14:15], v[26:27]
	v_fmac_f64_e32 v[166:167], v[6:7], v[20:21]
	v_fma_f64 v[172:173], v[4:5], v[20:21], -v[22:23]
	ds_load_b128 v[4:7], v2 offset:1216
	ds_load_b128 v[20:23], v2 offset:1232
	v_add_f64_e32 v[174:175], v[142:143], v[140:141]
	v_add_f64_e32 v[164:165], v[164:165], v[168:169]
	scratch_load_b128 v[140:143], off, off offset:624
	s_wait_loadcnt_dscnt 0xb01
	v_mul_f64_e32 v[168:169], v[4:5], v[30:31]
	v_mul_f64_e32 v[30:31], v[6:7], v[30:31]
	v_fmac_f64_e32 v[170:171], v[14:15], v[24:25]
	v_fma_f64 v[24:25], v[12:13], v[24:25], -v[26:27]
	scratch_load_b128 v[12:15], off, off offset:640
	v_add_f64_e32 v[26:27], v[174:175], v[172:173]
	v_add_f64_e32 v[164:165], v[164:165], v[166:167]
	s_wait_loadcnt_dscnt 0xb00
	v_mul_f64_e32 v[166:167], v[20:21], v[130:131]
	v_mul_f64_e32 v[130:131], v[22:23], v[130:131]
	v_fmac_f64_e32 v[168:169], v[6:7], v[28:29]
	v_fma_f64 v[172:173], v[4:5], v[28:29], -v[30:31]
	v_add_f64_e32 v[174:175], v[26:27], v[24:25]
	v_add_f64_e32 v[164:165], v[164:165], v[170:171]
	ds_load_b128 v[4:7], v2 offset:1248
	ds_load_b128 v[24:27], v2 offset:1264
	scratch_load_b128 v[28:31], off, off offset:656
	v_fmac_f64_e32 v[166:167], v[22:23], v[128:129]
	v_fma_f64 v[128:129], v[20:21], v[128:129], -v[130:131]
	scratch_load_b128 v[20:23], off, off offset:672
	s_wait_loadcnt_dscnt 0xc01
	v_mul_f64_e32 v[170:171], v[4:5], v[134:135]
	v_mul_f64_e32 v[134:135], v[6:7], v[134:135]
	v_add_f64_e32 v[130:131], v[174:175], v[172:173]
	v_add_f64_e32 v[164:165], v[164:165], v[168:169]
	s_wait_loadcnt_dscnt 0xb00
	v_mul_f64_e32 v[168:169], v[24:25], v[138:139]
	v_mul_f64_e32 v[138:139], v[26:27], v[138:139]
	v_fmac_f64_e32 v[170:171], v[6:7], v[132:133]
	v_fma_f64 v[172:173], v[4:5], v[132:133], -v[134:135]
	v_add_f64_e32 v[174:175], v[130:131], v[128:129]
	v_add_f64_e32 v[164:165], v[164:165], v[166:167]
	ds_load_b128 v[4:7], v2 offset:1280
	ds_load_b128 v[128:131], v2 offset:1296
	scratch_load_b128 v[132:135], off, off offset:688
	v_fmac_f64_e32 v[168:169], v[26:27], v[136:137]
	v_fma_f64 v[136:137], v[24:25], v[136:137], -v[138:139]
	scratch_load_b128 v[24:27], off, off offset:704
	s_wait_loadcnt_dscnt 0xc01
	v_mul_f64_e32 v[166:167], v[4:5], v[146:147]
	v_mul_f64_e32 v[146:147], v[6:7], v[146:147]
	;; [unrolled: 18-line block ×3, first 2 shown]
	v_add_f64_e32 v[158:159], v[174:175], v[172:173]
	v_add_f64_e32 v[164:165], v[164:165], v[166:167]
	s_wait_loadcnt_dscnt 0xa00
	v_mul_f64_e32 v[166:167], v[136:137], v[10:11]
	v_mul_f64_e32 v[10:11], v[138:139], v[10:11]
	v_fmac_f64_e32 v[168:169], v[6:7], v[160:161]
	v_fma_f64 v[160:161], v[4:5], v[160:161], -v[162:163]
	v_add_f64_e32 v[162:163], v[158:159], v[156:157]
	v_add_f64_e32 v[164:165], v[164:165], v[170:171]
	ds_load_b128 v[4:7], v2 offset:1344
	ds_load_b128 v[156:159], v2 offset:1360
	v_fmac_f64_e32 v[166:167], v[138:139], v[8:9]
	v_fma_f64 v[8:9], v[136:137], v[8:9], -v[10:11]
	s_wait_loadcnt_dscnt 0x901
	v_mul_f64_e32 v[170:171], v[4:5], v[150:151]
	v_mul_f64_e32 v[150:151], v[6:7], v[150:151]
	s_wait_loadcnt_dscnt 0x800
	v_mul_f64_e32 v[138:139], v[156:157], v[18:19]
	v_mul_f64_e32 v[18:19], v[158:159], v[18:19]
	v_add_f64_e32 v[10:11], v[162:163], v[160:161]
	v_add_f64_e32 v[136:137], v[164:165], v[168:169]
	v_fmac_f64_e32 v[170:171], v[6:7], v[148:149]
	v_fma_f64 v[148:149], v[4:5], v[148:149], -v[150:151]
	v_fmac_f64_e32 v[138:139], v[158:159], v[16:17]
	v_fma_f64 v[16:17], v[156:157], v[16:17], -v[18:19]
	v_add_f64_e32 v[150:151], v[10:11], v[8:9]
	v_add_f64_e32 v[136:137], v[136:137], v[166:167]
	ds_load_b128 v[4:7], v2 offset:1376
	ds_load_b128 v[8:11], v2 offset:1392
	s_wait_loadcnt_dscnt 0x701
	v_mul_f64_e32 v[160:161], v[4:5], v[142:143]
	v_mul_f64_e32 v[142:143], v[6:7], v[142:143]
	v_add_f64_e32 v[18:19], v[150:151], v[148:149]
	v_add_f64_e32 v[136:137], v[136:137], v[170:171]
	s_wait_loadcnt_dscnt 0x600
	v_mul_f64_e32 v[148:149], v[8:9], v[14:15]
	v_mul_f64_e32 v[150:151], v[10:11], v[14:15]
	v_fmac_f64_e32 v[160:161], v[6:7], v[140:141]
	v_fma_f64 v[140:141], v[4:5], v[140:141], -v[142:143]
	v_add_f64_e32 v[18:19], v[18:19], v[16:17]
	v_add_f64_e32 v[136:137], v[136:137], v[138:139]
	ds_load_b128 v[4:7], v2 offset:1408
	ds_load_b128 v[14:17], v2 offset:1424
	v_fmac_f64_e32 v[148:149], v[10:11], v[12:13]
	v_fma_f64 v[8:9], v[8:9], v[12:13], -v[150:151]
	s_wait_loadcnt_dscnt 0x501
	v_mul_f64_e32 v[138:139], v[4:5], v[30:31]
	v_mul_f64_e32 v[30:31], v[6:7], v[30:31]
	v_add_f64_e32 v[10:11], v[18:19], v[140:141]
	v_add_f64_e32 v[12:13], v[136:137], v[160:161]
	s_wait_loadcnt_dscnt 0x400
	v_mul_f64_e32 v[18:19], v[14:15], v[22:23]
	v_mul_f64_e32 v[22:23], v[16:17], v[22:23]
	v_fmac_f64_e32 v[138:139], v[6:7], v[28:29]
	v_fma_f64 v[28:29], v[4:5], v[28:29], -v[30:31]
	v_add_f64_e32 v[30:31], v[10:11], v[8:9]
	v_add_f64_e32 v[12:13], v[12:13], v[148:149]
	ds_load_b128 v[4:7], v2 offset:1440
	ds_load_b128 v[8:11], v2 offset:1456
	v_fmac_f64_e32 v[18:19], v[16:17], v[20:21]
	v_fma_f64 v[14:15], v[14:15], v[20:21], -v[22:23]
	s_wait_loadcnt_dscnt 0x301
	v_mul_f64_e32 v[136:137], v[4:5], v[134:135]
	v_mul_f64_e32 v[134:135], v[6:7], v[134:135]
	s_wait_loadcnt_dscnt 0x200
	v_mul_f64_e32 v[20:21], v[8:9], v[26:27]
	v_mul_f64_e32 v[22:23], v[10:11], v[26:27]
	v_add_f64_e32 v[16:17], v[30:31], v[28:29]
	v_add_f64_e32 v[12:13], v[12:13], v[138:139]
	v_fmac_f64_e32 v[136:137], v[6:7], v[132:133]
	v_fma_f64 v[26:27], v[4:5], v[132:133], -v[134:135]
	v_fmac_f64_e32 v[20:21], v[10:11], v[24:25]
	v_fma_f64 v[8:9], v[8:9], v[24:25], -v[22:23]
	v_add_f64_e32 v[16:17], v[16:17], v[14:15]
	v_add_f64_e32 v[18:19], v[12:13], v[18:19]
	ds_load_b128 v[4:7], v2 offset:1472
	ds_load_b128 v[12:15], v2 offset:1488
	s_wait_loadcnt_dscnt 0x101
	v_mul_f64_e32 v[2:3], v[4:5], v[146:147]
	v_mul_f64_e32 v[28:29], v[6:7], v[146:147]
	s_wait_loadcnt_dscnt 0x0
	v_mul_f64_e32 v[22:23], v[14:15], v[130:131]
	v_add_f64_e32 v[10:11], v[16:17], v[26:27]
	v_add_f64_e32 v[16:17], v[18:19], v[136:137]
	v_mul_f64_e32 v[18:19], v[12:13], v[130:131]
	v_fmac_f64_e32 v[2:3], v[6:7], v[144:145]
	v_fma_f64 v[4:5], v[4:5], v[144:145], -v[28:29]
	v_add_f64_e32 v[6:7], v[10:11], v[8:9]
	v_add_f64_e32 v[8:9], v[16:17], v[20:21]
	v_fmac_f64_e32 v[18:19], v[14:15], v[128:129]
	v_fma_f64 v[10:11], v[12:13], v[128:129], -v[22:23]
	s_delay_alu instid0(VALU_DEP_4) | instskip(NEXT) | instid1(VALU_DEP_4)
	v_add_f64_e32 v[4:5], v[6:7], v[4:5]
	v_add_f64_e32 v[2:3], v[8:9], v[2:3]
	s_delay_alu instid0(VALU_DEP_2) | instskip(NEXT) | instid1(VALU_DEP_2)
	v_add_f64_e32 v[4:5], v[4:5], v[10:11]
	v_add_f64_e32 v[6:7], v[2:3], v[18:19]
	s_delay_alu instid0(VALU_DEP_2) | instskip(NEXT) | instid1(VALU_DEP_2)
	v_add_f64_e64 v[2:3], v[152:153], -v[4:5]
	v_add_f64_e64 v[4:5], v[154:155], -v[6:7]
	scratch_store_b128 off, v[2:5], off offset:352
	s_wait_xcnt 0x0
	v_cmpx_lt_u32_e32 21, v1
	s_cbranch_execz .LBB110_253
; %bb.252:
	scratch_load_b128 v[2:5], off, s42
	v_mov_b32_e32 v6, 0
	s_delay_alu instid0(VALU_DEP_1)
	v_dual_mov_b32 v7, v6 :: v_dual_mov_b32 v8, v6
	v_mov_b32_e32 v9, v6
	scratch_store_b128 off, v[6:9], off offset:336
	s_wait_loadcnt 0x0
	ds_store_b128 v126, v[2:5]
.LBB110_253:
	s_wait_xcnt 0x0
	s_or_b32 exec_lo, exec_lo, s2
	s_wait_storecnt_dscnt 0x0
	s_barrier_signal -1
	s_barrier_wait -1
	s_clause 0x9
	scratch_load_b128 v[4:7], off, off offset:352
	scratch_load_b128 v[8:11], off, off offset:368
	;; [unrolled: 1-line block ×10, first 2 shown]
	v_mov_b32_e32 v2, 0
	s_mov_b32 s2, exec_lo
	ds_load_b128 v[140:143], v2 offset:1104
	s_clause 0x2
	scratch_load_b128 v[144:147], off, off offset:512
	scratch_load_b128 v[148:151], off, off offset:336
	;; [unrolled: 1-line block ×3, first 2 shown]
	s_wait_loadcnt_dscnt 0xc00
	v_mul_f64_e32 v[160:161], v[142:143], v[6:7]
	v_mul_f64_e32 v[164:165], v[140:141], v[6:7]
	ds_load_b128 v[152:155], v2 offset:1120
	v_fma_f64 v[168:169], v[140:141], v[4:5], -v[160:161]
	v_fmac_f64_e32 v[164:165], v[142:143], v[4:5]
	ds_load_b128 v[4:7], v2 offset:1136
	s_wait_loadcnt_dscnt 0xb01
	v_mul_f64_e32 v[166:167], v[152:153], v[10:11]
	v_mul_f64_e32 v[10:11], v[154:155], v[10:11]
	scratch_load_b128 v[140:143], off, off offset:544
	ds_load_b128 v[160:163], v2 offset:1152
	s_wait_loadcnt_dscnt 0xb01
	v_mul_f64_e32 v[170:171], v[4:5], v[14:15]
	v_mul_f64_e32 v[14:15], v[6:7], v[14:15]
	v_add_f64_e32 v[164:165], 0, v[164:165]
	v_fmac_f64_e32 v[166:167], v[154:155], v[8:9]
	v_fma_f64 v[152:153], v[152:153], v[8:9], -v[10:11]
	v_add_f64_e32 v[154:155], 0, v[168:169]
	scratch_load_b128 v[8:11], off, off offset:560
	v_fmac_f64_e32 v[170:171], v[6:7], v[12:13]
	v_fma_f64 v[172:173], v[4:5], v[12:13], -v[14:15]
	ds_load_b128 v[4:7], v2 offset:1168
	s_wait_loadcnt_dscnt 0xb01
	v_mul_f64_e32 v[168:169], v[160:161], v[18:19]
	v_mul_f64_e32 v[18:19], v[162:163], v[18:19]
	scratch_load_b128 v[12:15], off, off offset:576
	v_add_f64_e32 v[164:165], v[164:165], v[166:167]
	v_add_f64_e32 v[174:175], v[154:155], v[152:153]
	ds_load_b128 v[152:155], v2 offset:1184
	s_wait_loadcnt_dscnt 0xb01
	v_mul_f64_e32 v[166:167], v[4:5], v[22:23]
	v_mul_f64_e32 v[22:23], v[6:7], v[22:23]
	v_fmac_f64_e32 v[168:169], v[162:163], v[16:17]
	v_fma_f64 v[160:161], v[160:161], v[16:17], -v[18:19]
	scratch_load_b128 v[16:19], off, off offset:592
	v_add_f64_e32 v[164:165], v[164:165], v[170:171]
	v_add_f64_e32 v[162:163], v[174:175], v[172:173]
	v_fmac_f64_e32 v[166:167], v[6:7], v[20:21]
	v_fma_f64 v[172:173], v[4:5], v[20:21], -v[22:23]
	ds_load_b128 v[4:7], v2 offset:1200
	s_wait_loadcnt_dscnt 0xb01
	v_mul_f64_e32 v[170:171], v[152:153], v[26:27]
	v_mul_f64_e32 v[26:27], v[154:155], v[26:27]
	scratch_load_b128 v[20:23], off, off offset:608
	v_add_f64_e32 v[164:165], v[164:165], v[168:169]
	s_wait_loadcnt_dscnt 0xb00
	v_mul_f64_e32 v[168:169], v[4:5], v[30:31]
	v_add_f64_e32 v[174:175], v[162:163], v[160:161]
	v_mul_f64_e32 v[30:31], v[6:7], v[30:31]
	ds_load_b128 v[160:163], v2 offset:1216
	v_fmac_f64_e32 v[170:171], v[154:155], v[24:25]
	v_fma_f64 v[152:153], v[152:153], v[24:25], -v[26:27]
	scratch_load_b128 v[24:27], off, off offset:624
	v_add_f64_e32 v[164:165], v[164:165], v[166:167]
	v_fmac_f64_e32 v[168:169], v[6:7], v[28:29]
	v_add_f64_e32 v[154:155], v[174:175], v[172:173]
	v_fma_f64 v[172:173], v[4:5], v[28:29], -v[30:31]
	ds_load_b128 v[4:7], v2 offset:1232
	s_wait_loadcnt_dscnt 0xb01
	v_mul_f64_e32 v[166:167], v[160:161], v[130:131]
	v_mul_f64_e32 v[130:131], v[162:163], v[130:131]
	scratch_load_b128 v[28:31], off, off offset:640
	v_add_f64_e32 v[164:165], v[164:165], v[170:171]
	s_wait_loadcnt_dscnt 0xb00
	v_mul_f64_e32 v[170:171], v[4:5], v[134:135]
	v_add_f64_e32 v[174:175], v[154:155], v[152:153]
	v_mul_f64_e32 v[134:135], v[6:7], v[134:135]
	ds_load_b128 v[152:155], v2 offset:1248
	v_fmac_f64_e32 v[166:167], v[162:163], v[128:129]
	v_fma_f64 v[160:161], v[160:161], v[128:129], -v[130:131]
	scratch_load_b128 v[128:131], off, off offset:656
	v_add_f64_e32 v[164:165], v[164:165], v[168:169]
	v_fmac_f64_e32 v[170:171], v[6:7], v[132:133]
	v_add_f64_e32 v[162:163], v[174:175], v[172:173]
	;; [unrolled: 18-line block ×3, first 2 shown]
	v_fma_f64 v[172:173], v[4:5], v[144:145], -v[146:147]
	ds_load_b128 v[4:7], v2 offset:1296
	s_wait_loadcnt_dscnt 0xa01
	v_mul_f64_e32 v[170:171], v[160:161], v[158:159]
	v_mul_f64_e32 v[158:159], v[162:163], v[158:159]
	scratch_load_b128 v[144:147], off, off offset:704
	v_add_f64_e32 v[164:165], v[164:165], v[168:169]
	v_add_f64_e32 v[174:175], v[154:155], v[152:153]
	s_wait_loadcnt_dscnt 0xa00
	v_mul_f64_e32 v[168:169], v[4:5], v[142:143]
	v_mul_f64_e32 v[142:143], v[6:7], v[142:143]
	v_fmac_f64_e32 v[170:171], v[162:163], v[156:157]
	v_fma_f64 v[160:161], v[160:161], v[156:157], -v[158:159]
	ds_load_b128 v[152:155], v2 offset:1312
	scratch_load_b128 v[156:159], off, off offset:720
	v_add_f64_e32 v[164:165], v[164:165], v[166:167]
	v_add_f64_e32 v[162:163], v[174:175], v[172:173]
	v_fmac_f64_e32 v[168:169], v[6:7], v[140:141]
	v_fma_f64 v[172:173], v[4:5], v[140:141], -v[142:143]
	ds_load_b128 v[4:7], v2 offset:1328
	s_wait_loadcnt_dscnt 0xa01
	v_mul_f64_e32 v[166:167], v[152:153], v[10:11]
	v_mul_f64_e32 v[10:11], v[154:155], v[10:11]
	scratch_load_b128 v[140:143], off, off offset:736
	v_add_f64_e32 v[164:165], v[164:165], v[170:171]
	s_wait_loadcnt_dscnt 0xa00
	v_mul_f64_e32 v[170:171], v[4:5], v[14:15]
	v_add_f64_e32 v[174:175], v[162:163], v[160:161]
	v_mul_f64_e32 v[14:15], v[6:7], v[14:15]
	ds_load_b128 v[160:163], v2 offset:1344
	v_fmac_f64_e32 v[166:167], v[154:155], v[8:9]
	v_fma_f64 v[8:9], v[152:153], v[8:9], -v[10:11]
	s_wait_loadcnt_dscnt 0x900
	v_mul_f64_e32 v[154:155], v[160:161], v[18:19]
	v_mul_f64_e32 v[18:19], v[162:163], v[18:19]
	v_add_f64_e32 v[152:153], v[164:165], v[168:169]
	v_fmac_f64_e32 v[170:171], v[6:7], v[12:13]
	v_add_f64_e32 v[10:11], v[174:175], v[172:173]
	v_fma_f64 v[12:13], v[4:5], v[12:13], -v[14:15]
	v_fmac_f64_e32 v[154:155], v[162:163], v[16:17]
	v_fma_f64 v[16:17], v[160:161], v[16:17], -v[18:19]
	v_add_f64_e32 v[152:153], v[152:153], v[166:167]
	v_add_f64_e32 v[14:15], v[10:11], v[8:9]
	ds_load_b128 v[4:7], v2 offset:1360
	ds_load_b128 v[8:11], v2 offset:1376
	s_wait_loadcnt_dscnt 0x801
	v_mul_f64_e32 v[164:165], v[4:5], v[22:23]
	v_mul_f64_e32 v[22:23], v[6:7], v[22:23]
	s_wait_loadcnt_dscnt 0x700
	v_mul_f64_e32 v[18:19], v[8:9], v[26:27]
	v_mul_f64_e32 v[26:27], v[10:11], v[26:27]
	v_add_f64_e32 v[12:13], v[14:15], v[12:13]
	v_add_f64_e32 v[14:15], v[152:153], v[170:171]
	v_fmac_f64_e32 v[164:165], v[6:7], v[20:21]
	v_fma_f64 v[20:21], v[4:5], v[20:21], -v[22:23]
	v_fmac_f64_e32 v[18:19], v[10:11], v[24:25]
	v_fma_f64 v[8:9], v[8:9], v[24:25], -v[26:27]
	v_add_f64_e32 v[16:17], v[12:13], v[16:17]
	v_add_f64_e32 v[22:23], v[14:15], v[154:155]
	ds_load_b128 v[4:7], v2 offset:1392
	ds_load_b128 v[12:15], v2 offset:1408
	s_wait_loadcnt_dscnt 0x601
	v_mul_f64_e32 v[152:153], v[4:5], v[30:31]
	v_mul_f64_e32 v[30:31], v[6:7], v[30:31]
	v_add_f64_e32 v[10:11], v[16:17], v[20:21]
	v_add_f64_e32 v[16:17], v[22:23], v[164:165]
	s_wait_loadcnt_dscnt 0x500
	v_mul_f64_e32 v[20:21], v[12:13], v[130:131]
	v_mul_f64_e32 v[22:23], v[14:15], v[130:131]
	v_fmac_f64_e32 v[152:153], v[6:7], v[28:29]
	v_fma_f64 v[24:25], v[4:5], v[28:29], -v[30:31]
	v_add_f64_e32 v[26:27], v[10:11], v[8:9]
	v_add_f64_e32 v[16:17], v[16:17], v[18:19]
	ds_load_b128 v[4:7], v2 offset:1424
	ds_load_b128 v[8:11], v2 offset:1440
	v_fmac_f64_e32 v[20:21], v[14:15], v[128:129]
	v_fma_f64 v[12:13], v[12:13], v[128:129], -v[22:23]
	s_wait_loadcnt_dscnt 0x401
	v_mul_f64_e32 v[18:19], v[4:5], v[134:135]
	v_mul_f64_e32 v[28:29], v[6:7], v[134:135]
	s_wait_loadcnt_dscnt 0x300
	v_mul_f64_e32 v[22:23], v[8:9], v[138:139]
	v_add_f64_e32 v[14:15], v[26:27], v[24:25]
	v_add_f64_e32 v[16:17], v[16:17], v[152:153]
	v_mul_f64_e32 v[24:25], v[10:11], v[138:139]
	v_fmac_f64_e32 v[18:19], v[6:7], v[132:133]
	v_fma_f64 v[26:27], v[4:5], v[132:133], -v[28:29]
	v_fmac_f64_e32 v[22:23], v[10:11], v[136:137]
	v_add_f64_e32 v[28:29], v[14:15], v[12:13]
	v_add_f64_e32 v[16:17], v[16:17], v[20:21]
	ds_load_b128 v[4:7], v2 offset:1456
	ds_load_b128 v[12:15], v2 offset:1472
	v_fma_f64 v[8:9], v[8:9], v[136:137], -v[24:25]
	s_wait_loadcnt_dscnt 0x201
	v_mul_f64_e32 v[20:21], v[4:5], v[146:147]
	v_mul_f64_e32 v[30:31], v[6:7], v[146:147]
	s_wait_loadcnt_dscnt 0x100
	v_mul_f64_e32 v[24:25], v[14:15], v[158:159]
	v_add_f64_e32 v[10:11], v[28:29], v[26:27]
	v_add_f64_e32 v[16:17], v[16:17], v[18:19]
	v_mul_f64_e32 v[18:19], v[12:13], v[158:159]
	v_fmac_f64_e32 v[20:21], v[6:7], v[144:145]
	v_fma_f64 v[26:27], v[4:5], v[144:145], -v[30:31]
	ds_load_b128 v[4:7], v2 offset:1488
	v_fma_f64 v[12:13], v[12:13], v[156:157], -v[24:25]
	v_add_f64_e32 v[8:9], v[10:11], v[8:9]
	v_add_f64_e32 v[10:11], v[16:17], v[22:23]
	v_fmac_f64_e32 v[18:19], v[14:15], v[156:157]
	s_wait_loadcnt_dscnt 0x0
	v_mul_f64_e32 v[16:17], v[4:5], v[142:143]
	v_mul_f64_e32 v[22:23], v[6:7], v[142:143]
	v_add_f64_e32 v[8:9], v[8:9], v[26:27]
	v_add_f64_e32 v[10:11], v[10:11], v[20:21]
	s_delay_alu instid0(VALU_DEP_4) | instskip(NEXT) | instid1(VALU_DEP_4)
	v_fmac_f64_e32 v[16:17], v[6:7], v[140:141]
	v_fma_f64 v[4:5], v[4:5], v[140:141], -v[22:23]
	s_delay_alu instid0(VALU_DEP_4) | instskip(NEXT) | instid1(VALU_DEP_4)
	v_add_f64_e32 v[6:7], v[8:9], v[12:13]
	v_add_f64_e32 v[8:9], v[10:11], v[18:19]
	s_delay_alu instid0(VALU_DEP_2) | instskip(NEXT) | instid1(VALU_DEP_2)
	v_add_f64_e32 v[4:5], v[6:7], v[4:5]
	v_add_f64_e32 v[6:7], v[8:9], v[16:17]
	s_delay_alu instid0(VALU_DEP_2) | instskip(NEXT) | instid1(VALU_DEP_2)
	v_add_f64_e64 v[4:5], v[148:149], -v[4:5]
	v_add_f64_e64 v[6:7], v[150:151], -v[6:7]
	scratch_store_b128 off, v[4:7], off offset:336
	s_wait_xcnt 0x0
	v_cmpx_lt_u32_e32 20, v1
	s_cbranch_execz .LBB110_255
; %bb.254:
	scratch_load_b128 v[6:9], off, s43
	v_dual_mov_b32 v3, v2 :: v_dual_mov_b32 v4, v2
	v_mov_b32_e32 v5, v2
	scratch_store_b128 off, v[2:5], off offset:320
	s_wait_loadcnt 0x0
	ds_store_b128 v126, v[6:9]
.LBB110_255:
	s_wait_xcnt 0x0
	s_or_b32 exec_lo, exec_lo, s2
	s_wait_storecnt_dscnt 0x0
	s_barrier_signal -1
	s_barrier_wait -1
	s_clause 0x9
	scratch_load_b128 v[4:7], off, off offset:336
	scratch_load_b128 v[8:11], off, off offset:352
	;; [unrolled: 1-line block ×10, first 2 shown]
	ds_load_b128 v[140:143], v2 offset:1088
	ds_load_b128 v[148:151], v2 offset:1104
	s_clause 0x2
	scratch_load_b128 v[144:147], off, off offset:496
	scratch_load_b128 v[152:155], off, off offset:320
	;; [unrolled: 1-line block ×3, first 2 shown]
	s_mov_b32 s2, exec_lo
	s_wait_loadcnt_dscnt 0xc01
	v_mul_f64_e32 v[160:161], v[142:143], v[6:7]
	v_mul_f64_e32 v[164:165], v[140:141], v[6:7]
	s_wait_loadcnt_dscnt 0xb00
	v_mul_f64_e32 v[166:167], v[148:149], v[10:11]
	v_mul_f64_e32 v[10:11], v[150:151], v[10:11]
	s_delay_alu instid0(VALU_DEP_4) | instskip(NEXT) | instid1(VALU_DEP_4)
	v_fma_f64 v[168:169], v[140:141], v[4:5], -v[160:161]
	v_fmac_f64_e32 v[164:165], v[142:143], v[4:5]
	ds_load_b128 v[4:7], v2 offset:1120
	ds_load_b128 v[140:143], v2 offset:1136
	scratch_load_b128 v[160:163], off, off offset:528
	v_fmac_f64_e32 v[166:167], v[150:151], v[8:9]
	v_fma_f64 v[148:149], v[148:149], v[8:9], -v[10:11]
	scratch_load_b128 v[8:11], off, off offset:544
	s_wait_loadcnt_dscnt 0xc01
	v_mul_f64_e32 v[170:171], v[4:5], v[14:15]
	v_mul_f64_e32 v[14:15], v[6:7], v[14:15]
	v_add_f64_e32 v[150:151], 0, v[168:169]
	v_add_f64_e32 v[164:165], 0, v[164:165]
	s_wait_loadcnt_dscnt 0xb00
	v_mul_f64_e32 v[168:169], v[140:141], v[18:19]
	v_mul_f64_e32 v[18:19], v[142:143], v[18:19]
	v_fmac_f64_e32 v[170:171], v[6:7], v[12:13]
	v_fma_f64 v[172:173], v[4:5], v[12:13], -v[14:15]
	ds_load_b128 v[4:7], v2 offset:1152
	ds_load_b128 v[12:15], v2 offset:1168
	v_add_f64_e32 v[174:175], v[150:151], v[148:149]
	v_add_f64_e32 v[164:165], v[164:165], v[166:167]
	scratch_load_b128 v[148:151], off, off offset:560
	v_fmac_f64_e32 v[168:169], v[142:143], v[16:17]
	v_fma_f64 v[140:141], v[140:141], v[16:17], -v[18:19]
	scratch_load_b128 v[16:19], off, off offset:576
	s_wait_loadcnt_dscnt 0xc01
	v_mul_f64_e32 v[166:167], v[4:5], v[22:23]
	v_mul_f64_e32 v[22:23], v[6:7], v[22:23]
	v_add_f64_e32 v[142:143], v[174:175], v[172:173]
	v_add_f64_e32 v[164:165], v[164:165], v[170:171]
	s_wait_loadcnt_dscnt 0xb00
	v_mul_f64_e32 v[170:171], v[12:13], v[26:27]
	v_mul_f64_e32 v[26:27], v[14:15], v[26:27]
	v_fmac_f64_e32 v[166:167], v[6:7], v[20:21]
	v_fma_f64 v[172:173], v[4:5], v[20:21], -v[22:23]
	ds_load_b128 v[4:7], v2 offset:1184
	ds_load_b128 v[20:23], v2 offset:1200
	v_add_f64_e32 v[174:175], v[142:143], v[140:141]
	v_add_f64_e32 v[164:165], v[164:165], v[168:169]
	scratch_load_b128 v[140:143], off, off offset:592
	s_wait_loadcnt_dscnt 0xb01
	v_mul_f64_e32 v[168:169], v[4:5], v[30:31]
	v_mul_f64_e32 v[30:31], v[6:7], v[30:31]
	v_fmac_f64_e32 v[170:171], v[14:15], v[24:25]
	v_fma_f64 v[24:25], v[12:13], v[24:25], -v[26:27]
	scratch_load_b128 v[12:15], off, off offset:608
	v_add_f64_e32 v[26:27], v[174:175], v[172:173]
	v_add_f64_e32 v[164:165], v[164:165], v[166:167]
	s_wait_loadcnt_dscnt 0xb00
	v_mul_f64_e32 v[166:167], v[20:21], v[130:131]
	v_mul_f64_e32 v[130:131], v[22:23], v[130:131]
	v_fmac_f64_e32 v[168:169], v[6:7], v[28:29]
	v_fma_f64 v[172:173], v[4:5], v[28:29], -v[30:31]
	v_add_f64_e32 v[174:175], v[26:27], v[24:25]
	v_add_f64_e32 v[164:165], v[164:165], v[170:171]
	ds_load_b128 v[4:7], v2 offset:1216
	ds_load_b128 v[24:27], v2 offset:1232
	scratch_load_b128 v[28:31], off, off offset:624
	v_fmac_f64_e32 v[166:167], v[22:23], v[128:129]
	v_fma_f64 v[128:129], v[20:21], v[128:129], -v[130:131]
	scratch_load_b128 v[20:23], off, off offset:640
	s_wait_loadcnt_dscnt 0xc01
	v_mul_f64_e32 v[170:171], v[4:5], v[134:135]
	v_mul_f64_e32 v[134:135], v[6:7], v[134:135]
	v_add_f64_e32 v[130:131], v[174:175], v[172:173]
	v_add_f64_e32 v[164:165], v[164:165], v[168:169]
	s_wait_loadcnt_dscnt 0xb00
	v_mul_f64_e32 v[168:169], v[24:25], v[138:139]
	v_mul_f64_e32 v[138:139], v[26:27], v[138:139]
	v_fmac_f64_e32 v[170:171], v[6:7], v[132:133]
	v_fma_f64 v[172:173], v[4:5], v[132:133], -v[134:135]
	v_add_f64_e32 v[174:175], v[130:131], v[128:129]
	v_add_f64_e32 v[164:165], v[164:165], v[166:167]
	ds_load_b128 v[4:7], v2 offset:1248
	ds_load_b128 v[128:131], v2 offset:1264
	scratch_load_b128 v[132:135], off, off offset:656
	v_fmac_f64_e32 v[168:169], v[26:27], v[136:137]
	v_fma_f64 v[136:137], v[24:25], v[136:137], -v[138:139]
	scratch_load_b128 v[24:27], off, off offset:672
	s_wait_loadcnt_dscnt 0xc01
	v_mul_f64_e32 v[166:167], v[4:5], v[146:147]
	v_mul_f64_e32 v[146:147], v[6:7], v[146:147]
	;; [unrolled: 18-line block ×4, first 2 shown]
	v_add_f64_e32 v[138:139], v[174:175], v[172:173]
	v_add_f64_e32 v[164:165], v[164:165], v[168:169]
	s_wait_loadcnt_dscnt 0xa00
	v_mul_f64_e32 v[168:169], v[156:157], v[18:19]
	v_mul_f64_e32 v[18:19], v[158:159], v[18:19]
	v_fmac_f64_e32 v[170:171], v[6:7], v[148:149]
	v_fma_f64 v[148:149], v[4:5], v[148:149], -v[150:151]
	v_add_f64_e32 v[150:151], v[138:139], v[136:137]
	v_add_f64_e32 v[164:165], v[164:165], v[166:167]
	ds_load_b128 v[4:7], v2 offset:1344
	ds_load_b128 v[136:139], v2 offset:1360
	v_fmac_f64_e32 v[168:169], v[158:159], v[16:17]
	v_fma_f64 v[16:17], v[156:157], v[16:17], -v[18:19]
	s_wait_loadcnt_dscnt 0x901
	v_mul_f64_e32 v[166:167], v[4:5], v[142:143]
	v_mul_f64_e32 v[142:143], v[6:7], v[142:143]
	s_wait_loadcnt_dscnt 0x800
	v_mul_f64_e32 v[156:157], v[138:139], v[14:15]
	v_add_f64_e32 v[18:19], v[150:151], v[148:149]
	v_add_f64_e32 v[148:149], v[164:165], v[170:171]
	v_mul_f64_e32 v[150:151], v[136:137], v[14:15]
	v_fmac_f64_e32 v[166:167], v[6:7], v[140:141]
	v_fma_f64 v[140:141], v[4:5], v[140:141], -v[142:143]
	v_add_f64_e32 v[18:19], v[18:19], v[16:17]
	v_add_f64_e32 v[142:143], v[148:149], v[168:169]
	ds_load_b128 v[4:7], v2 offset:1376
	ds_load_b128 v[14:17], v2 offset:1392
	v_fmac_f64_e32 v[150:151], v[138:139], v[12:13]
	v_fma_f64 v[12:13], v[136:137], v[12:13], -v[156:157]
	s_wait_loadcnt_dscnt 0x701
	v_mul_f64_e32 v[148:149], v[4:5], v[30:31]
	v_mul_f64_e32 v[30:31], v[6:7], v[30:31]
	s_wait_loadcnt_dscnt 0x600
	v_mul_f64_e32 v[138:139], v[14:15], v[22:23]
	v_mul_f64_e32 v[22:23], v[16:17], v[22:23]
	v_add_f64_e32 v[18:19], v[18:19], v[140:141]
	v_add_f64_e32 v[136:137], v[142:143], v[166:167]
	v_fmac_f64_e32 v[148:149], v[6:7], v[28:29]
	v_fma_f64 v[140:141], v[4:5], v[28:29], -v[30:31]
	ds_load_b128 v[4:7], v2 offset:1408
	ds_load_b128 v[28:31], v2 offset:1424
	v_fmac_f64_e32 v[138:139], v[16:17], v[20:21]
	v_fma_f64 v[14:15], v[14:15], v[20:21], -v[22:23]
	v_add_f64_e32 v[12:13], v[18:19], v[12:13]
	v_add_f64_e32 v[18:19], v[136:137], v[150:151]
	s_wait_loadcnt_dscnt 0x501
	v_mul_f64_e32 v[136:137], v[4:5], v[134:135]
	v_mul_f64_e32 v[134:135], v[6:7], v[134:135]
	s_wait_loadcnt_dscnt 0x400
	v_mul_f64_e32 v[20:21], v[30:31], v[26:27]
	v_add_f64_e32 v[12:13], v[12:13], v[140:141]
	v_add_f64_e32 v[16:17], v[18:19], v[148:149]
	v_mul_f64_e32 v[18:19], v[28:29], v[26:27]
	v_fmac_f64_e32 v[136:137], v[6:7], v[132:133]
	v_fma_f64 v[22:23], v[4:5], v[132:133], -v[134:135]
	v_fma_f64 v[20:21], v[28:29], v[24:25], -v[20:21]
	v_add_f64_e32 v[26:27], v[12:13], v[14:15]
	v_add_f64_e32 v[16:17], v[16:17], v[138:139]
	ds_load_b128 v[4:7], v2 offset:1440
	ds_load_b128 v[12:15], v2 offset:1456
	v_fmac_f64_e32 v[18:19], v[30:31], v[24:25]
	s_wait_loadcnt_dscnt 0x301
	v_mul_f64_e32 v[132:133], v[4:5], v[146:147]
	v_mul_f64_e32 v[134:135], v[6:7], v[146:147]
	s_wait_loadcnt_dscnt 0x200
	v_mul_f64_e32 v[24:25], v[12:13], v[130:131]
	v_add_f64_e32 v[22:23], v[26:27], v[22:23]
	v_add_f64_e32 v[16:17], v[16:17], v[136:137]
	v_mul_f64_e32 v[26:27], v[14:15], v[130:131]
	v_fmac_f64_e32 v[132:133], v[6:7], v[144:145]
	v_fma_f64 v[28:29], v[4:5], v[144:145], -v[134:135]
	v_fmac_f64_e32 v[24:25], v[14:15], v[128:129]
	v_add_f64_e32 v[20:21], v[22:23], v[20:21]
	v_add_f64_e32 v[22:23], v[16:17], v[18:19]
	ds_load_b128 v[4:7], v2 offset:1472
	ds_load_b128 v[16:19], v2 offset:1488
	v_fma_f64 v[12:13], v[12:13], v[128:129], -v[26:27]
	s_wait_loadcnt_dscnt 0x101
	v_mul_f64_e32 v[2:3], v[4:5], v[162:163]
	v_mul_f64_e32 v[30:31], v[6:7], v[162:163]
	v_add_f64_e32 v[14:15], v[20:21], v[28:29]
	v_add_f64_e32 v[20:21], v[22:23], v[132:133]
	s_wait_loadcnt_dscnt 0x0
	v_mul_f64_e32 v[22:23], v[16:17], v[10:11]
	v_mul_f64_e32 v[10:11], v[18:19], v[10:11]
	v_fmac_f64_e32 v[2:3], v[6:7], v[160:161]
	v_fma_f64 v[4:5], v[4:5], v[160:161], -v[30:31]
	v_add_f64_e32 v[6:7], v[14:15], v[12:13]
	v_add_f64_e32 v[12:13], v[20:21], v[24:25]
	v_fmac_f64_e32 v[22:23], v[18:19], v[8:9]
	v_fma_f64 v[8:9], v[16:17], v[8:9], -v[10:11]
	s_delay_alu instid0(VALU_DEP_4) | instskip(NEXT) | instid1(VALU_DEP_4)
	v_add_f64_e32 v[4:5], v[6:7], v[4:5]
	v_add_f64_e32 v[2:3], v[12:13], v[2:3]
	s_delay_alu instid0(VALU_DEP_2) | instskip(NEXT) | instid1(VALU_DEP_2)
	v_add_f64_e32 v[4:5], v[4:5], v[8:9]
	v_add_f64_e32 v[6:7], v[2:3], v[22:23]
	s_delay_alu instid0(VALU_DEP_2) | instskip(NEXT) | instid1(VALU_DEP_2)
	v_add_f64_e64 v[2:3], v[152:153], -v[4:5]
	v_add_f64_e64 v[4:5], v[154:155], -v[6:7]
	scratch_store_b128 off, v[2:5], off offset:320
	s_wait_xcnt 0x0
	v_cmpx_lt_u32_e32 19, v1
	s_cbranch_execz .LBB110_257
; %bb.256:
	scratch_load_b128 v[2:5], off, s44
	v_mov_b32_e32 v6, 0
	s_delay_alu instid0(VALU_DEP_1)
	v_dual_mov_b32 v7, v6 :: v_dual_mov_b32 v8, v6
	v_mov_b32_e32 v9, v6
	scratch_store_b128 off, v[6:9], off offset:304
	s_wait_loadcnt 0x0
	ds_store_b128 v126, v[2:5]
.LBB110_257:
	s_wait_xcnt 0x0
	s_or_b32 exec_lo, exec_lo, s2
	s_wait_storecnt_dscnt 0x0
	s_barrier_signal -1
	s_barrier_wait -1
	s_clause 0x9
	scratch_load_b128 v[4:7], off, off offset:320
	scratch_load_b128 v[8:11], off, off offset:336
	scratch_load_b128 v[12:15], off, off offset:352
	scratch_load_b128 v[16:19], off, off offset:368
	scratch_load_b128 v[20:23], off, off offset:384
	scratch_load_b128 v[24:27], off, off offset:400
	scratch_load_b128 v[28:31], off, off offset:416
	scratch_load_b128 v[128:131], off, off offset:432
	scratch_load_b128 v[132:135], off, off offset:448
	scratch_load_b128 v[136:139], off, off offset:464
	v_mov_b32_e32 v2, 0
	s_mov_b32 s2, exec_lo
	ds_load_b128 v[140:143], v2 offset:1072
	s_clause 0x2
	scratch_load_b128 v[144:147], off, off offset:480
	scratch_load_b128 v[148:151], off, off offset:304
	;; [unrolled: 1-line block ×3, first 2 shown]
	s_wait_loadcnt_dscnt 0xc00
	v_mul_f64_e32 v[160:161], v[142:143], v[6:7]
	v_mul_f64_e32 v[164:165], v[140:141], v[6:7]
	ds_load_b128 v[152:155], v2 offset:1088
	v_fma_f64 v[168:169], v[140:141], v[4:5], -v[160:161]
	v_fmac_f64_e32 v[164:165], v[142:143], v[4:5]
	ds_load_b128 v[4:7], v2 offset:1104
	s_wait_loadcnt_dscnt 0xb01
	v_mul_f64_e32 v[166:167], v[152:153], v[10:11]
	v_mul_f64_e32 v[10:11], v[154:155], v[10:11]
	scratch_load_b128 v[140:143], off, off offset:512
	ds_load_b128 v[160:163], v2 offset:1120
	s_wait_loadcnt_dscnt 0xb01
	v_mul_f64_e32 v[170:171], v[4:5], v[14:15]
	v_mul_f64_e32 v[14:15], v[6:7], v[14:15]
	v_add_f64_e32 v[164:165], 0, v[164:165]
	v_fmac_f64_e32 v[166:167], v[154:155], v[8:9]
	v_fma_f64 v[152:153], v[152:153], v[8:9], -v[10:11]
	v_add_f64_e32 v[154:155], 0, v[168:169]
	scratch_load_b128 v[8:11], off, off offset:528
	v_fmac_f64_e32 v[170:171], v[6:7], v[12:13]
	v_fma_f64 v[172:173], v[4:5], v[12:13], -v[14:15]
	ds_load_b128 v[4:7], v2 offset:1136
	s_wait_loadcnt_dscnt 0xb01
	v_mul_f64_e32 v[168:169], v[160:161], v[18:19]
	v_mul_f64_e32 v[18:19], v[162:163], v[18:19]
	scratch_load_b128 v[12:15], off, off offset:544
	v_add_f64_e32 v[164:165], v[164:165], v[166:167]
	v_add_f64_e32 v[174:175], v[154:155], v[152:153]
	ds_load_b128 v[152:155], v2 offset:1152
	s_wait_loadcnt_dscnt 0xb01
	v_mul_f64_e32 v[166:167], v[4:5], v[22:23]
	v_mul_f64_e32 v[22:23], v[6:7], v[22:23]
	v_fmac_f64_e32 v[168:169], v[162:163], v[16:17]
	v_fma_f64 v[160:161], v[160:161], v[16:17], -v[18:19]
	scratch_load_b128 v[16:19], off, off offset:560
	v_add_f64_e32 v[164:165], v[164:165], v[170:171]
	v_add_f64_e32 v[162:163], v[174:175], v[172:173]
	v_fmac_f64_e32 v[166:167], v[6:7], v[20:21]
	v_fma_f64 v[172:173], v[4:5], v[20:21], -v[22:23]
	ds_load_b128 v[4:7], v2 offset:1168
	s_wait_loadcnt_dscnt 0xb01
	v_mul_f64_e32 v[170:171], v[152:153], v[26:27]
	v_mul_f64_e32 v[26:27], v[154:155], v[26:27]
	scratch_load_b128 v[20:23], off, off offset:576
	v_add_f64_e32 v[164:165], v[164:165], v[168:169]
	s_wait_loadcnt_dscnt 0xb00
	v_mul_f64_e32 v[168:169], v[4:5], v[30:31]
	v_add_f64_e32 v[174:175], v[162:163], v[160:161]
	v_mul_f64_e32 v[30:31], v[6:7], v[30:31]
	ds_load_b128 v[160:163], v2 offset:1184
	v_fmac_f64_e32 v[170:171], v[154:155], v[24:25]
	v_fma_f64 v[152:153], v[152:153], v[24:25], -v[26:27]
	scratch_load_b128 v[24:27], off, off offset:592
	v_add_f64_e32 v[164:165], v[164:165], v[166:167]
	v_fmac_f64_e32 v[168:169], v[6:7], v[28:29]
	v_add_f64_e32 v[154:155], v[174:175], v[172:173]
	v_fma_f64 v[172:173], v[4:5], v[28:29], -v[30:31]
	ds_load_b128 v[4:7], v2 offset:1200
	s_wait_loadcnt_dscnt 0xb01
	v_mul_f64_e32 v[166:167], v[160:161], v[130:131]
	v_mul_f64_e32 v[130:131], v[162:163], v[130:131]
	scratch_load_b128 v[28:31], off, off offset:608
	v_add_f64_e32 v[164:165], v[164:165], v[170:171]
	s_wait_loadcnt_dscnt 0xb00
	v_mul_f64_e32 v[170:171], v[4:5], v[134:135]
	v_add_f64_e32 v[174:175], v[154:155], v[152:153]
	v_mul_f64_e32 v[134:135], v[6:7], v[134:135]
	ds_load_b128 v[152:155], v2 offset:1216
	v_fmac_f64_e32 v[166:167], v[162:163], v[128:129]
	v_fma_f64 v[160:161], v[160:161], v[128:129], -v[130:131]
	scratch_load_b128 v[128:131], off, off offset:624
	v_add_f64_e32 v[164:165], v[164:165], v[168:169]
	v_fmac_f64_e32 v[170:171], v[6:7], v[132:133]
	v_add_f64_e32 v[162:163], v[174:175], v[172:173]
	;; [unrolled: 18-line block ×3, first 2 shown]
	v_fma_f64 v[172:173], v[4:5], v[144:145], -v[146:147]
	ds_load_b128 v[4:7], v2 offset:1264
	s_wait_loadcnt_dscnt 0xa01
	v_mul_f64_e32 v[170:171], v[160:161], v[158:159]
	v_mul_f64_e32 v[158:159], v[162:163], v[158:159]
	scratch_load_b128 v[144:147], off, off offset:672
	v_add_f64_e32 v[164:165], v[164:165], v[168:169]
	v_add_f64_e32 v[174:175], v[154:155], v[152:153]
	s_wait_loadcnt_dscnt 0xa00
	v_mul_f64_e32 v[168:169], v[4:5], v[142:143]
	v_mul_f64_e32 v[142:143], v[6:7], v[142:143]
	v_fmac_f64_e32 v[170:171], v[162:163], v[156:157]
	v_fma_f64 v[160:161], v[160:161], v[156:157], -v[158:159]
	ds_load_b128 v[152:155], v2 offset:1280
	scratch_load_b128 v[156:159], off, off offset:688
	v_add_f64_e32 v[164:165], v[164:165], v[166:167]
	v_add_f64_e32 v[162:163], v[174:175], v[172:173]
	v_fmac_f64_e32 v[168:169], v[6:7], v[140:141]
	v_fma_f64 v[172:173], v[4:5], v[140:141], -v[142:143]
	ds_load_b128 v[4:7], v2 offset:1296
	s_wait_loadcnt_dscnt 0xa01
	v_mul_f64_e32 v[166:167], v[152:153], v[10:11]
	v_mul_f64_e32 v[10:11], v[154:155], v[10:11]
	scratch_load_b128 v[140:143], off, off offset:704
	v_add_f64_e32 v[164:165], v[164:165], v[170:171]
	s_wait_loadcnt_dscnt 0xa00
	v_mul_f64_e32 v[170:171], v[4:5], v[14:15]
	v_add_f64_e32 v[174:175], v[162:163], v[160:161]
	v_mul_f64_e32 v[14:15], v[6:7], v[14:15]
	ds_load_b128 v[160:163], v2 offset:1312
	v_fmac_f64_e32 v[166:167], v[154:155], v[8:9]
	v_fma_f64 v[152:153], v[152:153], v[8:9], -v[10:11]
	scratch_load_b128 v[8:11], off, off offset:720
	v_add_f64_e32 v[164:165], v[164:165], v[168:169]
	v_fmac_f64_e32 v[170:171], v[6:7], v[12:13]
	v_add_f64_e32 v[154:155], v[174:175], v[172:173]
	v_fma_f64 v[172:173], v[4:5], v[12:13], -v[14:15]
	ds_load_b128 v[4:7], v2 offset:1328
	s_wait_loadcnt_dscnt 0xa01
	v_mul_f64_e32 v[168:169], v[160:161], v[18:19]
	v_mul_f64_e32 v[18:19], v[162:163], v[18:19]
	scratch_load_b128 v[12:15], off, off offset:736
	v_add_f64_e32 v[164:165], v[164:165], v[166:167]
	s_wait_loadcnt_dscnt 0xa00
	v_mul_f64_e32 v[166:167], v[4:5], v[22:23]
	v_add_f64_e32 v[174:175], v[154:155], v[152:153]
	v_mul_f64_e32 v[22:23], v[6:7], v[22:23]
	ds_load_b128 v[152:155], v2 offset:1344
	v_fmac_f64_e32 v[168:169], v[162:163], v[16:17]
	v_fma_f64 v[16:17], v[160:161], v[16:17], -v[18:19]
	s_wait_loadcnt_dscnt 0x900
	v_mul_f64_e32 v[162:163], v[152:153], v[26:27]
	v_mul_f64_e32 v[26:27], v[154:155], v[26:27]
	v_add_f64_e32 v[160:161], v[164:165], v[170:171]
	v_fmac_f64_e32 v[166:167], v[6:7], v[20:21]
	v_add_f64_e32 v[18:19], v[174:175], v[172:173]
	v_fma_f64 v[20:21], v[4:5], v[20:21], -v[22:23]
	v_fmac_f64_e32 v[162:163], v[154:155], v[24:25]
	v_fma_f64 v[24:25], v[152:153], v[24:25], -v[26:27]
	v_add_f64_e32 v[160:161], v[160:161], v[168:169]
	v_add_f64_e32 v[22:23], v[18:19], v[16:17]
	ds_load_b128 v[4:7], v2 offset:1360
	ds_load_b128 v[16:19], v2 offset:1376
	s_wait_loadcnt_dscnt 0x801
	v_mul_f64_e32 v[164:165], v[4:5], v[30:31]
	v_mul_f64_e32 v[30:31], v[6:7], v[30:31]
	s_wait_loadcnt_dscnt 0x700
	v_mul_f64_e32 v[26:27], v[16:17], v[130:131]
	v_mul_f64_e32 v[130:131], v[18:19], v[130:131]
	v_add_f64_e32 v[20:21], v[22:23], v[20:21]
	v_add_f64_e32 v[22:23], v[160:161], v[166:167]
	v_fmac_f64_e32 v[164:165], v[6:7], v[28:29]
	v_fma_f64 v[28:29], v[4:5], v[28:29], -v[30:31]
	v_fmac_f64_e32 v[26:27], v[18:19], v[128:129]
	v_fma_f64 v[16:17], v[16:17], v[128:129], -v[130:131]
	v_add_f64_e32 v[24:25], v[20:21], v[24:25]
	v_add_f64_e32 v[30:31], v[22:23], v[162:163]
	ds_load_b128 v[4:7], v2 offset:1392
	ds_load_b128 v[20:23], v2 offset:1408
	s_wait_loadcnt_dscnt 0x601
	v_mul_f64_e32 v[152:153], v[4:5], v[134:135]
	v_mul_f64_e32 v[134:135], v[6:7], v[134:135]
	v_add_f64_e32 v[18:19], v[24:25], v[28:29]
	v_add_f64_e32 v[24:25], v[30:31], v[164:165]
	s_wait_loadcnt_dscnt 0x500
	v_mul_f64_e32 v[28:29], v[20:21], v[138:139]
	v_mul_f64_e32 v[30:31], v[22:23], v[138:139]
	v_fmac_f64_e32 v[152:153], v[6:7], v[132:133]
	v_fma_f64 v[128:129], v[4:5], v[132:133], -v[134:135]
	v_add_f64_e32 v[130:131], v[18:19], v[16:17]
	v_add_f64_e32 v[24:25], v[24:25], v[26:27]
	ds_load_b128 v[4:7], v2 offset:1424
	ds_load_b128 v[16:19], v2 offset:1440
	v_fmac_f64_e32 v[28:29], v[22:23], v[136:137]
	v_fma_f64 v[20:21], v[20:21], v[136:137], -v[30:31]
	s_wait_loadcnt_dscnt 0x401
	v_mul_f64_e32 v[26:27], v[4:5], v[146:147]
	v_mul_f64_e32 v[132:133], v[6:7], v[146:147]
	s_wait_loadcnt_dscnt 0x300
	v_mul_f64_e32 v[30:31], v[16:17], v[158:159]
	v_add_f64_e32 v[22:23], v[130:131], v[128:129]
	v_add_f64_e32 v[24:25], v[24:25], v[152:153]
	v_mul_f64_e32 v[128:129], v[18:19], v[158:159]
	v_fmac_f64_e32 v[26:27], v[6:7], v[144:145]
	v_fma_f64 v[130:131], v[4:5], v[144:145], -v[132:133]
	v_fmac_f64_e32 v[30:31], v[18:19], v[156:157]
	v_add_f64_e32 v[132:133], v[22:23], v[20:21]
	v_add_f64_e32 v[24:25], v[24:25], v[28:29]
	ds_load_b128 v[4:7], v2 offset:1456
	ds_load_b128 v[20:23], v2 offset:1472
	v_fma_f64 v[16:17], v[16:17], v[156:157], -v[128:129]
	s_wait_loadcnt_dscnt 0x201
	v_mul_f64_e32 v[28:29], v[4:5], v[142:143]
	v_mul_f64_e32 v[134:135], v[6:7], v[142:143]
	v_add_f64_e32 v[18:19], v[132:133], v[130:131]
	v_add_f64_e32 v[24:25], v[24:25], v[26:27]
	s_wait_loadcnt_dscnt 0x100
	v_mul_f64_e32 v[26:27], v[20:21], v[10:11]
	v_mul_f64_e32 v[10:11], v[22:23], v[10:11]
	v_fmac_f64_e32 v[28:29], v[6:7], v[140:141]
	v_fma_f64 v[128:129], v[4:5], v[140:141], -v[134:135]
	ds_load_b128 v[4:7], v2 offset:1488
	v_add_f64_e32 v[16:17], v[18:19], v[16:17]
	v_add_f64_e32 v[18:19], v[24:25], v[30:31]
	v_fmac_f64_e32 v[26:27], v[22:23], v[8:9]
	v_fma_f64 v[8:9], v[20:21], v[8:9], -v[10:11]
	s_wait_loadcnt_dscnt 0x0
	v_mul_f64_e32 v[24:25], v[4:5], v[14:15]
	v_mul_f64_e32 v[14:15], v[6:7], v[14:15]
	v_add_f64_e32 v[10:11], v[16:17], v[128:129]
	v_add_f64_e32 v[16:17], v[18:19], v[28:29]
	s_delay_alu instid0(VALU_DEP_4) | instskip(NEXT) | instid1(VALU_DEP_4)
	v_fmac_f64_e32 v[24:25], v[6:7], v[12:13]
	v_fma_f64 v[4:5], v[4:5], v[12:13], -v[14:15]
	s_delay_alu instid0(VALU_DEP_4) | instskip(NEXT) | instid1(VALU_DEP_4)
	v_add_f64_e32 v[6:7], v[10:11], v[8:9]
	v_add_f64_e32 v[8:9], v[16:17], v[26:27]
	s_delay_alu instid0(VALU_DEP_2) | instskip(NEXT) | instid1(VALU_DEP_2)
	v_add_f64_e32 v[4:5], v[6:7], v[4:5]
	v_add_f64_e32 v[6:7], v[8:9], v[24:25]
	s_delay_alu instid0(VALU_DEP_2) | instskip(NEXT) | instid1(VALU_DEP_2)
	v_add_f64_e64 v[4:5], v[148:149], -v[4:5]
	v_add_f64_e64 v[6:7], v[150:151], -v[6:7]
	scratch_store_b128 off, v[4:7], off offset:304
	s_wait_xcnt 0x0
	v_cmpx_lt_u32_e32 18, v1
	s_cbranch_execz .LBB110_259
; %bb.258:
	scratch_load_b128 v[6:9], off, s45
	v_dual_mov_b32 v3, v2 :: v_dual_mov_b32 v4, v2
	v_mov_b32_e32 v5, v2
	scratch_store_b128 off, v[2:5], off offset:288
	s_wait_loadcnt 0x0
	ds_store_b128 v126, v[6:9]
.LBB110_259:
	s_wait_xcnt 0x0
	s_or_b32 exec_lo, exec_lo, s2
	s_wait_storecnt_dscnt 0x0
	s_barrier_signal -1
	s_barrier_wait -1
	s_clause 0x9
	scratch_load_b128 v[4:7], off, off offset:304
	scratch_load_b128 v[8:11], off, off offset:320
	;; [unrolled: 1-line block ×10, first 2 shown]
	ds_load_b128 v[140:143], v2 offset:1056
	ds_load_b128 v[148:151], v2 offset:1072
	s_clause 0x2
	scratch_load_b128 v[144:147], off, off offset:464
	scratch_load_b128 v[152:155], off, off offset:288
	;; [unrolled: 1-line block ×3, first 2 shown]
	s_mov_b32 s2, exec_lo
	s_wait_loadcnt_dscnt 0xc01
	v_mul_f64_e32 v[160:161], v[142:143], v[6:7]
	v_mul_f64_e32 v[164:165], v[140:141], v[6:7]
	s_wait_loadcnt_dscnt 0xb00
	v_mul_f64_e32 v[166:167], v[148:149], v[10:11]
	v_mul_f64_e32 v[10:11], v[150:151], v[10:11]
	s_delay_alu instid0(VALU_DEP_4) | instskip(NEXT) | instid1(VALU_DEP_4)
	v_fma_f64 v[168:169], v[140:141], v[4:5], -v[160:161]
	v_fmac_f64_e32 v[164:165], v[142:143], v[4:5]
	ds_load_b128 v[4:7], v2 offset:1088
	ds_load_b128 v[140:143], v2 offset:1104
	scratch_load_b128 v[160:163], off, off offset:496
	v_fmac_f64_e32 v[166:167], v[150:151], v[8:9]
	v_fma_f64 v[148:149], v[148:149], v[8:9], -v[10:11]
	scratch_load_b128 v[8:11], off, off offset:512
	s_wait_loadcnt_dscnt 0xc01
	v_mul_f64_e32 v[170:171], v[4:5], v[14:15]
	v_mul_f64_e32 v[14:15], v[6:7], v[14:15]
	v_add_f64_e32 v[150:151], 0, v[168:169]
	v_add_f64_e32 v[164:165], 0, v[164:165]
	s_wait_loadcnt_dscnt 0xb00
	v_mul_f64_e32 v[168:169], v[140:141], v[18:19]
	v_mul_f64_e32 v[18:19], v[142:143], v[18:19]
	v_fmac_f64_e32 v[170:171], v[6:7], v[12:13]
	v_fma_f64 v[172:173], v[4:5], v[12:13], -v[14:15]
	ds_load_b128 v[4:7], v2 offset:1120
	ds_load_b128 v[12:15], v2 offset:1136
	v_add_f64_e32 v[174:175], v[150:151], v[148:149]
	v_add_f64_e32 v[164:165], v[164:165], v[166:167]
	scratch_load_b128 v[148:151], off, off offset:528
	v_fmac_f64_e32 v[168:169], v[142:143], v[16:17]
	v_fma_f64 v[140:141], v[140:141], v[16:17], -v[18:19]
	scratch_load_b128 v[16:19], off, off offset:544
	s_wait_loadcnt_dscnt 0xc01
	v_mul_f64_e32 v[166:167], v[4:5], v[22:23]
	v_mul_f64_e32 v[22:23], v[6:7], v[22:23]
	v_add_f64_e32 v[142:143], v[174:175], v[172:173]
	v_add_f64_e32 v[164:165], v[164:165], v[170:171]
	s_wait_loadcnt_dscnt 0xb00
	v_mul_f64_e32 v[170:171], v[12:13], v[26:27]
	v_mul_f64_e32 v[26:27], v[14:15], v[26:27]
	v_fmac_f64_e32 v[166:167], v[6:7], v[20:21]
	v_fma_f64 v[172:173], v[4:5], v[20:21], -v[22:23]
	ds_load_b128 v[4:7], v2 offset:1152
	ds_load_b128 v[20:23], v2 offset:1168
	v_add_f64_e32 v[174:175], v[142:143], v[140:141]
	v_add_f64_e32 v[164:165], v[164:165], v[168:169]
	scratch_load_b128 v[140:143], off, off offset:560
	s_wait_loadcnt_dscnt 0xb01
	v_mul_f64_e32 v[168:169], v[4:5], v[30:31]
	v_mul_f64_e32 v[30:31], v[6:7], v[30:31]
	v_fmac_f64_e32 v[170:171], v[14:15], v[24:25]
	v_fma_f64 v[24:25], v[12:13], v[24:25], -v[26:27]
	scratch_load_b128 v[12:15], off, off offset:576
	v_add_f64_e32 v[26:27], v[174:175], v[172:173]
	v_add_f64_e32 v[164:165], v[164:165], v[166:167]
	s_wait_loadcnt_dscnt 0xb00
	v_mul_f64_e32 v[166:167], v[20:21], v[130:131]
	v_mul_f64_e32 v[130:131], v[22:23], v[130:131]
	v_fmac_f64_e32 v[168:169], v[6:7], v[28:29]
	v_fma_f64 v[172:173], v[4:5], v[28:29], -v[30:31]
	v_add_f64_e32 v[174:175], v[26:27], v[24:25]
	v_add_f64_e32 v[164:165], v[164:165], v[170:171]
	ds_load_b128 v[4:7], v2 offset:1184
	ds_load_b128 v[24:27], v2 offset:1200
	scratch_load_b128 v[28:31], off, off offset:592
	v_fmac_f64_e32 v[166:167], v[22:23], v[128:129]
	v_fma_f64 v[128:129], v[20:21], v[128:129], -v[130:131]
	scratch_load_b128 v[20:23], off, off offset:608
	s_wait_loadcnt_dscnt 0xc01
	v_mul_f64_e32 v[170:171], v[4:5], v[134:135]
	v_mul_f64_e32 v[134:135], v[6:7], v[134:135]
	v_add_f64_e32 v[130:131], v[174:175], v[172:173]
	v_add_f64_e32 v[164:165], v[164:165], v[168:169]
	s_wait_loadcnt_dscnt 0xb00
	v_mul_f64_e32 v[168:169], v[24:25], v[138:139]
	v_mul_f64_e32 v[138:139], v[26:27], v[138:139]
	v_fmac_f64_e32 v[170:171], v[6:7], v[132:133]
	v_fma_f64 v[172:173], v[4:5], v[132:133], -v[134:135]
	v_add_f64_e32 v[174:175], v[130:131], v[128:129]
	v_add_f64_e32 v[164:165], v[164:165], v[166:167]
	ds_load_b128 v[4:7], v2 offset:1216
	ds_load_b128 v[128:131], v2 offset:1232
	scratch_load_b128 v[132:135], off, off offset:624
	v_fmac_f64_e32 v[168:169], v[26:27], v[136:137]
	v_fma_f64 v[136:137], v[24:25], v[136:137], -v[138:139]
	scratch_load_b128 v[24:27], off, off offset:640
	s_wait_loadcnt_dscnt 0xc01
	v_mul_f64_e32 v[166:167], v[4:5], v[146:147]
	v_mul_f64_e32 v[146:147], v[6:7], v[146:147]
	;; [unrolled: 18-line block ×5, first 2 shown]
	v_add_f64_e32 v[158:159], v[174:175], v[172:173]
	v_add_f64_e32 v[164:165], v[164:165], v[170:171]
	s_wait_loadcnt_dscnt 0xa00
	v_mul_f64_e32 v[170:171], v[136:137], v[14:15]
	v_mul_f64_e32 v[14:15], v[138:139], v[14:15]
	v_fmac_f64_e32 v[166:167], v[6:7], v[140:141]
	v_fma_f64 v[172:173], v[4:5], v[140:141], -v[142:143]
	ds_load_b128 v[4:7], v2 offset:1344
	ds_load_b128 v[140:143], v2 offset:1360
	v_add_f64_e32 v[156:157], v[158:159], v[156:157]
	v_add_f64_e32 v[158:159], v[164:165], v[168:169]
	v_fmac_f64_e32 v[170:171], v[138:139], v[12:13]
	v_fma_f64 v[12:13], v[136:137], v[12:13], -v[14:15]
	s_wait_loadcnt_dscnt 0x901
	v_mul_f64_e32 v[164:165], v[4:5], v[30:31]
	v_mul_f64_e32 v[30:31], v[6:7], v[30:31]
	s_wait_loadcnt_dscnt 0x800
	v_mul_f64_e32 v[138:139], v[140:141], v[22:23]
	v_mul_f64_e32 v[22:23], v[142:143], v[22:23]
	v_add_f64_e32 v[14:15], v[156:157], v[172:173]
	v_add_f64_e32 v[136:137], v[158:159], v[166:167]
	v_fmac_f64_e32 v[164:165], v[6:7], v[28:29]
	v_fma_f64 v[28:29], v[4:5], v[28:29], -v[30:31]
	v_fmac_f64_e32 v[138:139], v[142:143], v[20:21]
	v_fma_f64 v[20:21], v[140:141], v[20:21], -v[22:23]
	v_add_f64_e32 v[30:31], v[14:15], v[12:13]
	v_add_f64_e32 v[136:137], v[136:137], v[170:171]
	ds_load_b128 v[4:7], v2 offset:1376
	ds_load_b128 v[12:15], v2 offset:1392
	s_wait_loadcnt_dscnt 0x701
	v_mul_f64_e32 v[156:157], v[4:5], v[134:135]
	v_mul_f64_e32 v[134:135], v[6:7], v[134:135]
	v_add_f64_e32 v[22:23], v[30:31], v[28:29]
	v_add_f64_e32 v[28:29], v[136:137], v[164:165]
	s_wait_loadcnt_dscnt 0x600
	v_mul_f64_e32 v[30:31], v[12:13], v[26:27]
	v_mul_f64_e32 v[26:27], v[14:15], v[26:27]
	v_fmac_f64_e32 v[156:157], v[6:7], v[132:133]
	v_fma_f64 v[132:133], v[4:5], v[132:133], -v[134:135]
	v_add_f64_e32 v[134:135], v[22:23], v[20:21]
	v_add_f64_e32 v[28:29], v[28:29], v[138:139]
	ds_load_b128 v[4:7], v2 offset:1408
	ds_load_b128 v[20:23], v2 offset:1424
	v_fmac_f64_e32 v[30:31], v[14:15], v[24:25]
	v_fma_f64 v[12:13], v[12:13], v[24:25], -v[26:27]
	s_wait_loadcnt_dscnt 0x501
	v_mul_f64_e32 v[136:137], v[4:5], v[146:147]
	v_mul_f64_e32 v[138:139], v[6:7], v[146:147]
	s_wait_loadcnt_dscnt 0x400
	v_mul_f64_e32 v[26:27], v[20:21], v[130:131]
	v_add_f64_e32 v[14:15], v[134:135], v[132:133]
	v_add_f64_e32 v[24:25], v[28:29], v[156:157]
	v_mul_f64_e32 v[28:29], v[22:23], v[130:131]
	v_fmac_f64_e32 v[136:137], v[6:7], v[144:145]
	v_fma_f64 v[130:131], v[4:5], v[144:145], -v[138:139]
	v_fmac_f64_e32 v[26:27], v[22:23], v[128:129]
	v_add_f64_e32 v[132:133], v[14:15], v[12:13]
	v_add_f64_e32 v[24:25], v[24:25], v[30:31]
	ds_load_b128 v[4:7], v2 offset:1440
	ds_load_b128 v[12:15], v2 offset:1456
	v_fma_f64 v[20:21], v[20:21], v[128:129], -v[28:29]
	s_wait_loadcnt_dscnt 0x301
	v_mul_f64_e32 v[30:31], v[4:5], v[162:163]
	v_mul_f64_e32 v[134:135], v[6:7], v[162:163]
	s_wait_loadcnt_dscnt 0x200
	v_mul_f64_e32 v[28:29], v[12:13], v[10:11]
	v_mul_f64_e32 v[10:11], v[14:15], v[10:11]
	v_add_f64_e32 v[22:23], v[132:133], v[130:131]
	v_add_f64_e32 v[24:25], v[24:25], v[136:137]
	v_fmac_f64_e32 v[30:31], v[6:7], v[160:161]
	v_fma_f64 v[128:129], v[4:5], v[160:161], -v[134:135]
	v_fmac_f64_e32 v[28:29], v[14:15], v[8:9]
	v_fma_f64 v[8:9], v[12:13], v[8:9], -v[10:11]
	v_add_f64_e32 v[130:131], v[22:23], v[20:21]
	v_add_f64_e32 v[24:25], v[24:25], v[26:27]
	ds_load_b128 v[4:7], v2 offset:1472
	ds_load_b128 v[20:23], v2 offset:1488
	s_wait_loadcnt_dscnt 0x101
	v_mul_f64_e32 v[2:3], v[4:5], v[150:151]
	v_mul_f64_e32 v[26:27], v[6:7], v[150:151]
	s_wait_loadcnt_dscnt 0x0
	v_mul_f64_e32 v[14:15], v[20:21], v[18:19]
	v_mul_f64_e32 v[18:19], v[22:23], v[18:19]
	v_add_f64_e32 v[10:11], v[130:131], v[128:129]
	v_add_f64_e32 v[12:13], v[24:25], v[30:31]
	v_fmac_f64_e32 v[2:3], v[6:7], v[148:149]
	v_fma_f64 v[4:5], v[4:5], v[148:149], -v[26:27]
	v_fmac_f64_e32 v[14:15], v[22:23], v[16:17]
	v_add_f64_e32 v[6:7], v[10:11], v[8:9]
	v_add_f64_e32 v[8:9], v[12:13], v[28:29]
	v_fma_f64 v[10:11], v[20:21], v[16:17], -v[18:19]
	s_delay_alu instid0(VALU_DEP_3) | instskip(NEXT) | instid1(VALU_DEP_3)
	v_add_f64_e32 v[4:5], v[6:7], v[4:5]
	v_add_f64_e32 v[2:3], v[8:9], v[2:3]
	s_delay_alu instid0(VALU_DEP_2) | instskip(NEXT) | instid1(VALU_DEP_2)
	v_add_f64_e32 v[4:5], v[4:5], v[10:11]
	v_add_f64_e32 v[6:7], v[2:3], v[14:15]
	s_delay_alu instid0(VALU_DEP_2) | instskip(NEXT) | instid1(VALU_DEP_2)
	v_add_f64_e64 v[2:3], v[152:153], -v[4:5]
	v_add_f64_e64 v[4:5], v[154:155], -v[6:7]
	scratch_store_b128 off, v[2:5], off offset:288
	s_wait_xcnt 0x0
	v_cmpx_lt_u32_e32 17, v1
	s_cbranch_execz .LBB110_261
; %bb.260:
	scratch_load_b128 v[2:5], off, s46
	v_mov_b32_e32 v6, 0
	s_delay_alu instid0(VALU_DEP_1)
	v_dual_mov_b32 v7, v6 :: v_dual_mov_b32 v8, v6
	v_mov_b32_e32 v9, v6
	scratch_store_b128 off, v[6:9], off offset:272
	s_wait_loadcnt 0x0
	ds_store_b128 v126, v[2:5]
.LBB110_261:
	s_wait_xcnt 0x0
	s_or_b32 exec_lo, exec_lo, s2
	s_wait_storecnt_dscnt 0x0
	s_barrier_signal -1
	s_barrier_wait -1
	s_clause 0x9
	scratch_load_b128 v[4:7], off, off offset:288
	scratch_load_b128 v[8:11], off, off offset:304
	scratch_load_b128 v[12:15], off, off offset:320
	scratch_load_b128 v[16:19], off, off offset:336
	scratch_load_b128 v[20:23], off, off offset:352
	scratch_load_b128 v[24:27], off, off offset:368
	scratch_load_b128 v[28:31], off, off offset:384
	scratch_load_b128 v[128:131], off, off offset:400
	scratch_load_b128 v[132:135], off, off offset:416
	scratch_load_b128 v[136:139], off, off offset:432
	v_mov_b32_e32 v2, 0
	s_mov_b32 s2, exec_lo
	ds_load_b128 v[140:143], v2 offset:1040
	s_clause 0x2
	scratch_load_b128 v[144:147], off, off offset:448
	scratch_load_b128 v[148:151], off, off offset:272
	;; [unrolled: 1-line block ×3, first 2 shown]
	s_wait_loadcnt_dscnt 0xc00
	v_mul_f64_e32 v[160:161], v[142:143], v[6:7]
	v_mul_f64_e32 v[164:165], v[140:141], v[6:7]
	ds_load_b128 v[152:155], v2 offset:1056
	v_fma_f64 v[168:169], v[140:141], v[4:5], -v[160:161]
	v_fmac_f64_e32 v[164:165], v[142:143], v[4:5]
	ds_load_b128 v[4:7], v2 offset:1072
	s_wait_loadcnt_dscnt 0xb01
	v_mul_f64_e32 v[166:167], v[152:153], v[10:11]
	v_mul_f64_e32 v[10:11], v[154:155], v[10:11]
	scratch_load_b128 v[140:143], off, off offset:480
	ds_load_b128 v[160:163], v2 offset:1088
	s_wait_loadcnt_dscnt 0xb01
	v_mul_f64_e32 v[170:171], v[4:5], v[14:15]
	v_mul_f64_e32 v[14:15], v[6:7], v[14:15]
	v_add_f64_e32 v[164:165], 0, v[164:165]
	v_fmac_f64_e32 v[166:167], v[154:155], v[8:9]
	v_fma_f64 v[152:153], v[152:153], v[8:9], -v[10:11]
	v_add_f64_e32 v[154:155], 0, v[168:169]
	scratch_load_b128 v[8:11], off, off offset:496
	v_fmac_f64_e32 v[170:171], v[6:7], v[12:13]
	v_fma_f64 v[172:173], v[4:5], v[12:13], -v[14:15]
	ds_load_b128 v[4:7], v2 offset:1104
	s_wait_loadcnt_dscnt 0xb01
	v_mul_f64_e32 v[168:169], v[160:161], v[18:19]
	v_mul_f64_e32 v[18:19], v[162:163], v[18:19]
	scratch_load_b128 v[12:15], off, off offset:512
	v_add_f64_e32 v[164:165], v[164:165], v[166:167]
	v_add_f64_e32 v[174:175], v[154:155], v[152:153]
	ds_load_b128 v[152:155], v2 offset:1120
	s_wait_loadcnt_dscnt 0xb01
	v_mul_f64_e32 v[166:167], v[4:5], v[22:23]
	v_mul_f64_e32 v[22:23], v[6:7], v[22:23]
	v_fmac_f64_e32 v[168:169], v[162:163], v[16:17]
	v_fma_f64 v[160:161], v[160:161], v[16:17], -v[18:19]
	scratch_load_b128 v[16:19], off, off offset:528
	v_add_f64_e32 v[164:165], v[164:165], v[170:171]
	v_add_f64_e32 v[162:163], v[174:175], v[172:173]
	v_fmac_f64_e32 v[166:167], v[6:7], v[20:21]
	v_fma_f64 v[172:173], v[4:5], v[20:21], -v[22:23]
	ds_load_b128 v[4:7], v2 offset:1136
	s_wait_loadcnt_dscnt 0xb01
	v_mul_f64_e32 v[170:171], v[152:153], v[26:27]
	v_mul_f64_e32 v[26:27], v[154:155], v[26:27]
	scratch_load_b128 v[20:23], off, off offset:544
	v_add_f64_e32 v[164:165], v[164:165], v[168:169]
	s_wait_loadcnt_dscnt 0xb00
	v_mul_f64_e32 v[168:169], v[4:5], v[30:31]
	v_add_f64_e32 v[174:175], v[162:163], v[160:161]
	v_mul_f64_e32 v[30:31], v[6:7], v[30:31]
	ds_load_b128 v[160:163], v2 offset:1152
	v_fmac_f64_e32 v[170:171], v[154:155], v[24:25]
	v_fma_f64 v[152:153], v[152:153], v[24:25], -v[26:27]
	scratch_load_b128 v[24:27], off, off offset:560
	v_add_f64_e32 v[164:165], v[164:165], v[166:167]
	v_fmac_f64_e32 v[168:169], v[6:7], v[28:29]
	v_add_f64_e32 v[154:155], v[174:175], v[172:173]
	v_fma_f64 v[172:173], v[4:5], v[28:29], -v[30:31]
	ds_load_b128 v[4:7], v2 offset:1168
	s_wait_loadcnt_dscnt 0xb01
	v_mul_f64_e32 v[166:167], v[160:161], v[130:131]
	v_mul_f64_e32 v[130:131], v[162:163], v[130:131]
	scratch_load_b128 v[28:31], off, off offset:576
	v_add_f64_e32 v[164:165], v[164:165], v[170:171]
	s_wait_loadcnt_dscnt 0xb00
	v_mul_f64_e32 v[170:171], v[4:5], v[134:135]
	v_add_f64_e32 v[174:175], v[154:155], v[152:153]
	v_mul_f64_e32 v[134:135], v[6:7], v[134:135]
	ds_load_b128 v[152:155], v2 offset:1184
	v_fmac_f64_e32 v[166:167], v[162:163], v[128:129]
	v_fma_f64 v[160:161], v[160:161], v[128:129], -v[130:131]
	scratch_load_b128 v[128:131], off, off offset:592
	v_add_f64_e32 v[164:165], v[164:165], v[168:169]
	v_fmac_f64_e32 v[170:171], v[6:7], v[132:133]
	v_add_f64_e32 v[162:163], v[174:175], v[172:173]
	v_fma_f64 v[172:173], v[4:5], v[132:133], -v[134:135]
	ds_load_b128 v[4:7], v2 offset:1200
	s_wait_loadcnt_dscnt 0xb01
	v_mul_f64_e32 v[168:169], v[152:153], v[138:139]
	v_mul_f64_e32 v[138:139], v[154:155], v[138:139]
	scratch_load_b128 v[132:135], off, off offset:608
	v_add_f64_e32 v[164:165], v[164:165], v[166:167]
	s_wait_loadcnt_dscnt 0xb00
	v_mul_f64_e32 v[166:167], v[4:5], v[146:147]
	v_add_f64_e32 v[174:175], v[162:163], v[160:161]
	v_mul_f64_e32 v[146:147], v[6:7], v[146:147]
	ds_load_b128 v[160:163], v2 offset:1216
	v_fmac_f64_e32 v[168:169], v[154:155], v[136:137]
	v_fma_f64 v[152:153], v[152:153], v[136:137], -v[138:139]
	scratch_load_b128 v[136:139], off, off offset:624
	v_add_f64_e32 v[164:165], v[164:165], v[170:171]
	v_fmac_f64_e32 v[166:167], v[6:7], v[144:145]
	v_add_f64_e32 v[154:155], v[174:175], v[172:173]
	v_fma_f64 v[172:173], v[4:5], v[144:145], -v[146:147]
	ds_load_b128 v[4:7], v2 offset:1232
	s_wait_loadcnt_dscnt 0xa01
	v_mul_f64_e32 v[170:171], v[160:161], v[158:159]
	v_mul_f64_e32 v[158:159], v[162:163], v[158:159]
	scratch_load_b128 v[144:147], off, off offset:640
	v_add_f64_e32 v[164:165], v[164:165], v[168:169]
	v_add_f64_e32 v[174:175], v[154:155], v[152:153]
	s_wait_loadcnt_dscnt 0xa00
	v_mul_f64_e32 v[168:169], v[4:5], v[142:143]
	v_mul_f64_e32 v[142:143], v[6:7], v[142:143]
	v_fmac_f64_e32 v[170:171], v[162:163], v[156:157]
	v_fma_f64 v[160:161], v[160:161], v[156:157], -v[158:159]
	ds_load_b128 v[152:155], v2 offset:1248
	scratch_load_b128 v[156:159], off, off offset:656
	v_add_f64_e32 v[164:165], v[164:165], v[166:167]
	v_add_f64_e32 v[162:163], v[174:175], v[172:173]
	v_fmac_f64_e32 v[168:169], v[6:7], v[140:141]
	v_fma_f64 v[172:173], v[4:5], v[140:141], -v[142:143]
	ds_load_b128 v[4:7], v2 offset:1264
	s_wait_loadcnt_dscnt 0xa01
	v_mul_f64_e32 v[166:167], v[152:153], v[10:11]
	v_mul_f64_e32 v[10:11], v[154:155], v[10:11]
	scratch_load_b128 v[140:143], off, off offset:672
	v_add_f64_e32 v[164:165], v[164:165], v[170:171]
	s_wait_loadcnt_dscnt 0xa00
	v_mul_f64_e32 v[170:171], v[4:5], v[14:15]
	v_add_f64_e32 v[174:175], v[162:163], v[160:161]
	v_mul_f64_e32 v[14:15], v[6:7], v[14:15]
	ds_load_b128 v[160:163], v2 offset:1280
	v_fmac_f64_e32 v[166:167], v[154:155], v[8:9]
	v_fma_f64 v[152:153], v[152:153], v[8:9], -v[10:11]
	scratch_load_b128 v[8:11], off, off offset:688
	v_add_f64_e32 v[164:165], v[164:165], v[168:169]
	v_fmac_f64_e32 v[170:171], v[6:7], v[12:13]
	v_add_f64_e32 v[154:155], v[174:175], v[172:173]
	v_fma_f64 v[172:173], v[4:5], v[12:13], -v[14:15]
	ds_load_b128 v[4:7], v2 offset:1296
	s_wait_loadcnt_dscnt 0xa01
	v_mul_f64_e32 v[168:169], v[160:161], v[18:19]
	v_mul_f64_e32 v[18:19], v[162:163], v[18:19]
	scratch_load_b128 v[12:15], off, off offset:704
	v_add_f64_e32 v[164:165], v[164:165], v[166:167]
	s_wait_loadcnt_dscnt 0xa00
	v_mul_f64_e32 v[166:167], v[4:5], v[22:23]
	v_add_f64_e32 v[174:175], v[154:155], v[152:153]
	v_mul_f64_e32 v[22:23], v[6:7], v[22:23]
	ds_load_b128 v[152:155], v2 offset:1312
	v_fmac_f64_e32 v[168:169], v[162:163], v[16:17]
	v_fma_f64 v[160:161], v[160:161], v[16:17], -v[18:19]
	scratch_load_b128 v[16:19], off, off offset:720
	v_add_f64_e32 v[164:165], v[164:165], v[170:171]
	v_fmac_f64_e32 v[166:167], v[6:7], v[20:21]
	v_add_f64_e32 v[162:163], v[174:175], v[172:173]
	v_fma_f64 v[172:173], v[4:5], v[20:21], -v[22:23]
	ds_load_b128 v[4:7], v2 offset:1328
	s_wait_loadcnt_dscnt 0xa01
	v_mul_f64_e32 v[170:171], v[152:153], v[26:27]
	v_mul_f64_e32 v[26:27], v[154:155], v[26:27]
	scratch_load_b128 v[20:23], off, off offset:736
	v_add_f64_e32 v[164:165], v[164:165], v[168:169]
	s_wait_loadcnt_dscnt 0xa00
	v_mul_f64_e32 v[168:169], v[4:5], v[30:31]
	v_add_f64_e32 v[174:175], v[162:163], v[160:161]
	v_mul_f64_e32 v[30:31], v[6:7], v[30:31]
	ds_load_b128 v[160:163], v2 offset:1344
	v_fmac_f64_e32 v[170:171], v[154:155], v[24:25]
	v_fma_f64 v[24:25], v[152:153], v[24:25], -v[26:27]
	s_wait_loadcnt_dscnt 0x900
	v_mul_f64_e32 v[154:155], v[160:161], v[130:131]
	v_mul_f64_e32 v[130:131], v[162:163], v[130:131]
	v_add_f64_e32 v[152:153], v[164:165], v[166:167]
	v_fmac_f64_e32 v[168:169], v[6:7], v[28:29]
	v_add_f64_e32 v[26:27], v[174:175], v[172:173]
	v_fma_f64 v[28:29], v[4:5], v[28:29], -v[30:31]
	v_fmac_f64_e32 v[154:155], v[162:163], v[128:129]
	v_fma_f64 v[128:129], v[160:161], v[128:129], -v[130:131]
	v_add_f64_e32 v[152:153], v[152:153], v[170:171]
	v_add_f64_e32 v[30:31], v[26:27], v[24:25]
	ds_load_b128 v[4:7], v2 offset:1360
	ds_load_b128 v[24:27], v2 offset:1376
	s_wait_loadcnt_dscnt 0x801
	v_mul_f64_e32 v[164:165], v[4:5], v[134:135]
	v_mul_f64_e32 v[134:135], v[6:7], v[134:135]
	s_wait_loadcnt_dscnt 0x700
	v_mul_f64_e32 v[130:131], v[24:25], v[138:139]
	v_mul_f64_e32 v[138:139], v[26:27], v[138:139]
	v_add_f64_e32 v[28:29], v[30:31], v[28:29]
	v_add_f64_e32 v[30:31], v[152:153], v[168:169]
	v_fmac_f64_e32 v[164:165], v[6:7], v[132:133]
	v_fma_f64 v[132:133], v[4:5], v[132:133], -v[134:135]
	v_fmac_f64_e32 v[130:131], v[26:27], v[136:137]
	v_fma_f64 v[24:25], v[24:25], v[136:137], -v[138:139]
	v_add_f64_e32 v[128:129], v[28:29], v[128:129]
	v_add_f64_e32 v[134:135], v[30:31], v[154:155]
	ds_load_b128 v[4:7], v2 offset:1392
	ds_load_b128 v[28:31], v2 offset:1408
	s_wait_loadcnt_dscnt 0x601
	v_mul_f64_e32 v[152:153], v[4:5], v[146:147]
	v_mul_f64_e32 v[146:147], v[6:7], v[146:147]
	v_add_f64_e32 v[26:27], v[128:129], v[132:133]
	v_add_f64_e32 v[128:129], v[134:135], v[164:165]
	s_wait_loadcnt_dscnt 0x500
	v_mul_f64_e32 v[132:133], v[28:29], v[158:159]
	v_mul_f64_e32 v[134:135], v[30:31], v[158:159]
	v_fmac_f64_e32 v[152:153], v[6:7], v[144:145]
	v_fma_f64 v[136:137], v[4:5], v[144:145], -v[146:147]
	v_add_f64_e32 v[138:139], v[26:27], v[24:25]
	v_add_f64_e32 v[128:129], v[128:129], v[130:131]
	ds_load_b128 v[4:7], v2 offset:1424
	ds_load_b128 v[24:27], v2 offset:1440
	v_fmac_f64_e32 v[132:133], v[30:31], v[156:157]
	v_fma_f64 v[28:29], v[28:29], v[156:157], -v[134:135]
	s_wait_loadcnt_dscnt 0x401
	v_mul_f64_e32 v[130:131], v[4:5], v[142:143]
	v_mul_f64_e32 v[142:143], v[6:7], v[142:143]
	s_wait_loadcnt_dscnt 0x300
	v_mul_f64_e32 v[134:135], v[24:25], v[10:11]
	v_mul_f64_e32 v[10:11], v[26:27], v[10:11]
	v_add_f64_e32 v[30:31], v[138:139], v[136:137]
	v_add_f64_e32 v[128:129], v[128:129], v[152:153]
	v_fmac_f64_e32 v[130:131], v[6:7], v[140:141]
	v_fma_f64 v[136:137], v[4:5], v[140:141], -v[142:143]
	v_fmac_f64_e32 v[134:135], v[26:27], v[8:9]
	v_fma_f64 v[8:9], v[24:25], v[8:9], -v[10:11]
	v_add_f64_e32 v[138:139], v[30:31], v[28:29]
	v_add_f64_e32 v[128:129], v[128:129], v[132:133]
	ds_load_b128 v[4:7], v2 offset:1456
	ds_load_b128 v[28:31], v2 offset:1472
	s_wait_loadcnt_dscnt 0x201
	v_mul_f64_e32 v[132:133], v[4:5], v[14:15]
	v_mul_f64_e32 v[14:15], v[6:7], v[14:15]
	s_wait_loadcnt_dscnt 0x100
	v_mul_f64_e32 v[26:27], v[28:29], v[18:19]
	v_mul_f64_e32 v[18:19], v[30:31], v[18:19]
	v_add_f64_e32 v[10:11], v[138:139], v[136:137]
	v_add_f64_e32 v[24:25], v[128:129], v[130:131]
	v_fmac_f64_e32 v[132:133], v[6:7], v[12:13]
	v_fma_f64 v[12:13], v[4:5], v[12:13], -v[14:15]
	ds_load_b128 v[4:7], v2 offset:1488
	v_fmac_f64_e32 v[26:27], v[30:31], v[16:17]
	v_fma_f64 v[16:17], v[28:29], v[16:17], -v[18:19]
	v_add_f64_e32 v[8:9], v[10:11], v[8:9]
	v_add_f64_e32 v[10:11], v[24:25], v[134:135]
	s_wait_loadcnt_dscnt 0x0
	v_mul_f64_e32 v[14:15], v[4:5], v[22:23]
	v_mul_f64_e32 v[22:23], v[6:7], v[22:23]
	s_delay_alu instid0(VALU_DEP_4) | instskip(NEXT) | instid1(VALU_DEP_4)
	v_add_f64_e32 v[8:9], v[8:9], v[12:13]
	v_add_f64_e32 v[10:11], v[10:11], v[132:133]
	s_delay_alu instid0(VALU_DEP_4) | instskip(NEXT) | instid1(VALU_DEP_4)
	v_fmac_f64_e32 v[14:15], v[6:7], v[20:21]
	v_fma_f64 v[4:5], v[4:5], v[20:21], -v[22:23]
	s_delay_alu instid0(VALU_DEP_4) | instskip(NEXT) | instid1(VALU_DEP_4)
	v_add_f64_e32 v[6:7], v[8:9], v[16:17]
	v_add_f64_e32 v[8:9], v[10:11], v[26:27]
	s_delay_alu instid0(VALU_DEP_2) | instskip(NEXT) | instid1(VALU_DEP_2)
	v_add_f64_e32 v[4:5], v[6:7], v[4:5]
	v_add_f64_e32 v[6:7], v[8:9], v[14:15]
	s_delay_alu instid0(VALU_DEP_2) | instskip(NEXT) | instid1(VALU_DEP_2)
	v_add_f64_e64 v[4:5], v[148:149], -v[4:5]
	v_add_f64_e64 v[6:7], v[150:151], -v[6:7]
	scratch_store_b128 off, v[4:7], off offset:272
	s_wait_xcnt 0x0
	v_cmpx_lt_u32_e32 16, v1
	s_cbranch_execz .LBB110_263
; %bb.262:
	scratch_load_b128 v[6:9], off, s47
	v_dual_mov_b32 v3, v2 :: v_dual_mov_b32 v4, v2
	v_mov_b32_e32 v5, v2
	scratch_store_b128 off, v[2:5], off offset:256
	s_wait_loadcnt 0x0
	ds_store_b128 v126, v[6:9]
.LBB110_263:
	s_wait_xcnt 0x0
	s_or_b32 exec_lo, exec_lo, s2
	s_wait_storecnt_dscnt 0x0
	s_barrier_signal -1
	s_barrier_wait -1
	s_clause 0x9
	scratch_load_b128 v[4:7], off, off offset:272
	scratch_load_b128 v[8:11], off, off offset:288
	;; [unrolled: 1-line block ×10, first 2 shown]
	ds_load_b128 v[140:143], v2 offset:1024
	ds_load_b128 v[148:151], v2 offset:1040
	s_clause 0x2
	scratch_load_b128 v[144:147], off, off offset:432
	scratch_load_b128 v[152:155], off, off offset:256
	;; [unrolled: 1-line block ×3, first 2 shown]
	s_mov_b32 s2, exec_lo
	s_wait_loadcnt_dscnt 0xc01
	v_mul_f64_e32 v[160:161], v[142:143], v[6:7]
	v_mul_f64_e32 v[164:165], v[140:141], v[6:7]
	s_wait_loadcnt_dscnt 0xb00
	v_mul_f64_e32 v[166:167], v[148:149], v[10:11]
	v_mul_f64_e32 v[10:11], v[150:151], v[10:11]
	s_delay_alu instid0(VALU_DEP_4) | instskip(NEXT) | instid1(VALU_DEP_4)
	v_fma_f64 v[168:169], v[140:141], v[4:5], -v[160:161]
	v_fmac_f64_e32 v[164:165], v[142:143], v[4:5]
	ds_load_b128 v[4:7], v2 offset:1056
	ds_load_b128 v[140:143], v2 offset:1072
	scratch_load_b128 v[160:163], off, off offset:464
	v_fmac_f64_e32 v[166:167], v[150:151], v[8:9]
	v_fma_f64 v[148:149], v[148:149], v[8:9], -v[10:11]
	scratch_load_b128 v[8:11], off, off offset:480
	s_wait_loadcnt_dscnt 0xc01
	v_mul_f64_e32 v[170:171], v[4:5], v[14:15]
	v_mul_f64_e32 v[14:15], v[6:7], v[14:15]
	v_add_f64_e32 v[150:151], 0, v[168:169]
	v_add_f64_e32 v[164:165], 0, v[164:165]
	s_wait_loadcnt_dscnt 0xb00
	v_mul_f64_e32 v[168:169], v[140:141], v[18:19]
	v_mul_f64_e32 v[18:19], v[142:143], v[18:19]
	v_fmac_f64_e32 v[170:171], v[6:7], v[12:13]
	v_fma_f64 v[172:173], v[4:5], v[12:13], -v[14:15]
	ds_load_b128 v[4:7], v2 offset:1088
	ds_load_b128 v[12:15], v2 offset:1104
	v_add_f64_e32 v[174:175], v[150:151], v[148:149]
	v_add_f64_e32 v[164:165], v[164:165], v[166:167]
	scratch_load_b128 v[148:151], off, off offset:496
	v_fmac_f64_e32 v[168:169], v[142:143], v[16:17]
	v_fma_f64 v[140:141], v[140:141], v[16:17], -v[18:19]
	scratch_load_b128 v[16:19], off, off offset:512
	s_wait_loadcnt_dscnt 0xc01
	v_mul_f64_e32 v[166:167], v[4:5], v[22:23]
	v_mul_f64_e32 v[22:23], v[6:7], v[22:23]
	v_add_f64_e32 v[142:143], v[174:175], v[172:173]
	v_add_f64_e32 v[164:165], v[164:165], v[170:171]
	s_wait_loadcnt_dscnt 0xb00
	v_mul_f64_e32 v[170:171], v[12:13], v[26:27]
	v_mul_f64_e32 v[26:27], v[14:15], v[26:27]
	v_fmac_f64_e32 v[166:167], v[6:7], v[20:21]
	v_fma_f64 v[172:173], v[4:5], v[20:21], -v[22:23]
	ds_load_b128 v[4:7], v2 offset:1120
	ds_load_b128 v[20:23], v2 offset:1136
	v_add_f64_e32 v[174:175], v[142:143], v[140:141]
	v_add_f64_e32 v[164:165], v[164:165], v[168:169]
	scratch_load_b128 v[140:143], off, off offset:528
	s_wait_loadcnt_dscnt 0xb01
	v_mul_f64_e32 v[168:169], v[4:5], v[30:31]
	v_mul_f64_e32 v[30:31], v[6:7], v[30:31]
	v_fmac_f64_e32 v[170:171], v[14:15], v[24:25]
	v_fma_f64 v[24:25], v[12:13], v[24:25], -v[26:27]
	scratch_load_b128 v[12:15], off, off offset:544
	v_add_f64_e32 v[26:27], v[174:175], v[172:173]
	v_add_f64_e32 v[164:165], v[164:165], v[166:167]
	s_wait_loadcnt_dscnt 0xb00
	v_mul_f64_e32 v[166:167], v[20:21], v[130:131]
	v_mul_f64_e32 v[130:131], v[22:23], v[130:131]
	v_fmac_f64_e32 v[168:169], v[6:7], v[28:29]
	v_fma_f64 v[172:173], v[4:5], v[28:29], -v[30:31]
	v_add_f64_e32 v[174:175], v[26:27], v[24:25]
	v_add_f64_e32 v[164:165], v[164:165], v[170:171]
	ds_load_b128 v[4:7], v2 offset:1152
	ds_load_b128 v[24:27], v2 offset:1168
	scratch_load_b128 v[28:31], off, off offset:560
	v_fmac_f64_e32 v[166:167], v[22:23], v[128:129]
	v_fma_f64 v[128:129], v[20:21], v[128:129], -v[130:131]
	scratch_load_b128 v[20:23], off, off offset:576
	s_wait_loadcnt_dscnt 0xc01
	v_mul_f64_e32 v[170:171], v[4:5], v[134:135]
	v_mul_f64_e32 v[134:135], v[6:7], v[134:135]
	v_add_f64_e32 v[130:131], v[174:175], v[172:173]
	v_add_f64_e32 v[164:165], v[164:165], v[168:169]
	s_wait_loadcnt_dscnt 0xb00
	v_mul_f64_e32 v[168:169], v[24:25], v[138:139]
	v_mul_f64_e32 v[138:139], v[26:27], v[138:139]
	v_fmac_f64_e32 v[170:171], v[6:7], v[132:133]
	v_fma_f64 v[172:173], v[4:5], v[132:133], -v[134:135]
	v_add_f64_e32 v[174:175], v[130:131], v[128:129]
	v_add_f64_e32 v[164:165], v[164:165], v[166:167]
	ds_load_b128 v[4:7], v2 offset:1184
	ds_load_b128 v[128:131], v2 offset:1200
	scratch_load_b128 v[132:135], off, off offset:592
	v_fmac_f64_e32 v[168:169], v[26:27], v[136:137]
	v_fma_f64 v[136:137], v[24:25], v[136:137], -v[138:139]
	scratch_load_b128 v[24:27], off, off offset:608
	s_wait_loadcnt_dscnt 0xc01
	v_mul_f64_e32 v[166:167], v[4:5], v[146:147]
	v_mul_f64_e32 v[146:147], v[6:7], v[146:147]
	;; [unrolled: 18-line block ×5, first 2 shown]
	v_add_f64_e32 v[158:159], v[174:175], v[172:173]
	v_add_f64_e32 v[164:165], v[164:165], v[170:171]
	s_wait_loadcnt_dscnt 0xa00
	v_mul_f64_e32 v[170:171], v[136:137], v[14:15]
	v_mul_f64_e32 v[14:15], v[138:139], v[14:15]
	v_fmac_f64_e32 v[166:167], v[6:7], v[140:141]
	v_fma_f64 v[172:173], v[4:5], v[140:141], -v[142:143]
	ds_load_b128 v[4:7], v2 offset:1312
	ds_load_b128 v[140:143], v2 offset:1328
	v_add_f64_e32 v[174:175], v[158:159], v[156:157]
	v_add_f64_e32 v[164:165], v[164:165], v[168:169]
	scratch_load_b128 v[156:159], off, off offset:720
	v_fmac_f64_e32 v[170:171], v[138:139], v[12:13]
	v_fma_f64 v[136:137], v[136:137], v[12:13], -v[14:15]
	scratch_load_b128 v[12:15], off, off offset:736
	s_wait_loadcnt_dscnt 0xb01
	v_mul_f64_e32 v[168:169], v[4:5], v[30:31]
	v_mul_f64_e32 v[30:31], v[6:7], v[30:31]
	v_add_f64_e32 v[138:139], v[174:175], v[172:173]
	v_add_f64_e32 v[164:165], v[164:165], v[166:167]
	s_wait_loadcnt_dscnt 0xa00
	v_mul_f64_e32 v[166:167], v[140:141], v[22:23]
	v_mul_f64_e32 v[22:23], v[142:143], v[22:23]
	v_fmac_f64_e32 v[168:169], v[6:7], v[28:29]
	v_fma_f64 v[172:173], v[4:5], v[28:29], -v[30:31]
	ds_load_b128 v[4:7], v2 offset:1344
	ds_load_b128 v[28:31], v2 offset:1360
	v_add_f64_e32 v[136:137], v[138:139], v[136:137]
	v_add_f64_e32 v[138:139], v[164:165], v[170:171]
	v_fmac_f64_e32 v[166:167], v[142:143], v[20:21]
	s_wait_loadcnt_dscnt 0x901
	v_mul_f64_e32 v[164:165], v[4:5], v[134:135]
	v_mul_f64_e32 v[134:135], v[6:7], v[134:135]
	v_fma_f64 v[20:21], v[140:141], v[20:21], -v[22:23]
	v_add_f64_e32 v[22:23], v[136:137], v[172:173]
	v_add_f64_e32 v[136:137], v[138:139], v[168:169]
	s_wait_loadcnt_dscnt 0x800
	v_mul_f64_e32 v[138:139], v[28:29], v[26:27]
	v_mul_f64_e32 v[26:27], v[30:31], v[26:27]
	v_fmac_f64_e32 v[164:165], v[6:7], v[132:133]
	v_fma_f64 v[132:133], v[4:5], v[132:133], -v[134:135]
	v_add_f64_e32 v[134:135], v[22:23], v[20:21]
	v_add_f64_e32 v[136:137], v[136:137], v[166:167]
	ds_load_b128 v[4:7], v2 offset:1376
	ds_load_b128 v[20:23], v2 offset:1392
	v_fmac_f64_e32 v[138:139], v[30:31], v[24:25]
	v_fma_f64 v[24:25], v[28:29], v[24:25], -v[26:27]
	s_wait_loadcnt_dscnt 0x701
	v_mul_f64_e32 v[140:141], v[4:5], v[146:147]
	v_mul_f64_e32 v[142:143], v[6:7], v[146:147]
	s_wait_loadcnt_dscnt 0x600
	v_mul_f64_e32 v[30:31], v[20:21], v[130:131]
	v_mul_f64_e32 v[130:131], v[22:23], v[130:131]
	v_add_f64_e32 v[26:27], v[134:135], v[132:133]
	v_add_f64_e32 v[28:29], v[136:137], v[164:165]
	v_fmac_f64_e32 v[140:141], v[6:7], v[144:145]
	v_fma_f64 v[132:133], v[4:5], v[144:145], -v[142:143]
	v_fmac_f64_e32 v[30:31], v[22:23], v[128:129]
	v_fma_f64 v[20:21], v[20:21], v[128:129], -v[130:131]
	v_add_f64_e32 v[134:135], v[26:27], v[24:25]
	v_add_f64_e32 v[28:29], v[28:29], v[138:139]
	ds_load_b128 v[4:7], v2 offset:1408
	ds_load_b128 v[24:27], v2 offset:1424
	s_wait_loadcnt_dscnt 0x501
	v_mul_f64_e32 v[136:137], v[4:5], v[162:163]
	v_mul_f64_e32 v[138:139], v[6:7], v[162:163]
	s_wait_loadcnt_dscnt 0x400
	v_mul_f64_e32 v[128:129], v[24:25], v[10:11]
	v_mul_f64_e32 v[10:11], v[26:27], v[10:11]
	v_add_f64_e32 v[22:23], v[134:135], v[132:133]
	v_add_f64_e32 v[28:29], v[28:29], v[140:141]
	v_fmac_f64_e32 v[136:137], v[6:7], v[160:161]
	v_fma_f64 v[130:131], v[4:5], v[160:161], -v[138:139]
	v_fmac_f64_e32 v[128:129], v[26:27], v[8:9]
	v_fma_f64 v[8:9], v[24:25], v[8:9], -v[10:11]
	v_add_f64_e32 v[132:133], v[22:23], v[20:21]
	v_add_f64_e32 v[28:29], v[28:29], v[30:31]
	ds_load_b128 v[4:7], v2 offset:1440
	ds_load_b128 v[20:23], v2 offset:1456
	;; [unrolled: 16-line block ×3, first 2 shown]
	s_wait_loadcnt_dscnt 0x101
	v_mul_f64_e32 v[2:3], v[4:5], v[158:159]
	v_mul_f64_e32 v[128:129], v[6:7], v[158:159]
	s_wait_loadcnt_dscnt 0x0
	v_mul_f64_e32 v[22:23], v[8:9], v[14:15]
	v_mul_f64_e32 v[14:15], v[10:11], v[14:15]
	v_add_f64_e32 v[18:19], v[130:131], v[28:29]
	v_add_f64_e32 v[20:21], v[24:25], v[30:31]
	v_fmac_f64_e32 v[2:3], v[6:7], v[156:157]
	v_fma_f64 v[4:5], v[4:5], v[156:157], -v[128:129]
	v_fmac_f64_e32 v[22:23], v[10:11], v[12:13]
	v_fma_f64 v[8:9], v[8:9], v[12:13], -v[14:15]
	v_add_f64_e32 v[6:7], v[18:19], v[16:17]
	v_add_f64_e32 v[16:17], v[20:21], v[26:27]
	s_delay_alu instid0(VALU_DEP_2) | instskip(NEXT) | instid1(VALU_DEP_2)
	v_add_f64_e32 v[4:5], v[6:7], v[4:5]
	v_add_f64_e32 v[2:3], v[16:17], v[2:3]
	s_delay_alu instid0(VALU_DEP_2) | instskip(NEXT) | instid1(VALU_DEP_2)
	;; [unrolled: 3-line block ×3, first 2 shown]
	v_add_f64_e64 v[2:3], v[152:153], -v[4:5]
	v_add_f64_e64 v[4:5], v[154:155], -v[6:7]
	scratch_store_b128 off, v[2:5], off offset:256
	s_wait_xcnt 0x0
	v_cmpx_lt_u32_e32 15, v1
	s_cbranch_execz .LBB110_265
; %bb.264:
	scratch_load_b128 v[2:5], off, s48
	v_mov_b32_e32 v6, 0
	s_delay_alu instid0(VALU_DEP_1)
	v_dual_mov_b32 v7, v6 :: v_dual_mov_b32 v8, v6
	v_mov_b32_e32 v9, v6
	scratch_store_b128 off, v[6:9], off offset:240
	s_wait_loadcnt 0x0
	ds_store_b128 v126, v[2:5]
.LBB110_265:
	s_wait_xcnt 0x0
	s_or_b32 exec_lo, exec_lo, s2
	s_wait_storecnt_dscnt 0x0
	s_barrier_signal -1
	s_barrier_wait -1
	s_clause 0x9
	scratch_load_b128 v[4:7], off, off offset:256
	scratch_load_b128 v[8:11], off, off offset:272
	;; [unrolled: 1-line block ×10, first 2 shown]
	v_mov_b32_e32 v2, 0
	s_mov_b32 s2, exec_lo
	ds_load_b128 v[140:143], v2 offset:1008
	s_clause 0x2
	scratch_load_b128 v[144:147], off, off offset:416
	scratch_load_b128 v[148:151], off, off offset:240
	scratch_load_b128 v[156:159], off, off offset:432
	s_wait_loadcnt_dscnt 0xc00
	v_mul_f64_e32 v[160:161], v[142:143], v[6:7]
	v_mul_f64_e32 v[164:165], v[140:141], v[6:7]
	ds_load_b128 v[152:155], v2 offset:1024
	v_fma_f64 v[168:169], v[140:141], v[4:5], -v[160:161]
	v_fmac_f64_e32 v[164:165], v[142:143], v[4:5]
	ds_load_b128 v[4:7], v2 offset:1040
	s_wait_loadcnt_dscnt 0xb01
	v_mul_f64_e32 v[166:167], v[152:153], v[10:11]
	v_mul_f64_e32 v[10:11], v[154:155], v[10:11]
	scratch_load_b128 v[140:143], off, off offset:448
	ds_load_b128 v[160:163], v2 offset:1056
	s_wait_loadcnt_dscnt 0xb01
	v_mul_f64_e32 v[170:171], v[4:5], v[14:15]
	v_mul_f64_e32 v[14:15], v[6:7], v[14:15]
	v_add_f64_e32 v[164:165], 0, v[164:165]
	v_fmac_f64_e32 v[166:167], v[154:155], v[8:9]
	v_fma_f64 v[152:153], v[152:153], v[8:9], -v[10:11]
	v_add_f64_e32 v[154:155], 0, v[168:169]
	scratch_load_b128 v[8:11], off, off offset:464
	v_fmac_f64_e32 v[170:171], v[6:7], v[12:13]
	v_fma_f64 v[172:173], v[4:5], v[12:13], -v[14:15]
	ds_load_b128 v[4:7], v2 offset:1072
	s_wait_loadcnt_dscnt 0xb01
	v_mul_f64_e32 v[168:169], v[160:161], v[18:19]
	v_mul_f64_e32 v[18:19], v[162:163], v[18:19]
	scratch_load_b128 v[12:15], off, off offset:480
	v_add_f64_e32 v[164:165], v[164:165], v[166:167]
	v_add_f64_e32 v[174:175], v[154:155], v[152:153]
	ds_load_b128 v[152:155], v2 offset:1088
	s_wait_loadcnt_dscnt 0xb01
	v_mul_f64_e32 v[166:167], v[4:5], v[22:23]
	v_mul_f64_e32 v[22:23], v[6:7], v[22:23]
	v_fmac_f64_e32 v[168:169], v[162:163], v[16:17]
	v_fma_f64 v[160:161], v[160:161], v[16:17], -v[18:19]
	scratch_load_b128 v[16:19], off, off offset:496
	v_add_f64_e32 v[164:165], v[164:165], v[170:171]
	v_add_f64_e32 v[162:163], v[174:175], v[172:173]
	v_fmac_f64_e32 v[166:167], v[6:7], v[20:21]
	v_fma_f64 v[172:173], v[4:5], v[20:21], -v[22:23]
	ds_load_b128 v[4:7], v2 offset:1104
	s_wait_loadcnt_dscnt 0xb01
	v_mul_f64_e32 v[170:171], v[152:153], v[26:27]
	v_mul_f64_e32 v[26:27], v[154:155], v[26:27]
	scratch_load_b128 v[20:23], off, off offset:512
	v_add_f64_e32 v[164:165], v[164:165], v[168:169]
	s_wait_loadcnt_dscnt 0xb00
	v_mul_f64_e32 v[168:169], v[4:5], v[30:31]
	v_add_f64_e32 v[174:175], v[162:163], v[160:161]
	v_mul_f64_e32 v[30:31], v[6:7], v[30:31]
	ds_load_b128 v[160:163], v2 offset:1120
	v_fmac_f64_e32 v[170:171], v[154:155], v[24:25]
	v_fma_f64 v[152:153], v[152:153], v[24:25], -v[26:27]
	scratch_load_b128 v[24:27], off, off offset:528
	v_add_f64_e32 v[164:165], v[164:165], v[166:167]
	v_fmac_f64_e32 v[168:169], v[6:7], v[28:29]
	v_add_f64_e32 v[154:155], v[174:175], v[172:173]
	v_fma_f64 v[172:173], v[4:5], v[28:29], -v[30:31]
	ds_load_b128 v[4:7], v2 offset:1136
	s_wait_loadcnt_dscnt 0xb01
	v_mul_f64_e32 v[166:167], v[160:161], v[130:131]
	v_mul_f64_e32 v[130:131], v[162:163], v[130:131]
	scratch_load_b128 v[28:31], off, off offset:544
	v_add_f64_e32 v[164:165], v[164:165], v[170:171]
	s_wait_loadcnt_dscnt 0xb00
	v_mul_f64_e32 v[170:171], v[4:5], v[134:135]
	v_add_f64_e32 v[174:175], v[154:155], v[152:153]
	v_mul_f64_e32 v[134:135], v[6:7], v[134:135]
	ds_load_b128 v[152:155], v2 offset:1152
	v_fmac_f64_e32 v[166:167], v[162:163], v[128:129]
	v_fma_f64 v[160:161], v[160:161], v[128:129], -v[130:131]
	scratch_load_b128 v[128:131], off, off offset:560
	v_add_f64_e32 v[164:165], v[164:165], v[168:169]
	v_fmac_f64_e32 v[170:171], v[6:7], v[132:133]
	v_add_f64_e32 v[162:163], v[174:175], v[172:173]
	;; [unrolled: 18-line block ×3, first 2 shown]
	v_fma_f64 v[172:173], v[4:5], v[144:145], -v[146:147]
	ds_load_b128 v[4:7], v2 offset:1200
	s_wait_loadcnt_dscnt 0xa01
	v_mul_f64_e32 v[170:171], v[160:161], v[158:159]
	v_mul_f64_e32 v[158:159], v[162:163], v[158:159]
	scratch_load_b128 v[144:147], off, off offset:608
	v_add_f64_e32 v[164:165], v[164:165], v[168:169]
	v_add_f64_e32 v[174:175], v[154:155], v[152:153]
	s_wait_loadcnt_dscnt 0xa00
	v_mul_f64_e32 v[168:169], v[4:5], v[142:143]
	v_mul_f64_e32 v[142:143], v[6:7], v[142:143]
	v_fmac_f64_e32 v[170:171], v[162:163], v[156:157]
	v_fma_f64 v[160:161], v[160:161], v[156:157], -v[158:159]
	ds_load_b128 v[152:155], v2 offset:1216
	scratch_load_b128 v[156:159], off, off offset:624
	v_add_f64_e32 v[164:165], v[164:165], v[166:167]
	v_add_f64_e32 v[162:163], v[174:175], v[172:173]
	v_fmac_f64_e32 v[168:169], v[6:7], v[140:141]
	v_fma_f64 v[172:173], v[4:5], v[140:141], -v[142:143]
	ds_load_b128 v[4:7], v2 offset:1232
	s_wait_loadcnt_dscnt 0xa01
	v_mul_f64_e32 v[166:167], v[152:153], v[10:11]
	v_mul_f64_e32 v[10:11], v[154:155], v[10:11]
	scratch_load_b128 v[140:143], off, off offset:640
	v_add_f64_e32 v[164:165], v[164:165], v[170:171]
	s_wait_loadcnt_dscnt 0xa00
	v_mul_f64_e32 v[170:171], v[4:5], v[14:15]
	v_add_f64_e32 v[174:175], v[162:163], v[160:161]
	v_mul_f64_e32 v[14:15], v[6:7], v[14:15]
	ds_load_b128 v[160:163], v2 offset:1248
	v_fmac_f64_e32 v[166:167], v[154:155], v[8:9]
	v_fma_f64 v[152:153], v[152:153], v[8:9], -v[10:11]
	scratch_load_b128 v[8:11], off, off offset:656
	v_add_f64_e32 v[164:165], v[164:165], v[168:169]
	v_fmac_f64_e32 v[170:171], v[6:7], v[12:13]
	v_add_f64_e32 v[154:155], v[174:175], v[172:173]
	v_fma_f64 v[172:173], v[4:5], v[12:13], -v[14:15]
	ds_load_b128 v[4:7], v2 offset:1264
	s_wait_loadcnt_dscnt 0xa01
	v_mul_f64_e32 v[168:169], v[160:161], v[18:19]
	v_mul_f64_e32 v[18:19], v[162:163], v[18:19]
	scratch_load_b128 v[12:15], off, off offset:672
	v_add_f64_e32 v[164:165], v[164:165], v[166:167]
	s_wait_loadcnt_dscnt 0xa00
	v_mul_f64_e32 v[166:167], v[4:5], v[22:23]
	v_add_f64_e32 v[174:175], v[154:155], v[152:153]
	v_mul_f64_e32 v[22:23], v[6:7], v[22:23]
	ds_load_b128 v[152:155], v2 offset:1280
	v_fmac_f64_e32 v[168:169], v[162:163], v[16:17]
	v_fma_f64 v[160:161], v[160:161], v[16:17], -v[18:19]
	scratch_load_b128 v[16:19], off, off offset:688
	v_add_f64_e32 v[164:165], v[164:165], v[170:171]
	v_fmac_f64_e32 v[166:167], v[6:7], v[20:21]
	v_add_f64_e32 v[162:163], v[174:175], v[172:173]
	;; [unrolled: 18-line block ×3, first 2 shown]
	v_fma_f64 v[172:173], v[4:5], v[28:29], -v[30:31]
	ds_load_b128 v[4:7], v2 offset:1328
	s_wait_loadcnt_dscnt 0xa01
	v_mul_f64_e32 v[166:167], v[160:161], v[130:131]
	v_mul_f64_e32 v[130:131], v[162:163], v[130:131]
	scratch_load_b128 v[28:31], off, off offset:736
	v_add_f64_e32 v[164:165], v[164:165], v[170:171]
	s_wait_loadcnt_dscnt 0xa00
	v_mul_f64_e32 v[170:171], v[4:5], v[134:135]
	v_add_f64_e32 v[174:175], v[154:155], v[152:153]
	v_mul_f64_e32 v[134:135], v[6:7], v[134:135]
	ds_load_b128 v[152:155], v2 offset:1344
	v_fmac_f64_e32 v[166:167], v[162:163], v[128:129]
	v_fma_f64 v[128:129], v[160:161], v[128:129], -v[130:131]
	s_wait_loadcnt_dscnt 0x900
	v_mul_f64_e32 v[162:163], v[152:153], v[138:139]
	v_mul_f64_e32 v[138:139], v[154:155], v[138:139]
	v_add_f64_e32 v[160:161], v[164:165], v[168:169]
	v_fmac_f64_e32 v[170:171], v[6:7], v[132:133]
	v_add_f64_e32 v[130:131], v[174:175], v[172:173]
	v_fma_f64 v[132:133], v[4:5], v[132:133], -v[134:135]
	v_fmac_f64_e32 v[162:163], v[154:155], v[136:137]
	v_fma_f64 v[136:137], v[152:153], v[136:137], -v[138:139]
	v_add_f64_e32 v[160:161], v[160:161], v[166:167]
	v_add_f64_e32 v[134:135], v[130:131], v[128:129]
	ds_load_b128 v[4:7], v2 offset:1360
	ds_load_b128 v[128:131], v2 offset:1376
	s_wait_loadcnt_dscnt 0x801
	v_mul_f64_e32 v[164:165], v[4:5], v[146:147]
	v_mul_f64_e32 v[146:147], v[6:7], v[146:147]
	s_wait_loadcnt_dscnt 0x700
	v_mul_f64_e32 v[138:139], v[128:129], v[158:159]
	v_mul_f64_e32 v[152:153], v[130:131], v[158:159]
	v_add_f64_e32 v[132:133], v[134:135], v[132:133]
	v_add_f64_e32 v[134:135], v[160:161], v[170:171]
	v_fmac_f64_e32 v[164:165], v[6:7], v[144:145]
	v_fma_f64 v[144:145], v[4:5], v[144:145], -v[146:147]
	v_fmac_f64_e32 v[138:139], v[130:131], v[156:157]
	v_fma_f64 v[128:129], v[128:129], v[156:157], -v[152:153]
	v_add_f64_e32 v[136:137], v[132:133], v[136:137]
	v_add_f64_e32 v[146:147], v[134:135], v[162:163]
	ds_load_b128 v[4:7], v2 offset:1392
	ds_load_b128 v[132:135], v2 offset:1408
	s_wait_loadcnt_dscnt 0x601
	v_mul_f64_e32 v[154:155], v[4:5], v[142:143]
	v_mul_f64_e32 v[142:143], v[6:7], v[142:143]
	v_add_f64_e32 v[130:131], v[136:137], v[144:145]
	v_add_f64_e32 v[136:137], v[146:147], v[164:165]
	s_wait_loadcnt_dscnt 0x500
	v_mul_f64_e32 v[144:145], v[132:133], v[10:11]
	v_mul_f64_e32 v[10:11], v[134:135], v[10:11]
	v_fmac_f64_e32 v[154:155], v[6:7], v[140:141]
	v_fma_f64 v[140:141], v[4:5], v[140:141], -v[142:143]
	v_add_f64_e32 v[142:143], v[130:131], v[128:129]
	v_add_f64_e32 v[136:137], v[136:137], v[138:139]
	ds_load_b128 v[4:7], v2 offset:1424
	ds_load_b128 v[128:131], v2 offset:1440
	v_fmac_f64_e32 v[144:145], v[134:135], v[8:9]
	v_fma_f64 v[8:9], v[132:133], v[8:9], -v[10:11]
	s_wait_loadcnt_dscnt 0x401
	v_mul_f64_e32 v[138:139], v[4:5], v[14:15]
	v_mul_f64_e32 v[14:15], v[6:7], v[14:15]
	s_wait_loadcnt_dscnt 0x300
	v_mul_f64_e32 v[134:135], v[128:129], v[18:19]
	v_mul_f64_e32 v[18:19], v[130:131], v[18:19]
	v_add_f64_e32 v[10:11], v[142:143], v[140:141]
	v_add_f64_e32 v[132:133], v[136:137], v[154:155]
	v_fmac_f64_e32 v[138:139], v[6:7], v[12:13]
	v_fma_f64 v[12:13], v[4:5], v[12:13], -v[14:15]
	v_fmac_f64_e32 v[134:135], v[130:131], v[16:17]
	v_fma_f64 v[16:17], v[128:129], v[16:17], -v[18:19]
	v_add_f64_e32 v[14:15], v[10:11], v[8:9]
	v_add_f64_e32 v[132:133], v[132:133], v[144:145]
	ds_load_b128 v[4:7], v2 offset:1456
	ds_load_b128 v[8:11], v2 offset:1472
	s_wait_loadcnt_dscnt 0x201
	v_mul_f64_e32 v[136:137], v[4:5], v[22:23]
	v_mul_f64_e32 v[22:23], v[6:7], v[22:23]
	s_wait_loadcnt_dscnt 0x100
	v_mul_f64_e32 v[18:19], v[8:9], v[26:27]
	v_mul_f64_e32 v[26:27], v[10:11], v[26:27]
	v_add_f64_e32 v[12:13], v[14:15], v[12:13]
	v_add_f64_e32 v[14:15], v[132:133], v[138:139]
	v_fmac_f64_e32 v[136:137], v[6:7], v[20:21]
	v_fma_f64 v[20:21], v[4:5], v[20:21], -v[22:23]
	ds_load_b128 v[4:7], v2 offset:1488
	v_fmac_f64_e32 v[18:19], v[10:11], v[24:25]
	v_fma_f64 v[8:9], v[8:9], v[24:25], -v[26:27]
	v_add_f64_e32 v[12:13], v[12:13], v[16:17]
	v_add_f64_e32 v[14:15], v[14:15], v[134:135]
	s_wait_loadcnt_dscnt 0x0
	v_mul_f64_e32 v[16:17], v[4:5], v[30:31]
	v_mul_f64_e32 v[22:23], v[6:7], v[30:31]
	s_delay_alu instid0(VALU_DEP_4) | instskip(NEXT) | instid1(VALU_DEP_4)
	v_add_f64_e32 v[10:11], v[12:13], v[20:21]
	v_add_f64_e32 v[12:13], v[14:15], v[136:137]
	s_delay_alu instid0(VALU_DEP_4) | instskip(NEXT) | instid1(VALU_DEP_4)
	v_fmac_f64_e32 v[16:17], v[6:7], v[28:29]
	v_fma_f64 v[4:5], v[4:5], v[28:29], -v[22:23]
	s_delay_alu instid0(VALU_DEP_4) | instskip(NEXT) | instid1(VALU_DEP_4)
	v_add_f64_e32 v[6:7], v[10:11], v[8:9]
	v_add_f64_e32 v[8:9], v[12:13], v[18:19]
	s_delay_alu instid0(VALU_DEP_2) | instskip(NEXT) | instid1(VALU_DEP_2)
	v_add_f64_e32 v[4:5], v[6:7], v[4:5]
	v_add_f64_e32 v[6:7], v[8:9], v[16:17]
	s_delay_alu instid0(VALU_DEP_2) | instskip(NEXT) | instid1(VALU_DEP_2)
	v_add_f64_e64 v[4:5], v[148:149], -v[4:5]
	v_add_f64_e64 v[6:7], v[150:151], -v[6:7]
	scratch_store_b128 off, v[4:7], off offset:240
	s_wait_xcnt 0x0
	v_cmpx_lt_u32_e32 14, v1
	s_cbranch_execz .LBB110_267
; %bb.266:
	scratch_load_b128 v[6:9], off, s49
	v_dual_mov_b32 v3, v2 :: v_dual_mov_b32 v4, v2
	v_mov_b32_e32 v5, v2
	scratch_store_b128 off, v[2:5], off offset:224
	s_wait_loadcnt 0x0
	ds_store_b128 v126, v[6:9]
.LBB110_267:
	s_wait_xcnt 0x0
	s_or_b32 exec_lo, exec_lo, s2
	s_wait_storecnt_dscnt 0x0
	s_barrier_signal -1
	s_barrier_wait -1
	s_clause 0x9
	scratch_load_b128 v[4:7], off, off offset:240
	scratch_load_b128 v[8:11], off, off offset:256
	;; [unrolled: 1-line block ×10, first 2 shown]
	ds_load_b128 v[140:143], v2 offset:992
	ds_load_b128 v[148:151], v2 offset:1008
	s_clause 0x2
	scratch_load_b128 v[144:147], off, off offset:400
	scratch_load_b128 v[152:155], off, off offset:224
	;; [unrolled: 1-line block ×3, first 2 shown]
	s_mov_b32 s2, exec_lo
	s_wait_loadcnt_dscnt 0xc01
	v_mul_f64_e32 v[160:161], v[142:143], v[6:7]
	v_mul_f64_e32 v[164:165], v[140:141], v[6:7]
	s_wait_loadcnt_dscnt 0xb00
	v_mul_f64_e32 v[166:167], v[148:149], v[10:11]
	v_mul_f64_e32 v[10:11], v[150:151], v[10:11]
	s_delay_alu instid0(VALU_DEP_4) | instskip(NEXT) | instid1(VALU_DEP_4)
	v_fma_f64 v[168:169], v[140:141], v[4:5], -v[160:161]
	v_fmac_f64_e32 v[164:165], v[142:143], v[4:5]
	ds_load_b128 v[4:7], v2 offset:1024
	ds_load_b128 v[140:143], v2 offset:1040
	scratch_load_b128 v[160:163], off, off offset:432
	v_fmac_f64_e32 v[166:167], v[150:151], v[8:9]
	v_fma_f64 v[148:149], v[148:149], v[8:9], -v[10:11]
	scratch_load_b128 v[8:11], off, off offset:448
	s_wait_loadcnt_dscnt 0xc01
	v_mul_f64_e32 v[170:171], v[4:5], v[14:15]
	v_mul_f64_e32 v[14:15], v[6:7], v[14:15]
	v_add_f64_e32 v[150:151], 0, v[168:169]
	v_add_f64_e32 v[164:165], 0, v[164:165]
	s_wait_loadcnt_dscnt 0xb00
	v_mul_f64_e32 v[168:169], v[140:141], v[18:19]
	v_mul_f64_e32 v[18:19], v[142:143], v[18:19]
	v_fmac_f64_e32 v[170:171], v[6:7], v[12:13]
	v_fma_f64 v[172:173], v[4:5], v[12:13], -v[14:15]
	ds_load_b128 v[4:7], v2 offset:1056
	ds_load_b128 v[12:15], v2 offset:1072
	v_add_f64_e32 v[174:175], v[150:151], v[148:149]
	v_add_f64_e32 v[164:165], v[164:165], v[166:167]
	scratch_load_b128 v[148:151], off, off offset:464
	v_fmac_f64_e32 v[168:169], v[142:143], v[16:17]
	v_fma_f64 v[140:141], v[140:141], v[16:17], -v[18:19]
	scratch_load_b128 v[16:19], off, off offset:480
	s_wait_loadcnt_dscnt 0xc01
	v_mul_f64_e32 v[166:167], v[4:5], v[22:23]
	v_mul_f64_e32 v[22:23], v[6:7], v[22:23]
	v_add_f64_e32 v[142:143], v[174:175], v[172:173]
	v_add_f64_e32 v[164:165], v[164:165], v[170:171]
	s_wait_loadcnt_dscnt 0xb00
	v_mul_f64_e32 v[170:171], v[12:13], v[26:27]
	v_mul_f64_e32 v[26:27], v[14:15], v[26:27]
	v_fmac_f64_e32 v[166:167], v[6:7], v[20:21]
	v_fma_f64 v[172:173], v[4:5], v[20:21], -v[22:23]
	ds_load_b128 v[4:7], v2 offset:1088
	ds_load_b128 v[20:23], v2 offset:1104
	v_add_f64_e32 v[174:175], v[142:143], v[140:141]
	v_add_f64_e32 v[164:165], v[164:165], v[168:169]
	scratch_load_b128 v[140:143], off, off offset:496
	s_wait_loadcnt_dscnt 0xb01
	v_mul_f64_e32 v[168:169], v[4:5], v[30:31]
	v_mul_f64_e32 v[30:31], v[6:7], v[30:31]
	v_fmac_f64_e32 v[170:171], v[14:15], v[24:25]
	v_fma_f64 v[24:25], v[12:13], v[24:25], -v[26:27]
	scratch_load_b128 v[12:15], off, off offset:512
	v_add_f64_e32 v[26:27], v[174:175], v[172:173]
	v_add_f64_e32 v[164:165], v[164:165], v[166:167]
	s_wait_loadcnt_dscnt 0xb00
	v_mul_f64_e32 v[166:167], v[20:21], v[130:131]
	v_mul_f64_e32 v[130:131], v[22:23], v[130:131]
	v_fmac_f64_e32 v[168:169], v[6:7], v[28:29]
	v_fma_f64 v[172:173], v[4:5], v[28:29], -v[30:31]
	v_add_f64_e32 v[174:175], v[26:27], v[24:25]
	v_add_f64_e32 v[164:165], v[164:165], v[170:171]
	ds_load_b128 v[4:7], v2 offset:1120
	ds_load_b128 v[24:27], v2 offset:1136
	scratch_load_b128 v[28:31], off, off offset:528
	v_fmac_f64_e32 v[166:167], v[22:23], v[128:129]
	v_fma_f64 v[128:129], v[20:21], v[128:129], -v[130:131]
	scratch_load_b128 v[20:23], off, off offset:544
	s_wait_loadcnt_dscnt 0xc01
	v_mul_f64_e32 v[170:171], v[4:5], v[134:135]
	v_mul_f64_e32 v[134:135], v[6:7], v[134:135]
	v_add_f64_e32 v[130:131], v[174:175], v[172:173]
	v_add_f64_e32 v[164:165], v[164:165], v[168:169]
	s_wait_loadcnt_dscnt 0xb00
	v_mul_f64_e32 v[168:169], v[24:25], v[138:139]
	v_mul_f64_e32 v[138:139], v[26:27], v[138:139]
	v_fmac_f64_e32 v[170:171], v[6:7], v[132:133]
	v_fma_f64 v[172:173], v[4:5], v[132:133], -v[134:135]
	v_add_f64_e32 v[174:175], v[130:131], v[128:129]
	v_add_f64_e32 v[164:165], v[164:165], v[166:167]
	ds_load_b128 v[4:7], v2 offset:1152
	ds_load_b128 v[128:131], v2 offset:1168
	scratch_load_b128 v[132:135], off, off offset:560
	v_fmac_f64_e32 v[168:169], v[26:27], v[136:137]
	v_fma_f64 v[136:137], v[24:25], v[136:137], -v[138:139]
	scratch_load_b128 v[24:27], off, off offset:576
	s_wait_loadcnt_dscnt 0xc01
	v_mul_f64_e32 v[166:167], v[4:5], v[146:147]
	v_mul_f64_e32 v[146:147], v[6:7], v[146:147]
	;; [unrolled: 18-line block ×5, first 2 shown]
	v_add_f64_e32 v[158:159], v[174:175], v[172:173]
	v_add_f64_e32 v[164:165], v[164:165], v[170:171]
	s_wait_loadcnt_dscnt 0xa00
	v_mul_f64_e32 v[170:171], v[136:137], v[14:15]
	v_mul_f64_e32 v[14:15], v[138:139], v[14:15]
	v_fmac_f64_e32 v[166:167], v[6:7], v[140:141]
	v_fma_f64 v[172:173], v[4:5], v[140:141], -v[142:143]
	ds_load_b128 v[4:7], v2 offset:1280
	ds_load_b128 v[140:143], v2 offset:1296
	v_add_f64_e32 v[174:175], v[158:159], v[156:157]
	v_add_f64_e32 v[164:165], v[164:165], v[168:169]
	scratch_load_b128 v[156:159], off, off offset:688
	v_fmac_f64_e32 v[170:171], v[138:139], v[12:13]
	v_fma_f64 v[136:137], v[136:137], v[12:13], -v[14:15]
	scratch_load_b128 v[12:15], off, off offset:704
	s_wait_loadcnt_dscnt 0xb01
	v_mul_f64_e32 v[168:169], v[4:5], v[30:31]
	v_mul_f64_e32 v[30:31], v[6:7], v[30:31]
	v_add_f64_e32 v[138:139], v[174:175], v[172:173]
	v_add_f64_e32 v[164:165], v[164:165], v[166:167]
	s_wait_loadcnt_dscnt 0xa00
	v_mul_f64_e32 v[166:167], v[140:141], v[22:23]
	v_mul_f64_e32 v[22:23], v[142:143], v[22:23]
	v_fmac_f64_e32 v[168:169], v[6:7], v[28:29]
	v_fma_f64 v[172:173], v[4:5], v[28:29], -v[30:31]
	ds_load_b128 v[4:7], v2 offset:1312
	ds_load_b128 v[28:31], v2 offset:1328
	v_add_f64_e32 v[174:175], v[138:139], v[136:137]
	v_add_f64_e32 v[164:165], v[164:165], v[170:171]
	scratch_load_b128 v[136:139], off, off offset:720
	s_wait_loadcnt_dscnt 0xa01
	v_mul_f64_e32 v[170:171], v[4:5], v[134:135]
	v_mul_f64_e32 v[134:135], v[6:7], v[134:135]
	v_fmac_f64_e32 v[166:167], v[142:143], v[20:21]
	v_fma_f64 v[140:141], v[140:141], v[20:21], -v[22:23]
	scratch_load_b128 v[20:23], off, off offset:736
	v_add_f64_e32 v[142:143], v[174:175], v[172:173]
	v_add_f64_e32 v[164:165], v[164:165], v[168:169]
	s_wait_loadcnt_dscnt 0xa00
	v_mul_f64_e32 v[168:169], v[28:29], v[26:27]
	v_mul_f64_e32 v[26:27], v[30:31], v[26:27]
	v_fmac_f64_e32 v[170:171], v[6:7], v[132:133]
	v_fma_f64 v[172:173], v[4:5], v[132:133], -v[134:135]
	ds_load_b128 v[4:7], v2 offset:1344
	ds_load_b128 v[132:135], v2 offset:1360
	v_add_f64_e32 v[140:141], v[142:143], v[140:141]
	v_add_f64_e32 v[142:143], v[164:165], v[166:167]
	v_fmac_f64_e32 v[168:169], v[30:31], v[24:25]
	s_wait_loadcnt_dscnt 0x901
	v_mul_f64_e32 v[164:165], v[4:5], v[146:147]
	v_mul_f64_e32 v[146:147], v[6:7], v[146:147]
	v_fma_f64 v[24:25], v[28:29], v[24:25], -v[26:27]
	s_wait_loadcnt_dscnt 0x800
	v_mul_f64_e32 v[30:31], v[132:133], v[130:131]
	v_mul_f64_e32 v[130:131], v[134:135], v[130:131]
	v_add_f64_e32 v[26:27], v[140:141], v[172:173]
	v_add_f64_e32 v[28:29], v[142:143], v[170:171]
	v_fmac_f64_e32 v[164:165], v[6:7], v[144:145]
	v_fma_f64 v[140:141], v[4:5], v[144:145], -v[146:147]
	v_fmac_f64_e32 v[30:31], v[134:135], v[128:129]
	v_fma_f64 v[128:129], v[132:133], v[128:129], -v[130:131]
	v_add_f64_e32 v[142:143], v[26:27], v[24:25]
	v_add_f64_e32 v[28:29], v[28:29], v[168:169]
	ds_load_b128 v[4:7], v2 offset:1376
	ds_load_b128 v[24:27], v2 offset:1392
	s_wait_loadcnt_dscnt 0x701
	v_mul_f64_e32 v[144:145], v[4:5], v[162:163]
	v_mul_f64_e32 v[146:147], v[6:7], v[162:163]
	s_wait_loadcnt_dscnt 0x600
	v_mul_f64_e32 v[132:133], v[24:25], v[10:11]
	v_mul_f64_e32 v[10:11], v[26:27], v[10:11]
	v_add_f64_e32 v[130:131], v[142:143], v[140:141]
	v_add_f64_e32 v[28:29], v[28:29], v[164:165]
	v_fmac_f64_e32 v[144:145], v[6:7], v[160:161]
	v_fma_f64 v[134:135], v[4:5], v[160:161], -v[146:147]
	v_fmac_f64_e32 v[132:133], v[26:27], v[8:9]
	v_fma_f64 v[8:9], v[24:25], v[8:9], -v[10:11]
	v_add_f64_e32 v[128:129], v[130:131], v[128:129]
	v_add_f64_e32 v[130:131], v[28:29], v[30:31]
	ds_load_b128 v[4:7], v2 offset:1408
	ds_load_b128 v[28:31], v2 offset:1424
	s_wait_loadcnt_dscnt 0x501
	v_mul_f64_e32 v[140:141], v[4:5], v[150:151]
	v_mul_f64_e32 v[142:143], v[6:7], v[150:151]
	;; [unrolled: 16-line block ×4, first 2 shown]
	v_add_f64_e32 v[10:11], v[18:19], v[128:129]
	v_add_f64_e32 v[12:13], v[24:25], v[132:133]
	s_wait_loadcnt_dscnt 0x0
	v_mul_f64_e32 v[18:19], v[14:15], v[22:23]
	v_mul_f64_e32 v[22:23], v[16:17], v[22:23]
	v_fmac_f64_e32 v[2:3], v[6:7], v[136:137]
	v_fma_f64 v[4:5], v[4:5], v[136:137], -v[26:27]
	v_add_f64_e32 v[6:7], v[10:11], v[8:9]
	v_add_f64_e32 v[8:9], v[12:13], v[28:29]
	v_fmac_f64_e32 v[18:19], v[16:17], v[20:21]
	v_fma_f64 v[10:11], v[14:15], v[20:21], -v[22:23]
	s_delay_alu instid0(VALU_DEP_4) | instskip(NEXT) | instid1(VALU_DEP_4)
	v_add_f64_e32 v[4:5], v[6:7], v[4:5]
	v_add_f64_e32 v[2:3], v[8:9], v[2:3]
	s_delay_alu instid0(VALU_DEP_2) | instskip(NEXT) | instid1(VALU_DEP_2)
	v_add_f64_e32 v[4:5], v[4:5], v[10:11]
	v_add_f64_e32 v[6:7], v[2:3], v[18:19]
	s_delay_alu instid0(VALU_DEP_2) | instskip(NEXT) | instid1(VALU_DEP_2)
	v_add_f64_e64 v[2:3], v[152:153], -v[4:5]
	v_add_f64_e64 v[4:5], v[154:155], -v[6:7]
	scratch_store_b128 off, v[2:5], off offset:224
	s_wait_xcnt 0x0
	v_cmpx_lt_u32_e32 13, v1
	s_cbranch_execz .LBB110_269
; %bb.268:
	scratch_load_b128 v[2:5], off, s50
	v_mov_b32_e32 v6, 0
	s_delay_alu instid0(VALU_DEP_1)
	v_dual_mov_b32 v7, v6 :: v_dual_mov_b32 v8, v6
	v_mov_b32_e32 v9, v6
	scratch_store_b128 off, v[6:9], off offset:208
	s_wait_loadcnt 0x0
	ds_store_b128 v126, v[2:5]
.LBB110_269:
	s_wait_xcnt 0x0
	s_or_b32 exec_lo, exec_lo, s2
	s_wait_storecnt_dscnt 0x0
	s_barrier_signal -1
	s_barrier_wait -1
	s_clause 0x9
	scratch_load_b128 v[4:7], off, off offset:224
	scratch_load_b128 v[8:11], off, off offset:240
	;; [unrolled: 1-line block ×10, first 2 shown]
	v_mov_b32_e32 v2, 0
	s_mov_b32 s2, exec_lo
	ds_load_b128 v[140:143], v2 offset:976
	s_clause 0x2
	scratch_load_b128 v[144:147], off, off offset:384
	scratch_load_b128 v[148:151], off, off offset:208
	;; [unrolled: 1-line block ×3, first 2 shown]
	s_wait_loadcnt_dscnt 0xc00
	v_mul_f64_e32 v[160:161], v[142:143], v[6:7]
	v_mul_f64_e32 v[164:165], v[140:141], v[6:7]
	ds_load_b128 v[152:155], v2 offset:992
	v_fma_f64 v[168:169], v[140:141], v[4:5], -v[160:161]
	v_fmac_f64_e32 v[164:165], v[142:143], v[4:5]
	ds_load_b128 v[4:7], v2 offset:1008
	s_wait_loadcnt_dscnt 0xb01
	v_mul_f64_e32 v[166:167], v[152:153], v[10:11]
	v_mul_f64_e32 v[10:11], v[154:155], v[10:11]
	scratch_load_b128 v[140:143], off, off offset:416
	ds_load_b128 v[160:163], v2 offset:1024
	s_wait_loadcnt_dscnt 0xb01
	v_mul_f64_e32 v[170:171], v[4:5], v[14:15]
	v_mul_f64_e32 v[14:15], v[6:7], v[14:15]
	v_add_f64_e32 v[164:165], 0, v[164:165]
	v_fmac_f64_e32 v[166:167], v[154:155], v[8:9]
	v_fma_f64 v[152:153], v[152:153], v[8:9], -v[10:11]
	v_add_f64_e32 v[154:155], 0, v[168:169]
	scratch_load_b128 v[8:11], off, off offset:432
	v_fmac_f64_e32 v[170:171], v[6:7], v[12:13]
	v_fma_f64 v[172:173], v[4:5], v[12:13], -v[14:15]
	ds_load_b128 v[4:7], v2 offset:1040
	s_wait_loadcnt_dscnt 0xb01
	v_mul_f64_e32 v[168:169], v[160:161], v[18:19]
	v_mul_f64_e32 v[18:19], v[162:163], v[18:19]
	scratch_load_b128 v[12:15], off, off offset:448
	v_add_f64_e32 v[164:165], v[164:165], v[166:167]
	v_add_f64_e32 v[174:175], v[154:155], v[152:153]
	ds_load_b128 v[152:155], v2 offset:1056
	s_wait_loadcnt_dscnt 0xb01
	v_mul_f64_e32 v[166:167], v[4:5], v[22:23]
	v_mul_f64_e32 v[22:23], v[6:7], v[22:23]
	v_fmac_f64_e32 v[168:169], v[162:163], v[16:17]
	v_fma_f64 v[160:161], v[160:161], v[16:17], -v[18:19]
	scratch_load_b128 v[16:19], off, off offset:464
	v_add_f64_e32 v[164:165], v[164:165], v[170:171]
	v_add_f64_e32 v[162:163], v[174:175], v[172:173]
	v_fmac_f64_e32 v[166:167], v[6:7], v[20:21]
	v_fma_f64 v[172:173], v[4:5], v[20:21], -v[22:23]
	ds_load_b128 v[4:7], v2 offset:1072
	s_wait_loadcnt_dscnt 0xb01
	v_mul_f64_e32 v[170:171], v[152:153], v[26:27]
	v_mul_f64_e32 v[26:27], v[154:155], v[26:27]
	scratch_load_b128 v[20:23], off, off offset:480
	v_add_f64_e32 v[164:165], v[164:165], v[168:169]
	s_wait_loadcnt_dscnt 0xb00
	v_mul_f64_e32 v[168:169], v[4:5], v[30:31]
	v_add_f64_e32 v[174:175], v[162:163], v[160:161]
	v_mul_f64_e32 v[30:31], v[6:7], v[30:31]
	ds_load_b128 v[160:163], v2 offset:1088
	v_fmac_f64_e32 v[170:171], v[154:155], v[24:25]
	v_fma_f64 v[152:153], v[152:153], v[24:25], -v[26:27]
	scratch_load_b128 v[24:27], off, off offset:496
	v_add_f64_e32 v[164:165], v[164:165], v[166:167]
	v_fmac_f64_e32 v[168:169], v[6:7], v[28:29]
	v_add_f64_e32 v[154:155], v[174:175], v[172:173]
	v_fma_f64 v[172:173], v[4:5], v[28:29], -v[30:31]
	ds_load_b128 v[4:7], v2 offset:1104
	s_wait_loadcnt_dscnt 0xb01
	v_mul_f64_e32 v[166:167], v[160:161], v[130:131]
	v_mul_f64_e32 v[130:131], v[162:163], v[130:131]
	scratch_load_b128 v[28:31], off, off offset:512
	v_add_f64_e32 v[164:165], v[164:165], v[170:171]
	s_wait_loadcnt_dscnt 0xb00
	v_mul_f64_e32 v[170:171], v[4:5], v[134:135]
	v_add_f64_e32 v[174:175], v[154:155], v[152:153]
	v_mul_f64_e32 v[134:135], v[6:7], v[134:135]
	ds_load_b128 v[152:155], v2 offset:1120
	v_fmac_f64_e32 v[166:167], v[162:163], v[128:129]
	v_fma_f64 v[160:161], v[160:161], v[128:129], -v[130:131]
	scratch_load_b128 v[128:131], off, off offset:528
	v_add_f64_e32 v[164:165], v[164:165], v[168:169]
	v_fmac_f64_e32 v[170:171], v[6:7], v[132:133]
	v_add_f64_e32 v[162:163], v[174:175], v[172:173]
	;; [unrolled: 18-line block ×3, first 2 shown]
	v_fma_f64 v[172:173], v[4:5], v[144:145], -v[146:147]
	ds_load_b128 v[4:7], v2 offset:1168
	s_wait_loadcnt_dscnt 0xa01
	v_mul_f64_e32 v[170:171], v[160:161], v[158:159]
	v_mul_f64_e32 v[158:159], v[162:163], v[158:159]
	scratch_load_b128 v[144:147], off, off offset:576
	v_add_f64_e32 v[164:165], v[164:165], v[168:169]
	v_add_f64_e32 v[174:175], v[154:155], v[152:153]
	s_wait_loadcnt_dscnt 0xa00
	v_mul_f64_e32 v[168:169], v[4:5], v[142:143]
	v_mul_f64_e32 v[142:143], v[6:7], v[142:143]
	v_fmac_f64_e32 v[170:171], v[162:163], v[156:157]
	v_fma_f64 v[160:161], v[160:161], v[156:157], -v[158:159]
	ds_load_b128 v[152:155], v2 offset:1184
	scratch_load_b128 v[156:159], off, off offset:592
	v_add_f64_e32 v[164:165], v[164:165], v[166:167]
	v_add_f64_e32 v[162:163], v[174:175], v[172:173]
	v_fmac_f64_e32 v[168:169], v[6:7], v[140:141]
	v_fma_f64 v[172:173], v[4:5], v[140:141], -v[142:143]
	ds_load_b128 v[4:7], v2 offset:1200
	s_wait_loadcnt_dscnt 0xa01
	v_mul_f64_e32 v[166:167], v[152:153], v[10:11]
	v_mul_f64_e32 v[10:11], v[154:155], v[10:11]
	scratch_load_b128 v[140:143], off, off offset:608
	v_add_f64_e32 v[164:165], v[164:165], v[170:171]
	s_wait_loadcnt_dscnt 0xa00
	v_mul_f64_e32 v[170:171], v[4:5], v[14:15]
	v_add_f64_e32 v[174:175], v[162:163], v[160:161]
	v_mul_f64_e32 v[14:15], v[6:7], v[14:15]
	ds_load_b128 v[160:163], v2 offset:1216
	v_fmac_f64_e32 v[166:167], v[154:155], v[8:9]
	v_fma_f64 v[152:153], v[152:153], v[8:9], -v[10:11]
	scratch_load_b128 v[8:11], off, off offset:624
	v_add_f64_e32 v[164:165], v[164:165], v[168:169]
	v_fmac_f64_e32 v[170:171], v[6:7], v[12:13]
	v_add_f64_e32 v[154:155], v[174:175], v[172:173]
	v_fma_f64 v[172:173], v[4:5], v[12:13], -v[14:15]
	ds_load_b128 v[4:7], v2 offset:1232
	s_wait_loadcnt_dscnt 0xa01
	v_mul_f64_e32 v[168:169], v[160:161], v[18:19]
	v_mul_f64_e32 v[18:19], v[162:163], v[18:19]
	scratch_load_b128 v[12:15], off, off offset:640
	v_add_f64_e32 v[164:165], v[164:165], v[166:167]
	s_wait_loadcnt_dscnt 0xa00
	v_mul_f64_e32 v[166:167], v[4:5], v[22:23]
	v_add_f64_e32 v[174:175], v[154:155], v[152:153]
	v_mul_f64_e32 v[22:23], v[6:7], v[22:23]
	ds_load_b128 v[152:155], v2 offset:1248
	v_fmac_f64_e32 v[168:169], v[162:163], v[16:17]
	v_fma_f64 v[160:161], v[160:161], v[16:17], -v[18:19]
	scratch_load_b128 v[16:19], off, off offset:656
	v_add_f64_e32 v[164:165], v[164:165], v[170:171]
	v_fmac_f64_e32 v[166:167], v[6:7], v[20:21]
	v_add_f64_e32 v[162:163], v[174:175], v[172:173]
	;; [unrolled: 18-line block ×4, first 2 shown]
	v_fma_f64 v[172:173], v[4:5], v[132:133], -v[134:135]
	ds_load_b128 v[4:7], v2 offset:1328
	s_wait_loadcnt_dscnt 0xa01
	v_mul_f64_e32 v[168:169], v[152:153], v[138:139]
	v_mul_f64_e32 v[138:139], v[154:155], v[138:139]
	scratch_load_b128 v[132:135], off, off offset:736
	v_add_f64_e32 v[164:165], v[164:165], v[166:167]
	s_wait_loadcnt_dscnt 0xa00
	v_mul_f64_e32 v[166:167], v[4:5], v[146:147]
	v_add_f64_e32 v[174:175], v[162:163], v[160:161]
	v_mul_f64_e32 v[146:147], v[6:7], v[146:147]
	ds_load_b128 v[160:163], v2 offset:1344
	v_fmac_f64_e32 v[168:169], v[154:155], v[136:137]
	v_fma_f64 v[136:137], v[152:153], v[136:137], -v[138:139]
	s_wait_loadcnt_dscnt 0x900
	v_mul_f64_e32 v[154:155], v[160:161], v[158:159]
	v_mul_f64_e32 v[158:159], v[162:163], v[158:159]
	v_add_f64_e32 v[152:153], v[164:165], v[170:171]
	v_fmac_f64_e32 v[166:167], v[6:7], v[144:145]
	v_add_f64_e32 v[138:139], v[174:175], v[172:173]
	v_fma_f64 v[144:145], v[4:5], v[144:145], -v[146:147]
	v_fmac_f64_e32 v[154:155], v[162:163], v[156:157]
	v_fma_f64 v[156:157], v[160:161], v[156:157], -v[158:159]
	v_add_f64_e32 v[152:153], v[152:153], v[168:169]
	v_add_f64_e32 v[146:147], v[138:139], v[136:137]
	ds_load_b128 v[4:7], v2 offset:1360
	ds_load_b128 v[136:139], v2 offset:1376
	s_wait_loadcnt_dscnt 0x801
	v_mul_f64_e32 v[164:165], v[4:5], v[142:143]
	v_mul_f64_e32 v[142:143], v[6:7], v[142:143]
	v_add_f64_e32 v[144:145], v[146:147], v[144:145]
	v_add_f64_e32 v[146:147], v[152:153], v[166:167]
	s_wait_loadcnt_dscnt 0x700
	v_mul_f64_e32 v[152:153], v[136:137], v[10:11]
	v_mul_f64_e32 v[10:11], v[138:139], v[10:11]
	v_fmac_f64_e32 v[164:165], v[6:7], v[140:141]
	v_fma_f64 v[158:159], v[4:5], v[140:141], -v[142:143]
	ds_load_b128 v[4:7], v2 offset:1392
	ds_load_b128 v[140:143], v2 offset:1408
	v_add_f64_e32 v[144:145], v[144:145], v[156:157]
	v_add_f64_e32 v[146:147], v[146:147], v[154:155]
	v_fmac_f64_e32 v[152:153], v[138:139], v[8:9]
	v_fma_f64 v[8:9], v[136:137], v[8:9], -v[10:11]
	s_wait_loadcnt_dscnt 0x601
	v_mul_f64_e32 v[154:155], v[4:5], v[14:15]
	v_mul_f64_e32 v[14:15], v[6:7], v[14:15]
	s_wait_loadcnt_dscnt 0x500
	v_mul_f64_e32 v[138:139], v[140:141], v[18:19]
	v_mul_f64_e32 v[18:19], v[142:143], v[18:19]
	v_add_f64_e32 v[10:11], v[144:145], v[158:159]
	v_add_f64_e32 v[136:137], v[146:147], v[164:165]
	v_fmac_f64_e32 v[154:155], v[6:7], v[12:13]
	v_fma_f64 v[12:13], v[4:5], v[12:13], -v[14:15]
	v_fmac_f64_e32 v[138:139], v[142:143], v[16:17]
	v_fma_f64 v[16:17], v[140:141], v[16:17], -v[18:19]
	v_add_f64_e32 v[14:15], v[10:11], v[8:9]
	v_add_f64_e32 v[136:137], v[136:137], v[152:153]
	ds_load_b128 v[4:7], v2 offset:1424
	ds_load_b128 v[8:11], v2 offset:1440
	s_wait_loadcnt_dscnt 0x401
	v_mul_f64_e32 v[144:145], v[4:5], v[22:23]
	v_mul_f64_e32 v[22:23], v[6:7], v[22:23]
	s_wait_loadcnt_dscnt 0x300
	v_mul_f64_e32 v[18:19], v[8:9], v[26:27]
	v_mul_f64_e32 v[26:27], v[10:11], v[26:27]
	v_add_f64_e32 v[12:13], v[14:15], v[12:13]
	v_add_f64_e32 v[14:15], v[136:137], v[154:155]
	v_fmac_f64_e32 v[144:145], v[6:7], v[20:21]
	v_fma_f64 v[20:21], v[4:5], v[20:21], -v[22:23]
	v_fmac_f64_e32 v[18:19], v[10:11], v[24:25]
	v_fma_f64 v[8:9], v[8:9], v[24:25], -v[26:27]
	v_add_f64_e32 v[16:17], v[12:13], v[16:17]
	v_add_f64_e32 v[22:23], v[14:15], v[138:139]
	ds_load_b128 v[4:7], v2 offset:1456
	ds_load_b128 v[12:15], v2 offset:1472
	s_wait_loadcnt_dscnt 0x201
	v_mul_f64_e32 v[136:137], v[4:5], v[30:31]
	v_mul_f64_e32 v[30:31], v[6:7], v[30:31]
	v_add_f64_e32 v[10:11], v[16:17], v[20:21]
	v_add_f64_e32 v[16:17], v[22:23], v[144:145]
	s_wait_loadcnt_dscnt 0x100
	v_mul_f64_e32 v[20:21], v[12:13], v[130:131]
	v_mul_f64_e32 v[22:23], v[14:15], v[130:131]
	v_fmac_f64_e32 v[136:137], v[6:7], v[28:29]
	v_fma_f64 v[24:25], v[4:5], v[28:29], -v[30:31]
	ds_load_b128 v[4:7], v2 offset:1488
	v_add_f64_e32 v[8:9], v[10:11], v[8:9]
	v_add_f64_e32 v[10:11], v[16:17], v[18:19]
	v_fmac_f64_e32 v[20:21], v[14:15], v[128:129]
	v_fma_f64 v[12:13], v[12:13], v[128:129], -v[22:23]
	s_wait_loadcnt_dscnt 0x0
	v_mul_f64_e32 v[16:17], v[4:5], v[134:135]
	v_mul_f64_e32 v[18:19], v[6:7], v[134:135]
	v_add_f64_e32 v[8:9], v[8:9], v[24:25]
	v_add_f64_e32 v[10:11], v[10:11], v[136:137]
	s_delay_alu instid0(VALU_DEP_4) | instskip(NEXT) | instid1(VALU_DEP_4)
	v_fmac_f64_e32 v[16:17], v[6:7], v[132:133]
	v_fma_f64 v[4:5], v[4:5], v[132:133], -v[18:19]
	s_delay_alu instid0(VALU_DEP_4) | instskip(NEXT) | instid1(VALU_DEP_4)
	v_add_f64_e32 v[6:7], v[8:9], v[12:13]
	v_add_f64_e32 v[8:9], v[10:11], v[20:21]
	s_delay_alu instid0(VALU_DEP_2) | instskip(NEXT) | instid1(VALU_DEP_2)
	v_add_f64_e32 v[4:5], v[6:7], v[4:5]
	v_add_f64_e32 v[6:7], v[8:9], v[16:17]
	s_delay_alu instid0(VALU_DEP_2) | instskip(NEXT) | instid1(VALU_DEP_2)
	v_add_f64_e64 v[4:5], v[148:149], -v[4:5]
	v_add_f64_e64 v[6:7], v[150:151], -v[6:7]
	scratch_store_b128 off, v[4:7], off offset:208
	s_wait_xcnt 0x0
	v_cmpx_lt_u32_e32 12, v1
	s_cbranch_execz .LBB110_271
; %bb.270:
	scratch_load_b128 v[6:9], off, s51
	v_dual_mov_b32 v3, v2 :: v_dual_mov_b32 v4, v2
	v_mov_b32_e32 v5, v2
	scratch_store_b128 off, v[2:5], off offset:192
	s_wait_loadcnt 0x0
	ds_store_b128 v126, v[6:9]
.LBB110_271:
	s_wait_xcnt 0x0
	s_or_b32 exec_lo, exec_lo, s2
	s_wait_storecnt_dscnt 0x0
	s_barrier_signal -1
	s_barrier_wait -1
	s_clause 0x9
	scratch_load_b128 v[4:7], off, off offset:208
	scratch_load_b128 v[8:11], off, off offset:224
	;; [unrolled: 1-line block ×10, first 2 shown]
	ds_load_b128 v[140:143], v2 offset:960
	ds_load_b128 v[148:151], v2 offset:976
	s_clause 0x2
	scratch_load_b128 v[144:147], off, off offset:368
	scratch_load_b128 v[152:155], off, off offset:192
	;; [unrolled: 1-line block ×3, first 2 shown]
	s_mov_b32 s2, exec_lo
	s_wait_loadcnt_dscnt 0xc01
	v_mul_f64_e32 v[160:161], v[142:143], v[6:7]
	v_mul_f64_e32 v[164:165], v[140:141], v[6:7]
	s_wait_loadcnt_dscnt 0xb00
	v_mul_f64_e32 v[166:167], v[148:149], v[10:11]
	v_mul_f64_e32 v[10:11], v[150:151], v[10:11]
	s_delay_alu instid0(VALU_DEP_4) | instskip(NEXT) | instid1(VALU_DEP_4)
	v_fma_f64 v[168:169], v[140:141], v[4:5], -v[160:161]
	v_fmac_f64_e32 v[164:165], v[142:143], v[4:5]
	ds_load_b128 v[4:7], v2 offset:992
	ds_load_b128 v[140:143], v2 offset:1008
	scratch_load_b128 v[160:163], off, off offset:400
	v_fmac_f64_e32 v[166:167], v[150:151], v[8:9]
	v_fma_f64 v[148:149], v[148:149], v[8:9], -v[10:11]
	scratch_load_b128 v[8:11], off, off offset:416
	s_wait_loadcnt_dscnt 0xc01
	v_mul_f64_e32 v[170:171], v[4:5], v[14:15]
	v_mul_f64_e32 v[14:15], v[6:7], v[14:15]
	v_add_f64_e32 v[150:151], 0, v[168:169]
	v_add_f64_e32 v[164:165], 0, v[164:165]
	s_wait_loadcnt_dscnt 0xb00
	v_mul_f64_e32 v[168:169], v[140:141], v[18:19]
	v_mul_f64_e32 v[18:19], v[142:143], v[18:19]
	v_fmac_f64_e32 v[170:171], v[6:7], v[12:13]
	v_fma_f64 v[172:173], v[4:5], v[12:13], -v[14:15]
	ds_load_b128 v[4:7], v2 offset:1024
	ds_load_b128 v[12:15], v2 offset:1040
	v_add_f64_e32 v[174:175], v[150:151], v[148:149]
	v_add_f64_e32 v[164:165], v[164:165], v[166:167]
	scratch_load_b128 v[148:151], off, off offset:432
	v_fmac_f64_e32 v[168:169], v[142:143], v[16:17]
	v_fma_f64 v[140:141], v[140:141], v[16:17], -v[18:19]
	scratch_load_b128 v[16:19], off, off offset:448
	s_wait_loadcnt_dscnt 0xc01
	v_mul_f64_e32 v[166:167], v[4:5], v[22:23]
	v_mul_f64_e32 v[22:23], v[6:7], v[22:23]
	v_add_f64_e32 v[142:143], v[174:175], v[172:173]
	v_add_f64_e32 v[164:165], v[164:165], v[170:171]
	s_wait_loadcnt_dscnt 0xb00
	v_mul_f64_e32 v[170:171], v[12:13], v[26:27]
	v_mul_f64_e32 v[26:27], v[14:15], v[26:27]
	v_fmac_f64_e32 v[166:167], v[6:7], v[20:21]
	v_fma_f64 v[172:173], v[4:5], v[20:21], -v[22:23]
	ds_load_b128 v[4:7], v2 offset:1056
	ds_load_b128 v[20:23], v2 offset:1072
	v_add_f64_e32 v[174:175], v[142:143], v[140:141]
	v_add_f64_e32 v[164:165], v[164:165], v[168:169]
	scratch_load_b128 v[140:143], off, off offset:464
	s_wait_loadcnt_dscnt 0xb01
	v_mul_f64_e32 v[168:169], v[4:5], v[30:31]
	v_mul_f64_e32 v[30:31], v[6:7], v[30:31]
	v_fmac_f64_e32 v[170:171], v[14:15], v[24:25]
	v_fma_f64 v[24:25], v[12:13], v[24:25], -v[26:27]
	scratch_load_b128 v[12:15], off, off offset:480
	v_add_f64_e32 v[26:27], v[174:175], v[172:173]
	v_add_f64_e32 v[164:165], v[164:165], v[166:167]
	s_wait_loadcnt_dscnt 0xb00
	v_mul_f64_e32 v[166:167], v[20:21], v[130:131]
	v_mul_f64_e32 v[130:131], v[22:23], v[130:131]
	v_fmac_f64_e32 v[168:169], v[6:7], v[28:29]
	v_fma_f64 v[172:173], v[4:5], v[28:29], -v[30:31]
	v_add_f64_e32 v[174:175], v[26:27], v[24:25]
	v_add_f64_e32 v[164:165], v[164:165], v[170:171]
	ds_load_b128 v[4:7], v2 offset:1088
	ds_load_b128 v[24:27], v2 offset:1104
	scratch_load_b128 v[28:31], off, off offset:496
	v_fmac_f64_e32 v[166:167], v[22:23], v[128:129]
	v_fma_f64 v[128:129], v[20:21], v[128:129], -v[130:131]
	scratch_load_b128 v[20:23], off, off offset:512
	s_wait_loadcnt_dscnt 0xc01
	v_mul_f64_e32 v[170:171], v[4:5], v[134:135]
	v_mul_f64_e32 v[134:135], v[6:7], v[134:135]
	v_add_f64_e32 v[130:131], v[174:175], v[172:173]
	v_add_f64_e32 v[164:165], v[164:165], v[168:169]
	s_wait_loadcnt_dscnt 0xb00
	v_mul_f64_e32 v[168:169], v[24:25], v[138:139]
	v_mul_f64_e32 v[138:139], v[26:27], v[138:139]
	v_fmac_f64_e32 v[170:171], v[6:7], v[132:133]
	v_fma_f64 v[172:173], v[4:5], v[132:133], -v[134:135]
	v_add_f64_e32 v[174:175], v[130:131], v[128:129]
	v_add_f64_e32 v[164:165], v[164:165], v[166:167]
	ds_load_b128 v[4:7], v2 offset:1120
	ds_load_b128 v[128:131], v2 offset:1136
	scratch_load_b128 v[132:135], off, off offset:528
	v_fmac_f64_e32 v[168:169], v[26:27], v[136:137]
	v_fma_f64 v[136:137], v[24:25], v[136:137], -v[138:139]
	scratch_load_b128 v[24:27], off, off offset:544
	s_wait_loadcnt_dscnt 0xc01
	v_mul_f64_e32 v[166:167], v[4:5], v[146:147]
	v_mul_f64_e32 v[146:147], v[6:7], v[146:147]
	;; [unrolled: 18-line block ×5, first 2 shown]
	v_add_f64_e32 v[158:159], v[174:175], v[172:173]
	v_add_f64_e32 v[164:165], v[164:165], v[170:171]
	s_wait_loadcnt_dscnt 0xa00
	v_mul_f64_e32 v[170:171], v[136:137], v[14:15]
	v_mul_f64_e32 v[14:15], v[138:139], v[14:15]
	v_fmac_f64_e32 v[166:167], v[6:7], v[140:141]
	v_fma_f64 v[172:173], v[4:5], v[140:141], -v[142:143]
	ds_load_b128 v[4:7], v2 offset:1248
	ds_load_b128 v[140:143], v2 offset:1264
	v_add_f64_e32 v[174:175], v[158:159], v[156:157]
	v_add_f64_e32 v[164:165], v[164:165], v[168:169]
	scratch_load_b128 v[156:159], off, off offset:656
	v_fmac_f64_e32 v[170:171], v[138:139], v[12:13]
	v_fma_f64 v[136:137], v[136:137], v[12:13], -v[14:15]
	scratch_load_b128 v[12:15], off, off offset:672
	s_wait_loadcnt_dscnt 0xb01
	v_mul_f64_e32 v[168:169], v[4:5], v[30:31]
	v_mul_f64_e32 v[30:31], v[6:7], v[30:31]
	v_add_f64_e32 v[138:139], v[174:175], v[172:173]
	v_add_f64_e32 v[164:165], v[164:165], v[166:167]
	s_wait_loadcnt_dscnt 0xa00
	v_mul_f64_e32 v[166:167], v[140:141], v[22:23]
	v_mul_f64_e32 v[22:23], v[142:143], v[22:23]
	v_fmac_f64_e32 v[168:169], v[6:7], v[28:29]
	v_fma_f64 v[172:173], v[4:5], v[28:29], -v[30:31]
	ds_load_b128 v[4:7], v2 offset:1280
	ds_load_b128 v[28:31], v2 offset:1296
	v_add_f64_e32 v[174:175], v[138:139], v[136:137]
	v_add_f64_e32 v[164:165], v[164:165], v[170:171]
	scratch_load_b128 v[136:139], off, off offset:688
	s_wait_loadcnt_dscnt 0xa01
	v_mul_f64_e32 v[170:171], v[4:5], v[134:135]
	v_mul_f64_e32 v[134:135], v[6:7], v[134:135]
	v_fmac_f64_e32 v[166:167], v[142:143], v[20:21]
	v_fma_f64 v[140:141], v[140:141], v[20:21], -v[22:23]
	scratch_load_b128 v[20:23], off, off offset:704
	v_add_f64_e32 v[142:143], v[174:175], v[172:173]
	v_add_f64_e32 v[164:165], v[164:165], v[168:169]
	s_wait_loadcnt_dscnt 0xa00
	v_mul_f64_e32 v[168:169], v[28:29], v[26:27]
	v_mul_f64_e32 v[26:27], v[30:31], v[26:27]
	v_fmac_f64_e32 v[170:171], v[6:7], v[132:133]
	v_fma_f64 v[172:173], v[4:5], v[132:133], -v[134:135]
	ds_load_b128 v[4:7], v2 offset:1312
	ds_load_b128 v[132:135], v2 offset:1328
	v_add_f64_e32 v[174:175], v[142:143], v[140:141]
	v_add_f64_e32 v[164:165], v[164:165], v[166:167]
	scratch_load_b128 v[140:143], off, off offset:720
	s_wait_loadcnt_dscnt 0xa01
	v_mul_f64_e32 v[166:167], v[4:5], v[146:147]
	v_mul_f64_e32 v[146:147], v[6:7], v[146:147]
	v_fmac_f64_e32 v[168:169], v[30:31], v[24:25]
	v_fma_f64 v[28:29], v[28:29], v[24:25], -v[26:27]
	scratch_load_b128 v[24:27], off, off offset:736
	v_add_f64_e32 v[30:31], v[174:175], v[172:173]
	v_add_f64_e32 v[164:165], v[164:165], v[170:171]
	s_wait_loadcnt_dscnt 0xa00
	v_mul_f64_e32 v[170:171], v[132:133], v[130:131]
	v_mul_f64_e32 v[130:131], v[134:135], v[130:131]
	v_fmac_f64_e32 v[166:167], v[6:7], v[144:145]
	v_fma_f64 v[144:145], v[4:5], v[144:145], -v[146:147]
	v_add_f64_e32 v[146:147], v[30:31], v[28:29]
	v_add_f64_e32 v[164:165], v[164:165], v[168:169]
	ds_load_b128 v[4:7], v2 offset:1344
	ds_load_b128 v[28:31], v2 offset:1360
	v_fmac_f64_e32 v[170:171], v[134:135], v[128:129]
	v_fma_f64 v[128:129], v[132:133], v[128:129], -v[130:131]
	s_wait_loadcnt_dscnt 0x901
	v_mul_f64_e32 v[168:169], v[4:5], v[162:163]
	v_mul_f64_e32 v[162:163], v[6:7], v[162:163]
	s_wait_loadcnt_dscnt 0x800
	v_mul_f64_e32 v[134:135], v[28:29], v[10:11]
	v_mul_f64_e32 v[10:11], v[30:31], v[10:11]
	v_add_f64_e32 v[130:131], v[146:147], v[144:145]
	v_add_f64_e32 v[132:133], v[164:165], v[166:167]
	v_fmac_f64_e32 v[168:169], v[6:7], v[160:161]
	v_fma_f64 v[144:145], v[4:5], v[160:161], -v[162:163]
	v_fmac_f64_e32 v[134:135], v[30:31], v[8:9]
	v_fma_f64 v[8:9], v[28:29], v[8:9], -v[10:11]
	v_add_f64_e32 v[146:147], v[130:131], v[128:129]
	v_add_f64_e32 v[132:133], v[132:133], v[170:171]
	ds_load_b128 v[4:7], v2 offset:1376
	ds_load_b128 v[128:131], v2 offset:1392
	s_wait_loadcnt_dscnt 0x701
	v_mul_f64_e32 v[160:161], v[4:5], v[150:151]
	v_mul_f64_e32 v[150:151], v[6:7], v[150:151]
	s_wait_loadcnt_dscnt 0x600
	v_mul_f64_e32 v[30:31], v[128:129], v[18:19]
	v_mul_f64_e32 v[18:19], v[130:131], v[18:19]
	v_add_f64_e32 v[10:11], v[146:147], v[144:145]
	v_add_f64_e32 v[28:29], v[132:133], v[168:169]
	v_fmac_f64_e32 v[160:161], v[6:7], v[148:149]
	v_fma_f64 v[132:133], v[4:5], v[148:149], -v[150:151]
	v_fmac_f64_e32 v[30:31], v[130:131], v[16:17]
	v_fma_f64 v[16:17], v[128:129], v[16:17], -v[18:19]
	v_add_f64_e32 v[144:145], v[10:11], v[8:9]
	v_add_f64_e32 v[28:29], v[28:29], v[134:135]
	ds_load_b128 v[4:7], v2 offset:1408
	ds_load_b128 v[8:11], v2 offset:1424
	;; [unrolled: 16-line block ×3, first 2 shown]
	s_wait_loadcnt_dscnt 0x301
	v_mul_f64_e32 v[30:31], v[4:5], v[138:139]
	v_mul_f64_e32 v[138:139], v[6:7], v[138:139]
	v_add_f64_e32 v[10:11], v[18:19], v[132:133]
	v_add_f64_e32 v[12:13], v[28:29], v[134:135]
	s_wait_loadcnt_dscnt 0x200
	v_mul_f64_e32 v[18:19], v[14:15], v[22:23]
	v_mul_f64_e32 v[22:23], v[16:17], v[22:23]
	v_fmac_f64_e32 v[30:31], v[6:7], v[136:137]
	v_fma_f64 v[28:29], v[4:5], v[136:137], -v[138:139]
	v_add_f64_e32 v[130:131], v[10:11], v[8:9]
	v_add_f64_e32 v[12:13], v[12:13], v[128:129]
	ds_load_b128 v[4:7], v2 offset:1472
	ds_load_b128 v[8:11], v2 offset:1488
	v_fmac_f64_e32 v[18:19], v[16:17], v[20:21]
	v_fma_f64 v[14:15], v[14:15], v[20:21], -v[22:23]
	s_wait_loadcnt_dscnt 0x101
	v_mul_f64_e32 v[2:3], v[4:5], v[142:143]
	v_mul_f64_e32 v[128:129], v[6:7], v[142:143]
	s_wait_loadcnt_dscnt 0x0
	v_mul_f64_e32 v[20:21], v[8:9], v[26:27]
	v_mul_f64_e32 v[22:23], v[10:11], v[26:27]
	v_add_f64_e32 v[16:17], v[130:131], v[28:29]
	v_add_f64_e32 v[12:13], v[12:13], v[30:31]
	v_fmac_f64_e32 v[2:3], v[6:7], v[140:141]
	v_fma_f64 v[4:5], v[4:5], v[140:141], -v[128:129]
	v_fmac_f64_e32 v[20:21], v[10:11], v[24:25]
	v_fma_f64 v[8:9], v[8:9], v[24:25], -v[22:23]
	v_add_f64_e32 v[6:7], v[16:17], v[14:15]
	v_add_f64_e32 v[12:13], v[12:13], v[18:19]
	s_delay_alu instid0(VALU_DEP_2) | instskip(NEXT) | instid1(VALU_DEP_2)
	v_add_f64_e32 v[4:5], v[6:7], v[4:5]
	v_add_f64_e32 v[2:3], v[12:13], v[2:3]
	s_delay_alu instid0(VALU_DEP_2) | instskip(NEXT) | instid1(VALU_DEP_2)
	;; [unrolled: 3-line block ×3, first 2 shown]
	v_add_f64_e64 v[2:3], v[152:153], -v[4:5]
	v_add_f64_e64 v[4:5], v[154:155], -v[6:7]
	scratch_store_b128 off, v[2:5], off offset:192
	s_wait_xcnt 0x0
	v_cmpx_lt_u32_e32 11, v1
	s_cbranch_execz .LBB110_273
; %bb.272:
	scratch_load_b128 v[2:5], off, s52
	v_mov_b32_e32 v6, 0
	s_delay_alu instid0(VALU_DEP_1)
	v_dual_mov_b32 v7, v6 :: v_dual_mov_b32 v8, v6
	v_mov_b32_e32 v9, v6
	scratch_store_b128 off, v[6:9], off offset:176
	s_wait_loadcnt 0x0
	ds_store_b128 v126, v[2:5]
.LBB110_273:
	s_wait_xcnt 0x0
	s_or_b32 exec_lo, exec_lo, s2
	s_wait_storecnt_dscnt 0x0
	s_barrier_signal -1
	s_barrier_wait -1
	s_clause 0x9
	scratch_load_b128 v[4:7], off, off offset:192
	scratch_load_b128 v[8:11], off, off offset:208
	scratch_load_b128 v[12:15], off, off offset:224
	scratch_load_b128 v[16:19], off, off offset:240
	scratch_load_b128 v[20:23], off, off offset:256
	scratch_load_b128 v[24:27], off, off offset:272
	scratch_load_b128 v[28:31], off, off offset:288
	scratch_load_b128 v[128:131], off, off offset:304
	scratch_load_b128 v[132:135], off, off offset:320
	scratch_load_b128 v[136:139], off, off offset:336
	v_mov_b32_e32 v2, 0
	s_mov_b32 s2, exec_lo
	ds_load_b128 v[140:143], v2 offset:944
	s_clause 0x2
	scratch_load_b128 v[144:147], off, off offset:352
	scratch_load_b128 v[148:151], off, off offset:176
	;; [unrolled: 1-line block ×3, first 2 shown]
	s_wait_loadcnt_dscnt 0xc00
	v_mul_f64_e32 v[160:161], v[142:143], v[6:7]
	v_mul_f64_e32 v[164:165], v[140:141], v[6:7]
	ds_load_b128 v[152:155], v2 offset:960
	v_fma_f64 v[168:169], v[140:141], v[4:5], -v[160:161]
	v_fmac_f64_e32 v[164:165], v[142:143], v[4:5]
	ds_load_b128 v[4:7], v2 offset:976
	s_wait_loadcnt_dscnt 0xb01
	v_mul_f64_e32 v[166:167], v[152:153], v[10:11]
	v_mul_f64_e32 v[10:11], v[154:155], v[10:11]
	scratch_load_b128 v[140:143], off, off offset:384
	ds_load_b128 v[160:163], v2 offset:992
	s_wait_loadcnt_dscnt 0xb01
	v_mul_f64_e32 v[170:171], v[4:5], v[14:15]
	v_mul_f64_e32 v[14:15], v[6:7], v[14:15]
	v_add_f64_e32 v[164:165], 0, v[164:165]
	v_fmac_f64_e32 v[166:167], v[154:155], v[8:9]
	v_fma_f64 v[152:153], v[152:153], v[8:9], -v[10:11]
	v_add_f64_e32 v[154:155], 0, v[168:169]
	scratch_load_b128 v[8:11], off, off offset:400
	v_fmac_f64_e32 v[170:171], v[6:7], v[12:13]
	v_fma_f64 v[172:173], v[4:5], v[12:13], -v[14:15]
	ds_load_b128 v[4:7], v2 offset:1008
	s_wait_loadcnt_dscnt 0xb01
	v_mul_f64_e32 v[168:169], v[160:161], v[18:19]
	v_mul_f64_e32 v[18:19], v[162:163], v[18:19]
	scratch_load_b128 v[12:15], off, off offset:416
	v_add_f64_e32 v[164:165], v[164:165], v[166:167]
	v_add_f64_e32 v[174:175], v[154:155], v[152:153]
	ds_load_b128 v[152:155], v2 offset:1024
	s_wait_loadcnt_dscnt 0xb01
	v_mul_f64_e32 v[166:167], v[4:5], v[22:23]
	v_mul_f64_e32 v[22:23], v[6:7], v[22:23]
	v_fmac_f64_e32 v[168:169], v[162:163], v[16:17]
	v_fma_f64 v[160:161], v[160:161], v[16:17], -v[18:19]
	scratch_load_b128 v[16:19], off, off offset:432
	v_add_f64_e32 v[164:165], v[164:165], v[170:171]
	v_add_f64_e32 v[162:163], v[174:175], v[172:173]
	v_fmac_f64_e32 v[166:167], v[6:7], v[20:21]
	v_fma_f64 v[172:173], v[4:5], v[20:21], -v[22:23]
	ds_load_b128 v[4:7], v2 offset:1040
	s_wait_loadcnt_dscnt 0xb01
	v_mul_f64_e32 v[170:171], v[152:153], v[26:27]
	v_mul_f64_e32 v[26:27], v[154:155], v[26:27]
	scratch_load_b128 v[20:23], off, off offset:448
	v_add_f64_e32 v[164:165], v[164:165], v[168:169]
	s_wait_loadcnt_dscnt 0xb00
	v_mul_f64_e32 v[168:169], v[4:5], v[30:31]
	v_add_f64_e32 v[174:175], v[162:163], v[160:161]
	v_mul_f64_e32 v[30:31], v[6:7], v[30:31]
	ds_load_b128 v[160:163], v2 offset:1056
	v_fmac_f64_e32 v[170:171], v[154:155], v[24:25]
	v_fma_f64 v[152:153], v[152:153], v[24:25], -v[26:27]
	scratch_load_b128 v[24:27], off, off offset:464
	v_add_f64_e32 v[164:165], v[164:165], v[166:167]
	v_fmac_f64_e32 v[168:169], v[6:7], v[28:29]
	v_add_f64_e32 v[154:155], v[174:175], v[172:173]
	v_fma_f64 v[172:173], v[4:5], v[28:29], -v[30:31]
	ds_load_b128 v[4:7], v2 offset:1072
	s_wait_loadcnt_dscnt 0xb01
	v_mul_f64_e32 v[166:167], v[160:161], v[130:131]
	v_mul_f64_e32 v[130:131], v[162:163], v[130:131]
	scratch_load_b128 v[28:31], off, off offset:480
	v_add_f64_e32 v[164:165], v[164:165], v[170:171]
	s_wait_loadcnt_dscnt 0xb00
	v_mul_f64_e32 v[170:171], v[4:5], v[134:135]
	v_add_f64_e32 v[174:175], v[154:155], v[152:153]
	v_mul_f64_e32 v[134:135], v[6:7], v[134:135]
	ds_load_b128 v[152:155], v2 offset:1088
	v_fmac_f64_e32 v[166:167], v[162:163], v[128:129]
	v_fma_f64 v[160:161], v[160:161], v[128:129], -v[130:131]
	scratch_load_b128 v[128:131], off, off offset:496
	v_add_f64_e32 v[164:165], v[164:165], v[168:169]
	v_fmac_f64_e32 v[170:171], v[6:7], v[132:133]
	v_add_f64_e32 v[162:163], v[174:175], v[172:173]
	;; [unrolled: 18-line block ×3, first 2 shown]
	v_fma_f64 v[172:173], v[4:5], v[144:145], -v[146:147]
	ds_load_b128 v[4:7], v2 offset:1136
	s_wait_loadcnt_dscnt 0xa01
	v_mul_f64_e32 v[170:171], v[160:161], v[158:159]
	v_mul_f64_e32 v[158:159], v[162:163], v[158:159]
	scratch_load_b128 v[144:147], off, off offset:544
	v_add_f64_e32 v[164:165], v[164:165], v[168:169]
	v_add_f64_e32 v[174:175], v[154:155], v[152:153]
	s_wait_loadcnt_dscnt 0xa00
	v_mul_f64_e32 v[168:169], v[4:5], v[142:143]
	v_mul_f64_e32 v[142:143], v[6:7], v[142:143]
	v_fmac_f64_e32 v[170:171], v[162:163], v[156:157]
	v_fma_f64 v[160:161], v[160:161], v[156:157], -v[158:159]
	ds_load_b128 v[152:155], v2 offset:1152
	scratch_load_b128 v[156:159], off, off offset:560
	v_add_f64_e32 v[164:165], v[164:165], v[166:167]
	v_add_f64_e32 v[162:163], v[174:175], v[172:173]
	v_fmac_f64_e32 v[168:169], v[6:7], v[140:141]
	v_fma_f64 v[172:173], v[4:5], v[140:141], -v[142:143]
	ds_load_b128 v[4:7], v2 offset:1168
	s_wait_loadcnt_dscnt 0xa01
	v_mul_f64_e32 v[166:167], v[152:153], v[10:11]
	v_mul_f64_e32 v[10:11], v[154:155], v[10:11]
	scratch_load_b128 v[140:143], off, off offset:576
	v_add_f64_e32 v[164:165], v[164:165], v[170:171]
	s_wait_loadcnt_dscnt 0xa00
	v_mul_f64_e32 v[170:171], v[4:5], v[14:15]
	v_add_f64_e32 v[174:175], v[162:163], v[160:161]
	v_mul_f64_e32 v[14:15], v[6:7], v[14:15]
	ds_load_b128 v[160:163], v2 offset:1184
	v_fmac_f64_e32 v[166:167], v[154:155], v[8:9]
	v_fma_f64 v[152:153], v[152:153], v[8:9], -v[10:11]
	scratch_load_b128 v[8:11], off, off offset:592
	v_add_f64_e32 v[164:165], v[164:165], v[168:169]
	v_fmac_f64_e32 v[170:171], v[6:7], v[12:13]
	v_add_f64_e32 v[154:155], v[174:175], v[172:173]
	v_fma_f64 v[172:173], v[4:5], v[12:13], -v[14:15]
	ds_load_b128 v[4:7], v2 offset:1200
	s_wait_loadcnt_dscnt 0xa01
	v_mul_f64_e32 v[168:169], v[160:161], v[18:19]
	v_mul_f64_e32 v[18:19], v[162:163], v[18:19]
	scratch_load_b128 v[12:15], off, off offset:608
	v_add_f64_e32 v[164:165], v[164:165], v[166:167]
	s_wait_loadcnt_dscnt 0xa00
	v_mul_f64_e32 v[166:167], v[4:5], v[22:23]
	v_add_f64_e32 v[174:175], v[154:155], v[152:153]
	v_mul_f64_e32 v[22:23], v[6:7], v[22:23]
	ds_load_b128 v[152:155], v2 offset:1216
	v_fmac_f64_e32 v[168:169], v[162:163], v[16:17]
	v_fma_f64 v[160:161], v[160:161], v[16:17], -v[18:19]
	scratch_load_b128 v[16:19], off, off offset:624
	v_add_f64_e32 v[164:165], v[164:165], v[170:171]
	v_fmac_f64_e32 v[166:167], v[6:7], v[20:21]
	v_add_f64_e32 v[162:163], v[174:175], v[172:173]
	;; [unrolled: 18-line block ×5, first 2 shown]
	v_fma_f64 v[172:173], v[4:5], v[144:145], -v[146:147]
	ds_load_b128 v[4:7], v2 offset:1328
	s_wait_loadcnt_dscnt 0xa01
	v_mul_f64_e32 v[170:171], v[160:161], v[158:159]
	v_mul_f64_e32 v[158:159], v[162:163], v[158:159]
	scratch_load_b128 v[144:147], off, off offset:736
	v_add_f64_e32 v[164:165], v[164:165], v[168:169]
	s_wait_loadcnt_dscnt 0xa00
	v_mul_f64_e32 v[168:169], v[4:5], v[142:143]
	v_add_f64_e32 v[174:175], v[154:155], v[152:153]
	v_mul_f64_e32 v[142:143], v[6:7], v[142:143]
	ds_load_b128 v[152:155], v2 offset:1344
	v_fmac_f64_e32 v[170:171], v[162:163], v[156:157]
	v_fma_f64 v[156:157], v[160:161], v[156:157], -v[158:159]
	s_wait_loadcnt_dscnt 0x900
	v_mul_f64_e32 v[162:163], v[152:153], v[10:11]
	v_mul_f64_e32 v[10:11], v[154:155], v[10:11]
	v_add_f64_e32 v[160:161], v[164:165], v[166:167]
	v_fmac_f64_e32 v[168:169], v[6:7], v[140:141]
	v_add_f64_e32 v[158:159], v[174:175], v[172:173]
	v_fma_f64 v[164:165], v[4:5], v[140:141], -v[142:143]
	ds_load_b128 v[4:7], v2 offset:1360
	ds_load_b128 v[140:143], v2 offset:1376
	v_fmac_f64_e32 v[162:163], v[154:155], v[8:9]
	v_fma_f64 v[8:9], v[152:153], v[8:9], -v[10:11]
	v_add_f64_e32 v[156:157], v[158:159], v[156:157]
	v_add_f64_e32 v[158:159], v[160:161], v[170:171]
	s_wait_loadcnt_dscnt 0x801
	v_mul_f64_e32 v[160:161], v[4:5], v[14:15]
	v_mul_f64_e32 v[14:15], v[6:7], v[14:15]
	s_wait_loadcnt_dscnt 0x700
	v_mul_f64_e32 v[154:155], v[140:141], v[18:19]
	v_mul_f64_e32 v[18:19], v[142:143], v[18:19]
	v_add_f64_e32 v[10:11], v[156:157], v[164:165]
	v_add_f64_e32 v[152:153], v[158:159], v[168:169]
	v_fmac_f64_e32 v[160:161], v[6:7], v[12:13]
	v_fma_f64 v[12:13], v[4:5], v[12:13], -v[14:15]
	v_fmac_f64_e32 v[154:155], v[142:143], v[16:17]
	v_fma_f64 v[16:17], v[140:141], v[16:17], -v[18:19]
	v_add_f64_e32 v[14:15], v[10:11], v[8:9]
	v_add_f64_e32 v[152:153], v[152:153], v[162:163]
	ds_load_b128 v[4:7], v2 offset:1392
	ds_load_b128 v[8:11], v2 offset:1408
	s_wait_loadcnt_dscnt 0x601
	v_mul_f64_e32 v[156:157], v[4:5], v[22:23]
	v_mul_f64_e32 v[22:23], v[6:7], v[22:23]
	s_wait_loadcnt_dscnt 0x500
	v_mul_f64_e32 v[18:19], v[8:9], v[26:27]
	v_mul_f64_e32 v[26:27], v[10:11], v[26:27]
	v_add_f64_e32 v[12:13], v[14:15], v[12:13]
	v_add_f64_e32 v[14:15], v[152:153], v[160:161]
	v_fmac_f64_e32 v[156:157], v[6:7], v[20:21]
	v_fma_f64 v[20:21], v[4:5], v[20:21], -v[22:23]
	v_fmac_f64_e32 v[18:19], v[10:11], v[24:25]
	v_fma_f64 v[8:9], v[8:9], v[24:25], -v[26:27]
	v_add_f64_e32 v[16:17], v[12:13], v[16:17]
	v_add_f64_e32 v[22:23], v[14:15], v[154:155]
	ds_load_b128 v[4:7], v2 offset:1424
	ds_load_b128 v[12:15], v2 offset:1440
	s_wait_loadcnt_dscnt 0x401
	v_mul_f64_e32 v[140:141], v[4:5], v[30:31]
	v_mul_f64_e32 v[30:31], v[6:7], v[30:31]
	v_add_f64_e32 v[10:11], v[16:17], v[20:21]
	v_add_f64_e32 v[16:17], v[22:23], v[156:157]
	s_wait_loadcnt_dscnt 0x300
	v_mul_f64_e32 v[20:21], v[12:13], v[130:131]
	v_mul_f64_e32 v[22:23], v[14:15], v[130:131]
	v_fmac_f64_e32 v[140:141], v[6:7], v[28:29]
	v_fma_f64 v[24:25], v[4:5], v[28:29], -v[30:31]
	v_add_f64_e32 v[26:27], v[10:11], v[8:9]
	v_add_f64_e32 v[16:17], v[16:17], v[18:19]
	ds_load_b128 v[4:7], v2 offset:1456
	ds_load_b128 v[8:11], v2 offset:1472
	v_fmac_f64_e32 v[20:21], v[14:15], v[128:129]
	v_fma_f64 v[12:13], v[12:13], v[128:129], -v[22:23]
	s_wait_loadcnt_dscnt 0x201
	v_mul_f64_e32 v[18:19], v[4:5], v[134:135]
	v_mul_f64_e32 v[28:29], v[6:7], v[134:135]
	s_wait_loadcnt_dscnt 0x100
	v_mul_f64_e32 v[22:23], v[8:9], v[138:139]
	v_add_f64_e32 v[14:15], v[26:27], v[24:25]
	v_add_f64_e32 v[16:17], v[16:17], v[140:141]
	v_mul_f64_e32 v[24:25], v[10:11], v[138:139]
	v_fmac_f64_e32 v[18:19], v[6:7], v[132:133]
	v_fma_f64 v[26:27], v[4:5], v[132:133], -v[28:29]
	ds_load_b128 v[4:7], v2 offset:1488
	v_fmac_f64_e32 v[22:23], v[10:11], v[136:137]
	v_add_f64_e32 v[12:13], v[14:15], v[12:13]
	v_add_f64_e32 v[14:15], v[16:17], v[20:21]
	v_fma_f64 v[8:9], v[8:9], v[136:137], -v[24:25]
	s_wait_loadcnt_dscnt 0x0
	v_mul_f64_e32 v[16:17], v[4:5], v[146:147]
	v_mul_f64_e32 v[20:21], v[6:7], v[146:147]
	v_add_f64_e32 v[10:11], v[12:13], v[26:27]
	v_add_f64_e32 v[12:13], v[14:15], v[18:19]
	s_delay_alu instid0(VALU_DEP_4) | instskip(NEXT) | instid1(VALU_DEP_4)
	v_fmac_f64_e32 v[16:17], v[6:7], v[144:145]
	v_fma_f64 v[4:5], v[4:5], v[144:145], -v[20:21]
	s_delay_alu instid0(VALU_DEP_4) | instskip(NEXT) | instid1(VALU_DEP_4)
	v_add_f64_e32 v[6:7], v[10:11], v[8:9]
	v_add_f64_e32 v[8:9], v[12:13], v[22:23]
	s_delay_alu instid0(VALU_DEP_2) | instskip(NEXT) | instid1(VALU_DEP_2)
	v_add_f64_e32 v[4:5], v[6:7], v[4:5]
	v_add_f64_e32 v[6:7], v[8:9], v[16:17]
	s_delay_alu instid0(VALU_DEP_2) | instskip(NEXT) | instid1(VALU_DEP_2)
	v_add_f64_e64 v[4:5], v[148:149], -v[4:5]
	v_add_f64_e64 v[6:7], v[150:151], -v[6:7]
	scratch_store_b128 off, v[4:7], off offset:176
	s_wait_xcnt 0x0
	v_cmpx_lt_u32_e32 10, v1
	s_cbranch_execz .LBB110_275
; %bb.274:
	scratch_load_b128 v[6:9], off, s53
	v_dual_mov_b32 v3, v2 :: v_dual_mov_b32 v4, v2
	v_mov_b32_e32 v5, v2
	scratch_store_b128 off, v[2:5], off offset:160
	s_wait_loadcnt 0x0
	ds_store_b128 v126, v[6:9]
.LBB110_275:
	s_wait_xcnt 0x0
	s_or_b32 exec_lo, exec_lo, s2
	s_wait_storecnt_dscnt 0x0
	s_barrier_signal -1
	s_barrier_wait -1
	s_clause 0x9
	scratch_load_b128 v[4:7], off, off offset:176
	scratch_load_b128 v[8:11], off, off offset:192
	scratch_load_b128 v[12:15], off, off offset:208
	scratch_load_b128 v[16:19], off, off offset:224
	scratch_load_b128 v[20:23], off, off offset:240
	scratch_load_b128 v[24:27], off, off offset:256
	scratch_load_b128 v[28:31], off, off offset:272
	scratch_load_b128 v[128:131], off, off offset:288
	scratch_load_b128 v[132:135], off, off offset:304
	scratch_load_b128 v[136:139], off, off offset:320
	ds_load_b128 v[140:143], v2 offset:928
	ds_load_b128 v[148:151], v2 offset:944
	s_clause 0x2
	scratch_load_b128 v[144:147], off, off offset:336
	scratch_load_b128 v[152:155], off, off offset:160
	;; [unrolled: 1-line block ×3, first 2 shown]
	s_mov_b32 s2, exec_lo
	s_wait_loadcnt_dscnt 0xc01
	v_mul_f64_e32 v[160:161], v[142:143], v[6:7]
	v_mul_f64_e32 v[164:165], v[140:141], v[6:7]
	s_wait_loadcnt_dscnt 0xb00
	v_mul_f64_e32 v[166:167], v[148:149], v[10:11]
	v_mul_f64_e32 v[10:11], v[150:151], v[10:11]
	s_delay_alu instid0(VALU_DEP_4) | instskip(NEXT) | instid1(VALU_DEP_4)
	v_fma_f64 v[168:169], v[140:141], v[4:5], -v[160:161]
	v_fmac_f64_e32 v[164:165], v[142:143], v[4:5]
	ds_load_b128 v[4:7], v2 offset:960
	ds_load_b128 v[140:143], v2 offset:976
	scratch_load_b128 v[160:163], off, off offset:368
	v_fmac_f64_e32 v[166:167], v[150:151], v[8:9]
	v_fma_f64 v[148:149], v[148:149], v[8:9], -v[10:11]
	scratch_load_b128 v[8:11], off, off offset:384
	s_wait_loadcnt_dscnt 0xc01
	v_mul_f64_e32 v[170:171], v[4:5], v[14:15]
	v_mul_f64_e32 v[14:15], v[6:7], v[14:15]
	v_add_f64_e32 v[150:151], 0, v[168:169]
	v_add_f64_e32 v[164:165], 0, v[164:165]
	s_wait_loadcnt_dscnt 0xb00
	v_mul_f64_e32 v[168:169], v[140:141], v[18:19]
	v_mul_f64_e32 v[18:19], v[142:143], v[18:19]
	v_fmac_f64_e32 v[170:171], v[6:7], v[12:13]
	v_fma_f64 v[172:173], v[4:5], v[12:13], -v[14:15]
	ds_load_b128 v[4:7], v2 offset:992
	ds_load_b128 v[12:15], v2 offset:1008
	v_add_f64_e32 v[174:175], v[150:151], v[148:149]
	v_add_f64_e32 v[164:165], v[164:165], v[166:167]
	scratch_load_b128 v[148:151], off, off offset:400
	v_fmac_f64_e32 v[168:169], v[142:143], v[16:17]
	v_fma_f64 v[140:141], v[140:141], v[16:17], -v[18:19]
	scratch_load_b128 v[16:19], off, off offset:416
	s_wait_loadcnt_dscnt 0xc01
	v_mul_f64_e32 v[166:167], v[4:5], v[22:23]
	v_mul_f64_e32 v[22:23], v[6:7], v[22:23]
	v_add_f64_e32 v[142:143], v[174:175], v[172:173]
	v_add_f64_e32 v[164:165], v[164:165], v[170:171]
	s_wait_loadcnt_dscnt 0xb00
	v_mul_f64_e32 v[170:171], v[12:13], v[26:27]
	v_mul_f64_e32 v[26:27], v[14:15], v[26:27]
	v_fmac_f64_e32 v[166:167], v[6:7], v[20:21]
	v_fma_f64 v[172:173], v[4:5], v[20:21], -v[22:23]
	ds_load_b128 v[4:7], v2 offset:1024
	ds_load_b128 v[20:23], v2 offset:1040
	v_add_f64_e32 v[174:175], v[142:143], v[140:141]
	v_add_f64_e32 v[164:165], v[164:165], v[168:169]
	scratch_load_b128 v[140:143], off, off offset:432
	s_wait_loadcnt_dscnt 0xb01
	v_mul_f64_e32 v[168:169], v[4:5], v[30:31]
	v_mul_f64_e32 v[30:31], v[6:7], v[30:31]
	v_fmac_f64_e32 v[170:171], v[14:15], v[24:25]
	v_fma_f64 v[24:25], v[12:13], v[24:25], -v[26:27]
	scratch_load_b128 v[12:15], off, off offset:448
	v_add_f64_e32 v[26:27], v[174:175], v[172:173]
	v_add_f64_e32 v[164:165], v[164:165], v[166:167]
	s_wait_loadcnt_dscnt 0xb00
	v_mul_f64_e32 v[166:167], v[20:21], v[130:131]
	v_mul_f64_e32 v[130:131], v[22:23], v[130:131]
	v_fmac_f64_e32 v[168:169], v[6:7], v[28:29]
	v_fma_f64 v[172:173], v[4:5], v[28:29], -v[30:31]
	v_add_f64_e32 v[174:175], v[26:27], v[24:25]
	v_add_f64_e32 v[164:165], v[164:165], v[170:171]
	ds_load_b128 v[4:7], v2 offset:1056
	ds_load_b128 v[24:27], v2 offset:1072
	scratch_load_b128 v[28:31], off, off offset:464
	v_fmac_f64_e32 v[166:167], v[22:23], v[128:129]
	v_fma_f64 v[128:129], v[20:21], v[128:129], -v[130:131]
	scratch_load_b128 v[20:23], off, off offset:480
	s_wait_loadcnt_dscnt 0xc01
	v_mul_f64_e32 v[170:171], v[4:5], v[134:135]
	v_mul_f64_e32 v[134:135], v[6:7], v[134:135]
	v_add_f64_e32 v[130:131], v[174:175], v[172:173]
	v_add_f64_e32 v[164:165], v[164:165], v[168:169]
	s_wait_loadcnt_dscnt 0xb00
	v_mul_f64_e32 v[168:169], v[24:25], v[138:139]
	v_mul_f64_e32 v[138:139], v[26:27], v[138:139]
	v_fmac_f64_e32 v[170:171], v[6:7], v[132:133]
	v_fma_f64 v[172:173], v[4:5], v[132:133], -v[134:135]
	v_add_f64_e32 v[174:175], v[130:131], v[128:129]
	v_add_f64_e32 v[164:165], v[164:165], v[166:167]
	ds_load_b128 v[4:7], v2 offset:1088
	ds_load_b128 v[128:131], v2 offset:1104
	scratch_load_b128 v[132:135], off, off offset:496
	v_fmac_f64_e32 v[168:169], v[26:27], v[136:137]
	v_fma_f64 v[136:137], v[24:25], v[136:137], -v[138:139]
	scratch_load_b128 v[24:27], off, off offset:512
	s_wait_loadcnt_dscnt 0xc01
	v_mul_f64_e32 v[166:167], v[4:5], v[146:147]
	v_mul_f64_e32 v[146:147], v[6:7], v[146:147]
	;; [unrolled: 18-line block ×5, first 2 shown]
	v_add_f64_e32 v[158:159], v[174:175], v[172:173]
	v_add_f64_e32 v[164:165], v[164:165], v[170:171]
	s_wait_loadcnt_dscnt 0xa00
	v_mul_f64_e32 v[170:171], v[136:137], v[14:15]
	v_mul_f64_e32 v[14:15], v[138:139], v[14:15]
	v_fmac_f64_e32 v[166:167], v[6:7], v[140:141]
	v_fma_f64 v[172:173], v[4:5], v[140:141], -v[142:143]
	ds_load_b128 v[4:7], v2 offset:1216
	ds_load_b128 v[140:143], v2 offset:1232
	v_add_f64_e32 v[174:175], v[158:159], v[156:157]
	v_add_f64_e32 v[164:165], v[164:165], v[168:169]
	scratch_load_b128 v[156:159], off, off offset:624
	v_fmac_f64_e32 v[170:171], v[138:139], v[12:13]
	v_fma_f64 v[136:137], v[136:137], v[12:13], -v[14:15]
	scratch_load_b128 v[12:15], off, off offset:640
	s_wait_loadcnt_dscnt 0xb01
	v_mul_f64_e32 v[168:169], v[4:5], v[30:31]
	v_mul_f64_e32 v[30:31], v[6:7], v[30:31]
	v_add_f64_e32 v[138:139], v[174:175], v[172:173]
	v_add_f64_e32 v[164:165], v[164:165], v[166:167]
	s_wait_loadcnt_dscnt 0xa00
	v_mul_f64_e32 v[166:167], v[140:141], v[22:23]
	v_mul_f64_e32 v[22:23], v[142:143], v[22:23]
	v_fmac_f64_e32 v[168:169], v[6:7], v[28:29]
	v_fma_f64 v[172:173], v[4:5], v[28:29], -v[30:31]
	ds_load_b128 v[4:7], v2 offset:1248
	ds_load_b128 v[28:31], v2 offset:1264
	v_add_f64_e32 v[174:175], v[138:139], v[136:137]
	v_add_f64_e32 v[164:165], v[164:165], v[170:171]
	scratch_load_b128 v[136:139], off, off offset:656
	s_wait_loadcnt_dscnt 0xa01
	v_mul_f64_e32 v[170:171], v[4:5], v[134:135]
	v_mul_f64_e32 v[134:135], v[6:7], v[134:135]
	v_fmac_f64_e32 v[166:167], v[142:143], v[20:21]
	v_fma_f64 v[140:141], v[140:141], v[20:21], -v[22:23]
	scratch_load_b128 v[20:23], off, off offset:672
	v_add_f64_e32 v[142:143], v[174:175], v[172:173]
	v_add_f64_e32 v[164:165], v[164:165], v[168:169]
	s_wait_loadcnt_dscnt 0xa00
	v_mul_f64_e32 v[168:169], v[28:29], v[26:27]
	v_mul_f64_e32 v[26:27], v[30:31], v[26:27]
	v_fmac_f64_e32 v[170:171], v[6:7], v[132:133]
	v_fma_f64 v[172:173], v[4:5], v[132:133], -v[134:135]
	ds_load_b128 v[4:7], v2 offset:1280
	ds_load_b128 v[132:135], v2 offset:1296
	v_add_f64_e32 v[174:175], v[142:143], v[140:141]
	v_add_f64_e32 v[164:165], v[164:165], v[166:167]
	scratch_load_b128 v[140:143], off, off offset:688
	s_wait_loadcnt_dscnt 0xa01
	v_mul_f64_e32 v[166:167], v[4:5], v[146:147]
	v_mul_f64_e32 v[146:147], v[6:7], v[146:147]
	v_fmac_f64_e32 v[168:169], v[30:31], v[24:25]
	v_fma_f64 v[28:29], v[28:29], v[24:25], -v[26:27]
	scratch_load_b128 v[24:27], off, off offset:704
	v_add_f64_e32 v[30:31], v[174:175], v[172:173]
	v_add_f64_e32 v[164:165], v[164:165], v[170:171]
	s_wait_loadcnt_dscnt 0xa00
	v_mul_f64_e32 v[170:171], v[132:133], v[130:131]
	v_mul_f64_e32 v[130:131], v[134:135], v[130:131]
	v_fmac_f64_e32 v[166:167], v[6:7], v[144:145]
	v_fma_f64 v[172:173], v[4:5], v[144:145], -v[146:147]
	v_add_f64_e32 v[174:175], v[30:31], v[28:29]
	v_add_f64_e32 v[164:165], v[164:165], v[168:169]
	ds_load_b128 v[4:7], v2 offset:1312
	ds_load_b128 v[28:31], v2 offset:1328
	scratch_load_b128 v[144:147], off, off offset:720
	v_fmac_f64_e32 v[170:171], v[134:135], v[128:129]
	v_fma_f64 v[132:133], v[132:133], v[128:129], -v[130:131]
	scratch_load_b128 v[128:131], off, off offset:736
	s_wait_loadcnt_dscnt 0xb01
	v_mul_f64_e32 v[168:169], v[4:5], v[162:163]
	v_mul_f64_e32 v[162:163], v[6:7], v[162:163]
	v_add_f64_e32 v[134:135], v[174:175], v[172:173]
	v_add_f64_e32 v[164:165], v[164:165], v[166:167]
	s_wait_loadcnt_dscnt 0xa00
	v_mul_f64_e32 v[166:167], v[28:29], v[10:11]
	v_mul_f64_e32 v[10:11], v[30:31], v[10:11]
	v_fmac_f64_e32 v[168:169], v[6:7], v[160:161]
	v_fma_f64 v[160:161], v[4:5], v[160:161], -v[162:163]
	v_add_f64_e32 v[162:163], v[134:135], v[132:133]
	v_add_f64_e32 v[164:165], v[164:165], v[170:171]
	ds_load_b128 v[4:7], v2 offset:1344
	ds_load_b128 v[132:135], v2 offset:1360
	v_fmac_f64_e32 v[166:167], v[30:31], v[8:9]
	v_fma_f64 v[8:9], v[28:29], v[8:9], -v[10:11]
	s_wait_loadcnt_dscnt 0x901
	v_mul_f64_e32 v[170:171], v[4:5], v[150:151]
	v_mul_f64_e32 v[150:151], v[6:7], v[150:151]
	s_wait_loadcnt_dscnt 0x800
	v_mul_f64_e32 v[30:31], v[132:133], v[18:19]
	v_mul_f64_e32 v[18:19], v[134:135], v[18:19]
	v_add_f64_e32 v[10:11], v[162:163], v[160:161]
	v_add_f64_e32 v[28:29], v[164:165], v[168:169]
	v_fmac_f64_e32 v[170:171], v[6:7], v[148:149]
	v_fma_f64 v[148:149], v[4:5], v[148:149], -v[150:151]
	v_fmac_f64_e32 v[30:31], v[134:135], v[16:17]
	v_fma_f64 v[16:17], v[132:133], v[16:17], -v[18:19]
	v_add_f64_e32 v[150:151], v[10:11], v[8:9]
	v_add_f64_e32 v[28:29], v[28:29], v[166:167]
	ds_load_b128 v[4:7], v2 offset:1376
	ds_load_b128 v[8:11], v2 offset:1392
	s_wait_loadcnt_dscnt 0x701
	v_mul_f64_e32 v[160:161], v[4:5], v[158:159]
	v_mul_f64_e32 v[158:159], v[6:7], v[158:159]
	s_wait_loadcnt_dscnt 0x600
	v_mul_f64_e32 v[132:133], v[8:9], v[14:15]
	v_mul_f64_e32 v[134:135], v[10:11], v[14:15]
	v_add_f64_e32 v[18:19], v[150:151], v[148:149]
	v_add_f64_e32 v[28:29], v[28:29], v[170:171]
	v_fmac_f64_e32 v[160:161], v[6:7], v[156:157]
	v_fma_f64 v[148:149], v[4:5], v[156:157], -v[158:159]
	v_fmac_f64_e32 v[132:133], v[10:11], v[12:13]
	v_fma_f64 v[8:9], v[8:9], v[12:13], -v[134:135]
	v_add_f64_e32 v[18:19], v[18:19], v[16:17]
	v_add_f64_e32 v[28:29], v[28:29], v[30:31]
	ds_load_b128 v[4:7], v2 offset:1408
	ds_load_b128 v[14:17], v2 offset:1424
	s_wait_loadcnt_dscnt 0x501
	v_mul_f64_e32 v[30:31], v[4:5], v[138:139]
	v_mul_f64_e32 v[138:139], v[6:7], v[138:139]
	v_add_f64_e32 v[10:11], v[18:19], v[148:149]
	v_add_f64_e32 v[12:13], v[28:29], v[160:161]
	s_wait_loadcnt_dscnt 0x400
	v_mul_f64_e32 v[18:19], v[14:15], v[22:23]
	v_mul_f64_e32 v[22:23], v[16:17], v[22:23]
	v_fmac_f64_e32 v[30:31], v[6:7], v[136:137]
	v_fma_f64 v[28:29], v[4:5], v[136:137], -v[138:139]
	v_add_f64_e32 v[134:135], v[10:11], v[8:9]
	v_add_f64_e32 v[12:13], v[12:13], v[132:133]
	ds_load_b128 v[4:7], v2 offset:1440
	ds_load_b128 v[8:11], v2 offset:1456
	v_fmac_f64_e32 v[18:19], v[16:17], v[20:21]
	v_fma_f64 v[14:15], v[14:15], v[20:21], -v[22:23]
	s_wait_loadcnt_dscnt 0x301
	v_mul_f64_e32 v[132:133], v[4:5], v[142:143]
	v_mul_f64_e32 v[136:137], v[6:7], v[142:143]
	s_wait_loadcnt_dscnt 0x200
	v_mul_f64_e32 v[20:21], v[8:9], v[26:27]
	v_mul_f64_e32 v[22:23], v[10:11], v[26:27]
	v_add_f64_e32 v[16:17], v[134:135], v[28:29]
	v_add_f64_e32 v[12:13], v[12:13], v[30:31]
	v_fmac_f64_e32 v[132:133], v[6:7], v[140:141]
	v_fma_f64 v[26:27], v[4:5], v[140:141], -v[136:137]
	v_fmac_f64_e32 v[20:21], v[10:11], v[24:25]
	v_fma_f64 v[8:9], v[8:9], v[24:25], -v[22:23]
	v_add_f64_e32 v[16:17], v[16:17], v[14:15]
	v_add_f64_e32 v[18:19], v[12:13], v[18:19]
	ds_load_b128 v[4:7], v2 offset:1472
	ds_load_b128 v[12:15], v2 offset:1488
	s_wait_loadcnt_dscnt 0x101
	v_mul_f64_e32 v[2:3], v[4:5], v[146:147]
	v_mul_f64_e32 v[28:29], v[6:7], v[146:147]
	s_wait_loadcnt_dscnt 0x0
	v_mul_f64_e32 v[22:23], v[14:15], v[130:131]
	v_add_f64_e32 v[10:11], v[16:17], v[26:27]
	v_add_f64_e32 v[16:17], v[18:19], v[132:133]
	v_mul_f64_e32 v[18:19], v[12:13], v[130:131]
	v_fmac_f64_e32 v[2:3], v[6:7], v[144:145]
	v_fma_f64 v[4:5], v[4:5], v[144:145], -v[28:29]
	v_add_f64_e32 v[6:7], v[10:11], v[8:9]
	v_add_f64_e32 v[8:9], v[16:17], v[20:21]
	v_fmac_f64_e32 v[18:19], v[14:15], v[128:129]
	v_fma_f64 v[10:11], v[12:13], v[128:129], -v[22:23]
	s_delay_alu instid0(VALU_DEP_4) | instskip(NEXT) | instid1(VALU_DEP_4)
	v_add_f64_e32 v[4:5], v[6:7], v[4:5]
	v_add_f64_e32 v[2:3], v[8:9], v[2:3]
	s_delay_alu instid0(VALU_DEP_2) | instskip(NEXT) | instid1(VALU_DEP_2)
	v_add_f64_e32 v[4:5], v[4:5], v[10:11]
	v_add_f64_e32 v[6:7], v[2:3], v[18:19]
	s_delay_alu instid0(VALU_DEP_2) | instskip(NEXT) | instid1(VALU_DEP_2)
	v_add_f64_e64 v[2:3], v[152:153], -v[4:5]
	v_add_f64_e64 v[4:5], v[154:155], -v[6:7]
	scratch_store_b128 off, v[2:5], off offset:160
	s_wait_xcnt 0x0
	v_cmpx_lt_u32_e32 9, v1
	s_cbranch_execz .LBB110_277
; %bb.276:
	scratch_load_b128 v[2:5], off, s54
	v_mov_b32_e32 v6, 0
	s_delay_alu instid0(VALU_DEP_1)
	v_dual_mov_b32 v7, v6 :: v_dual_mov_b32 v8, v6
	v_mov_b32_e32 v9, v6
	scratch_store_b128 off, v[6:9], off offset:144
	s_wait_loadcnt 0x0
	ds_store_b128 v126, v[2:5]
.LBB110_277:
	s_wait_xcnt 0x0
	s_or_b32 exec_lo, exec_lo, s2
	s_wait_storecnt_dscnt 0x0
	s_barrier_signal -1
	s_barrier_wait -1
	s_clause 0x9
	scratch_load_b128 v[4:7], off, off offset:160
	scratch_load_b128 v[8:11], off, off offset:176
	;; [unrolled: 1-line block ×10, first 2 shown]
	v_mov_b32_e32 v2, 0
	s_mov_b32 s2, exec_lo
	ds_load_b128 v[140:143], v2 offset:912
	s_clause 0x2
	scratch_load_b128 v[144:147], off, off offset:320
	scratch_load_b128 v[148:151], off, off offset:144
	;; [unrolled: 1-line block ×3, first 2 shown]
	s_wait_loadcnt_dscnt 0xc00
	v_mul_f64_e32 v[160:161], v[142:143], v[6:7]
	v_mul_f64_e32 v[164:165], v[140:141], v[6:7]
	ds_load_b128 v[152:155], v2 offset:928
	v_fma_f64 v[168:169], v[140:141], v[4:5], -v[160:161]
	v_fmac_f64_e32 v[164:165], v[142:143], v[4:5]
	ds_load_b128 v[4:7], v2 offset:944
	s_wait_loadcnt_dscnt 0xb01
	v_mul_f64_e32 v[166:167], v[152:153], v[10:11]
	v_mul_f64_e32 v[10:11], v[154:155], v[10:11]
	scratch_load_b128 v[140:143], off, off offset:352
	ds_load_b128 v[160:163], v2 offset:960
	s_wait_loadcnt_dscnt 0xb01
	v_mul_f64_e32 v[170:171], v[4:5], v[14:15]
	v_mul_f64_e32 v[14:15], v[6:7], v[14:15]
	v_add_f64_e32 v[164:165], 0, v[164:165]
	v_fmac_f64_e32 v[166:167], v[154:155], v[8:9]
	v_fma_f64 v[152:153], v[152:153], v[8:9], -v[10:11]
	v_add_f64_e32 v[154:155], 0, v[168:169]
	scratch_load_b128 v[8:11], off, off offset:368
	v_fmac_f64_e32 v[170:171], v[6:7], v[12:13]
	v_fma_f64 v[172:173], v[4:5], v[12:13], -v[14:15]
	ds_load_b128 v[4:7], v2 offset:976
	s_wait_loadcnt_dscnt 0xb01
	v_mul_f64_e32 v[168:169], v[160:161], v[18:19]
	v_mul_f64_e32 v[18:19], v[162:163], v[18:19]
	scratch_load_b128 v[12:15], off, off offset:384
	v_add_f64_e32 v[164:165], v[164:165], v[166:167]
	v_add_f64_e32 v[174:175], v[154:155], v[152:153]
	ds_load_b128 v[152:155], v2 offset:992
	s_wait_loadcnt_dscnt 0xb01
	v_mul_f64_e32 v[166:167], v[4:5], v[22:23]
	v_mul_f64_e32 v[22:23], v[6:7], v[22:23]
	v_fmac_f64_e32 v[168:169], v[162:163], v[16:17]
	v_fma_f64 v[160:161], v[160:161], v[16:17], -v[18:19]
	scratch_load_b128 v[16:19], off, off offset:400
	v_add_f64_e32 v[164:165], v[164:165], v[170:171]
	v_add_f64_e32 v[162:163], v[174:175], v[172:173]
	v_fmac_f64_e32 v[166:167], v[6:7], v[20:21]
	v_fma_f64 v[172:173], v[4:5], v[20:21], -v[22:23]
	ds_load_b128 v[4:7], v2 offset:1008
	s_wait_loadcnt_dscnt 0xb01
	v_mul_f64_e32 v[170:171], v[152:153], v[26:27]
	v_mul_f64_e32 v[26:27], v[154:155], v[26:27]
	scratch_load_b128 v[20:23], off, off offset:416
	v_add_f64_e32 v[164:165], v[164:165], v[168:169]
	s_wait_loadcnt_dscnt 0xb00
	v_mul_f64_e32 v[168:169], v[4:5], v[30:31]
	v_add_f64_e32 v[174:175], v[162:163], v[160:161]
	v_mul_f64_e32 v[30:31], v[6:7], v[30:31]
	ds_load_b128 v[160:163], v2 offset:1024
	v_fmac_f64_e32 v[170:171], v[154:155], v[24:25]
	v_fma_f64 v[152:153], v[152:153], v[24:25], -v[26:27]
	scratch_load_b128 v[24:27], off, off offset:432
	v_add_f64_e32 v[164:165], v[164:165], v[166:167]
	v_fmac_f64_e32 v[168:169], v[6:7], v[28:29]
	v_add_f64_e32 v[154:155], v[174:175], v[172:173]
	v_fma_f64 v[172:173], v[4:5], v[28:29], -v[30:31]
	ds_load_b128 v[4:7], v2 offset:1040
	s_wait_loadcnt_dscnt 0xb01
	v_mul_f64_e32 v[166:167], v[160:161], v[130:131]
	v_mul_f64_e32 v[130:131], v[162:163], v[130:131]
	scratch_load_b128 v[28:31], off, off offset:448
	v_add_f64_e32 v[164:165], v[164:165], v[170:171]
	s_wait_loadcnt_dscnt 0xb00
	v_mul_f64_e32 v[170:171], v[4:5], v[134:135]
	v_add_f64_e32 v[174:175], v[154:155], v[152:153]
	v_mul_f64_e32 v[134:135], v[6:7], v[134:135]
	ds_load_b128 v[152:155], v2 offset:1056
	v_fmac_f64_e32 v[166:167], v[162:163], v[128:129]
	v_fma_f64 v[160:161], v[160:161], v[128:129], -v[130:131]
	scratch_load_b128 v[128:131], off, off offset:464
	v_add_f64_e32 v[164:165], v[164:165], v[168:169]
	v_fmac_f64_e32 v[170:171], v[6:7], v[132:133]
	v_add_f64_e32 v[162:163], v[174:175], v[172:173]
	;; [unrolled: 18-line block ×3, first 2 shown]
	v_fma_f64 v[172:173], v[4:5], v[144:145], -v[146:147]
	ds_load_b128 v[4:7], v2 offset:1104
	s_wait_loadcnt_dscnt 0xa01
	v_mul_f64_e32 v[170:171], v[160:161], v[158:159]
	v_mul_f64_e32 v[158:159], v[162:163], v[158:159]
	scratch_load_b128 v[144:147], off, off offset:512
	v_add_f64_e32 v[164:165], v[164:165], v[168:169]
	v_add_f64_e32 v[174:175], v[154:155], v[152:153]
	s_wait_loadcnt_dscnt 0xa00
	v_mul_f64_e32 v[168:169], v[4:5], v[142:143]
	v_mul_f64_e32 v[142:143], v[6:7], v[142:143]
	v_fmac_f64_e32 v[170:171], v[162:163], v[156:157]
	v_fma_f64 v[160:161], v[160:161], v[156:157], -v[158:159]
	ds_load_b128 v[152:155], v2 offset:1120
	scratch_load_b128 v[156:159], off, off offset:528
	v_add_f64_e32 v[164:165], v[164:165], v[166:167]
	v_add_f64_e32 v[162:163], v[174:175], v[172:173]
	v_fmac_f64_e32 v[168:169], v[6:7], v[140:141]
	v_fma_f64 v[172:173], v[4:5], v[140:141], -v[142:143]
	ds_load_b128 v[4:7], v2 offset:1136
	s_wait_loadcnt_dscnt 0xa01
	v_mul_f64_e32 v[166:167], v[152:153], v[10:11]
	v_mul_f64_e32 v[10:11], v[154:155], v[10:11]
	scratch_load_b128 v[140:143], off, off offset:544
	v_add_f64_e32 v[164:165], v[164:165], v[170:171]
	s_wait_loadcnt_dscnt 0xa00
	v_mul_f64_e32 v[170:171], v[4:5], v[14:15]
	v_add_f64_e32 v[174:175], v[162:163], v[160:161]
	v_mul_f64_e32 v[14:15], v[6:7], v[14:15]
	ds_load_b128 v[160:163], v2 offset:1152
	v_fmac_f64_e32 v[166:167], v[154:155], v[8:9]
	v_fma_f64 v[152:153], v[152:153], v[8:9], -v[10:11]
	scratch_load_b128 v[8:11], off, off offset:560
	v_add_f64_e32 v[164:165], v[164:165], v[168:169]
	v_fmac_f64_e32 v[170:171], v[6:7], v[12:13]
	v_add_f64_e32 v[154:155], v[174:175], v[172:173]
	v_fma_f64 v[172:173], v[4:5], v[12:13], -v[14:15]
	ds_load_b128 v[4:7], v2 offset:1168
	s_wait_loadcnt_dscnt 0xa01
	v_mul_f64_e32 v[168:169], v[160:161], v[18:19]
	v_mul_f64_e32 v[18:19], v[162:163], v[18:19]
	scratch_load_b128 v[12:15], off, off offset:576
	v_add_f64_e32 v[164:165], v[164:165], v[166:167]
	s_wait_loadcnt_dscnt 0xa00
	v_mul_f64_e32 v[166:167], v[4:5], v[22:23]
	v_add_f64_e32 v[174:175], v[154:155], v[152:153]
	v_mul_f64_e32 v[22:23], v[6:7], v[22:23]
	ds_load_b128 v[152:155], v2 offset:1184
	v_fmac_f64_e32 v[168:169], v[162:163], v[16:17]
	v_fma_f64 v[160:161], v[160:161], v[16:17], -v[18:19]
	scratch_load_b128 v[16:19], off, off offset:592
	v_add_f64_e32 v[164:165], v[164:165], v[170:171]
	v_fmac_f64_e32 v[166:167], v[6:7], v[20:21]
	v_add_f64_e32 v[162:163], v[174:175], v[172:173]
	;; [unrolled: 18-line block ×6, first 2 shown]
	v_fma_f64 v[172:173], v[4:5], v[140:141], -v[142:143]
	ds_load_b128 v[4:7], v2 offset:1328
	s_wait_loadcnt_dscnt 0xa01
	v_mul_f64_e32 v[166:167], v[152:153], v[10:11]
	v_mul_f64_e32 v[10:11], v[154:155], v[10:11]
	scratch_load_b128 v[140:143], off, off offset:736
	v_add_f64_e32 v[164:165], v[164:165], v[170:171]
	s_wait_loadcnt_dscnt 0xa00
	v_mul_f64_e32 v[170:171], v[4:5], v[14:15]
	v_add_f64_e32 v[174:175], v[162:163], v[160:161]
	v_mul_f64_e32 v[14:15], v[6:7], v[14:15]
	ds_load_b128 v[160:163], v2 offset:1344
	v_fmac_f64_e32 v[166:167], v[154:155], v[8:9]
	v_fma_f64 v[8:9], v[152:153], v[8:9], -v[10:11]
	s_wait_loadcnt_dscnt 0x900
	v_mul_f64_e32 v[154:155], v[160:161], v[18:19]
	v_mul_f64_e32 v[18:19], v[162:163], v[18:19]
	v_add_f64_e32 v[152:153], v[164:165], v[168:169]
	v_fmac_f64_e32 v[170:171], v[6:7], v[12:13]
	v_add_f64_e32 v[10:11], v[174:175], v[172:173]
	v_fma_f64 v[12:13], v[4:5], v[12:13], -v[14:15]
	v_fmac_f64_e32 v[154:155], v[162:163], v[16:17]
	v_fma_f64 v[16:17], v[160:161], v[16:17], -v[18:19]
	v_add_f64_e32 v[152:153], v[152:153], v[166:167]
	v_add_f64_e32 v[14:15], v[10:11], v[8:9]
	ds_load_b128 v[4:7], v2 offset:1360
	ds_load_b128 v[8:11], v2 offset:1376
	s_wait_loadcnt_dscnt 0x801
	v_mul_f64_e32 v[164:165], v[4:5], v[22:23]
	v_mul_f64_e32 v[22:23], v[6:7], v[22:23]
	s_wait_loadcnt_dscnt 0x700
	v_mul_f64_e32 v[18:19], v[8:9], v[26:27]
	v_mul_f64_e32 v[26:27], v[10:11], v[26:27]
	v_add_f64_e32 v[12:13], v[14:15], v[12:13]
	v_add_f64_e32 v[14:15], v[152:153], v[170:171]
	v_fmac_f64_e32 v[164:165], v[6:7], v[20:21]
	v_fma_f64 v[20:21], v[4:5], v[20:21], -v[22:23]
	v_fmac_f64_e32 v[18:19], v[10:11], v[24:25]
	v_fma_f64 v[8:9], v[8:9], v[24:25], -v[26:27]
	v_add_f64_e32 v[16:17], v[12:13], v[16:17]
	v_add_f64_e32 v[22:23], v[14:15], v[154:155]
	ds_load_b128 v[4:7], v2 offset:1392
	ds_load_b128 v[12:15], v2 offset:1408
	s_wait_loadcnt_dscnt 0x601
	v_mul_f64_e32 v[152:153], v[4:5], v[30:31]
	v_mul_f64_e32 v[30:31], v[6:7], v[30:31]
	v_add_f64_e32 v[10:11], v[16:17], v[20:21]
	v_add_f64_e32 v[16:17], v[22:23], v[164:165]
	s_wait_loadcnt_dscnt 0x500
	v_mul_f64_e32 v[20:21], v[12:13], v[130:131]
	v_mul_f64_e32 v[22:23], v[14:15], v[130:131]
	v_fmac_f64_e32 v[152:153], v[6:7], v[28:29]
	v_fma_f64 v[24:25], v[4:5], v[28:29], -v[30:31]
	v_add_f64_e32 v[26:27], v[10:11], v[8:9]
	v_add_f64_e32 v[16:17], v[16:17], v[18:19]
	ds_load_b128 v[4:7], v2 offset:1424
	ds_load_b128 v[8:11], v2 offset:1440
	v_fmac_f64_e32 v[20:21], v[14:15], v[128:129]
	v_fma_f64 v[12:13], v[12:13], v[128:129], -v[22:23]
	s_wait_loadcnt_dscnt 0x401
	v_mul_f64_e32 v[18:19], v[4:5], v[134:135]
	v_mul_f64_e32 v[28:29], v[6:7], v[134:135]
	s_wait_loadcnt_dscnt 0x300
	v_mul_f64_e32 v[22:23], v[8:9], v[138:139]
	v_add_f64_e32 v[14:15], v[26:27], v[24:25]
	v_add_f64_e32 v[16:17], v[16:17], v[152:153]
	v_mul_f64_e32 v[24:25], v[10:11], v[138:139]
	v_fmac_f64_e32 v[18:19], v[6:7], v[132:133]
	v_fma_f64 v[26:27], v[4:5], v[132:133], -v[28:29]
	v_fmac_f64_e32 v[22:23], v[10:11], v[136:137]
	v_add_f64_e32 v[28:29], v[14:15], v[12:13]
	v_add_f64_e32 v[16:17], v[16:17], v[20:21]
	ds_load_b128 v[4:7], v2 offset:1456
	ds_load_b128 v[12:15], v2 offset:1472
	v_fma_f64 v[8:9], v[8:9], v[136:137], -v[24:25]
	s_wait_loadcnt_dscnt 0x201
	v_mul_f64_e32 v[20:21], v[4:5], v[146:147]
	v_mul_f64_e32 v[30:31], v[6:7], v[146:147]
	s_wait_loadcnt_dscnt 0x100
	v_mul_f64_e32 v[24:25], v[14:15], v[158:159]
	v_add_f64_e32 v[10:11], v[28:29], v[26:27]
	v_add_f64_e32 v[16:17], v[16:17], v[18:19]
	v_mul_f64_e32 v[18:19], v[12:13], v[158:159]
	v_fmac_f64_e32 v[20:21], v[6:7], v[144:145]
	v_fma_f64 v[26:27], v[4:5], v[144:145], -v[30:31]
	ds_load_b128 v[4:7], v2 offset:1488
	v_fma_f64 v[12:13], v[12:13], v[156:157], -v[24:25]
	v_add_f64_e32 v[8:9], v[10:11], v[8:9]
	v_add_f64_e32 v[10:11], v[16:17], v[22:23]
	v_fmac_f64_e32 v[18:19], v[14:15], v[156:157]
	s_wait_loadcnt_dscnt 0x0
	v_mul_f64_e32 v[16:17], v[4:5], v[142:143]
	v_mul_f64_e32 v[22:23], v[6:7], v[142:143]
	v_add_f64_e32 v[8:9], v[8:9], v[26:27]
	v_add_f64_e32 v[10:11], v[10:11], v[20:21]
	s_delay_alu instid0(VALU_DEP_4) | instskip(NEXT) | instid1(VALU_DEP_4)
	v_fmac_f64_e32 v[16:17], v[6:7], v[140:141]
	v_fma_f64 v[4:5], v[4:5], v[140:141], -v[22:23]
	s_delay_alu instid0(VALU_DEP_4) | instskip(NEXT) | instid1(VALU_DEP_4)
	v_add_f64_e32 v[6:7], v[8:9], v[12:13]
	v_add_f64_e32 v[8:9], v[10:11], v[18:19]
	s_delay_alu instid0(VALU_DEP_2) | instskip(NEXT) | instid1(VALU_DEP_2)
	v_add_f64_e32 v[4:5], v[6:7], v[4:5]
	v_add_f64_e32 v[6:7], v[8:9], v[16:17]
	s_delay_alu instid0(VALU_DEP_2) | instskip(NEXT) | instid1(VALU_DEP_2)
	v_add_f64_e64 v[4:5], v[148:149], -v[4:5]
	v_add_f64_e64 v[6:7], v[150:151], -v[6:7]
	scratch_store_b128 off, v[4:7], off offset:144
	s_wait_xcnt 0x0
	v_cmpx_lt_u32_e32 8, v1
	s_cbranch_execz .LBB110_279
; %bb.278:
	scratch_load_b128 v[6:9], off, s55
	v_dual_mov_b32 v3, v2 :: v_dual_mov_b32 v4, v2
	v_mov_b32_e32 v5, v2
	scratch_store_b128 off, v[2:5], off offset:128
	s_wait_loadcnt 0x0
	ds_store_b128 v126, v[6:9]
.LBB110_279:
	s_wait_xcnt 0x0
	s_or_b32 exec_lo, exec_lo, s2
	s_wait_storecnt_dscnt 0x0
	s_barrier_signal -1
	s_barrier_wait -1
	s_clause 0x9
	scratch_load_b128 v[4:7], off, off offset:144
	scratch_load_b128 v[8:11], off, off offset:160
	;; [unrolled: 1-line block ×10, first 2 shown]
	ds_load_b128 v[140:143], v2 offset:896
	ds_load_b128 v[148:151], v2 offset:912
	s_clause 0x2
	scratch_load_b128 v[144:147], off, off offset:304
	scratch_load_b128 v[152:155], off, off offset:128
	;; [unrolled: 1-line block ×3, first 2 shown]
	s_mov_b32 s2, exec_lo
	s_wait_loadcnt_dscnt 0xc01
	v_mul_f64_e32 v[160:161], v[142:143], v[6:7]
	v_mul_f64_e32 v[164:165], v[140:141], v[6:7]
	s_wait_loadcnt_dscnt 0xb00
	v_mul_f64_e32 v[166:167], v[148:149], v[10:11]
	v_mul_f64_e32 v[10:11], v[150:151], v[10:11]
	s_delay_alu instid0(VALU_DEP_4) | instskip(NEXT) | instid1(VALU_DEP_4)
	v_fma_f64 v[168:169], v[140:141], v[4:5], -v[160:161]
	v_fmac_f64_e32 v[164:165], v[142:143], v[4:5]
	ds_load_b128 v[4:7], v2 offset:928
	ds_load_b128 v[140:143], v2 offset:944
	scratch_load_b128 v[160:163], off, off offset:336
	v_fmac_f64_e32 v[166:167], v[150:151], v[8:9]
	v_fma_f64 v[148:149], v[148:149], v[8:9], -v[10:11]
	scratch_load_b128 v[8:11], off, off offset:352
	s_wait_loadcnt_dscnt 0xc01
	v_mul_f64_e32 v[170:171], v[4:5], v[14:15]
	v_mul_f64_e32 v[14:15], v[6:7], v[14:15]
	v_add_f64_e32 v[150:151], 0, v[168:169]
	v_add_f64_e32 v[164:165], 0, v[164:165]
	s_wait_loadcnt_dscnt 0xb00
	v_mul_f64_e32 v[168:169], v[140:141], v[18:19]
	v_mul_f64_e32 v[18:19], v[142:143], v[18:19]
	v_fmac_f64_e32 v[170:171], v[6:7], v[12:13]
	v_fma_f64 v[172:173], v[4:5], v[12:13], -v[14:15]
	ds_load_b128 v[4:7], v2 offset:960
	ds_load_b128 v[12:15], v2 offset:976
	v_add_f64_e32 v[174:175], v[150:151], v[148:149]
	v_add_f64_e32 v[164:165], v[164:165], v[166:167]
	scratch_load_b128 v[148:151], off, off offset:368
	v_fmac_f64_e32 v[168:169], v[142:143], v[16:17]
	v_fma_f64 v[140:141], v[140:141], v[16:17], -v[18:19]
	scratch_load_b128 v[16:19], off, off offset:384
	s_wait_loadcnt_dscnt 0xc01
	v_mul_f64_e32 v[166:167], v[4:5], v[22:23]
	v_mul_f64_e32 v[22:23], v[6:7], v[22:23]
	v_add_f64_e32 v[142:143], v[174:175], v[172:173]
	v_add_f64_e32 v[164:165], v[164:165], v[170:171]
	s_wait_loadcnt_dscnt 0xb00
	v_mul_f64_e32 v[170:171], v[12:13], v[26:27]
	v_mul_f64_e32 v[26:27], v[14:15], v[26:27]
	v_fmac_f64_e32 v[166:167], v[6:7], v[20:21]
	v_fma_f64 v[172:173], v[4:5], v[20:21], -v[22:23]
	ds_load_b128 v[4:7], v2 offset:992
	ds_load_b128 v[20:23], v2 offset:1008
	v_add_f64_e32 v[174:175], v[142:143], v[140:141]
	v_add_f64_e32 v[164:165], v[164:165], v[168:169]
	scratch_load_b128 v[140:143], off, off offset:400
	s_wait_loadcnt_dscnt 0xb01
	v_mul_f64_e32 v[168:169], v[4:5], v[30:31]
	v_mul_f64_e32 v[30:31], v[6:7], v[30:31]
	v_fmac_f64_e32 v[170:171], v[14:15], v[24:25]
	v_fma_f64 v[24:25], v[12:13], v[24:25], -v[26:27]
	scratch_load_b128 v[12:15], off, off offset:416
	v_add_f64_e32 v[26:27], v[174:175], v[172:173]
	v_add_f64_e32 v[164:165], v[164:165], v[166:167]
	s_wait_loadcnt_dscnt 0xb00
	v_mul_f64_e32 v[166:167], v[20:21], v[130:131]
	v_mul_f64_e32 v[130:131], v[22:23], v[130:131]
	v_fmac_f64_e32 v[168:169], v[6:7], v[28:29]
	v_fma_f64 v[172:173], v[4:5], v[28:29], -v[30:31]
	v_add_f64_e32 v[174:175], v[26:27], v[24:25]
	v_add_f64_e32 v[164:165], v[164:165], v[170:171]
	ds_load_b128 v[4:7], v2 offset:1024
	ds_load_b128 v[24:27], v2 offset:1040
	scratch_load_b128 v[28:31], off, off offset:432
	v_fmac_f64_e32 v[166:167], v[22:23], v[128:129]
	v_fma_f64 v[128:129], v[20:21], v[128:129], -v[130:131]
	scratch_load_b128 v[20:23], off, off offset:448
	s_wait_loadcnt_dscnt 0xc01
	v_mul_f64_e32 v[170:171], v[4:5], v[134:135]
	v_mul_f64_e32 v[134:135], v[6:7], v[134:135]
	v_add_f64_e32 v[130:131], v[174:175], v[172:173]
	v_add_f64_e32 v[164:165], v[164:165], v[168:169]
	s_wait_loadcnt_dscnt 0xb00
	v_mul_f64_e32 v[168:169], v[24:25], v[138:139]
	v_mul_f64_e32 v[138:139], v[26:27], v[138:139]
	v_fmac_f64_e32 v[170:171], v[6:7], v[132:133]
	v_fma_f64 v[172:173], v[4:5], v[132:133], -v[134:135]
	v_add_f64_e32 v[174:175], v[130:131], v[128:129]
	v_add_f64_e32 v[164:165], v[164:165], v[166:167]
	ds_load_b128 v[4:7], v2 offset:1056
	ds_load_b128 v[128:131], v2 offset:1072
	scratch_load_b128 v[132:135], off, off offset:464
	v_fmac_f64_e32 v[168:169], v[26:27], v[136:137]
	v_fma_f64 v[136:137], v[24:25], v[136:137], -v[138:139]
	scratch_load_b128 v[24:27], off, off offset:480
	s_wait_loadcnt_dscnt 0xc01
	v_mul_f64_e32 v[166:167], v[4:5], v[146:147]
	v_mul_f64_e32 v[146:147], v[6:7], v[146:147]
	;; [unrolled: 18-line block ×5, first 2 shown]
	v_add_f64_e32 v[158:159], v[174:175], v[172:173]
	v_add_f64_e32 v[164:165], v[164:165], v[170:171]
	s_wait_loadcnt_dscnt 0xa00
	v_mul_f64_e32 v[170:171], v[136:137], v[14:15]
	v_mul_f64_e32 v[14:15], v[138:139], v[14:15]
	v_fmac_f64_e32 v[166:167], v[6:7], v[140:141]
	v_fma_f64 v[172:173], v[4:5], v[140:141], -v[142:143]
	ds_load_b128 v[4:7], v2 offset:1184
	ds_load_b128 v[140:143], v2 offset:1200
	v_add_f64_e32 v[174:175], v[158:159], v[156:157]
	v_add_f64_e32 v[164:165], v[164:165], v[168:169]
	scratch_load_b128 v[156:159], off, off offset:592
	v_fmac_f64_e32 v[170:171], v[138:139], v[12:13]
	v_fma_f64 v[136:137], v[136:137], v[12:13], -v[14:15]
	scratch_load_b128 v[12:15], off, off offset:608
	s_wait_loadcnt_dscnt 0xb01
	v_mul_f64_e32 v[168:169], v[4:5], v[30:31]
	v_mul_f64_e32 v[30:31], v[6:7], v[30:31]
	v_add_f64_e32 v[138:139], v[174:175], v[172:173]
	v_add_f64_e32 v[164:165], v[164:165], v[166:167]
	s_wait_loadcnt_dscnt 0xa00
	v_mul_f64_e32 v[166:167], v[140:141], v[22:23]
	v_mul_f64_e32 v[22:23], v[142:143], v[22:23]
	v_fmac_f64_e32 v[168:169], v[6:7], v[28:29]
	v_fma_f64 v[172:173], v[4:5], v[28:29], -v[30:31]
	ds_load_b128 v[4:7], v2 offset:1216
	ds_load_b128 v[28:31], v2 offset:1232
	v_add_f64_e32 v[174:175], v[138:139], v[136:137]
	v_add_f64_e32 v[164:165], v[164:165], v[170:171]
	scratch_load_b128 v[136:139], off, off offset:624
	s_wait_loadcnt_dscnt 0xa01
	v_mul_f64_e32 v[170:171], v[4:5], v[134:135]
	v_mul_f64_e32 v[134:135], v[6:7], v[134:135]
	v_fmac_f64_e32 v[166:167], v[142:143], v[20:21]
	v_fma_f64 v[140:141], v[140:141], v[20:21], -v[22:23]
	scratch_load_b128 v[20:23], off, off offset:640
	v_add_f64_e32 v[142:143], v[174:175], v[172:173]
	v_add_f64_e32 v[164:165], v[164:165], v[168:169]
	s_wait_loadcnt_dscnt 0xa00
	v_mul_f64_e32 v[168:169], v[28:29], v[26:27]
	v_mul_f64_e32 v[26:27], v[30:31], v[26:27]
	v_fmac_f64_e32 v[170:171], v[6:7], v[132:133]
	v_fma_f64 v[172:173], v[4:5], v[132:133], -v[134:135]
	ds_load_b128 v[4:7], v2 offset:1248
	ds_load_b128 v[132:135], v2 offset:1264
	v_add_f64_e32 v[174:175], v[142:143], v[140:141]
	v_add_f64_e32 v[164:165], v[164:165], v[166:167]
	scratch_load_b128 v[140:143], off, off offset:656
	s_wait_loadcnt_dscnt 0xa01
	v_mul_f64_e32 v[166:167], v[4:5], v[146:147]
	v_mul_f64_e32 v[146:147], v[6:7], v[146:147]
	v_fmac_f64_e32 v[168:169], v[30:31], v[24:25]
	v_fma_f64 v[28:29], v[28:29], v[24:25], -v[26:27]
	scratch_load_b128 v[24:27], off, off offset:672
	v_add_f64_e32 v[30:31], v[174:175], v[172:173]
	v_add_f64_e32 v[164:165], v[164:165], v[170:171]
	s_wait_loadcnt_dscnt 0xa00
	v_mul_f64_e32 v[170:171], v[132:133], v[130:131]
	v_mul_f64_e32 v[130:131], v[134:135], v[130:131]
	v_fmac_f64_e32 v[166:167], v[6:7], v[144:145]
	v_fma_f64 v[172:173], v[4:5], v[144:145], -v[146:147]
	v_add_f64_e32 v[174:175], v[30:31], v[28:29]
	v_add_f64_e32 v[164:165], v[164:165], v[168:169]
	ds_load_b128 v[4:7], v2 offset:1280
	ds_load_b128 v[28:31], v2 offset:1296
	scratch_load_b128 v[144:147], off, off offset:688
	v_fmac_f64_e32 v[170:171], v[134:135], v[128:129]
	v_fma_f64 v[132:133], v[132:133], v[128:129], -v[130:131]
	scratch_load_b128 v[128:131], off, off offset:704
	s_wait_loadcnt_dscnt 0xb01
	v_mul_f64_e32 v[168:169], v[4:5], v[162:163]
	v_mul_f64_e32 v[162:163], v[6:7], v[162:163]
	v_add_f64_e32 v[134:135], v[174:175], v[172:173]
	v_add_f64_e32 v[164:165], v[164:165], v[166:167]
	s_wait_loadcnt_dscnt 0xa00
	v_mul_f64_e32 v[166:167], v[28:29], v[10:11]
	v_mul_f64_e32 v[10:11], v[30:31], v[10:11]
	v_fmac_f64_e32 v[168:169], v[6:7], v[160:161]
	v_fma_f64 v[172:173], v[4:5], v[160:161], -v[162:163]
	v_add_f64_e32 v[174:175], v[134:135], v[132:133]
	v_add_f64_e32 v[164:165], v[164:165], v[170:171]
	ds_load_b128 v[4:7], v2 offset:1312
	ds_load_b128 v[132:135], v2 offset:1328
	scratch_load_b128 v[160:163], off, off offset:720
	v_fmac_f64_e32 v[166:167], v[30:31], v[8:9]
	v_fma_f64 v[28:29], v[28:29], v[8:9], -v[10:11]
	scratch_load_b128 v[8:11], off, off offset:736
	s_wait_loadcnt_dscnt 0xb01
	v_mul_f64_e32 v[170:171], v[4:5], v[150:151]
	v_mul_f64_e32 v[150:151], v[6:7], v[150:151]
	v_add_f64_e32 v[30:31], v[174:175], v[172:173]
	v_add_f64_e32 v[164:165], v[164:165], v[168:169]
	s_wait_loadcnt_dscnt 0xa00
	v_mul_f64_e32 v[168:169], v[132:133], v[18:19]
	v_mul_f64_e32 v[18:19], v[134:135], v[18:19]
	v_fmac_f64_e32 v[170:171], v[6:7], v[148:149]
	v_fma_f64 v[148:149], v[4:5], v[148:149], -v[150:151]
	v_add_f64_e32 v[150:151], v[30:31], v[28:29]
	v_add_f64_e32 v[164:165], v[164:165], v[166:167]
	ds_load_b128 v[4:7], v2 offset:1344
	ds_load_b128 v[28:31], v2 offset:1360
	v_fmac_f64_e32 v[168:169], v[134:135], v[16:17]
	v_fma_f64 v[16:17], v[132:133], v[16:17], -v[18:19]
	s_wait_loadcnt_dscnt 0x901
	v_mul_f64_e32 v[166:167], v[4:5], v[158:159]
	v_mul_f64_e32 v[158:159], v[6:7], v[158:159]
	s_wait_loadcnt_dscnt 0x800
	v_mul_f64_e32 v[134:135], v[28:29], v[14:15]
	v_add_f64_e32 v[18:19], v[150:151], v[148:149]
	v_add_f64_e32 v[132:133], v[164:165], v[170:171]
	v_mul_f64_e32 v[148:149], v[30:31], v[14:15]
	v_fmac_f64_e32 v[166:167], v[6:7], v[156:157]
	v_fma_f64 v[150:151], v[4:5], v[156:157], -v[158:159]
	v_fmac_f64_e32 v[134:135], v[30:31], v[12:13]
	v_add_f64_e32 v[18:19], v[18:19], v[16:17]
	v_add_f64_e32 v[132:133], v[132:133], v[168:169]
	ds_load_b128 v[4:7], v2 offset:1376
	ds_load_b128 v[14:17], v2 offset:1392
	v_fma_f64 v[12:13], v[28:29], v[12:13], -v[148:149]
	s_wait_loadcnt_dscnt 0x701
	v_mul_f64_e32 v[156:157], v[4:5], v[138:139]
	v_mul_f64_e32 v[138:139], v[6:7], v[138:139]
	v_add_f64_e32 v[18:19], v[18:19], v[150:151]
	v_add_f64_e32 v[28:29], v[132:133], v[166:167]
	s_wait_loadcnt_dscnt 0x600
	v_mul_f64_e32 v[132:133], v[14:15], v[22:23]
	v_mul_f64_e32 v[22:23], v[16:17], v[22:23]
	v_fmac_f64_e32 v[156:157], v[6:7], v[136:137]
	v_fma_f64 v[136:137], v[4:5], v[136:137], -v[138:139]
	v_add_f64_e32 v[12:13], v[18:19], v[12:13]
	v_add_f64_e32 v[18:19], v[28:29], v[134:135]
	ds_load_b128 v[4:7], v2 offset:1408
	ds_load_b128 v[28:31], v2 offset:1424
	v_fmac_f64_e32 v[132:133], v[16:17], v[20:21]
	v_fma_f64 v[14:15], v[14:15], v[20:21], -v[22:23]
	s_wait_loadcnt_dscnt 0x501
	v_mul_f64_e32 v[134:135], v[4:5], v[142:143]
	v_mul_f64_e32 v[138:139], v[6:7], v[142:143]
	s_wait_loadcnt_dscnt 0x400
	v_mul_f64_e32 v[20:21], v[30:31], v[26:27]
	v_add_f64_e32 v[12:13], v[12:13], v[136:137]
	v_add_f64_e32 v[16:17], v[18:19], v[156:157]
	v_mul_f64_e32 v[18:19], v[28:29], v[26:27]
	v_fmac_f64_e32 v[134:135], v[6:7], v[140:141]
	v_fma_f64 v[22:23], v[4:5], v[140:141], -v[138:139]
	v_fma_f64 v[20:21], v[28:29], v[24:25], -v[20:21]
	v_add_f64_e32 v[26:27], v[12:13], v[14:15]
	v_add_f64_e32 v[16:17], v[16:17], v[132:133]
	ds_load_b128 v[4:7], v2 offset:1440
	ds_load_b128 v[12:15], v2 offset:1456
	v_fmac_f64_e32 v[18:19], v[30:31], v[24:25]
	s_wait_loadcnt_dscnt 0x301
	v_mul_f64_e32 v[132:133], v[4:5], v[146:147]
	v_mul_f64_e32 v[136:137], v[6:7], v[146:147]
	s_wait_loadcnt_dscnt 0x200
	v_mul_f64_e32 v[24:25], v[12:13], v[130:131]
	v_add_f64_e32 v[22:23], v[26:27], v[22:23]
	v_add_f64_e32 v[16:17], v[16:17], v[134:135]
	v_mul_f64_e32 v[26:27], v[14:15], v[130:131]
	v_fmac_f64_e32 v[132:133], v[6:7], v[144:145]
	v_fma_f64 v[28:29], v[4:5], v[144:145], -v[136:137]
	v_fmac_f64_e32 v[24:25], v[14:15], v[128:129]
	v_add_f64_e32 v[20:21], v[22:23], v[20:21]
	v_add_f64_e32 v[22:23], v[16:17], v[18:19]
	ds_load_b128 v[4:7], v2 offset:1472
	ds_load_b128 v[16:19], v2 offset:1488
	v_fma_f64 v[12:13], v[12:13], v[128:129], -v[26:27]
	s_wait_loadcnt_dscnt 0x101
	v_mul_f64_e32 v[2:3], v[4:5], v[162:163]
	v_mul_f64_e32 v[30:31], v[6:7], v[162:163]
	v_add_f64_e32 v[14:15], v[20:21], v[28:29]
	v_add_f64_e32 v[20:21], v[22:23], v[132:133]
	s_wait_loadcnt_dscnt 0x0
	v_mul_f64_e32 v[22:23], v[16:17], v[10:11]
	v_mul_f64_e32 v[10:11], v[18:19], v[10:11]
	v_fmac_f64_e32 v[2:3], v[6:7], v[160:161]
	v_fma_f64 v[4:5], v[4:5], v[160:161], -v[30:31]
	v_add_f64_e32 v[6:7], v[14:15], v[12:13]
	v_add_f64_e32 v[12:13], v[20:21], v[24:25]
	v_fmac_f64_e32 v[22:23], v[18:19], v[8:9]
	v_fma_f64 v[8:9], v[16:17], v[8:9], -v[10:11]
	s_delay_alu instid0(VALU_DEP_4) | instskip(NEXT) | instid1(VALU_DEP_4)
	v_add_f64_e32 v[4:5], v[6:7], v[4:5]
	v_add_f64_e32 v[2:3], v[12:13], v[2:3]
	s_delay_alu instid0(VALU_DEP_2) | instskip(NEXT) | instid1(VALU_DEP_2)
	v_add_f64_e32 v[4:5], v[4:5], v[8:9]
	v_add_f64_e32 v[6:7], v[2:3], v[22:23]
	s_delay_alu instid0(VALU_DEP_2) | instskip(NEXT) | instid1(VALU_DEP_2)
	v_add_f64_e64 v[2:3], v[152:153], -v[4:5]
	v_add_f64_e64 v[4:5], v[154:155], -v[6:7]
	scratch_store_b128 off, v[2:5], off offset:128
	s_wait_xcnt 0x0
	v_cmpx_lt_u32_e32 7, v1
	s_cbranch_execz .LBB110_281
; %bb.280:
	scratch_load_b128 v[2:5], off, s56
	v_mov_b32_e32 v6, 0
	s_delay_alu instid0(VALU_DEP_1)
	v_dual_mov_b32 v7, v6 :: v_dual_mov_b32 v8, v6
	v_mov_b32_e32 v9, v6
	scratch_store_b128 off, v[6:9], off offset:112
	s_wait_loadcnt 0x0
	ds_store_b128 v126, v[2:5]
.LBB110_281:
	s_wait_xcnt 0x0
	s_or_b32 exec_lo, exec_lo, s2
	s_wait_storecnt_dscnt 0x0
	s_barrier_signal -1
	s_barrier_wait -1
	s_clause 0x9
	scratch_load_b128 v[4:7], off, off offset:128
	scratch_load_b128 v[8:11], off, off offset:144
	;; [unrolled: 1-line block ×10, first 2 shown]
	v_mov_b32_e32 v2, 0
	s_mov_b32 s2, exec_lo
	ds_load_b128 v[140:143], v2 offset:880
	s_clause 0x2
	scratch_load_b128 v[144:147], off, off offset:288
	scratch_load_b128 v[148:151], off, off offset:112
	;; [unrolled: 1-line block ×3, first 2 shown]
	s_wait_loadcnt_dscnt 0xc00
	v_mul_f64_e32 v[160:161], v[142:143], v[6:7]
	v_mul_f64_e32 v[164:165], v[140:141], v[6:7]
	ds_load_b128 v[152:155], v2 offset:896
	v_fma_f64 v[168:169], v[140:141], v[4:5], -v[160:161]
	v_fmac_f64_e32 v[164:165], v[142:143], v[4:5]
	ds_load_b128 v[4:7], v2 offset:912
	s_wait_loadcnt_dscnt 0xb01
	v_mul_f64_e32 v[166:167], v[152:153], v[10:11]
	v_mul_f64_e32 v[10:11], v[154:155], v[10:11]
	scratch_load_b128 v[140:143], off, off offset:320
	ds_load_b128 v[160:163], v2 offset:928
	s_wait_loadcnt_dscnt 0xb01
	v_mul_f64_e32 v[170:171], v[4:5], v[14:15]
	v_mul_f64_e32 v[14:15], v[6:7], v[14:15]
	v_add_f64_e32 v[164:165], 0, v[164:165]
	v_fmac_f64_e32 v[166:167], v[154:155], v[8:9]
	v_fma_f64 v[152:153], v[152:153], v[8:9], -v[10:11]
	v_add_f64_e32 v[154:155], 0, v[168:169]
	scratch_load_b128 v[8:11], off, off offset:336
	v_fmac_f64_e32 v[170:171], v[6:7], v[12:13]
	v_fma_f64 v[172:173], v[4:5], v[12:13], -v[14:15]
	ds_load_b128 v[4:7], v2 offset:944
	s_wait_loadcnt_dscnt 0xb01
	v_mul_f64_e32 v[168:169], v[160:161], v[18:19]
	v_mul_f64_e32 v[18:19], v[162:163], v[18:19]
	scratch_load_b128 v[12:15], off, off offset:352
	v_add_f64_e32 v[164:165], v[164:165], v[166:167]
	v_add_f64_e32 v[174:175], v[154:155], v[152:153]
	ds_load_b128 v[152:155], v2 offset:960
	s_wait_loadcnt_dscnt 0xb01
	v_mul_f64_e32 v[166:167], v[4:5], v[22:23]
	v_mul_f64_e32 v[22:23], v[6:7], v[22:23]
	v_fmac_f64_e32 v[168:169], v[162:163], v[16:17]
	v_fma_f64 v[160:161], v[160:161], v[16:17], -v[18:19]
	scratch_load_b128 v[16:19], off, off offset:368
	v_add_f64_e32 v[164:165], v[164:165], v[170:171]
	v_add_f64_e32 v[162:163], v[174:175], v[172:173]
	v_fmac_f64_e32 v[166:167], v[6:7], v[20:21]
	v_fma_f64 v[172:173], v[4:5], v[20:21], -v[22:23]
	ds_load_b128 v[4:7], v2 offset:976
	s_wait_loadcnt_dscnt 0xb01
	v_mul_f64_e32 v[170:171], v[152:153], v[26:27]
	v_mul_f64_e32 v[26:27], v[154:155], v[26:27]
	scratch_load_b128 v[20:23], off, off offset:384
	v_add_f64_e32 v[164:165], v[164:165], v[168:169]
	s_wait_loadcnt_dscnt 0xb00
	v_mul_f64_e32 v[168:169], v[4:5], v[30:31]
	v_add_f64_e32 v[174:175], v[162:163], v[160:161]
	v_mul_f64_e32 v[30:31], v[6:7], v[30:31]
	ds_load_b128 v[160:163], v2 offset:992
	v_fmac_f64_e32 v[170:171], v[154:155], v[24:25]
	v_fma_f64 v[152:153], v[152:153], v[24:25], -v[26:27]
	scratch_load_b128 v[24:27], off, off offset:400
	v_add_f64_e32 v[164:165], v[164:165], v[166:167]
	v_fmac_f64_e32 v[168:169], v[6:7], v[28:29]
	v_add_f64_e32 v[154:155], v[174:175], v[172:173]
	v_fma_f64 v[172:173], v[4:5], v[28:29], -v[30:31]
	ds_load_b128 v[4:7], v2 offset:1008
	s_wait_loadcnt_dscnt 0xb01
	v_mul_f64_e32 v[166:167], v[160:161], v[130:131]
	v_mul_f64_e32 v[130:131], v[162:163], v[130:131]
	scratch_load_b128 v[28:31], off, off offset:416
	v_add_f64_e32 v[164:165], v[164:165], v[170:171]
	s_wait_loadcnt_dscnt 0xb00
	v_mul_f64_e32 v[170:171], v[4:5], v[134:135]
	v_add_f64_e32 v[174:175], v[154:155], v[152:153]
	v_mul_f64_e32 v[134:135], v[6:7], v[134:135]
	ds_load_b128 v[152:155], v2 offset:1024
	v_fmac_f64_e32 v[166:167], v[162:163], v[128:129]
	v_fma_f64 v[160:161], v[160:161], v[128:129], -v[130:131]
	scratch_load_b128 v[128:131], off, off offset:432
	v_add_f64_e32 v[164:165], v[164:165], v[168:169]
	v_fmac_f64_e32 v[170:171], v[6:7], v[132:133]
	v_add_f64_e32 v[162:163], v[174:175], v[172:173]
	;; [unrolled: 18-line block ×3, first 2 shown]
	v_fma_f64 v[172:173], v[4:5], v[144:145], -v[146:147]
	ds_load_b128 v[4:7], v2 offset:1072
	s_wait_loadcnt_dscnt 0xa01
	v_mul_f64_e32 v[170:171], v[160:161], v[158:159]
	v_mul_f64_e32 v[158:159], v[162:163], v[158:159]
	scratch_load_b128 v[144:147], off, off offset:480
	v_add_f64_e32 v[164:165], v[164:165], v[168:169]
	v_add_f64_e32 v[174:175], v[154:155], v[152:153]
	s_wait_loadcnt_dscnt 0xa00
	v_mul_f64_e32 v[168:169], v[4:5], v[142:143]
	v_mul_f64_e32 v[142:143], v[6:7], v[142:143]
	v_fmac_f64_e32 v[170:171], v[162:163], v[156:157]
	v_fma_f64 v[160:161], v[160:161], v[156:157], -v[158:159]
	ds_load_b128 v[152:155], v2 offset:1088
	scratch_load_b128 v[156:159], off, off offset:496
	v_add_f64_e32 v[164:165], v[164:165], v[166:167]
	v_add_f64_e32 v[162:163], v[174:175], v[172:173]
	v_fmac_f64_e32 v[168:169], v[6:7], v[140:141]
	v_fma_f64 v[172:173], v[4:5], v[140:141], -v[142:143]
	ds_load_b128 v[4:7], v2 offset:1104
	s_wait_loadcnt_dscnt 0xa01
	v_mul_f64_e32 v[166:167], v[152:153], v[10:11]
	v_mul_f64_e32 v[10:11], v[154:155], v[10:11]
	scratch_load_b128 v[140:143], off, off offset:512
	v_add_f64_e32 v[164:165], v[164:165], v[170:171]
	s_wait_loadcnt_dscnt 0xa00
	v_mul_f64_e32 v[170:171], v[4:5], v[14:15]
	v_add_f64_e32 v[174:175], v[162:163], v[160:161]
	v_mul_f64_e32 v[14:15], v[6:7], v[14:15]
	ds_load_b128 v[160:163], v2 offset:1120
	v_fmac_f64_e32 v[166:167], v[154:155], v[8:9]
	v_fma_f64 v[152:153], v[152:153], v[8:9], -v[10:11]
	scratch_load_b128 v[8:11], off, off offset:528
	v_add_f64_e32 v[164:165], v[164:165], v[168:169]
	v_fmac_f64_e32 v[170:171], v[6:7], v[12:13]
	v_add_f64_e32 v[154:155], v[174:175], v[172:173]
	v_fma_f64 v[172:173], v[4:5], v[12:13], -v[14:15]
	ds_load_b128 v[4:7], v2 offset:1136
	s_wait_loadcnt_dscnt 0xa01
	v_mul_f64_e32 v[168:169], v[160:161], v[18:19]
	v_mul_f64_e32 v[18:19], v[162:163], v[18:19]
	scratch_load_b128 v[12:15], off, off offset:544
	v_add_f64_e32 v[164:165], v[164:165], v[166:167]
	s_wait_loadcnt_dscnt 0xa00
	v_mul_f64_e32 v[166:167], v[4:5], v[22:23]
	v_add_f64_e32 v[174:175], v[154:155], v[152:153]
	v_mul_f64_e32 v[22:23], v[6:7], v[22:23]
	ds_load_b128 v[152:155], v2 offset:1152
	v_fmac_f64_e32 v[168:169], v[162:163], v[16:17]
	v_fma_f64 v[160:161], v[160:161], v[16:17], -v[18:19]
	scratch_load_b128 v[16:19], off, off offset:560
	v_add_f64_e32 v[164:165], v[164:165], v[170:171]
	v_fmac_f64_e32 v[166:167], v[6:7], v[20:21]
	v_add_f64_e32 v[162:163], v[174:175], v[172:173]
	;; [unrolled: 18-line block ×7, first 2 shown]
	v_fma_f64 v[172:173], v[4:5], v[12:13], -v[14:15]
	ds_load_b128 v[4:7], v2 offset:1328
	s_wait_loadcnt_dscnt 0xa01
	v_mul_f64_e32 v[168:169], v[160:161], v[18:19]
	v_mul_f64_e32 v[18:19], v[162:163], v[18:19]
	scratch_load_b128 v[12:15], off, off offset:736
	v_add_f64_e32 v[164:165], v[164:165], v[166:167]
	s_wait_loadcnt_dscnt 0xa00
	v_mul_f64_e32 v[166:167], v[4:5], v[22:23]
	v_add_f64_e32 v[174:175], v[154:155], v[152:153]
	v_mul_f64_e32 v[22:23], v[6:7], v[22:23]
	ds_load_b128 v[152:155], v2 offset:1344
	v_fmac_f64_e32 v[168:169], v[162:163], v[16:17]
	v_fma_f64 v[16:17], v[160:161], v[16:17], -v[18:19]
	s_wait_loadcnt_dscnt 0x900
	v_mul_f64_e32 v[162:163], v[152:153], v[26:27]
	v_mul_f64_e32 v[26:27], v[154:155], v[26:27]
	v_add_f64_e32 v[160:161], v[164:165], v[170:171]
	v_fmac_f64_e32 v[166:167], v[6:7], v[20:21]
	v_add_f64_e32 v[18:19], v[174:175], v[172:173]
	v_fma_f64 v[20:21], v[4:5], v[20:21], -v[22:23]
	v_fmac_f64_e32 v[162:163], v[154:155], v[24:25]
	v_fma_f64 v[24:25], v[152:153], v[24:25], -v[26:27]
	v_add_f64_e32 v[160:161], v[160:161], v[168:169]
	v_add_f64_e32 v[22:23], v[18:19], v[16:17]
	ds_load_b128 v[4:7], v2 offset:1360
	ds_load_b128 v[16:19], v2 offset:1376
	s_wait_loadcnt_dscnt 0x801
	v_mul_f64_e32 v[164:165], v[4:5], v[30:31]
	v_mul_f64_e32 v[30:31], v[6:7], v[30:31]
	s_wait_loadcnt_dscnt 0x700
	v_mul_f64_e32 v[26:27], v[16:17], v[130:131]
	v_mul_f64_e32 v[130:131], v[18:19], v[130:131]
	v_add_f64_e32 v[20:21], v[22:23], v[20:21]
	v_add_f64_e32 v[22:23], v[160:161], v[166:167]
	v_fmac_f64_e32 v[164:165], v[6:7], v[28:29]
	v_fma_f64 v[28:29], v[4:5], v[28:29], -v[30:31]
	v_fmac_f64_e32 v[26:27], v[18:19], v[128:129]
	v_fma_f64 v[16:17], v[16:17], v[128:129], -v[130:131]
	v_add_f64_e32 v[24:25], v[20:21], v[24:25]
	v_add_f64_e32 v[30:31], v[22:23], v[162:163]
	ds_load_b128 v[4:7], v2 offset:1392
	ds_load_b128 v[20:23], v2 offset:1408
	s_wait_loadcnt_dscnt 0x601
	v_mul_f64_e32 v[152:153], v[4:5], v[134:135]
	v_mul_f64_e32 v[134:135], v[6:7], v[134:135]
	v_add_f64_e32 v[18:19], v[24:25], v[28:29]
	v_add_f64_e32 v[24:25], v[30:31], v[164:165]
	s_wait_loadcnt_dscnt 0x500
	v_mul_f64_e32 v[28:29], v[20:21], v[138:139]
	v_mul_f64_e32 v[30:31], v[22:23], v[138:139]
	v_fmac_f64_e32 v[152:153], v[6:7], v[132:133]
	v_fma_f64 v[128:129], v[4:5], v[132:133], -v[134:135]
	v_add_f64_e32 v[130:131], v[18:19], v[16:17]
	v_add_f64_e32 v[24:25], v[24:25], v[26:27]
	ds_load_b128 v[4:7], v2 offset:1424
	ds_load_b128 v[16:19], v2 offset:1440
	v_fmac_f64_e32 v[28:29], v[22:23], v[136:137]
	v_fma_f64 v[20:21], v[20:21], v[136:137], -v[30:31]
	s_wait_loadcnt_dscnt 0x401
	v_mul_f64_e32 v[26:27], v[4:5], v[146:147]
	v_mul_f64_e32 v[132:133], v[6:7], v[146:147]
	s_wait_loadcnt_dscnt 0x300
	v_mul_f64_e32 v[30:31], v[16:17], v[158:159]
	v_add_f64_e32 v[22:23], v[130:131], v[128:129]
	v_add_f64_e32 v[24:25], v[24:25], v[152:153]
	v_mul_f64_e32 v[128:129], v[18:19], v[158:159]
	v_fmac_f64_e32 v[26:27], v[6:7], v[144:145]
	v_fma_f64 v[130:131], v[4:5], v[144:145], -v[132:133]
	v_fmac_f64_e32 v[30:31], v[18:19], v[156:157]
	v_add_f64_e32 v[132:133], v[22:23], v[20:21]
	v_add_f64_e32 v[24:25], v[24:25], v[28:29]
	ds_load_b128 v[4:7], v2 offset:1456
	ds_load_b128 v[20:23], v2 offset:1472
	v_fma_f64 v[16:17], v[16:17], v[156:157], -v[128:129]
	s_wait_loadcnt_dscnt 0x201
	v_mul_f64_e32 v[28:29], v[4:5], v[142:143]
	v_mul_f64_e32 v[134:135], v[6:7], v[142:143]
	v_add_f64_e32 v[18:19], v[132:133], v[130:131]
	v_add_f64_e32 v[24:25], v[24:25], v[26:27]
	s_wait_loadcnt_dscnt 0x100
	v_mul_f64_e32 v[26:27], v[20:21], v[10:11]
	v_mul_f64_e32 v[10:11], v[22:23], v[10:11]
	v_fmac_f64_e32 v[28:29], v[6:7], v[140:141]
	v_fma_f64 v[128:129], v[4:5], v[140:141], -v[134:135]
	ds_load_b128 v[4:7], v2 offset:1488
	v_add_f64_e32 v[16:17], v[18:19], v[16:17]
	v_add_f64_e32 v[18:19], v[24:25], v[30:31]
	v_fmac_f64_e32 v[26:27], v[22:23], v[8:9]
	v_fma_f64 v[8:9], v[20:21], v[8:9], -v[10:11]
	s_wait_loadcnt_dscnt 0x0
	v_mul_f64_e32 v[24:25], v[4:5], v[14:15]
	v_mul_f64_e32 v[14:15], v[6:7], v[14:15]
	v_add_f64_e32 v[10:11], v[16:17], v[128:129]
	v_add_f64_e32 v[16:17], v[18:19], v[28:29]
	s_delay_alu instid0(VALU_DEP_4) | instskip(NEXT) | instid1(VALU_DEP_4)
	v_fmac_f64_e32 v[24:25], v[6:7], v[12:13]
	v_fma_f64 v[4:5], v[4:5], v[12:13], -v[14:15]
	s_delay_alu instid0(VALU_DEP_4) | instskip(NEXT) | instid1(VALU_DEP_4)
	v_add_f64_e32 v[6:7], v[10:11], v[8:9]
	v_add_f64_e32 v[8:9], v[16:17], v[26:27]
	s_delay_alu instid0(VALU_DEP_2) | instskip(NEXT) | instid1(VALU_DEP_2)
	v_add_f64_e32 v[4:5], v[6:7], v[4:5]
	v_add_f64_e32 v[6:7], v[8:9], v[24:25]
	s_delay_alu instid0(VALU_DEP_2) | instskip(NEXT) | instid1(VALU_DEP_2)
	v_add_f64_e64 v[4:5], v[148:149], -v[4:5]
	v_add_f64_e64 v[6:7], v[150:151], -v[6:7]
	scratch_store_b128 off, v[4:7], off offset:112
	s_wait_xcnt 0x0
	v_cmpx_lt_u32_e32 6, v1
	s_cbranch_execz .LBB110_283
; %bb.282:
	scratch_load_b128 v[6:9], off, s57
	v_dual_mov_b32 v3, v2 :: v_dual_mov_b32 v4, v2
	v_mov_b32_e32 v5, v2
	scratch_store_b128 off, v[2:5], off offset:96
	s_wait_loadcnt 0x0
	ds_store_b128 v126, v[6:9]
.LBB110_283:
	s_wait_xcnt 0x0
	s_or_b32 exec_lo, exec_lo, s2
	s_wait_storecnt_dscnt 0x0
	s_barrier_signal -1
	s_barrier_wait -1
	s_clause 0x9
	scratch_load_b128 v[4:7], off, off offset:112
	scratch_load_b128 v[8:11], off, off offset:128
	;; [unrolled: 1-line block ×10, first 2 shown]
	ds_load_b128 v[140:143], v2 offset:864
	ds_load_b128 v[148:151], v2 offset:880
	s_clause 0x2
	scratch_load_b128 v[144:147], off, off offset:272
	scratch_load_b128 v[152:155], off, off offset:96
	scratch_load_b128 v[156:159], off, off offset:288
	s_mov_b32 s2, exec_lo
	s_wait_loadcnt_dscnt 0xc01
	v_mul_f64_e32 v[160:161], v[142:143], v[6:7]
	v_mul_f64_e32 v[164:165], v[140:141], v[6:7]
	s_wait_loadcnt_dscnt 0xb00
	v_mul_f64_e32 v[166:167], v[148:149], v[10:11]
	v_mul_f64_e32 v[10:11], v[150:151], v[10:11]
	s_delay_alu instid0(VALU_DEP_4) | instskip(NEXT) | instid1(VALU_DEP_4)
	v_fma_f64 v[168:169], v[140:141], v[4:5], -v[160:161]
	v_fmac_f64_e32 v[164:165], v[142:143], v[4:5]
	ds_load_b128 v[4:7], v2 offset:896
	ds_load_b128 v[140:143], v2 offset:912
	scratch_load_b128 v[160:163], off, off offset:304
	v_fmac_f64_e32 v[166:167], v[150:151], v[8:9]
	v_fma_f64 v[148:149], v[148:149], v[8:9], -v[10:11]
	scratch_load_b128 v[8:11], off, off offset:320
	s_wait_loadcnt_dscnt 0xc01
	v_mul_f64_e32 v[170:171], v[4:5], v[14:15]
	v_mul_f64_e32 v[14:15], v[6:7], v[14:15]
	v_add_f64_e32 v[150:151], 0, v[168:169]
	v_add_f64_e32 v[164:165], 0, v[164:165]
	s_wait_loadcnt_dscnt 0xb00
	v_mul_f64_e32 v[168:169], v[140:141], v[18:19]
	v_mul_f64_e32 v[18:19], v[142:143], v[18:19]
	v_fmac_f64_e32 v[170:171], v[6:7], v[12:13]
	v_fma_f64 v[172:173], v[4:5], v[12:13], -v[14:15]
	ds_load_b128 v[4:7], v2 offset:928
	ds_load_b128 v[12:15], v2 offset:944
	v_add_f64_e32 v[174:175], v[150:151], v[148:149]
	v_add_f64_e32 v[164:165], v[164:165], v[166:167]
	scratch_load_b128 v[148:151], off, off offset:336
	v_fmac_f64_e32 v[168:169], v[142:143], v[16:17]
	v_fma_f64 v[140:141], v[140:141], v[16:17], -v[18:19]
	scratch_load_b128 v[16:19], off, off offset:352
	s_wait_loadcnt_dscnt 0xc01
	v_mul_f64_e32 v[166:167], v[4:5], v[22:23]
	v_mul_f64_e32 v[22:23], v[6:7], v[22:23]
	v_add_f64_e32 v[142:143], v[174:175], v[172:173]
	v_add_f64_e32 v[164:165], v[164:165], v[170:171]
	s_wait_loadcnt_dscnt 0xb00
	v_mul_f64_e32 v[170:171], v[12:13], v[26:27]
	v_mul_f64_e32 v[26:27], v[14:15], v[26:27]
	v_fmac_f64_e32 v[166:167], v[6:7], v[20:21]
	v_fma_f64 v[172:173], v[4:5], v[20:21], -v[22:23]
	ds_load_b128 v[4:7], v2 offset:960
	ds_load_b128 v[20:23], v2 offset:976
	v_add_f64_e32 v[174:175], v[142:143], v[140:141]
	v_add_f64_e32 v[164:165], v[164:165], v[168:169]
	scratch_load_b128 v[140:143], off, off offset:368
	s_wait_loadcnt_dscnt 0xb01
	v_mul_f64_e32 v[168:169], v[4:5], v[30:31]
	v_mul_f64_e32 v[30:31], v[6:7], v[30:31]
	v_fmac_f64_e32 v[170:171], v[14:15], v[24:25]
	v_fma_f64 v[24:25], v[12:13], v[24:25], -v[26:27]
	scratch_load_b128 v[12:15], off, off offset:384
	v_add_f64_e32 v[26:27], v[174:175], v[172:173]
	v_add_f64_e32 v[164:165], v[164:165], v[166:167]
	s_wait_loadcnt_dscnt 0xb00
	v_mul_f64_e32 v[166:167], v[20:21], v[130:131]
	v_mul_f64_e32 v[130:131], v[22:23], v[130:131]
	v_fmac_f64_e32 v[168:169], v[6:7], v[28:29]
	v_fma_f64 v[172:173], v[4:5], v[28:29], -v[30:31]
	v_add_f64_e32 v[174:175], v[26:27], v[24:25]
	v_add_f64_e32 v[164:165], v[164:165], v[170:171]
	ds_load_b128 v[4:7], v2 offset:992
	ds_load_b128 v[24:27], v2 offset:1008
	scratch_load_b128 v[28:31], off, off offset:400
	v_fmac_f64_e32 v[166:167], v[22:23], v[128:129]
	v_fma_f64 v[128:129], v[20:21], v[128:129], -v[130:131]
	scratch_load_b128 v[20:23], off, off offset:416
	s_wait_loadcnt_dscnt 0xc01
	v_mul_f64_e32 v[170:171], v[4:5], v[134:135]
	v_mul_f64_e32 v[134:135], v[6:7], v[134:135]
	v_add_f64_e32 v[130:131], v[174:175], v[172:173]
	v_add_f64_e32 v[164:165], v[164:165], v[168:169]
	s_wait_loadcnt_dscnt 0xb00
	v_mul_f64_e32 v[168:169], v[24:25], v[138:139]
	v_mul_f64_e32 v[138:139], v[26:27], v[138:139]
	v_fmac_f64_e32 v[170:171], v[6:7], v[132:133]
	v_fma_f64 v[172:173], v[4:5], v[132:133], -v[134:135]
	v_add_f64_e32 v[174:175], v[130:131], v[128:129]
	v_add_f64_e32 v[164:165], v[164:165], v[166:167]
	ds_load_b128 v[4:7], v2 offset:1024
	ds_load_b128 v[128:131], v2 offset:1040
	scratch_load_b128 v[132:135], off, off offset:432
	v_fmac_f64_e32 v[168:169], v[26:27], v[136:137]
	v_fma_f64 v[136:137], v[24:25], v[136:137], -v[138:139]
	scratch_load_b128 v[24:27], off, off offset:448
	s_wait_loadcnt_dscnt 0xc01
	v_mul_f64_e32 v[166:167], v[4:5], v[146:147]
	v_mul_f64_e32 v[146:147], v[6:7], v[146:147]
	;; [unrolled: 18-line block ×5, first 2 shown]
	v_add_f64_e32 v[158:159], v[174:175], v[172:173]
	v_add_f64_e32 v[164:165], v[164:165], v[170:171]
	s_wait_loadcnt_dscnt 0xa00
	v_mul_f64_e32 v[170:171], v[136:137], v[14:15]
	v_mul_f64_e32 v[14:15], v[138:139], v[14:15]
	v_fmac_f64_e32 v[166:167], v[6:7], v[140:141]
	v_fma_f64 v[172:173], v[4:5], v[140:141], -v[142:143]
	ds_load_b128 v[4:7], v2 offset:1152
	ds_load_b128 v[140:143], v2 offset:1168
	v_add_f64_e32 v[174:175], v[158:159], v[156:157]
	v_add_f64_e32 v[164:165], v[164:165], v[168:169]
	scratch_load_b128 v[156:159], off, off offset:560
	v_fmac_f64_e32 v[170:171], v[138:139], v[12:13]
	v_fma_f64 v[136:137], v[136:137], v[12:13], -v[14:15]
	scratch_load_b128 v[12:15], off, off offset:576
	s_wait_loadcnt_dscnt 0xb01
	v_mul_f64_e32 v[168:169], v[4:5], v[30:31]
	v_mul_f64_e32 v[30:31], v[6:7], v[30:31]
	v_add_f64_e32 v[138:139], v[174:175], v[172:173]
	v_add_f64_e32 v[164:165], v[164:165], v[166:167]
	s_wait_loadcnt_dscnt 0xa00
	v_mul_f64_e32 v[166:167], v[140:141], v[22:23]
	v_mul_f64_e32 v[22:23], v[142:143], v[22:23]
	v_fmac_f64_e32 v[168:169], v[6:7], v[28:29]
	v_fma_f64 v[172:173], v[4:5], v[28:29], -v[30:31]
	ds_load_b128 v[4:7], v2 offset:1184
	ds_load_b128 v[28:31], v2 offset:1200
	v_add_f64_e32 v[174:175], v[138:139], v[136:137]
	v_add_f64_e32 v[164:165], v[164:165], v[170:171]
	scratch_load_b128 v[136:139], off, off offset:592
	s_wait_loadcnt_dscnt 0xa01
	v_mul_f64_e32 v[170:171], v[4:5], v[134:135]
	v_mul_f64_e32 v[134:135], v[6:7], v[134:135]
	v_fmac_f64_e32 v[166:167], v[142:143], v[20:21]
	v_fma_f64 v[140:141], v[140:141], v[20:21], -v[22:23]
	scratch_load_b128 v[20:23], off, off offset:608
	v_add_f64_e32 v[142:143], v[174:175], v[172:173]
	v_add_f64_e32 v[164:165], v[164:165], v[168:169]
	s_wait_loadcnt_dscnt 0xa00
	v_mul_f64_e32 v[168:169], v[28:29], v[26:27]
	v_mul_f64_e32 v[26:27], v[30:31], v[26:27]
	v_fmac_f64_e32 v[170:171], v[6:7], v[132:133]
	v_fma_f64 v[172:173], v[4:5], v[132:133], -v[134:135]
	ds_load_b128 v[4:7], v2 offset:1216
	ds_load_b128 v[132:135], v2 offset:1232
	v_add_f64_e32 v[174:175], v[142:143], v[140:141]
	v_add_f64_e32 v[164:165], v[164:165], v[166:167]
	scratch_load_b128 v[140:143], off, off offset:624
	s_wait_loadcnt_dscnt 0xa01
	v_mul_f64_e32 v[166:167], v[4:5], v[146:147]
	v_mul_f64_e32 v[146:147], v[6:7], v[146:147]
	v_fmac_f64_e32 v[168:169], v[30:31], v[24:25]
	v_fma_f64 v[28:29], v[28:29], v[24:25], -v[26:27]
	scratch_load_b128 v[24:27], off, off offset:640
	v_add_f64_e32 v[30:31], v[174:175], v[172:173]
	v_add_f64_e32 v[164:165], v[164:165], v[170:171]
	s_wait_loadcnt_dscnt 0xa00
	v_mul_f64_e32 v[170:171], v[132:133], v[130:131]
	v_mul_f64_e32 v[130:131], v[134:135], v[130:131]
	v_fmac_f64_e32 v[166:167], v[6:7], v[144:145]
	v_fma_f64 v[172:173], v[4:5], v[144:145], -v[146:147]
	v_add_f64_e32 v[174:175], v[30:31], v[28:29]
	v_add_f64_e32 v[164:165], v[164:165], v[168:169]
	ds_load_b128 v[4:7], v2 offset:1248
	ds_load_b128 v[28:31], v2 offset:1264
	scratch_load_b128 v[144:147], off, off offset:656
	v_fmac_f64_e32 v[170:171], v[134:135], v[128:129]
	v_fma_f64 v[132:133], v[132:133], v[128:129], -v[130:131]
	scratch_load_b128 v[128:131], off, off offset:672
	s_wait_loadcnt_dscnt 0xb01
	v_mul_f64_e32 v[168:169], v[4:5], v[162:163]
	v_mul_f64_e32 v[162:163], v[6:7], v[162:163]
	v_add_f64_e32 v[134:135], v[174:175], v[172:173]
	v_add_f64_e32 v[164:165], v[164:165], v[166:167]
	s_wait_loadcnt_dscnt 0xa00
	v_mul_f64_e32 v[166:167], v[28:29], v[10:11]
	v_mul_f64_e32 v[10:11], v[30:31], v[10:11]
	v_fmac_f64_e32 v[168:169], v[6:7], v[160:161]
	v_fma_f64 v[172:173], v[4:5], v[160:161], -v[162:163]
	v_add_f64_e32 v[174:175], v[134:135], v[132:133]
	v_add_f64_e32 v[164:165], v[164:165], v[170:171]
	ds_load_b128 v[4:7], v2 offset:1280
	ds_load_b128 v[132:135], v2 offset:1296
	scratch_load_b128 v[160:163], off, off offset:688
	v_fmac_f64_e32 v[166:167], v[30:31], v[8:9]
	v_fma_f64 v[28:29], v[28:29], v[8:9], -v[10:11]
	scratch_load_b128 v[8:11], off, off offset:704
	s_wait_loadcnt_dscnt 0xb01
	v_mul_f64_e32 v[170:171], v[4:5], v[150:151]
	v_mul_f64_e32 v[150:151], v[6:7], v[150:151]
	;; [unrolled: 18-line block ×3, first 2 shown]
	v_add_f64_e32 v[134:135], v[174:175], v[172:173]
	v_add_f64_e32 v[164:165], v[164:165], v[170:171]
	s_wait_loadcnt_dscnt 0xa00
	v_mul_f64_e32 v[170:171], v[28:29], v[14:15]
	v_mul_f64_e32 v[14:15], v[30:31], v[14:15]
	v_fmac_f64_e32 v[166:167], v[6:7], v[156:157]
	v_fma_f64 v[156:157], v[4:5], v[156:157], -v[158:159]
	v_add_f64_e32 v[158:159], v[134:135], v[132:133]
	v_add_f64_e32 v[164:165], v[164:165], v[168:169]
	ds_load_b128 v[4:7], v2 offset:1344
	ds_load_b128 v[132:135], v2 offset:1360
	v_fmac_f64_e32 v[170:171], v[30:31], v[12:13]
	v_fma_f64 v[12:13], v[28:29], v[12:13], -v[14:15]
	s_wait_loadcnt_dscnt 0x901
	v_mul_f64_e32 v[168:169], v[4:5], v[138:139]
	v_mul_f64_e32 v[138:139], v[6:7], v[138:139]
	s_wait_loadcnt_dscnt 0x800
	v_mul_f64_e32 v[30:31], v[132:133], v[22:23]
	v_mul_f64_e32 v[22:23], v[134:135], v[22:23]
	v_add_f64_e32 v[14:15], v[158:159], v[156:157]
	v_add_f64_e32 v[28:29], v[164:165], v[166:167]
	v_fmac_f64_e32 v[168:169], v[6:7], v[136:137]
	v_fma_f64 v[136:137], v[4:5], v[136:137], -v[138:139]
	v_fmac_f64_e32 v[30:31], v[134:135], v[20:21]
	v_fma_f64 v[20:21], v[132:133], v[20:21], -v[22:23]
	v_add_f64_e32 v[138:139], v[14:15], v[12:13]
	v_add_f64_e32 v[28:29], v[28:29], v[170:171]
	ds_load_b128 v[4:7], v2 offset:1376
	ds_load_b128 v[12:15], v2 offset:1392
	s_wait_loadcnt_dscnt 0x701
	v_mul_f64_e32 v[156:157], v[4:5], v[142:143]
	v_mul_f64_e32 v[142:143], v[6:7], v[142:143]
	s_wait_loadcnt_dscnt 0x600
	v_mul_f64_e32 v[132:133], v[12:13], v[26:27]
	v_mul_f64_e32 v[26:27], v[14:15], v[26:27]
	v_add_f64_e32 v[22:23], v[138:139], v[136:137]
	v_add_f64_e32 v[28:29], v[28:29], v[168:169]
	v_fmac_f64_e32 v[156:157], v[6:7], v[140:141]
	v_fma_f64 v[134:135], v[4:5], v[140:141], -v[142:143]
	v_fmac_f64_e32 v[132:133], v[14:15], v[24:25]
	v_fma_f64 v[12:13], v[12:13], v[24:25], -v[26:27]
	v_add_f64_e32 v[136:137], v[22:23], v[20:21]
	v_add_f64_e32 v[28:29], v[28:29], v[30:31]
	ds_load_b128 v[4:7], v2 offset:1408
	ds_load_b128 v[20:23], v2 offset:1424
	s_wait_loadcnt_dscnt 0x501
	v_mul_f64_e32 v[30:31], v[4:5], v[146:147]
	v_mul_f64_e32 v[138:139], v[6:7], v[146:147]
	s_wait_loadcnt_dscnt 0x400
	v_mul_f64_e32 v[26:27], v[20:21], v[130:131]
	v_add_f64_e32 v[14:15], v[136:137], v[134:135]
	v_add_f64_e32 v[24:25], v[28:29], v[156:157]
	v_mul_f64_e32 v[28:29], v[22:23], v[130:131]
	v_fmac_f64_e32 v[30:31], v[6:7], v[144:145]
	v_fma_f64 v[130:131], v[4:5], v[144:145], -v[138:139]
	v_fmac_f64_e32 v[26:27], v[22:23], v[128:129]
	v_add_f64_e32 v[134:135], v[14:15], v[12:13]
	v_add_f64_e32 v[24:25], v[24:25], v[132:133]
	ds_load_b128 v[4:7], v2 offset:1440
	ds_load_b128 v[12:15], v2 offset:1456
	v_fma_f64 v[20:21], v[20:21], v[128:129], -v[28:29]
	s_wait_loadcnt_dscnt 0x301
	v_mul_f64_e32 v[132:133], v[4:5], v[162:163]
	v_mul_f64_e32 v[136:137], v[6:7], v[162:163]
	s_wait_loadcnt_dscnt 0x200
	v_mul_f64_e32 v[28:29], v[12:13], v[10:11]
	v_mul_f64_e32 v[10:11], v[14:15], v[10:11]
	v_add_f64_e32 v[22:23], v[134:135], v[130:131]
	v_add_f64_e32 v[24:25], v[24:25], v[30:31]
	v_fmac_f64_e32 v[132:133], v[6:7], v[160:161]
	v_fma_f64 v[30:31], v[4:5], v[160:161], -v[136:137]
	v_fmac_f64_e32 v[28:29], v[14:15], v[8:9]
	v_fma_f64 v[8:9], v[12:13], v[8:9], -v[10:11]
	v_add_f64_e32 v[128:129], v[22:23], v[20:21]
	v_add_f64_e32 v[24:25], v[24:25], v[26:27]
	ds_load_b128 v[4:7], v2 offset:1472
	ds_load_b128 v[20:23], v2 offset:1488
	s_wait_loadcnt_dscnt 0x101
	v_mul_f64_e32 v[2:3], v[4:5], v[150:151]
	v_mul_f64_e32 v[26:27], v[6:7], v[150:151]
	s_wait_loadcnt_dscnt 0x0
	v_mul_f64_e32 v[14:15], v[20:21], v[18:19]
	v_mul_f64_e32 v[18:19], v[22:23], v[18:19]
	v_add_f64_e32 v[10:11], v[128:129], v[30:31]
	v_add_f64_e32 v[12:13], v[24:25], v[132:133]
	v_fmac_f64_e32 v[2:3], v[6:7], v[148:149]
	v_fma_f64 v[4:5], v[4:5], v[148:149], -v[26:27]
	v_fmac_f64_e32 v[14:15], v[22:23], v[16:17]
	v_add_f64_e32 v[6:7], v[10:11], v[8:9]
	v_add_f64_e32 v[8:9], v[12:13], v[28:29]
	v_fma_f64 v[10:11], v[20:21], v[16:17], -v[18:19]
	s_delay_alu instid0(VALU_DEP_3) | instskip(NEXT) | instid1(VALU_DEP_3)
	v_add_f64_e32 v[4:5], v[6:7], v[4:5]
	v_add_f64_e32 v[2:3], v[8:9], v[2:3]
	s_delay_alu instid0(VALU_DEP_2) | instskip(NEXT) | instid1(VALU_DEP_2)
	v_add_f64_e32 v[4:5], v[4:5], v[10:11]
	v_add_f64_e32 v[6:7], v[2:3], v[14:15]
	s_delay_alu instid0(VALU_DEP_2) | instskip(NEXT) | instid1(VALU_DEP_2)
	v_add_f64_e64 v[2:3], v[152:153], -v[4:5]
	v_add_f64_e64 v[4:5], v[154:155], -v[6:7]
	scratch_store_b128 off, v[2:5], off offset:96
	s_wait_xcnt 0x0
	v_cmpx_lt_u32_e32 5, v1
	s_cbranch_execz .LBB110_285
; %bb.284:
	scratch_load_b128 v[2:5], off, s58
	v_mov_b32_e32 v6, 0
	s_delay_alu instid0(VALU_DEP_1)
	v_dual_mov_b32 v7, v6 :: v_dual_mov_b32 v8, v6
	v_mov_b32_e32 v9, v6
	scratch_store_b128 off, v[6:9], off offset:80
	s_wait_loadcnt 0x0
	ds_store_b128 v126, v[2:5]
.LBB110_285:
	s_wait_xcnt 0x0
	s_or_b32 exec_lo, exec_lo, s2
	s_wait_storecnt_dscnt 0x0
	s_barrier_signal -1
	s_barrier_wait -1
	s_clause 0x9
	scratch_load_b128 v[4:7], off, off offset:96
	scratch_load_b128 v[8:11], off, off offset:112
	;; [unrolled: 1-line block ×10, first 2 shown]
	v_mov_b32_e32 v2, 0
	s_mov_b32 s2, exec_lo
	ds_load_b128 v[140:143], v2 offset:848
	s_clause 0x2
	scratch_load_b128 v[144:147], off, off offset:256
	scratch_load_b128 v[148:151], off, off offset:80
	;; [unrolled: 1-line block ×3, first 2 shown]
	s_wait_loadcnt_dscnt 0xc00
	v_mul_f64_e32 v[160:161], v[142:143], v[6:7]
	v_mul_f64_e32 v[164:165], v[140:141], v[6:7]
	ds_load_b128 v[152:155], v2 offset:864
	v_fma_f64 v[168:169], v[140:141], v[4:5], -v[160:161]
	v_fmac_f64_e32 v[164:165], v[142:143], v[4:5]
	ds_load_b128 v[4:7], v2 offset:880
	s_wait_loadcnt_dscnt 0xb01
	v_mul_f64_e32 v[166:167], v[152:153], v[10:11]
	v_mul_f64_e32 v[10:11], v[154:155], v[10:11]
	scratch_load_b128 v[140:143], off, off offset:288
	ds_load_b128 v[160:163], v2 offset:896
	s_wait_loadcnt_dscnt 0xb01
	v_mul_f64_e32 v[170:171], v[4:5], v[14:15]
	v_mul_f64_e32 v[14:15], v[6:7], v[14:15]
	v_add_f64_e32 v[164:165], 0, v[164:165]
	v_fmac_f64_e32 v[166:167], v[154:155], v[8:9]
	v_fma_f64 v[152:153], v[152:153], v[8:9], -v[10:11]
	v_add_f64_e32 v[154:155], 0, v[168:169]
	scratch_load_b128 v[8:11], off, off offset:304
	v_fmac_f64_e32 v[170:171], v[6:7], v[12:13]
	v_fma_f64 v[172:173], v[4:5], v[12:13], -v[14:15]
	ds_load_b128 v[4:7], v2 offset:912
	s_wait_loadcnt_dscnt 0xb01
	v_mul_f64_e32 v[168:169], v[160:161], v[18:19]
	v_mul_f64_e32 v[18:19], v[162:163], v[18:19]
	scratch_load_b128 v[12:15], off, off offset:320
	v_add_f64_e32 v[164:165], v[164:165], v[166:167]
	v_add_f64_e32 v[174:175], v[154:155], v[152:153]
	ds_load_b128 v[152:155], v2 offset:928
	s_wait_loadcnt_dscnt 0xb01
	v_mul_f64_e32 v[166:167], v[4:5], v[22:23]
	v_mul_f64_e32 v[22:23], v[6:7], v[22:23]
	v_fmac_f64_e32 v[168:169], v[162:163], v[16:17]
	v_fma_f64 v[160:161], v[160:161], v[16:17], -v[18:19]
	scratch_load_b128 v[16:19], off, off offset:336
	v_add_f64_e32 v[164:165], v[164:165], v[170:171]
	v_add_f64_e32 v[162:163], v[174:175], v[172:173]
	v_fmac_f64_e32 v[166:167], v[6:7], v[20:21]
	v_fma_f64 v[172:173], v[4:5], v[20:21], -v[22:23]
	ds_load_b128 v[4:7], v2 offset:944
	s_wait_loadcnt_dscnt 0xb01
	v_mul_f64_e32 v[170:171], v[152:153], v[26:27]
	v_mul_f64_e32 v[26:27], v[154:155], v[26:27]
	scratch_load_b128 v[20:23], off, off offset:352
	v_add_f64_e32 v[164:165], v[164:165], v[168:169]
	s_wait_loadcnt_dscnt 0xb00
	v_mul_f64_e32 v[168:169], v[4:5], v[30:31]
	v_add_f64_e32 v[174:175], v[162:163], v[160:161]
	v_mul_f64_e32 v[30:31], v[6:7], v[30:31]
	ds_load_b128 v[160:163], v2 offset:960
	v_fmac_f64_e32 v[170:171], v[154:155], v[24:25]
	v_fma_f64 v[152:153], v[152:153], v[24:25], -v[26:27]
	scratch_load_b128 v[24:27], off, off offset:368
	v_add_f64_e32 v[164:165], v[164:165], v[166:167]
	v_fmac_f64_e32 v[168:169], v[6:7], v[28:29]
	v_add_f64_e32 v[154:155], v[174:175], v[172:173]
	v_fma_f64 v[172:173], v[4:5], v[28:29], -v[30:31]
	ds_load_b128 v[4:7], v2 offset:976
	s_wait_loadcnt_dscnt 0xb01
	v_mul_f64_e32 v[166:167], v[160:161], v[130:131]
	v_mul_f64_e32 v[130:131], v[162:163], v[130:131]
	scratch_load_b128 v[28:31], off, off offset:384
	v_add_f64_e32 v[164:165], v[164:165], v[170:171]
	s_wait_loadcnt_dscnt 0xb00
	v_mul_f64_e32 v[170:171], v[4:5], v[134:135]
	v_add_f64_e32 v[174:175], v[154:155], v[152:153]
	v_mul_f64_e32 v[134:135], v[6:7], v[134:135]
	ds_load_b128 v[152:155], v2 offset:992
	v_fmac_f64_e32 v[166:167], v[162:163], v[128:129]
	v_fma_f64 v[160:161], v[160:161], v[128:129], -v[130:131]
	scratch_load_b128 v[128:131], off, off offset:400
	v_add_f64_e32 v[164:165], v[164:165], v[168:169]
	v_fmac_f64_e32 v[170:171], v[6:7], v[132:133]
	v_add_f64_e32 v[162:163], v[174:175], v[172:173]
	;; [unrolled: 18-line block ×3, first 2 shown]
	v_fma_f64 v[172:173], v[4:5], v[144:145], -v[146:147]
	ds_load_b128 v[4:7], v2 offset:1040
	s_wait_loadcnt_dscnt 0xa01
	v_mul_f64_e32 v[170:171], v[160:161], v[158:159]
	v_mul_f64_e32 v[158:159], v[162:163], v[158:159]
	scratch_load_b128 v[144:147], off, off offset:448
	v_add_f64_e32 v[164:165], v[164:165], v[168:169]
	v_add_f64_e32 v[174:175], v[154:155], v[152:153]
	s_wait_loadcnt_dscnt 0xa00
	v_mul_f64_e32 v[168:169], v[4:5], v[142:143]
	v_mul_f64_e32 v[142:143], v[6:7], v[142:143]
	v_fmac_f64_e32 v[170:171], v[162:163], v[156:157]
	v_fma_f64 v[160:161], v[160:161], v[156:157], -v[158:159]
	ds_load_b128 v[152:155], v2 offset:1056
	scratch_load_b128 v[156:159], off, off offset:464
	v_add_f64_e32 v[164:165], v[164:165], v[166:167]
	v_add_f64_e32 v[162:163], v[174:175], v[172:173]
	v_fmac_f64_e32 v[168:169], v[6:7], v[140:141]
	v_fma_f64 v[172:173], v[4:5], v[140:141], -v[142:143]
	ds_load_b128 v[4:7], v2 offset:1072
	s_wait_loadcnt_dscnt 0xa01
	v_mul_f64_e32 v[166:167], v[152:153], v[10:11]
	v_mul_f64_e32 v[10:11], v[154:155], v[10:11]
	scratch_load_b128 v[140:143], off, off offset:480
	v_add_f64_e32 v[164:165], v[164:165], v[170:171]
	s_wait_loadcnt_dscnt 0xa00
	v_mul_f64_e32 v[170:171], v[4:5], v[14:15]
	v_add_f64_e32 v[174:175], v[162:163], v[160:161]
	v_mul_f64_e32 v[14:15], v[6:7], v[14:15]
	ds_load_b128 v[160:163], v2 offset:1088
	v_fmac_f64_e32 v[166:167], v[154:155], v[8:9]
	v_fma_f64 v[152:153], v[152:153], v[8:9], -v[10:11]
	scratch_load_b128 v[8:11], off, off offset:496
	v_add_f64_e32 v[164:165], v[164:165], v[168:169]
	v_fmac_f64_e32 v[170:171], v[6:7], v[12:13]
	v_add_f64_e32 v[154:155], v[174:175], v[172:173]
	v_fma_f64 v[172:173], v[4:5], v[12:13], -v[14:15]
	ds_load_b128 v[4:7], v2 offset:1104
	s_wait_loadcnt_dscnt 0xa01
	v_mul_f64_e32 v[168:169], v[160:161], v[18:19]
	v_mul_f64_e32 v[18:19], v[162:163], v[18:19]
	scratch_load_b128 v[12:15], off, off offset:512
	v_add_f64_e32 v[164:165], v[164:165], v[166:167]
	s_wait_loadcnt_dscnt 0xa00
	v_mul_f64_e32 v[166:167], v[4:5], v[22:23]
	v_add_f64_e32 v[174:175], v[154:155], v[152:153]
	v_mul_f64_e32 v[22:23], v[6:7], v[22:23]
	ds_load_b128 v[152:155], v2 offset:1120
	v_fmac_f64_e32 v[168:169], v[162:163], v[16:17]
	v_fma_f64 v[160:161], v[160:161], v[16:17], -v[18:19]
	scratch_load_b128 v[16:19], off, off offset:528
	v_add_f64_e32 v[164:165], v[164:165], v[170:171]
	v_fmac_f64_e32 v[166:167], v[6:7], v[20:21]
	v_add_f64_e32 v[162:163], v[174:175], v[172:173]
	;; [unrolled: 18-line block ×8, first 2 shown]
	v_fma_f64 v[172:173], v[4:5], v[20:21], -v[22:23]
	ds_load_b128 v[4:7], v2 offset:1328
	s_wait_loadcnt_dscnt 0xa01
	v_mul_f64_e32 v[170:171], v[152:153], v[26:27]
	v_mul_f64_e32 v[26:27], v[154:155], v[26:27]
	scratch_load_b128 v[20:23], off, off offset:736
	v_add_f64_e32 v[164:165], v[164:165], v[168:169]
	s_wait_loadcnt_dscnt 0xa00
	v_mul_f64_e32 v[168:169], v[4:5], v[30:31]
	v_add_f64_e32 v[174:175], v[162:163], v[160:161]
	v_mul_f64_e32 v[30:31], v[6:7], v[30:31]
	ds_load_b128 v[160:163], v2 offset:1344
	v_fmac_f64_e32 v[170:171], v[154:155], v[24:25]
	v_fma_f64 v[24:25], v[152:153], v[24:25], -v[26:27]
	s_wait_loadcnt_dscnt 0x900
	v_mul_f64_e32 v[154:155], v[160:161], v[130:131]
	v_mul_f64_e32 v[130:131], v[162:163], v[130:131]
	v_add_f64_e32 v[152:153], v[164:165], v[166:167]
	v_fmac_f64_e32 v[168:169], v[6:7], v[28:29]
	v_add_f64_e32 v[26:27], v[174:175], v[172:173]
	v_fma_f64 v[28:29], v[4:5], v[28:29], -v[30:31]
	v_fmac_f64_e32 v[154:155], v[162:163], v[128:129]
	v_fma_f64 v[128:129], v[160:161], v[128:129], -v[130:131]
	v_add_f64_e32 v[152:153], v[152:153], v[170:171]
	v_add_f64_e32 v[30:31], v[26:27], v[24:25]
	ds_load_b128 v[4:7], v2 offset:1360
	ds_load_b128 v[24:27], v2 offset:1376
	s_wait_loadcnt_dscnt 0x801
	v_mul_f64_e32 v[164:165], v[4:5], v[134:135]
	v_mul_f64_e32 v[134:135], v[6:7], v[134:135]
	s_wait_loadcnt_dscnt 0x700
	v_mul_f64_e32 v[130:131], v[24:25], v[138:139]
	v_mul_f64_e32 v[138:139], v[26:27], v[138:139]
	v_add_f64_e32 v[28:29], v[30:31], v[28:29]
	v_add_f64_e32 v[30:31], v[152:153], v[168:169]
	v_fmac_f64_e32 v[164:165], v[6:7], v[132:133]
	v_fma_f64 v[132:133], v[4:5], v[132:133], -v[134:135]
	v_fmac_f64_e32 v[130:131], v[26:27], v[136:137]
	v_fma_f64 v[24:25], v[24:25], v[136:137], -v[138:139]
	v_add_f64_e32 v[128:129], v[28:29], v[128:129]
	v_add_f64_e32 v[134:135], v[30:31], v[154:155]
	ds_load_b128 v[4:7], v2 offset:1392
	ds_load_b128 v[28:31], v2 offset:1408
	s_wait_loadcnt_dscnt 0x601
	v_mul_f64_e32 v[152:153], v[4:5], v[146:147]
	v_mul_f64_e32 v[146:147], v[6:7], v[146:147]
	v_add_f64_e32 v[26:27], v[128:129], v[132:133]
	v_add_f64_e32 v[128:129], v[134:135], v[164:165]
	s_wait_loadcnt_dscnt 0x500
	v_mul_f64_e32 v[132:133], v[28:29], v[158:159]
	v_mul_f64_e32 v[134:135], v[30:31], v[158:159]
	v_fmac_f64_e32 v[152:153], v[6:7], v[144:145]
	v_fma_f64 v[136:137], v[4:5], v[144:145], -v[146:147]
	v_add_f64_e32 v[138:139], v[26:27], v[24:25]
	v_add_f64_e32 v[128:129], v[128:129], v[130:131]
	ds_load_b128 v[4:7], v2 offset:1424
	ds_load_b128 v[24:27], v2 offset:1440
	v_fmac_f64_e32 v[132:133], v[30:31], v[156:157]
	v_fma_f64 v[28:29], v[28:29], v[156:157], -v[134:135]
	s_wait_loadcnt_dscnt 0x401
	v_mul_f64_e32 v[130:131], v[4:5], v[142:143]
	v_mul_f64_e32 v[142:143], v[6:7], v[142:143]
	s_wait_loadcnt_dscnt 0x300
	v_mul_f64_e32 v[134:135], v[24:25], v[10:11]
	v_mul_f64_e32 v[10:11], v[26:27], v[10:11]
	v_add_f64_e32 v[30:31], v[138:139], v[136:137]
	v_add_f64_e32 v[128:129], v[128:129], v[152:153]
	v_fmac_f64_e32 v[130:131], v[6:7], v[140:141]
	v_fma_f64 v[136:137], v[4:5], v[140:141], -v[142:143]
	v_fmac_f64_e32 v[134:135], v[26:27], v[8:9]
	v_fma_f64 v[8:9], v[24:25], v[8:9], -v[10:11]
	v_add_f64_e32 v[138:139], v[30:31], v[28:29]
	v_add_f64_e32 v[128:129], v[128:129], v[132:133]
	ds_load_b128 v[4:7], v2 offset:1456
	ds_load_b128 v[28:31], v2 offset:1472
	s_wait_loadcnt_dscnt 0x201
	v_mul_f64_e32 v[132:133], v[4:5], v[14:15]
	v_mul_f64_e32 v[14:15], v[6:7], v[14:15]
	s_wait_loadcnt_dscnt 0x100
	v_mul_f64_e32 v[26:27], v[28:29], v[18:19]
	v_mul_f64_e32 v[18:19], v[30:31], v[18:19]
	v_add_f64_e32 v[10:11], v[138:139], v[136:137]
	v_add_f64_e32 v[24:25], v[128:129], v[130:131]
	v_fmac_f64_e32 v[132:133], v[6:7], v[12:13]
	v_fma_f64 v[12:13], v[4:5], v[12:13], -v[14:15]
	ds_load_b128 v[4:7], v2 offset:1488
	v_fmac_f64_e32 v[26:27], v[30:31], v[16:17]
	v_fma_f64 v[16:17], v[28:29], v[16:17], -v[18:19]
	v_add_f64_e32 v[8:9], v[10:11], v[8:9]
	v_add_f64_e32 v[10:11], v[24:25], v[134:135]
	s_wait_loadcnt_dscnt 0x0
	v_mul_f64_e32 v[14:15], v[4:5], v[22:23]
	v_mul_f64_e32 v[22:23], v[6:7], v[22:23]
	s_delay_alu instid0(VALU_DEP_4) | instskip(NEXT) | instid1(VALU_DEP_4)
	v_add_f64_e32 v[8:9], v[8:9], v[12:13]
	v_add_f64_e32 v[10:11], v[10:11], v[132:133]
	s_delay_alu instid0(VALU_DEP_4) | instskip(NEXT) | instid1(VALU_DEP_4)
	v_fmac_f64_e32 v[14:15], v[6:7], v[20:21]
	v_fma_f64 v[4:5], v[4:5], v[20:21], -v[22:23]
	s_delay_alu instid0(VALU_DEP_4) | instskip(NEXT) | instid1(VALU_DEP_4)
	v_add_f64_e32 v[6:7], v[8:9], v[16:17]
	v_add_f64_e32 v[8:9], v[10:11], v[26:27]
	s_delay_alu instid0(VALU_DEP_2) | instskip(NEXT) | instid1(VALU_DEP_2)
	v_add_f64_e32 v[4:5], v[6:7], v[4:5]
	v_add_f64_e32 v[6:7], v[8:9], v[14:15]
	s_delay_alu instid0(VALU_DEP_2) | instskip(NEXT) | instid1(VALU_DEP_2)
	v_add_f64_e64 v[4:5], v[148:149], -v[4:5]
	v_add_f64_e64 v[6:7], v[150:151], -v[6:7]
	scratch_store_b128 off, v[4:7], off offset:80
	s_wait_xcnt 0x0
	v_cmpx_lt_u32_e32 4, v1
	s_cbranch_execz .LBB110_287
; %bb.286:
	scratch_load_b128 v[6:9], off, s12
	v_dual_mov_b32 v3, v2 :: v_dual_mov_b32 v4, v2
	v_mov_b32_e32 v5, v2
	scratch_store_b128 off, v[2:5], off offset:64
	s_wait_loadcnt 0x0
	ds_store_b128 v126, v[6:9]
.LBB110_287:
	s_wait_xcnt 0x0
	s_or_b32 exec_lo, exec_lo, s2
	s_wait_storecnt_dscnt 0x0
	s_barrier_signal -1
	s_barrier_wait -1
	s_clause 0x9
	scratch_load_b128 v[4:7], off, off offset:80
	scratch_load_b128 v[8:11], off, off offset:96
	;; [unrolled: 1-line block ×10, first 2 shown]
	ds_load_b128 v[140:143], v2 offset:832
	ds_load_b128 v[148:151], v2 offset:848
	s_clause 0x2
	scratch_load_b128 v[144:147], off, off offset:240
	scratch_load_b128 v[152:155], off, off offset:64
	scratch_load_b128 v[156:159], off, off offset:256
	s_mov_b32 s2, exec_lo
	s_wait_loadcnt_dscnt 0xc01
	v_mul_f64_e32 v[160:161], v[142:143], v[6:7]
	v_mul_f64_e32 v[164:165], v[140:141], v[6:7]
	s_wait_loadcnt_dscnt 0xb00
	v_mul_f64_e32 v[166:167], v[148:149], v[10:11]
	v_mul_f64_e32 v[10:11], v[150:151], v[10:11]
	s_delay_alu instid0(VALU_DEP_4) | instskip(NEXT) | instid1(VALU_DEP_4)
	v_fma_f64 v[168:169], v[140:141], v[4:5], -v[160:161]
	v_fmac_f64_e32 v[164:165], v[142:143], v[4:5]
	ds_load_b128 v[4:7], v2 offset:864
	ds_load_b128 v[140:143], v2 offset:880
	scratch_load_b128 v[160:163], off, off offset:272
	v_fmac_f64_e32 v[166:167], v[150:151], v[8:9]
	v_fma_f64 v[148:149], v[148:149], v[8:9], -v[10:11]
	scratch_load_b128 v[8:11], off, off offset:288
	s_wait_loadcnt_dscnt 0xc01
	v_mul_f64_e32 v[170:171], v[4:5], v[14:15]
	v_mul_f64_e32 v[14:15], v[6:7], v[14:15]
	v_add_f64_e32 v[150:151], 0, v[168:169]
	v_add_f64_e32 v[164:165], 0, v[164:165]
	s_wait_loadcnt_dscnt 0xb00
	v_mul_f64_e32 v[168:169], v[140:141], v[18:19]
	v_mul_f64_e32 v[18:19], v[142:143], v[18:19]
	v_fmac_f64_e32 v[170:171], v[6:7], v[12:13]
	v_fma_f64 v[172:173], v[4:5], v[12:13], -v[14:15]
	ds_load_b128 v[4:7], v2 offset:896
	ds_load_b128 v[12:15], v2 offset:912
	v_add_f64_e32 v[174:175], v[150:151], v[148:149]
	v_add_f64_e32 v[164:165], v[164:165], v[166:167]
	scratch_load_b128 v[148:151], off, off offset:304
	v_fmac_f64_e32 v[168:169], v[142:143], v[16:17]
	v_fma_f64 v[140:141], v[140:141], v[16:17], -v[18:19]
	scratch_load_b128 v[16:19], off, off offset:320
	s_wait_loadcnt_dscnt 0xc01
	v_mul_f64_e32 v[166:167], v[4:5], v[22:23]
	v_mul_f64_e32 v[22:23], v[6:7], v[22:23]
	v_add_f64_e32 v[142:143], v[174:175], v[172:173]
	v_add_f64_e32 v[164:165], v[164:165], v[170:171]
	s_wait_loadcnt_dscnt 0xb00
	v_mul_f64_e32 v[170:171], v[12:13], v[26:27]
	v_mul_f64_e32 v[26:27], v[14:15], v[26:27]
	v_fmac_f64_e32 v[166:167], v[6:7], v[20:21]
	v_fma_f64 v[172:173], v[4:5], v[20:21], -v[22:23]
	ds_load_b128 v[4:7], v2 offset:928
	ds_load_b128 v[20:23], v2 offset:944
	v_add_f64_e32 v[174:175], v[142:143], v[140:141]
	v_add_f64_e32 v[164:165], v[164:165], v[168:169]
	scratch_load_b128 v[140:143], off, off offset:336
	s_wait_loadcnt_dscnt 0xb01
	v_mul_f64_e32 v[168:169], v[4:5], v[30:31]
	v_mul_f64_e32 v[30:31], v[6:7], v[30:31]
	v_fmac_f64_e32 v[170:171], v[14:15], v[24:25]
	v_fma_f64 v[24:25], v[12:13], v[24:25], -v[26:27]
	scratch_load_b128 v[12:15], off, off offset:352
	v_add_f64_e32 v[26:27], v[174:175], v[172:173]
	v_add_f64_e32 v[164:165], v[164:165], v[166:167]
	s_wait_loadcnt_dscnt 0xb00
	v_mul_f64_e32 v[166:167], v[20:21], v[130:131]
	v_mul_f64_e32 v[130:131], v[22:23], v[130:131]
	v_fmac_f64_e32 v[168:169], v[6:7], v[28:29]
	v_fma_f64 v[172:173], v[4:5], v[28:29], -v[30:31]
	v_add_f64_e32 v[174:175], v[26:27], v[24:25]
	v_add_f64_e32 v[164:165], v[164:165], v[170:171]
	ds_load_b128 v[4:7], v2 offset:960
	ds_load_b128 v[24:27], v2 offset:976
	scratch_load_b128 v[28:31], off, off offset:368
	v_fmac_f64_e32 v[166:167], v[22:23], v[128:129]
	v_fma_f64 v[128:129], v[20:21], v[128:129], -v[130:131]
	scratch_load_b128 v[20:23], off, off offset:384
	s_wait_loadcnt_dscnt 0xc01
	v_mul_f64_e32 v[170:171], v[4:5], v[134:135]
	v_mul_f64_e32 v[134:135], v[6:7], v[134:135]
	v_add_f64_e32 v[130:131], v[174:175], v[172:173]
	v_add_f64_e32 v[164:165], v[164:165], v[168:169]
	s_wait_loadcnt_dscnt 0xb00
	v_mul_f64_e32 v[168:169], v[24:25], v[138:139]
	v_mul_f64_e32 v[138:139], v[26:27], v[138:139]
	v_fmac_f64_e32 v[170:171], v[6:7], v[132:133]
	v_fma_f64 v[172:173], v[4:5], v[132:133], -v[134:135]
	v_add_f64_e32 v[174:175], v[130:131], v[128:129]
	v_add_f64_e32 v[164:165], v[164:165], v[166:167]
	ds_load_b128 v[4:7], v2 offset:992
	ds_load_b128 v[128:131], v2 offset:1008
	scratch_load_b128 v[132:135], off, off offset:400
	v_fmac_f64_e32 v[168:169], v[26:27], v[136:137]
	v_fma_f64 v[136:137], v[24:25], v[136:137], -v[138:139]
	scratch_load_b128 v[24:27], off, off offset:416
	s_wait_loadcnt_dscnt 0xc01
	v_mul_f64_e32 v[166:167], v[4:5], v[146:147]
	v_mul_f64_e32 v[146:147], v[6:7], v[146:147]
	;; [unrolled: 18-line block ×5, first 2 shown]
	v_add_f64_e32 v[158:159], v[174:175], v[172:173]
	v_add_f64_e32 v[164:165], v[164:165], v[170:171]
	s_wait_loadcnt_dscnt 0xa00
	v_mul_f64_e32 v[170:171], v[136:137], v[14:15]
	v_mul_f64_e32 v[14:15], v[138:139], v[14:15]
	v_fmac_f64_e32 v[166:167], v[6:7], v[140:141]
	v_fma_f64 v[172:173], v[4:5], v[140:141], -v[142:143]
	ds_load_b128 v[4:7], v2 offset:1120
	ds_load_b128 v[140:143], v2 offset:1136
	v_add_f64_e32 v[174:175], v[158:159], v[156:157]
	v_add_f64_e32 v[164:165], v[164:165], v[168:169]
	scratch_load_b128 v[156:159], off, off offset:528
	v_fmac_f64_e32 v[170:171], v[138:139], v[12:13]
	v_fma_f64 v[136:137], v[136:137], v[12:13], -v[14:15]
	scratch_load_b128 v[12:15], off, off offset:544
	s_wait_loadcnt_dscnt 0xb01
	v_mul_f64_e32 v[168:169], v[4:5], v[30:31]
	v_mul_f64_e32 v[30:31], v[6:7], v[30:31]
	v_add_f64_e32 v[138:139], v[174:175], v[172:173]
	v_add_f64_e32 v[164:165], v[164:165], v[166:167]
	s_wait_loadcnt_dscnt 0xa00
	v_mul_f64_e32 v[166:167], v[140:141], v[22:23]
	v_mul_f64_e32 v[22:23], v[142:143], v[22:23]
	v_fmac_f64_e32 v[168:169], v[6:7], v[28:29]
	v_fma_f64 v[172:173], v[4:5], v[28:29], -v[30:31]
	ds_load_b128 v[4:7], v2 offset:1152
	ds_load_b128 v[28:31], v2 offset:1168
	v_add_f64_e32 v[174:175], v[138:139], v[136:137]
	v_add_f64_e32 v[164:165], v[164:165], v[170:171]
	scratch_load_b128 v[136:139], off, off offset:560
	s_wait_loadcnt_dscnt 0xa01
	v_mul_f64_e32 v[170:171], v[4:5], v[134:135]
	v_mul_f64_e32 v[134:135], v[6:7], v[134:135]
	v_fmac_f64_e32 v[166:167], v[142:143], v[20:21]
	v_fma_f64 v[140:141], v[140:141], v[20:21], -v[22:23]
	scratch_load_b128 v[20:23], off, off offset:576
	v_add_f64_e32 v[142:143], v[174:175], v[172:173]
	v_add_f64_e32 v[164:165], v[164:165], v[168:169]
	s_wait_loadcnt_dscnt 0xa00
	v_mul_f64_e32 v[168:169], v[28:29], v[26:27]
	v_mul_f64_e32 v[26:27], v[30:31], v[26:27]
	v_fmac_f64_e32 v[170:171], v[6:7], v[132:133]
	v_fma_f64 v[172:173], v[4:5], v[132:133], -v[134:135]
	ds_load_b128 v[4:7], v2 offset:1184
	ds_load_b128 v[132:135], v2 offset:1200
	v_add_f64_e32 v[174:175], v[142:143], v[140:141]
	v_add_f64_e32 v[164:165], v[164:165], v[166:167]
	scratch_load_b128 v[140:143], off, off offset:592
	s_wait_loadcnt_dscnt 0xa01
	v_mul_f64_e32 v[166:167], v[4:5], v[146:147]
	v_mul_f64_e32 v[146:147], v[6:7], v[146:147]
	v_fmac_f64_e32 v[168:169], v[30:31], v[24:25]
	v_fma_f64 v[28:29], v[28:29], v[24:25], -v[26:27]
	scratch_load_b128 v[24:27], off, off offset:608
	v_add_f64_e32 v[30:31], v[174:175], v[172:173]
	v_add_f64_e32 v[164:165], v[164:165], v[170:171]
	s_wait_loadcnt_dscnt 0xa00
	v_mul_f64_e32 v[170:171], v[132:133], v[130:131]
	v_mul_f64_e32 v[130:131], v[134:135], v[130:131]
	v_fmac_f64_e32 v[166:167], v[6:7], v[144:145]
	v_fma_f64 v[172:173], v[4:5], v[144:145], -v[146:147]
	v_add_f64_e32 v[174:175], v[30:31], v[28:29]
	v_add_f64_e32 v[164:165], v[164:165], v[168:169]
	ds_load_b128 v[4:7], v2 offset:1216
	ds_load_b128 v[28:31], v2 offset:1232
	scratch_load_b128 v[144:147], off, off offset:624
	v_fmac_f64_e32 v[170:171], v[134:135], v[128:129]
	v_fma_f64 v[132:133], v[132:133], v[128:129], -v[130:131]
	scratch_load_b128 v[128:131], off, off offset:640
	s_wait_loadcnt_dscnt 0xb01
	v_mul_f64_e32 v[168:169], v[4:5], v[162:163]
	v_mul_f64_e32 v[162:163], v[6:7], v[162:163]
	v_add_f64_e32 v[134:135], v[174:175], v[172:173]
	v_add_f64_e32 v[164:165], v[164:165], v[166:167]
	s_wait_loadcnt_dscnt 0xa00
	v_mul_f64_e32 v[166:167], v[28:29], v[10:11]
	v_mul_f64_e32 v[10:11], v[30:31], v[10:11]
	v_fmac_f64_e32 v[168:169], v[6:7], v[160:161]
	v_fma_f64 v[172:173], v[4:5], v[160:161], -v[162:163]
	v_add_f64_e32 v[174:175], v[134:135], v[132:133]
	v_add_f64_e32 v[164:165], v[164:165], v[170:171]
	ds_load_b128 v[4:7], v2 offset:1248
	ds_load_b128 v[132:135], v2 offset:1264
	scratch_load_b128 v[160:163], off, off offset:656
	v_fmac_f64_e32 v[166:167], v[30:31], v[8:9]
	v_fma_f64 v[28:29], v[28:29], v[8:9], -v[10:11]
	scratch_load_b128 v[8:11], off, off offset:672
	s_wait_loadcnt_dscnt 0xb01
	v_mul_f64_e32 v[170:171], v[4:5], v[150:151]
	v_mul_f64_e32 v[150:151], v[6:7], v[150:151]
	;; [unrolled: 18-line block ×4, first 2 shown]
	v_add_f64_e32 v[30:31], v[174:175], v[172:173]
	v_add_f64_e32 v[164:165], v[164:165], v[166:167]
	s_wait_loadcnt_dscnt 0xa00
	v_mul_f64_e32 v[166:167], v[132:133], v[22:23]
	v_mul_f64_e32 v[22:23], v[134:135], v[22:23]
	v_fmac_f64_e32 v[168:169], v[6:7], v[136:137]
	v_fma_f64 v[136:137], v[4:5], v[136:137], -v[138:139]
	v_add_f64_e32 v[138:139], v[30:31], v[28:29]
	v_add_f64_e32 v[164:165], v[164:165], v[170:171]
	ds_load_b128 v[4:7], v2 offset:1344
	ds_load_b128 v[28:31], v2 offset:1360
	v_fmac_f64_e32 v[166:167], v[134:135], v[20:21]
	v_fma_f64 v[20:21], v[132:133], v[20:21], -v[22:23]
	s_wait_loadcnt_dscnt 0x901
	v_mul_f64_e32 v[170:171], v[4:5], v[142:143]
	v_mul_f64_e32 v[142:143], v[6:7], v[142:143]
	s_wait_loadcnt_dscnt 0x800
	v_mul_f64_e32 v[134:135], v[28:29], v[26:27]
	v_mul_f64_e32 v[26:27], v[30:31], v[26:27]
	v_add_f64_e32 v[22:23], v[138:139], v[136:137]
	v_add_f64_e32 v[132:133], v[164:165], v[168:169]
	v_fmac_f64_e32 v[170:171], v[6:7], v[140:141]
	v_fma_f64 v[136:137], v[4:5], v[140:141], -v[142:143]
	v_fmac_f64_e32 v[134:135], v[30:31], v[24:25]
	v_fma_f64 v[24:25], v[28:29], v[24:25], -v[26:27]
	v_add_f64_e32 v[138:139], v[22:23], v[20:21]
	v_add_f64_e32 v[132:133], v[132:133], v[166:167]
	ds_load_b128 v[4:7], v2 offset:1376
	ds_load_b128 v[20:23], v2 offset:1392
	s_wait_loadcnt_dscnt 0x701
	v_mul_f64_e32 v[140:141], v[4:5], v[146:147]
	v_mul_f64_e32 v[142:143], v[6:7], v[146:147]
	s_wait_loadcnt_dscnt 0x600
	v_mul_f64_e32 v[30:31], v[20:21], v[130:131]
	v_mul_f64_e32 v[130:131], v[22:23], v[130:131]
	v_add_f64_e32 v[26:27], v[138:139], v[136:137]
	v_add_f64_e32 v[28:29], v[132:133], v[170:171]
	v_fmac_f64_e32 v[140:141], v[6:7], v[144:145]
	v_fma_f64 v[132:133], v[4:5], v[144:145], -v[142:143]
	v_fmac_f64_e32 v[30:31], v[22:23], v[128:129]
	v_fma_f64 v[20:21], v[20:21], v[128:129], -v[130:131]
	v_add_f64_e32 v[136:137], v[26:27], v[24:25]
	v_add_f64_e32 v[28:29], v[28:29], v[134:135]
	ds_load_b128 v[4:7], v2 offset:1408
	ds_load_b128 v[24:27], v2 offset:1424
	;; [unrolled: 16-line block ×4, first 2 shown]
	s_wait_loadcnt_dscnt 0x101
	v_mul_f64_e32 v[2:3], v[4:5], v[158:159]
	v_mul_f64_e32 v[128:129], v[6:7], v[158:159]
	s_wait_loadcnt_dscnt 0x0
	v_mul_f64_e32 v[22:23], v[8:9], v[14:15]
	v_mul_f64_e32 v[14:15], v[10:11], v[14:15]
	v_add_f64_e32 v[18:19], v[130:131], v[28:29]
	v_add_f64_e32 v[20:21], v[24:25], v[30:31]
	v_fmac_f64_e32 v[2:3], v[6:7], v[156:157]
	v_fma_f64 v[4:5], v[4:5], v[156:157], -v[128:129]
	v_fmac_f64_e32 v[22:23], v[10:11], v[12:13]
	v_fma_f64 v[8:9], v[8:9], v[12:13], -v[14:15]
	v_add_f64_e32 v[6:7], v[18:19], v[16:17]
	v_add_f64_e32 v[16:17], v[20:21], v[26:27]
	s_delay_alu instid0(VALU_DEP_2) | instskip(NEXT) | instid1(VALU_DEP_2)
	v_add_f64_e32 v[4:5], v[6:7], v[4:5]
	v_add_f64_e32 v[2:3], v[16:17], v[2:3]
	s_delay_alu instid0(VALU_DEP_2) | instskip(NEXT) | instid1(VALU_DEP_2)
	v_add_f64_e32 v[4:5], v[4:5], v[8:9]
	v_add_f64_e32 v[6:7], v[2:3], v[22:23]
	s_delay_alu instid0(VALU_DEP_2) | instskip(NEXT) | instid1(VALU_DEP_2)
	v_add_f64_e64 v[2:3], v[152:153], -v[4:5]
	v_add_f64_e64 v[4:5], v[154:155], -v[6:7]
	scratch_store_b128 off, v[2:5], off offset:64
	s_wait_xcnt 0x0
	v_cmpx_lt_u32_e32 3, v1
	s_cbranch_execz .LBB110_289
; %bb.288:
	scratch_load_b128 v[2:5], off, s14
	v_mov_b32_e32 v6, 0
	s_delay_alu instid0(VALU_DEP_1)
	v_dual_mov_b32 v7, v6 :: v_dual_mov_b32 v8, v6
	v_mov_b32_e32 v9, v6
	scratch_store_b128 off, v[6:9], off offset:48
	s_wait_loadcnt 0x0
	ds_store_b128 v126, v[2:5]
.LBB110_289:
	s_wait_xcnt 0x0
	s_or_b32 exec_lo, exec_lo, s2
	s_wait_storecnt_dscnt 0x0
	s_barrier_signal -1
	s_barrier_wait -1
	s_clause 0x9
	scratch_load_b128 v[4:7], off, off offset:64
	scratch_load_b128 v[8:11], off, off offset:80
	;; [unrolled: 1-line block ×10, first 2 shown]
	v_mov_b32_e32 v2, 0
	s_mov_b32 s2, exec_lo
	ds_load_b128 v[140:143], v2 offset:816
	s_clause 0x2
	scratch_load_b128 v[144:147], off, off offset:224
	scratch_load_b128 v[148:151], off, off offset:48
	scratch_load_b128 v[156:159], off, off offset:240
	s_wait_loadcnt_dscnt 0xc00
	v_mul_f64_e32 v[160:161], v[142:143], v[6:7]
	v_mul_f64_e32 v[164:165], v[140:141], v[6:7]
	ds_load_b128 v[152:155], v2 offset:832
	v_fma_f64 v[168:169], v[140:141], v[4:5], -v[160:161]
	v_fmac_f64_e32 v[164:165], v[142:143], v[4:5]
	ds_load_b128 v[4:7], v2 offset:848
	s_wait_loadcnt_dscnt 0xb01
	v_mul_f64_e32 v[166:167], v[152:153], v[10:11]
	v_mul_f64_e32 v[10:11], v[154:155], v[10:11]
	scratch_load_b128 v[140:143], off, off offset:256
	ds_load_b128 v[160:163], v2 offset:864
	s_wait_loadcnt_dscnt 0xb01
	v_mul_f64_e32 v[170:171], v[4:5], v[14:15]
	v_mul_f64_e32 v[14:15], v[6:7], v[14:15]
	v_add_f64_e32 v[164:165], 0, v[164:165]
	v_fmac_f64_e32 v[166:167], v[154:155], v[8:9]
	v_fma_f64 v[152:153], v[152:153], v[8:9], -v[10:11]
	v_add_f64_e32 v[154:155], 0, v[168:169]
	scratch_load_b128 v[8:11], off, off offset:272
	v_fmac_f64_e32 v[170:171], v[6:7], v[12:13]
	v_fma_f64 v[172:173], v[4:5], v[12:13], -v[14:15]
	ds_load_b128 v[4:7], v2 offset:880
	s_wait_loadcnt_dscnt 0xb01
	v_mul_f64_e32 v[168:169], v[160:161], v[18:19]
	v_mul_f64_e32 v[18:19], v[162:163], v[18:19]
	scratch_load_b128 v[12:15], off, off offset:288
	v_add_f64_e32 v[164:165], v[164:165], v[166:167]
	v_add_f64_e32 v[174:175], v[154:155], v[152:153]
	ds_load_b128 v[152:155], v2 offset:896
	s_wait_loadcnt_dscnt 0xb01
	v_mul_f64_e32 v[166:167], v[4:5], v[22:23]
	v_mul_f64_e32 v[22:23], v[6:7], v[22:23]
	v_fmac_f64_e32 v[168:169], v[162:163], v[16:17]
	v_fma_f64 v[160:161], v[160:161], v[16:17], -v[18:19]
	scratch_load_b128 v[16:19], off, off offset:304
	v_add_f64_e32 v[164:165], v[164:165], v[170:171]
	v_add_f64_e32 v[162:163], v[174:175], v[172:173]
	v_fmac_f64_e32 v[166:167], v[6:7], v[20:21]
	v_fma_f64 v[172:173], v[4:5], v[20:21], -v[22:23]
	ds_load_b128 v[4:7], v2 offset:912
	s_wait_loadcnt_dscnt 0xb01
	v_mul_f64_e32 v[170:171], v[152:153], v[26:27]
	v_mul_f64_e32 v[26:27], v[154:155], v[26:27]
	scratch_load_b128 v[20:23], off, off offset:320
	v_add_f64_e32 v[164:165], v[164:165], v[168:169]
	s_wait_loadcnt_dscnt 0xb00
	v_mul_f64_e32 v[168:169], v[4:5], v[30:31]
	v_add_f64_e32 v[174:175], v[162:163], v[160:161]
	v_mul_f64_e32 v[30:31], v[6:7], v[30:31]
	ds_load_b128 v[160:163], v2 offset:928
	v_fmac_f64_e32 v[170:171], v[154:155], v[24:25]
	v_fma_f64 v[152:153], v[152:153], v[24:25], -v[26:27]
	scratch_load_b128 v[24:27], off, off offset:336
	v_add_f64_e32 v[164:165], v[164:165], v[166:167]
	v_fmac_f64_e32 v[168:169], v[6:7], v[28:29]
	v_add_f64_e32 v[154:155], v[174:175], v[172:173]
	v_fma_f64 v[172:173], v[4:5], v[28:29], -v[30:31]
	ds_load_b128 v[4:7], v2 offset:944
	s_wait_loadcnt_dscnt 0xb01
	v_mul_f64_e32 v[166:167], v[160:161], v[130:131]
	v_mul_f64_e32 v[130:131], v[162:163], v[130:131]
	scratch_load_b128 v[28:31], off, off offset:352
	v_add_f64_e32 v[164:165], v[164:165], v[170:171]
	s_wait_loadcnt_dscnt 0xb00
	v_mul_f64_e32 v[170:171], v[4:5], v[134:135]
	v_add_f64_e32 v[174:175], v[154:155], v[152:153]
	v_mul_f64_e32 v[134:135], v[6:7], v[134:135]
	ds_load_b128 v[152:155], v2 offset:960
	v_fmac_f64_e32 v[166:167], v[162:163], v[128:129]
	v_fma_f64 v[160:161], v[160:161], v[128:129], -v[130:131]
	scratch_load_b128 v[128:131], off, off offset:368
	v_add_f64_e32 v[164:165], v[164:165], v[168:169]
	v_fmac_f64_e32 v[170:171], v[6:7], v[132:133]
	v_add_f64_e32 v[162:163], v[174:175], v[172:173]
	;; [unrolled: 18-line block ×3, first 2 shown]
	v_fma_f64 v[172:173], v[4:5], v[144:145], -v[146:147]
	ds_load_b128 v[4:7], v2 offset:1008
	s_wait_loadcnt_dscnt 0xa01
	v_mul_f64_e32 v[170:171], v[160:161], v[158:159]
	v_mul_f64_e32 v[158:159], v[162:163], v[158:159]
	scratch_load_b128 v[144:147], off, off offset:416
	v_add_f64_e32 v[164:165], v[164:165], v[168:169]
	v_add_f64_e32 v[174:175], v[154:155], v[152:153]
	s_wait_loadcnt_dscnt 0xa00
	v_mul_f64_e32 v[168:169], v[4:5], v[142:143]
	v_mul_f64_e32 v[142:143], v[6:7], v[142:143]
	v_fmac_f64_e32 v[170:171], v[162:163], v[156:157]
	v_fma_f64 v[160:161], v[160:161], v[156:157], -v[158:159]
	ds_load_b128 v[152:155], v2 offset:1024
	scratch_load_b128 v[156:159], off, off offset:432
	v_add_f64_e32 v[164:165], v[164:165], v[166:167]
	v_add_f64_e32 v[162:163], v[174:175], v[172:173]
	v_fmac_f64_e32 v[168:169], v[6:7], v[140:141]
	v_fma_f64 v[172:173], v[4:5], v[140:141], -v[142:143]
	ds_load_b128 v[4:7], v2 offset:1040
	s_wait_loadcnt_dscnt 0xa01
	v_mul_f64_e32 v[166:167], v[152:153], v[10:11]
	v_mul_f64_e32 v[10:11], v[154:155], v[10:11]
	scratch_load_b128 v[140:143], off, off offset:448
	v_add_f64_e32 v[164:165], v[164:165], v[170:171]
	s_wait_loadcnt_dscnt 0xa00
	v_mul_f64_e32 v[170:171], v[4:5], v[14:15]
	v_add_f64_e32 v[174:175], v[162:163], v[160:161]
	v_mul_f64_e32 v[14:15], v[6:7], v[14:15]
	ds_load_b128 v[160:163], v2 offset:1056
	v_fmac_f64_e32 v[166:167], v[154:155], v[8:9]
	v_fma_f64 v[152:153], v[152:153], v[8:9], -v[10:11]
	scratch_load_b128 v[8:11], off, off offset:464
	v_add_f64_e32 v[164:165], v[164:165], v[168:169]
	v_fmac_f64_e32 v[170:171], v[6:7], v[12:13]
	v_add_f64_e32 v[154:155], v[174:175], v[172:173]
	v_fma_f64 v[172:173], v[4:5], v[12:13], -v[14:15]
	ds_load_b128 v[4:7], v2 offset:1072
	s_wait_loadcnt_dscnt 0xa01
	v_mul_f64_e32 v[168:169], v[160:161], v[18:19]
	v_mul_f64_e32 v[18:19], v[162:163], v[18:19]
	scratch_load_b128 v[12:15], off, off offset:480
	v_add_f64_e32 v[164:165], v[164:165], v[166:167]
	s_wait_loadcnt_dscnt 0xa00
	v_mul_f64_e32 v[166:167], v[4:5], v[22:23]
	v_add_f64_e32 v[174:175], v[154:155], v[152:153]
	v_mul_f64_e32 v[22:23], v[6:7], v[22:23]
	ds_load_b128 v[152:155], v2 offset:1088
	v_fmac_f64_e32 v[168:169], v[162:163], v[16:17]
	v_fma_f64 v[160:161], v[160:161], v[16:17], -v[18:19]
	scratch_load_b128 v[16:19], off, off offset:496
	v_add_f64_e32 v[164:165], v[164:165], v[170:171]
	v_fmac_f64_e32 v[166:167], v[6:7], v[20:21]
	v_add_f64_e32 v[162:163], v[174:175], v[172:173]
	;; [unrolled: 18-line block ×9, first 2 shown]
	v_fma_f64 v[172:173], v[4:5], v[28:29], -v[30:31]
	ds_load_b128 v[4:7], v2 offset:1328
	s_wait_loadcnt_dscnt 0xa01
	v_mul_f64_e32 v[166:167], v[160:161], v[130:131]
	v_mul_f64_e32 v[130:131], v[162:163], v[130:131]
	scratch_load_b128 v[28:31], off, off offset:736
	v_add_f64_e32 v[164:165], v[164:165], v[170:171]
	s_wait_loadcnt_dscnt 0xa00
	v_mul_f64_e32 v[170:171], v[4:5], v[134:135]
	v_add_f64_e32 v[174:175], v[154:155], v[152:153]
	v_mul_f64_e32 v[134:135], v[6:7], v[134:135]
	ds_load_b128 v[152:155], v2 offset:1344
	v_fmac_f64_e32 v[166:167], v[162:163], v[128:129]
	v_fma_f64 v[128:129], v[160:161], v[128:129], -v[130:131]
	s_wait_loadcnt_dscnt 0x900
	v_mul_f64_e32 v[162:163], v[152:153], v[138:139]
	v_mul_f64_e32 v[138:139], v[154:155], v[138:139]
	v_add_f64_e32 v[160:161], v[164:165], v[168:169]
	v_fmac_f64_e32 v[170:171], v[6:7], v[132:133]
	v_add_f64_e32 v[130:131], v[174:175], v[172:173]
	v_fma_f64 v[132:133], v[4:5], v[132:133], -v[134:135]
	v_fmac_f64_e32 v[162:163], v[154:155], v[136:137]
	v_fma_f64 v[136:137], v[152:153], v[136:137], -v[138:139]
	v_add_f64_e32 v[160:161], v[160:161], v[166:167]
	v_add_f64_e32 v[134:135], v[130:131], v[128:129]
	ds_load_b128 v[4:7], v2 offset:1360
	ds_load_b128 v[128:131], v2 offset:1376
	s_wait_loadcnt_dscnt 0x801
	v_mul_f64_e32 v[164:165], v[4:5], v[146:147]
	v_mul_f64_e32 v[146:147], v[6:7], v[146:147]
	s_wait_loadcnt_dscnt 0x700
	v_mul_f64_e32 v[138:139], v[128:129], v[158:159]
	v_mul_f64_e32 v[152:153], v[130:131], v[158:159]
	v_add_f64_e32 v[132:133], v[134:135], v[132:133]
	v_add_f64_e32 v[134:135], v[160:161], v[170:171]
	v_fmac_f64_e32 v[164:165], v[6:7], v[144:145]
	v_fma_f64 v[144:145], v[4:5], v[144:145], -v[146:147]
	v_fmac_f64_e32 v[138:139], v[130:131], v[156:157]
	v_fma_f64 v[128:129], v[128:129], v[156:157], -v[152:153]
	v_add_f64_e32 v[136:137], v[132:133], v[136:137]
	v_add_f64_e32 v[146:147], v[134:135], v[162:163]
	ds_load_b128 v[4:7], v2 offset:1392
	ds_load_b128 v[132:135], v2 offset:1408
	s_wait_loadcnt_dscnt 0x601
	v_mul_f64_e32 v[154:155], v[4:5], v[142:143]
	v_mul_f64_e32 v[142:143], v[6:7], v[142:143]
	v_add_f64_e32 v[130:131], v[136:137], v[144:145]
	v_add_f64_e32 v[136:137], v[146:147], v[164:165]
	s_wait_loadcnt_dscnt 0x500
	v_mul_f64_e32 v[144:145], v[132:133], v[10:11]
	v_mul_f64_e32 v[10:11], v[134:135], v[10:11]
	v_fmac_f64_e32 v[154:155], v[6:7], v[140:141]
	v_fma_f64 v[140:141], v[4:5], v[140:141], -v[142:143]
	v_add_f64_e32 v[142:143], v[130:131], v[128:129]
	v_add_f64_e32 v[136:137], v[136:137], v[138:139]
	ds_load_b128 v[4:7], v2 offset:1424
	ds_load_b128 v[128:131], v2 offset:1440
	v_fmac_f64_e32 v[144:145], v[134:135], v[8:9]
	v_fma_f64 v[8:9], v[132:133], v[8:9], -v[10:11]
	s_wait_loadcnt_dscnt 0x401
	v_mul_f64_e32 v[138:139], v[4:5], v[14:15]
	v_mul_f64_e32 v[14:15], v[6:7], v[14:15]
	s_wait_loadcnt_dscnt 0x300
	v_mul_f64_e32 v[134:135], v[128:129], v[18:19]
	v_mul_f64_e32 v[18:19], v[130:131], v[18:19]
	v_add_f64_e32 v[10:11], v[142:143], v[140:141]
	v_add_f64_e32 v[132:133], v[136:137], v[154:155]
	v_fmac_f64_e32 v[138:139], v[6:7], v[12:13]
	v_fma_f64 v[12:13], v[4:5], v[12:13], -v[14:15]
	v_fmac_f64_e32 v[134:135], v[130:131], v[16:17]
	v_fma_f64 v[16:17], v[128:129], v[16:17], -v[18:19]
	v_add_f64_e32 v[14:15], v[10:11], v[8:9]
	v_add_f64_e32 v[132:133], v[132:133], v[144:145]
	ds_load_b128 v[4:7], v2 offset:1456
	ds_load_b128 v[8:11], v2 offset:1472
	s_wait_loadcnt_dscnt 0x201
	v_mul_f64_e32 v[136:137], v[4:5], v[22:23]
	v_mul_f64_e32 v[22:23], v[6:7], v[22:23]
	s_wait_loadcnt_dscnt 0x100
	v_mul_f64_e32 v[18:19], v[8:9], v[26:27]
	v_mul_f64_e32 v[26:27], v[10:11], v[26:27]
	v_add_f64_e32 v[12:13], v[14:15], v[12:13]
	v_add_f64_e32 v[14:15], v[132:133], v[138:139]
	v_fmac_f64_e32 v[136:137], v[6:7], v[20:21]
	v_fma_f64 v[20:21], v[4:5], v[20:21], -v[22:23]
	ds_load_b128 v[4:7], v2 offset:1488
	v_fmac_f64_e32 v[18:19], v[10:11], v[24:25]
	v_fma_f64 v[8:9], v[8:9], v[24:25], -v[26:27]
	v_add_f64_e32 v[12:13], v[12:13], v[16:17]
	v_add_f64_e32 v[14:15], v[14:15], v[134:135]
	s_wait_loadcnt_dscnt 0x0
	v_mul_f64_e32 v[16:17], v[4:5], v[30:31]
	v_mul_f64_e32 v[22:23], v[6:7], v[30:31]
	s_delay_alu instid0(VALU_DEP_4) | instskip(NEXT) | instid1(VALU_DEP_4)
	v_add_f64_e32 v[10:11], v[12:13], v[20:21]
	v_add_f64_e32 v[12:13], v[14:15], v[136:137]
	s_delay_alu instid0(VALU_DEP_4) | instskip(NEXT) | instid1(VALU_DEP_4)
	v_fmac_f64_e32 v[16:17], v[6:7], v[28:29]
	v_fma_f64 v[4:5], v[4:5], v[28:29], -v[22:23]
	s_delay_alu instid0(VALU_DEP_4) | instskip(NEXT) | instid1(VALU_DEP_4)
	v_add_f64_e32 v[6:7], v[10:11], v[8:9]
	v_add_f64_e32 v[8:9], v[12:13], v[18:19]
	s_delay_alu instid0(VALU_DEP_2) | instskip(NEXT) | instid1(VALU_DEP_2)
	v_add_f64_e32 v[4:5], v[6:7], v[4:5]
	v_add_f64_e32 v[6:7], v[8:9], v[16:17]
	s_delay_alu instid0(VALU_DEP_2) | instskip(NEXT) | instid1(VALU_DEP_2)
	v_add_f64_e64 v[4:5], v[148:149], -v[4:5]
	v_add_f64_e64 v[6:7], v[150:151], -v[6:7]
	scratch_store_b128 off, v[4:7], off offset:48
	s_wait_xcnt 0x0
	v_cmpx_lt_u32_e32 2, v1
	s_cbranch_execz .LBB110_291
; %bb.290:
	scratch_load_b128 v[6:9], off, s16
	v_dual_mov_b32 v3, v2 :: v_dual_mov_b32 v4, v2
	v_mov_b32_e32 v5, v2
	scratch_store_b128 off, v[2:5], off offset:32
	s_wait_loadcnt 0x0
	ds_store_b128 v126, v[6:9]
.LBB110_291:
	s_wait_xcnt 0x0
	s_or_b32 exec_lo, exec_lo, s2
	s_wait_storecnt_dscnt 0x0
	s_barrier_signal -1
	s_barrier_wait -1
	s_clause 0x9
	scratch_load_b128 v[4:7], off, off offset:48
	scratch_load_b128 v[8:11], off, off offset:64
	;; [unrolled: 1-line block ×10, first 2 shown]
	ds_load_b128 v[140:143], v2 offset:800
	ds_load_b128 v[148:151], v2 offset:816
	s_clause 0x2
	scratch_load_b128 v[144:147], off, off offset:208
	scratch_load_b128 v[152:155], off, off offset:32
	;; [unrolled: 1-line block ×3, first 2 shown]
	s_mov_b32 s2, exec_lo
	v_ashrrev_i32_e32 v37, 31, v36
	v_ashrrev_i32_e32 v41, 31, v40
	;; [unrolled: 1-line block ×3, first 2 shown]
	v_dual_ashrrev_i32 v49, 31, v48 :: v_dual_ashrrev_i32 v39, 31, v38
	v_dual_ashrrev_i32 v43, 31, v42 :: v_dual_ashrrev_i32 v53, 31, v52
	;; [unrolled: 1-line block ×8, first 2 shown]
	v_ashrrev_i32_e32 v81, 31, v80
	v_ashrrev_i32_e32 v85, 31, v84
	v_dual_ashrrev_i32 v89, 31, v88 :: v_dual_ashrrev_i32 v71, 31, v70
	v_ashrrev_i32_e32 v75, 31, v74
	v_ashrrev_i32_e32 v79, 31, v78
	v_dual_ashrrev_i32 v83, 31, v82 :: v_dual_ashrrev_i32 v93, 31, v92
	v_dual_ashrrev_i32 v97, 31, v96 :: v_dual_ashrrev_i32 v87, 31, v86
	;; [unrolled: 1-line block ×3, first 2 shown]
	v_ashrrev_i32_e32 v105, 31, v104
	v_dual_ashrrev_i32 v109, 31, v108 :: v_dual_ashrrev_i32 v95, 31, v94
	v_dual_ashrrev_i32 v113, 31, v112 :: v_dual_ashrrev_i32 v99, 31, v98
	v_ashrrev_i32_e32 v117, 31, v116
	v_dual_ashrrev_i32 v121, 31, v120 :: v_dual_ashrrev_i32 v103, 31, v102
	v_ashrrev_i32_e32 v107, 31, v106
	;; [unrolled: 2-line block ×3, first 2 shown]
	v_ashrrev_i32_e32 v119, 31, v118
	v_ashrrev_i32_e32 v123, 31, v122
	s_wait_loadcnt_dscnt 0xc01
	v_mul_f64_e32 v[160:161], v[142:143], v[6:7]
	v_mul_f64_e32 v[164:165], v[140:141], v[6:7]
	s_wait_loadcnt_dscnt 0xb00
	v_mul_f64_e32 v[166:167], v[148:149], v[10:11]
	v_mul_f64_e32 v[10:11], v[150:151], v[10:11]
	s_delay_alu instid0(VALU_DEP_4) | instskip(NEXT) | instid1(VALU_DEP_4)
	v_fma_f64 v[168:169], v[140:141], v[4:5], -v[160:161]
	v_fmac_f64_e32 v[164:165], v[142:143], v[4:5]
	ds_load_b128 v[4:7], v2 offset:832
	ds_load_b128 v[160:163], v2 offset:848
	scratch_load_b128 v[140:143], off, off offset:240
	v_fmac_f64_e32 v[166:167], v[150:151], v[8:9]
	v_fma_f64 v[148:149], v[148:149], v[8:9], -v[10:11]
	scratch_load_b128 v[8:11], off, off offset:256
	s_wait_loadcnt_dscnt 0xc01
	v_mul_f64_e32 v[170:171], v[4:5], v[14:15]
	v_mul_f64_e32 v[14:15], v[6:7], v[14:15]
	v_add_f64_e32 v[150:151], 0, v[168:169]
	v_add_f64_e32 v[164:165], 0, v[164:165]
	s_wait_loadcnt_dscnt 0xb00
	v_mul_f64_e32 v[168:169], v[160:161], v[18:19]
	v_mul_f64_e32 v[18:19], v[162:163], v[18:19]
	v_fmac_f64_e32 v[170:171], v[6:7], v[12:13]
	v_fma_f64 v[172:173], v[4:5], v[12:13], -v[14:15]
	ds_load_b128 v[4:7], v2 offset:864
	scratch_load_b128 v[12:15], off, off offset:272
	v_add_f64_e32 v[174:175], v[150:151], v[148:149]
	v_add_f64_e32 v[164:165], v[164:165], v[166:167]
	ds_load_b128 v[148:151], v2 offset:880
	v_fmac_f64_e32 v[168:169], v[162:163], v[16:17]
	v_fma_f64 v[160:161], v[160:161], v[16:17], -v[18:19]
	scratch_load_b128 v[16:19], off, off offset:288
	s_wait_loadcnt_dscnt 0xc01
	v_mul_f64_e32 v[166:167], v[4:5], v[22:23]
	v_mul_f64_e32 v[22:23], v[6:7], v[22:23]
	v_add_f64_e32 v[162:163], v[174:175], v[172:173]
	v_add_f64_e32 v[164:165], v[164:165], v[170:171]
	s_wait_loadcnt_dscnt 0xb00
	v_mul_f64_e32 v[170:171], v[148:149], v[26:27]
	v_mul_f64_e32 v[26:27], v[150:151], v[26:27]
	v_fmac_f64_e32 v[166:167], v[6:7], v[20:21]
	v_fma_f64 v[172:173], v[4:5], v[20:21], -v[22:23]
	ds_load_b128 v[4:7], v2 offset:896
	scratch_load_b128 v[20:23], off, off offset:304
	v_add_f64_e32 v[174:175], v[162:163], v[160:161]
	v_add_f64_e32 v[164:165], v[164:165], v[168:169]
	ds_load_b128 v[160:163], v2 offset:912
	s_wait_loadcnt_dscnt 0xb01
	v_mul_f64_e32 v[168:169], v[4:5], v[30:31]
	v_mul_f64_e32 v[30:31], v[6:7], v[30:31]
	v_fmac_f64_e32 v[170:171], v[150:151], v[24:25]
	v_fma_f64 v[148:149], v[148:149], v[24:25], -v[26:27]
	scratch_load_b128 v[24:27], off, off offset:320
	v_add_f64_e32 v[150:151], v[174:175], v[172:173]
	v_add_f64_e32 v[164:165], v[164:165], v[166:167]
	s_wait_loadcnt_dscnt 0xb00
	v_mul_f64_e32 v[166:167], v[160:161], v[130:131]
	v_mul_f64_e32 v[130:131], v[162:163], v[130:131]
	v_fmac_f64_e32 v[168:169], v[6:7], v[28:29]
	v_fma_f64 v[172:173], v[4:5], v[28:29], -v[30:31]
	ds_load_b128 v[4:7], v2 offset:928
	scratch_load_b128 v[28:31], off, off offset:336
	v_add_f64_e32 v[174:175], v[150:151], v[148:149]
	v_add_f64_e32 v[164:165], v[164:165], v[170:171]
	ds_load_b128 v[148:151], v2 offset:944
	s_wait_loadcnt_dscnt 0xb01
	v_mul_f64_e32 v[170:171], v[4:5], v[134:135]
	v_mul_f64_e32 v[134:135], v[6:7], v[134:135]
	v_fmac_f64_e32 v[166:167], v[162:163], v[128:129]
	v_fma_f64 v[160:161], v[160:161], v[128:129], -v[130:131]
	scratch_load_b128 v[128:131], off, off offset:352
	;; [unrolled: 18-line block ×3, first 2 shown]
	v_add_f64_e32 v[150:151], v[174:175], v[172:173]
	v_add_f64_e32 v[164:165], v[164:165], v[170:171]
	s_wait_loadcnt_dscnt 0xa00
	v_mul_f64_e32 v[170:171], v[160:161], v[158:159]
	v_mul_f64_e32 v[158:159], v[162:163], v[158:159]
	v_fmac_f64_e32 v[166:167], v[6:7], v[144:145]
	v_fma_f64 v[172:173], v[4:5], v[144:145], -v[146:147]
	ds_load_b128 v[4:7], v2 offset:992
	scratch_load_b128 v[144:147], off, off offset:400
	v_add_f64_e32 v[174:175], v[150:151], v[148:149]
	v_add_f64_e32 v[164:165], v[164:165], v[168:169]
	ds_load_b128 v[148:151], v2 offset:1008
	v_fmac_f64_e32 v[170:171], v[162:163], v[156:157]
	s_wait_loadcnt_dscnt 0xa01
	v_mul_f64_e32 v[168:169], v[4:5], v[142:143]
	v_mul_f64_e32 v[142:143], v[6:7], v[142:143]
	v_fma_f64 v[160:161], v[160:161], v[156:157], -v[158:159]
	scratch_load_b128 v[156:159], off, off offset:416
	v_add_f64_e32 v[162:163], v[174:175], v[172:173]
	v_add_f64_e32 v[164:165], v[164:165], v[166:167]
	s_wait_loadcnt_dscnt 0xa00
	v_mul_f64_e32 v[166:167], v[148:149], v[10:11]
	v_mul_f64_e32 v[10:11], v[150:151], v[10:11]
	v_fmac_f64_e32 v[168:169], v[6:7], v[140:141]
	v_fma_f64 v[172:173], v[4:5], v[140:141], -v[142:143]
	ds_load_b128 v[4:7], v2 offset:1024
	scratch_load_b128 v[140:143], off, off offset:432
	v_add_f64_e32 v[174:175], v[162:163], v[160:161]
	v_add_f64_e32 v[164:165], v[164:165], v[170:171]
	ds_load_b128 v[160:163], v2 offset:1040
	s_wait_loadcnt_dscnt 0xa01
	v_mul_f64_e32 v[170:171], v[4:5], v[14:15]
	v_mul_f64_e32 v[14:15], v[6:7], v[14:15]
	v_fmac_f64_e32 v[166:167], v[150:151], v[8:9]
	v_fma_f64 v[148:149], v[148:149], v[8:9], -v[10:11]
	scratch_load_b128 v[8:11], off, off offset:448
	v_add_f64_e32 v[150:151], v[174:175], v[172:173]
	v_add_f64_e32 v[164:165], v[164:165], v[168:169]
	s_wait_loadcnt_dscnt 0xa00
	v_mul_f64_e32 v[168:169], v[160:161], v[18:19]
	v_mul_f64_e32 v[18:19], v[162:163], v[18:19]
	v_fmac_f64_e32 v[170:171], v[6:7], v[12:13]
	v_fma_f64 v[172:173], v[4:5], v[12:13], -v[14:15]
	ds_load_b128 v[4:7], v2 offset:1056
	scratch_load_b128 v[12:15], off, off offset:464
	v_add_f64_e32 v[174:175], v[150:151], v[148:149]
	v_add_f64_e32 v[164:165], v[164:165], v[166:167]
	ds_load_b128 v[148:151], v2 offset:1072
	s_wait_loadcnt_dscnt 0xa01
	v_mul_f64_e32 v[166:167], v[4:5], v[22:23]
	v_mul_f64_e32 v[22:23], v[6:7], v[22:23]
	v_fmac_f64_e32 v[168:169], v[162:163], v[16:17]
	;; [unrolled: 18-line block ×10, first 2 shown]
	v_fma_f64 v[160:161], v[160:161], v[128:129], -v[130:131]
	scratch_load_b128 v[128:131], off, off offset:736
	v_add_f64_e32 v[162:163], v[174:175], v[172:173]
	v_add_f64_e32 v[164:165], v[164:165], v[168:169]
	s_wait_loadcnt_dscnt 0xa00
	v_mul_f64_e32 v[168:169], v[148:149], v[138:139]
	v_mul_f64_e32 v[138:139], v[150:151], v[138:139]
	v_fmac_f64_e32 v[170:171], v[6:7], v[132:133]
	v_fma_f64 v[172:173], v[4:5], v[132:133], -v[134:135]
	ds_load_b128 v[4:7], v2 offset:1344
	ds_load_b128 v[132:135], v2 offset:1360
	v_add_f64_e32 v[160:161], v[162:163], v[160:161]
	v_add_f64_e32 v[162:163], v[164:165], v[166:167]
	s_wait_loadcnt_dscnt 0x901
	v_mul_f64_e32 v[164:165], v[4:5], v[146:147]
	v_mul_f64_e32 v[146:147], v[6:7], v[146:147]
	v_fmac_f64_e32 v[168:169], v[150:151], v[136:137]
	v_fma_f64 v[136:137], v[148:149], v[136:137], -v[138:139]
	s_wait_loadcnt_dscnt 0x800
	v_mul_f64_e32 v[150:151], v[132:133], v[158:159]
	v_mul_f64_e32 v[158:159], v[134:135], v[158:159]
	v_add_f64_e32 v[138:139], v[160:161], v[172:173]
	v_add_f64_e32 v[148:149], v[162:163], v[170:171]
	v_fmac_f64_e32 v[164:165], v[6:7], v[144:145]
	v_fma_f64 v[144:145], v[4:5], v[144:145], -v[146:147]
	v_fmac_f64_e32 v[150:151], v[134:135], v[156:157]
	v_fma_f64 v[132:133], v[132:133], v[156:157], -v[158:159]
	v_add_f64_e32 v[146:147], v[138:139], v[136:137]
	v_add_f64_e32 v[148:149], v[148:149], v[168:169]
	ds_load_b128 v[4:7], v2 offset:1376
	ds_load_b128 v[136:139], v2 offset:1392
	s_wait_loadcnt_dscnt 0x701
	v_mul_f64_e32 v[160:161], v[4:5], v[142:143]
	v_mul_f64_e32 v[142:143], v[6:7], v[142:143]
	v_add_f64_e32 v[134:135], v[146:147], v[144:145]
	v_add_f64_e32 v[144:145], v[148:149], v[164:165]
	s_wait_loadcnt_dscnt 0x600
	v_mul_f64_e32 v[146:147], v[136:137], v[10:11]
	v_mul_f64_e32 v[10:11], v[138:139], v[10:11]
	v_fmac_f64_e32 v[160:161], v[6:7], v[140:141]
	v_fma_f64 v[140:141], v[4:5], v[140:141], -v[142:143]
	v_add_f64_e32 v[142:143], v[134:135], v[132:133]
	v_add_f64_e32 v[144:145], v[144:145], v[150:151]
	ds_load_b128 v[4:7], v2 offset:1408
	ds_load_b128 v[132:135], v2 offset:1424
	v_fmac_f64_e32 v[146:147], v[138:139], v[8:9]
	v_fma_f64 v[8:9], v[136:137], v[8:9], -v[10:11]
	s_wait_loadcnt_dscnt 0x501
	v_mul_f64_e32 v[148:149], v[4:5], v[14:15]
	v_mul_f64_e32 v[14:15], v[6:7], v[14:15]
	s_wait_loadcnt_dscnt 0x400
	v_mul_f64_e32 v[138:139], v[132:133], v[18:19]
	v_mul_f64_e32 v[18:19], v[134:135], v[18:19]
	v_add_f64_e32 v[10:11], v[142:143], v[140:141]
	v_add_f64_e32 v[136:137], v[144:145], v[160:161]
	v_fmac_f64_e32 v[148:149], v[6:7], v[12:13]
	v_fma_f64 v[12:13], v[4:5], v[12:13], -v[14:15]
	v_fmac_f64_e32 v[138:139], v[134:135], v[16:17]
	v_fma_f64 v[16:17], v[132:133], v[16:17], -v[18:19]
	v_add_f64_e32 v[14:15], v[10:11], v[8:9]
	v_add_f64_e32 v[136:137], v[136:137], v[146:147]
	ds_load_b128 v[4:7], v2 offset:1440
	ds_load_b128 v[8:11], v2 offset:1456
	s_wait_loadcnt_dscnt 0x301
	v_mul_f64_e32 v[140:141], v[4:5], v[22:23]
	v_mul_f64_e32 v[22:23], v[6:7], v[22:23]
	s_wait_loadcnt_dscnt 0x200
	v_mul_f64_e32 v[18:19], v[8:9], v[26:27]
	v_mul_f64_e32 v[26:27], v[10:11], v[26:27]
	v_add_f64_e32 v[12:13], v[14:15], v[12:13]
	v_add_f64_e32 v[14:15], v[136:137], v[148:149]
	v_fmac_f64_e32 v[140:141], v[6:7], v[20:21]
	v_fma_f64 v[20:21], v[4:5], v[20:21], -v[22:23]
	v_fmac_f64_e32 v[18:19], v[10:11], v[24:25]
	v_fma_f64 v[8:9], v[8:9], v[24:25], -v[26:27]
	v_add_f64_e32 v[16:17], v[12:13], v[16:17]
	v_add_f64_e32 v[22:23], v[14:15], v[138:139]
	ds_load_b128 v[4:7], v2 offset:1472
	ds_load_b128 v[12:15], v2 offset:1488
	s_wait_loadcnt_dscnt 0x101
	v_mul_f64_e32 v[2:3], v[4:5], v[30:31]
	v_mul_f64_e32 v[30:31], v[6:7], v[30:31]
	v_add_f64_e32 v[10:11], v[16:17], v[20:21]
	v_add_f64_e32 v[16:17], v[22:23], v[140:141]
	s_wait_loadcnt_dscnt 0x0
	v_mul_f64_e32 v[20:21], v[12:13], v[130:131]
	v_mul_f64_e32 v[22:23], v[14:15], v[130:131]
	v_fmac_f64_e32 v[2:3], v[6:7], v[28:29]
	v_fma_f64 v[4:5], v[4:5], v[28:29], -v[30:31]
	v_add_f64_e32 v[6:7], v[10:11], v[8:9]
	v_add_f64_e32 v[8:9], v[16:17], v[18:19]
	v_fmac_f64_e32 v[20:21], v[14:15], v[128:129]
	v_fma_f64 v[10:11], v[12:13], v[128:129], -v[22:23]
	s_delay_alu instid0(VALU_DEP_4) | instskip(NEXT) | instid1(VALU_DEP_4)
	v_add_f64_e32 v[4:5], v[6:7], v[4:5]
	v_add_f64_e32 v[2:3], v[8:9], v[2:3]
	s_delay_alu instid0(VALU_DEP_2) | instskip(NEXT) | instid1(VALU_DEP_2)
	v_add_f64_e32 v[4:5], v[4:5], v[10:11]
	v_add_f64_e32 v[6:7], v[2:3], v[20:21]
	s_delay_alu instid0(VALU_DEP_2) | instskip(NEXT) | instid1(VALU_DEP_2)
	v_add_f64_e64 v[2:3], v[152:153], -v[4:5]
	v_add_f64_e64 v[4:5], v[154:155], -v[6:7]
	scratch_store_b128 off, v[2:5], off offset:32
	s_wait_xcnt 0x0
	v_cmpx_lt_u32_e32 1, v1
	s_cbranch_execz .LBB110_293
; %bb.292:
	scratch_load_b128 v[2:5], off, s18
	v_mov_b32_e32 v6, 0
	s_delay_alu instid0(VALU_DEP_1)
	v_dual_mov_b32 v7, v6 :: v_dual_mov_b32 v8, v6
	v_mov_b32_e32 v9, v6
	scratch_store_b128 off, v[6:9], off offset:16
	s_wait_loadcnt 0x0
	ds_store_b128 v126, v[2:5]
.LBB110_293:
	s_wait_xcnt 0x0
	s_or_b32 exec_lo, exec_lo, s2
	s_wait_storecnt_dscnt 0x0
	s_barrier_signal -1
	s_barrier_wait -1
	s_clause 0x9
	scratch_load_b128 v[4:7], off, off offset:32
	scratch_load_b128 v[8:11], off, off offset:48
	;; [unrolled: 1-line block ×10, first 2 shown]
	v_mov_b32_e32 v2, 0
	s_mov_b32 s2, exec_lo
	ds_load_b128 v[140:143], v2 offset:784
	s_clause 0x2
	scratch_load_b128 v[144:147], off, off offset:192
	scratch_load_b128 v[148:151], off, off offset:16
	;; [unrolled: 1-line block ×3, first 2 shown]
	s_wait_loadcnt_dscnt 0xc00
	v_mul_f64_e32 v[160:161], v[142:143], v[6:7]
	v_mul_f64_e32 v[164:165], v[140:141], v[6:7]
	ds_load_b128 v[152:155], v2 offset:800
	v_fma_f64 v[168:169], v[140:141], v[4:5], -v[160:161]
	v_fmac_f64_e32 v[164:165], v[142:143], v[4:5]
	ds_load_b128 v[4:7], v2 offset:816
	s_wait_loadcnt_dscnt 0xb01
	v_mul_f64_e32 v[166:167], v[152:153], v[10:11]
	v_mul_f64_e32 v[10:11], v[154:155], v[10:11]
	scratch_load_b128 v[140:143], off, off offset:224
	ds_load_b128 v[160:163], v2 offset:832
	s_wait_loadcnt_dscnt 0xb01
	v_mul_f64_e32 v[170:171], v[4:5], v[14:15]
	v_mul_f64_e32 v[14:15], v[6:7], v[14:15]
	v_add_f64_e32 v[164:165], 0, v[164:165]
	v_fmac_f64_e32 v[166:167], v[154:155], v[8:9]
	v_fma_f64 v[152:153], v[152:153], v[8:9], -v[10:11]
	v_add_f64_e32 v[154:155], 0, v[168:169]
	scratch_load_b128 v[8:11], off, off offset:240
	v_fmac_f64_e32 v[170:171], v[6:7], v[12:13]
	v_fma_f64 v[172:173], v[4:5], v[12:13], -v[14:15]
	ds_load_b128 v[4:7], v2 offset:848
	s_wait_loadcnt_dscnt 0xb01
	v_mul_f64_e32 v[168:169], v[160:161], v[18:19]
	v_mul_f64_e32 v[18:19], v[162:163], v[18:19]
	scratch_load_b128 v[12:15], off, off offset:256
	v_add_f64_e32 v[164:165], v[164:165], v[166:167]
	v_add_f64_e32 v[174:175], v[154:155], v[152:153]
	ds_load_b128 v[152:155], v2 offset:864
	s_wait_loadcnt_dscnt 0xb01
	v_mul_f64_e32 v[166:167], v[4:5], v[22:23]
	v_mul_f64_e32 v[22:23], v[6:7], v[22:23]
	v_fmac_f64_e32 v[168:169], v[162:163], v[16:17]
	v_fma_f64 v[160:161], v[160:161], v[16:17], -v[18:19]
	scratch_load_b128 v[16:19], off, off offset:272
	v_add_f64_e32 v[164:165], v[164:165], v[170:171]
	v_add_f64_e32 v[162:163], v[174:175], v[172:173]
	v_fmac_f64_e32 v[166:167], v[6:7], v[20:21]
	v_fma_f64 v[172:173], v[4:5], v[20:21], -v[22:23]
	ds_load_b128 v[4:7], v2 offset:880
	s_wait_loadcnt_dscnt 0xb01
	v_mul_f64_e32 v[170:171], v[152:153], v[26:27]
	v_mul_f64_e32 v[26:27], v[154:155], v[26:27]
	scratch_load_b128 v[20:23], off, off offset:288
	v_add_f64_e32 v[164:165], v[164:165], v[168:169]
	s_wait_loadcnt_dscnt 0xb00
	v_mul_f64_e32 v[168:169], v[4:5], v[30:31]
	v_add_f64_e32 v[174:175], v[162:163], v[160:161]
	v_mul_f64_e32 v[30:31], v[6:7], v[30:31]
	ds_load_b128 v[160:163], v2 offset:896
	v_fmac_f64_e32 v[170:171], v[154:155], v[24:25]
	v_fma_f64 v[152:153], v[152:153], v[24:25], -v[26:27]
	scratch_load_b128 v[24:27], off, off offset:304
	v_add_f64_e32 v[164:165], v[164:165], v[166:167]
	v_fmac_f64_e32 v[168:169], v[6:7], v[28:29]
	v_add_f64_e32 v[154:155], v[174:175], v[172:173]
	v_fma_f64 v[172:173], v[4:5], v[28:29], -v[30:31]
	ds_load_b128 v[4:7], v2 offset:912
	s_wait_loadcnt_dscnt 0xb01
	v_mul_f64_e32 v[166:167], v[160:161], v[130:131]
	v_mul_f64_e32 v[130:131], v[162:163], v[130:131]
	scratch_load_b128 v[28:31], off, off offset:320
	v_add_f64_e32 v[164:165], v[164:165], v[170:171]
	s_wait_loadcnt_dscnt 0xb00
	v_mul_f64_e32 v[170:171], v[4:5], v[134:135]
	v_add_f64_e32 v[174:175], v[154:155], v[152:153]
	v_mul_f64_e32 v[134:135], v[6:7], v[134:135]
	ds_load_b128 v[152:155], v2 offset:928
	v_fmac_f64_e32 v[166:167], v[162:163], v[128:129]
	v_fma_f64 v[160:161], v[160:161], v[128:129], -v[130:131]
	scratch_load_b128 v[128:131], off, off offset:336
	v_add_f64_e32 v[164:165], v[164:165], v[168:169]
	v_fmac_f64_e32 v[170:171], v[6:7], v[132:133]
	v_add_f64_e32 v[162:163], v[174:175], v[172:173]
	;; [unrolled: 18-line block ×3, first 2 shown]
	v_fma_f64 v[172:173], v[4:5], v[144:145], -v[146:147]
	ds_load_b128 v[4:7], v2 offset:976
	s_wait_loadcnt_dscnt 0xa01
	v_mul_f64_e32 v[170:171], v[160:161], v[158:159]
	v_mul_f64_e32 v[158:159], v[162:163], v[158:159]
	scratch_load_b128 v[144:147], off, off offset:384
	v_add_f64_e32 v[164:165], v[164:165], v[168:169]
	v_add_f64_e32 v[174:175], v[154:155], v[152:153]
	s_wait_loadcnt_dscnt 0xa00
	v_mul_f64_e32 v[168:169], v[4:5], v[142:143]
	v_mul_f64_e32 v[142:143], v[6:7], v[142:143]
	v_fmac_f64_e32 v[170:171], v[162:163], v[156:157]
	v_fma_f64 v[160:161], v[160:161], v[156:157], -v[158:159]
	ds_load_b128 v[152:155], v2 offset:992
	scratch_load_b128 v[156:159], off, off offset:400
	v_add_f64_e32 v[164:165], v[164:165], v[166:167]
	v_add_f64_e32 v[162:163], v[174:175], v[172:173]
	v_fmac_f64_e32 v[168:169], v[6:7], v[140:141]
	v_fma_f64 v[172:173], v[4:5], v[140:141], -v[142:143]
	ds_load_b128 v[4:7], v2 offset:1008
	s_wait_loadcnt_dscnt 0xa01
	v_mul_f64_e32 v[166:167], v[152:153], v[10:11]
	v_mul_f64_e32 v[10:11], v[154:155], v[10:11]
	scratch_load_b128 v[140:143], off, off offset:416
	v_add_f64_e32 v[164:165], v[164:165], v[170:171]
	s_wait_loadcnt_dscnt 0xa00
	v_mul_f64_e32 v[170:171], v[4:5], v[14:15]
	v_add_f64_e32 v[174:175], v[162:163], v[160:161]
	v_mul_f64_e32 v[14:15], v[6:7], v[14:15]
	ds_load_b128 v[160:163], v2 offset:1024
	v_fmac_f64_e32 v[166:167], v[154:155], v[8:9]
	v_fma_f64 v[152:153], v[152:153], v[8:9], -v[10:11]
	scratch_load_b128 v[8:11], off, off offset:432
	v_add_f64_e32 v[164:165], v[164:165], v[168:169]
	v_fmac_f64_e32 v[170:171], v[6:7], v[12:13]
	v_add_f64_e32 v[154:155], v[174:175], v[172:173]
	v_fma_f64 v[172:173], v[4:5], v[12:13], -v[14:15]
	ds_load_b128 v[4:7], v2 offset:1040
	s_wait_loadcnt_dscnt 0xa01
	v_mul_f64_e32 v[168:169], v[160:161], v[18:19]
	v_mul_f64_e32 v[18:19], v[162:163], v[18:19]
	scratch_load_b128 v[12:15], off, off offset:448
	v_add_f64_e32 v[164:165], v[164:165], v[166:167]
	s_wait_loadcnt_dscnt 0xa00
	v_mul_f64_e32 v[166:167], v[4:5], v[22:23]
	v_add_f64_e32 v[174:175], v[154:155], v[152:153]
	v_mul_f64_e32 v[22:23], v[6:7], v[22:23]
	ds_load_b128 v[152:155], v2 offset:1056
	v_fmac_f64_e32 v[168:169], v[162:163], v[16:17]
	v_fma_f64 v[160:161], v[160:161], v[16:17], -v[18:19]
	scratch_load_b128 v[16:19], off, off offset:464
	v_add_f64_e32 v[164:165], v[164:165], v[170:171]
	v_fmac_f64_e32 v[166:167], v[6:7], v[20:21]
	v_add_f64_e32 v[162:163], v[174:175], v[172:173]
	;; [unrolled: 18-line block ×10, first 2 shown]
	v_fma_f64 v[172:173], v[4:5], v[132:133], -v[134:135]
	ds_load_b128 v[4:7], v2 offset:1328
	s_wait_loadcnt_dscnt 0xa01
	v_mul_f64_e32 v[168:169], v[152:153], v[138:139]
	v_mul_f64_e32 v[138:139], v[154:155], v[138:139]
	scratch_load_b128 v[132:135], off, off offset:736
	v_add_f64_e32 v[164:165], v[164:165], v[166:167]
	s_wait_loadcnt_dscnt 0xa00
	v_mul_f64_e32 v[166:167], v[4:5], v[146:147]
	v_add_f64_e32 v[174:175], v[162:163], v[160:161]
	v_mul_f64_e32 v[146:147], v[6:7], v[146:147]
	ds_load_b128 v[160:163], v2 offset:1344
	v_fmac_f64_e32 v[168:169], v[154:155], v[136:137]
	v_fma_f64 v[136:137], v[152:153], v[136:137], -v[138:139]
	s_wait_loadcnt_dscnt 0x900
	v_mul_f64_e32 v[154:155], v[160:161], v[158:159]
	v_mul_f64_e32 v[158:159], v[162:163], v[158:159]
	v_add_f64_e32 v[152:153], v[164:165], v[170:171]
	v_fmac_f64_e32 v[166:167], v[6:7], v[144:145]
	v_add_f64_e32 v[138:139], v[174:175], v[172:173]
	v_fma_f64 v[144:145], v[4:5], v[144:145], -v[146:147]
	v_fmac_f64_e32 v[154:155], v[162:163], v[156:157]
	v_fma_f64 v[156:157], v[160:161], v[156:157], -v[158:159]
	v_add_f64_e32 v[152:153], v[152:153], v[168:169]
	v_add_f64_e32 v[146:147], v[138:139], v[136:137]
	ds_load_b128 v[4:7], v2 offset:1360
	ds_load_b128 v[136:139], v2 offset:1376
	s_wait_loadcnt_dscnt 0x801
	v_mul_f64_e32 v[164:165], v[4:5], v[142:143]
	v_mul_f64_e32 v[142:143], v[6:7], v[142:143]
	v_add_f64_e32 v[144:145], v[146:147], v[144:145]
	v_add_f64_e32 v[146:147], v[152:153], v[166:167]
	s_wait_loadcnt_dscnt 0x700
	v_mul_f64_e32 v[152:153], v[136:137], v[10:11]
	v_mul_f64_e32 v[10:11], v[138:139], v[10:11]
	v_fmac_f64_e32 v[164:165], v[6:7], v[140:141]
	v_fma_f64 v[158:159], v[4:5], v[140:141], -v[142:143]
	ds_load_b128 v[4:7], v2 offset:1392
	ds_load_b128 v[140:143], v2 offset:1408
	v_add_f64_e32 v[144:145], v[144:145], v[156:157]
	v_add_f64_e32 v[146:147], v[146:147], v[154:155]
	v_fmac_f64_e32 v[152:153], v[138:139], v[8:9]
	v_fma_f64 v[8:9], v[136:137], v[8:9], -v[10:11]
	s_wait_loadcnt_dscnt 0x601
	v_mul_f64_e32 v[154:155], v[4:5], v[14:15]
	v_mul_f64_e32 v[14:15], v[6:7], v[14:15]
	s_wait_loadcnt_dscnt 0x500
	v_mul_f64_e32 v[138:139], v[140:141], v[18:19]
	v_mul_f64_e32 v[18:19], v[142:143], v[18:19]
	v_add_f64_e32 v[10:11], v[144:145], v[158:159]
	v_add_f64_e32 v[136:137], v[146:147], v[164:165]
	v_fmac_f64_e32 v[154:155], v[6:7], v[12:13]
	v_fma_f64 v[12:13], v[4:5], v[12:13], -v[14:15]
	v_fmac_f64_e32 v[138:139], v[142:143], v[16:17]
	v_fma_f64 v[16:17], v[140:141], v[16:17], -v[18:19]
	v_add_f64_e32 v[14:15], v[10:11], v[8:9]
	v_add_f64_e32 v[136:137], v[136:137], v[152:153]
	ds_load_b128 v[4:7], v2 offset:1424
	ds_load_b128 v[8:11], v2 offset:1440
	s_wait_loadcnt_dscnt 0x401
	v_mul_f64_e32 v[144:145], v[4:5], v[22:23]
	v_mul_f64_e32 v[22:23], v[6:7], v[22:23]
	s_wait_loadcnt_dscnt 0x300
	v_mul_f64_e32 v[18:19], v[8:9], v[26:27]
	v_mul_f64_e32 v[26:27], v[10:11], v[26:27]
	v_add_f64_e32 v[12:13], v[14:15], v[12:13]
	v_add_f64_e32 v[14:15], v[136:137], v[154:155]
	v_fmac_f64_e32 v[144:145], v[6:7], v[20:21]
	v_fma_f64 v[20:21], v[4:5], v[20:21], -v[22:23]
	v_fmac_f64_e32 v[18:19], v[10:11], v[24:25]
	v_fma_f64 v[8:9], v[8:9], v[24:25], -v[26:27]
	v_add_f64_e32 v[16:17], v[12:13], v[16:17]
	v_add_f64_e32 v[22:23], v[14:15], v[138:139]
	ds_load_b128 v[4:7], v2 offset:1456
	ds_load_b128 v[12:15], v2 offset:1472
	s_wait_loadcnt_dscnt 0x201
	v_mul_f64_e32 v[136:137], v[4:5], v[30:31]
	v_mul_f64_e32 v[30:31], v[6:7], v[30:31]
	v_add_f64_e32 v[10:11], v[16:17], v[20:21]
	v_add_f64_e32 v[16:17], v[22:23], v[144:145]
	s_wait_loadcnt_dscnt 0x100
	v_mul_f64_e32 v[20:21], v[12:13], v[130:131]
	v_mul_f64_e32 v[22:23], v[14:15], v[130:131]
	v_fmac_f64_e32 v[136:137], v[6:7], v[28:29]
	v_fma_f64 v[24:25], v[4:5], v[28:29], -v[30:31]
	ds_load_b128 v[4:7], v2 offset:1488
	v_add_f64_e32 v[8:9], v[10:11], v[8:9]
	v_add_f64_e32 v[10:11], v[16:17], v[18:19]
	v_fmac_f64_e32 v[20:21], v[14:15], v[128:129]
	v_fma_f64 v[12:13], v[12:13], v[128:129], -v[22:23]
	s_wait_loadcnt_dscnt 0x0
	v_mul_f64_e32 v[16:17], v[4:5], v[134:135]
	v_mul_f64_e32 v[18:19], v[6:7], v[134:135]
	v_add_f64_e32 v[8:9], v[8:9], v[24:25]
	v_add_f64_e32 v[10:11], v[10:11], v[136:137]
	s_delay_alu instid0(VALU_DEP_4) | instskip(NEXT) | instid1(VALU_DEP_4)
	v_fmac_f64_e32 v[16:17], v[6:7], v[132:133]
	v_fma_f64 v[4:5], v[4:5], v[132:133], -v[18:19]
	s_delay_alu instid0(VALU_DEP_4) | instskip(NEXT) | instid1(VALU_DEP_4)
	v_add_f64_e32 v[6:7], v[8:9], v[12:13]
	v_add_f64_e32 v[8:9], v[10:11], v[20:21]
	s_delay_alu instid0(VALU_DEP_2) | instskip(NEXT) | instid1(VALU_DEP_2)
	v_add_f64_e32 v[4:5], v[6:7], v[4:5]
	v_add_f64_e32 v[6:7], v[8:9], v[16:17]
	s_delay_alu instid0(VALU_DEP_2) | instskip(NEXT) | instid1(VALU_DEP_2)
	v_add_f64_e64 v[4:5], v[148:149], -v[4:5]
	v_add_f64_e64 v[6:7], v[150:151], -v[6:7]
	scratch_store_b128 off, v[4:7], off offset:16
	s_wait_xcnt 0x0
	v_cmpx_ne_u32_e32 0, v1
	s_cbranch_execz .LBB110_295
; %bb.294:
	scratch_load_b128 v[6:9], off, off
	v_dual_mov_b32 v3, v2 :: v_dual_mov_b32 v4, v2
	v_mov_b32_e32 v5, v2
	scratch_store_b128 off, v[2:5], off
	s_wait_loadcnt 0x0
	ds_store_b128 v126, v[6:9]
.LBB110_295:
	s_wait_xcnt 0x0
	s_or_b32 exec_lo, exec_lo, s2
	s_wait_storecnt_dscnt 0x0
	s_barrier_signal -1
	s_barrier_wait -1
	s_clause 0x9
	scratch_load_b128 v[4:7], off, off offset:16
	scratch_load_b128 v[8:11], off, off offset:32
	;; [unrolled: 1-line block ×10, first 2 shown]
	ds_load_b128 v[138:141], v2 offset:768
	ds_load_b128 v[146:149], v2 offset:784
	s_clause 0x2
	scratch_load_b128 v[142:145], off, off offset:176
	scratch_load_b128 v[154:157], off, off
	scratch_load_b128 v[150:153], off, off offset:192
	s_and_b32 vcc_lo, exec_lo, s59
	s_wait_loadcnt_dscnt 0xc01
	v_mul_f64_e32 v[158:159], v[140:141], v[6:7]
	v_mul_f64_e32 v[162:163], v[138:139], v[6:7]
	s_wait_loadcnt_dscnt 0xb00
	v_mul_f64_e32 v[164:165], v[146:147], v[10:11]
	v_mul_f64_e32 v[10:11], v[148:149], v[10:11]
	s_delay_alu instid0(VALU_DEP_4) | instskip(NEXT) | instid1(VALU_DEP_4)
	v_fma_f64 v[166:167], v[138:139], v[4:5], -v[158:159]
	v_fmac_f64_e32 v[162:163], v[140:141], v[4:5]
	ds_load_b128 v[4:7], v2 offset:800
	ds_load_b128 v[138:141], v2 offset:816
	scratch_load_b128 v[158:161], off, off offset:208
	v_fmac_f64_e32 v[164:165], v[148:149], v[8:9]
	v_fma_f64 v[146:147], v[146:147], v[8:9], -v[10:11]
	scratch_load_b128 v[8:11], off, off offset:224
	s_wait_loadcnt_dscnt 0xc01
	v_mul_f64_e32 v[168:169], v[4:5], v[14:15]
	v_mul_f64_e32 v[14:15], v[6:7], v[14:15]
	v_add_f64_e32 v[148:149], 0, v[166:167]
	v_add_f64_e32 v[162:163], 0, v[162:163]
	s_wait_loadcnt_dscnt 0xb00
	v_mul_f64_e32 v[166:167], v[138:139], v[18:19]
	v_mul_f64_e32 v[18:19], v[140:141], v[18:19]
	v_fmac_f64_e32 v[168:169], v[6:7], v[12:13]
	v_fma_f64 v[170:171], v[4:5], v[12:13], -v[14:15]
	ds_load_b128 v[4:7], v2 offset:832
	ds_load_b128 v[12:15], v2 offset:848
	v_add_f64_e32 v[172:173], v[148:149], v[146:147]
	v_add_f64_e32 v[162:163], v[162:163], v[164:165]
	scratch_load_b128 v[146:149], off, off offset:240
	v_fmac_f64_e32 v[166:167], v[140:141], v[16:17]
	v_fma_f64 v[138:139], v[138:139], v[16:17], -v[18:19]
	scratch_load_b128 v[16:19], off, off offset:256
	s_wait_loadcnt_dscnt 0xc01
	v_mul_f64_e32 v[164:165], v[4:5], v[22:23]
	v_mul_f64_e32 v[22:23], v[6:7], v[22:23]
	v_add_f64_e32 v[140:141], v[172:173], v[170:171]
	v_add_f64_e32 v[162:163], v[162:163], v[168:169]
	s_wait_loadcnt_dscnt 0xb00
	v_mul_f64_e32 v[168:169], v[12:13], v[26:27]
	v_mul_f64_e32 v[26:27], v[14:15], v[26:27]
	v_fmac_f64_e32 v[164:165], v[6:7], v[20:21]
	v_fma_f64 v[170:171], v[4:5], v[20:21], -v[22:23]
	ds_load_b128 v[4:7], v2 offset:864
	ds_load_b128 v[20:23], v2 offset:880
	v_add_f64_e32 v[172:173], v[140:141], v[138:139]
	v_add_f64_e32 v[162:163], v[162:163], v[166:167]
	scratch_load_b128 v[138:141], off, off offset:272
	s_wait_loadcnt_dscnt 0xb01
	v_mul_f64_e32 v[166:167], v[4:5], v[30:31]
	v_mul_f64_e32 v[30:31], v[6:7], v[30:31]
	v_fmac_f64_e32 v[168:169], v[14:15], v[24:25]
	v_fma_f64 v[24:25], v[12:13], v[24:25], -v[26:27]
	scratch_load_b128 v[12:15], off, off offset:288
	v_add_f64_e32 v[26:27], v[172:173], v[170:171]
	v_add_f64_e32 v[162:163], v[162:163], v[164:165]
	s_wait_loadcnt_dscnt 0xb00
	v_mul_f64_e32 v[164:165], v[20:21], v[128:129]
	v_mul_f64_e32 v[128:129], v[22:23], v[128:129]
	v_fmac_f64_e32 v[166:167], v[6:7], v[28:29]
	v_fma_f64 v[170:171], v[4:5], v[28:29], -v[30:31]
	v_add_f64_e32 v[172:173], v[26:27], v[24:25]
	v_add_f64_e32 v[162:163], v[162:163], v[168:169]
	ds_load_b128 v[4:7], v2 offset:896
	ds_load_b128 v[24:27], v2 offset:912
	scratch_load_b128 v[28:31], off, off offset:304
	v_fmac_f64_e32 v[164:165], v[22:23], v[126:127]
	v_fma_f64 v[126:127], v[20:21], v[126:127], -v[128:129]
	scratch_load_b128 v[20:23], off, off offset:320
	s_wait_loadcnt_dscnt 0xc01
	v_mul_f64_e32 v[168:169], v[4:5], v[132:133]
	v_mul_f64_e32 v[132:133], v[6:7], v[132:133]
	v_add_f64_e32 v[128:129], v[172:173], v[170:171]
	v_add_f64_e32 v[162:163], v[162:163], v[166:167]
	s_wait_loadcnt_dscnt 0xb00
	v_mul_f64_e32 v[166:167], v[24:25], v[136:137]
	v_mul_f64_e32 v[136:137], v[26:27], v[136:137]
	v_fmac_f64_e32 v[168:169], v[6:7], v[130:131]
	v_fma_f64 v[170:171], v[4:5], v[130:131], -v[132:133]
	v_add_f64_e32 v[172:173], v[128:129], v[126:127]
	v_add_f64_e32 v[162:163], v[162:163], v[164:165]
	ds_load_b128 v[4:7], v2 offset:928
	ds_load_b128 v[126:129], v2 offset:944
	scratch_load_b128 v[130:133], off, off offset:336
	v_fmac_f64_e32 v[166:167], v[26:27], v[134:135]
	v_fma_f64 v[134:135], v[24:25], v[134:135], -v[136:137]
	scratch_load_b128 v[24:27], off, off offset:352
	s_wait_loadcnt_dscnt 0xc01
	v_mul_f64_e32 v[164:165], v[4:5], v[144:145]
	v_mul_f64_e32 v[144:145], v[6:7], v[144:145]
	;; [unrolled: 18-line block ×5, first 2 shown]
	v_add_f64_e32 v[152:153], v[172:173], v[170:171]
	v_add_f64_e32 v[162:163], v[162:163], v[168:169]
	s_wait_loadcnt_dscnt 0xa00
	v_mul_f64_e32 v[168:169], v[134:135], v[14:15]
	v_mul_f64_e32 v[14:15], v[136:137], v[14:15]
	v_fmac_f64_e32 v[164:165], v[6:7], v[138:139]
	v_fma_f64 v[170:171], v[4:5], v[138:139], -v[140:141]
	ds_load_b128 v[4:7], v2 offset:1056
	ds_load_b128 v[138:141], v2 offset:1072
	v_add_f64_e32 v[172:173], v[152:153], v[150:151]
	v_add_f64_e32 v[162:163], v[162:163], v[166:167]
	scratch_load_b128 v[150:153], off, off offset:464
	v_fmac_f64_e32 v[168:169], v[136:137], v[12:13]
	v_fma_f64 v[134:135], v[134:135], v[12:13], -v[14:15]
	scratch_load_b128 v[12:15], off, off offset:480
	s_wait_loadcnt_dscnt 0xb01
	v_mul_f64_e32 v[166:167], v[4:5], v[30:31]
	v_mul_f64_e32 v[30:31], v[6:7], v[30:31]
	v_add_f64_e32 v[136:137], v[172:173], v[170:171]
	v_add_f64_e32 v[162:163], v[162:163], v[164:165]
	s_wait_loadcnt_dscnt 0xa00
	v_mul_f64_e32 v[164:165], v[138:139], v[22:23]
	v_mul_f64_e32 v[22:23], v[140:141], v[22:23]
	v_fmac_f64_e32 v[166:167], v[6:7], v[28:29]
	v_fma_f64 v[170:171], v[4:5], v[28:29], -v[30:31]
	ds_load_b128 v[4:7], v2 offset:1088
	ds_load_b128 v[28:31], v2 offset:1104
	v_add_f64_e32 v[172:173], v[136:137], v[134:135]
	v_add_f64_e32 v[162:163], v[162:163], v[168:169]
	scratch_load_b128 v[134:137], off, off offset:496
	s_wait_loadcnt_dscnt 0xa01
	v_mul_f64_e32 v[168:169], v[4:5], v[132:133]
	v_mul_f64_e32 v[132:133], v[6:7], v[132:133]
	v_fmac_f64_e32 v[164:165], v[140:141], v[20:21]
	v_fma_f64 v[138:139], v[138:139], v[20:21], -v[22:23]
	scratch_load_b128 v[20:23], off, off offset:512
	v_add_f64_e32 v[140:141], v[172:173], v[170:171]
	v_add_f64_e32 v[162:163], v[162:163], v[166:167]
	s_wait_loadcnt_dscnt 0xa00
	v_mul_f64_e32 v[166:167], v[28:29], v[26:27]
	v_mul_f64_e32 v[26:27], v[30:31], v[26:27]
	v_fmac_f64_e32 v[168:169], v[6:7], v[130:131]
	v_fma_f64 v[170:171], v[4:5], v[130:131], -v[132:133]
	ds_load_b128 v[4:7], v2 offset:1120
	ds_load_b128 v[130:133], v2 offset:1136
	v_add_f64_e32 v[172:173], v[140:141], v[138:139]
	v_add_f64_e32 v[162:163], v[162:163], v[164:165]
	scratch_load_b128 v[138:141], off, off offset:528
	s_wait_loadcnt_dscnt 0xa01
	v_mul_f64_e32 v[164:165], v[4:5], v[144:145]
	v_mul_f64_e32 v[144:145], v[6:7], v[144:145]
	v_fmac_f64_e32 v[166:167], v[30:31], v[24:25]
	v_fma_f64 v[28:29], v[28:29], v[24:25], -v[26:27]
	scratch_load_b128 v[24:27], off, off offset:544
	v_add_f64_e32 v[30:31], v[172:173], v[170:171]
	v_add_f64_e32 v[162:163], v[162:163], v[168:169]
	s_wait_loadcnt_dscnt 0xa00
	v_mul_f64_e32 v[168:169], v[130:131], v[128:129]
	v_mul_f64_e32 v[128:129], v[132:133], v[128:129]
	v_fmac_f64_e32 v[164:165], v[6:7], v[142:143]
	v_fma_f64 v[170:171], v[4:5], v[142:143], -v[144:145]
	v_add_f64_e32 v[172:173], v[30:31], v[28:29]
	v_add_f64_e32 v[162:163], v[162:163], v[166:167]
	ds_load_b128 v[4:7], v2 offset:1152
	ds_load_b128 v[28:31], v2 offset:1168
	scratch_load_b128 v[142:145], off, off offset:560
	v_fmac_f64_e32 v[168:169], v[132:133], v[126:127]
	v_fma_f64 v[130:131], v[130:131], v[126:127], -v[128:129]
	scratch_load_b128 v[126:129], off, off offset:576
	s_wait_loadcnt_dscnt 0xb01
	v_mul_f64_e32 v[166:167], v[4:5], v[160:161]
	v_mul_f64_e32 v[160:161], v[6:7], v[160:161]
	v_add_f64_e32 v[132:133], v[172:173], v[170:171]
	v_add_f64_e32 v[162:163], v[162:163], v[164:165]
	s_wait_loadcnt_dscnt 0xa00
	v_mul_f64_e32 v[164:165], v[28:29], v[10:11]
	v_mul_f64_e32 v[10:11], v[30:31], v[10:11]
	v_fmac_f64_e32 v[166:167], v[6:7], v[158:159]
	v_fma_f64 v[170:171], v[4:5], v[158:159], -v[160:161]
	v_add_f64_e32 v[172:173], v[132:133], v[130:131]
	v_add_f64_e32 v[162:163], v[162:163], v[168:169]
	ds_load_b128 v[4:7], v2 offset:1184
	ds_load_b128 v[130:133], v2 offset:1200
	scratch_load_b128 v[158:161], off, off offset:592
	v_fmac_f64_e32 v[164:165], v[30:31], v[8:9]
	v_fma_f64 v[28:29], v[28:29], v[8:9], -v[10:11]
	scratch_load_b128 v[8:11], off, off offset:608
	s_wait_loadcnt_dscnt 0xb01
	v_mul_f64_e32 v[168:169], v[4:5], v[148:149]
	v_mul_f64_e32 v[148:149], v[6:7], v[148:149]
	;; [unrolled: 18-line block ×6, first 2 shown]
	v_add_f64_e32 v[30:31], v[172:173], v[170:171]
	v_add_f64_e32 v[162:163], v[162:163], v[168:169]
	s_wait_loadcnt_dscnt 0xa00
	v_mul_f64_e32 v[168:169], v[130:131], v[128:129]
	v_mul_f64_e32 v[128:129], v[132:133], v[128:129]
	v_fmac_f64_e32 v[164:165], v[6:7], v[142:143]
	v_fma_f64 v[142:143], v[4:5], v[142:143], -v[144:145]
	v_add_f64_e32 v[144:145], v[30:31], v[28:29]
	v_add_f64_e32 v[162:163], v[162:163], v[166:167]
	ds_load_b128 v[4:7], v2 offset:1344
	ds_load_b128 v[28:31], v2 offset:1360
	v_fmac_f64_e32 v[168:169], v[132:133], v[126:127]
	v_fma_f64 v[126:127], v[130:131], v[126:127], -v[128:129]
	s_wait_loadcnt_dscnt 0x901
	v_mul_f64_e32 v[166:167], v[4:5], v[160:161]
	v_mul_f64_e32 v[160:161], v[6:7], v[160:161]
	s_wait_loadcnt_dscnt 0x800
	v_mul_f64_e32 v[132:133], v[28:29], v[10:11]
	v_mul_f64_e32 v[10:11], v[30:31], v[10:11]
	v_add_f64_e32 v[128:129], v[144:145], v[142:143]
	v_add_f64_e32 v[130:131], v[162:163], v[164:165]
	v_fmac_f64_e32 v[166:167], v[6:7], v[158:159]
	v_fma_f64 v[142:143], v[4:5], v[158:159], -v[160:161]
	v_fmac_f64_e32 v[132:133], v[30:31], v[8:9]
	v_fma_f64 v[8:9], v[28:29], v[8:9], -v[10:11]
	v_add_f64_e32 v[144:145], v[128:129], v[126:127]
	v_add_f64_e32 v[130:131], v[130:131], v[168:169]
	ds_load_b128 v[4:7], v2 offset:1376
	ds_load_b128 v[126:129], v2 offset:1392
	s_wait_loadcnt_dscnt 0x701
	v_mul_f64_e32 v[158:159], v[4:5], v[148:149]
	v_mul_f64_e32 v[148:149], v[6:7], v[148:149]
	s_wait_loadcnt_dscnt 0x600
	v_mul_f64_e32 v[30:31], v[126:127], v[18:19]
	v_mul_f64_e32 v[18:19], v[128:129], v[18:19]
	v_add_f64_e32 v[10:11], v[144:145], v[142:143]
	v_add_f64_e32 v[28:29], v[130:131], v[166:167]
	v_fmac_f64_e32 v[158:159], v[6:7], v[146:147]
	v_fma_f64 v[130:131], v[4:5], v[146:147], -v[148:149]
	v_fmac_f64_e32 v[30:31], v[128:129], v[16:17]
	v_fma_f64 v[16:17], v[126:127], v[16:17], -v[18:19]
	v_lshl_add_u64 v[148:149], v[40:41], 4, s[4:5]
	v_lshl_add_u64 v[146:147], v[42:43], 4, s[4:5]
	;; [unrolled: 1-line block ×4, first 2 shown]
	v_add_f64_e32 v[142:143], v[10:11], v[8:9]
	v_add_f64_e32 v[28:29], v[28:29], v[132:133]
	ds_load_b128 v[4:7], v2 offset:1408
	ds_load_b128 v[8:11], v2 offset:1424
	s_wait_loadcnt_dscnt 0x501
	v_mul_f64_e32 v[132:133], v[4:5], v[152:153]
	v_mul_f64_e32 v[144:145], v[6:7], v[152:153]
	s_wait_loadcnt_dscnt 0x400
	v_mul_f64_e32 v[126:127], v[8:9], v[14:15]
	v_mul_f64_e32 v[128:129], v[10:11], v[14:15]
	v_lshl_add_u64 v[152:153], v[36:37], 4, s[4:5]
	v_lshl_add_u64 v[36:37], v[94:95], 4, s[4:5]
	v_add_f64_e32 v[18:19], v[142:143], v[130:131]
	v_add_f64_e32 v[28:29], v[28:29], v[158:159]
	v_lshl_add_u64 v[142:143], v[46:47], 4, s[4:5]
	v_lshl_add_u64 v[46:47], v[84:85], 4, s[4:5]
	v_fmac_f64_e32 v[132:133], v[6:7], v[150:151]
	v_fma_f64 v[130:131], v[4:5], v[150:151], -v[144:145]
	v_fmac_f64_e32 v[126:127], v[10:11], v[12:13]
	v_fma_f64 v[8:9], v[8:9], v[12:13], -v[128:129]
	v_lshl_add_u64 v[150:151], v[38:39], 4, s[4:5]
	v_lshl_add_u64 v[144:145], v[44:45], 4, s[4:5]
	;; [unrolled: 1-line block ×4, first 2 shown]
	v_add_f64_e32 v[18:19], v[18:19], v[16:17]
	v_add_f64_e32 v[28:29], v[28:29], v[30:31]
	ds_load_b128 v[4:7], v2 offset:1440
	ds_load_b128 v[14:17], v2 offset:1456
	s_wait_loadcnt_dscnt 0x301
	v_mul_f64_e32 v[30:31], v[4:5], v[136:137]
	v_mul_f64_e32 v[136:137], v[6:7], v[136:137]
	v_add_f64_e32 v[10:11], v[18:19], v[130:131]
	v_add_f64_e32 v[12:13], v[28:29], v[132:133]
	s_wait_loadcnt_dscnt 0x200
	v_mul_f64_e32 v[18:19], v[14:15], v[22:23]
	v_mul_f64_e32 v[22:23], v[16:17], v[22:23]
	v_lshl_add_u64 v[132:133], v[54:55], 4, s[4:5]
	v_lshl_add_u64 v[130:131], v[56:57], 4, s[4:5]
	;; [unrolled: 1-line block ×5, first 2 shown]
	v_fmac_f64_e32 v[30:31], v[6:7], v[134:135]
	v_fma_f64 v[28:29], v[4:5], v[134:135], -v[136:137]
	v_lshl_add_u64 v[136:137], v[52:53], 4, s[4:5]
	v_lshl_add_u64 v[134:135], v[64:65], 4, s[4:5]
	v_lshl_add_u64 v[64:65], v[70:71], 4, s[4:5]
	v_lshl_add_u64 v[52:53], v[78:79], 4, s[4:5]
	v_add_f64_e32 v[128:129], v[10:11], v[8:9]
	v_add_f64_e32 v[12:13], v[12:13], v[126:127]
	ds_load_b128 v[4:7], v2 offset:1472
	ds_load_b128 v[8:11], v2 offset:1488
	v_fmac_f64_e32 v[18:19], v[16:17], v[20:21]
	v_fma_f64 v[14:15], v[14:15], v[20:21], -v[22:23]
	s_wait_loadcnt_dscnt 0x101
	v_mul_f64_e32 v[2:3], v[4:5], v[140:141]
	v_mul_f64_e32 v[126:127], v[6:7], v[140:141]
	s_wait_loadcnt_dscnt 0x0
	v_mul_f64_e32 v[20:21], v[8:9], v[26:27]
	v_mul_f64_e32 v[22:23], v[10:11], v[26:27]
	v_lshl_add_u64 v[140:141], v[48:49], 4, s[4:5]
	v_lshl_add_u64 v[48:49], v[82:83], 4, s[4:5]
	;; [unrolled: 1-line block ×3, first 2 shown]
	v_add_f64_e32 v[16:17], v[128:129], v[28:29]
	v_add_f64_e32 v[12:13], v[12:13], v[30:31]
	v_lshl_add_u64 v[128:129], v[58:59], 4, s[4:5]
	v_lshl_add_u64 v[58:59], v[62:63], 4, s[4:5]
	;; [unrolled: 1-line block ×5, first 2 shown]
	v_fmac_f64_e32 v[2:3], v[6:7], v[138:139]
	v_fma_f64 v[4:5], v[4:5], v[138:139], -v[126:127]
	v_fmac_f64_e32 v[20:21], v[10:11], v[24:25]
	v_fma_f64 v[8:9], v[8:9], v[24:25], -v[22:23]
	v_lshl_add_u64 v[138:139], v[50:51], 4, s[4:5]
	v_lshl_add_u64 v[126:127], v[60:61], 4, s[4:5]
	;; [unrolled: 1-line block ×7, first 2 shown]
	v_add_f64_e32 v[6:7], v[16:17], v[14:15]
	v_add_f64_e32 v[12:13], v[12:13], v[18:19]
	v_lshl_add_u64 v[18:19], v[108:109], 4, s[4:5]
	v_lshl_add_u64 v[16:17], v[110:111], 4, s[4:5]
	;; [unrolled: 1-line block ×3, first 2 shown]
	v_add_f64_e32 v[4:5], v[6:7], v[4:5]
	v_add_f64_e32 v[2:3], v[12:13], v[2:3]
	v_lshl_add_u64 v[12:13], v[114:115], 4, s[4:5]
	v_lshl_add_u64 v[6:7], v[120:121], 4, s[4:5]
	s_delay_alu instid0(VALU_DEP_4) | instskip(NEXT) | instid1(VALU_DEP_4)
	v_add_f64_e32 v[4:5], v[4:5], v[8:9]
	v_add_f64_e32 v[2:3], v[2:3], v[20:21]
	v_lshl_add_u64 v[20:21], v[106:107], 4, s[4:5]
	v_lshl_add_u64 v[8:9], v[118:119], 4, s[4:5]
	s_delay_alu instid0(VALU_DEP_4) | instskip(NEXT) | instid1(VALU_DEP_4)
	v_add_f64_e64 v[154:155], v[154:155], -v[4:5]
	v_add_f64_e64 v[156:157], v[156:157], -v[2:3]
	v_lshl_add_u64 v[4:5], v[122:123], 4, s[4:5]
	v_lshl_add_u64 v[2:3], v[124:125], 4, s[4:5]
	scratch_store_b128 off, v[154:157], off
	s_cbranch_vccz .LBB110_388
; %bb.296:
	v_mov_b32_e32 v68, 0
	s_load_b64 s[2:3], s[0:1], 0x4
	v_bfe_u32 v70, v0, 10, 10
	v_bfe_u32 v0, v0, 20, 10
	global_load_b32 v69, v68, s[8:9] offset:180
	s_wait_kmcnt 0x0
	s_lshr_b32 s0, s2, 16
	v_mul_u32_u24_e32 v70, s3, v70
	s_mul_i32 s0, s0, s3
	s_delay_alu instid0(SALU_CYCLE_1) | instskip(NEXT) | instid1(VALU_DEP_1)
	v_mul_u32_u24_e32 v1, s0, v1
	v_add3_u32 v0, v1, v70, v0
	s_delay_alu instid0(VALU_DEP_1)
	v_lshl_add_u32 v0, v0, 4, 0x5e8
	s_wait_loadcnt 0x0
	v_cmp_ne_u32_e32 vcc_lo, 46, v69
	s_cbranch_vccz .LBB110_298
; %bb.297:
	v_lshlrev_b32_e32 v1, 4, v69
	s_clause 0x1
	scratch_load_b128 v[70:73], off, s15
	scratch_load_b128 v[74:77], v1, off offset:-16
	s_wait_loadcnt 0x1
	ds_store_2addr_b64 v0, v[70:71], v[72:73] offset1:1
	s_wait_loadcnt 0x0
	s_clause 0x1
	scratch_store_b128 off, v[74:77], s15
	scratch_store_b128 v1, v[70:73], off offset:-16
.LBB110_298:
	global_load_b32 v1, v68, s[8:9] offset:176
	s_wait_loadcnt 0x0
	v_cmp_eq_u32_e32 vcc_lo, 45, v1
	s_cbranch_vccnz .LBB110_300
; %bb.299:
	v_lshlrev_b32_e32 v1, 4, v1
	s_clause 0x1
	scratch_load_b128 v[68:71], off, s17
	scratch_load_b128 v[72:75], v1, off offset:-16
	s_wait_loadcnt 0x1
	ds_store_2addr_b64 v0, v[68:69], v[70:71] offset1:1
	s_wait_loadcnt 0x0
	s_clause 0x1
	scratch_store_b128 off, v[72:75], s17
	scratch_store_b128 v1, v[68:71], off offset:-16
.LBB110_300:
	s_wait_xcnt 0x0
	v_mov_b32_e32 v1, 0
	global_load_b32 v68, v1, s[8:9] offset:172
	s_wait_loadcnt 0x0
	v_cmp_eq_u32_e32 vcc_lo, 44, v68
	s_cbranch_vccnz .LBB110_302
; %bb.301:
	v_lshlrev_b32_e32 v68, 4, v68
	s_delay_alu instid0(VALU_DEP_1)
	v_mov_b32_e32 v76, v68
	s_clause 0x1
	scratch_load_b128 v[68:71], off, s19
	scratch_load_b128 v[72:75], v76, off offset:-16
	s_wait_loadcnt 0x1
	ds_store_2addr_b64 v0, v[68:69], v[70:71] offset1:1
	s_wait_loadcnt 0x0
	s_clause 0x1
	scratch_store_b128 off, v[72:75], s19
	scratch_store_b128 v76, v[68:71], off offset:-16
.LBB110_302:
	global_load_b32 v1, v1, s[8:9] offset:168
	s_wait_loadcnt 0x0
	v_cmp_eq_u32_e32 vcc_lo, 43, v1
	s_cbranch_vccnz .LBB110_304
; %bb.303:
	s_wait_xcnt 0x0
	v_lshlrev_b32_e32 v1, 4, v1
	s_clause 0x1
	scratch_load_b128 v[68:71], off, s20
	scratch_load_b128 v[72:75], v1, off offset:-16
	s_wait_loadcnt 0x1
	ds_store_2addr_b64 v0, v[68:69], v[70:71] offset1:1
	s_wait_loadcnt 0x0
	s_clause 0x1
	scratch_store_b128 off, v[72:75], s20
	scratch_store_b128 v1, v[68:71], off offset:-16
.LBB110_304:
	s_wait_xcnt 0x0
	v_mov_b32_e32 v1, 0
	global_load_b32 v68, v1, s[8:9] offset:164
	s_wait_loadcnt 0x0
	v_cmp_eq_u32_e32 vcc_lo, 42, v68
	s_cbranch_vccnz .LBB110_306
; %bb.305:
	v_lshlrev_b32_e32 v68, 4, v68
	s_delay_alu instid0(VALU_DEP_1)
	v_mov_b32_e32 v76, v68
	s_clause 0x1
	scratch_load_b128 v[68:71], off, s21
	scratch_load_b128 v[72:75], v76, off offset:-16
	s_wait_loadcnt 0x1
	ds_store_2addr_b64 v0, v[68:69], v[70:71] offset1:1
	s_wait_loadcnt 0x0
	s_clause 0x1
	scratch_store_b128 off, v[72:75], s21
	scratch_store_b128 v76, v[68:71], off offset:-16
.LBB110_306:
	global_load_b32 v1, v1, s[8:9] offset:160
	s_wait_loadcnt 0x0
	v_cmp_eq_u32_e32 vcc_lo, 41, v1
	s_cbranch_vccnz .LBB110_308
; %bb.307:
	s_wait_xcnt 0x0
	v_lshlrev_b32_e32 v1, 4, v1
	s_clause 0x1
	scratch_load_b128 v[68:71], off, s22
	scratch_load_b128 v[72:75], v1, off offset:-16
	s_wait_loadcnt 0x1
	ds_store_2addr_b64 v0, v[68:69], v[70:71] offset1:1
	s_wait_loadcnt 0x0
	s_clause 0x1
	scratch_store_b128 off, v[72:75], s22
	scratch_store_b128 v1, v[68:71], off offset:-16
.LBB110_308:
	;; [unrolled: 37-line block ×21, first 2 shown]
	s_wait_xcnt 0x0
	v_mov_b32_e32 v1, 0
	global_load_b32 v68, v1, s[8:9] offset:4
	s_wait_loadcnt 0x0
	v_cmp_eq_u32_e32 vcc_lo, 2, v68
	s_cbranch_vccnz .LBB110_386
; %bb.385:
	v_lshlrev_b32_e32 v68, 4, v68
	s_delay_alu instid0(VALU_DEP_1)
	v_mov_b32_e32 v76, v68
	s_clause 0x1
	scratch_load_b128 v[68:71], off, s18
	scratch_load_b128 v[72:75], v76, off offset:-16
	s_wait_loadcnt 0x1
	ds_store_2addr_b64 v0, v[68:69], v[70:71] offset1:1
	s_wait_loadcnt 0x0
	s_clause 0x1
	scratch_store_b128 off, v[72:75], s18
	scratch_store_b128 v76, v[68:71], off offset:-16
.LBB110_386:
	global_load_b32 v1, v1, s[8:9]
	s_wait_loadcnt 0x0
	v_cmp_eq_u32_e32 vcc_lo, 1, v1
	s_cbranch_vccnz .LBB110_388
; %bb.387:
	s_wait_xcnt 0x0
	v_lshlrev_b32_e32 v1, 4, v1
	scratch_load_b128 v[68:71], off, off
	scratch_load_b128 v[72:75], v1, off offset:-16
	s_wait_loadcnt 0x1
	ds_store_2addr_b64 v0, v[68:69], v[70:71] offset1:1
	s_wait_loadcnt 0x0
	scratch_store_b128 off, v[72:75], off
	scratch_store_b128 v1, v[68:71], off offset:-16
.LBB110_388:
	scratch_load_b128 v[68:71], off, off
	s_wait_loadcnt 0x0
	flat_store_b128 v[32:33], v[68:71]
	scratch_load_b128 v[68:71], off, s18
	s_wait_loadcnt 0x0
	flat_store_b128 v[34:35], v[68:71]
	scratch_load_b128 v[32:35], off, s16
	;; [unrolled: 3-line block ×46, first 2 shown]
	s_wait_loadcnt 0x0
	flat_store_b128 v[2:3], v[4:7]
	s_sendmsg sendmsg(MSG_DEALLOC_VGPRS)
	s_endpgm
	.section	.rodata,"a",@progbits
	.p2align	6, 0x0
	.amdhsa_kernel _ZN9rocsolver6v33100L18getri_kernel_smallILi47E19rocblas_complex_numIdEPKPS3_EEvT1_iilPiilS8_bb
		.amdhsa_group_segment_fixed_size 2536
		.amdhsa_private_segment_fixed_size 768
		.amdhsa_kernarg_size 60
		.amdhsa_user_sgpr_count 4
		.amdhsa_user_sgpr_dispatch_ptr 1
		.amdhsa_user_sgpr_queue_ptr 0
		.amdhsa_user_sgpr_kernarg_segment_ptr 1
		.amdhsa_user_sgpr_dispatch_id 0
		.amdhsa_user_sgpr_kernarg_preload_length 0
		.amdhsa_user_sgpr_kernarg_preload_offset 0
		.amdhsa_user_sgpr_private_segment_size 0
		.amdhsa_wavefront_size32 1
		.amdhsa_uses_dynamic_stack 0
		.amdhsa_enable_private_segment 1
		.amdhsa_system_sgpr_workgroup_id_x 1
		.amdhsa_system_sgpr_workgroup_id_y 0
		.amdhsa_system_sgpr_workgroup_id_z 0
		.amdhsa_system_sgpr_workgroup_info 0
		.amdhsa_system_vgpr_workitem_id 2
		.amdhsa_next_free_vgpr 176
		.amdhsa_next_free_sgpr 81
		.amdhsa_named_barrier_count 0
		.amdhsa_reserve_vcc 1
		.amdhsa_float_round_mode_32 0
		.amdhsa_float_round_mode_16_64 0
		.amdhsa_float_denorm_mode_32 3
		.amdhsa_float_denorm_mode_16_64 3
		.amdhsa_fp16_overflow 0
		.amdhsa_memory_ordered 1
		.amdhsa_forward_progress 1
		.amdhsa_inst_pref_size 255
		.amdhsa_round_robin_scheduling 0
		.amdhsa_exception_fp_ieee_invalid_op 0
		.amdhsa_exception_fp_denorm_src 0
		.amdhsa_exception_fp_ieee_div_zero 0
		.amdhsa_exception_fp_ieee_overflow 0
		.amdhsa_exception_fp_ieee_underflow 0
		.amdhsa_exception_fp_ieee_inexact 0
		.amdhsa_exception_int_div_zero 0
	.end_amdhsa_kernel
	.section	.text._ZN9rocsolver6v33100L18getri_kernel_smallILi47E19rocblas_complex_numIdEPKPS3_EEvT1_iilPiilS8_bb,"axG",@progbits,_ZN9rocsolver6v33100L18getri_kernel_smallILi47E19rocblas_complex_numIdEPKPS3_EEvT1_iilPiilS8_bb,comdat
.Lfunc_end110:
	.size	_ZN9rocsolver6v33100L18getri_kernel_smallILi47E19rocblas_complex_numIdEPKPS3_EEvT1_iilPiilS8_bb, .Lfunc_end110-_ZN9rocsolver6v33100L18getri_kernel_smallILi47E19rocblas_complex_numIdEPKPS3_EEvT1_iilPiilS8_bb
                                        ; -- End function
	.set _ZN9rocsolver6v33100L18getri_kernel_smallILi47E19rocblas_complex_numIdEPKPS3_EEvT1_iilPiilS8_bb.num_vgpr, 176
	.set _ZN9rocsolver6v33100L18getri_kernel_smallILi47E19rocblas_complex_numIdEPKPS3_EEvT1_iilPiilS8_bb.num_agpr, 0
	.set _ZN9rocsolver6v33100L18getri_kernel_smallILi47E19rocblas_complex_numIdEPKPS3_EEvT1_iilPiilS8_bb.numbered_sgpr, 81
	.set _ZN9rocsolver6v33100L18getri_kernel_smallILi47E19rocblas_complex_numIdEPKPS3_EEvT1_iilPiilS8_bb.num_named_barrier, 0
	.set _ZN9rocsolver6v33100L18getri_kernel_smallILi47E19rocblas_complex_numIdEPKPS3_EEvT1_iilPiilS8_bb.private_seg_size, 768
	.set _ZN9rocsolver6v33100L18getri_kernel_smallILi47E19rocblas_complex_numIdEPKPS3_EEvT1_iilPiilS8_bb.uses_vcc, 1
	.set _ZN9rocsolver6v33100L18getri_kernel_smallILi47E19rocblas_complex_numIdEPKPS3_EEvT1_iilPiilS8_bb.uses_flat_scratch, 1
	.set _ZN9rocsolver6v33100L18getri_kernel_smallILi47E19rocblas_complex_numIdEPKPS3_EEvT1_iilPiilS8_bb.has_dyn_sized_stack, 0
	.set _ZN9rocsolver6v33100L18getri_kernel_smallILi47E19rocblas_complex_numIdEPKPS3_EEvT1_iilPiilS8_bb.has_recursion, 0
	.set _ZN9rocsolver6v33100L18getri_kernel_smallILi47E19rocblas_complex_numIdEPKPS3_EEvT1_iilPiilS8_bb.has_indirect_call, 0
	.section	.AMDGPU.csdata,"",@progbits
; Kernel info:
; codeLenInByte = 85460
; TotalNumSgprs: 83
; NumVgprs: 176
; ScratchSize: 768
; MemoryBound: 0
; FloatMode: 240
; IeeeMode: 1
; LDSByteSize: 2536 bytes/workgroup (compile time only)
; SGPRBlocks: 0
; VGPRBlocks: 10
; NumSGPRsForWavesPerEU: 83
; NumVGPRsForWavesPerEU: 176
; NamedBarCnt: 0
; Occupancy: 5
; WaveLimiterHint : 1
; COMPUTE_PGM_RSRC2:SCRATCH_EN: 1
; COMPUTE_PGM_RSRC2:USER_SGPR: 4
; COMPUTE_PGM_RSRC2:TRAP_HANDLER: 0
; COMPUTE_PGM_RSRC2:TGID_X_EN: 1
; COMPUTE_PGM_RSRC2:TGID_Y_EN: 0
; COMPUTE_PGM_RSRC2:TGID_Z_EN: 0
; COMPUTE_PGM_RSRC2:TIDIG_COMP_CNT: 2
	.section	.text._ZN9rocsolver6v33100L18getri_kernel_smallILi48E19rocblas_complex_numIdEPKPS3_EEvT1_iilPiilS8_bb,"axG",@progbits,_ZN9rocsolver6v33100L18getri_kernel_smallILi48E19rocblas_complex_numIdEPKPS3_EEvT1_iilPiilS8_bb,comdat
	.globl	_ZN9rocsolver6v33100L18getri_kernel_smallILi48E19rocblas_complex_numIdEPKPS3_EEvT1_iilPiilS8_bb ; -- Begin function _ZN9rocsolver6v33100L18getri_kernel_smallILi48E19rocblas_complex_numIdEPKPS3_EEvT1_iilPiilS8_bb
	.p2align	8
	.type	_ZN9rocsolver6v33100L18getri_kernel_smallILi48E19rocblas_complex_numIdEPKPS3_EEvT1_iilPiilS8_bb,@function
_ZN9rocsolver6v33100L18getri_kernel_smallILi48E19rocblas_complex_numIdEPKPS3_EEvT1_iilPiilS8_bb: ; @_ZN9rocsolver6v33100L18getri_kernel_smallILi48E19rocblas_complex_numIdEPKPS3_EEvT1_iilPiilS8_bb
; %bb.0:
	v_and_b32_e32 v1, 0x3ff, v0
	s_mov_b32 s4, exec_lo
	s_delay_alu instid0(VALU_DEP_1)
	v_cmpx_gt_u32_e32 48, v1
	s_cbranch_execz .LBB111_206
; %bb.1:
	s_clause 0x1
	s_load_b32 s16, s[2:3], 0x38
	s_load_b64 s[8:9], s[2:3], 0x0
	s_getreg_b32 s6, hwreg(HW_REG_IB_STS2, 6, 4)
	s_wait_kmcnt 0x0
	s_bitcmp1_b32 s16, 8
	s_cselect_b32 s60, -1, 0
	s_bfe_u32 s4, ttmp6, 0x4000c
	s_and_b32 s5, ttmp6, 15
	s_add_co_i32 s4, s4, 1
	s_delay_alu instid0(SALU_CYCLE_1) | instskip(NEXT) | instid1(SALU_CYCLE_1)
	s_mul_i32 s4, ttmp9, s4
	s_add_co_i32 s5, s5, s4
	s_cmp_eq_u32 s6, 0
	s_cselect_b32 s10, ttmp9, s5
	s_load_b128 s[4:7], s[2:3], 0x28
	s_ashr_i32 s11, s10, 31
	s_delay_alu instid0(SALU_CYCLE_1) | instskip(NEXT) | instid1(SALU_CYCLE_1)
	s_lshl_b64 s[12:13], s[10:11], 3
	s_add_nc_u64 s[8:9], s[8:9], s[12:13]
	s_load_b64 s[14:15], s[8:9], 0x0
	s_wait_xcnt 0x0
	s_bfe_u32 s8, s16, 0x10008
	s_delay_alu instid0(SALU_CYCLE_1)
	s_cmp_eq_u32 s8, 0
                                        ; implicit-def: $sgpr8_sgpr9
	s_cbranch_scc1 .LBB111_3
; %bb.2:
	s_load_b96 s[16:18], s[2:3], 0x18
	s_wait_kmcnt 0x0
	s_mul_u64 s[4:5], s[4:5], s[10:11]
	s_delay_alu instid0(SALU_CYCLE_1) | instskip(SKIP_4) | instid1(SALU_CYCLE_1)
	s_lshl_b64 s[4:5], s[4:5], 2
	s_ashr_i32 s9, s18, 31
	s_mov_b32 s8, s18
	s_add_nc_u64 s[4:5], s[16:17], s[4:5]
	s_lshl_b64 s[8:9], s[8:9], 2
	s_add_nc_u64 s[8:9], s[4:5], s[8:9]
.LBB111_3:
	s_clause 0x1
	s_load_b64 s[12:13], s[2:3], 0x8
	s_load_b32 s61, s[2:3], 0x38
	v_dual_mov_b32 v15, 0 :: v_dual_lshlrev_b32 v14, 4, v1
	s_movk_i32 s62, 0x1c0
	s_movk_i32 s63, 0x1d0
	;; [unrolled: 1-line block ×16, first 2 shown]
	s_wait_kmcnt 0x0
	s_ashr_i32 s3, s12, 31
	s_mov_b32 s2, s12
	v_add3_u32 v28, s13, s13, v1
	s_lshl_b64 s[2:3], s[2:3], 4
	s_movk_i32 s78, 0x2c0
	s_add_nc_u64 s[4:5], s[14:15], s[2:3]
	s_ashr_i32 s3, s13, 31
	flat_load_b128 v[2:5], v1, s[4:5] scale_offset
	v_add_nc_u64_e32 v[24:25], s[4:5], v[14:15]
	s_mov_b32 s2, s13
	v_add_nc_u32_e32 v30, s13, v28
	s_movk_i32 s79, 0x2d0
	s_movk_i32 s80, 0x2e0
	s_movk_i32 s81, 0x2f0
	s_mov_b32 s18, 16
	v_lshl_add_u64 v[26:27], s[2:3], 4, v[24:25]
	v_add_nc_u32_e32 v32, s13, v30
	s_mov_b32 s16, 32
	s_mov_b32 s14, 48
	;; [unrolled: 1-line block ×3, first 2 shown]
	s_movk_i32 s59, 0x50
	v_add_nc_u32_e32 v34, s13, v32
	s_movk_i32 s58, 0x60
	s_movk_i32 s57, 0x70
	s_movk_i32 s56, 0x80
	s_movk_i32 s55, 0x90
	v_add_nc_u32_e32 v36, s13, v34
	s_movk_i32 s54, 0xa0
	s_movk_i32 s53, 0xb0
	s_movk_i32 s52, 0xc0
	;; [unrolled: 5-line block ×5, first 2 shown]
	s_movk_i32 s39, 0x190
	v_add_nc_u32_e32 v44, s13, v42
	s_movk_i32 s38, 0x1a0
	s_movk_i32 s37, 0x1b0
	s_mov_b32 s36, s62
	s_mov_b32 s35, s63
	v_add_nc_u32_e32 v46, s13, v44
	s_mov_b32 s34, s64
	s_mov_b32 s33, s65
	s_mov_b32 s31, s66
	s_mov_b32 s30, s67
	v_add_nc_u32_e32 v48, s13, v46
	s_mov_b32 s29, s68
	s_mov_b32 s28, s69
	s_mov_b32 s27, s70
	s_mov_b32 s26, s71
	v_add_nc_u32_e32 v50, s13, v48
	s_mov_b32 s25, s72
	s_mov_b32 s24, s73
	s_mov_b32 s23, s74
	s_mov_b32 s22, s75
	v_add_nc_u32_e32 v52, s13, v50
	s_mov_b32 s21, s76
	s_mov_b32 s20, s77
	s_mov_b32 s19, s78
	s_mov_b32 s17, s79
	v_add_nc_u32_e32 v54, s13, v52
	s_mov_b32 s15, s80
	s_bitcmp0_b32 s61, 0
	s_mov_b32 s3, -1
	s_delay_alu instid0(VALU_DEP_1) | instskip(NEXT) | instid1(VALU_DEP_1)
	v_add_nc_u32_e32 v56, s13, v54
	v_add_nc_u32_e32 v60, s13, v56
	s_delay_alu instid0(VALU_DEP_1) | instskip(NEXT) | instid1(VALU_DEP_1)
	v_add_nc_u32_e32 v58, s13, v60
	v_add_nc_u32_e32 v62, s13, v58
	s_delay_alu instid0(VALU_DEP_1) | instskip(NEXT) | instid1(VALU_DEP_1)
	v_add_nc_u32_e32 v64, s13, v62
	v_add_nc_u32_e32 v66, s13, v64
	s_delay_alu instid0(VALU_DEP_1) | instskip(NEXT) | instid1(VALU_DEP_1)
	v_add_nc_u32_e32 v68, s13, v66
	v_add_nc_u32_e32 v70, s13, v68
	s_delay_alu instid0(VALU_DEP_1) | instskip(NEXT) | instid1(VALU_DEP_1)
	v_add_nc_u32_e32 v72, s13, v70
	v_add_nc_u32_e32 v74, s13, v72
	s_delay_alu instid0(VALU_DEP_1) | instskip(NEXT) | instid1(VALU_DEP_1)
	v_add_nc_u32_e32 v76, s13, v74
	v_add_nc_u32_e32 v78, s13, v76
	s_delay_alu instid0(VALU_DEP_1) | instskip(NEXT) | instid1(VALU_DEP_1)
	v_add_nc_u32_e32 v80, s13, v78
	v_add_nc_u32_e32 v82, s13, v80
	s_delay_alu instid0(VALU_DEP_1) | instskip(NEXT) | instid1(VALU_DEP_1)
	v_add_nc_u32_e32 v84, s13, v82
	v_add_nc_u32_e32 v86, s13, v84
	s_delay_alu instid0(VALU_DEP_1) | instskip(NEXT) | instid1(VALU_DEP_1)
	v_add_nc_u32_e32 v88, s13, v86
	v_add_nc_u32_e32 v90, s13, v88
	s_delay_alu instid0(VALU_DEP_1) | instskip(NEXT) | instid1(VALU_DEP_1)
	v_add_nc_u32_e32 v92, s13, v90
	v_add_nc_u32_e32 v94, s13, v92
	s_delay_alu instid0(VALU_DEP_1) | instskip(NEXT) | instid1(VALU_DEP_1)
	v_add_nc_u32_e32 v96, s13, v94
	v_add_nc_u32_e32 v98, s13, v96
	s_delay_alu instid0(VALU_DEP_1) | instskip(NEXT) | instid1(VALU_DEP_1)
	v_add_nc_u32_e32 v100, s13, v98
	v_add_nc_u32_e32 v102, s13, v100
	s_delay_alu instid0(VALU_DEP_1) | instskip(NEXT) | instid1(VALU_DEP_1)
	v_add_nc_u32_e32 v104, s13, v102
	v_add_nc_u32_e32 v106, s13, v104
	s_delay_alu instid0(VALU_DEP_1) | instskip(NEXT) | instid1(VALU_DEP_1)
	v_add_nc_u32_e32 v108, s13, v106
	v_add_nc_u32_e32 v110, s13, v108
	s_delay_alu instid0(VALU_DEP_1) | instskip(NEXT) | instid1(VALU_DEP_1)
	v_add_nc_u32_e32 v112, s13, v110
	v_add_nc_u32_e32 v114, s13, v112
	s_delay_alu instid0(VALU_DEP_1) | instskip(NEXT) | instid1(VALU_DEP_1)
	v_add_nc_u32_e32 v116, s13, v114
	v_add_nc_u32_e32 v118, s13, v116
	s_mov_b32 s13, s81
	s_wait_loadcnt_dscnt 0x0
	scratch_store_b128 off, v[2:5], off
	flat_load_b128 v[2:5], v[26:27]
	s_wait_loadcnt_dscnt 0x0
	scratch_store_b128 off, v[2:5], off offset:16
	flat_load_b128 v[2:5], v28, s[4:5] scale_offset
	s_wait_loadcnt_dscnt 0x0
	scratch_store_b128 off, v[2:5], off offset:32
	flat_load_b128 v[2:5], v30, s[4:5] scale_offset
	;; [unrolled: 3-line block ×46, first 2 shown]
	s_wait_loadcnt_dscnt 0x0
	scratch_store_b128 off, v[2:5], off offset:752
	s_cbranch_scc1 .LBB111_204
; %bb.4:
	v_cmp_eq_u32_e64 s2, 0, v1
	s_wait_xcnt 0x0
	s_and_saveexec_b32 s3, s2
; %bb.5:
	v_mov_b32_e32 v2, 0
	ds_store_b32 v2, v2 offset:1536
; %bb.6:
	s_or_b32 exec_lo, exec_lo, s3
	s_wait_storecnt_dscnt 0x0
	s_barrier_signal -1
	s_barrier_wait -1
	scratch_load_b128 v[2:5], v1, off scale_offset
	s_wait_loadcnt 0x0
	v_cmp_eq_f64_e32 vcc_lo, 0, v[2:3]
	v_cmp_eq_f64_e64 s3, 0, v[4:5]
	s_and_b32 s3, vcc_lo, s3
	s_delay_alu instid0(SALU_CYCLE_1)
	s_and_saveexec_b32 s61, s3
	s_cbranch_execz .LBB111_10
; %bb.7:
	v_mov_b32_e32 v2, 0
	s_mov_b32 s62, 0
	ds_load_b32 v3, v2 offset:1536
	s_wait_dscnt 0x0
	v_readfirstlane_b32 s3, v3
	v_add_nc_u32_e32 v3, 1, v1
	s_cmp_eq_u32 s3, 0
	s_delay_alu instid0(VALU_DEP_1) | instskip(SKIP_1) | instid1(SALU_CYCLE_1)
	v_cmp_gt_i32_e32 vcc_lo, s3, v3
	s_cselect_b32 s63, -1, 0
	s_or_b32 s63, s63, vcc_lo
	s_delay_alu instid0(SALU_CYCLE_1)
	s_and_b32 exec_lo, exec_lo, s63
	s_cbranch_execz .LBB111_10
; %bb.8:
	v_mov_b32_e32 v4, s3
.LBB111_9:                              ; =>This Inner Loop Header: Depth=1
	ds_cmpstore_rtn_b32 v4, v2, v3, v4 offset:1536
	s_wait_dscnt 0x0
	v_cmp_ne_u32_e32 vcc_lo, 0, v4
	v_cmp_le_i32_e64 s3, v4, v3
	s_and_b32 s3, vcc_lo, s3
	s_delay_alu instid0(SALU_CYCLE_1) | instskip(NEXT) | instid1(SALU_CYCLE_1)
	s_and_b32 s3, exec_lo, s3
	s_or_b32 s62, s3, s62
	s_delay_alu instid0(SALU_CYCLE_1)
	s_and_not1_b32 exec_lo, exec_lo, s62
	s_cbranch_execnz .LBB111_9
.LBB111_10:
	s_or_b32 exec_lo, exec_lo, s61
	v_mov_b32_e32 v2, 0
	s_barrier_signal -1
	s_barrier_wait -1
	ds_load_b32 v3, v2 offset:1536
	s_and_saveexec_b32 s3, s2
	s_cbranch_execz .LBB111_12
; %bb.11:
	s_lshl_b64 s[62:63], s[10:11], 2
	s_delay_alu instid0(SALU_CYCLE_1)
	s_add_nc_u64 s[62:63], s[6:7], s[62:63]
	s_wait_dscnt 0x0
	global_store_b32 v2, v3, s[62:63]
.LBB111_12:
	s_wait_xcnt 0x0
	s_or_b32 exec_lo, exec_lo, s3
	s_wait_dscnt 0x0
	v_cmp_ne_u32_e32 vcc_lo, 0, v3
	s_mov_b32 s3, 0
	s_cbranch_vccnz .LBB111_204
; %bb.13:
	v_lshl_add_u32 v15, v1, 4, 0
                                        ; implicit-def: $vgpr6_vgpr7
                                        ; implicit-def: $vgpr10_vgpr11
	scratch_load_b128 v[2:5], v15, off
	s_wait_loadcnt 0x0
	v_cmp_ngt_f64_e64 s3, |v[2:3]|, |v[4:5]|
	s_wait_xcnt 0x0
	s_and_saveexec_b32 s61, s3
	s_delay_alu instid0(SALU_CYCLE_1)
	s_xor_b32 s3, exec_lo, s61
	s_cbranch_execz .LBB111_15
; %bb.14:
	v_div_scale_f64 v[6:7], null, v[4:5], v[4:5], v[2:3]
	v_div_scale_f64 v[12:13], vcc_lo, v[2:3], v[4:5], v[2:3]
	s_delay_alu instid0(VALU_DEP_2) | instskip(SKIP_1) | instid1(TRANS32_DEP_1)
	v_rcp_f64_e32 v[8:9], v[6:7]
	v_nop
	v_fma_f64 v[10:11], -v[6:7], v[8:9], 1.0
	s_delay_alu instid0(VALU_DEP_1) | instskip(NEXT) | instid1(VALU_DEP_1)
	v_fmac_f64_e32 v[8:9], v[8:9], v[10:11]
	v_fma_f64 v[10:11], -v[6:7], v[8:9], 1.0
	s_delay_alu instid0(VALU_DEP_1) | instskip(NEXT) | instid1(VALU_DEP_1)
	v_fmac_f64_e32 v[8:9], v[8:9], v[10:11]
	v_mul_f64_e32 v[10:11], v[12:13], v[8:9]
	s_delay_alu instid0(VALU_DEP_1) | instskip(NEXT) | instid1(VALU_DEP_1)
	v_fma_f64 v[6:7], -v[6:7], v[10:11], v[12:13]
	v_div_fmas_f64 v[6:7], v[6:7], v[8:9], v[10:11]
	s_delay_alu instid0(VALU_DEP_1) | instskip(NEXT) | instid1(VALU_DEP_1)
	v_div_fixup_f64 v[6:7], v[6:7], v[4:5], v[2:3]
	v_fmac_f64_e32 v[4:5], v[2:3], v[6:7]
	s_delay_alu instid0(VALU_DEP_1) | instskip(SKIP_1) | instid1(VALU_DEP_2)
	v_div_scale_f64 v[2:3], null, v[4:5], v[4:5], 1.0
	v_div_scale_f64 v[12:13], vcc_lo, 1.0, v[4:5], 1.0
	v_rcp_f64_e32 v[8:9], v[2:3]
	v_nop
	s_delay_alu instid0(TRANS32_DEP_1) | instskip(NEXT) | instid1(VALU_DEP_1)
	v_fma_f64 v[10:11], -v[2:3], v[8:9], 1.0
	v_fmac_f64_e32 v[8:9], v[8:9], v[10:11]
	s_delay_alu instid0(VALU_DEP_1) | instskip(NEXT) | instid1(VALU_DEP_1)
	v_fma_f64 v[10:11], -v[2:3], v[8:9], 1.0
	v_fmac_f64_e32 v[8:9], v[8:9], v[10:11]
	s_delay_alu instid0(VALU_DEP_1) | instskip(NEXT) | instid1(VALU_DEP_1)
	v_mul_f64_e32 v[10:11], v[12:13], v[8:9]
	v_fma_f64 v[2:3], -v[2:3], v[10:11], v[12:13]
	s_delay_alu instid0(VALU_DEP_1) | instskip(NEXT) | instid1(VALU_DEP_1)
	v_div_fmas_f64 v[2:3], v[2:3], v[8:9], v[10:11]
	v_div_fixup_f64 v[8:9], v[2:3], v[4:5], 1.0
                                        ; implicit-def: $vgpr2_vgpr3
	s_delay_alu instid0(VALU_DEP_1) | instskip(SKIP_1) | instid1(VALU_DEP_2)
	v_mul_f64_e32 v[6:7], v[6:7], v[8:9]
	v_xor_b32_e32 v9, 0x80000000, v9
	v_xor_b32_e32 v11, 0x80000000, v7
	s_delay_alu instid0(VALU_DEP_3)
	v_mov_b32_e32 v10, v6
.LBB111_15:
	s_and_not1_saveexec_b32 s3, s3
	s_cbranch_execz .LBB111_17
; %bb.16:
	v_div_scale_f64 v[6:7], null, v[2:3], v[2:3], v[4:5]
	v_div_scale_f64 v[12:13], vcc_lo, v[4:5], v[2:3], v[4:5]
	s_delay_alu instid0(VALU_DEP_2) | instskip(SKIP_1) | instid1(TRANS32_DEP_1)
	v_rcp_f64_e32 v[8:9], v[6:7]
	v_nop
	v_fma_f64 v[10:11], -v[6:7], v[8:9], 1.0
	s_delay_alu instid0(VALU_DEP_1) | instskip(NEXT) | instid1(VALU_DEP_1)
	v_fmac_f64_e32 v[8:9], v[8:9], v[10:11]
	v_fma_f64 v[10:11], -v[6:7], v[8:9], 1.0
	s_delay_alu instid0(VALU_DEP_1) | instskip(NEXT) | instid1(VALU_DEP_1)
	v_fmac_f64_e32 v[8:9], v[8:9], v[10:11]
	v_mul_f64_e32 v[10:11], v[12:13], v[8:9]
	s_delay_alu instid0(VALU_DEP_1) | instskip(NEXT) | instid1(VALU_DEP_1)
	v_fma_f64 v[6:7], -v[6:7], v[10:11], v[12:13]
	v_div_fmas_f64 v[6:7], v[6:7], v[8:9], v[10:11]
	s_delay_alu instid0(VALU_DEP_1) | instskip(NEXT) | instid1(VALU_DEP_1)
	v_div_fixup_f64 v[8:9], v[6:7], v[2:3], v[4:5]
	v_fmac_f64_e32 v[2:3], v[4:5], v[8:9]
	s_delay_alu instid0(VALU_DEP_1) | instskip(NEXT) | instid1(VALU_DEP_1)
	v_div_scale_f64 v[4:5], null, v[2:3], v[2:3], 1.0
	v_rcp_f64_e32 v[6:7], v[4:5]
	v_nop
	s_delay_alu instid0(TRANS32_DEP_1) | instskip(NEXT) | instid1(VALU_DEP_1)
	v_fma_f64 v[10:11], -v[4:5], v[6:7], 1.0
	v_fmac_f64_e32 v[6:7], v[6:7], v[10:11]
	s_delay_alu instid0(VALU_DEP_1) | instskip(NEXT) | instid1(VALU_DEP_1)
	v_fma_f64 v[10:11], -v[4:5], v[6:7], 1.0
	v_fmac_f64_e32 v[6:7], v[6:7], v[10:11]
	v_div_scale_f64 v[10:11], vcc_lo, 1.0, v[2:3], 1.0
	s_delay_alu instid0(VALU_DEP_1) | instskip(NEXT) | instid1(VALU_DEP_1)
	v_mul_f64_e32 v[12:13], v[10:11], v[6:7]
	v_fma_f64 v[4:5], -v[4:5], v[12:13], v[10:11]
	s_delay_alu instid0(VALU_DEP_1) | instskip(NEXT) | instid1(VALU_DEP_1)
	v_div_fmas_f64 v[4:5], v[4:5], v[6:7], v[12:13]
	v_div_fixup_f64 v[6:7], v[4:5], v[2:3], 1.0
	s_delay_alu instid0(VALU_DEP_1)
	v_mul_f64_e64 v[8:9], v[8:9], -v[6:7]
	v_xor_b32_e32 v11, 0x80000000, v7
	v_mov_b32_e32 v10, v6
.LBB111_17:
	s_or_b32 exec_lo, exec_lo, s3
	s_clause 0x1
	scratch_store_b128 v15, v[6:9], off
	scratch_load_b128 v[2:5], off, s18
	v_xor_b32_e32 v13, 0x80000000, v9
	v_mov_b32_e32 v12, v8
	s_wait_xcnt 0x1
	v_add_nc_u32_e32 v6, 0x300, v14
	ds_store_b128 v14, v[10:13]
	s_wait_loadcnt 0x0
	ds_store_b128 v14, v[2:5] offset:768
	s_wait_storecnt_dscnt 0x0
	s_barrier_signal -1
	s_barrier_wait -1
	s_wait_xcnt 0x0
	s_and_saveexec_b32 s3, s2
	s_cbranch_execz .LBB111_19
; %bb.18:
	scratch_load_b128 v[2:5], v15, off
	ds_load_b128 v[8:11], v6
	v_mov_b32_e32 v7, 0
	ds_load_b128 v[16:19], v7 offset:16
	s_wait_loadcnt_dscnt 0x1
	v_mul_f64_e32 v[12:13], v[8:9], v[4:5]
	v_mul_f64_e32 v[4:5], v[10:11], v[4:5]
	s_delay_alu instid0(VALU_DEP_2) | instskip(NEXT) | instid1(VALU_DEP_2)
	v_fmac_f64_e32 v[12:13], v[10:11], v[2:3]
	v_fma_f64 v[2:3], v[8:9], v[2:3], -v[4:5]
	s_delay_alu instid0(VALU_DEP_2) | instskip(NEXT) | instid1(VALU_DEP_2)
	v_add_f64_e32 v[8:9], 0, v[12:13]
	v_add_f64_e32 v[2:3], 0, v[2:3]
	s_wait_dscnt 0x0
	s_delay_alu instid0(VALU_DEP_2) | instskip(NEXT) | instid1(VALU_DEP_2)
	v_mul_f64_e32 v[10:11], v[8:9], v[18:19]
	v_mul_f64_e32 v[4:5], v[2:3], v[18:19]
	s_delay_alu instid0(VALU_DEP_2) | instskip(NEXT) | instid1(VALU_DEP_2)
	v_fma_f64 v[2:3], v[2:3], v[16:17], -v[10:11]
	v_fmac_f64_e32 v[4:5], v[8:9], v[16:17]
	scratch_store_b128 off, v[2:5], off offset:16
.LBB111_19:
	s_wait_xcnt 0x0
	s_or_b32 exec_lo, exec_lo, s3
	s_wait_storecnt 0x0
	s_barrier_signal -1
	s_barrier_wait -1
	scratch_load_b128 v[2:5], off, s16
	s_mov_b32 s3, exec_lo
	s_wait_loadcnt 0x0
	ds_store_b128 v6, v[2:5]
	s_wait_dscnt 0x0
	s_barrier_signal -1
	s_barrier_wait -1
	v_cmpx_gt_u32_e32 2, v1
	s_cbranch_execz .LBB111_23
; %bb.20:
	scratch_load_b128 v[2:5], v15, off
	ds_load_b128 v[8:11], v6
	s_wait_loadcnt_dscnt 0x0
	v_mul_f64_e32 v[12:13], v[10:11], v[4:5]
	v_mul_f64_e32 v[16:17], v[8:9], v[4:5]
	s_delay_alu instid0(VALU_DEP_2) | instskip(NEXT) | instid1(VALU_DEP_2)
	v_fma_f64 v[4:5], v[8:9], v[2:3], -v[12:13]
	v_fmac_f64_e32 v[16:17], v[10:11], v[2:3]
	s_delay_alu instid0(VALU_DEP_2) | instskip(NEXT) | instid1(VALU_DEP_2)
	v_add_f64_e32 v[4:5], 0, v[4:5]
	v_add_f64_e32 v[2:3], 0, v[16:17]
	s_and_saveexec_b32 s61, s2
	s_cbranch_execz .LBB111_22
; %bb.21:
	scratch_load_b128 v[8:11], off, off offset:16
	v_mov_b32_e32 v7, 0
	ds_load_b128 v[16:19], v7 offset:784
	s_wait_loadcnt_dscnt 0x0
	v_mul_f64_e32 v[12:13], v[16:17], v[10:11]
	v_mul_f64_e32 v[10:11], v[18:19], v[10:11]
	s_delay_alu instid0(VALU_DEP_2) | instskip(NEXT) | instid1(VALU_DEP_2)
	v_fmac_f64_e32 v[12:13], v[18:19], v[8:9]
	v_fma_f64 v[8:9], v[16:17], v[8:9], -v[10:11]
	s_delay_alu instid0(VALU_DEP_2) | instskip(NEXT) | instid1(VALU_DEP_2)
	v_add_f64_e32 v[2:3], v[2:3], v[12:13]
	v_add_f64_e32 v[4:5], v[4:5], v[8:9]
.LBB111_22:
	s_or_b32 exec_lo, exec_lo, s61
	v_mov_b32_e32 v7, 0
	ds_load_b128 v[8:11], v7 offset:32
	s_wait_dscnt 0x0
	v_mul_f64_e32 v[16:17], v[2:3], v[10:11]
	v_mul_f64_e32 v[12:13], v[4:5], v[10:11]
	s_delay_alu instid0(VALU_DEP_2) | instskip(NEXT) | instid1(VALU_DEP_2)
	v_fma_f64 v[10:11], v[4:5], v[8:9], -v[16:17]
	v_fmac_f64_e32 v[12:13], v[2:3], v[8:9]
	scratch_store_b128 off, v[10:13], off offset:32
.LBB111_23:
	s_wait_xcnt 0x0
	s_or_b32 exec_lo, exec_lo, s3
	s_wait_storecnt 0x0
	s_barrier_signal -1
	s_barrier_wait -1
	scratch_load_b128 v[2:5], off, s14
	v_add_nc_u32_e32 v7, -1, v1
	s_mov_b32 s2, exec_lo
	s_wait_loadcnt 0x0
	ds_store_b128 v6, v[2:5]
	s_wait_dscnt 0x0
	s_barrier_signal -1
	s_barrier_wait -1
	v_cmpx_gt_u32_e32 3, v1
	s_cbranch_execz .LBB111_27
; %bb.24:
	v_dual_mov_b32 v10, v14 :: v_dual_add_nc_u32 v8, -1, v1
	v_mov_b64_e32 v[2:3], 0
	v_mov_b64_e32 v[4:5], 0
	v_add_nc_u32_e32 v9, 0x300, v14
	s_delay_alu instid0(VALU_DEP_4)
	v_or_b32_e32 v10, 8, v10
	s_mov_b32 s3, 0
.LBB111_25:                             ; =>This Inner Loop Header: Depth=1
	scratch_load_b128 v[16:19], v10, off offset:-8
	ds_load_b128 v[20:23], v9
	v_dual_add_nc_u32 v8, 1, v8 :: v_dual_add_nc_u32 v9, 16, v9
	s_wait_xcnt 0x0
	v_add_nc_u32_e32 v10, 16, v10
	s_delay_alu instid0(VALU_DEP_2) | instskip(SKIP_4) | instid1(VALU_DEP_2)
	v_cmp_lt_u32_e32 vcc_lo, 1, v8
	s_or_b32 s3, vcc_lo, s3
	s_wait_loadcnt_dscnt 0x0
	v_mul_f64_e32 v[12:13], v[22:23], v[18:19]
	v_mul_f64_e32 v[18:19], v[20:21], v[18:19]
	v_fma_f64 v[12:13], v[20:21], v[16:17], -v[12:13]
	s_delay_alu instid0(VALU_DEP_2) | instskip(NEXT) | instid1(VALU_DEP_2)
	v_fmac_f64_e32 v[18:19], v[22:23], v[16:17]
	v_add_f64_e32 v[4:5], v[4:5], v[12:13]
	s_delay_alu instid0(VALU_DEP_2)
	v_add_f64_e32 v[2:3], v[2:3], v[18:19]
	s_and_not1_b32 exec_lo, exec_lo, s3
	s_cbranch_execnz .LBB111_25
; %bb.26:
	s_or_b32 exec_lo, exec_lo, s3
	v_mov_b32_e32 v8, 0
	ds_load_b128 v[8:11], v8 offset:48
	s_wait_dscnt 0x0
	v_mul_f64_e32 v[16:17], v[2:3], v[10:11]
	v_mul_f64_e32 v[12:13], v[4:5], v[10:11]
	s_delay_alu instid0(VALU_DEP_2) | instskip(NEXT) | instid1(VALU_DEP_2)
	v_fma_f64 v[10:11], v[4:5], v[8:9], -v[16:17]
	v_fmac_f64_e32 v[12:13], v[2:3], v[8:9]
	scratch_store_b128 off, v[10:13], off offset:48
.LBB111_27:
	s_wait_xcnt 0x0
	s_or_b32 exec_lo, exec_lo, s2
	s_wait_storecnt 0x0
	s_barrier_signal -1
	s_barrier_wait -1
	scratch_load_b128 v[2:5], off, s12
	s_mov_b32 s2, exec_lo
	s_wait_loadcnt 0x0
	ds_store_b128 v6, v[2:5]
	s_wait_dscnt 0x0
	s_barrier_signal -1
	s_barrier_wait -1
	v_cmpx_gt_u32_e32 4, v1
	s_cbranch_execz .LBB111_31
; %bb.28:
	v_dual_mov_b32 v10, v14 :: v_dual_add_nc_u32 v8, -1, v1
	v_mov_b64_e32 v[2:3], 0
	v_mov_b64_e32 v[4:5], 0
	v_add_nc_u32_e32 v9, 0x300, v14
	s_delay_alu instid0(VALU_DEP_4)
	v_or_b32_e32 v10, 8, v10
	s_mov_b32 s3, 0
.LBB111_29:                             ; =>This Inner Loop Header: Depth=1
	scratch_load_b128 v[16:19], v10, off offset:-8
	ds_load_b128 v[20:23], v9
	v_dual_add_nc_u32 v8, 1, v8 :: v_dual_add_nc_u32 v9, 16, v9
	s_wait_xcnt 0x0
	v_add_nc_u32_e32 v10, 16, v10
	s_delay_alu instid0(VALU_DEP_2) | instskip(SKIP_4) | instid1(VALU_DEP_2)
	v_cmp_lt_u32_e32 vcc_lo, 2, v8
	s_or_b32 s3, vcc_lo, s3
	s_wait_loadcnt_dscnt 0x0
	v_mul_f64_e32 v[12:13], v[22:23], v[18:19]
	v_mul_f64_e32 v[18:19], v[20:21], v[18:19]
	v_fma_f64 v[12:13], v[20:21], v[16:17], -v[12:13]
	s_delay_alu instid0(VALU_DEP_2) | instskip(NEXT) | instid1(VALU_DEP_2)
	v_fmac_f64_e32 v[18:19], v[22:23], v[16:17]
	v_add_f64_e32 v[4:5], v[4:5], v[12:13]
	s_delay_alu instid0(VALU_DEP_2)
	v_add_f64_e32 v[2:3], v[2:3], v[18:19]
	s_and_not1_b32 exec_lo, exec_lo, s3
	s_cbranch_execnz .LBB111_29
; %bb.30:
	s_or_b32 exec_lo, exec_lo, s3
	v_mov_b32_e32 v8, 0
	ds_load_b128 v[8:11], v8 offset:64
	s_wait_dscnt 0x0
	v_mul_f64_e32 v[16:17], v[2:3], v[10:11]
	v_mul_f64_e32 v[12:13], v[4:5], v[10:11]
	s_delay_alu instid0(VALU_DEP_2) | instskip(NEXT) | instid1(VALU_DEP_2)
	v_fma_f64 v[10:11], v[4:5], v[8:9], -v[16:17]
	v_fmac_f64_e32 v[12:13], v[2:3], v[8:9]
	scratch_store_b128 off, v[10:13], off offset:64
.LBB111_31:
	s_wait_xcnt 0x0
	s_or_b32 exec_lo, exec_lo, s2
	s_wait_storecnt 0x0
	s_barrier_signal -1
	s_barrier_wait -1
	scratch_load_b128 v[2:5], off, s59
	;; [unrolled: 54-line block ×19, first 2 shown]
	s_mov_b32 s2, exec_lo
	s_wait_loadcnt 0x0
	ds_store_b128 v6, v[2:5]
	s_wait_dscnt 0x0
	s_barrier_signal -1
	s_barrier_wait -1
	v_cmpx_gt_u32_e32 22, v1
	s_cbranch_execz .LBB111_103
; %bb.100:
	v_dual_mov_b32 v10, v14 :: v_dual_add_nc_u32 v8, -1, v1
	v_mov_b64_e32 v[2:3], 0
	v_mov_b64_e32 v[4:5], 0
	v_add_nc_u32_e32 v9, 0x300, v14
	s_delay_alu instid0(VALU_DEP_4)
	v_or_b32_e32 v10, 8, v10
	s_mov_b32 s3, 0
.LBB111_101:                            ; =>This Inner Loop Header: Depth=1
	scratch_load_b128 v[16:19], v10, off offset:-8
	ds_load_b128 v[20:23], v9
	v_dual_add_nc_u32 v8, 1, v8 :: v_dual_add_nc_u32 v9, 16, v9
	s_wait_xcnt 0x0
	v_add_nc_u32_e32 v10, 16, v10
	s_delay_alu instid0(VALU_DEP_2) | instskip(SKIP_4) | instid1(VALU_DEP_2)
	v_cmp_lt_u32_e32 vcc_lo, 20, v8
	s_or_b32 s3, vcc_lo, s3
	s_wait_loadcnt_dscnt 0x0
	v_mul_f64_e32 v[12:13], v[22:23], v[18:19]
	v_mul_f64_e32 v[18:19], v[20:21], v[18:19]
	v_fma_f64 v[12:13], v[20:21], v[16:17], -v[12:13]
	s_delay_alu instid0(VALU_DEP_2) | instskip(NEXT) | instid1(VALU_DEP_2)
	v_fmac_f64_e32 v[18:19], v[22:23], v[16:17]
	v_add_f64_e32 v[4:5], v[4:5], v[12:13]
	s_delay_alu instid0(VALU_DEP_2)
	v_add_f64_e32 v[2:3], v[2:3], v[18:19]
	s_and_not1_b32 exec_lo, exec_lo, s3
	s_cbranch_execnz .LBB111_101
; %bb.102:
	s_or_b32 exec_lo, exec_lo, s3
	v_mov_b32_e32 v8, 0
	ds_load_b128 v[8:11], v8 offset:352
	s_wait_dscnt 0x0
	v_mul_f64_e32 v[16:17], v[2:3], v[10:11]
	v_mul_f64_e32 v[12:13], v[4:5], v[10:11]
	s_delay_alu instid0(VALU_DEP_2) | instskip(NEXT) | instid1(VALU_DEP_2)
	v_fma_f64 v[10:11], v[4:5], v[8:9], -v[16:17]
	v_fmac_f64_e32 v[12:13], v[2:3], v[8:9]
	scratch_store_b128 off, v[10:13], off offset:352
.LBB111_103:
	s_wait_xcnt 0x0
	s_or_b32 exec_lo, exec_lo, s2
	s_wait_storecnt 0x0
	s_barrier_signal -1
	s_barrier_wait -1
	scratch_load_b128 v[2:5], off, s41
	s_mov_b32 s2, exec_lo
	s_wait_loadcnt 0x0
	ds_store_b128 v6, v[2:5]
	s_wait_dscnt 0x0
	s_barrier_signal -1
	s_barrier_wait -1
	v_cmpx_gt_u32_e32 23, v1
	s_cbranch_execz .LBB111_107
; %bb.104:
	v_dual_mov_b32 v10, v14 :: v_dual_add_nc_u32 v8, -1, v1
	v_mov_b64_e32 v[2:3], 0
	v_mov_b64_e32 v[4:5], 0
	v_add_nc_u32_e32 v9, 0x300, v14
	s_delay_alu instid0(VALU_DEP_4)
	v_or_b32_e32 v10, 8, v10
	s_mov_b32 s3, 0
.LBB111_105:                            ; =>This Inner Loop Header: Depth=1
	scratch_load_b128 v[16:19], v10, off offset:-8
	ds_load_b128 v[20:23], v9
	v_dual_add_nc_u32 v8, 1, v8 :: v_dual_add_nc_u32 v9, 16, v9
	s_wait_xcnt 0x0
	v_add_nc_u32_e32 v10, 16, v10
	s_delay_alu instid0(VALU_DEP_2) | instskip(SKIP_4) | instid1(VALU_DEP_2)
	v_cmp_lt_u32_e32 vcc_lo, 21, v8
	s_or_b32 s3, vcc_lo, s3
	s_wait_loadcnt_dscnt 0x0
	v_mul_f64_e32 v[12:13], v[22:23], v[18:19]
	v_mul_f64_e32 v[18:19], v[20:21], v[18:19]
	v_fma_f64 v[12:13], v[20:21], v[16:17], -v[12:13]
	s_delay_alu instid0(VALU_DEP_2) | instskip(NEXT) | instid1(VALU_DEP_2)
	v_fmac_f64_e32 v[18:19], v[22:23], v[16:17]
	v_add_f64_e32 v[4:5], v[4:5], v[12:13]
	s_delay_alu instid0(VALU_DEP_2)
	v_add_f64_e32 v[2:3], v[2:3], v[18:19]
	s_and_not1_b32 exec_lo, exec_lo, s3
	s_cbranch_execnz .LBB111_105
; %bb.106:
	s_or_b32 exec_lo, exec_lo, s3
	v_mov_b32_e32 v8, 0
	ds_load_b128 v[8:11], v8 offset:368
	s_wait_dscnt 0x0
	v_mul_f64_e32 v[16:17], v[2:3], v[10:11]
	v_mul_f64_e32 v[12:13], v[4:5], v[10:11]
	s_delay_alu instid0(VALU_DEP_2) | instskip(NEXT) | instid1(VALU_DEP_2)
	v_fma_f64 v[10:11], v[4:5], v[8:9], -v[16:17]
	v_fmac_f64_e32 v[12:13], v[2:3], v[8:9]
	scratch_store_b128 off, v[10:13], off offset:368
.LBB111_107:
	s_wait_xcnt 0x0
	s_or_b32 exec_lo, exec_lo, s2
	s_wait_storecnt 0x0
	s_barrier_signal -1
	s_barrier_wait -1
	scratch_load_b128 v[2:5], off, s40
	;; [unrolled: 54-line block ×25, first 2 shown]
	s_mov_b32 s2, exec_lo
	s_wait_loadcnt 0x0
	ds_store_b128 v6, v[2:5]
	s_wait_dscnt 0x0
	s_barrier_signal -1
	s_barrier_wait -1
	v_cmpx_ne_u32_e32 47, v1
	s_cbranch_execz .LBB111_203
; %bb.200:
	v_mov_b32_e32 v8, v14
	v_mov_b64_e32 v[2:3], 0
	v_mov_b64_e32 v[4:5], 0
	s_mov_b32 s3, 0
	s_delay_alu instid0(VALU_DEP_3)
	v_or_b32_e32 v8, 8, v8
.LBB111_201:                            ; =>This Inner Loop Header: Depth=1
	scratch_load_b128 v[10:13], v8, off offset:-8
	ds_load_b128 v[14:17], v6
	v_dual_add_nc_u32 v7, 1, v7 :: v_dual_add_nc_u32 v6, 16, v6
	s_wait_xcnt 0x0
	v_add_nc_u32_e32 v8, 16, v8
	s_delay_alu instid0(VALU_DEP_2) | instskip(SKIP_4) | instid1(VALU_DEP_2)
	v_cmp_lt_u32_e32 vcc_lo, 45, v7
	s_or_b32 s3, vcc_lo, s3
	s_wait_loadcnt_dscnt 0x0
	v_mul_f64_e32 v[18:19], v[16:17], v[12:13]
	v_mul_f64_e32 v[12:13], v[14:15], v[12:13]
	v_fma_f64 v[14:15], v[14:15], v[10:11], -v[18:19]
	s_delay_alu instid0(VALU_DEP_2) | instskip(NEXT) | instid1(VALU_DEP_2)
	v_fmac_f64_e32 v[12:13], v[16:17], v[10:11]
	v_add_f64_e32 v[4:5], v[4:5], v[14:15]
	s_delay_alu instid0(VALU_DEP_2)
	v_add_f64_e32 v[2:3], v[2:3], v[12:13]
	s_and_not1_b32 exec_lo, exec_lo, s3
	s_cbranch_execnz .LBB111_201
; %bb.202:
	s_or_b32 exec_lo, exec_lo, s3
	v_mov_b32_e32 v6, 0
	ds_load_b128 v[6:9], v6 offset:752
	s_wait_dscnt 0x0
	v_mul_f64_e32 v[12:13], v[2:3], v[8:9]
	v_mul_f64_e32 v[10:11], v[4:5], v[8:9]
	s_delay_alu instid0(VALU_DEP_2) | instskip(NEXT) | instid1(VALU_DEP_2)
	v_fma_f64 v[8:9], v[4:5], v[6:7], -v[12:13]
	v_fmac_f64_e32 v[10:11], v[2:3], v[6:7]
	scratch_store_b128 off, v[8:11], off offset:752
.LBB111_203:
	s_wait_xcnt 0x0
	s_or_b32 exec_lo, exec_lo, s2
	s_mov_b32 s3, -1
	s_wait_storecnt 0x0
	s_barrier_signal -1
	s_barrier_wait -1
.LBB111_204:
	s_and_b32 vcc_lo, exec_lo, s3
	s_cbranch_vccz .LBB111_206
; %bb.205:
	s_wait_xcnt 0x0
	v_mov_b32_e32 v2, 0
	s_lshl_b64 s[2:3], s[10:11], 2
	s_delay_alu instid0(SALU_CYCLE_1)
	s_add_nc_u64 s[2:3], s[6:7], s[2:3]
	global_load_b32 v2, v2, s[2:3]
	s_wait_loadcnt 0x0
	v_cmp_ne_u32_e32 vcc_lo, 0, v2
	s_cbranch_vccz .LBB111_207
.LBB111_206:
	s_sendmsg sendmsg(MSG_DEALLOC_VGPRS)
	s_endpgm
.LBB111_207:
	v_lshl_add_u32 v120, v1, 4, 0x300
	s_wait_xcnt 0x0
	s_mov_b32 s2, exec_lo
	v_cmpx_eq_u32_e32 47, v1
	s_cbranch_execz .LBB111_209
; %bb.208:
	scratch_load_b128 v[2:5], off, s15
	v_mov_b32_e32 v6, 0
	s_delay_alu instid0(VALU_DEP_1)
	v_dual_mov_b32 v7, v6 :: v_dual_mov_b32 v8, v6
	v_mov_b32_e32 v9, v6
	scratch_store_b128 off, v[6:9], off offset:736
	s_wait_loadcnt 0x0
	ds_store_b128 v120, v[2:5]
.LBB111_209:
	s_wait_xcnt 0x0
	s_or_b32 exec_lo, exec_lo, s2
	s_wait_storecnt_dscnt 0x0
	s_barrier_signal -1
	s_barrier_wait -1
	s_clause 0x1
	scratch_load_b128 v[4:7], off, off offset:752
	scratch_load_b128 v[8:11], off, off offset:736
	v_mov_b32_e32 v2, 0
	s_mov_b32 s2, exec_lo
	ds_load_b128 v[12:15], v2 offset:1520
	s_wait_loadcnt_dscnt 0x100
	v_mul_f64_e32 v[16:17], v[14:15], v[6:7]
	v_mul_f64_e32 v[6:7], v[12:13], v[6:7]
	s_delay_alu instid0(VALU_DEP_2) | instskip(NEXT) | instid1(VALU_DEP_2)
	v_fma_f64 v[12:13], v[12:13], v[4:5], -v[16:17]
	v_fmac_f64_e32 v[6:7], v[14:15], v[4:5]
	s_delay_alu instid0(VALU_DEP_2) | instskip(NEXT) | instid1(VALU_DEP_2)
	v_add_f64_e32 v[4:5], 0, v[12:13]
	v_add_f64_e32 v[6:7], 0, v[6:7]
	s_wait_loadcnt 0x0
	s_delay_alu instid0(VALU_DEP_2) | instskip(NEXT) | instid1(VALU_DEP_2)
	v_add_f64_e64 v[4:5], v[8:9], -v[4:5]
	v_add_f64_e64 v[6:7], v[10:11], -v[6:7]
	scratch_store_b128 off, v[4:7], off offset:736
	s_wait_xcnt 0x0
	v_cmpx_lt_u32_e32 45, v1
	s_cbranch_execz .LBB111_211
; %bb.210:
	scratch_load_b128 v[6:9], off, s17
	v_dual_mov_b32 v3, v2 :: v_dual_mov_b32 v4, v2
	v_mov_b32_e32 v5, v2
	scratch_store_b128 off, v[2:5], off offset:720
	s_wait_loadcnt 0x0
	ds_store_b128 v120, v[6:9]
.LBB111_211:
	s_wait_xcnt 0x0
	s_or_b32 exec_lo, exec_lo, s2
	s_wait_storecnt_dscnt 0x0
	s_barrier_signal -1
	s_barrier_wait -1
	s_clause 0x2
	scratch_load_b128 v[4:7], off, off offset:736
	scratch_load_b128 v[8:11], off, off offset:752
	;; [unrolled: 1-line block ×3, first 2 shown]
	ds_load_b128 v[16:19], v2 offset:1504
	ds_load_b128 v[20:23], v2 offset:1520
	s_mov_b32 s2, exec_lo
	s_wait_loadcnt_dscnt 0x201
	v_mul_f64_e32 v[2:3], v[18:19], v[6:7]
	v_mul_f64_e32 v[6:7], v[16:17], v[6:7]
	s_wait_loadcnt_dscnt 0x100
	v_mul_f64_e32 v[122:123], v[20:21], v[10:11]
	v_mul_f64_e32 v[10:11], v[22:23], v[10:11]
	s_delay_alu instid0(VALU_DEP_4) | instskip(NEXT) | instid1(VALU_DEP_4)
	v_fma_f64 v[2:3], v[16:17], v[4:5], -v[2:3]
	v_fmac_f64_e32 v[6:7], v[18:19], v[4:5]
	s_delay_alu instid0(VALU_DEP_4) | instskip(NEXT) | instid1(VALU_DEP_4)
	v_fmac_f64_e32 v[122:123], v[22:23], v[8:9]
	v_fma_f64 v[4:5], v[20:21], v[8:9], -v[10:11]
	s_delay_alu instid0(VALU_DEP_4) | instskip(NEXT) | instid1(VALU_DEP_4)
	v_add_f64_e32 v[2:3], 0, v[2:3]
	v_add_f64_e32 v[6:7], 0, v[6:7]
	s_delay_alu instid0(VALU_DEP_2) | instskip(NEXT) | instid1(VALU_DEP_2)
	v_add_f64_e32 v[2:3], v[2:3], v[4:5]
	v_add_f64_e32 v[4:5], v[6:7], v[122:123]
	s_wait_loadcnt 0x0
	s_delay_alu instid0(VALU_DEP_2) | instskip(NEXT) | instid1(VALU_DEP_2)
	v_add_f64_e64 v[2:3], v[12:13], -v[2:3]
	v_add_f64_e64 v[4:5], v[14:15], -v[4:5]
	scratch_store_b128 off, v[2:5], off offset:720
	s_wait_xcnt 0x0
	v_cmpx_lt_u32_e32 44, v1
	s_cbranch_execz .LBB111_213
; %bb.212:
	scratch_load_b128 v[2:5], off, s19
	v_mov_b32_e32 v6, 0
	s_delay_alu instid0(VALU_DEP_1)
	v_dual_mov_b32 v7, v6 :: v_dual_mov_b32 v8, v6
	v_mov_b32_e32 v9, v6
	scratch_store_b128 off, v[6:9], off offset:704
	s_wait_loadcnt 0x0
	ds_store_b128 v120, v[2:5]
.LBB111_213:
	s_wait_xcnt 0x0
	s_or_b32 exec_lo, exec_lo, s2
	s_wait_storecnt_dscnt 0x0
	s_barrier_signal -1
	s_barrier_wait -1
	s_clause 0x3
	scratch_load_b128 v[4:7], off, off offset:720
	scratch_load_b128 v[8:11], off, off offset:736
	;; [unrolled: 1-line block ×4, first 2 shown]
	v_mov_b32_e32 v2, 0
	ds_load_b128 v[20:23], v2 offset:1488
	ds_load_b128 v[122:125], v2 offset:1504
	s_mov_b32 s2, exec_lo
	s_wait_loadcnt_dscnt 0x301
	v_mul_f64_e32 v[126:127], v[22:23], v[6:7]
	v_mul_f64_e32 v[128:129], v[20:21], v[6:7]
	s_wait_loadcnt_dscnt 0x200
	v_mul_f64_e32 v[130:131], v[122:123], v[10:11]
	v_mul_f64_e32 v[10:11], v[124:125], v[10:11]
	s_delay_alu instid0(VALU_DEP_4) | instskip(NEXT) | instid1(VALU_DEP_4)
	v_fma_f64 v[20:21], v[20:21], v[4:5], -v[126:127]
	v_fmac_f64_e32 v[128:129], v[22:23], v[4:5]
	ds_load_b128 v[4:7], v2 offset:1520
	v_fmac_f64_e32 v[130:131], v[124:125], v[8:9]
	v_fma_f64 v[8:9], v[122:123], v[8:9], -v[10:11]
	s_wait_loadcnt_dscnt 0x100
	v_mul_f64_e32 v[22:23], v[4:5], v[14:15]
	v_mul_f64_e32 v[14:15], v[6:7], v[14:15]
	v_add_f64_e32 v[10:11], 0, v[20:21]
	v_add_f64_e32 v[20:21], 0, v[128:129]
	s_delay_alu instid0(VALU_DEP_4) | instskip(NEXT) | instid1(VALU_DEP_4)
	v_fmac_f64_e32 v[22:23], v[6:7], v[12:13]
	v_fma_f64 v[4:5], v[4:5], v[12:13], -v[14:15]
	s_delay_alu instid0(VALU_DEP_4) | instskip(NEXT) | instid1(VALU_DEP_4)
	v_add_f64_e32 v[6:7], v[10:11], v[8:9]
	v_add_f64_e32 v[8:9], v[20:21], v[130:131]
	s_delay_alu instid0(VALU_DEP_2) | instskip(NEXT) | instid1(VALU_DEP_2)
	v_add_f64_e32 v[4:5], v[6:7], v[4:5]
	v_add_f64_e32 v[6:7], v[8:9], v[22:23]
	s_wait_loadcnt 0x0
	s_delay_alu instid0(VALU_DEP_2) | instskip(NEXT) | instid1(VALU_DEP_2)
	v_add_f64_e64 v[4:5], v[16:17], -v[4:5]
	v_add_f64_e64 v[6:7], v[18:19], -v[6:7]
	scratch_store_b128 off, v[4:7], off offset:704
	s_wait_xcnt 0x0
	v_cmpx_lt_u32_e32 43, v1
	s_cbranch_execz .LBB111_215
; %bb.214:
	scratch_load_b128 v[6:9], off, s20
	v_dual_mov_b32 v3, v2 :: v_dual_mov_b32 v4, v2
	v_mov_b32_e32 v5, v2
	scratch_store_b128 off, v[2:5], off offset:688
	s_wait_loadcnt 0x0
	ds_store_b128 v120, v[6:9]
.LBB111_215:
	s_wait_xcnt 0x0
	s_or_b32 exec_lo, exec_lo, s2
	s_wait_storecnt_dscnt 0x0
	s_barrier_signal -1
	s_barrier_wait -1
	s_clause 0x4
	scratch_load_b128 v[4:7], off, off offset:704
	scratch_load_b128 v[8:11], off, off offset:720
	;; [unrolled: 1-line block ×5, first 2 shown]
	ds_load_b128 v[122:125], v2 offset:1472
	ds_load_b128 v[126:129], v2 offset:1488
	s_mov_b32 s2, exec_lo
	s_wait_loadcnt_dscnt 0x401
	v_mul_f64_e32 v[130:131], v[124:125], v[6:7]
	v_mul_f64_e32 v[132:133], v[122:123], v[6:7]
	s_wait_loadcnt_dscnt 0x300
	v_mul_f64_e32 v[134:135], v[126:127], v[10:11]
	v_mul_f64_e32 v[10:11], v[128:129], v[10:11]
	s_delay_alu instid0(VALU_DEP_4) | instskip(NEXT) | instid1(VALU_DEP_4)
	v_fma_f64 v[130:131], v[122:123], v[4:5], -v[130:131]
	v_fmac_f64_e32 v[132:133], v[124:125], v[4:5]
	ds_load_b128 v[4:7], v2 offset:1504
	ds_load_b128 v[122:125], v2 offset:1520
	v_fmac_f64_e32 v[134:135], v[128:129], v[8:9]
	v_fma_f64 v[8:9], v[126:127], v[8:9], -v[10:11]
	s_wait_loadcnt_dscnt 0x201
	v_mul_f64_e32 v[2:3], v[4:5], v[14:15]
	v_mul_f64_e32 v[14:15], v[6:7], v[14:15]
	s_wait_loadcnt_dscnt 0x100
	v_mul_f64_e32 v[128:129], v[122:123], v[18:19]
	v_mul_f64_e32 v[18:19], v[124:125], v[18:19]
	v_add_f64_e32 v[10:11], 0, v[130:131]
	v_add_f64_e32 v[126:127], 0, v[132:133]
	v_fmac_f64_e32 v[2:3], v[6:7], v[12:13]
	v_fma_f64 v[4:5], v[4:5], v[12:13], -v[14:15]
	v_fmac_f64_e32 v[128:129], v[124:125], v[16:17]
	v_add_f64_e32 v[6:7], v[10:11], v[8:9]
	v_add_f64_e32 v[8:9], v[126:127], v[134:135]
	v_fma_f64 v[10:11], v[122:123], v[16:17], -v[18:19]
	s_delay_alu instid0(VALU_DEP_3) | instskip(NEXT) | instid1(VALU_DEP_3)
	v_add_f64_e32 v[4:5], v[6:7], v[4:5]
	v_add_f64_e32 v[2:3], v[8:9], v[2:3]
	s_delay_alu instid0(VALU_DEP_2) | instskip(NEXT) | instid1(VALU_DEP_2)
	v_add_f64_e32 v[4:5], v[4:5], v[10:11]
	v_add_f64_e32 v[6:7], v[2:3], v[128:129]
	s_wait_loadcnt 0x0
	s_delay_alu instid0(VALU_DEP_2) | instskip(NEXT) | instid1(VALU_DEP_2)
	v_add_f64_e64 v[2:3], v[20:21], -v[4:5]
	v_add_f64_e64 v[4:5], v[22:23], -v[6:7]
	scratch_store_b128 off, v[2:5], off offset:688
	s_wait_xcnt 0x0
	v_cmpx_lt_u32_e32 42, v1
	s_cbranch_execz .LBB111_217
; %bb.216:
	scratch_load_b128 v[2:5], off, s21
	v_mov_b32_e32 v6, 0
	s_delay_alu instid0(VALU_DEP_1)
	v_dual_mov_b32 v7, v6 :: v_dual_mov_b32 v8, v6
	v_mov_b32_e32 v9, v6
	scratch_store_b128 off, v[6:9], off offset:672
	s_wait_loadcnt 0x0
	ds_store_b128 v120, v[2:5]
.LBB111_217:
	s_wait_xcnt 0x0
	s_or_b32 exec_lo, exec_lo, s2
	s_wait_storecnt_dscnt 0x0
	s_barrier_signal -1
	s_barrier_wait -1
	s_clause 0x5
	scratch_load_b128 v[4:7], off, off offset:688
	scratch_load_b128 v[8:11], off, off offset:704
	;; [unrolled: 1-line block ×6, first 2 shown]
	v_mov_b32_e32 v2, 0
	ds_load_b128 v[126:129], v2 offset:1456
	ds_load_b128 v[130:133], v2 offset:1472
	s_mov_b32 s2, exec_lo
	s_wait_loadcnt_dscnt 0x501
	v_mul_f64_e32 v[134:135], v[128:129], v[6:7]
	v_mul_f64_e32 v[136:137], v[126:127], v[6:7]
	s_wait_loadcnt_dscnt 0x400
	v_mul_f64_e32 v[138:139], v[130:131], v[10:11]
	v_mul_f64_e32 v[10:11], v[132:133], v[10:11]
	s_delay_alu instid0(VALU_DEP_4) | instskip(NEXT) | instid1(VALU_DEP_4)
	v_fma_f64 v[134:135], v[126:127], v[4:5], -v[134:135]
	v_fmac_f64_e32 v[136:137], v[128:129], v[4:5]
	ds_load_b128 v[4:7], v2 offset:1488
	ds_load_b128 v[126:129], v2 offset:1504
	v_fmac_f64_e32 v[138:139], v[132:133], v[8:9]
	v_fma_f64 v[8:9], v[130:131], v[8:9], -v[10:11]
	s_wait_loadcnt_dscnt 0x301
	v_mul_f64_e32 v[140:141], v[4:5], v[14:15]
	v_mul_f64_e32 v[14:15], v[6:7], v[14:15]
	s_wait_loadcnt_dscnt 0x200
	v_mul_f64_e32 v[132:133], v[126:127], v[18:19]
	v_mul_f64_e32 v[18:19], v[128:129], v[18:19]
	v_add_f64_e32 v[10:11], 0, v[134:135]
	v_add_f64_e32 v[130:131], 0, v[136:137]
	v_fmac_f64_e32 v[140:141], v[6:7], v[12:13]
	v_fma_f64 v[12:13], v[4:5], v[12:13], -v[14:15]
	ds_load_b128 v[4:7], v2 offset:1520
	v_fmac_f64_e32 v[132:133], v[128:129], v[16:17]
	v_fma_f64 v[16:17], v[126:127], v[16:17], -v[18:19]
	v_add_f64_e32 v[8:9], v[10:11], v[8:9]
	v_add_f64_e32 v[10:11], v[130:131], v[138:139]
	s_wait_loadcnt_dscnt 0x100
	v_mul_f64_e32 v[14:15], v[4:5], v[22:23]
	v_mul_f64_e32 v[22:23], v[6:7], v[22:23]
	s_delay_alu instid0(VALU_DEP_4) | instskip(NEXT) | instid1(VALU_DEP_4)
	v_add_f64_e32 v[8:9], v[8:9], v[12:13]
	v_add_f64_e32 v[10:11], v[10:11], v[140:141]
	s_delay_alu instid0(VALU_DEP_4) | instskip(NEXT) | instid1(VALU_DEP_4)
	v_fmac_f64_e32 v[14:15], v[6:7], v[20:21]
	v_fma_f64 v[4:5], v[4:5], v[20:21], -v[22:23]
	s_delay_alu instid0(VALU_DEP_4) | instskip(NEXT) | instid1(VALU_DEP_4)
	v_add_f64_e32 v[6:7], v[8:9], v[16:17]
	v_add_f64_e32 v[8:9], v[10:11], v[132:133]
	s_delay_alu instid0(VALU_DEP_2) | instskip(NEXT) | instid1(VALU_DEP_2)
	v_add_f64_e32 v[4:5], v[6:7], v[4:5]
	v_add_f64_e32 v[6:7], v[8:9], v[14:15]
	s_wait_loadcnt 0x0
	s_delay_alu instid0(VALU_DEP_2) | instskip(NEXT) | instid1(VALU_DEP_2)
	v_add_f64_e64 v[4:5], v[122:123], -v[4:5]
	v_add_f64_e64 v[6:7], v[124:125], -v[6:7]
	scratch_store_b128 off, v[4:7], off offset:672
	s_wait_xcnt 0x0
	v_cmpx_lt_u32_e32 41, v1
	s_cbranch_execz .LBB111_219
; %bb.218:
	scratch_load_b128 v[6:9], off, s22
	v_dual_mov_b32 v3, v2 :: v_dual_mov_b32 v4, v2
	v_mov_b32_e32 v5, v2
	scratch_store_b128 off, v[2:5], off offset:656
	s_wait_loadcnt 0x0
	ds_store_b128 v120, v[6:9]
.LBB111_219:
	s_wait_xcnt 0x0
	s_or_b32 exec_lo, exec_lo, s2
	s_wait_storecnt_dscnt 0x0
	s_barrier_signal -1
	s_barrier_wait -1
	s_clause 0x6
	scratch_load_b128 v[4:7], off, off offset:672
	scratch_load_b128 v[8:11], off, off offset:688
	;; [unrolled: 1-line block ×7, first 2 shown]
	ds_load_b128 v[130:133], v2 offset:1440
	ds_load_b128 v[134:137], v2 offset:1456
	s_mov_b32 s2, exec_lo
	s_wait_loadcnt_dscnt 0x601
	v_mul_f64_e32 v[138:139], v[132:133], v[6:7]
	v_mul_f64_e32 v[140:141], v[130:131], v[6:7]
	s_wait_loadcnt_dscnt 0x500
	v_mul_f64_e32 v[142:143], v[134:135], v[10:11]
	v_mul_f64_e32 v[10:11], v[136:137], v[10:11]
	s_delay_alu instid0(VALU_DEP_4) | instskip(NEXT) | instid1(VALU_DEP_4)
	v_fma_f64 v[138:139], v[130:131], v[4:5], -v[138:139]
	v_fmac_f64_e32 v[140:141], v[132:133], v[4:5]
	ds_load_b128 v[4:7], v2 offset:1472
	ds_load_b128 v[130:133], v2 offset:1488
	v_fmac_f64_e32 v[142:143], v[136:137], v[8:9]
	v_fma_f64 v[8:9], v[134:135], v[8:9], -v[10:11]
	s_wait_loadcnt_dscnt 0x401
	v_mul_f64_e32 v[144:145], v[4:5], v[14:15]
	v_mul_f64_e32 v[14:15], v[6:7], v[14:15]
	s_wait_loadcnt_dscnt 0x300
	v_mul_f64_e32 v[136:137], v[130:131], v[18:19]
	v_mul_f64_e32 v[18:19], v[132:133], v[18:19]
	v_add_f64_e32 v[10:11], 0, v[138:139]
	v_add_f64_e32 v[134:135], 0, v[140:141]
	v_fmac_f64_e32 v[144:145], v[6:7], v[12:13]
	v_fma_f64 v[12:13], v[4:5], v[12:13], -v[14:15]
	v_fmac_f64_e32 v[136:137], v[132:133], v[16:17]
	v_fma_f64 v[16:17], v[130:131], v[16:17], -v[18:19]
	v_add_f64_e32 v[14:15], v[10:11], v[8:9]
	v_add_f64_e32 v[134:135], v[134:135], v[142:143]
	ds_load_b128 v[4:7], v2 offset:1504
	ds_load_b128 v[8:11], v2 offset:1520
	s_wait_loadcnt_dscnt 0x201
	v_mul_f64_e32 v[2:3], v[4:5], v[22:23]
	v_mul_f64_e32 v[22:23], v[6:7], v[22:23]
	s_wait_loadcnt_dscnt 0x100
	v_mul_f64_e32 v[18:19], v[8:9], v[124:125]
	v_mul_f64_e32 v[124:125], v[10:11], v[124:125]
	v_add_f64_e32 v[12:13], v[14:15], v[12:13]
	v_add_f64_e32 v[14:15], v[134:135], v[144:145]
	v_fmac_f64_e32 v[2:3], v[6:7], v[20:21]
	v_fma_f64 v[4:5], v[4:5], v[20:21], -v[22:23]
	v_fmac_f64_e32 v[18:19], v[10:11], v[122:123]
	v_fma_f64 v[8:9], v[8:9], v[122:123], -v[124:125]
	v_add_f64_e32 v[6:7], v[12:13], v[16:17]
	v_add_f64_e32 v[12:13], v[14:15], v[136:137]
	s_delay_alu instid0(VALU_DEP_2) | instskip(NEXT) | instid1(VALU_DEP_2)
	v_add_f64_e32 v[4:5], v[6:7], v[4:5]
	v_add_f64_e32 v[2:3], v[12:13], v[2:3]
	s_delay_alu instid0(VALU_DEP_2) | instskip(NEXT) | instid1(VALU_DEP_2)
	v_add_f64_e32 v[4:5], v[4:5], v[8:9]
	v_add_f64_e32 v[6:7], v[2:3], v[18:19]
	s_wait_loadcnt 0x0
	s_delay_alu instid0(VALU_DEP_2) | instskip(NEXT) | instid1(VALU_DEP_2)
	v_add_f64_e64 v[2:3], v[126:127], -v[4:5]
	v_add_f64_e64 v[4:5], v[128:129], -v[6:7]
	scratch_store_b128 off, v[2:5], off offset:656
	s_wait_xcnt 0x0
	v_cmpx_lt_u32_e32 40, v1
	s_cbranch_execz .LBB111_221
; %bb.220:
	scratch_load_b128 v[2:5], off, s23
	v_mov_b32_e32 v6, 0
	s_delay_alu instid0(VALU_DEP_1)
	v_dual_mov_b32 v7, v6 :: v_dual_mov_b32 v8, v6
	v_mov_b32_e32 v9, v6
	scratch_store_b128 off, v[6:9], off offset:640
	s_wait_loadcnt 0x0
	ds_store_b128 v120, v[2:5]
.LBB111_221:
	s_wait_xcnt 0x0
	s_or_b32 exec_lo, exec_lo, s2
	s_wait_storecnt_dscnt 0x0
	s_barrier_signal -1
	s_barrier_wait -1
	s_clause 0x7
	scratch_load_b128 v[4:7], off, off offset:656
	scratch_load_b128 v[8:11], off, off offset:672
	;; [unrolled: 1-line block ×8, first 2 shown]
	v_mov_b32_e32 v2, 0
	ds_load_b128 v[134:137], v2 offset:1424
	ds_load_b128 v[138:141], v2 offset:1440
	s_mov_b32 s2, exec_lo
	s_wait_loadcnt_dscnt 0x701
	v_mul_f64_e32 v[142:143], v[136:137], v[6:7]
	v_mul_f64_e32 v[144:145], v[134:135], v[6:7]
	s_wait_loadcnt_dscnt 0x600
	v_mul_f64_e32 v[146:147], v[138:139], v[10:11]
	v_mul_f64_e32 v[10:11], v[140:141], v[10:11]
	s_delay_alu instid0(VALU_DEP_4) | instskip(NEXT) | instid1(VALU_DEP_4)
	v_fma_f64 v[142:143], v[134:135], v[4:5], -v[142:143]
	v_fmac_f64_e32 v[144:145], v[136:137], v[4:5]
	ds_load_b128 v[4:7], v2 offset:1456
	ds_load_b128 v[134:137], v2 offset:1472
	v_fmac_f64_e32 v[146:147], v[140:141], v[8:9]
	v_fma_f64 v[8:9], v[138:139], v[8:9], -v[10:11]
	s_wait_loadcnt_dscnt 0x501
	v_mul_f64_e32 v[148:149], v[4:5], v[14:15]
	v_mul_f64_e32 v[14:15], v[6:7], v[14:15]
	s_wait_loadcnt_dscnt 0x400
	v_mul_f64_e32 v[140:141], v[134:135], v[18:19]
	v_mul_f64_e32 v[18:19], v[136:137], v[18:19]
	v_add_f64_e32 v[10:11], 0, v[142:143]
	v_add_f64_e32 v[138:139], 0, v[144:145]
	v_fmac_f64_e32 v[148:149], v[6:7], v[12:13]
	v_fma_f64 v[12:13], v[4:5], v[12:13], -v[14:15]
	v_fmac_f64_e32 v[140:141], v[136:137], v[16:17]
	v_fma_f64 v[16:17], v[134:135], v[16:17], -v[18:19]
	v_add_f64_e32 v[14:15], v[10:11], v[8:9]
	v_add_f64_e32 v[138:139], v[138:139], v[146:147]
	ds_load_b128 v[4:7], v2 offset:1488
	ds_load_b128 v[8:11], v2 offset:1504
	s_wait_loadcnt_dscnt 0x301
	v_mul_f64_e32 v[142:143], v[4:5], v[22:23]
	v_mul_f64_e32 v[22:23], v[6:7], v[22:23]
	s_wait_loadcnt_dscnt 0x200
	v_mul_f64_e32 v[18:19], v[8:9], v[124:125]
	v_mul_f64_e32 v[124:125], v[10:11], v[124:125]
	v_add_f64_e32 v[12:13], v[14:15], v[12:13]
	v_add_f64_e32 v[14:15], v[138:139], v[148:149]
	v_fmac_f64_e32 v[142:143], v[6:7], v[20:21]
	v_fma_f64 v[20:21], v[4:5], v[20:21], -v[22:23]
	ds_load_b128 v[4:7], v2 offset:1520
	v_fmac_f64_e32 v[18:19], v[10:11], v[122:123]
	v_fma_f64 v[8:9], v[8:9], v[122:123], -v[124:125]
	v_add_f64_e32 v[12:13], v[12:13], v[16:17]
	v_add_f64_e32 v[14:15], v[14:15], v[140:141]
	s_wait_loadcnt_dscnt 0x100
	v_mul_f64_e32 v[16:17], v[4:5], v[128:129]
	v_mul_f64_e32 v[22:23], v[6:7], v[128:129]
	s_delay_alu instid0(VALU_DEP_4) | instskip(NEXT) | instid1(VALU_DEP_4)
	v_add_f64_e32 v[10:11], v[12:13], v[20:21]
	v_add_f64_e32 v[12:13], v[14:15], v[142:143]
	s_delay_alu instid0(VALU_DEP_4) | instskip(NEXT) | instid1(VALU_DEP_4)
	v_fmac_f64_e32 v[16:17], v[6:7], v[126:127]
	v_fma_f64 v[4:5], v[4:5], v[126:127], -v[22:23]
	s_delay_alu instid0(VALU_DEP_4) | instskip(NEXT) | instid1(VALU_DEP_4)
	v_add_f64_e32 v[6:7], v[10:11], v[8:9]
	v_add_f64_e32 v[8:9], v[12:13], v[18:19]
	s_delay_alu instid0(VALU_DEP_2) | instskip(NEXT) | instid1(VALU_DEP_2)
	v_add_f64_e32 v[4:5], v[6:7], v[4:5]
	v_add_f64_e32 v[6:7], v[8:9], v[16:17]
	s_wait_loadcnt 0x0
	s_delay_alu instid0(VALU_DEP_2) | instskip(NEXT) | instid1(VALU_DEP_2)
	v_add_f64_e64 v[4:5], v[130:131], -v[4:5]
	v_add_f64_e64 v[6:7], v[132:133], -v[6:7]
	scratch_store_b128 off, v[4:7], off offset:640
	s_wait_xcnt 0x0
	v_cmpx_lt_u32_e32 39, v1
	s_cbranch_execz .LBB111_223
; %bb.222:
	scratch_load_b128 v[6:9], off, s24
	v_dual_mov_b32 v3, v2 :: v_dual_mov_b32 v4, v2
	v_mov_b32_e32 v5, v2
	scratch_store_b128 off, v[2:5], off offset:624
	s_wait_loadcnt 0x0
	ds_store_b128 v120, v[6:9]
.LBB111_223:
	s_wait_xcnt 0x0
	s_or_b32 exec_lo, exec_lo, s2
	s_wait_storecnt_dscnt 0x0
	s_barrier_signal -1
	s_barrier_wait -1
	s_clause 0x7
	scratch_load_b128 v[4:7], off, off offset:640
	scratch_load_b128 v[8:11], off, off offset:656
	;; [unrolled: 1-line block ×8, first 2 shown]
	ds_load_b128 v[134:137], v2 offset:1408
	ds_load_b128 v[138:141], v2 offset:1424
	scratch_load_b128 v[142:145], off, off offset:624
	s_mov_b32 s2, exec_lo
	s_wait_loadcnt_dscnt 0x801
	v_mul_f64_e32 v[146:147], v[136:137], v[6:7]
	v_mul_f64_e32 v[148:149], v[134:135], v[6:7]
	s_wait_loadcnt_dscnt 0x700
	v_mul_f64_e32 v[150:151], v[138:139], v[10:11]
	v_mul_f64_e32 v[10:11], v[140:141], v[10:11]
	s_delay_alu instid0(VALU_DEP_4) | instskip(NEXT) | instid1(VALU_DEP_4)
	v_fma_f64 v[146:147], v[134:135], v[4:5], -v[146:147]
	v_fmac_f64_e32 v[148:149], v[136:137], v[4:5]
	ds_load_b128 v[4:7], v2 offset:1440
	ds_load_b128 v[134:137], v2 offset:1456
	v_fmac_f64_e32 v[150:151], v[140:141], v[8:9]
	v_fma_f64 v[8:9], v[138:139], v[8:9], -v[10:11]
	s_wait_loadcnt_dscnt 0x601
	v_mul_f64_e32 v[152:153], v[4:5], v[14:15]
	v_mul_f64_e32 v[14:15], v[6:7], v[14:15]
	s_wait_loadcnt_dscnt 0x500
	v_mul_f64_e32 v[140:141], v[134:135], v[18:19]
	v_mul_f64_e32 v[18:19], v[136:137], v[18:19]
	v_add_f64_e32 v[10:11], 0, v[146:147]
	v_add_f64_e32 v[138:139], 0, v[148:149]
	v_fmac_f64_e32 v[152:153], v[6:7], v[12:13]
	v_fma_f64 v[12:13], v[4:5], v[12:13], -v[14:15]
	v_fmac_f64_e32 v[140:141], v[136:137], v[16:17]
	v_fma_f64 v[16:17], v[134:135], v[16:17], -v[18:19]
	v_add_f64_e32 v[14:15], v[10:11], v[8:9]
	v_add_f64_e32 v[138:139], v[138:139], v[150:151]
	ds_load_b128 v[4:7], v2 offset:1472
	ds_load_b128 v[8:11], v2 offset:1488
	s_wait_loadcnt_dscnt 0x401
	v_mul_f64_e32 v[146:147], v[4:5], v[22:23]
	v_mul_f64_e32 v[22:23], v[6:7], v[22:23]
	s_wait_loadcnt_dscnt 0x300
	v_mul_f64_e32 v[18:19], v[8:9], v[124:125]
	v_mul_f64_e32 v[124:125], v[10:11], v[124:125]
	v_add_f64_e32 v[12:13], v[14:15], v[12:13]
	v_add_f64_e32 v[14:15], v[138:139], v[152:153]
	v_fmac_f64_e32 v[146:147], v[6:7], v[20:21]
	v_fma_f64 v[20:21], v[4:5], v[20:21], -v[22:23]
	v_fmac_f64_e32 v[18:19], v[10:11], v[122:123]
	v_fma_f64 v[8:9], v[8:9], v[122:123], -v[124:125]
	v_add_f64_e32 v[16:17], v[12:13], v[16:17]
	v_add_f64_e32 v[22:23], v[14:15], v[140:141]
	ds_load_b128 v[4:7], v2 offset:1504
	ds_load_b128 v[12:15], v2 offset:1520
	s_wait_loadcnt_dscnt 0x201
	v_mul_f64_e32 v[2:3], v[4:5], v[128:129]
	v_mul_f64_e32 v[128:129], v[6:7], v[128:129]
	v_add_f64_e32 v[10:11], v[16:17], v[20:21]
	v_add_f64_e32 v[16:17], v[22:23], v[146:147]
	s_wait_loadcnt_dscnt 0x100
	v_mul_f64_e32 v[20:21], v[12:13], v[132:133]
	v_mul_f64_e32 v[22:23], v[14:15], v[132:133]
	v_fmac_f64_e32 v[2:3], v[6:7], v[126:127]
	v_fma_f64 v[4:5], v[4:5], v[126:127], -v[128:129]
	v_add_f64_e32 v[6:7], v[10:11], v[8:9]
	v_add_f64_e32 v[8:9], v[16:17], v[18:19]
	v_fmac_f64_e32 v[20:21], v[14:15], v[130:131]
	v_fma_f64 v[10:11], v[12:13], v[130:131], -v[22:23]
	s_delay_alu instid0(VALU_DEP_4) | instskip(NEXT) | instid1(VALU_DEP_4)
	v_add_f64_e32 v[4:5], v[6:7], v[4:5]
	v_add_f64_e32 v[2:3], v[8:9], v[2:3]
	s_delay_alu instid0(VALU_DEP_2) | instskip(NEXT) | instid1(VALU_DEP_2)
	v_add_f64_e32 v[4:5], v[4:5], v[10:11]
	v_add_f64_e32 v[6:7], v[2:3], v[20:21]
	s_wait_loadcnt 0x0
	s_delay_alu instid0(VALU_DEP_2) | instskip(NEXT) | instid1(VALU_DEP_2)
	v_add_f64_e64 v[2:3], v[142:143], -v[4:5]
	v_add_f64_e64 v[4:5], v[144:145], -v[6:7]
	scratch_store_b128 off, v[2:5], off offset:624
	s_wait_xcnt 0x0
	v_cmpx_lt_u32_e32 38, v1
	s_cbranch_execz .LBB111_225
; %bb.224:
	scratch_load_b128 v[2:5], off, s25
	v_mov_b32_e32 v6, 0
	s_delay_alu instid0(VALU_DEP_1)
	v_dual_mov_b32 v7, v6 :: v_dual_mov_b32 v8, v6
	v_mov_b32_e32 v9, v6
	scratch_store_b128 off, v[6:9], off offset:608
	s_wait_loadcnt 0x0
	ds_store_b128 v120, v[2:5]
.LBB111_225:
	s_wait_xcnt 0x0
	s_or_b32 exec_lo, exec_lo, s2
	s_wait_storecnt_dscnt 0x0
	s_barrier_signal -1
	s_barrier_wait -1
	s_clause 0x8
	scratch_load_b128 v[4:7], off, off offset:624
	scratch_load_b128 v[8:11], off, off offset:640
	scratch_load_b128 v[12:15], off, off offset:656
	scratch_load_b128 v[16:19], off, off offset:672
	scratch_load_b128 v[20:23], off, off offset:688
	scratch_load_b128 v[122:125], off, off offset:704
	scratch_load_b128 v[126:129], off, off offset:720
	scratch_load_b128 v[130:133], off, off offset:736
	scratch_load_b128 v[134:137], off, off offset:752
	v_mov_b32_e32 v2, 0
	scratch_load_b128 v[142:145], off, off offset:608
	s_mov_b32 s2, exec_lo
	ds_load_b128 v[138:141], v2 offset:1392
	ds_load_b128 v[146:149], v2 offset:1408
	s_wait_loadcnt_dscnt 0x901
	v_mul_f64_e32 v[150:151], v[140:141], v[6:7]
	v_mul_f64_e32 v[152:153], v[138:139], v[6:7]
	s_wait_loadcnt_dscnt 0x800
	v_mul_f64_e32 v[154:155], v[146:147], v[10:11]
	v_mul_f64_e32 v[10:11], v[148:149], v[10:11]
	s_delay_alu instid0(VALU_DEP_4) | instskip(NEXT) | instid1(VALU_DEP_4)
	v_fma_f64 v[150:151], v[138:139], v[4:5], -v[150:151]
	v_fmac_f64_e32 v[152:153], v[140:141], v[4:5]
	ds_load_b128 v[4:7], v2 offset:1424
	ds_load_b128 v[138:141], v2 offset:1440
	v_fmac_f64_e32 v[154:155], v[148:149], v[8:9]
	v_fma_f64 v[8:9], v[146:147], v[8:9], -v[10:11]
	s_wait_loadcnt_dscnt 0x701
	v_mul_f64_e32 v[156:157], v[4:5], v[14:15]
	v_mul_f64_e32 v[14:15], v[6:7], v[14:15]
	s_wait_loadcnt_dscnt 0x600
	v_mul_f64_e32 v[148:149], v[138:139], v[18:19]
	v_mul_f64_e32 v[18:19], v[140:141], v[18:19]
	v_add_f64_e32 v[10:11], 0, v[150:151]
	v_add_f64_e32 v[146:147], 0, v[152:153]
	v_fmac_f64_e32 v[156:157], v[6:7], v[12:13]
	v_fma_f64 v[12:13], v[4:5], v[12:13], -v[14:15]
	v_fmac_f64_e32 v[148:149], v[140:141], v[16:17]
	v_fma_f64 v[16:17], v[138:139], v[16:17], -v[18:19]
	v_add_f64_e32 v[14:15], v[10:11], v[8:9]
	v_add_f64_e32 v[146:147], v[146:147], v[154:155]
	ds_load_b128 v[4:7], v2 offset:1456
	ds_load_b128 v[8:11], v2 offset:1472
	s_wait_loadcnt_dscnt 0x501
	v_mul_f64_e32 v[150:151], v[4:5], v[22:23]
	v_mul_f64_e32 v[22:23], v[6:7], v[22:23]
	s_wait_loadcnt_dscnt 0x400
	v_mul_f64_e32 v[18:19], v[8:9], v[124:125]
	v_mul_f64_e32 v[124:125], v[10:11], v[124:125]
	v_add_f64_e32 v[12:13], v[14:15], v[12:13]
	v_add_f64_e32 v[14:15], v[146:147], v[156:157]
	v_fmac_f64_e32 v[150:151], v[6:7], v[20:21]
	v_fma_f64 v[20:21], v[4:5], v[20:21], -v[22:23]
	v_fmac_f64_e32 v[18:19], v[10:11], v[122:123]
	v_fma_f64 v[8:9], v[8:9], v[122:123], -v[124:125]
	v_add_f64_e32 v[16:17], v[12:13], v[16:17]
	v_add_f64_e32 v[22:23], v[14:15], v[148:149]
	ds_load_b128 v[4:7], v2 offset:1488
	ds_load_b128 v[12:15], v2 offset:1504
	s_wait_loadcnt_dscnt 0x301
	v_mul_f64_e32 v[138:139], v[4:5], v[128:129]
	v_mul_f64_e32 v[128:129], v[6:7], v[128:129]
	v_add_f64_e32 v[10:11], v[16:17], v[20:21]
	v_add_f64_e32 v[16:17], v[22:23], v[150:151]
	s_wait_loadcnt_dscnt 0x200
	v_mul_f64_e32 v[20:21], v[12:13], v[132:133]
	v_mul_f64_e32 v[22:23], v[14:15], v[132:133]
	v_fmac_f64_e32 v[138:139], v[6:7], v[126:127]
	v_fma_f64 v[122:123], v[4:5], v[126:127], -v[128:129]
	ds_load_b128 v[4:7], v2 offset:1520
	v_add_f64_e32 v[8:9], v[10:11], v[8:9]
	v_add_f64_e32 v[10:11], v[16:17], v[18:19]
	v_fmac_f64_e32 v[20:21], v[14:15], v[130:131]
	v_fma_f64 v[12:13], v[12:13], v[130:131], -v[22:23]
	s_wait_loadcnt_dscnt 0x100
	v_mul_f64_e32 v[16:17], v[4:5], v[136:137]
	v_mul_f64_e32 v[18:19], v[6:7], v[136:137]
	v_add_f64_e32 v[8:9], v[8:9], v[122:123]
	v_add_f64_e32 v[10:11], v[10:11], v[138:139]
	s_delay_alu instid0(VALU_DEP_4) | instskip(NEXT) | instid1(VALU_DEP_4)
	v_fmac_f64_e32 v[16:17], v[6:7], v[134:135]
	v_fma_f64 v[4:5], v[4:5], v[134:135], -v[18:19]
	s_delay_alu instid0(VALU_DEP_4) | instskip(NEXT) | instid1(VALU_DEP_4)
	v_add_f64_e32 v[6:7], v[8:9], v[12:13]
	v_add_f64_e32 v[8:9], v[10:11], v[20:21]
	s_delay_alu instid0(VALU_DEP_2) | instskip(NEXT) | instid1(VALU_DEP_2)
	v_add_f64_e32 v[4:5], v[6:7], v[4:5]
	v_add_f64_e32 v[6:7], v[8:9], v[16:17]
	s_wait_loadcnt 0x0
	s_delay_alu instid0(VALU_DEP_2) | instskip(NEXT) | instid1(VALU_DEP_2)
	v_add_f64_e64 v[4:5], v[142:143], -v[4:5]
	v_add_f64_e64 v[6:7], v[144:145], -v[6:7]
	scratch_store_b128 off, v[4:7], off offset:608
	s_wait_xcnt 0x0
	v_cmpx_lt_u32_e32 37, v1
	s_cbranch_execz .LBB111_227
; %bb.226:
	scratch_load_b128 v[6:9], off, s26
	v_dual_mov_b32 v3, v2 :: v_dual_mov_b32 v4, v2
	v_mov_b32_e32 v5, v2
	scratch_store_b128 off, v[2:5], off offset:592
	s_wait_loadcnt 0x0
	ds_store_b128 v120, v[6:9]
.LBB111_227:
	s_wait_xcnt 0x0
	s_or_b32 exec_lo, exec_lo, s2
	s_wait_storecnt_dscnt 0x0
	s_barrier_signal -1
	s_barrier_wait -1
	s_clause 0x9
	scratch_load_b128 v[4:7], off, off offset:608
	scratch_load_b128 v[8:11], off, off offset:624
	;; [unrolled: 1-line block ×10, first 2 shown]
	ds_load_b128 v[142:145], v2 offset:1376
	ds_load_b128 v[146:149], v2 offset:1392
	scratch_load_b128 v[150:153], off, off offset:592
	s_mov_b32 s2, exec_lo
	s_wait_loadcnt_dscnt 0xa01
	v_mul_f64_e32 v[154:155], v[144:145], v[6:7]
	v_mul_f64_e32 v[156:157], v[142:143], v[6:7]
	s_wait_loadcnt_dscnt 0x900
	v_mul_f64_e32 v[158:159], v[146:147], v[10:11]
	v_mul_f64_e32 v[10:11], v[148:149], v[10:11]
	s_delay_alu instid0(VALU_DEP_4) | instskip(NEXT) | instid1(VALU_DEP_4)
	v_fma_f64 v[154:155], v[142:143], v[4:5], -v[154:155]
	v_fmac_f64_e32 v[156:157], v[144:145], v[4:5]
	ds_load_b128 v[4:7], v2 offset:1408
	ds_load_b128 v[142:145], v2 offset:1424
	v_fmac_f64_e32 v[158:159], v[148:149], v[8:9]
	v_fma_f64 v[8:9], v[146:147], v[8:9], -v[10:11]
	s_wait_loadcnt_dscnt 0x801
	v_mul_f64_e32 v[160:161], v[4:5], v[14:15]
	v_mul_f64_e32 v[14:15], v[6:7], v[14:15]
	s_wait_loadcnt_dscnt 0x700
	v_mul_f64_e32 v[148:149], v[142:143], v[18:19]
	v_mul_f64_e32 v[18:19], v[144:145], v[18:19]
	v_add_f64_e32 v[10:11], 0, v[154:155]
	v_add_f64_e32 v[146:147], 0, v[156:157]
	v_fmac_f64_e32 v[160:161], v[6:7], v[12:13]
	v_fma_f64 v[12:13], v[4:5], v[12:13], -v[14:15]
	v_fmac_f64_e32 v[148:149], v[144:145], v[16:17]
	v_fma_f64 v[16:17], v[142:143], v[16:17], -v[18:19]
	v_add_f64_e32 v[14:15], v[10:11], v[8:9]
	v_add_f64_e32 v[146:147], v[146:147], v[158:159]
	ds_load_b128 v[4:7], v2 offset:1440
	ds_load_b128 v[8:11], v2 offset:1456
	s_wait_loadcnt_dscnt 0x601
	v_mul_f64_e32 v[154:155], v[4:5], v[22:23]
	v_mul_f64_e32 v[22:23], v[6:7], v[22:23]
	s_wait_loadcnt_dscnt 0x500
	v_mul_f64_e32 v[18:19], v[8:9], v[124:125]
	v_mul_f64_e32 v[124:125], v[10:11], v[124:125]
	v_add_f64_e32 v[12:13], v[14:15], v[12:13]
	v_add_f64_e32 v[14:15], v[146:147], v[160:161]
	v_fmac_f64_e32 v[154:155], v[6:7], v[20:21]
	v_fma_f64 v[20:21], v[4:5], v[20:21], -v[22:23]
	v_fmac_f64_e32 v[18:19], v[10:11], v[122:123]
	v_fma_f64 v[8:9], v[8:9], v[122:123], -v[124:125]
	v_add_f64_e32 v[16:17], v[12:13], v[16:17]
	v_add_f64_e32 v[22:23], v[14:15], v[148:149]
	ds_load_b128 v[4:7], v2 offset:1472
	ds_load_b128 v[12:15], v2 offset:1488
	s_wait_loadcnt_dscnt 0x401
	v_mul_f64_e32 v[142:143], v[4:5], v[128:129]
	v_mul_f64_e32 v[128:129], v[6:7], v[128:129]
	v_add_f64_e32 v[10:11], v[16:17], v[20:21]
	v_add_f64_e32 v[16:17], v[22:23], v[154:155]
	s_wait_loadcnt_dscnt 0x300
	v_mul_f64_e32 v[20:21], v[12:13], v[132:133]
	v_mul_f64_e32 v[22:23], v[14:15], v[132:133]
	v_fmac_f64_e32 v[142:143], v[6:7], v[126:127]
	v_fma_f64 v[122:123], v[4:5], v[126:127], -v[128:129]
	v_add_f64_e32 v[124:125], v[10:11], v[8:9]
	v_add_f64_e32 v[16:17], v[16:17], v[18:19]
	ds_load_b128 v[4:7], v2 offset:1504
	ds_load_b128 v[8:11], v2 offset:1520
	v_fmac_f64_e32 v[20:21], v[14:15], v[130:131]
	v_fma_f64 v[12:13], v[12:13], v[130:131], -v[22:23]
	s_wait_loadcnt_dscnt 0x201
	v_mul_f64_e32 v[2:3], v[4:5], v[136:137]
	v_mul_f64_e32 v[18:19], v[6:7], v[136:137]
	s_wait_loadcnt_dscnt 0x100
	v_mul_f64_e32 v[22:23], v[8:9], v[140:141]
	v_add_f64_e32 v[14:15], v[124:125], v[122:123]
	v_add_f64_e32 v[16:17], v[16:17], v[142:143]
	v_mul_f64_e32 v[122:123], v[10:11], v[140:141]
	v_fmac_f64_e32 v[2:3], v[6:7], v[134:135]
	v_fma_f64 v[4:5], v[4:5], v[134:135], -v[18:19]
	v_fmac_f64_e32 v[22:23], v[10:11], v[138:139]
	v_add_f64_e32 v[6:7], v[14:15], v[12:13]
	v_add_f64_e32 v[12:13], v[16:17], v[20:21]
	v_fma_f64 v[8:9], v[8:9], v[138:139], -v[122:123]
	s_delay_alu instid0(VALU_DEP_3) | instskip(NEXT) | instid1(VALU_DEP_3)
	v_add_f64_e32 v[4:5], v[6:7], v[4:5]
	v_add_f64_e32 v[2:3], v[12:13], v[2:3]
	s_delay_alu instid0(VALU_DEP_2) | instskip(NEXT) | instid1(VALU_DEP_2)
	v_add_f64_e32 v[4:5], v[4:5], v[8:9]
	v_add_f64_e32 v[6:7], v[2:3], v[22:23]
	s_wait_loadcnt 0x0
	s_delay_alu instid0(VALU_DEP_2) | instskip(NEXT) | instid1(VALU_DEP_2)
	v_add_f64_e64 v[2:3], v[150:151], -v[4:5]
	v_add_f64_e64 v[4:5], v[152:153], -v[6:7]
	scratch_store_b128 off, v[2:5], off offset:592
	s_wait_xcnt 0x0
	v_cmpx_lt_u32_e32 36, v1
	s_cbranch_execz .LBB111_229
; %bb.228:
	scratch_load_b128 v[2:5], off, s27
	v_mov_b32_e32 v6, 0
	s_delay_alu instid0(VALU_DEP_1)
	v_dual_mov_b32 v7, v6 :: v_dual_mov_b32 v8, v6
	v_mov_b32_e32 v9, v6
	scratch_store_b128 off, v[6:9], off offset:576
	s_wait_loadcnt 0x0
	ds_store_b128 v120, v[2:5]
.LBB111_229:
	s_wait_xcnt 0x0
	s_or_b32 exec_lo, exec_lo, s2
	s_wait_storecnt_dscnt 0x0
	s_barrier_signal -1
	s_barrier_wait -1
	s_clause 0x9
	scratch_load_b128 v[4:7], off, off offset:592
	scratch_load_b128 v[8:11], off, off offset:608
	;; [unrolled: 1-line block ×10, first 2 shown]
	v_mov_b32_e32 v2, 0
	s_mov_b32 s2, exec_lo
	ds_load_b128 v[142:145], v2 offset:1360
	s_clause 0x1
	scratch_load_b128 v[146:149], off, off offset:752
	scratch_load_b128 v[150:153], off, off offset:576
	s_wait_loadcnt_dscnt 0xb00
	v_mul_f64_e32 v[158:159], v[144:145], v[6:7]
	v_mul_f64_e32 v[160:161], v[142:143], v[6:7]
	ds_load_b128 v[154:157], v2 offset:1376
	s_wait_loadcnt_dscnt 0xa00
	v_mul_f64_e32 v[162:163], v[154:155], v[10:11]
	v_mul_f64_e32 v[10:11], v[156:157], v[10:11]
	v_fma_f64 v[158:159], v[142:143], v[4:5], -v[158:159]
	v_fmac_f64_e32 v[160:161], v[144:145], v[4:5]
	ds_load_b128 v[4:7], v2 offset:1392
	ds_load_b128 v[142:145], v2 offset:1408
	s_wait_loadcnt_dscnt 0x901
	v_mul_f64_e32 v[164:165], v[4:5], v[14:15]
	v_mul_f64_e32 v[14:15], v[6:7], v[14:15]
	v_fmac_f64_e32 v[162:163], v[156:157], v[8:9]
	v_fma_f64 v[8:9], v[154:155], v[8:9], -v[10:11]
	s_wait_loadcnt_dscnt 0x800
	v_mul_f64_e32 v[156:157], v[142:143], v[18:19]
	v_mul_f64_e32 v[18:19], v[144:145], v[18:19]
	v_add_f64_e32 v[10:11], 0, v[158:159]
	v_add_f64_e32 v[154:155], 0, v[160:161]
	v_fmac_f64_e32 v[164:165], v[6:7], v[12:13]
	v_fma_f64 v[12:13], v[4:5], v[12:13], -v[14:15]
	v_fmac_f64_e32 v[156:157], v[144:145], v[16:17]
	v_fma_f64 v[16:17], v[142:143], v[16:17], -v[18:19]
	v_add_f64_e32 v[14:15], v[10:11], v[8:9]
	v_add_f64_e32 v[154:155], v[154:155], v[162:163]
	ds_load_b128 v[4:7], v2 offset:1424
	ds_load_b128 v[8:11], v2 offset:1440
	s_wait_loadcnt_dscnt 0x701
	v_mul_f64_e32 v[158:159], v[4:5], v[22:23]
	v_mul_f64_e32 v[22:23], v[6:7], v[22:23]
	s_wait_loadcnt_dscnt 0x600
	v_mul_f64_e32 v[18:19], v[8:9], v[124:125]
	v_mul_f64_e32 v[124:125], v[10:11], v[124:125]
	v_add_f64_e32 v[12:13], v[14:15], v[12:13]
	v_add_f64_e32 v[14:15], v[154:155], v[164:165]
	v_fmac_f64_e32 v[158:159], v[6:7], v[20:21]
	v_fma_f64 v[20:21], v[4:5], v[20:21], -v[22:23]
	v_fmac_f64_e32 v[18:19], v[10:11], v[122:123]
	v_fma_f64 v[8:9], v[8:9], v[122:123], -v[124:125]
	v_add_f64_e32 v[16:17], v[12:13], v[16:17]
	v_add_f64_e32 v[22:23], v[14:15], v[156:157]
	ds_load_b128 v[4:7], v2 offset:1456
	ds_load_b128 v[12:15], v2 offset:1472
	s_wait_loadcnt_dscnt 0x501
	v_mul_f64_e32 v[142:143], v[4:5], v[128:129]
	v_mul_f64_e32 v[128:129], v[6:7], v[128:129]
	v_add_f64_e32 v[10:11], v[16:17], v[20:21]
	v_add_f64_e32 v[16:17], v[22:23], v[158:159]
	s_wait_loadcnt_dscnt 0x400
	v_mul_f64_e32 v[20:21], v[12:13], v[132:133]
	v_mul_f64_e32 v[22:23], v[14:15], v[132:133]
	v_fmac_f64_e32 v[142:143], v[6:7], v[126:127]
	v_fma_f64 v[122:123], v[4:5], v[126:127], -v[128:129]
	v_add_f64_e32 v[124:125], v[10:11], v[8:9]
	v_add_f64_e32 v[16:17], v[16:17], v[18:19]
	ds_load_b128 v[4:7], v2 offset:1488
	ds_load_b128 v[8:11], v2 offset:1504
	v_fmac_f64_e32 v[20:21], v[14:15], v[130:131]
	v_fma_f64 v[12:13], v[12:13], v[130:131], -v[22:23]
	s_wait_loadcnt_dscnt 0x301
	v_mul_f64_e32 v[18:19], v[4:5], v[136:137]
	v_mul_f64_e32 v[126:127], v[6:7], v[136:137]
	s_wait_loadcnt_dscnt 0x200
	v_mul_f64_e32 v[22:23], v[8:9], v[140:141]
	v_add_f64_e32 v[14:15], v[124:125], v[122:123]
	v_add_f64_e32 v[16:17], v[16:17], v[142:143]
	v_mul_f64_e32 v[122:123], v[10:11], v[140:141]
	v_fmac_f64_e32 v[18:19], v[6:7], v[134:135]
	v_fma_f64 v[124:125], v[4:5], v[134:135], -v[126:127]
	ds_load_b128 v[4:7], v2 offset:1520
	v_fmac_f64_e32 v[22:23], v[10:11], v[138:139]
	v_add_f64_e32 v[12:13], v[14:15], v[12:13]
	v_add_f64_e32 v[14:15], v[16:17], v[20:21]
	v_fma_f64 v[8:9], v[8:9], v[138:139], -v[122:123]
	s_wait_loadcnt_dscnt 0x100
	v_mul_f64_e32 v[16:17], v[4:5], v[148:149]
	v_mul_f64_e32 v[20:21], v[6:7], v[148:149]
	v_add_f64_e32 v[10:11], v[12:13], v[124:125]
	v_add_f64_e32 v[12:13], v[14:15], v[18:19]
	s_delay_alu instid0(VALU_DEP_4) | instskip(NEXT) | instid1(VALU_DEP_4)
	v_fmac_f64_e32 v[16:17], v[6:7], v[146:147]
	v_fma_f64 v[4:5], v[4:5], v[146:147], -v[20:21]
	s_delay_alu instid0(VALU_DEP_4) | instskip(NEXT) | instid1(VALU_DEP_4)
	v_add_f64_e32 v[6:7], v[10:11], v[8:9]
	v_add_f64_e32 v[8:9], v[12:13], v[22:23]
	s_delay_alu instid0(VALU_DEP_2) | instskip(NEXT) | instid1(VALU_DEP_2)
	v_add_f64_e32 v[4:5], v[6:7], v[4:5]
	v_add_f64_e32 v[6:7], v[8:9], v[16:17]
	s_wait_loadcnt 0x0
	s_delay_alu instid0(VALU_DEP_2) | instskip(NEXT) | instid1(VALU_DEP_2)
	v_add_f64_e64 v[4:5], v[150:151], -v[4:5]
	v_add_f64_e64 v[6:7], v[152:153], -v[6:7]
	scratch_store_b128 off, v[4:7], off offset:576
	s_wait_xcnt 0x0
	v_cmpx_lt_u32_e32 35, v1
	s_cbranch_execz .LBB111_231
; %bb.230:
	scratch_load_b128 v[6:9], off, s28
	v_dual_mov_b32 v3, v2 :: v_dual_mov_b32 v4, v2
	v_mov_b32_e32 v5, v2
	scratch_store_b128 off, v[2:5], off offset:560
	s_wait_loadcnt 0x0
	ds_store_b128 v120, v[6:9]
.LBB111_231:
	s_wait_xcnt 0x0
	s_or_b32 exec_lo, exec_lo, s2
	s_wait_storecnt_dscnt 0x0
	s_barrier_signal -1
	s_barrier_wait -1
	s_clause 0x9
	scratch_load_b128 v[4:7], off, off offset:576
	scratch_load_b128 v[8:11], off, off offset:592
	;; [unrolled: 1-line block ×10, first 2 shown]
	ds_load_b128 v[142:145], v2 offset:1344
	ds_load_b128 v[150:153], v2 offset:1360
	s_clause 0x2
	scratch_load_b128 v[146:149], off, off offset:736
	scratch_load_b128 v[154:157], off, off offset:560
	;; [unrolled: 1-line block ×3, first 2 shown]
	s_mov_b32 s2, exec_lo
	s_wait_loadcnt_dscnt 0xc01
	v_mul_f64_e32 v[162:163], v[144:145], v[6:7]
	v_mul_f64_e32 v[164:165], v[142:143], v[6:7]
	s_wait_loadcnt_dscnt 0xb00
	v_mul_f64_e32 v[166:167], v[150:151], v[10:11]
	v_mul_f64_e32 v[10:11], v[152:153], v[10:11]
	s_delay_alu instid0(VALU_DEP_4) | instskip(NEXT) | instid1(VALU_DEP_4)
	v_fma_f64 v[162:163], v[142:143], v[4:5], -v[162:163]
	v_fmac_f64_e32 v[164:165], v[144:145], v[4:5]
	ds_load_b128 v[4:7], v2 offset:1376
	ds_load_b128 v[142:145], v2 offset:1392
	v_fmac_f64_e32 v[166:167], v[152:153], v[8:9]
	v_fma_f64 v[8:9], v[150:151], v[8:9], -v[10:11]
	s_wait_loadcnt_dscnt 0xa01
	v_mul_f64_e32 v[168:169], v[4:5], v[14:15]
	v_mul_f64_e32 v[14:15], v[6:7], v[14:15]
	s_wait_loadcnt_dscnt 0x900
	v_mul_f64_e32 v[152:153], v[142:143], v[18:19]
	v_mul_f64_e32 v[18:19], v[144:145], v[18:19]
	v_add_f64_e32 v[10:11], 0, v[162:163]
	v_add_f64_e32 v[150:151], 0, v[164:165]
	v_fmac_f64_e32 v[168:169], v[6:7], v[12:13]
	v_fma_f64 v[12:13], v[4:5], v[12:13], -v[14:15]
	v_fmac_f64_e32 v[152:153], v[144:145], v[16:17]
	v_fma_f64 v[16:17], v[142:143], v[16:17], -v[18:19]
	v_add_f64_e32 v[14:15], v[10:11], v[8:9]
	v_add_f64_e32 v[150:151], v[150:151], v[166:167]
	ds_load_b128 v[4:7], v2 offset:1408
	ds_load_b128 v[8:11], v2 offset:1424
	s_wait_loadcnt_dscnt 0x801
	v_mul_f64_e32 v[162:163], v[4:5], v[22:23]
	v_mul_f64_e32 v[22:23], v[6:7], v[22:23]
	s_wait_loadcnt_dscnt 0x700
	v_mul_f64_e32 v[18:19], v[8:9], v[124:125]
	v_mul_f64_e32 v[124:125], v[10:11], v[124:125]
	v_add_f64_e32 v[12:13], v[14:15], v[12:13]
	v_add_f64_e32 v[14:15], v[150:151], v[168:169]
	v_fmac_f64_e32 v[162:163], v[6:7], v[20:21]
	v_fma_f64 v[20:21], v[4:5], v[20:21], -v[22:23]
	v_fmac_f64_e32 v[18:19], v[10:11], v[122:123]
	v_fma_f64 v[8:9], v[8:9], v[122:123], -v[124:125]
	v_add_f64_e32 v[16:17], v[12:13], v[16:17]
	v_add_f64_e32 v[22:23], v[14:15], v[152:153]
	ds_load_b128 v[4:7], v2 offset:1440
	ds_load_b128 v[12:15], v2 offset:1456
	s_wait_loadcnt_dscnt 0x601
	v_mul_f64_e32 v[142:143], v[4:5], v[128:129]
	v_mul_f64_e32 v[128:129], v[6:7], v[128:129]
	v_add_f64_e32 v[10:11], v[16:17], v[20:21]
	v_add_f64_e32 v[16:17], v[22:23], v[162:163]
	s_wait_loadcnt_dscnt 0x500
	v_mul_f64_e32 v[20:21], v[12:13], v[132:133]
	v_mul_f64_e32 v[22:23], v[14:15], v[132:133]
	v_fmac_f64_e32 v[142:143], v[6:7], v[126:127]
	v_fma_f64 v[122:123], v[4:5], v[126:127], -v[128:129]
	v_add_f64_e32 v[124:125], v[10:11], v[8:9]
	v_add_f64_e32 v[16:17], v[16:17], v[18:19]
	ds_load_b128 v[4:7], v2 offset:1472
	ds_load_b128 v[8:11], v2 offset:1488
	v_fmac_f64_e32 v[20:21], v[14:15], v[130:131]
	v_fma_f64 v[12:13], v[12:13], v[130:131], -v[22:23]
	s_wait_loadcnt_dscnt 0x401
	v_mul_f64_e32 v[18:19], v[4:5], v[136:137]
	v_mul_f64_e32 v[126:127], v[6:7], v[136:137]
	s_wait_loadcnt_dscnt 0x300
	v_mul_f64_e32 v[22:23], v[8:9], v[140:141]
	v_add_f64_e32 v[14:15], v[124:125], v[122:123]
	v_add_f64_e32 v[16:17], v[16:17], v[142:143]
	v_mul_f64_e32 v[122:123], v[10:11], v[140:141]
	v_fmac_f64_e32 v[18:19], v[6:7], v[134:135]
	v_fma_f64 v[124:125], v[4:5], v[134:135], -v[126:127]
	v_fmac_f64_e32 v[22:23], v[10:11], v[138:139]
	v_add_f64_e32 v[126:127], v[14:15], v[12:13]
	v_add_f64_e32 v[16:17], v[16:17], v[20:21]
	ds_load_b128 v[4:7], v2 offset:1504
	ds_load_b128 v[12:15], v2 offset:1520
	v_fma_f64 v[8:9], v[8:9], v[138:139], -v[122:123]
	s_wait_loadcnt_dscnt 0x201
	v_mul_f64_e32 v[2:3], v[4:5], v[148:149]
	v_mul_f64_e32 v[20:21], v[6:7], v[148:149]
	s_wait_loadcnt_dscnt 0x0
	v_mul_f64_e32 v[122:123], v[14:15], v[160:161]
	v_add_f64_e32 v[10:11], v[126:127], v[124:125]
	v_add_f64_e32 v[16:17], v[16:17], v[18:19]
	v_mul_f64_e32 v[18:19], v[12:13], v[160:161]
	v_fmac_f64_e32 v[2:3], v[6:7], v[146:147]
	v_fma_f64 v[4:5], v[4:5], v[146:147], -v[20:21]
	v_add_f64_e32 v[6:7], v[10:11], v[8:9]
	v_add_f64_e32 v[8:9], v[16:17], v[22:23]
	v_fmac_f64_e32 v[18:19], v[14:15], v[158:159]
	v_fma_f64 v[10:11], v[12:13], v[158:159], -v[122:123]
	s_delay_alu instid0(VALU_DEP_4) | instskip(NEXT) | instid1(VALU_DEP_4)
	v_add_f64_e32 v[4:5], v[6:7], v[4:5]
	v_add_f64_e32 v[2:3], v[8:9], v[2:3]
	s_delay_alu instid0(VALU_DEP_2) | instskip(NEXT) | instid1(VALU_DEP_2)
	v_add_f64_e32 v[4:5], v[4:5], v[10:11]
	v_add_f64_e32 v[6:7], v[2:3], v[18:19]
	s_delay_alu instid0(VALU_DEP_2) | instskip(NEXT) | instid1(VALU_DEP_2)
	v_add_f64_e64 v[2:3], v[154:155], -v[4:5]
	v_add_f64_e64 v[4:5], v[156:157], -v[6:7]
	scratch_store_b128 off, v[2:5], off offset:560
	s_wait_xcnt 0x0
	v_cmpx_lt_u32_e32 34, v1
	s_cbranch_execz .LBB111_233
; %bb.232:
	scratch_load_b128 v[2:5], off, s29
	v_mov_b32_e32 v6, 0
	s_delay_alu instid0(VALU_DEP_1)
	v_dual_mov_b32 v7, v6 :: v_dual_mov_b32 v8, v6
	v_mov_b32_e32 v9, v6
	scratch_store_b128 off, v[6:9], off offset:544
	s_wait_loadcnt 0x0
	ds_store_b128 v120, v[2:5]
.LBB111_233:
	s_wait_xcnt 0x0
	s_or_b32 exec_lo, exec_lo, s2
	s_wait_storecnt_dscnt 0x0
	s_barrier_signal -1
	s_barrier_wait -1
	s_clause 0x9
	scratch_load_b128 v[4:7], off, off offset:560
	scratch_load_b128 v[8:11], off, off offset:576
	;; [unrolled: 1-line block ×10, first 2 shown]
	v_mov_b32_e32 v2, 0
	s_mov_b32 s2, exec_lo
	ds_load_b128 v[142:145], v2 offset:1328
	s_clause 0x2
	scratch_load_b128 v[146:149], off, off offset:720
	scratch_load_b128 v[150:153], off, off offset:544
	;; [unrolled: 1-line block ×3, first 2 shown]
	s_wait_loadcnt_dscnt 0xc00
	v_mul_f64_e32 v[162:163], v[144:145], v[6:7]
	v_mul_f64_e32 v[166:167], v[142:143], v[6:7]
	ds_load_b128 v[154:157], v2 offset:1344
	v_fma_f64 v[170:171], v[142:143], v[4:5], -v[162:163]
	v_fmac_f64_e32 v[166:167], v[144:145], v[4:5]
	ds_load_b128 v[4:7], v2 offset:1360
	s_wait_loadcnt_dscnt 0xb01
	v_mul_f64_e32 v[168:169], v[154:155], v[10:11]
	v_mul_f64_e32 v[10:11], v[156:157], v[10:11]
	scratch_load_b128 v[142:145], off, off offset:752
	ds_load_b128 v[162:165], v2 offset:1376
	s_wait_loadcnt_dscnt 0xb01
	v_mul_f64_e32 v[172:173], v[4:5], v[14:15]
	v_mul_f64_e32 v[14:15], v[6:7], v[14:15]
	v_fmac_f64_e32 v[168:169], v[156:157], v[8:9]
	v_fma_f64 v[8:9], v[154:155], v[8:9], -v[10:11]
	v_add_f64_e32 v[10:11], 0, v[170:171]
	v_add_f64_e32 v[154:155], 0, v[166:167]
	s_wait_loadcnt_dscnt 0xa00
	v_mul_f64_e32 v[156:157], v[162:163], v[18:19]
	v_mul_f64_e32 v[18:19], v[164:165], v[18:19]
	v_fmac_f64_e32 v[172:173], v[6:7], v[12:13]
	v_fma_f64 v[12:13], v[4:5], v[12:13], -v[14:15]
	v_add_f64_e32 v[14:15], v[10:11], v[8:9]
	v_add_f64_e32 v[154:155], v[154:155], v[168:169]
	ds_load_b128 v[4:7], v2 offset:1392
	ds_load_b128 v[8:11], v2 offset:1408
	v_fmac_f64_e32 v[156:157], v[164:165], v[16:17]
	v_fma_f64 v[16:17], v[162:163], v[16:17], -v[18:19]
	s_wait_loadcnt_dscnt 0x901
	v_mul_f64_e32 v[166:167], v[4:5], v[22:23]
	v_mul_f64_e32 v[22:23], v[6:7], v[22:23]
	s_wait_loadcnt_dscnt 0x800
	v_mul_f64_e32 v[18:19], v[8:9], v[124:125]
	v_mul_f64_e32 v[124:125], v[10:11], v[124:125]
	v_add_f64_e32 v[12:13], v[14:15], v[12:13]
	v_add_f64_e32 v[14:15], v[154:155], v[172:173]
	v_fmac_f64_e32 v[166:167], v[6:7], v[20:21]
	v_fma_f64 v[20:21], v[4:5], v[20:21], -v[22:23]
	v_fmac_f64_e32 v[18:19], v[10:11], v[122:123]
	v_fma_f64 v[8:9], v[8:9], v[122:123], -v[124:125]
	v_add_f64_e32 v[16:17], v[12:13], v[16:17]
	v_add_f64_e32 v[22:23], v[14:15], v[156:157]
	ds_load_b128 v[4:7], v2 offset:1424
	ds_load_b128 v[12:15], v2 offset:1440
	s_wait_loadcnt_dscnt 0x701
	v_mul_f64_e32 v[154:155], v[4:5], v[128:129]
	v_mul_f64_e32 v[128:129], v[6:7], v[128:129]
	v_add_f64_e32 v[10:11], v[16:17], v[20:21]
	v_add_f64_e32 v[16:17], v[22:23], v[166:167]
	s_wait_loadcnt_dscnt 0x600
	v_mul_f64_e32 v[20:21], v[12:13], v[132:133]
	v_mul_f64_e32 v[22:23], v[14:15], v[132:133]
	v_fmac_f64_e32 v[154:155], v[6:7], v[126:127]
	v_fma_f64 v[122:123], v[4:5], v[126:127], -v[128:129]
	v_add_f64_e32 v[124:125], v[10:11], v[8:9]
	v_add_f64_e32 v[16:17], v[16:17], v[18:19]
	ds_load_b128 v[4:7], v2 offset:1456
	ds_load_b128 v[8:11], v2 offset:1472
	v_fmac_f64_e32 v[20:21], v[14:15], v[130:131]
	v_fma_f64 v[12:13], v[12:13], v[130:131], -v[22:23]
	s_wait_loadcnt_dscnt 0x501
	v_mul_f64_e32 v[18:19], v[4:5], v[136:137]
	v_mul_f64_e32 v[126:127], v[6:7], v[136:137]
	s_wait_loadcnt_dscnt 0x400
	v_mul_f64_e32 v[22:23], v[8:9], v[140:141]
	v_add_f64_e32 v[14:15], v[124:125], v[122:123]
	v_add_f64_e32 v[16:17], v[16:17], v[154:155]
	v_mul_f64_e32 v[122:123], v[10:11], v[140:141]
	v_fmac_f64_e32 v[18:19], v[6:7], v[134:135]
	v_fma_f64 v[124:125], v[4:5], v[134:135], -v[126:127]
	v_fmac_f64_e32 v[22:23], v[10:11], v[138:139]
	v_add_f64_e32 v[126:127], v[14:15], v[12:13]
	v_add_f64_e32 v[16:17], v[16:17], v[20:21]
	ds_load_b128 v[4:7], v2 offset:1488
	ds_load_b128 v[12:15], v2 offset:1504
	v_fma_f64 v[8:9], v[8:9], v[138:139], -v[122:123]
	s_wait_loadcnt_dscnt 0x301
	v_mul_f64_e32 v[20:21], v[4:5], v[148:149]
	v_mul_f64_e32 v[128:129], v[6:7], v[148:149]
	s_wait_loadcnt_dscnt 0x100
	v_mul_f64_e32 v[122:123], v[14:15], v[160:161]
	v_add_f64_e32 v[10:11], v[126:127], v[124:125]
	v_add_f64_e32 v[16:17], v[16:17], v[18:19]
	v_mul_f64_e32 v[18:19], v[12:13], v[160:161]
	v_fmac_f64_e32 v[20:21], v[6:7], v[146:147]
	v_fma_f64 v[124:125], v[4:5], v[146:147], -v[128:129]
	ds_load_b128 v[4:7], v2 offset:1520
	v_fma_f64 v[12:13], v[12:13], v[158:159], -v[122:123]
	v_add_f64_e32 v[8:9], v[10:11], v[8:9]
	v_add_f64_e32 v[10:11], v[16:17], v[22:23]
	v_fmac_f64_e32 v[18:19], v[14:15], v[158:159]
	s_wait_loadcnt_dscnt 0x0
	v_mul_f64_e32 v[16:17], v[4:5], v[144:145]
	v_mul_f64_e32 v[22:23], v[6:7], v[144:145]
	v_add_f64_e32 v[8:9], v[8:9], v[124:125]
	v_add_f64_e32 v[10:11], v[10:11], v[20:21]
	s_delay_alu instid0(VALU_DEP_4) | instskip(NEXT) | instid1(VALU_DEP_4)
	v_fmac_f64_e32 v[16:17], v[6:7], v[142:143]
	v_fma_f64 v[4:5], v[4:5], v[142:143], -v[22:23]
	s_delay_alu instid0(VALU_DEP_4) | instskip(NEXT) | instid1(VALU_DEP_4)
	v_add_f64_e32 v[6:7], v[8:9], v[12:13]
	v_add_f64_e32 v[8:9], v[10:11], v[18:19]
	s_delay_alu instid0(VALU_DEP_2) | instskip(NEXT) | instid1(VALU_DEP_2)
	v_add_f64_e32 v[4:5], v[6:7], v[4:5]
	v_add_f64_e32 v[6:7], v[8:9], v[16:17]
	s_delay_alu instid0(VALU_DEP_2) | instskip(NEXT) | instid1(VALU_DEP_2)
	v_add_f64_e64 v[4:5], v[150:151], -v[4:5]
	v_add_f64_e64 v[6:7], v[152:153], -v[6:7]
	scratch_store_b128 off, v[4:7], off offset:544
	s_wait_xcnt 0x0
	v_cmpx_lt_u32_e32 33, v1
	s_cbranch_execz .LBB111_235
; %bb.234:
	scratch_load_b128 v[6:9], off, s30
	v_dual_mov_b32 v3, v2 :: v_dual_mov_b32 v4, v2
	v_mov_b32_e32 v5, v2
	scratch_store_b128 off, v[2:5], off offset:528
	s_wait_loadcnt 0x0
	ds_store_b128 v120, v[6:9]
.LBB111_235:
	s_wait_xcnt 0x0
	s_or_b32 exec_lo, exec_lo, s2
	s_wait_storecnt_dscnt 0x0
	s_barrier_signal -1
	s_barrier_wait -1
	s_clause 0x9
	scratch_load_b128 v[4:7], off, off offset:544
	scratch_load_b128 v[8:11], off, off offset:560
	;; [unrolled: 1-line block ×10, first 2 shown]
	ds_load_b128 v[142:145], v2 offset:1312
	ds_load_b128 v[150:153], v2 offset:1328
	s_clause 0x2
	scratch_load_b128 v[146:149], off, off offset:704
	scratch_load_b128 v[154:157], off, off offset:528
	;; [unrolled: 1-line block ×3, first 2 shown]
	s_mov_b32 s2, exec_lo
	s_wait_loadcnt_dscnt 0xc01
	v_mul_f64_e32 v[162:163], v[144:145], v[6:7]
	v_mul_f64_e32 v[166:167], v[142:143], v[6:7]
	s_wait_loadcnt_dscnt 0xb00
	v_mul_f64_e32 v[168:169], v[150:151], v[10:11]
	v_mul_f64_e32 v[10:11], v[152:153], v[10:11]
	s_delay_alu instid0(VALU_DEP_4) | instskip(NEXT) | instid1(VALU_DEP_4)
	v_fma_f64 v[170:171], v[142:143], v[4:5], -v[162:163]
	v_fmac_f64_e32 v[166:167], v[144:145], v[4:5]
	ds_load_b128 v[4:7], v2 offset:1344
	ds_load_b128 v[142:145], v2 offset:1360
	scratch_load_b128 v[162:165], off, off offset:736
	v_fmac_f64_e32 v[168:169], v[152:153], v[8:9]
	v_fma_f64 v[150:151], v[150:151], v[8:9], -v[10:11]
	scratch_load_b128 v[8:11], off, off offset:752
	s_wait_loadcnt_dscnt 0xc01
	v_mul_f64_e32 v[172:173], v[4:5], v[14:15]
	v_mul_f64_e32 v[14:15], v[6:7], v[14:15]
	v_add_f64_e32 v[152:153], 0, v[170:171]
	v_add_f64_e32 v[166:167], 0, v[166:167]
	s_wait_loadcnt_dscnt 0xb00
	v_mul_f64_e32 v[170:171], v[142:143], v[18:19]
	v_mul_f64_e32 v[18:19], v[144:145], v[18:19]
	v_fmac_f64_e32 v[172:173], v[6:7], v[12:13]
	v_fma_f64 v[174:175], v[4:5], v[12:13], -v[14:15]
	ds_load_b128 v[4:7], v2 offset:1376
	ds_load_b128 v[12:15], v2 offset:1392
	v_add_f64_e32 v[150:151], v[152:153], v[150:151]
	v_add_f64_e32 v[152:153], v[166:167], v[168:169]
	v_fmac_f64_e32 v[170:171], v[144:145], v[16:17]
	v_fma_f64 v[16:17], v[142:143], v[16:17], -v[18:19]
	s_wait_loadcnt_dscnt 0xa01
	v_mul_f64_e32 v[166:167], v[4:5], v[22:23]
	v_mul_f64_e32 v[22:23], v[6:7], v[22:23]
	s_wait_loadcnt_dscnt 0x900
	v_mul_f64_e32 v[144:145], v[12:13], v[124:125]
	v_mul_f64_e32 v[124:125], v[14:15], v[124:125]
	v_add_f64_e32 v[18:19], v[150:151], v[174:175]
	v_add_f64_e32 v[142:143], v[152:153], v[172:173]
	v_fmac_f64_e32 v[166:167], v[6:7], v[20:21]
	v_fma_f64 v[20:21], v[4:5], v[20:21], -v[22:23]
	v_fmac_f64_e32 v[144:145], v[14:15], v[122:123]
	v_fma_f64 v[12:13], v[12:13], v[122:123], -v[124:125]
	v_add_f64_e32 v[22:23], v[18:19], v[16:17]
	v_add_f64_e32 v[142:143], v[142:143], v[170:171]
	ds_load_b128 v[4:7], v2 offset:1408
	ds_load_b128 v[16:19], v2 offset:1424
	s_wait_loadcnt_dscnt 0x801
	v_mul_f64_e32 v[150:151], v[4:5], v[128:129]
	v_mul_f64_e32 v[128:129], v[6:7], v[128:129]
	s_wait_loadcnt_dscnt 0x700
	v_mul_f64_e32 v[122:123], v[18:19], v[132:133]
	v_add_f64_e32 v[14:15], v[22:23], v[20:21]
	v_add_f64_e32 v[20:21], v[142:143], v[166:167]
	v_mul_f64_e32 v[22:23], v[16:17], v[132:133]
	v_fmac_f64_e32 v[150:151], v[6:7], v[126:127]
	v_fma_f64 v[124:125], v[4:5], v[126:127], -v[128:129]
	v_fma_f64 v[16:17], v[16:17], v[130:131], -v[122:123]
	v_add_f64_e32 v[126:127], v[14:15], v[12:13]
	v_add_f64_e32 v[20:21], v[20:21], v[144:145]
	ds_load_b128 v[4:7], v2 offset:1440
	ds_load_b128 v[12:15], v2 offset:1456
	v_fmac_f64_e32 v[22:23], v[18:19], v[130:131]
	s_wait_loadcnt_dscnt 0x601
	v_mul_f64_e32 v[128:129], v[4:5], v[136:137]
	v_mul_f64_e32 v[132:133], v[6:7], v[136:137]
	s_wait_loadcnt_dscnt 0x500
	v_mul_f64_e32 v[122:123], v[12:13], v[140:141]
	v_add_f64_e32 v[18:19], v[126:127], v[124:125]
	v_add_f64_e32 v[20:21], v[20:21], v[150:151]
	v_mul_f64_e32 v[124:125], v[14:15], v[140:141]
	v_fmac_f64_e32 v[128:129], v[6:7], v[134:135]
	v_fma_f64 v[126:127], v[4:5], v[134:135], -v[132:133]
	v_fmac_f64_e32 v[122:123], v[14:15], v[138:139]
	v_add_f64_e32 v[130:131], v[18:19], v[16:17]
	v_add_f64_e32 v[20:21], v[20:21], v[22:23]
	ds_load_b128 v[4:7], v2 offset:1472
	ds_load_b128 v[16:19], v2 offset:1488
	v_fma_f64 v[12:13], v[12:13], v[138:139], -v[124:125]
	s_wait_loadcnt_dscnt 0x401
	v_mul_f64_e32 v[22:23], v[4:5], v[148:149]
	v_mul_f64_e32 v[132:133], v[6:7], v[148:149]
	s_wait_loadcnt_dscnt 0x200
	v_mul_f64_e32 v[124:125], v[16:17], v[160:161]
	v_add_f64_e32 v[14:15], v[130:131], v[126:127]
	v_add_f64_e32 v[20:21], v[20:21], v[128:129]
	v_mul_f64_e32 v[126:127], v[18:19], v[160:161]
	v_fmac_f64_e32 v[22:23], v[6:7], v[146:147]
	v_fma_f64 v[128:129], v[4:5], v[146:147], -v[132:133]
	v_fmac_f64_e32 v[124:125], v[18:19], v[158:159]
	v_add_f64_e32 v[130:131], v[14:15], v[12:13]
	v_add_f64_e32 v[20:21], v[20:21], v[122:123]
	ds_load_b128 v[4:7], v2 offset:1504
	ds_load_b128 v[12:15], v2 offset:1520
	v_fma_f64 v[16:17], v[16:17], v[158:159], -v[126:127]
	s_wait_loadcnt_dscnt 0x101
	v_mul_f64_e32 v[2:3], v[4:5], v[164:165]
	v_mul_f64_e32 v[122:123], v[6:7], v[164:165]
	v_add_f64_e32 v[18:19], v[130:131], v[128:129]
	v_add_f64_e32 v[20:21], v[20:21], v[22:23]
	s_wait_loadcnt_dscnt 0x0
	v_mul_f64_e32 v[22:23], v[12:13], v[10:11]
	v_mul_f64_e32 v[10:11], v[14:15], v[10:11]
	v_fmac_f64_e32 v[2:3], v[6:7], v[162:163]
	v_fma_f64 v[4:5], v[4:5], v[162:163], -v[122:123]
	v_add_f64_e32 v[6:7], v[18:19], v[16:17]
	v_add_f64_e32 v[16:17], v[20:21], v[124:125]
	v_fmac_f64_e32 v[22:23], v[14:15], v[8:9]
	v_fma_f64 v[8:9], v[12:13], v[8:9], -v[10:11]
	s_delay_alu instid0(VALU_DEP_4) | instskip(NEXT) | instid1(VALU_DEP_4)
	v_add_f64_e32 v[4:5], v[6:7], v[4:5]
	v_add_f64_e32 v[2:3], v[16:17], v[2:3]
	s_delay_alu instid0(VALU_DEP_2) | instskip(NEXT) | instid1(VALU_DEP_2)
	v_add_f64_e32 v[4:5], v[4:5], v[8:9]
	v_add_f64_e32 v[6:7], v[2:3], v[22:23]
	s_delay_alu instid0(VALU_DEP_2) | instskip(NEXT) | instid1(VALU_DEP_2)
	v_add_f64_e64 v[2:3], v[154:155], -v[4:5]
	v_add_f64_e64 v[4:5], v[156:157], -v[6:7]
	scratch_store_b128 off, v[2:5], off offset:528
	s_wait_xcnt 0x0
	v_cmpx_lt_u32_e32 32, v1
	s_cbranch_execz .LBB111_237
; %bb.236:
	scratch_load_b128 v[2:5], off, s31
	v_mov_b32_e32 v6, 0
	s_delay_alu instid0(VALU_DEP_1)
	v_dual_mov_b32 v7, v6 :: v_dual_mov_b32 v8, v6
	v_mov_b32_e32 v9, v6
	scratch_store_b128 off, v[6:9], off offset:512
	s_wait_loadcnt 0x0
	ds_store_b128 v120, v[2:5]
.LBB111_237:
	s_wait_xcnt 0x0
	s_or_b32 exec_lo, exec_lo, s2
	s_wait_storecnt_dscnt 0x0
	s_barrier_signal -1
	s_barrier_wait -1
	s_clause 0x9
	scratch_load_b128 v[4:7], off, off offset:528
	scratch_load_b128 v[8:11], off, off offset:544
	;; [unrolled: 1-line block ×10, first 2 shown]
	v_mov_b32_e32 v2, 0
	s_mov_b32 s2, exec_lo
	ds_load_b128 v[142:145], v2 offset:1296
	s_clause 0x2
	scratch_load_b128 v[146:149], off, off offset:688
	scratch_load_b128 v[150:153], off, off offset:512
	;; [unrolled: 1-line block ×3, first 2 shown]
	s_wait_loadcnt_dscnt 0xc00
	v_mul_f64_e32 v[162:163], v[144:145], v[6:7]
	v_mul_f64_e32 v[166:167], v[142:143], v[6:7]
	ds_load_b128 v[154:157], v2 offset:1312
	v_fma_f64 v[170:171], v[142:143], v[4:5], -v[162:163]
	v_fmac_f64_e32 v[166:167], v[144:145], v[4:5]
	ds_load_b128 v[4:7], v2 offset:1328
	s_wait_loadcnt_dscnt 0xb01
	v_mul_f64_e32 v[168:169], v[154:155], v[10:11]
	v_mul_f64_e32 v[10:11], v[156:157], v[10:11]
	scratch_load_b128 v[142:145], off, off offset:720
	ds_load_b128 v[162:165], v2 offset:1344
	s_wait_loadcnt_dscnt 0xb01
	v_mul_f64_e32 v[172:173], v[4:5], v[14:15]
	v_mul_f64_e32 v[14:15], v[6:7], v[14:15]
	v_add_f64_e32 v[166:167], 0, v[166:167]
	v_fmac_f64_e32 v[168:169], v[156:157], v[8:9]
	v_fma_f64 v[154:155], v[154:155], v[8:9], -v[10:11]
	v_add_f64_e32 v[156:157], 0, v[170:171]
	scratch_load_b128 v[8:11], off, off offset:736
	v_fmac_f64_e32 v[172:173], v[6:7], v[12:13]
	v_fma_f64 v[174:175], v[4:5], v[12:13], -v[14:15]
	ds_load_b128 v[4:7], v2 offset:1360
	s_wait_loadcnt_dscnt 0xb01
	v_mul_f64_e32 v[170:171], v[162:163], v[18:19]
	v_mul_f64_e32 v[18:19], v[164:165], v[18:19]
	scratch_load_b128 v[12:15], off, off offset:752
	v_add_f64_e32 v[166:167], v[166:167], v[168:169]
	v_add_f64_e32 v[176:177], v[156:157], v[154:155]
	ds_load_b128 v[154:157], v2 offset:1376
	s_wait_loadcnt_dscnt 0xb01
	v_mul_f64_e32 v[168:169], v[4:5], v[22:23]
	v_mul_f64_e32 v[22:23], v[6:7], v[22:23]
	v_fmac_f64_e32 v[170:171], v[164:165], v[16:17]
	v_fma_f64 v[16:17], v[162:163], v[16:17], -v[18:19]
	s_wait_loadcnt_dscnt 0xa00
	v_mul_f64_e32 v[164:165], v[154:155], v[124:125]
	v_mul_f64_e32 v[124:125], v[156:157], v[124:125]
	v_add_f64_e32 v[162:163], v[166:167], v[172:173]
	v_add_f64_e32 v[18:19], v[176:177], v[174:175]
	v_fmac_f64_e32 v[168:169], v[6:7], v[20:21]
	v_fma_f64 v[20:21], v[4:5], v[20:21], -v[22:23]
	v_fmac_f64_e32 v[164:165], v[156:157], v[122:123]
	v_fma_f64 v[122:123], v[154:155], v[122:123], -v[124:125]
	v_add_f64_e32 v[162:163], v[162:163], v[170:171]
	v_add_f64_e32 v[22:23], v[18:19], v[16:17]
	ds_load_b128 v[4:7], v2 offset:1392
	ds_load_b128 v[16:19], v2 offset:1408
	s_wait_loadcnt_dscnt 0x901
	v_mul_f64_e32 v[166:167], v[4:5], v[128:129]
	v_mul_f64_e32 v[128:129], v[6:7], v[128:129]
	s_wait_loadcnt_dscnt 0x800
	v_mul_f64_e32 v[124:125], v[16:17], v[132:133]
	v_mul_f64_e32 v[132:133], v[18:19], v[132:133]
	v_add_f64_e32 v[20:21], v[22:23], v[20:21]
	v_add_f64_e32 v[22:23], v[162:163], v[168:169]
	v_fmac_f64_e32 v[166:167], v[6:7], v[126:127]
	v_fma_f64 v[126:127], v[4:5], v[126:127], -v[128:129]
	v_fmac_f64_e32 v[124:125], v[18:19], v[130:131]
	v_fma_f64 v[16:17], v[16:17], v[130:131], -v[132:133]
	v_add_f64_e32 v[122:123], v[20:21], v[122:123]
	v_add_f64_e32 v[128:129], v[22:23], v[164:165]
	ds_load_b128 v[4:7], v2 offset:1424
	ds_load_b128 v[20:23], v2 offset:1440
	s_wait_loadcnt_dscnt 0x701
	v_mul_f64_e32 v[154:155], v[4:5], v[136:137]
	v_mul_f64_e32 v[136:137], v[6:7], v[136:137]
	v_add_f64_e32 v[18:19], v[122:123], v[126:127]
	v_add_f64_e32 v[122:123], v[128:129], v[166:167]
	s_wait_loadcnt_dscnt 0x600
	v_mul_f64_e32 v[126:127], v[20:21], v[140:141]
	v_mul_f64_e32 v[128:129], v[22:23], v[140:141]
	v_fmac_f64_e32 v[154:155], v[6:7], v[134:135]
	v_fma_f64 v[130:131], v[4:5], v[134:135], -v[136:137]
	v_add_f64_e32 v[132:133], v[18:19], v[16:17]
	v_add_f64_e32 v[122:123], v[122:123], v[124:125]
	ds_load_b128 v[4:7], v2 offset:1456
	ds_load_b128 v[16:19], v2 offset:1472
	v_fmac_f64_e32 v[126:127], v[22:23], v[138:139]
	v_fma_f64 v[20:21], v[20:21], v[138:139], -v[128:129]
	s_wait_loadcnt_dscnt 0x501
	v_mul_f64_e32 v[124:125], v[4:5], v[148:149]
	v_mul_f64_e32 v[134:135], v[6:7], v[148:149]
	s_wait_loadcnt_dscnt 0x300
	v_mul_f64_e32 v[128:129], v[16:17], v[160:161]
	v_add_f64_e32 v[22:23], v[132:133], v[130:131]
	v_add_f64_e32 v[122:123], v[122:123], v[154:155]
	v_mul_f64_e32 v[130:131], v[18:19], v[160:161]
	v_fmac_f64_e32 v[124:125], v[6:7], v[146:147]
	v_fma_f64 v[132:133], v[4:5], v[146:147], -v[134:135]
	v_fmac_f64_e32 v[128:129], v[18:19], v[158:159]
	v_add_f64_e32 v[134:135], v[22:23], v[20:21]
	v_add_f64_e32 v[122:123], v[122:123], v[126:127]
	ds_load_b128 v[4:7], v2 offset:1488
	ds_load_b128 v[20:23], v2 offset:1504
	v_fma_f64 v[16:17], v[16:17], v[158:159], -v[130:131]
	s_wait_loadcnt_dscnt 0x201
	v_mul_f64_e32 v[126:127], v[4:5], v[144:145]
	v_mul_f64_e32 v[136:137], v[6:7], v[144:145]
	v_add_f64_e32 v[18:19], v[134:135], v[132:133]
	v_add_f64_e32 v[122:123], v[122:123], v[124:125]
	s_wait_loadcnt_dscnt 0x100
	v_mul_f64_e32 v[124:125], v[20:21], v[10:11]
	v_mul_f64_e32 v[10:11], v[22:23], v[10:11]
	v_fmac_f64_e32 v[126:127], v[6:7], v[142:143]
	v_fma_f64 v[130:131], v[4:5], v[142:143], -v[136:137]
	ds_load_b128 v[4:7], v2 offset:1520
	v_add_f64_e32 v[16:17], v[18:19], v[16:17]
	v_add_f64_e32 v[18:19], v[122:123], v[128:129]
	v_fmac_f64_e32 v[124:125], v[22:23], v[8:9]
	v_fma_f64 v[8:9], v[20:21], v[8:9], -v[10:11]
	s_wait_loadcnt_dscnt 0x0
	v_mul_f64_e32 v[122:123], v[4:5], v[14:15]
	v_mul_f64_e32 v[14:15], v[6:7], v[14:15]
	v_add_f64_e32 v[10:11], v[16:17], v[130:131]
	v_add_f64_e32 v[16:17], v[18:19], v[126:127]
	s_delay_alu instid0(VALU_DEP_4) | instskip(NEXT) | instid1(VALU_DEP_4)
	v_fmac_f64_e32 v[122:123], v[6:7], v[12:13]
	v_fma_f64 v[4:5], v[4:5], v[12:13], -v[14:15]
	s_delay_alu instid0(VALU_DEP_4) | instskip(NEXT) | instid1(VALU_DEP_4)
	v_add_f64_e32 v[6:7], v[10:11], v[8:9]
	v_add_f64_e32 v[8:9], v[16:17], v[124:125]
	s_delay_alu instid0(VALU_DEP_2) | instskip(NEXT) | instid1(VALU_DEP_2)
	v_add_f64_e32 v[4:5], v[6:7], v[4:5]
	v_add_f64_e32 v[6:7], v[8:9], v[122:123]
	s_delay_alu instid0(VALU_DEP_2) | instskip(NEXT) | instid1(VALU_DEP_2)
	v_add_f64_e64 v[4:5], v[150:151], -v[4:5]
	v_add_f64_e64 v[6:7], v[152:153], -v[6:7]
	scratch_store_b128 off, v[4:7], off offset:512
	s_wait_xcnt 0x0
	v_cmpx_lt_u32_e32 31, v1
	s_cbranch_execz .LBB111_239
; %bb.238:
	scratch_load_b128 v[6:9], off, s33
	v_dual_mov_b32 v3, v2 :: v_dual_mov_b32 v4, v2
	v_mov_b32_e32 v5, v2
	scratch_store_b128 off, v[2:5], off offset:496
	s_wait_loadcnt 0x0
	ds_store_b128 v120, v[6:9]
.LBB111_239:
	s_wait_xcnt 0x0
	s_or_b32 exec_lo, exec_lo, s2
	s_wait_storecnt_dscnt 0x0
	s_barrier_signal -1
	s_barrier_wait -1
	s_clause 0x9
	scratch_load_b128 v[4:7], off, off offset:512
	scratch_load_b128 v[8:11], off, off offset:528
	;; [unrolled: 1-line block ×10, first 2 shown]
	ds_load_b128 v[142:145], v2 offset:1280
	ds_load_b128 v[150:153], v2 offset:1296
	s_clause 0x2
	scratch_load_b128 v[146:149], off, off offset:672
	scratch_load_b128 v[154:157], off, off offset:496
	;; [unrolled: 1-line block ×3, first 2 shown]
	s_mov_b32 s2, exec_lo
	s_wait_loadcnt_dscnt 0xc01
	v_mul_f64_e32 v[162:163], v[144:145], v[6:7]
	v_mul_f64_e32 v[166:167], v[142:143], v[6:7]
	s_wait_loadcnt_dscnt 0xb00
	v_mul_f64_e32 v[168:169], v[150:151], v[10:11]
	v_mul_f64_e32 v[10:11], v[152:153], v[10:11]
	s_delay_alu instid0(VALU_DEP_4) | instskip(NEXT) | instid1(VALU_DEP_4)
	v_fma_f64 v[170:171], v[142:143], v[4:5], -v[162:163]
	v_fmac_f64_e32 v[166:167], v[144:145], v[4:5]
	ds_load_b128 v[4:7], v2 offset:1312
	ds_load_b128 v[142:145], v2 offset:1328
	scratch_load_b128 v[162:165], off, off offset:704
	v_fmac_f64_e32 v[168:169], v[152:153], v[8:9]
	v_fma_f64 v[150:151], v[150:151], v[8:9], -v[10:11]
	scratch_load_b128 v[8:11], off, off offset:720
	s_wait_loadcnt_dscnt 0xc01
	v_mul_f64_e32 v[172:173], v[4:5], v[14:15]
	v_mul_f64_e32 v[14:15], v[6:7], v[14:15]
	v_add_f64_e32 v[152:153], 0, v[170:171]
	v_add_f64_e32 v[166:167], 0, v[166:167]
	s_wait_loadcnt_dscnt 0xb00
	v_mul_f64_e32 v[170:171], v[142:143], v[18:19]
	v_mul_f64_e32 v[18:19], v[144:145], v[18:19]
	v_fmac_f64_e32 v[172:173], v[6:7], v[12:13]
	v_fma_f64 v[174:175], v[4:5], v[12:13], -v[14:15]
	ds_load_b128 v[4:7], v2 offset:1344
	ds_load_b128 v[12:15], v2 offset:1360
	v_add_f64_e32 v[176:177], v[152:153], v[150:151]
	v_add_f64_e32 v[166:167], v[166:167], v[168:169]
	scratch_load_b128 v[150:153], off, off offset:736
	v_fmac_f64_e32 v[170:171], v[144:145], v[16:17]
	v_fma_f64 v[142:143], v[142:143], v[16:17], -v[18:19]
	scratch_load_b128 v[16:19], off, off offset:752
	s_wait_loadcnt_dscnt 0xc01
	v_mul_f64_e32 v[168:169], v[4:5], v[22:23]
	v_mul_f64_e32 v[22:23], v[6:7], v[22:23]
	v_add_f64_e32 v[144:145], v[176:177], v[174:175]
	v_add_f64_e32 v[166:167], v[166:167], v[172:173]
	s_wait_loadcnt_dscnt 0xb00
	v_mul_f64_e32 v[172:173], v[12:13], v[124:125]
	v_mul_f64_e32 v[124:125], v[14:15], v[124:125]
	v_fmac_f64_e32 v[168:169], v[6:7], v[20:21]
	v_fma_f64 v[174:175], v[4:5], v[20:21], -v[22:23]
	ds_load_b128 v[4:7], v2 offset:1376
	ds_load_b128 v[20:23], v2 offset:1392
	v_add_f64_e32 v[142:143], v[144:145], v[142:143]
	v_add_f64_e32 v[144:145], v[166:167], v[170:171]
	s_wait_loadcnt_dscnt 0xa01
	v_mul_f64_e32 v[166:167], v[4:5], v[128:129]
	v_mul_f64_e32 v[128:129], v[6:7], v[128:129]
	v_fmac_f64_e32 v[172:173], v[14:15], v[122:123]
	v_fma_f64 v[12:13], v[12:13], v[122:123], -v[124:125]
	s_wait_loadcnt_dscnt 0x900
	v_mul_f64_e32 v[124:125], v[20:21], v[132:133]
	v_mul_f64_e32 v[132:133], v[22:23], v[132:133]
	v_add_f64_e32 v[14:15], v[142:143], v[174:175]
	v_add_f64_e32 v[122:123], v[144:145], v[168:169]
	v_fmac_f64_e32 v[166:167], v[6:7], v[126:127]
	v_fma_f64 v[126:127], v[4:5], v[126:127], -v[128:129]
	v_fmac_f64_e32 v[124:125], v[22:23], v[130:131]
	v_fma_f64 v[20:21], v[20:21], v[130:131], -v[132:133]
	v_add_f64_e32 v[128:129], v[14:15], v[12:13]
	v_add_f64_e32 v[122:123], v[122:123], v[172:173]
	ds_load_b128 v[4:7], v2 offset:1408
	ds_load_b128 v[12:15], v2 offset:1424
	s_wait_loadcnt_dscnt 0x801
	v_mul_f64_e32 v[142:143], v[4:5], v[136:137]
	v_mul_f64_e32 v[136:137], v[6:7], v[136:137]
	v_add_f64_e32 v[22:23], v[128:129], v[126:127]
	v_add_f64_e32 v[122:123], v[122:123], v[166:167]
	s_wait_loadcnt_dscnt 0x700
	v_mul_f64_e32 v[126:127], v[12:13], v[140:141]
	v_mul_f64_e32 v[128:129], v[14:15], v[140:141]
	v_fmac_f64_e32 v[142:143], v[6:7], v[134:135]
	v_fma_f64 v[130:131], v[4:5], v[134:135], -v[136:137]
	v_add_f64_e32 v[132:133], v[22:23], v[20:21]
	v_add_f64_e32 v[122:123], v[122:123], v[124:125]
	ds_load_b128 v[4:7], v2 offset:1440
	ds_load_b128 v[20:23], v2 offset:1456
	v_fmac_f64_e32 v[126:127], v[14:15], v[138:139]
	v_fma_f64 v[12:13], v[12:13], v[138:139], -v[128:129]
	s_wait_loadcnt_dscnt 0x601
	v_mul_f64_e32 v[124:125], v[4:5], v[148:149]
	v_mul_f64_e32 v[134:135], v[6:7], v[148:149]
	s_wait_loadcnt_dscnt 0x400
	v_mul_f64_e32 v[128:129], v[20:21], v[160:161]
	v_add_f64_e32 v[14:15], v[132:133], v[130:131]
	v_add_f64_e32 v[122:123], v[122:123], v[142:143]
	v_mul_f64_e32 v[130:131], v[22:23], v[160:161]
	v_fmac_f64_e32 v[124:125], v[6:7], v[146:147]
	v_fma_f64 v[132:133], v[4:5], v[146:147], -v[134:135]
	v_fmac_f64_e32 v[128:129], v[22:23], v[158:159]
	v_add_f64_e32 v[134:135], v[14:15], v[12:13]
	v_add_f64_e32 v[122:123], v[122:123], v[126:127]
	ds_load_b128 v[4:7], v2 offset:1472
	ds_load_b128 v[12:15], v2 offset:1488
	v_fma_f64 v[20:21], v[20:21], v[158:159], -v[130:131]
	s_wait_loadcnt_dscnt 0x301
	v_mul_f64_e32 v[126:127], v[4:5], v[164:165]
	v_mul_f64_e32 v[136:137], v[6:7], v[164:165]
	v_add_f64_e32 v[22:23], v[134:135], v[132:133]
	v_add_f64_e32 v[122:123], v[122:123], v[124:125]
	s_wait_loadcnt_dscnt 0x200
	v_mul_f64_e32 v[124:125], v[12:13], v[10:11]
	v_mul_f64_e32 v[10:11], v[14:15], v[10:11]
	v_fmac_f64_e32 v[126:127], v[6:7], v[162:163]
	v_fma_f64 v[130:131], v[4:5], v[162:163], -v[136:137]
	v_add_f64_e32 v[132:133], v[22:23], v[20:21]
	v_add_f64_e32 v[122:123], v[122:123], v[128:129]
	ds_load_b128 v[4:7], v2 offset:1504
	ds_load_b128 v[20:23], v2 offset:1520
	v_fmac_f64_e32 v[124:125], v[14:15], v[8:9]
	v_fma_f64 v[8:9], v[12:13], v[8:9], -v[10:11]
	s_wait_loadcnt_dscnt 0x101
	v_mul_f64_e32 v[2:3], v[4:5], v[152:153]
	v_mul_f64_e32 v[128:129], v[6:7], v[152:153]
	s_wait_loadcnt_dscnt 0x0
	v_mul_f64_e32 v[14:15], v[20:21], v[18:19]
	v_mul_f64_e32 v[18:19], v[22:23], v[18:19]
	v_add_f64_e32 v[10:11], v[132:133], v[130:131]
	v_add_f64_e32 v[12:13], v[122:123], v[126:127]
	v_fmac_f64_e32 v[2:3], v[6:7], v[150:151]
	v_fma_f64 v[4:5], v[4:5], v[150:151], -v[128:129]
	v_fmac_f64_e32 v[14:15], v[22:23], v[16:17]
	v_add_f64_e32 v[6:7], v[10:11], v[8:9]
	v_add_f64_e32 v[8:9], v[12:13], v[124:125]
	v_fma_f64 v[10:11], v[20:21], v[16:17], -v[18:19]
	s_delay_alu instid0(VALU_DEP_3) | instskip(NEXT) | instid1(VALU_DEP_3)
	v_add_f64_e32 v[4:5], v[6:7], v[4:5]
	v_add_f64_e32 v[2:3], v[8:9], v[2:3]
	s_delay_alu instid0(VALU_DEP_2) | instskip(NEXT) | instid1(VALU_DEP_2)
	v_add_f64_e32 v[4:5], v[4:5], v[10:11]
	v_add_f64_e32 v[6:7], v[2:3], v[14:15]
	s_delay_alu instid0(VALU_DEP_2) | instskip(NEXT) | instid1(VALU_DEP_2)
	v_add_f64_e64 v[2:3], v[154:155], -v[4:5]
	v_add_f64_e64 v[4:5], v[156:157], -v[6:7]
	scratch_store_b128 off, v[2:5], off offset:496
	s_wait_xcnt 0x0
	v_cmpx_lt_u32_e32 30, v1
	s_cbranch_execz .LBB111_241
; %bb.240:
	scratch_load_b128 v[2:5], off, s34
	v_mov_b32_e32 v6, 0
	s_delay_alu instid0(VALU_DEP_1)
	v_dual_mov_b32 v7, v6 :: v_dual_mov_b32 v8, v6
	v_mov_b32_e32 v9, v6
	scratch_store_b128 off, v[6:9], off offset:480
	s_wait_loadcnt 0x0
	ds_store_b128 v120, v[2:5]
.LBB111_241:
	s_wait_xcnt 0x0
	s_or_b32 exec_lo, exec_lo, s2
	s_wait_storecnt_dscnt 0x0
	s_barrier_signal -1
	s_barrier_wait -1
	s_clause 0x9
	scratch_load_b128 v[4:7], off, off offset:496
	scratch_load_b128 v[8:11], off, off offset:512
	;; [unrolled: 1-line block ×10, first 2 shown]
	v_mov_b32_e32 v2, 0
	s_mov_b32 s2, exec_lo
	ds_load_b128 v[142:145], v2 offset:1264
	s_clause 0x2
	scratch_load_b128 v[146:149], off, off offset:656
	scratch_load_b128 v[150:153], off, off offset:480
	;; [unrolled: 1-line block ×3, first 2 shown]
	s_wait_loadcnt_dscnt 0xc00
	v_mul_f64_e32 v[162:163], v[144:145], v[6:7]
	v_mul_f64_e32 v[166:167], v[142:143], v[6:7]
	ds_load_b128 v[154:157], v2 offset:1280
	v_fma_f64 v[170:171], v[142:143], v[4:5], -v[162:163]
	v_fmac_f64_e32 v[166:167], v[144:145], v[4:5]
	ds_load_b128 v[4:7], v2 offset:1296
	s_wait_loadcnt_dscnt 0xb01
	v_mul_f64_e32 v[168:169], v[154:155], v[10:11]
	v_mul_f64_e32 v[10:11], v[156:157], v[10:11]
	scratch_load_b128 v[142:145], off, off offset:688
	ds_load_b128 v[162:165], v2 offset:1312
	s_wait_loadcnt_dscnt 0xb01
	v_mul_f64_e32 v[172:173], v[4:5], v[14:15]
	v_mul_f64_e32 v[14:15], v[6:7], v[14:15]
	v_add_f64_e32 v[166:167], 0, v[166:167]
	v_fmac_f64_e32 v[168:169], v[156:157], v[8:9]
	v_fma_f64 v[154:155], v[154:155], v[8:9], -v[10:11]
	v_add_f64_e32 v[156:157], 0, v[170:171]
	scratch_load_b128 v[8:11], off, off offset:704
	v_fmac_f64_e32 v[172:173], v[6:7], v[12:13]
	v_fma_f64 v[174:175], v[4:5], v[12:13], -v[14:15]
	ds_load_b128 v[4:7], v2 offset:1328
	s_wait_loadcnt_dscnt 0xb01
	v_mul_f64_e32 v[170:171], v[162:163], v[18:19]
	v_mul_f64_e32 v[18:19], v[164:165], v[18:19]
	scratch_load_b128 v[12:15], off, off offset:720
	v_add_f64_e32 v[166:167], v[166:167], v[168:169]
	v_add_f64_e32 v[176:177], v[156:157], v[154:155]
	ds_load_b128 v[154:157], v2 offset:1344
	s_wait_loadcnt_dscnt 0xb01
	v_mul_f64_e32 v[168:169], v[4:5], v[22:23]
	v_mul_f64_e32 v[22:23], v[6:7], v[22:23]
	v_fmac_f64_e32 v[170:171], v[164:165], v[16:17]
	v_fma_f64 v[162:163], v[162:163], v[16:17], -v[18:19]
	scratch_load_b128 v[16:19], off, off offset:736
	v_add_f64_e32 v[166:167], v[166:167], v[172:173]
	v_add_f64_e32 v[164:165], v[176:177], v[174:175]
	v_fmac_f64_e32 v[168:169], v[6:7], v[20:21]
	v_fma_f64 v[174:175], v[4:5], v[20:21], -v[22:23]
	ds_load_b128 v[4:7], v2 offset:1360
	s_wait_loadcnt_dscnt 0xb01
	v_mul_f64_e32 v[172:173], v[154:155], v[124:125]
	v_mul_f64_e32 v[124:125], v[156:157], v[124:125]
	scratch_load_b128 v[20:23], off, off offset:752
	v_add_f64_e32 v[166:167], v[166:167], v[170:171]
	s_wait_loadcnt_dscnt 0xb00
	v_mul_f64_e32 v[170:171], v[4:5], v[128:129]
	v_add_f64_e32 v[176:177], v[164:165], v[162:163]
	v_mul_f64_e32 v[128:129], v[6:7], v[128:129]
	ds_load_b128 v[162:165], v2 offset:1376
	v_fmac_f64_e32 v[172:173], v[156:157], v[122:123]
	v_fma_f64 v[122:123], v[154:155], v[122:123], -v[124:125]
	s_wait_loadcnt_dscnt 0xa00
	v_mul_f64_e32 v[156:157], v[162:163], v[132:133]
	v_mul_f64_e32 v[132:133], v[164:165], v[132:133]
	v_add_f64_e32 v[154:155], v[166:167], v[168:169]
	v_fmac_f64_e32 v[170:171], v[6:7], v[126:127]
	v_add_f64_e32 v[124:125], v[176:177], v[174:175]
	v_fma_f64 v[126:127], v[4:5], v[126:127], -v[128:129]
	v_fmac_f64_e32 v[156:157], v[164:165], v[130:131]
	v_fma_f64 v[130:131], v[162:163], v[130:131], -v[132:133]
	v_add_f64_e32 v[154:155], v[154:155], v[172:173]
	v_add_f64_e32 v[128:129], v[124:125], v[122:123]
	ds_load_b128 v[4:7], v2 offset:1392
	ds_load_b128 v[122:125], v2 offset:1408
	s_wait_loadcnt_dscnt 0x901
	v_mul_f64_e32 v[166:167], v[4:5], v[136:137]
	v_mul_f64_e32 v[136:137], v[6:7], v[136:137]
	s_wait_loadcnt_dscnt 0x800
	v_mul_f64_e32 v[132:133], v[122:123], v[140:141]
	v_mul_f64_e32 v[140:141], v[124:125], v[140:141]
	v_add_f64_e32 v[126:127], v[128:129], v[126:127]
	v_add_f64_e32 v[128:129], v[154:155], v[170:171]
	v_fmac_f64_e32 v[166:167], v[6:7], v[134:135]
	v_fma_f64 v[134:135], v[4:5], v[134:135], -v[136:137]
	v_fmac_f64_e32 v[132:133], v[124:125], v[138:139]
	v_fma_f64 v[122:123], v[122:123], v[138:139], -v[140:141]
	v_add_f64_e32 v[130:131], v[126:127], v[130:131]
	v_add_f64_e32 v[136:137], v[128:129], v[156:157]
	ds_load_b128 v[4:7], v2 offset:1424
	ds_load_b128 v[126:129], v2 offset:1440
	s_wait_loadcnt_dscnt 0x701
	v_mul_f64_e32 v[154:155], v[4:5], v[148:149]
	v_mul_f64_e32 v[148:149], v[6:7], v[148:149]
	v_add_f64_e32 v[124:125], v[130:131], v[134:135]
	v_add_f64_e32 v[130:131], v[136:137], v[166:167]
	s_wait_loadcnt_dscnt 0x500
	v_mul_f64_e32 v[134:135], v[126:127], v[160:161]
	v_mul_f64_e32 v[136:137], v[128:129], v[160:161]
	v_fmac_f64_e32 v[154:155], v[6:7], v[146:147]
	v_fma_f64 v[138:139], v[4:5], v[146:147], -v[148:149]
	v_add_f64_e32 v[140:141], v[124:125], v[122:123]
	v_add_f64_e32 v[130:131], v[130:131], v[132:133]
	ds_load_b128 v[4:7], v2 offset:1456
	ds_load_b128 v[122:125], v2 offset:1472
	v_fmac_f64_e32 v[134:135], v[128:129], v[158:159]
	v_fma_f64 v[126:127], v[126:127], v[158:159], -v[136:137]
	s_wait_loadcnt_dscnt 0x401
	v_mul_f64_e32 v[132:133], v[4:5], v[144:145]
	v_mul_f64_e32 v[144:145], v[6:7], v[144:145]
	v_add_f64_e32 v[128:129], v[140:141], v[138:139]
	v_add_f64_e32 v[130:131], v[130:131], v[154:155]
	s_wait_loadcnt_dscnt 0x300
	v_mul_f64_e32 v[136:137], v[122:123], v[10:11]
	v_mul_f64_e32 v[10:11], v[124:125], v[10:11]
	v_fmac_f64_e32 v[132:133], v[6:7], v[142:143]
	v_fma_f64 v[138:139], v[4:5], v[142:143], -v[144:145]
	v_add_f64_e32 v[140:141], v[128:129], v[126:127]
	v_add_f64_e32 v[130:131], v[130:131], v[134:135]
	ds_load_b128 v[4:7], v2 offset:1488
	ds_load_b128 v[126:129], v2 offset:1504
	v_fmac_f64_e32 v[136:137], v[124:125], v[8:9]
	v_fma_f64 v[8:9], v[122:123], v[8:9], -v[10:11]
	s_wait_loadcnt_dscnt 0x201
	v_mul_f64_e32 v[134:135], v[4:5], v[14:15]
	v_mul_f64_e32 v[14:15], v[6:7], v[14:15]
	s_wait_loadcnt_dscnt 0x100
	v_mul_f64_e32 v[124:125], v[126:127], v[18:19]
	v_mul_f64_e32 v[18:19], v[128:129], v[18:19]
	v_add_f64_e32 v[10:11], v[140:141], v[138:139]
	v_add_f64_e32 v[122:123], v[130:131], v[132:133]
	v_fmac_f64_e32 v[134:135], v[6:7], v[12:13]
	v_fma_f64 v[12:13], v[4:5], v[12:13], -v[14:15]
	ds_load_b128 v[4:7], v2 offset:1520
	v_fmac_f64_e32 v[124:125], v[128:129], v[16:17]
	v_fma_f64 v[16:17], v[126:127], v[16:17], -v[18:19]
	v_add_f64_e32 v[8:9], v[10:11], v[8:9]
	v_add_f64_e32 v[10:11], v[122:123], v[136:137]
	s_wait_loadcnt_dscnt 0x0
	v_mul_f64_e32 v[14:15], v[4:5], v[22:23]
	v_mul_f64_e32 v[22:23], v[6:7], v[22:23]
	s_delay_alu instid0(VALU_DEP_4) | instskip(NEXT) | instid1(VALU_DEP_4)
	v_add_f64_e32 v[8:9], v[8:9], v[12:13]
	v_add_f64_e32 v[10:11], v[10:11], v[134:135]
	s_delay_alu instid0(VALU_DEP_4) | instskip(NEXT) | instid1(VALU_DEP_4)
	v_fmac_f64_e32 v[14:15], v[6:7], v[20:21]
	v_fma_f64 v[4:5], v[4:5], v[20:21], -v[22:23]
	s_delay_alu instid0(VALU_DEP_4) | instskip(NEXT) | instid1(VALU_DEP_4)
	v_add_f64_e32 v[6:7], v[8:9], v[16:17]
	v_add_f64_e32 v[8:9], v[10:11], v[124:125]
	s_delay_alu instid0(VALU_DEP_2) | instskip(NEXT) | instid1(VALU_DEP_2)
	v_add_f64_e32 v[4:5], v[6:7], v[4:5]
	v_add_f64_e32 v[6:7], v[8:9], v[14:15]
	s_delay_alu instid0(VALU_DEP_2) | instskip(NEXT) | instid1(VALU_DEP_2)
	v_add_f64_e64 v[4:5], v[150:151], -v[4:5]
	v_add_f64_e64 v[6:7], v[152:153], -v[6:7]
	scratch_store_b128 off, v[4:7], off offset:480
	s_wait_xcnt 0x0
	v_cmpx_lt_u32_e32 29, v1
	s_cbranch_execz .LBB111_243
; %bb.242:
	scratch_load_b128 v[6:9], off, s35
	v_dual_mov_b32 v3, v2 :: v_dual_mov_b32 v4, v2
	v_mov_b32_e32 v5, v2
	scratch_store_b128 off, v[2:5], off offset:464
	s_wait_loadcnt 0x0
	ds_store_b128 v120, v[6:9]
.LBB111_243:
	s_wait_xcnt 0x0
	s_or_b32 exec_lo, exec_lo, s2
	s_wait_storecnt_dscnt 0x0
	s_barrier_signal -1
	s_barrier_wait -1
	s_clause 0x9
	scratch_load_b128 v[4:7], off, off offset:480
	scratch_load_b128 v[8:11], off, off offset:496
	;; [unrolled: 1-line block ×10, first 2 shown]
	ds_load_b128 v[142:145], v2 offset:1248
	ds_load_b128 v[150:153], v2 offset:1264
	s_clause 0x2
	scratch_load_b128 v[146:149], off, off offset:640
	scratch_load_b128 v[154:157], off, off offset:464
	;; [unrolled: 1-line block ×3, first 2 shown]
	s_mov_b32 s2, exec_lo
	s_wait_loadcnt_dscnt 0xc01
	v_mul_f64_e32 v[162:163], v[144:145], v[6:7]
	v_mul_f64_e32 v[166:167], v[142:143], v[6:7]
	s_wait_loadcnt_dscnt 0xb00
	v_mul_f64_e32 v[168:169], v[150:151], v[10:11]
	v_mul_f64_e32 v[10:11], v[152:153], v[10:11]
	s_delay_alu instid0(VALU_DEP_4) | instskip(NEXT) | instid1(VALU_DEP_4)
	v_fma_f64 v[170:171], v[142:143], v[4:5], -v[162:163]
	v_fmac_f64_e32 v[166:167], v[144:145], v[4:5]
	ds_load_b128 v[4:7], v2 offset:1280
	ds_load_b128 v[142:145], v2 offset:1296
	scratch_load_b128 v[162:165], off, off offset:672
	v_fmac_f64_e32 v[168:169], v[152:153], v[8:9]
	v_fma_f64 v[150:151], v[150:151], v[8:9], -v[10:11]
	scratch_load_b128 v[8:11], off, off offset:688
	s_wait_loadcnt_dscnt 0xc01
	v_mul_f64_e32 v[172:173], v[4:5], v[14:15]
	v_mul_f64_e32 v[14:15], v[6:7], v[14:15]
	v_add_f64_e32 v[152:153], 0, v[170:171]
	v_add_f64_e32 v[166:167], 0, v[166:167]
	s_wait_loadcnt_dscnt 0xb00
	v_mul_f64_e32 v[170:171], v[142:143], v[18:19]
	v_mul_f64_e32 v[18:19], v[144:145], v[18:19]
	v_fmac_f64_e32 v[172:173], v[6:7], v[12:13]
	v_fma_f64 v[174:175], v[4:5], v[12:13], -v[14:15]
	ds_load_b128 v[4:7], v2 offset:1312
	ds_load_b128 v[12:15], v2 offset:1328
	v_add_f64_e32 v[176:177], v[152:153], v[150:151]
	v_add_f64_e32 v[166:167], v[166:167], v[168:169]
	scratch_load_b128 v[150:153], off, off offset:704
	v_fmac_f64_e32 v[170:171], v[144:145], v[16:17]
	v_fma_f64 v[142:143], v[142:143], v[16:17], -v[18:19]
	scratch_load_b128 v[16:19], off, off offset:720
	s_wait_loadcnt_dscnt 0xc01
	v_mul_f64_e32 v[168:169], v[4:5], v[22:23]
	v_mul_f64_e32 v[22:23], v[6:7], v[22:23]
	v_add_f64_e32 v[144:145], v[176:177], v[174:175]
	v_add_f64_e32 v[166:167], v[166:167], v[172:173]
	s_wait_loadcnt_dscnt 0xb00
	v_mul_f64_e32 v[172:173], v[12:13], v[124:125]
	v_mul_f64_e32 v[124:125], v[14:15], v[124:125]
	v_fmac_f64_e32 v[168:169], v[6:7], v[20:21]
	v_fma_f64 v[174:175], v[4:5], v[20:21], -v[22:23]
	ds_load_b128 v[4:7], v2 offset:1344
	ds_load_b128 v[20:23], v2 offset:1360
	v_add_f64_e32 v[176:177], v[144:145], v[142:143]
	v_add_f64_e32 v[166:167], v[166:167], v[170:171]
	scratch_load_b128 v[142:145], off, off offset:736
	s_wait_loadcnt_dscnt 0xb01
	v_mul_f64_e32 v[170:171], v[4:5], v[128:129]
	v_mul_f64_e32 v[128:129], v[6:7], v[128:129]
	v_fmac_f64_e32 v[172:173], v[14:15], v[122:123]
	v_fma_f64 v[122:123], v[12:13], v[122:123], -v[124:125]
	scratch_load_b128 v[12:15], off, off offset:752
	v_add_f64_e32 v[124:125], v[176:177], v[174:175]
	v_add_f64_e32 v[166:167], v[166:167], v[168:169]
	s_wait_loadcnt_dscnt 0xb00
	v_mul_f64_e32 v[168:169], v[20:21], v[132:133]
	v_mul_f64_e32 v[132:133], v[22:23], v[132:133]
	v_fmac_f64_e32 v[170:171], v[6:7], v[126:127]
	v_fma_f64 v[126:127], v[4:5], v[126:127], -v[128:129]
	v_add_f64_e32 v[128:129], v[124:125], v[122:123]
	v_add_f64_e32 v[166:167], v[166:167], v[172:173]
	ds_load_b128 v[4:7], v2 offset:1376
	ds_load_b128 v[122:125], v2 offset:1392
	v_fmac_f64_e32 v[168:169], v[22:23], v[130:131]
	v_fma_f64 v[20:21], v[20:21], v[130:131], -v[132:133]
	s_wait_loadcnt_dscnt 0xa01
	v_mul_f64_e32 v[172:173], v[4:5], v[136:137]
	v_mul_f64_e32 v[136:137], v[6:7], v[136:137]
	s_wait_loadcnt_dscnt 0x900
	v_mul_f64_e32 v[130:131], v[124:125], v[140:141]
	v_add_f64_e32 v[22:23], v[128:129], v[126:127]
	v_add_f64_e32 v[126:127], v[166:167], v[170:171]
	v_mul_f64_e32 v[128:129], v[122:123], v[140:141]
	v_fmac_f64_e32 v[172:173], v[6:7], v[134:135]
	v_fma_f64 v[132:133], v[4:5], v[134:135], -v[136:137]
	v_fma_f64 v[122:123], v[122:123], v[138:139], -v[130:131]
	v_add_f64_e32 v[134:135], v[22:23], v[20:21]
	v_add_f64_e32 v[126:127], v[126:127], v[168:169]
	ds_load_b128 v[4:7], v2 offset:1408
	ds_load_b128 v[20:23], v2 offset:1424
	v_fmac_f64_e32 v[128:129], v[124:125], v[138:139]
	s_wait_loadcnt_dscnt 0x801
	v_mul_f64_e32 v[136:137], v[4:5], v[148:149]
	v_mul_f64_e32 v[140:141], v[6:7], v[148:149]
	s_wait_loadcnt_dscnt 0x600
	v_mul_f64_e32 v[130:131], v[20:21], v[160:161]
	v_add_f64_e32 v[124:125], v[134:135], v[132:133]
	v_add_f64_e32 v[126:127], v[126:127], v[172:173]
	v_mul_f64_e32 v[132:133], v[22:23], v[160:161]
	v_fmac_f64_e32 v[136:137], v[6:7], v[146:147]
	v_fma_f64 v[134:135], v[4:5], v[146:147], -v[140:141]
	v_fmac_f64_e32 v[130:131], v[22:23], v[158:159]
	v_add_f64_e32 v[138:139], v[124:125], v[122:123]
	v_add_f64_e32 v[126:127], v[126:127], v[128:129]
	ds_load_b128 v[4:7], v2 offset:1440
	ds_load_b128 v[122:125], v2 offset:1456
	v_fma_f64 v[20:21], v[20:21], v[158:159], -v[132:133]
	s_wait_loadcnt_dscnt 0x501
	v_mul_f64_e32 v[128:129], v[4:5], v[164:165]
	v_mul_f64_e32 v[140:141], v[6:7], v[164:165]
	s_wait_loadcnt_dscnt 0x400
	v_mul_f64_e32 v[132:133], v[122:123], v[10:11]
	v_mul_f64_e32 v[10:11], v[124:125], v[10:11]
	v_add_f64_e32 v[22:23], v[138:139], v[134:135]
	v_add_f64_e32 v[126:127], v[126:127], v[136:137]
	v_fmac_f64_e32 v[128:129], v[6:7], v[162:163]
	v_fma_f64 v[134:135], v[4:5], v[162:163], -v[140:141]
	v_fmac_f64_e32 v[132:133], v[124:125], v[8:9]
	v_fma_f64 v[8:9], v[122:123], v[8:9], -v[10:11]
	v_add_f64_e32 v[136:137], v[22:23], v[20:21]
	v_add_f64_e32 v[126:127], v[126:127], v[130:131]
	ds_load_b128 v[4:7], v2 offset:1472
	ds_load_b128 v[20:23], v2 offset:1488
	s_wait_loadcnt_dscnt 0x301
	v_mul_f64_e32 v[130:131], v[4:5], v[152:153]
	v_mul_f64_e32 v[138:139], v[6:7], v[152:153]
	s_wait_loadcnt_dscnt 0x200
	v_mul_f64_e32 v[124:125], v[20:21], v[18:19]
	v_mul_f64_e32 v[18:19], v[22:23], v[18:19]
	v_add_f64_e32 v[10:11], v[136:137], v[134:135]
	v_add_f64_e32 v[122:123], v[126:127], v[128:129]
	v_fmac_f64_e32 v[130:131], v[6:7], v[150:151]
	v_fma_f64 v[126:127], v[4:5], v[150:151], -v[138:139]
	v_fmac_f64_e32 v[124:125], v[22:23], v[16:17]
	v_fma_f64 v[16:17], v[20:21], v[16:17], -v[18:19]
	v_add_f64_e32 v[128:129], v[10:11], v[8:9]
	v_add_f64_e32 v[122:123], v[122:123], v[132:133]
	ds_load_b128 v[4:7], v2 offset:1504
	ds_load_b128 v[8:11], v2 offset:1520
	s_wait_loadcnt_dscnt 0x101
	v_mul_f64_e32 v[2:3], v[4:5], v[144:145]
	v_mul_f64_e32 v[132:133], v[6:7], v[144:145]
	s_wait_loadcnt_dscnt 0x0
	v_mul_f64_e32 v[22:23], v[8:9], v[14:15]
	v_mul_f64_e32 v[14:15], v[10:11], v[14:15]
	v_add_f64_e32 v[18:19], v[128:129], v[126:127]
	v_add_f64_e32 v[20:21], v[122:123], v[130:131]
	v_fmac_f64_e32 v[2:3], v[6:7], v[142:143]
	v_fma_f64 v[4:5], v[4:5], v[142:143], -v[132:133]
	v_fmac_f64_e32 v[22:23], v[10:11], v[12:13]
	v_fma_f64 v[8:9], v[8:9], v[12:13], -v[14:15]
	v_add_f64_e32 v[6:7], v[18:19], v[16:17]
	v_add_f64_e32 v[16:17], v[20:21], v[124:125]
	s_delay_alu instid0(VALU_DEP_2) | instskip(NEXT) | instid1(VALU_DEP_2)
	v_add_f64_e32 v[4:5], v[6:7], v[4:5]
	v_add_f64_e32 v[2:3], v[16:17], v[2:3]
	s_delay_alu instid0(VALU_DEP_2) | instskip(NEXT) | instid1(VALU_DEP_2)
	;; [unrolled: 3-line block ×3, first 2 shown]
	v_add_f64_e64 v[2:3], v[154:155], -v[4:5]
	v_add_f64_e64 v[4:5], v[156:157], -v[6:7]
	scratch_store_b128 off, v[2:5], off offset:464
	s_wait_xcnt 0x0
	v_cmpx_lt_u32_e32 28, v1
	s_cbranch_execz .LBB111_245
; %bb.244:
	scratch_load_b128 v[2:5], off, s36
	v_mov_b32_e32 v6, 0
	s_delay_alu instid0(VALU_DEP_1)
	v_dual_mov_b32 v7, v6 :: v_dual_mov_b32 v8, v6
	v_mov_b32_e32 v9, v6
	scratch_store_b128 off, v[6:9], off offset:448
	s_wait_loadcnt 0x0
	ds_store_b128 v120, v[2:5]
.LBB111_245:
	s_wait_xcnt 0x0
	s_or_b32 exec_lo, exec_lo, s2
	s_wait_storecnt_dscnt 0x0
	s_barrier_signal -1
	s_barrier_wait -1
	s_clause 0x9
	scratch_load_b128 v[4:7], off, off offset:464
	scratch_load_b128 v[8:11], off, off offset:480
	;; [unrolled: 1-line block ×10, first 2 shown]
	v_mov_b32_e32 v2, 0
	s_mov_b32 s2, exec_lo
	ds_load_b128 v[142:145], v2 offset:1232
	s_clause 0x2
	scratch_load_b128 v[146:149], off, off offset:624
	scratch_load_b128 v[150:153], off, off offset:448
	;; [unrolled: 1-line block ×3, first 2 shown]
	s_wait_loadcnt_dscnt 0xc00
	v_mul_f64_e32 v[162:163], v[144:145], v[6:7]
	v_mul_f64_e32 v[166:167], v[142:143], v[6:7]
	ds_load_b128 v[154:157], v2 offset:1248
	v_fma_f64 v[170:171], v[142:143], v[4:5], -v[162:163]
	v_fmac_f64_e32 v[166:167], v[144:145], v[4:5]
	ds_load_b128 v[4:7], v2 offset:1264
	s_wait_loadcnt_dscnt 0xb01
	v_mul_f64_e32 v[168:169], v[154:155], v[10:11]
	v_mul_f64_e32 v[10:11], v[156:157], v[10:11]
	scratch_load_b128 v[142:145], off, off offset:656
	ds_load_b128 v[162:165], v2 offset:1280
	s_wait_loadcnt_dscnt 0xb01
	v_mul_f64_e32 v[172:173], v[4:5], v[14:15]
	v_mul_f64_e32 v[14:15], v[6:7], v[14:15]
	v_add_f64_e32 v[166:167], 0, v[166:167]
	v_fmac_f64_e32 v[168:169], v[156:157], v[8:9]
	v_fma_f64 v[154:155], v[154:155], v[8:9], -v[10:11]
	v_add_f64_e32 v[156:157], 0, v[170:171]
	scratch_load_b128 v[8:11], off, off offset:672
	v_fmac_f64_e32 v[172:173], v[6:7], v[12:13]
	v_fma_f64 v[174:175], v[4:5], v[12:13], -v[14:15]
	ds_load_b128 v[4:7], v2 offset:1296
	s_wait_loadcnt_dscnt 0xb01
	v_mul_f64_e32 v[170:171], v[162:163], v[18:19]
	v_mul_f64_e32 v[18:19], v[164:165], v[18:19]
	scratch_load_b128 v[12:15], off, off offset:688
	v_add_f64_e32 v[166:167], v[166:167], v[168:169]
	v_add_f64_e32 v[176:177], v[156:157], v[154:155]
	ds_load_b128 v[154:157], v2 offset:1312
	s_wait_loadcnt_dscnt 0xb01
	v_mul_f64_e32 v[168:169], v[4:5], v[22:23]
	v_mul_f64_e32 v[22:23], v[6:7], v[22:23]
	v_fmac_f64_e32 v[170:171], v[164:165], v[16:17]
	v_fma_f64 v[162:163], v[162:163], v[16:17], -v[18:19]
	scratch_load_b128 v[16:19], off, off offset:704
	v_add_f64_e32 v[166:167], v[166:167], v[172:173]
	v_add_f64_e32 v[164:165], v[176:177], v[174:175]
	v_fmac_f64_e32 v[168:169], v[6:7], v[20:21]
	v_fma_f64 v[174:175], v[4:5], v[20:21], -v[22:23]
	ds_load_b128 v[4:7], v2 offset:1328
	s_wait_loadcnt_dscnt 0xb01
	v_mul_f64_e32 v[172:173], v[154:155], v[124:125]
	v_mul_f64_e32 v[124:125], v[156:157], v[124:125]
	scratch_load_b128 v[20:23], off, off offset:720
	v_add_f64_e32 v[166:167], v[166:167], v[170:171]
	s_wait_loadcnt_dscnt 0xb00
	v_mul_f64_e32 v[170:171], v[4:5], v[128:129]
	v_add_f64_e32 v[176:177], v[164:165], v[162:163]
	v_mul_f64_e32 v[128:129], v[6:7], v[128:129]
	ds_load_b128 v[162:165], v2 offset:1344
	v_fmac_f64_e32 v[172:173], v[156:157], v[122:123]
	v_fma_f64 v[154:155], v[154:155], v[122:123], -v[124:125]
	scratch_load_b128 v[122:125], off, off offset:736
	v_add_f64_e32 v[166:167], v[166:167], v[168:169]
	v_fmac_f64_e32 v[170:171], v[6:7], v[126:127]
	v_add_f64_e32 v[156:157], v[176:177], v[174:175]
	v_fma_f64 v[174:175], v[4:5], v[126:127], -v[128:129]
	ds_load_b128 v[4:7], v2 offset:1360
	s_wait_loadcnt_dscnt 0xb01
	v_mul_f64_e32 v[168:169], v[162:163], v[132:133]
	v_mul_f64_e32 v[132:133], v[164:165], v[132:133]
	scratch_load_b128 v[126:129], off, off offset:752
	v_add_f64_e32 v[166:167], v[166:167], v[172:173]
	s_wait_loadcnt_dscnt 0xb00
	v_mul_f64_e32 v[172:173], v[4:5], v[136:137]
	v_add_f64_e32 v[176:177], v[156:157], v[154:155]
	v_mul_f64_e32 v[136:137], v[6:7], v[136:137]
	ds_load_b128 v[154:157], v2 offset:1376
	v_fmac_f64_e32 v[168:169], v[164:165], v[130:131]
	v_fma_f64 v[130:131], v[162:163], v[130:131], -v[132:133]
	s_wait_loadcnt_dscnt 0xa00
	v_mul_f64_e32 v[164:165], v[154:155], v[140:141]
	v_mul_f64_e32 v[140:141], v[156:157], v[140:141]
	v_add_f64_e32 v[162:163], v[166:167], v[170:171]
	v_fmac_f64_e32 v[172:173], v[6:7], v[134:135]
	v_add_f64_e32 v[132:133], v[176:177], v[174:175]
	v_fma_f64 v[134:135], v[4:5], v[134:135], -v[136:137]
	v_fmac_f64_e32 v[164:165], v[156:157], v[138:139]
	v_fma_f64 v[138:139], v[154:155], v[138:139], -v[140:141]
	v_add_f64_e32 v[162:163], v[162:163], v[168:169]
	v_add_f64_e32 v[136:137], v[132:133], v[130:131]
	ds_load_b128 v[4:7], v2 offset:1392
	ds_load_b128 v[130:133], v2 offset:1408
	s_wait_loadcnt_dscnt 0x901
	v_mul_f64_e32 v[166:167], v[4:5], v[148:149]
	v_mul_f64_e32 v[148:149], v[6:7], v[148:149]
	s_wait_loadcnt_dscnt 0x700
	v_mul_f64_e32 v[140:141], v[130:131], v[160:161]
	v_mul_f64_e32 v[154:155], v[132:133], v[160:161]
	v_add_f64_e32 v[134:135], v[136:137], v[134:135]
	v_add_f64_e32 v[136:137], v[162:163], v[172:173]
	v_fmac_f64_e32 v[166:167], v[6:7], v[146:147]
	v_fma_f64 v[146:147], v[4:5], v[146:147], -v[148:149]
	v_fmac_f64_e32 v[140:141], v[132:133], v[158:159]
	v_fma_f64 v[130:131], v[130:131], v[158:159], -v[154:155]
	v_add_f64_e32 v[138:139], v[134:135], v[138:139]
	v_add_f64_e32 v[148:149], v[136:137], v[164:165]
	ds_load_b128 v[4:7], v2 offset:1424
	ds_load_b128 v[134:137], v2 offset:1440
	s_wait_loadcnt_dscnt 0x601
	v_mul_f64_e32 v[156:157], v[4:5], v[144:145]
	v_mul_f64_e32 v[144:145], v[6:7], v[144:145]
	v_add_f64_e32 v[132:133], v[138:139], v[146:147]
	v_add_f64_e32 v[138:139], v[148:149], v[166:167]
	s_wait_loadcnt_dscnt 0x500
	v_mul_f64_e32 v[146:147], v[134:135], v[10:11]
	v_mul_f64_e32 v[10:11], v[136:137], v[10:11]
	v_fmac_f64_e32 v[156:157], v[6:7], v[142:143]
	v_fma_f64 v[142:143], v[4:5], v[142:143], -v[144:145]
	v_add_f64_e32 v[144:145], v[132:133], v[130:131]
	v_add_f64_e32 v[138:139], v[138:139], v[140:141]
	ds_load_b128 v[4:7], v2 offset:1456
	ds_load_b128 v[130:133], v2 offset:1472
	v_fmac_f64_e32 v[146:147], v[136:137], v[8:9]
	v_fma_f64 v[8:9], v[134:135], v[8:9], -v[10:11]
	s_wait_loadcnt_dscnt 0x401
	v_mul_f64_e32 v[140:141], v[4:5], v[14:15]
	v_mul_f64_e32 v[14:15], v[6:7], v[14:15]
	s_wait_loadcnt_dscnt 0x300
	v_mul_f64_e32 v[136:137], v[130:131], v[18:19]
	v_mul_f64_e32 v[18:19], v[132:133], v[18:19]
	v_add_f64_e32 v[10:11], v[144:145], v[142:143]
	v_add_f64_e32 v[134:135], v[138:139], v[156:157]
	v_fmac_f64_e32 v[140:141], v[6:7], v[12:13]
	v_fma_f64 v[12:13], v[4:5], v[12:13], -v[14:15]
	v_fmac_f64_e32 v[136:137], v[132:133], v[16:17]
	v_fma_f64 v[16:17], v[130:131], v[16:17], -v[18:19]
	v_add_f64_e32 v[14:15], v[10:11], v[8:9]
	v_add_f64_e32 v[134:135], v[134:135], v[146:147]
	ds_load_b128 v[4:7], v2 offset:1488
	ds_load_b128 v[8:11], v2 offset:1504
	s_wait_loadcnt_dscnt 0x201
	v_mul_f64_e32 v[138:139], v[4:5], v[22:23]
	v_mul_f64_e32 v[22:23], v[6:7], v[22:23]
	s_wait_loadcnt_dscnt 0x100
	v_mul_f64_e32 v[18:19], v[8:9], v[124:125]
	v_mul_f64_e32 v[124:125], v[10:11], v[124:125]
	v_add_f64_e32 v[12:13], v[14:15], v[12:13]
	v_add_f64_e32 v[14:15], v[134:135], v[140:141]
	v_fmac_f64_e32 v[138:139], v[6:7], v[20:21]
	v_fma_f64 v[20:21], v[4:5], v[20:21], -v[22:23]
	ds_load_b128 v[4:7], v2 offset:1520
	v_fmac_f64_e32 v[18:19], v[10:11], v[122:123]
	v_fma_f64 v[8:9], v[8:9], v[122:123], -v[124:125]
	v_add_f64_e32 v[12:13], v[12:13], v[16:17]
	v_add_f64_e32 v[14:15], v[14:15], v[136:137]
	s_wait_loadcnt_dscnt 0x0
	v_mul_f64_e32 v[16:17], v[4:5], v[128:129]
	v_mul_f64_e32 v[22:23], v[6:7], v[128:129]
	s_delay_alu instid0(VALU_DEP_4) | instskip(NEXT) | instid1(VALU_DEP_4)
	v_add_f64_e32 v[10:11], v[12:13], v[20:21]
	v_add_f64_e32 v[12:13], v[14:15], v[138:139]
	s_delay_alu instid0(VALU_DEP_4) | instskip(NEXT) | instid1(VALU_DEP_4)
	v_fmac_f64_e32 v[16:17], v[6:7], v[126:127]
	v_fma_f64 v[4:5], v[4:5], v[126:127], -v[22:23]
	s_delay_alu instid0(VALU_DEP_4) | instskip(NEXT) | instid1(VALU_DEP_4)
	v_add_f64_e32 v[6:7], v[10:11], v[8:9]
	v_add_f64_e32 v[8:9], v[12:13], v[18:19]
	s_delay_alu instid0(VALU_DEP_2) | instskip(NEXT) | instid1(VALU_DEP_2)
	v_add_f64_e32 v[4:5], v[6:7], v[4:5]
	v_add_f64_e32 v[6:7], v[8:9], v[16:17]
	s_delay_alu instid0(VALU_DEP_2) | instskip(NEXT) | instid1(VALU_DEP_2)
	v_add_f64_e64 v[4:5], v[150:151], -v[4:5]
	v_add_f64_e64 v[6:7], v[152:153], -v[6:7]
	scratch_store_b128 off, v[4:7], off offset:448
	s_wait_xcnt 0x0
	v_cmpx_lt_u32_e32 27, v1
	s_cbranch_execz .LBB111_247
; %bb.246:
	scratch_load_b128 v[6:9], off, s37
	v_dual_mov_b32 v3, v2 :: v_dual_mov_b32 v4, v2
	v_mov_b32_e32 v5, v2
	scratch_store_b128 off, v[2:5], off offset:432
	s_wait_loadcnt 0x0
	ds_store_b128 v120, v[6:9]
.LBB111_247:
	s_wait_xcnt 0x0
	s_or_b32 exec_lo, exec_lo, s2
	s_wait_storecnt_dscnt 0x0
	s_barrier_signal -1
	s_barrier_wait -1
	s_clause 0x9
	scratch_load_b128 v[4:7], off, off offset:448
	scratch_load_b128 v[8:11], off, off offset:464
	;; [unrolled: 1-line block ×10, first 2 shown]
	ds_load_b128 v[142:145], v2 offset:1216
	ds_load_b128 v[150:153], v2 offset:1232
	s_clause 0x2
	scratch_load_b128 v[146:149], off, off offset:608
	scratch_load_b128 v[154:157], off, off offset:432
	;; [unrolled: 1-line block ×3, first 2 shown]
	s_mov_b32 s2, exec_lo
	s_wait_loadcnt_dscnt 0xc01
	v_mul_f64_e32 v[162:163], v[144:145], v[6:7]
	v_mul_f64_e32 v[166:167], v[142:143], v[6:7]
	s_wait_loadcnt_dscnt 0xb00
	v_mul_f64_e32 v[168:169], v[150:151], v[10:11]
	v_mul_f64_e32 v[10:11], v[152:153], v[10:11]
	s_delay_alu instid0(VALU_DEP_4) | instskip(NEXT) | instid1(VALU_DEP_4)
	v_fma_f64 v[170:171], v[142:143], v[4:5], -v[162:163]
	v_fmac_f64_e32 v[166:167], v[144:145], v[4:5]
	ds_load_b128 v[4:7], v2 offset:1248
	ds_load_b128 v[142:145], v2 offset:1264
	scratch_load_b128 v[162:165], off, off offset:640
	v_fmac_f64_e32 v[168:169], v[152:153], v[8:9]
	v_fma_f64 v[150:151], v[150:151], v[8:9], -v[10:11]
	scratch_load_b128 v[8:11], off, off offset:656
	s_wait_loadcnt_dscnt 0xc01
	v_mul_f64_e32 v[172:173], v[4:5], v[14:15]
	v_mul_f64_e32 v[14:15], v[6:7], v[14:15]
	v_add_f64_e32 v[152:153], 0, v[170:171]
	v_add_f64_e32 v[166:167], 0, v[166:167]
	s_wait_loadcnt_dscnt 0xb00
	v_mul_f64_e32 v[170:171], v[142:143], v[18:19]
	v_mul_f64_e32 v[18:19], v[144:145], v[18:19]
	v_fmac_f64_e32 v[172:173], v[6:7], v[12:13]
	v_fma_f64 v[174:175], v[4:5], v[12:13], -v[14:15]
	ds_load_b128 v[4:7], v2 offset:1280
	ds_load_b128 v[12:15], v2 offset:1296
	v_add_f64_e32 v[176:177], v[152:153], v[150:151]
	v_add_f64_e32 v[166:167], v[166:167], v[168:169]
	scratch_load_b128 v[150:153], off, off offset:672
	v_fmac_f64_e32 v[170:171], v[144:145], v[16:17]
	v_fma_f64 v[142:143], v[142:143], v[16:17], -v[18:19]
	scratch_load_b128 v[16:19], off, off offset:688
	s_wait_loadcnt_dscnt 0xc01
	v_mul_f64_e32 v[168:169], v[4:5], v[22:23]
	v_mul_f64_e32 v[22:23], v[6:7], v[22:23]
	v_add_f64_e32 v[144:145], v[176:177], v[174:175]
	v_add_f64_e32 v[166:167], v[166:167], v[172:173]
	s_wait_loadcnt_dscnt 0xb00
	v_mul_f64_e32 v[172:173], v[12:13], v[124:125]
	v_mul_f64_e32 v[124:125], v[14:15], v[124:125]
	v_fmac_f64_e32 v[168:169], v[6:7], v[20:21]
	v_fma_f64 v[174:175], v[4:5], v[20:21], -v[22:23]
	ds_load_b128 v[4:7], v2 offset:1312
	ds_load_b128 v[20:23], v2 offset:1328
	v_add_f64_e32 v[176:177], v[144:145], v[142:143]
	v_add_f64_e32 v[166:167], v[166:167], v[170:171]
	scratch_load_b128 v[142:145], off, off offset:704
	s_wait_loadcnt_dscnt 0xb01
	v_mul_f64_e32 v[170:171], v[4:5], v[128:129]
	v_mul_f64_e32 v[128:129], v[6:7], v[128:129]
	v_fmac_f64_e32 v[172:173], v[14:15], v[122:123]
	v_fma_f64 v[122:123], v[12:13], v[122:123], -v[124:125]
	scratch_load_b128 v[12:15], off, off offset:720
	v_add_f64_e32 v[124:125], v[176:177], v[174:175]
	v_add_f64_e32 v[166:167], v[166:167], v[168:169]
	s_wait_loadcnt_dscnt 0xb00
	v_mul_f64_e32 v[168:169], v[20:21], v[132:133]
	v_mul_f64_e32 v[132:133], v[22:23], v[132:133]
	v_fmac_f64_e32 v[170:171], v[6:7], v[126:127]
	v_fma_f64 v[174:175], v[4:5], v[126:127], -v[128:129]
	v_add_f64_e32 v[176:177], v[124:125], v[122:123]
	v_add_f64_e32 v[166:167], v[166:167], v[172:173]
	ds_load_b128 v[4:7], v2 offset:1344
	ds_load_b128 v[122:125], v2 offset:1360
	scratch_load_b128 v[126:129], off, off offset:736
	v_fmac_f64_e32 v[168:169], v[22:23], v[130:131]
	v_fma_f64 v[130:131], v[20:21], v[130:131], -v[132:133]
	scratch_load_b128 v[20:23], off, off offset:752
	s_wait_loadcnt_dscnt 0xc01
	v_mul_f64_e32 v[172:173], v[4:5], v[136:137]
	v_mul_f64_e32 v[136:137], v[6:7], v[136:137]
	v_add_f64_e32 v[132:133], v[176:177], v[174:175]
	v_add_f64_e32 v[166:167], v[166:167], v[170:171]
	s_wait_loadcnt_dscnt 0xb00
	v_mul_f64_e32 v[170:171], v[122:123], v[140:141]
	v_mul_f64_e32 v[140:141], v[124:125], v[140:141]
	v_fmac_f64_e32 v[172:173], v[6:7], v[134:135]
	v_fma_f64 v[134:135], v[4:5], v[134:135], -v[136:137]
	v_add_f64_e32 v[136:137], v[132:133], v[130:131]
	v_add_f64_e32 v[166:167], v[166:167], v[168:169]
	ds_load_b128 v[4:7], v2 offset:1376
	ds_load_b128 v[130:133], v2 offset:1392
	v_fmac_f64_e32 v[170:171], v[124:125], v[138:139]
	v_fma_f64 v[122:123], v[122:123], v[138:139], -v[140:141]
	s_wait_loadcnt_dscnt 0xa01
	v_mul_f64_e32 v[168:169], v[4:5], v[148:149]
	v_mul_f64_e32 v[148:149], v[6:7], v[148:149]
	s_wait_loadcnt_dscnt 0x800
	v_mul_f64_e32 v[138:139], v[132:133], v[160:161]
	v_add_f64_e32 v[124:125], v[136:137], v[134:135]
	v_add_f64_e32 v[134:135], v[166:167], v[172:173]
	v_mul_f64_e32 v[136:137], v[130:131], v[160:161]
	v_fmac_f64_e32 v[168:169], v[6:7], v[146:147]
	v_fma_f64 v[140:141], v[4:5], v[146:147], -v[148:149]
	v_fma_f64 v[130:131], v[130:131], v[158:159], -v[138:139]
	v_add_f64_e32 v[146:147], v[124:125], v[122:123]
	v_add_f64_e32 v[134:135], v[134:135], v[170:171]
	ds_load_b128 v[4:7], v2 offset:1408
	ds_load_b128 v[122:125], v2 offset:1424
	v_fmac_f64_e32 v[136:137], v[132:133], v[158:159]
	s_wait_loadcnt_dscnt 0x701
	v_mul_f64_e32 v[148:149], v[4:5], v[164:165]
	v_mul_f64_e32 v[160:161], v[6:7], v[164:165]
	s_wait_loadcnt_dscnt 0x600
	v_mul_f64_e32 v[138:139], v[122:123], v[10:11]
	v_mul_f64_e32 v[10:11], v[124:125], v[10:11]
	v_add_f64_e32 v[132:133], v[146:147], v[140:141]
	v_add_f64_e32 v[134:135], v[134:135], v[168:169]
	v_fmac_f64_e32 v[148:149], v[6:7], v[162:163]
	v_fma_f64 v[140:141], v[4:5], v[162:163], -v[160:161]
	v_fmac_f64_e32 v[138:139], v[124:125], v[8:9]
	v_fma_f64 v[8:9], v[122:123], v[8:9], -v[10:11]
	v_add_f64_e32 v[146:147], v[132:133], v[130:131]
	v_add_f64_e32 v[134:135], v[134:135], v[136:137]
	ds_load_b128 v[4:7], v2 offset:1440
	ds_load_b128 v[130:133], v2 offset:1456
	s_wait_loadcnt_dscnt 0x501
	v_mul_f64_e32 v[136:137], v[4:5], v[152:153]
	v_mul_f64_e32 v[152:153], v[6:7], v[152:153]
	s_wait_loadcnt_dscnt 0x400
	v_mul_f64_e32 v[124:125], v[130:131], v[18:19]
	v_mul_f64_e32 v[18:19], v[132:133], v[18:19]
	v_add_f64_e32 v[10:11], v[146:147], v[140:141]
	v_add_f64_e32 v[122:123], v[134:135], v[148:149]
	v_fmac_f64_e32 v[136:137], v[6:7], v[150:151]
	v_fma_f64 v[134:135], v[4:5], v[150:151], -v[152:153]
	v_fmac_f64_e32 v[124:125], v[132:133], v[16:17]
	v_fma_f64 v[16:17], v[130:131], v[16:17], -v[18:19]
	v_add_f64_e32 v[140:141], v[10:11], v[8:9]
	v_add_f64_e32 v[122:123], v[122:123], v[138:139]
	ds_load_b128 v[4:7], v2 offset:1472
	ds_load_b128 v[8:11], v2 offset:1488
	;; [unrolled: 16-line block ×3, first 2 shown]
	s_wait_loadcnt_dscnt 0x101
	v_mul_f64_e32 v[2:3], v[4:5], v[128:129]
	v_mul_f64_e32 v[124:125], v[6:7], v[128:129]
	v_add_f64_e32 v[10:11], v[18:19], v[134:135]
	v_add_f64_e32 v[12:13], v[122:123], v[138:139]
	s_wait_loadcnt_dscnt 0x0
	v_mul_f64_e32 v[18:19], v[14:15], v[22:23]
	v_mul_f64_e32 v[22:23], v[16:17], v[22:23]
	v_fmac_f64_e32 v[2:3], v[6:7], v[126:127]
	v_fma_f64 v[4:5], v[4:5], v[126:127], -v[124:125]
	v_add_f64_e32 v[6:7], v[10:11], v[8:9]
	v_add_f64_e32 v[8:9], v[12:13], v[130:131]
	v_fmac_f64_e32 v[18:19], v[16:17], v[20:21]
	v_fma_f64 v[10:11], v[14:15], v[20:21], -v[22:23]
	s_delay_alu instid0(VALU_DEP_4) | instskip(NEXT) | instid1(VALU_DEP_4)
	v_add_f64_e32 v[4:5], v[6:7], v[4:5]
	v_add_f64_e32 v[2:3], v[8:9], v[2:3]
	s_delay_alu instid0(VALU_DEP_2) | instskip(NEXT) | instid1(VALU_DEP_2)
	v_add_f64_e32 v[4:5], v[4:5], v[10:11]
	v_add_f64_e32 v[6:7], v[2:3], v[18:19]
	s_delay_alu instid0(VALU_DEP_2) | instskip(NEXT) | instid1(VALU_DEP_2)
	v_add_f64_e64 v[2:3], v[154:155], -v[4:5]
	v_add_f64_e64 v[4:5], v[156:157], -v[6:7]
	scratch_store_b128 off, v[2:5], off offset:432
	s_wait_xcnt 0x0
	v_cmpx_lt_u32_e32 26, v1
	s_cbranch_execz .LBB111_249
; %bb.248:
	scratch_load_b128 v[2:5], off, s38
	v_mov_b32_e32 v6, 0
	s_delay_alu instid0(VALU_DEP_1)
	v_dual_mov_b32 v7, v6 :: v_dual_mov_b32 v8, v6
	v_mov_b32_e32 v9, v6
	scratch_store_b128 off, v[6:9], off offset:416
	s_wait_loadcnt 0x0
	ds_store_b128 v120, v[2:5]
.LBB111_249:
	s_wait_xcnt 0x0
	s_or_b32 exec_lo, exec_lo, s2
	s_wait_storecnt_dscnt 0x0
	s_barrier_signal -1
	s_barrier_wait -1
	s_clause 0x9
	scratch_load_b128 v[4:7], off, off offset:432
	scratch_load_b128 v[8:11], off, off offset:448
	;; [unrolled: 1-line block ×10, first 2 shown]
	v_mov_b32_e32 v2, 0
	s_mov_b32 s2, exec_lo
	ds_load_b128 v[142:145], v2 offset:1200
	s_clause 0x2
	scratch_load_b128 v[146:149], off, off offset:592
	scratch_load_b128 v[150:153], off, off offset:416
	;; [unrolled: 1-line block ×3, first 2 shown]
	s_wait_loadcnt_dscnt 0xc00
	v_mul_f64_e32 v[162:163], v[144:145], v[6:7]
	v_mul_f64_e32 v[166:167], v[142:143], v[6:7]
	ds_load_b128 v[154:157], v2 offset:1216
	v_fma_f64 v[170:171], v[142:143], v[4:5], -v[162:163]
	v_fmac_f64_e32 v[166:167], v[144:145], v[4:5]
	ds_load_b128 v[4:7], v2 offset:1232
	s_wait_loadcnt_dscnt 0xb01
	v_mul_f64_e32 v[168:169], v[154:155], v[10:11]
	v_mul_f64_e32 v[10:11], v[156:157], v[10:11]
	scratch_load_b128 v[142:145], off, off offset:624
	ds_load_b128 v[162:165], v2 offset:1248
	s_wait_loadcnt_dscnt 0xb01
	v_mul_f64_e32 v[172:173], v[4:5], v[14:15]
	v_mul_f64_e32 v[14:15], v[6:7], v[14:15]
	v_add_f64_e32 v[166:167], 0, v[166:167]
	v_fmac_f64_e32 v[168:169], v[156:157], v[8:9]
	v_fma_f64 v[154:155], v[154:155], v[8:9], -v[10:11]
	v_add_f64_e32 v[156:157], 0, v[170:171]
	scratch_load_b128 v[8:11], off, off offset:640
	v_fmac_f64_e32 v[172:173], v[6:7], v[12:13]
	v_fma_f64 v[174:175], v[4:5], v[12:13], -v[14:15]
	ds_load_b128 v[4:7], v2 offset:1264
	s_wait_loadcnt_dscnt 0xb01
	v_mul_f64_e32 v[170:171], v[162:163], v[18:19]
	v_mul_f64_e32 v[18:19], v[164:165], v[18:19]
	scratch_load_b128 v[12:15], off, off offset:656
	v_add_f64_e32 v[166:167], v[166:167], v[168:169]
	v_add_f64_e32 v[176:177], v[156:157], v[154:155]
	ds_load_b128 v[154:157], v2 offset:1280
	s_wait_loadcnt_dscnt 0xb01
	v_mul_f64_e32 v[168:169], v[4:5], v[22:23]
	v_mul_f64_e32 v[22:23], v[6:7], v[22:23]
	v_fmac_f64_e32 v[170:171], v[164:165], v[16:17]
	v_fma_f64 v[162:163], v[162:163], v[16:17], -v[18:19]
	scratch_load_b128 v[16:19], off, off offset:672
	v_add_f64_e32 v[166:167], v[166:167], v[172:173]
	v_add_f64_e32 v[164:165], v[176:177], v[174:175]
	v_fmac_f64_e32 v[168:169], v[6:7], v[20:21]
	v_fma_f64 v[174:175], v[4:5], v[20:21], -v[22:23]
	ds_load_b128 v[4:7], v2 offset:1296
	s_wait_loadcnt_dscnt 0xb01
	v_mul_f64_e32 v[172:173], v[154:155], v[124:125]
	v_mul_f64_e32 v[124:125], v[156:157], v[124:125]
	scratch_load_b128 v[20:23], off, off offset:688
	v_add_f64_e32 v[166:167], v[166:167], v[170:171]
	s_wait_loadcnt_dscnt 0xb00
	v_mul_f64_e32 v[170:171], v[4:5], v[128:129]
	v_add_f64_e32 v[176:177], v[164:165], v[162:163]
	v_mul_f64_e32 v[128:129], v[6:7], v[128:129]
	ds_load_b128 v[162:165], v2 offset:1312
	v_fmac_f64_e32 v[172:173], v[156:157], v[122:123]
	v_fma_f64 v[154:155], v[154:155], v[122:123], -v[124:125]
	scratch_load_b128 v[122:125], off, off offset:704
	v_add_f64_e32 v[166:167], v[166:167], v[168:169]
	v_fmac_f64_e32 v[170:171], v[6:7], v[126:127]
	v_add_f64_e32 v[156:157], v[176:177], v[174:175]
	v_fma_f64 v[174:175], v[4:5], v[126:127], -v[128:129]
	ds_load_b128 v[4:7], v2 offset:1328
	s_wait_loadcnt_dscnt 0xb01
	v_mul_f64_e32 v[168:169], v[162:163], v[132:133]
	v_mul_f64_e32 v[132:133], v[164:165], v[132:133]
	scratch_load_b128 v[126:129], off, off offset:720
	v_add_f64_e32 v[166:167], v[166:167], v[172:173]
	s_wait_loadcnt_dscnt 0xb00
	v_mul_f64_e32 v[172:173], v[4:5], v[136:137]
	v_add_f64_e32 v[176:177], v[156:157], v[154:155]
	v_mul_f64_e32 v[136:137], v[6:7], v[136:137]
	ds_load_b128 v[154:157], v2 offset:1344
	v_fmac_f64_e32 v[168:169], v[164:165], v[130:131]
	v_fma_f64 v[162:163], v[162:163], v[130:131], -v[132:133]
	scratch_load_b128 v[130:133], off, off offset:736
	v_add_f64_e32 v[166:167], v[166:167], v[170:171]
	v_fmac_f64_e32 v[172:173], v[6:7], v[134:135]
	v_add_f64_e32 v[164:165], v[176:177], v[174:175]
	v_fma_f64 v[174:175], v[4:5], v[134:135], -v[136:137]
	ds_load_b128 v[4:7], v2 offset:1360
	s_wait_loadcnt_dscnt 0xb01
	v_mul_f64_e32 v[170:171], v[154:155], v[140:141]
	v_mul_f64_e32 v[140:141], v[156:157], v[140:141]
	scratch_load_b128 v[134:137], off, off offset:752
	v_add_f64_e32 v[166:167], v[166:167], v[168:169]
	s_wait_loadcnt_dscnt 0xb00
	v_mul_f64_e32 v[168:169], v[4:5], v[148:149]
	v_add_f64_e32 v[176:177], v[164:165], v[162:163]
	v_mul_f64_e32 v[148:149], v[6:7], v[148:149]
	ds_load_b128 v[162:165], v2 offset:1376
	v_fmac_f64_e32 v[170:171], v[156:157], v[138:139]
	v_fma_f64 v[138:139], v[154:155], v[138:139], -v[140:141]
	s_wait_loadcnt_dscnt 0x900
	v_mul_f64_e32 v[156:157], v[162:163], v[160:161]
	v_mul_f64_e32 v[160:161], v[164:165], v[160:161]
	v_add_f64_e32 v[154:155], v[166:167], v[172:173]
	v_fmac_f64_e32 v[168:169], v[6:7], v[146:147]
	v_add_f64_e32 v[140:141], v[176:177], v[174:175]
	v_fma_f64 v[146:147], v[4:5], v[146:147], -v[148:149]
	v_fmac_f64_e32 v[156:157], v[164:165], v[158:159]
	v_fma_f64 v[158:159], v[162:163], v[158:159], -v[160:161]
	v_add_f64_e32 v[154:155], v[154:155], v[170:171]
	v_add_f64_e32 v[148:149], v[140:141], v[138:139]
	ds_load_b128 v[4:7], v2 offset:1392
	ds_load_b128 v[138:141], v2 offset:1408
	s_wait_loadcnt_dscnt 0x801
	v_mul_f64_e32 v[166:167], v[4:5], v[144:145]
	v_mul_f64_e32 v[144:145], v[6:7], v[144:145]
	v_add_f64_e32 v[146:147], v[148:149], v[146:147]
	v_add_f64_e32 v[148:149], v[154:155], v[168:169]
	s_wait_loadcnt_dscnt 0x700
	v_mul_f64_e32 v[154:155], v[138:139], v[10:11]
	v_mul_f64_e32 v[10:11], v[140:141], v[10:11]
	v_fmac_f64_e32 v[166:167], v[6:7], v[142:143]
	v_fma_f64 v[160:161], v[4:5], v[142:143], -v[144:145]
	ds_load_b128 v[4:7], v2 offset:1424
	ds_load_b128 v[142:145], v2 offset:1440
	v_add_f64_e32 v[146:147], v[146:147], v[158:159]
	v_add_f64_e32 v[148:149], v[148:149], v[156:157]
	v_fmac_f64_e32 v[154:155], v[140:141], v[8:9]
	v_fma_f64 v[8:9], v[138:139], v[8:9], -v[10:11]
	s_wait_loadcnt_dscnt 0x601
	v_mul_f64_e32 v[156:157], v[4:5], v[14:15]
	v_mul_f64_e32 v[14:15], v[6:7], v[14:15]
	s_wait_loadcnt_dscnt 0x500
	v_mul_f64_e32 v[140:141], v[142:143], v[18:19]
	v_mul_f64_e32 v[18:19], v[144:145], v[18:19]
	v_add_f64_e32 v[10:11], v[146:147], v[160:161]
	v_add_f64_e32 v[138:139], v[148:149], v[166:167]
	v_fmac_f64_e32 v[156:157], v[6:7], v[12:13]
	v_fma_f64 v[12:13], v[4:5], v[12:13], -v[14:15]
	v_fmac_f64_e32 v[140:141], v[144:145], v[16:17]
	v_fma_f64 v[16:17], v[142:143], v[16:17], -v[18:19]
	v_add_f64_e32 v[14:15], v[10:11], v[8:9]
	v_add_f64_e32 v[138:139], v[138:139], v[154:155]
	ds_load_b128 v[4:7], v2 offset:1456
	ds_load_b128 v[8:11], v2 offset:1472
	s_wait_loadcnt_dscnt 0x401
	v_mul_f64_e32 v[146:147], v[4:5], v[22:23]
	v_mul_f64_e32 v[22:23], v[6:7], v[22:23]
	s_wait_loadcnt_dscnt 0x300
	v_mul_f64_e32 v[18:19], v[8:9], v[124:125]
	v_mul_f64_e32 v[124:125], v[10:11], v[124:125]
	v_add_f64_e32 v[12:13], v[14:15], v[12:13]
	v_add_f64_e32 v[14:15], v[138:139], v[156:157]
	v_fmac_f64_e32 v[146:147], v[6:7], v[20:21]
	v_fma_f64 v[20:21], v[4:5], v[20:21], -v[22:23]
	v_fmac_f64_e32 v[18:19], v[10:11], v[122:123]
	v_fma_f64 v[8:9], v[8:9], v[122:123], -v[124:125]
	v_add_f64_e32 v[16:17], v[12:13], v[16:17]
	v_add_f64_e32 v[22:23], v[14:15], v[140:141]
	ds_load_b128 v[4:7], v2 offset:1488
	ds_load_b128 v[12:15], v2 offset:1504
	s_wait_loadcnt_dscnt 0x201
	v_mul_f64_e32 v[138:139], v[4:5], v[128:129]
	v_mul_f64_e32 v[128:129], v[6:7], v[128:129]
	v_add_f64_e32 v[10:11], v[16:17], v[20:21]
	v_add_f64_e32 v[16:17], v[22:23], v[146:147]
	s_wait_loadcnt_dscnt 0x100
	v_mul_f64_e32 v[20:21], v[12:13], v[132:133]
	v_mul_f64_e32 v[22:23], v[14:15], v[132:133]
	v_fmac_f64_e32 v[138:139], v[6:7], v[126:127]
	v_fma_f64 v[122:123], v[4:5], v[126:127], -v[128:129]
	ds_load_b128 v[4:7], v2 offset:1520
	v_add_f64_e32 v[8:9], v[10:11], v[8:9]
	v_add_f64_e32 v[10:11], v[16:17], v[18:19]
	v_fmac_f64_e32 v[20:21], v[14:15], v[130:131]
	v_fma_f64 v[12:13], v[12:13], v[130:131], -v[22:23]
	s_wait_loadcnt_dscnt 0x0
	v_mul_f64_e32 v[16:17], v[4:5], v[136:137]
	v_mul_f64_e32 v[18:19], v[6:7], v[136:137]
	v_add_f64_e32 v[8:9], v[8:9], v[122:123]
	v_add_f64_e32 v[10:11], v[10:11], v[138:139]
	s_delay_alu instid0(VALU_DEP_4) | instskip(NEXT) | instid1(VALU_DEP_4)
	v_fmac_f64_e32 v[16:17], v[6:7], v[134:135]
	v_fma_f64 v[4:5], v[4:5], v[134:135], -v[18:19]
	s_delay_alu instid0(VALU_DEP_4) | instskip(NEXT) | instid1(VALU_DEP_4)
	v_add_f64_e32 v[6:7], v[8:9], v[12:13]
	v_add_f64_e32 v[8:9], v[10:11], v[20:21]
	s_delay_alu instid0(VALU_DEP_2) | instskip(NEXT) | instid1(VALU_DEP_2)
	v_add_f64_e32 v[4:5], v[6:7], v[4:5]
	v_add_f64_e32 v[6:7], v[8:9], v[16:17]
	s_delay_alu instid0(VALU_DEP_2) | instskip(NEXT) | instid1(VALU_DEP_2)
	v_add_f64_e64 v[4:5], v[150:151], -v[4:5]
	v_add_f64_e64 v[6:7], v[152:153], -v[6:7]
	scratch_store_b128 off, v[4:7], off offset:416
	s_wait_xcnt 0x0
	v_cmpx_lt_u32_e32 25, v1
	s_cbranch_execz .LBB111_251
; %bb.250:
	scratch_load_b128 v[6:9], off, s39
	v_dual_mov_b32 v3, v2 :: v_dual_mov_b32 v4, v2
	v_mov_b32_e32 v5, v2
	scratch_store_b128 off, v[2:5], off offset:400
	s_wait_loadcnt 0x0
	ds_store_b128 v120, v[6:9]
.LBB111_251:
	s_wait_xcnt 0x0
	s_or_b32 exec_lo, exec_lo, s2
	s_wait_storecnt_dscnt 0x0
	s_barrier_signal -1
	s_barrier_wait -1
	s_clause 0x9
	scratch_load_b128 v[4:7], off, off offset:416
	scratch_load_b128 v[8:11], off, off offset:432
	;; [unrolled: 1-line block ×10, first 2 shown]
	ds_load_b128 v[142:145], v2 offset:1184
	ds_load_b128 v[150:153], v2 offset:1200
	s_clause 0x2
	scratch_load_b128 v[146:149], off, off offset:576
	scratch_load_b128 v[154:157], off, off offset:400
	;; [unrolled: 1-line block ×3, first 2 shown]
	s_mov_b32 s2, exec_lo
	s_wait_loadcnt_dscnt 0xc01
	v_mul_f64_e32 v[162:163], v[144:145], v[6:7]
	v_mul_f64_e32 v[166:167], v[142:143], v[6:7]
	s_wait_loadcnt_dscnt 0xb00
	v_mul_f64_e32 v[168:169], v[150:151], v[10:11]
	v_mul_f64_e32 v[10:11], v[152:153], v[10:11]
	s_delay_alu instid0(VALU_DEP_4) | instskip(NEXT) | instid1(VALU_DEP_4)
	v_fma_f64 v[170:171], v[142:143], v[4:5], -v[162:163]
	v_fmac_f64_e32 v[166:167], v[144:145], v[4:5]
	ds_load_b128 v[4:7], v2 offset:1216
	ds_load_b128 v[142:145], v2 offset:1232
	scratch_load_b128 v[162:165], off, off offset:608
	v_fmac_f64_e32 v[168:169], v[152:153], v[8:9]
	v_fma_f64 v[150:151], v[150:151], v[8:9], -v[10:11]
	scratch_load_b128 v[8:11], off, off offset:624
	s_wait_loadcnt_dscnt 0xc01
	v_mul_f64_e32 v[172:173], v[4:5], v[14:15]
	v_mul_f64_e32 v[14:15], v[6:7], v[14:15]
	v_add_f64_e32 v[152:153], 0, v[170:171]
	v_add_f64_e32 v[166:167], 0, v[166:167]
	s_wait_loadcnt_dscnt 0xb00
	v_mul_f64_e32 v[170:171], v[142:143], v[18:19]
	v_mul_f64_e32 v[18:19], v[144:145], v[18:19]
	v_fmac_f64_e32 v[172:173], v[6:7], v[12:13]
	v_fma_f64 v[174:175], v[4:5], v[12:13], -v[14:15]
	ds_load_b128 v[4:7], v2 offset:1248
	ds_load_b128 v[12:15], v2 offset:1264
	v_add_f64_e32 v[176:177], v[152:153], v[150:151]
	v_add_f64_e32 v[166:167], v[166:167], v[168:169]
	scratch_load_b128 v[150:153], off, off offset:640
	v_fmac_f64_e32 v[170:171], v[144:145], v[16:17]
	v_fma_f64 v[142:143], v[142:143], v[16:17], -v[18:19]
	scratch_load_b128 v[16:19], off, off offset:656
	s_wait_loadcnt_dscnt 0xc01
	v_mul_f64_e32 v[168:169], v[4:5], v[22:23]
	v_mul_f64_e32 v[22:23], v[6:7], v[22:23]
	v_add_f64_e32 v[144:145], v[176:177], v[174:175]
	v_add_f64_e32 v[166:167], v[166:167], v[172:173]
	s_wait_loadcnt_dscnt 0xb00
	v_mul_f64_e32 v[172:173], v[12:13], v[124:125]
	v_mul_f64_e32 v[124:125], v[14:15], v[124:125]
	v_fmac_f64_e32 v[168:169], v[6:7], v[20:21]
	v_fma_f64 v[174:175], v[4:5], v[20:21], -v[22:23]
	ds_load_b128 v[4:7], v2 offset:1280
	ds_load_b128 v[20:23], v2 offset:1296
	v_add_f64_e32 v[176:177], v[144:145], v[142:143]
	v_add_f64_e32 v[166:167], v[166:167], v[170:171]
	scratch_load_b128 v[142:145], off, off offset:672
	s_wait_loadcnt_dscnt 0xb01
	v_mul_f64_e32 v[170:171], v[4:5], v[128:129]
	v_mul_f64_e32 v[128:129], v[6:7], v[128:129]
	v_fmac_f64_e32 v[172:173], v[14:15], v[122:123]
	v_fma_f64 v[122:123], v[12:13], v[122:123], -v[124:125]
	scratch_load_b128 v[12:15], off, off offset:688
	v_add_f64_e32 v[124:125], v[176:177], v[174:175]
	v_add_f64_e32 v[166:167], v[166:167], v[168:169]
	s_wait_loadcnt_dscnt 0xb00
	v_mul_f64_e32 v[168:169], v[20:21], v[132:133]
	v_mul_f64_e32 v[132:133], v[22:23], v[132:133]
	v_fmac_f64_e32 v[170:171], v[6:7], v[126:127]
	v_fma_f64 v[174:175], v[4:5], v[126:127], -v[128:129]
	v_add_f64_e32 v[176:177], v[124:125], v[122:123]
	v_add_f64_e32 v[166:167], v[166:167], v[172:173]
	ds_load_b128 v[4:7], v2 offset:1312
	ds_load_b128 v[122:125], v2 offset:1328
	scratch_load_b128 v[126:129], off, off offset:704
	v_fmac_f64_e32 v[168:169], v[22:23], v[130:131]
	v_fma_f64 v[130:131], v[20:21], v[130:131], -v[132:133]
	scratch_load_b128 v[20:23], off, off offset:720
	s_wait_loadcnt_dscnt 0xc01
	v_mul_f64_e32 v[172:173], v[4:5], v[136:137]
	v_mul_f64_e32 v[136:137], v[6:7], v[136:137]
	v_add_f64_e32 v[132:133], v[176:177], v[174:175]
	v_add_f64_e32 v[166:167], v[166:167], v[170:171]
	s_wait_loadcnt_dscnt 0xb00
	v_mul_f64_e32 v[170:171], v[122:123], v[140:141]
	v_mul_f64_e32 v[140:141], v[124:125], v[140:141]
	v_fmac_f64_e32 v[172:173], v[6:7], v[134:135]
	v_fma_f64 v[174:175], v[4:5], v[134:135], -v[136:137]
	v_add_f64_e32 v[176:177], v[132:133], v[130:131]
	v_add_f64_e32 v[166:167], v[166:167], v[168:169]
	ds_load_b128 v[4:7], v2 offset:1344
	ds_load_b128 v[130:133], v2 offset:1360
	scratch_load_b128 v[134:137], off, off offset:736
	v_fmac_f64_e32 v[170:171], v[124:125], v[138:139]
	v_fma_f64 v[138:139], v[122:123], v[138:139], -v[140:141]
	scratch_load_b128 v[122:125], off, off offset:752
	s_wait_loadcnt_dscnt 0xc01
	v_mul_f64_e32 v[168:169], v[4:5], v[148:149]
	v_mul_f64_e32 v[148:149], v[6:7], v[148:149]
	v_add_f64_e32 v[140:141], v[176:177], v[174:175]
	v_add_f64_e32 v[166:167], v[166:167], v[172:173]
	s_wait_loadcnt_dscnt 0xa00
	v_mul_f64_e32 v[172:173], v[130:131], v[160:161]
	v_mul_f64_e32 v[160:161], v[132:133], v[160:161]
	v_fmac_f64_e32 v[168:169], v[6:7], v[146:147]
	v_fma_f64 v[146:147], v[4:5], v[146:147], -v[148:149]
	v_add_f64_e32 v[148:149], v[140:141], v[138:139]
	v_add_f64_e32 v[166:167], v[166:167], v[170:171]
	ds_load_b128 v[4:7], v2 offset:1376
	ds_load_b128 v[138:141], v2 offset:1392
	v_fmac_f64_e32 v[172:173], v[132:133], v[158:159]
	v_fma_f64 v[130:131], v[130:131], v[158:159], -v[160:161]
	s_wait_loadcnt_dscnt 0x901
	v_mul_f64_e32 v[170:171], v[4:5], v[164:165]
	v_mul_f64_e32 v[164:165], v[6:7], v[164:165]
	v_add_f64_e32 v[132:133], v[148:149], v[146:147]
	v_add_f64_e32 v[146:147], v[166:167], v[168:169]
	s_wait_loadcnt_dscnt 0x800
	v_mul_f64_e32 v[148:149], v[138:139], v[10:11]
	v_mul_f64_e32 v[10:11], v[140:141], v[10:11]
	v_fmac_f64_e32 v[170:171], v[6:7], v[162:163]
	v_fma_f64 v[158:159], v[4:5], v[162:163], -v[164:165]
	v_add_f64_e32 v[160:161], v[132:133], v[130:131]
	v_add_f64_e32 v[146:147], v[146:147], v[172:173]
	ds_load_b128 v[4:7], v2 offset:1408
	ds_load_b128 v[130:133], v2 offset:1424
	v_fmac_f64_e32 v[148:149], v[140:141], v[8:9]
	v_fma_f64 v[8:9], v[138:139], v[8:9], -v[10:11]
	s_wait_loadcnt_dscnt 0x701
	v_mul_f64_e32 v[162:163], v[4:5], v[152:153]
	v_mul_f64_e32 v[152:153], v[6:7], v[152:153]
	s_wait_loadcnt_dscnt 0x600
	v_mul_f64_e32 v[140:141], v[130:131], v[18:19]
	v_mul_f64_e32 v[18:19], v[132:133], v[18:19]
	v_add_f64_e32 v[10:11], v[160:161], v[158:159]
	v_add_f64_e32 v[138:139], v[146:147], v[170:171]
	v_fmac_f64_e32 v[162:163], v[6:7], v[150:151]
	v_fma_f64 v[146:147], v[4:5], v[150:151], -v[152:153]
	v_fmac_f64_e32 v[140:141], v[132:133], v[16:17]
	v_fma_f64 v[16:17], v[130:131], v[16:17], -v[18:19]
	v_add_f64_e32 v[150:151], v[10:11], v[8:9]
	v_add_f64_e32 v[138:139], v[138:139], v[148:149]
	ds_load_b128 v[4:7], v2 offset:1440
	ds_load_b128 v[8:11], v2 offset:1456
	s_wait_loadcnt_dscnt 0x501
	v_mul_f64_e32 v[148:149], v[4:5], v[144:145]
	v_mul_f64_e32 v[144:145], v[6:7], v[144:145]
	s_wait_loadcnt_dscnt 0x400
	v_mul_f64_e32 v[132:133], v[8:9], v[14:15]
	v_add_f64_e32 v[18:19], v[150:151], v[146:147]
	v_add_f64_e32 v[130:131], v[138:139], v[162:163]
	v_mul_f64_e32 v[138:139], v[10:11], v[14:15]
	v_fmac_f64_e32 v[148:149], v[6:7], v[142:143]
	v_fma_f64 v[142:143], v[4:5], v[142:143], -v[144:145]
	v_fmac_f64_e32 v[132:133], v[10:11], v[12:13]
	v_add_f64_e32 v[18:19], v[18:19], v[16:17]
	v_add_f64_e32 v[130:131], v[130:131], v[140:141]
	ds_load_b128 v[4:7], v2 offset:1472
	ds_load_b128 v[14:17], v2 offset:1488
	v_fma_f64 v[8:9], v[8:9], v[12:13], -v[138:139]
	s_wait_loadcnt_dscnt 0x301
	v_mul_f64_e32 v[140:141], v[4:5], v[128:129]
	v_mul_f64_e32 v[128:129], v[6:7], v[128:129]
	v_add_f64_e32 v[10:11], v[18:19], v[142:143]
	v_add_f64_e32 v[12:13], v[130:131], v[148:149]
	s_wait_loadcnt_dscnt 0x200
	v_mul_f64_e32 v[18:19], v[14:15], v[22:23]
	v_mul_f64_e32 v[22:23], v[16:17], v[22:23]
	v_fmac_f64_e32 v[140:141], v[6:7], v[126:127]
	v_fma_f64 v[126:127], v[4:5], v[126:127], -v[128:129]
	v_add_f64_e32 v[128:129], v[10:11], v[8:9]
	v_add_f64_e32 v[12:13], v[12:13], v[132:133]
	ds_load_b128 v[4:7], v2 offset:1504
	ds_load_b128 v[8:11], v2 offset:1520
	v_fmac_f64_e32 v[18:19], v[16:17], v[20:21]
	v_fma_f64 v[14:15], v[14:15], v[20:21], -v[22:23]
	s_wait_loadcnt_dscnt 0x101
	v_mul_f64_e32 v[2:3], v[4:5], v[136:137]
	v_mul_f64_e32 v[130:131], v[6:7], v[136:137]
	s_wait_loadcnt_dscnt 0x0
	v_mul_f64_e32 v[20:21], v[8:9], v[124:125]
	v_mul_f64_e32 v[22:23], v[10:11], v[124:125]
	v_add_f64_e32 v[16:17], v[128:129], v[126:127]
	v_add_f64_e32 v[12:13], v[12:13], v[140:141]
	v_fmac_f64_e32 v[2:3], v[6:7], v[134:135]
	v_fma_f64 v[4:5], v[4:5], v[134:135], -v[130:131]
	v_fmac_f64_e32 v[20:21], v[10:11], v[122:123]
	v_fma_f64 v[8:9], v[8:9], v[122:123], -v[22:23]
	v_add_f64_e32 v[6:7], v[16:17], v[14:15]
	v_add_f64_e32 v[12:13], v[12:13], v[18:19]
	s_delay_alu instid0(VALU_DEP_2) | instskip(NEXT) | instid1(VALU_DEP_2)
	v_add_f64_e32 v[4:5], v[6:7], v[4:5]
	v_add_f64_e32 v[2:3], v[12:13], v[2:3]
	s_delay_alu instid0(VALU_DEP_2) | instskip(NEXT) | instid1(VALU_DEP_2)
	;; [unrolled: 3-line block ×3, first 2 shown]
	v_add_f64_e64 v[2:3], v[154:155], -v[4:5]
	v_add_f64_e64 v[4:5], v[156:157], -v[6:7]
	scratch_store_b128 off, v[2:5], off offset:400
	s_wait_xcnt 0x0
	v_cmpx_lt_u32_e32 24, v1
	s_cbranch_execz .LBB111_253
; %bb.252:
	scratch_load_b128 v[2:5], off, s40
	v_mov_b32_e32 v6, 0
	s_delay_alu instid0(VALU_DEP_1)
	v_dual_mov_b32 v7, v6 :: v_dual_mov_b32 v8, v6
	v_mov_b32_e32 v9, v6
	scratch_store_b128 off, v[6:9], off offset:384
	s_wait_loadcnt 0x0
	ds_store_b128 v120, v[2:5]
.LBB111_253:
	s_wait_xcnt 0x0
	s_or_b32 exec_lo, exec_lo, s2
	s_wait_storecnt_dscnt 0x0
	s_barrier_signal -1
	s_barrier_wait -1
	s_clause 0x9
	scratch_load_b128 v[4:7], off, off offset:400
	scratch_load_b128 v[8:11], off, off offset:416
	scratch_load_b128 v[12:15], off, off offset:432
	scratch_load_b128 v[16:19], off, off offset:448
	scratch_load_b128 v[20:23], off, off offset:464
	scratch_load_b128 v[122:125], off, off offset:480
	scratch_load_b128 v[126:129], off, off offset:496
	scratch_load_b128 v[130:133], off, off offset:512
	scratch_load_b128 v[134:137], off, off offset:528
	scratch_load_b128 v[138:141], off, off offset:544
	v_mov_b32_e32 v2, 0
	s_mov_b32 s2, exec_lo
	ds_load_b128 v[142:145], v2 offset:1168
	s_clause 0x2
	scratch_load_b128 v[146:149], off, off offset:560
	scratch_load_b128 v[150:153], off, off offset:384
	;; [unrolled: 1-line block ×3, first 2 shown]
	s_wait_loadcnt_dscnt 0xc00
	v_mul_f64_e32 v[162:163], v[144:145], v[6:7]
	v_mul_f64_e32 v[166:167], v[142:143], v[6:7]
	ds_load_b128 v[154:157], v2 offset:1184
	v_fma_f64 v[170:171], v[142:143], v[4:5], -v[162:163]
	v_fmac_f64_e32 v[166:167], v[144:145], v[4:5]
	ds_load_b128 v[4:7], v2 offset:1200
	s_wait_loadcnt_dscnt 0xb01
	v_mul_f64_e32 v[168:169], v[154:155], v[10:11]
	v_mul_f64_e32 v[10:11], v[156:157], v[10:11]
	scratch_load_b128 v[142:145], off, off offset:592
	ds_load_b128 v[162:165], v2 offset:1216
	s_wait_loadcnt_dscnt 0xb01
	v_mul_f64_e32 v[172:173], v[4:5], v[14:15]
	v_mul_f64_e32 v[14:15], v[6:7], v[14:15]
	v_add_f64_e32 v[166:167], 0, v[166:167]
	v_fmac_f64_e32 v[168:169], v[156:157], v[8:9]
	v_fma_f64 v[154:155], v[154:155], v[8:9], -v[10:11]
	v_add_f64_e32 v[156:157], 0, v[170:171]
	scratch_load_b128 v[8:11], off, off offset:608
	v_fmac_f64_e32 v[172:173], v[6:7], v[12:13]
	v_fma_f64 v[174:175], v[4:5], v[12:13], -v[14:15]
	ds_load_b128 v[4:7], v2 offset:1232
	s_wait_loadcnt_dscnt 0xb01
	v_mul_f64_e32 v[170:171], v[162:163], v[18:19]
	v_mul_f64_e32 v[18:19], v[164:165], v[18:19]
	scratch_load_b128 v[12:15], off, off offset:624
	v_add_f64_e32 v[166:167], v[166:167], v[168:169]
	v_add_f64_e32 v[176:177], v[156:157], v[154:155]
	ds_load_b128 v[154:157], v2 offset:1248
	s_wait_loadcnt_dscnt 0xb01
	v_mul_f64_e32 v[168:169], v[4:5], v[22:23]
	v_mul_f64_e32 v[22:23], v[6:7], v[22:23]
	v_fmac_f64_e32 v[170:171], v[164:165], v[16:17]
	v_fma_f64 v[162:163], v[162:163], v[16:17], -v[18:19]
	scratch_load_b128 v[16:19], off, off offset:640
	v_add_f64_e32 v[166:167], v[166:167], v[172:173]
	v_add_f64_e32 v[164:165], v[176:177], v[174:175]
	v_fmac_f64_e32 v[168:169], v[6:7], v[20:21]
	v_fma_f64 v[174:175], v[4:5], v[20:21], -v[22:23]
	ds_load_b128 v[4:7], v2 offset:1264
	s_wait_loadcnt_dscnt 0xb01
	v_mul_f64_e32 v[172:173], v[154:155], v[124:125]
	v_mul_f64_e32 v[124:125], v[156:157], v[124:125]
	scratch_load_b128 v[20:23], off, off offset:656
	v_add_f64_e32 v[166:167], v[166:167], v[170:171]
	s_wait_loadcnt_dscnt 0xb00
	v_mul_f64_e32 v[170:171], v[4:5], v[128:129]
	v_add_f64_e32 v[176:177], v[164:165], v[162:163]
	v_mul_f64_e32 v[128:129], v[6:7], v[128:129]
	ds_load_b128 v[162:165], v2 offset:1280
	v_fmac_f64_e32 v[172:173], v[156:157], v[122:123]
	v_fma_f64 v[154:155], v[154:155], v[122:123], -v[124:125]
	scratch_load_b128 v[122:125], off, off offset:672
	v_add_f64_e32 v[166:167], v[166:167], v[168:169]
	v_fmac_f64_e32 v[170:171], v[6:7], v[126:127]
	v_add_f64_e32 v[156:157], v[176:177], v[174:175]
	v_fma_f64 v[174:175], v[4:5], v[126:127], -v[128:129]
	ds_load_b128 v[4:7], v2 offset:1296
	s_wait_loadcnt_dscnt 0xb01
	v_mul_f64_e32 v[168:169], v[162:163], v[132:133]
	v_mul_f64_e32 v[132:133], v[164:165], v[132:133]
	scratch_load_b128 v[126:129], off, off offset:688
	v_add_f64_e32 v[166:167], v[166:167], v[172:173]
	s_wait_loadcnt_dscnt 0xb00
	v_mul_f64_e32 v[172:173], v[4:5], v[136:137]
	v_add_f64_e32 v[176:177], v[156:157], v[154:155]
	v_mul_f64_e32 v[136:137], v[6:7], v[136:137]
	ds_load_b128 v[154:157], v2 offset:1312
	v_fmac_f64_e32 v[168:169], v[164:165], v[130:131]
	v_fma_f64 v[162:163], v[162:163], v[130:131], -v[132:133]
	scratch_load_b128 v[130:133], off, off offset:704
	v_add_f64_e32 v[166:167], v[166:167], v[170:171]
	v_fmac_f64_e32 v[172:173], v[6:7], v[134:135]
	v_add_f64_e32 v[164:165], v[176:177], v[174:175]
	;; [unrolled: 18-line block ×3, first 2 shown]
	v_fma_f64 v[174:175], v[4:5], v[146:147], -v[148:149]
	ds_load_b128 v[4:7], v2 offset:1360
	s_wait_loadcnt_dscnt 0xa01
	v_mul_f64_e32 v[172:173], v[162:163], v[160:161]
	v_mul_f64_e32 v[160:161], v[164:165], v[160:161]
	scratch_load_b128 v[146:149], off, off offset:752
	v_add_f64_e32 v[166:167], v[166:167], v[170:171]
	v_add_f64_e32 v[176:177], v[156:157], v[154:155]
	s_wait_loadcnt_dscnt 0xa00
	v_mul_f64_e32 v[170:171], v[4:5], v[144:145]
	v_mul_f64_e32 v[144:145], v[6:7], v[144:145]
	v_fmac_f64_e32 v[172:173], v[164:165], v[158:159]
	v_fma_f64 v[158:159], v[162:163], v[158:159], -v[160:161]
	ds_load_b128 v[154:157], v2 offset:1376
	v_add_f64_e32 v[162:163], v[166:167], v[168:169]
	v_add_f64_e32 v[160:161], v[176:177], v[174:175]
	s_wait_loadcnt_dscnt 0x900
	v_mul_f64_e32 v[164:165], v[154:155], v[10:11]
	v_mul_f64_e32 v[10:11], v[156:157], v[10:11]
	v_fmac_f64_e32 v[170:171], v[6:7], v[142:143]
	v_fma_f64 v[166:167], v[4:5], v[142:143], -v[144:145]
	ds_load_b128 v[4:7], v2 offset:1392
	ds_load_b128 v[142:145], v2 offset:1408
	v_add_f64_e32 v[158:159], v[160:161], v[158:159]
	v_add_f64_e32 v[160:161], v[162:163], v[172:173]
	s_wait_loadcnt_dscnt 0x801
	v_mul_f64_e32 v[162:163], v[4:5], v[14:15]
	v_mul_f64_e32 v[14:15], v[6:7], v[14:15]
	v_fmac_f64_e32 v[164:165], v[156:157], v[8:9]
	v_fma_f64 v[8:9], v[154:155], v[8:9], -v[10:11]
	s_wait_loadcnt_dscnt 0x700
	v_mul_f64_e32 v[156:157], v[142:143], v[18:19]
	v_mul_f64_e32 v[18:19], v[144:145], v[18:19]
	v_add_f64_e32 v[10:11], v[158:159], v[166:167]
	v_add_f64_e32 v[154:155], v[160:161], v[170:171]
	v_fmac_f64_e32 v[162:163], v[6:7], v[12:13]
	v_fma_f64 v[12:13], v[4:5], v[12:13], -v[14:15]
	v_fmac_f64_e32 v[156:157], v[144:145], v[16:17]
	v_fma_f64 v[16:17], v[142:143], v[16:17], -v[18:19]
	v_add_f64_e32 v[14:15], v[10:11], v[8:9]
	v_add_f64_e32 v[154:155], v[154:155], v[164:165]
	ds_load_b128 v[4:7], v2 offset:1424
	ds_load_b128 v[8:11], v2 offset:1440
	s_wait_loadcnt_dscnt 0x601
	v_mul_f64_e32 v[158:159], v[4:5], v[22:23]
	v_mul_f64_e32 v[22:23], v[6:7], v[22:23]
	s_wait_loadcnt_dscnt 0x500
	v_mul_f64_e32 v[18:19], v[8:9], v[124:125]
	v_mul_f64_e32 v[124:125], v[10:11], v[124:125]
	v_add_f64_e32 v[12:13], v[14:15], v[12:13]
	v_add_f64_e32 v[14:15], v[154:155], v[162:163]
	v_fmac_f64_e32 v[158:159], v[6:7], v[20:21]
	v_fma_f64 v[20:21], v[4:5], v[20:21], -v[22:23]
	v_fmac_f64_e32 v[18:19], v[10:11], v[122:123]
	v_fma_f64 v[8:9], v[8:9], v[122:123], -v[124:125]
	v_add_f64_e32 v[16:17], v[12:13], v[16:17]
	v_add_f64_e32 v[22:23], v[14:15], v[156:157]
	ds_load_b128 v[4:7], v2 offset:1456
	ds_load_b128 v[12:15], v2 offset:1472
	s_wait_loadcnt_dscnt 0x401
	v_mul_f64_e32 v[142:143], v[4:5], v[128:129]
	v_mul_f64_e32 v[128:129], v[6:7], v[128:129]
	v_add_f64_e32 v[10:11], v[16:17], v[20:21]
	v_add_f64_e32 v[16:17], v[22:23], v[158:159]
	s_wait_loadcnt_dscnt 0x300
	v_mul_f64_e32 v[20:21], v[12:13], v[132:133]
	v_mul_f64_e32 v[22:23], v[14:15], v[132:133]
	v_fmac_f64_e32 v[142:143], v[6:7], v[126:127]
	v_fma_f64 v[122:123], v[4:5], v[126:127], -v[128:129]
	v_add_f64_e32 v[124:125], v[10:11], v[8:9]
	v_add_f64_e32 v[16:17], v[16:17], v[18:19]
	ds_load_b128 v[4:7], v2 offset:1488
	ds_load_b128 v[8:11], v2 offset:1504
	v_fmac_f64_e32 v[20:21], v[14:15], v[130:131]
	v_fma_f64 v[12:13], v[12:13], v[130:131], -v[22:23]
	s_wait_loadcnt_dscnt 0x201
	v_mul_f64_e32 v[18:19], v[4:5], v[136:137]
	v_mul_f64_e32 v[126:127], v[6:7], v[136:137]
	s_wait_loadcnt_dscnt 0x100
	v_mul_f64_e32 v[22:23], v[8:9], v[140:141]
	v_add_f64_e32 v[14:15], v[124:125], v[122:123]
	v_add_f64_e32 v[16:17], v[16:17], v[142:143]
	v_mul_f64_e32 v[122:123], v[10:11], v[140:141]
	v_fmac_f64_e32 v[18:19], v[6:7], v[134:135]
	v_fma_f64 v[124:125], v[4:5], v[134:135], -v[126:127]
	ds_load_b128 v[4:7], v2 offset:1520
	v_fmac_f64_e32 v[22:23], v[10:11], v[138:139]
	v_add_f64_e32 v[12:13], v[14:15], v[12:13]
	v_add_f64_e32 v[14:15], v[16:17], v[20:21]
	v_fma_f64 v[8:9], v[8:9], v[138:139], -v[122:123]
	s_wait_loadcnt_dscnt 0x0
	v_mul_f64_e32 v[16:17], v[4:5], v[148:149]
	v_mul_f64_e32 v[20:21], v[6:7], v[148:149]
	v_add_f64_e32 v[10:11], v[12:13], v[124:125]
	v_add_f64_e32 v[12:13], v[14:15], v[18:19]
	s_delay_alu instid0(VALU_DEP_4) | instskip(NEXT) | instid1(VALU_DEP_4)
	v_fmac_f64_e32 v[16:17], v[6:7], v[146:147]
	v_fma_f64 v[4:5], v[4:5], v[146:147], -v[20:21]
	s_delay_alu instid0(VALU_DEP_4) | instskip(NEXT) | instid1(VALU_DEP_4)
	v_add_f64_e32 v[6:7], v[10:11], v[8:9]
	v_add_f64_e32 v[8:9], v[12:13], v[22:23]
	s_delay_alu instid0(VALU_DEP_2) | instskip(NEXT) | instid1(VALU_DEP_2)
	v_add_f64_e32 v[4:5], v[6:7], v[4:5]
	v_add_f64_e32 v[6:7], v[8:9], v[16:17]
	s_delay_alu instid0(VALU_DEP_2) | instskip(NEXT) | instid1(VALU_DEP_2)
	v_add_f64_e64 v[4:5], v[150:151], -v[4:5]
	v_add_f64_e64 v[6:7], v[152:153], -v[6:7]
	scratch_store_b128 off, v[4:7], off offset:384
	s_wait_xcnt 0x0
	v_cmpx_lt_u32_e32 23, v1
	s_cbranch_execz .LBB111_255
; %bb.254:
	scratch_load_b128 v[6:9], off, s41
	v_dual_mov_b32 v3, v2 :: v_dual_mov_b32 v4, v2
	v_mov_b32_e32 v5, v2
	scratch_store_b128 off, v[2:5], off offset:368
	s_wait_loadcnt 0x0
	ds_store_b128 v120, v[6:9]
.LBB111_255:
	s_wait_xcnt 0x0
	s_or_b32 exec_lo, exec_lo, s2
	s_wait_storecnt_dscnt 0x0
	s_barrier_signal -1
	s_barrier_wait -1
	s_clause 0x9
	scratch_load_b128 v[4:7], off, off offset:384
	scratch_load_b128 v[8:11], off, off offset:400
	;; [unrolled: 1-line block ×10, first 2 shown]
	ds_load_b128 v[142:145], v2 offset:1152
	ds_load_b128 v[150:153], v2 offset:1168
	s_clause 0x2
	scratch_load_b128 v[146:149], off, off offset:544
	scratch_load_b128 v[154:157], off, off offset:368
	;; [unrolled: 1-line block ×3, first 2 shown]
	s_mov_b32 s2, exec_lo
	s_wait_loadcnt_dscnt 0xc01
	v_mul_f64_e32 v[162:163], v[144:145], v[6:7]
	v_mul_f64_e32 v[166:167], v[142:143], v[6:7]
	s_wait_loadcnt_dscnt 0xb00
	v_mul_f64_e32 v[168:169], v[150:151], v[10:11]
	v_mul_f64_e32 v[10:11], v[152:153], v[10:11]
	s_delay_alu instid0(VALU_DEP_4) | instskip(NEXT) | instid1(VALU_DEP_4)
	v_fma_f64 v[170:171], v[142:143], v[4:5], -v[162:163]
	v_fmac_f64_e32 v[166:167], v[144:145], v[4:5]
	ds_load_b128 v[4:7], v2 offset:1184
	ds_load_b128 v[142:145], v2 offset:1200
	scratch_load_b128 v[162:165], off, off offset:576
	v_fmac_f64_e32 v[168:169], v[152:153], v[8:9]
	v_fma_f64 v[150:151], v[150:151], v[8:9], -v[10:11]
	scratch_load_b128 v[8:11], off, off offset:592
	s_wait_loadcnt_dscnt 0xc01
	v_mul_f64_e32 v[172:173], v[4:5], v[14:15]
	v_mul_f64_e32 v[14:15], v[6:7], v[14:15]
	v_add_f64_e32 v[152:153], 0, v[170:171]
	v_add_f64_e32 v[166:167], 0, v[166:167]
	s_wait_loadcnt_dscnt 0xb00
	v_mul_f64_e32 v[170:171], v[142:143], v[18:19]
	v_mul_f64_e32 v[18:19], v[144:145], v[18:19]
	v_fmac_f64_e32 v[172:173], v[6:7], v[12:13]
	v_fma_f64 v[174:175], v[4:5], v[12:13], -v[14:15]
	ds_load_b128 v[4:7], v2 offset:1216
	ds_load_b128 v[12:15], v2 offset:1232
	v_add_f64_e32 v[176:177], v[152:153], v[150:151]
	v_add_f64_e32 v[166:167], v[166:167], v[168:169]
	scratch_load_b128 v[150:153], off, off offset:608
	v_fmac_f64_e32 v[170:171], v[144:145], v[16:17]
	v_fma_f64 v[142:143], v[142:143], v[16:17], -v[18:19]
	scratch_load_b128 v[16:19], off, off offset:624
	s_wait_loadcnt_dscnt 0xc01
	v_mul_f64_e32 v[168:169], v[4:5], v[22:23]
	v_mul_f64_e32 v[22:23], v[6:7], v[22:23]
	v_add_f64_e32 v[144:145], v[176:177], v[174:175]
	v_add_f64_e32 v[166:167], v[166:167], v[172:173]
	s_wait_loadcnt_dscnt 0xb00
	v_mul_f64_e32 v[172:173], v[12:13], v[124:125]
	v_mul_f64_e32 v[124:125], v[14:15], v[124:125]
	v_fmac_f64_e32 v[168:169], v[6:7], v[20:21]
	v_fma_f64 v[174:175], v[4:5], v[20:21], -v[22:23]
	ds_load_b128 v[4:7], v2 offset:1248
	ds_load_b128 v[20:23], v2 offset:1264
	v_add_f64_e32 v[176:177], v[144:145], v[142:143]
	v_add_f64_e32 v[166:167], v[166:167], v[170:171]
	scratch_load_b128 v[142:145], off, off offset:640
	s_wait_loadcnt_dscnt 0xb01
	v_mul_f64_e32 v[170:171], v[4:5], v[128:129]
	v_mul_f64_e32 v[128:129], v[6:7], v[128:129]
	v_fmac_f64_e32 v[172:173], v[14:15], v[122:123]
	v_fma_f64 v[122:123], v[12:13], v[122:123], -v[124:125]
	scratch_load_b128 v[12:15], off, off offset:656
	v_add_f64_e32 v[124:125], v[176:177], v[174:175]
	v_add_f64_e32 v[166:167], v[166:167], v[168:169]
	s_wait_loadcnt_dscnt 0xb00
	v_mul_f64_e32 v[168:169], v[20:21], v[132:133]
	v_mul_f64_e32 v[132:133], v[22:23], v[132:133]
	v_fmac_f64_e32 v[170:171], v[6:7], v[126:127]
	v_fma_f64 v[174:175], v[4:5], v[126:127], -v[128:129]
	v_add_f64_e32 v[176:177], v[124:125], v[122:123]
	v_add_f64_e32 v[166:167], v[166:167], v[172:173]
	ds_load_b128 v[4:7], v2 offset:1280
	ds_load_b128 v[122:125], v2 offset:1296
	scratch_load_b128 v[126:129], off, off offset:672
	v_fmac_f64_e32 v[168:169], v[22:23], v[130:131]
	v_fma_f64 v[130:131], v[20:21], v[130:131], -v[132:133]
	scratch_load_b128 v[20:23], off, off offset:688
	s_wait_loadcnt_dscnt 0xc01
	v_mul_f64_e32 v[172:173], v[4:5], v[136:137]
	v_mul_f64_e32 v[136:137], v[6:7], v[136:137]
	v_add_f64_e32 v[132:133], v[176:177], v[174:175]
	v_add_f64_e32 v[166:167], v[166:167], v[170:171]
	s_wait_loadcnt_dscnt 0xb00
	v_mul_f64_e32 v[170:171], v[122:123], v[140:141]
	v_mul_f64_e32 v[140:141], v[124:125], v[140:141]
	v_fmac_f64_e32 v[172:173], v[6:7], v[134:135]
	v_fma_f64 v[174:175], v[4:5], v[134:135], -v[136:137]
	v_add_f64_e32 v[176:177], v[132:133], v[130:131]
	v_add_f64_e32 v[166:167], v[166:167], v[168:169]
	ds_load_b128 v[4:7], v2 offset:1312
	ds_load_b128 v[130:133], v2 offset:1328
	scratch_load_b128 v[134:137], off, off offset:704
	v_fmac_f64_e32 v[170:171], v[124:125], v[138:139]
	v_fma_f64 v[138:139], v[122:123], v[138:139], -v[140:141]
	scratch_load_b128 v[122:125], off, off offset:720
	s_wait_loadcnt_dscnt 0xc01
	v_mul_f64_e32 v[168:169], v[4:5], v[148:149]
	v_mul_f64_e32 v[148:149], v[6:7], v[148:149]
	;; [unrolled: 18-line block ×3, first 2 shown]
	v_add_f64_e32 v[160:161], v[176:177], v[174:175]
	v_add_f64_e32 v[166:167], v[166:167], v[168:169]
	s_wait_loadcnt_dscnt 0xa00
	v_mul_f64_e32 v[168:169], v[138:139], v[10:11]
	v_mul_f64_e32 v[10:11], v[140:141], v[10:11]
	v_fmac_f64_e32 v[170:171], v[6:7], v[162:163]
	v_fma_f64 v[162:163], v[4:5], v[162:163], -v[164:165]
	v_add_f64_e32 v[164:165], v[160:161], v[158:159]
	v_add_f64_e32 v[166:167], v[166:167], v[172:173]
	ds_load_b128 v[4:7], v2 offset:1376
	ds_load_b128 v[158:161], v2 offset:1392
	v_fmac_f64_e32 v[168:169], v[140:141], v[8:9]
	v_fma_f64 v[8:9], v[138:139], v[8:9], -v[10:11]
	s_wait_loadcnt_dscnt 0x901
	v_mul_f64_e32 v[172:173], v[4:5], v[152:153]
	v_mul_f64_e32 v[152:153], v[6:7], v[152:153]
	s_wait_loadcnt_dscnt 0x800
	v_mul_f64_e32 v[140:141], v[158:159], v[18:19]
	v_mul_f64_e32 v[18:19], v[160:161], v[18:19]
	v_add_f64_e32 v[10:11], v[164:165], v[162:163]
	v_add_f64_e32 v[138:139], v[166:167], v[170:171]
	v_fmac_f64_e32 v[172:173], v[6:7], v[150:151]
	v_fma_f64 v[150:151], v[4:5], v[150:151], -v[152:153]
	v_fmac_f64_e32 v[140:141], v[160:161], v[16:17]
	v_fma_f64 v[16:17], v[158:159], v[16:17], -v[18:19]
	v_add_f64_e32 v[152:153], v[10:11], v[8:9]
	v_add_f64_e32 v[138:139], v[138:139], v[168:169]
	ds_load_b128 v[4:7], v2 offset:1408
	ds_load_b128 v[8:11], v2 offset:1424
	s_wait_loadcnt_dscnt 0x701
	v_mul_f64_e32 v[162:163], v[4:5], v[144:145]
	v_mul_f64_e32 v[144:145], v[6:7], v[144:145]
	v_add_f64_e32 v[18:19], v[152:153], v[150:151]
	v_add_f64_e32 v[138:139], v[138:139], v[172:173]
	s_wait_loadcnt_dscnt 0x600
	v_mul_f64_e32 v[150:151], v[8:9], v[14:15]
	v_mul_f64_e32 v[152:153], v[10:11], v[14:15]
	v_fmac_f64_e32 v[162:163], v[6:7], v[142:143]
	v_fma_f64 v[142:143], v[4:5], v[142:143], -v[144:145]
	v_add_f64_e32 v[18:19], v[18:19], v[16:17]
	v_add_f64_e32 v[138:139], v[138:139], v[140:141]
	ds_load_b128 v[4:7], v2 offset:1440
	ds_load_b128 v[14:17], v2 offset:1456
	v_fmac_f64_e32 v[150:151], v[10:11], v[12:13]
	v_fma_f64 v[8:9], v[8:9], v[12:13], -v[152:153]
	s_wait_loadcnt_dscnt 0x501
	v_mul_f64_e32 v[140:141], v[4:5], v[128:129]
	v_mul_f64_e32 v[128:129], v[6:7], v[128:129]
	v_add_f64_e32 v[10:11], v[18:19], v[142:143]
	v_add_f64_e32 v[12:13], v[138:139], v[162:163]
	s_wait_loadcnt_dscnt 0x400
	v_mul_f64_e32 v[18:19], v[14:15], v[22:23]
	v_mul_f64_e32 v[22:23], v[16:17], v[22:23]
	v_fmac_f64_e32 v[140:141], v[6:7], v[126:127]
	v_fma_f64 v[126:127], v[4:5], v[126:127], -v[128:129]
	v_add_f64_e32 v[128:129], v[10:11], v[8:9]
	v_add_f64_e32 v[12:13], v[12:13], v[150:151]
	ds_load_b128 v[4:7], v2 offset:1472
	ds_load_b128 v[8:11], v2 offset:1488
	v_fmac_f64_e32 v[18:19], v[16:17], v[20:21]
	v_fma_f64 v[14:15], v[14:15], v[20:21], -v[22:23]
	s_wait_loadcnt_dscnt 0x301
	v_mul_f64_e32 v[138:139], v[4:5], v[136:137]
	v_mul_f64_e32 v[136:137], v[6:7], v[136:137]
	s_wait_loadcnt_dscnt 0x200
	v_mul_f64_e32 v[20:21], v[8:9], v[124:125]
	v_mul_f64_e32 v[22:23], v[10:11], v[124:125]
	v_add_f64_e32 v[16:17], v[128:129], v[126:127]
	v_add_f64_e32 v[12:13], v[12:13], v[140:141]
	v_fmac_f64_e32 v[138:139], v[6:7], v[134:135]
	v_fma_f64 v[124:125], v[4:5], v[134:135], -v[136:137]
	v_fmac_f64_e32 v[20:21], v[10:11], v[122:123]
	v_fma_f64 v[8:9], v[8:9], v[122:123], -v[22:23]
	v_add_f64_e32 v[16:17], v[16:17], v[14:15]
	v_add_f64_e32 v[18:19], v[12:13], v[18:19]
	ds_load_b128 v[4:7], v2 offset:1504
	ds_load_b128 v[12:15], v2 offset:1520
	s_wait_loadcnt_dscnt 0x101
	v_mul_f64_e32 v[2:3], v[4:5], v[148:149]
	v_mul_f64_e32 v[126:127], v[6:7], v[148:149]
	s_wait_loadcnt_dscnt 0x0
	v_mul_f64_e32 v[22:23], v[14:15], v[132:133]
	v_add_f64_e32 v[10:11], v[16:17], v[124:125]
	v_add_f64_e32 v[16:17], v[18:19], v[138:139]
	v_mul_f64_e32 v[18:19], v[12:13], v[132:133]
	v_fmac_f64_e32 v[2:3], v[6:7], v[146:147]
	v_fma_f64 v[4:5], v[4:5], v[146:147], -v[126:127]
	v_add_f64_e32 v[6:7], v[10:11], v[8:9]
	v_add_f64_e32 v[8:9], v[16:17], v[20:21]
	v_fmac_f64_e32 v[18:19], v[14:15], v[130:131]
	v_fma_f64 v[10:11], v[12:13], v[130:131], -v[22:23]
	s_delay_alu instid0(VALU_DEP_4) | instskip(NEXT) | instid1(VALU_DEP_4)
	v_add_f64_e32 v[4:5], v[6:7], v[4:5]
	v_add_f64_e32 v[2:3], v[8:9], v[2:3]
	s_delay_alu instid0(VALU_DEP_2) | instskip(NEXT) | instid1(VALU_DEP_2)
	v_add_f64_e32 v[4:5], v[4:5], v[10:11]
	v_add_f64_e32 v[6:7], v[2:3], v[18:19]
	s_delay_alu instid0(VALU_DEP_2) | instskip(NEXT) | instid1(VALU_DEP_2)
	v_add_f64_e64 v[2:3], v[154:155], -v[4:5]
	v_add_f64_e64 v[4:5], v[156:157], -v[6:7]
	scratch_store_b128 off, v[2:5], off offset:368
	s_wait_xcnt 0x0
	v_cmpx_lt_u32_e32 22, v1
	s_cbranch_execz .LBB111_257
; %bb.256:
	scratch_load_b128 v[2:5], off, s42
	v_mov_b32_e32 v6, 0
	s_delay_alu instid0(VALU_DEP_1)
	v_dual_mov_b32 v7, v6 :: v_dual_mov_b32 v8, v6
	v_mov_b32_e32 v9, v6
	scratch_store_b128 off, v[6:9], off offset:352
	s_wait_loadcnt 0x0
	ds_store_b128 v120, v[2:5]
.LBB111_257:
	s_wait_xcnt 0x0
	s_or_b32 exec_lo, exec_lo, s2
	s_wait_storecnt_dscnt 0x0
	s_barrier_signal -1
	s_barrier_wait -1
	s_clause 0x9
	scratch_load_b128 v[4:7], off, off offset:368
	scratch_load_b128 v[8:11], off, off offset:384
	;; [unrolled: 1-line block ×10, first 2 shown]
	v_mov_b32_e32 v2, 0
	s_mov_b32 s2, exec_lo
	ds_load_b128 v[142:145], v2 offset:1136
	s_clause 0x2
	scratch_load_b128 v[146:149], off, off offset:528
	scratch_load_b128 v[150:153], off, off offset:352
	;; [unrolled: 1-line block ×3, first 2 shown]
	s_wait_loadcnt_dscnt 0xc00
	v_mul_f64_e32 v[162:163], v[144:145], v[6:7]
	v_mul_f64_e32 v[166:167], v[142:143], v[6:7]
	ds_load_b128 v[154:157], v2 offset:1152
	v_fma_f64 v[170:171], v[142:143], v[4:5], -v[162:163]
	v_fmac_f64_e32 v[166:167], v[144:145], v[4:5]
	ds_load_b128 v[4:7], v2 offset:1168
	s_wait_loadcnt_dscnt 0xb01
	v_mul_f64_e32 v[168:169], v[154:155], v[10:11]
	v_mul_f64_e32 v[10:11], v[156:157], v[10:11]
	scratch_load_b128 v[142:145], off, off offset:560
	ds_load_b128 v[162:165], v2 offset:1184
	s_wait_loadcnt_dscnt 0xb01
	v_mul_f64_e32 v[172:173], v[4:5], v[14:15]
	v_mul_f64_e32 v[14:15], v[6:7], v[14:15]
	v_add_f64_e32 v[166:167], 0, v[166:167]
	v_fmac_f64_e32 v[168:169], v[156:157], v[8:9]
	v_fma_f64 v[154:155], v[154:155], v[8:9], -v[10:11]
	v_add_f64_e32 v[156:157], 0, v[170:171]
	scratch_load_b128 v[8:11], off, off offset:576
	v_fmac_f64_e32 v[172:173], v[6:7], v[12:13]
	v_fma_f64 v[174:175], v[4:5], v[12:13], -v[14:15]
	ds_load_b128 v[4:7], v2 offset:1200
	s_wait_loadcnt_dscnt 0xb01
	v_mul_f64_e32 v[170:171], v[162:163], v[18:19]
	v_mul_f64_e32 v[18:19], v[164:165], v[18:19]
	scratch_load_b128 v[12:15], off, off offset:592
	v_add_f64_e32 v[166:167], v[166:167], v[168:169]
	v_add_f64_e32 v[176:177], v[156:157], v[154:155]
	ds_load_b128 v[154:157], v2 offset:1216
	s_wait_loadcnt_dscnt 0xb01
	v_mul_f64_e32 v[168:169], v[4:5], v[22:23]
	v_mul_f64_e32 v[22:23], v[6:7], v[22:23]
	v_fmac_f64_e32 v[170:171], v[164:165], v[16:17]
	v_fma_f64 v[162:163], v[162:163], v[16:17], -v[18:19]
	scratch_load_b128 v[16:19], off, off offset:608
	v_add_f64_e32 v[166:167], v[166:167], v[172:173]
	v_add_f64_e32 v[164:165], v[176:177], v[174:175]
	v_fmac_f64_e32 v[168:169], v[6:7], v[20:21]
	v_fma_f64 v[174:175], v[4:5], v[20:21], -v[22:23]
	ds_load_b128 v[4:7], v2 offset:1232
	s_wait_loadcnt_dscnt 0xb01
	v_mul_f64_e32 v[172:173], v[154:155], v[124:125]
	v_mul_f64_e32 v[124:125], v[156:157], v[124:125]
	scratch_load_b128 v[20:23], off, off offset:624
	v_add_f64_e32 v[166:167], v[166:167], v[170:171]
	s_wait_loadcnt_dscnt 0xb00
	v_mul_f64_e32 v[170:171], v[4:5], v[128:129]
	v_add_f64_e32 v[176:177], v[164:165], v[162:163]
	v_mul_f64_e32 v[128:129], v[6:7], v[128:129]
	ds_load_b128 v[162:165], v2 offset:1248
	v_fmac_f64_e32 v[172:173], v[156:157], v[122:123]
	v_fma_f64 v[154:155], v[154:155], v[122:123], -v[124:125]
	scratch_load_b128 v[122:125], off, off offset:640
	v_add_f64_e32 v[166:167], v[166:167], v[168:169]
	v_fmac_f64_e32 v[170:171], v[6:7], v[126:127]
	v_add_f64_e32 v[156:157], v[176:177], v[174:175]
	v_fma_f64 v[174:175], v[4:5], v[126:127], -v[128:129]
	ds_load_b128 v[4:7], v2 offset:1264
	s_wait_loadcnt_dscnt 0xb01
	v_mul_f64_e32 v[168:169], v[162:163], v[132:133]
	v_mul_f64_e32 v[132:133], v[164:165], v[132:133]
	scratch_load_b128 v[126:129], off, off offset:656
	v_add_f64_e32 v[166:167], v[166:167], v[172:173]
	s_wait_loadcnt_dscnt 0xb00
	v_mul_f64_e32 v[172:173], v[4:5], v[136:137]
	v_add_f64_e32 v[176:177], v[156:157], v[154:155]
	v_mul_f64_e32 v[136:137], v[6:7], v[136:137]
	ds_load_b128 v[154:157], v2 offset:1280
	v_fmac_f64_e32 v[168:169], v[164:165], v[130:131]
	v_fma_f64 v[162:163], v[162:163], v[130:131], -v[132:133]
	scratch_load_b128 v[130:133], off, off offset:672
	v_add_f64_e32 v[166:167], v[166:167], v[170:171]
	v_fmac_f64_e32 v[172:173], v[6:7], v[134:135]
	v_add_f64_e32 v[164:165], v[176:177], v[174:175]
	;; [unrolled: 18-line block ×3, first 2 shown]
	v_fma_f64 v[174:175], v[4:5], v[146:147], -v[148:149]
	ds_load_b128 v[4:7], v2 offset:1328
	s_wait_loadcnt_dscnt 0xa01
	v_mul_f64_e32 v[172:173], v[162:163], v[160:161]
	v_mul_f64_e32 v[160:161], v[164:165], v[160:161]
	scratch_load_b128 v[146:149], off, off offset:720
	v_add_f64_e32 v[166:167], v[166:167], v[170:171]
	v_add_f64_e32 v[176:177], v[156:157], v[154:155]
	s_wait_loadcnt_dscnt 0xa00
	v_mul_f64_e32 v[170:171], v[4:5], v[144:145]
	v_mul_f64_e32 v[144:145], v[6:7], v[144:145]
	v_fmac_f64_e32 v[172:173], v[164:165], v[158:159]
	v_fma_f64 v[162:163], v[162:163], v[158:159], -v[160:161]
	ds_load_b128 v[154:157], v2 offset:1344
	scratch_load_b128 v[158:161], off, off offset:736
	v_add_f64_e32 v[166:167], v[166:167], v[168:169]
	v_add_f64_e32 v[164:165], v[176:177], v[174:175]
	v_fmac_f64_e32 v[170:171], v[6:7], v[142:143]
	v_fma_f64 v[174:175], v[4:5], v[142:143], -v[144:145]
	ds_load_b128 v[4:7], v2 offset:1360
	s_wait_loadcnt_dscnt 0xa01
	v_mul_f64_e32 v[168:169], v[154:155], v[10:11]
	v_mul_f64_e32 v[10:11], v[156:157], v[10:11]
	scratch_load_b128 v[142:145], off, off offset:752
	v_add_f64_e32 v[166:167], v[166:167], v[172:173]
	s_wait_loadcnt_dscnt 0xa00
	v_mul_f64_e32 v[172:173], v[4:5], v[14:15]
	v_add_f64_e32 v[176:177], v[164:165], v[162:163]
	v_mul_f64_e32 v[14:15], v[6:7], v[14:15]
	ds_load_b128 v[162:165], v2 offset:1376
	v_fmac_f64_e32 v[168:169], v[156:157], v[8:9]
	v_fma_f64 v[8:9], v[154:155], v[8:9], -v[10:11]
	s_wait_loadcnt_dscnt 0x900
	v_mul_f64_e32 v[156:157], v[162:163], v[18:19]
	v_mul_f64_e32 v[18:19], v[164:165], v[18:19]
	v_add_f64_e32 v[154:155], v[166:167], v[170:171]
	v_fmac_f64_e32 v[172:173], v[6:7], v[12:13]
	v_add_f64_e32 v[10:11], v[176:177], v[174:175]
	v_fma_f64 v[12:13], v[4:5], v[12:13], -v[14:15]
	v_fmac_f64_e32 v[156:157], v[164:165], v[16:17]
	v_fma_f64 v[16:17], v[162:163], v[16:17], -v[18:19]
	v_add_f64_e32 v[154:155], v[154:155], v[168:169]
	v_add_f64_e32 v[14:15], v[10:11], v[8:9]
	ds_load_b128 v[4:7], v2 offset:1392
	ds_load_b128 v[8:11], v2 offset:1408
	s_wait_loadcnt_dscnt 0x801
	v_mul_f64_e32 v[166:167], v[4:5], v[22:23]
	v_mul_f64_e32 v[22:23], v[6:7], v[22:23]
	s_wait_loadcnt_dscnt 0x700
	v_mul_f64_e32 v[18:19], v[8:9], v[124:125]
	v_mul_f64_e32 v[124:125], v[10:11], v[124:125]
	v_add_f64_e32 v[12:13], v[14:15], v[12:13]
	v_add_f64_e32 v[14:15], v[154:155], v[172:173]
	v_fmac_f64_e32 v[166:167], v[6:7], v[20:21]
	v_fma_f64 v[20:21], v[4:5], v[20:21], -v[22:23]
	v_fmac_f64_e32 v[18:19], v[10:11], v[122:123]
	v_fma_f64 v[8:9], v[8:9], v[122:123], -v[124:125]
	v_add_f64_e32 v[16:17], v[12:13], v[16:17]
	v_add_f64_e32 v[22:23], v[14:15], v[156:157]
	ds_load_b128 v[4:7], v2 offset:1424
	ds_load_b128 v[12:15], v2 offset:1440
	s_wait_loadcnt_dscnt 0x601
	v_mul_f64_e32 v[154:155], v[4:5], v[128:129]
	v_mul_f64_e32 v[128:129], v[6:7], v[128:129]
	v_add_f64_e32 v[10:11], v[16:17], v[20:21]
	v_add_f64_e32 v[16:17], v[22:23], v[166:167]
	s_wait_loadcnt_dscnt 0x500
	v_mul_f64_e32 v[20:21], v[12:13], v[132:133]
	v_mul_f64_e32 v[22:23], v[14:15], v[132:133]
	v_fmac_f64_e32 v[154:155], v[6:7], v[126:127]
	v_fma_f64 v[122:123], v[4:5], v[126:127], -v[128:129]
	v_add_f64_e32 v[124:125], v[10:11], v[8:9]
	v_add_f64_e32 v[16:17], v[16:17], v[18:19]
	ds_load_b128 v[4:7], v2 offset:1456
	ds_load_b128 v[8:11], v2 offset:1472
	v_fmac_f64_e32 v[20:21], v[14:15], v[130:131]
	v_fma_f64 v[12:13], v[12:13], v[130:131], -v[22:23]
	s_wait_loadcnt_dscnt 0x401
	v_mul_f64_e32 v[18:19], v[4:5], v[136:137]
	v_mul_f64_e32 v[126:127], v[6:7], v[136:137]
	s_wait_loadcnt_dscnt 0x300
	v_mul_f64_e32 v[22:23], v[8:9], v[140:141]
	v_add_f64_e32 v[14:15], v[124:125], v[122:123]
	v_add_f64_e32 v[16:17], v[16:17], v[154:155]
	v_mul_f64_e32 v[122:123], v[10:11], v[140:141]
	v_fmac_f64_e32 v[18:19], v[6:7], v[134:135]
	v_fma_f64 v[124:125], v[4:5], v[134:135], -v[126:127]
	v_fmac_f64_e32 v[22:23], v[10:11], v[138:139]
	v_add_f64_e32 v[126:127], v[14:15], v[12:13]
	v_add_f64_e32 v[16:17], v[16:17], v[20:21]
	ds_load_b128 v[4:7], v2 offset:1488
	ds_load_b128 v[12:15], v2 offset:1504
	v_fma_f64 v[8:9], v[8:9], v[138:139], -v[122:123]
	s_wait_loadcnt_dscnt 0x201
	v_mul_f64_e32 v[20:21], v[4:5], v[148:149]
	v_mul_f64_e32 v[128:129], v[6:7], v[148:149]
	s_wait_loadcnt_dscnt 0x100
	v_mul_f64_e32 v[122:123], v[14:15], v[160:161]
	v_add_f64_e32 v[10:11], v[126:127], v[124:125]
	v_add_f64_e32 v[16:17], v[16:17], v[18:19]
	v_mul_f64_e32 v[18:19], v[12:13], v[160:161]
	v_fmac_f64_e32 v[20:21], v[6:7], v[146:147]
	v_fma_f64 v[124:125], v[4:5], v[146:147], -v[128:129]
	ds_load_b128 v[4:7], v2 offset:1520
	v_fma_f64 v[12:13], v[12:13], v[158:159], -v[122:123]
	v_add_f64_e32 v[8:9], v[10:11], v[8:9]
	v_add_f64_e32 v[10:11], v[16:17], v[22:23]
	v_fmac_f64_e32 v[18:19], v[14:15], v[158:159]
	s_wait_loadcnt_dscnt 0x0
	v_mul_f64_e32 v[16:17], v[4:5], v[144:145]
	v_mul_f64_e32 v[22:23], v[6:7], v[144:145]
	v_add_f64_e32 v[8:9], v[8:9], v[124:125]
	v_add_f64_e32 v[10:11], v[10:11], v[20:21]
	s_delay_alu instid0(VALU_DEP_4) | instskip(NEXT) | instid1(VALU_DEP_4)
	v_fmac_f64_e32 v[16:17], v[6:7], v[142:143]
	v_fma_f64 v[4:5], v[4:5], v[142:143], -v[22:23]
	s_delay_alu instid0(VALU_DEP_4) | instskip(NEXT) | instid1(VALU_DEP_4)
	v_add_f64_e32 v[6:7], v[8:9], v[12:13]
	v_add_f64_e32 v[8:9], v[10:11], v[18:19]
	s_delay_alu instid0(VALU_DEP_2) | instskip(NEXT) | instid1(VALU_DEP_2)
	v_add_f64_e32 v[4:5], v[6:7], v[4:5]
	v_add_f64_e32 v[6:7], v[8:9], v[16:17]
	s_delay_alu instid0(VALU_DEP_2) | instskip(NEXT) | instid1(VALU_DEP_2)
	v_add_f64_e64 v[4:5], v[150:151], -v[4:5]
	v_add_f64_e64 v[6:7], v[152:153], -v[6:7]
	scratch_store_b128 off, v[4:7], off offset:352
	s_wait_xcnt 0x0
	v_cmpx_lt_u32_e32 21, v1
	s_cbranch_execz .LBB111_259
; %bb.258:
	scratch_load_b128 v[6:9], off, s43
	v_dual_mov_b32 v3, v2 :: v_dual_mov_b32 v4, v2
	v_mov_b32_e32 v5, v2
	scratch_store_b128 off, v[2:5], off offset:336
	s_wait_loadcnt 0x0
	ds_store_b128 v120, v[6:9]
.LBB111_259:
	s_wait_xcnt 0x0
	s_or_b32 exec_lo, exec_lo, s2
	s_wait_storecnt_dscnt 0x0
	s_barrier_signal -1
	s_barrier_wait -1
	s_clause 0x9
	scratch_load_b128 v[4:7], off, off offset:352
	scratch_load_b128 v[8:11], off, off offset:368
	;; [unrolled: 1-line block ×10, first 2 shown]
	ds_load_b128 v[142:145], v2 offset:1120
	ds_load_b128 v[150:153], v2 offset:1136
	s_clause 0x2
	scratch_load_b128 v[146:149], off, off offset:512
	scratch_load_b128 v[154:157], off, off offset:336
	;; [unrolled: 1-line block ×3, first 2 shown]
	s_mov_b32 s2, exec_lo
	s_wait_loadcnt_dscnt 0xc01
	v_mul_f64_e32 v[162:163], v[144:145], v[6:7]
	v_mul_f64_e32 v[166:167], v[142:143], v[6:7]
	s_wait_loadcnt_dscnt 0xb00
	v_mul_f64_e32 v[168:169], v[150:151], v[10:11]
	v_mul_f64_e32 v[10:11], v[152:153], v[10:11]
	s_delay_alu instid0(VALU_DEP_4) | instskip(NEXT) | instid1(VALU_DEP_4)
	v_fma_f64 v[170:171], v[142:143], v[4:5], -v[162:163]
	v_fmac_f64_e32 v[166:167], v[144:145], v[4:5]
	ds_load_b128 v[4:7], v2 offset:1152
	ds_load_b128 v[142:145], v2 offset:1168
	scratch_load_b128 v[162:165], off, off offset:544
	v_fmac_f64_e32 v[168:169], v[152:153], v[8:9]
	v_fma_f64 v[150:151], v[150:151], v[8:9], -v[10:11]
	scratch_load_b128 v[8:11], off, off offset:560
	s_wait_loadcnt_dscnt 0xc01
	v_mul_f64_e32 v[172:173], v[4:5], v[14:15]
	v_mul_f64_e32 v[14:15], v[6:7], v[14:15]
	v_add_f64_e32 v[152:153], 0, v[170:171]
	v_add_f64_e32 v[166:167], 0, v[166:167]
	s_wait_loadcnt_dscnt 0xb00
	v_mul_f64_e32 v[170:171], v[142:143], v[18:19]
	v_mul_f64_e32 v[18:19], v[144:145], v[18:19]
	v_fmac_f64_e32 v[172:173], v[6:7], v[12:13]
	v_fma_f64 v[174:175], v[4:5], v[12:13], -v[14:15]
	ds_load_b128 v[4:7], v2 offset:1184
	ds_load_b128 v[12:15], v2 offset:1200
	v_add_f64_e32 v[176:177], v[152:153], v[150:151]
	v_add_f64_e32 v[166:167], v[166:167], v[168:169]
	scratch_load_b128 v[150:153], off, off offset:576
	v_fmac_f64_e32 v[170:171], v[144:145], v[16:17]
	v_fma_f64 v[142:143], v[142:143], v[16:17], -v[18:19]
	scratch_load_b128 v[16:19], off, off offset:592
	s_wait_loadcnt_dscnt 0xc01
	v_mul_f64_e32 v[168:169], v[4:5], v[22:23]
	v_mul_f64_e32 v[22:23], v[6:7], v[22:23]
	v_add_f64_e32 v[144:145], v[176:177], v[174:175]
	v_add_f64_e32 v[166:167], v[166:167], v[172:173]
	s_wait_loadcnt_dscnt 0xb00
	v_mul_f64_e32 v[172:173], v[12:13], v[124:125]
	v_mul_f64_e32 v[124:125], v[14:15], v[124:125]
	v_fmac_f64_e32 v[168:169], v[6:7], v[20:21]
	v_fma_f64 v[174:175], v[4:5], v[20:21], -v[22:23]
	ds_load_b128 v[4:7], v2 offset:1216
	ds_load_b128 v[20:23], v2 offset:1232
	v_add_f64_e32 v[176:177], v[144:145], v[142:143]
	v_add_f64_e32 v[166:167], v[166:167], v[170:171]
	scratch_load_b128 v[142:145], off, off offset:608
	s_wait_loadcnt_dscnt 0xb01
	v_mul_f64_e32 v[170:171], v[4:5], v[128:129]
	v_mul_f64_e32 v[128:129], v[6:7], v[128:129]
	v_fmac_f64_e32 v[172:173], v[14:15], v[122:123]
	v_fma_f64 v[122:123], v[12:13], v[122:123], -v[124:125]
	scratch_load_b128 v[12:15], off, off offset:624
	v_add_f64_e32 v[124:125], v[176:177], v[174:175]
	v_add_f64_e32 v[166:167], v[166:167], v[168:169]
	s_wait_loadcnt_dscnt 0xb00
	v_mul_f64_e32 v[168:169], v[20:21], v[132:133]
	v_mul_f64_e32 v[132:133], v[22:23], v[132:133]
	v_fmac_f64_e32 v[170:171], v[6:7], v[126:127]
	v_fma_f64 v[174:175], v[4:5], v[126:127], -v[128:129]
	v_add_f64_e32 v[176:177], v[124:125], v[122:123]
	v_add_f64_e32 v[166:167], v[166:167], v[172:173]
	ds_load_b128 v[4:7], v2 offset:1248
	ds_load_b128 v[122:125], v2 offset:1264
	scratch_load_b128 v[126:129], off, off offset:640
	v_fmac_f64_e32 v[168:169], v[22:23], v[130:131]
	v_fma_f64 v[130:131], v[20:21], v[130:131], -v[132:133]
	scratch_load_b128 v[20:23], off, off offset:656
	s_wait_loadcnt_dscnt 0xc01
	v_mul_f64_e32 v[172:173], v[4:5], v[136:137]
	v_mul_f64_e32 v[136:137], v[6:7], v[136:137]
	v_add_f64_e32 v[132:133], v[176:177], v[174:175]
	v_add_f64_e32 v[166:167], v[166:167], v[170:171]
	s_wait_loadcnt_dscnt 0xb00
	v_mul_f64_e32 v[170:171], v[122:123], v[140:141]
	v_mul_f64_e32 v[140:141], v[124:125], v[140:141]
	v_fmac_f64_e32 v[172:173], v[6:7], v[134:135]
	v_fma_f64 v[174:175], v[4:5], v[134:135], -v[136:137]
	v_add_f64_e32 v[176:177], v[132:133], v[130:131]
	v_add_f64_e32 v[166:167], v[166:167], v[168:169]
	ds_load_b128 v[4:7], v2 offset:1280
	ds_load_b128 v[130:133], v2 offset:1296
	scratch_load_b128 v[134:137], off, off offset:672
	v_fmac_f64_e32 v[170:171], v[124:125], v[138:139]
	v_fma_f64 v[138:139], v[122:123], v[138:139], -v[140:141]
	scratch_load_b128 v[122:125], off, off offset:688
	s_wait_loadcnt_dscnt 0xc01
	v_mul_f64_e32 v[168:169], v[4:5], v[148:149]
	v_mul_f64_e32 v[148:149], v[6:7], v[148:149]
	;; [unrolled: 18-line block ×4, first 2 shown]
	v_add_f64_e32 v[140:141], v[176:177], v[174:175]
	v_add_f64_e32 v[166:167], v[166:167], v[170:171]
	s_wait_loadcnt_dscnt 0xa00
	v_mul_f64_e32 v[170:171], v[158:159], v[18:19]
	v_mul_f64_e32 v[18:19], v[160:161], v[18:19]
	v_fmac_f64_e32 v[172:173], v[6:7], v[150:151]
	v_fma_f64 v[150:151], v[4:5], v[150:151], -v[152:153]
	v_add_f64_e32 v[152:153], v[140:141], v[138:139]
	v_add_f64_e32 v[166:167], v[166:167], v[168:169]
	ds_load_b128 v[4:7], v2 offset:1376
	ds_load_b128 v[138:141], v2 offset:1392
	v_fmac_f64_e32 v[170:171], v[160:161], v[16:17]
	v_fma_f64 v[16:17], v[158:159], v[16:17], -v[18:19]
	s_wait_loadcnt_dscnt 0x901
	v_mul_f64_e32 v[168:169], v[4:5], v[144:145]
	v_mul_f64_e32 v[144:145], v[6:7], v[144:145]
	s_wait_loadcnt_dscnt 0x800
	v_mul_f64_e32 v[158:159], v[140:141], v[14:15]
	v_add_f64_e32 v[18:19], v[152:153], v[150:151]
	v_add_f64_e32 v[150:151], v[166:167], v[172:173]
	v_mul_f64_e32 v[152:153], v[138:139], v[14:15]
	v_fmac_f64_e32 v[168:169], v[6:7], v[142:143]
	v_fma_f64 v[142:143], v[4:5], v[142:143], -v[144:145]
	v_add_f64_e32 v[18:19], v[18:19], v[16:17]
	v_add_f64_e32 v[144:145], v[150:151], v[170:171]
	ds_load_b128 v[4:7], v2 offset:1408
	ds_load_b128 v[14:17], v2 offset:1424
	v_fmac_f64_e32 v[152:153], v[140:141], v[12:13]
	v_fma_f64 v[12:13], v[138:139], v[12:13], -v[158:159]
	s_wait_loadcnt_dscnt 0x701
	v_mul_f64_e32 v[150:151], v[4:5], v[128:129]
	v_mul_f64_e32 v[128:129], v[6:7], v[128:129]
	s_wait_loadcnt_dscnt 0x600
	v_mul_f64_e32 v[140:141], v[14:15], v[22:23]
	v_mul_f64_e32 v[22:23], v[16:17], v[22:23]
	v_add_f64_e32 v[18:19], v[18:19], v[142:143]
	v_add_f64_e32 v[138:139], v[144:145], v[168:169]
	v_fmac_f64_e32 v[150:151], v[6:7], v[126:127]
	v_fma_f64 v[142:143], v[4:5], v[126:127], -v[128:129]
	ds_load_b128 v[4:7], v2 offset:1440
	ds_load_b128 v[126:129], v2 offset:1456
	v_fmac_f64_e32 v[140:141], v[16:17], v[20:21]
	v_fma_f64 v[14:15], v[14:15], v[20:21], -v[22:23]
	v_add_f64_e32 v[12:13], v[18:19], v[12:13]
	v_add_f64_e32 v[18:19], v[138:139], v[152:153]
	s_wait_loadcnt_dscnt 0x501
	v_mul_f64_e32 v[138:139], v[4:5], v[136:137]
	v_mul_f64_e32 v[136:137], v[6:7], v[136:137]
	s_wait_loadcnt_dscnt 0x400
	v_mul_f64_e32 v[20:21], v[128:129], v[124:125]
	v_add_f64_e32 v[12:13], v[12:13], v[142:143]
	v_add_f64_e32 v[16:17], v[18:19], v[150:151]
	v_mul_f64_e32 v[18:19], v[126:127], v[124:125]
	v_fmac_f64_e32 v[138:139], v[6:7], v[134:135]
	v_fma_f64 v[22:23], v[4:5], v[134:135], -v[136:137]
	v_fma_f64 v[20:21], v[126:127], v[122:123], -v[20:21]
	v_add_f64_e32 v[124:125], v[12:13], v[14:15]
	v_add_f64_e32 v[16:17], v[16:17], v[140:141]
	ds_load_b128 v[4:7], v2 offset:1472
	ds_load_b128 v[12:15], v2 offset:1488
	v_fmac_f64_e32 v[18:19], v[128:129], v[122:123]
	s_wait_loadcnt_dscnt 0x301
	v_mul_f64_e32 v[134:135], v[4:5], v[148:149]
	v_mul_f64_e32 v[136:137], v[6:7], v[148:149]
	s_wait_loadcnt_dscnt 0x200
	v_mul_f64_e32 v[122:123], v[12:13], v[132:133]
	v_add_f64_e32 v[22:23], v[124:125], v[22:23]
	v_add_f64_e32 v[16:17], v[16:17], v[138:139]
	v_mul_f64_e32 v[124:125], v[14:15], v[132:133]
	v_fmac_f64_e32 v[134:135], v[6:7], v[146:147]
	v_fma_f64 v[126:127], v[4:5], v[146:147], -v[136:137]
	v_fmac_f64_e32 v[122:123], v[14:15], v[130:131]
	v_add_f64_e32 v[20:21], v[22:23], v[20:21]
	v_add_f64_e32 v[22:23], v[16:17], v[18:19]
	ds_load_b128 v[4:7], v2 offset:1504
	ds_load_b128 v[16:19], v2 offset:1520
	v_fma_f64 v[12:13], v[12:13], v[130:131], -v[124:125]
	s_wait_loadcnt_dscnt 0x101
	v_mul_f64_e32 v[2:3], v[4:5], v[164:165]
	v_mul_f64_e32 v[128:129], v[6:7], v[164:165]
	v_add_f64_e32 v[14:15], v[20:21], v[126:127]
	v_add_f64_e32 v[20:21], v[22:23], v[134:135]
	s_wait_loadcnt_dscnt 0x0
	v_mul_f64_e32 v[22:23], v[16:17], v[10:11]
	v_mul_f64_e32 v[10:11], v[18:19], v[10:11]
	v_fmac_f64_e32 v[2:3], v[6:7], v[162:163]
	v_fma_f64 v[4:5], v[4:5], v[162:163], -v[128:129]
	v_add_f64_e32 v[6:7], v[14:15], v[12:13]
	v_add_f64_e32 v[12:13], v[20:21], v[122:123]
	v_fmac_f64_e32 v[22:23], v[18:19], v[8:9]
	v_fma_f64 v[8:9], v[16:17], v[8:9], -v[10:11]
	s_delay_alu instid0(VALU_DEP_4) | instskip(NEXT) | instid1(VALU_DEP_4)
	v_add_f64_e32 v[4:5], v[6:7], v[4:5]
	v_add_f64_e32 v[2:3], v[12:13], v[2:3]
	s_delay_alu instid0(VALU_DEP_2) | instskip(NEXT) | instid1(VALU_DEP_2)
	v_add_f64_e32 v[4:5], v[4:5], v[8:9]
	v_add_f64_e32 v[6:7], v[2:3], v[22:23]
	s_delay_alu instid0(VALU_DEP_2) | instskip(NEXT) | instid1(VALU_DEP_2)
	v_add_f64_e64 v[2:3], v[154:155], -v[4:5]
	v_add_f64_e64 v[4:5], v[156:157], -v[6:7]
	scratch_store_b128 off, v[2:5], off offset:336
	s_wait_xcnt 0x0
	v_cmpx_lt_u32_e32 20, v1
	s_cbranch_execz .LBB111_261
; %bb.260:
	scratch_load_b128 v[2:5], off, s44
	v_mov_b32_e32 v6, 0
	s_delay_alu instid0(VALU_DEP_1)
	v_dual_mov_b32 v7, v6 :: v_dual_mov_b32 v8, v6
	v_mov_b32_e32 v9, v6
	scratch_store_b128 off, v[6:9], off offset:320
	s_wait_loadcnt 0x0
	ds_store_b128 v120, v[2:5]
.LBB111_261:
	s_wait_xcnt 0x0
	s_or_b32 exec_lo, exec_lo, s2
	s_wait_storecnt_dscnt 0x0
	s_barrier_signal -1
	s_barrier_wait -1
	s_clause 0x9
	scratch_load_b128 v[4:7], off, off offset:336
	scratch_load_b128 v[8:11], off, off offset:352
	;; [unrolled: 1-line block ×10, first 2 shown]
	v_mov_b32_e32 v2, 0
	s_mov_b32 s2, exec_lo
	ds_load_b128 v[142:145], v2 offset:1104
	s_clause 0x2
	scratch_load_b128 v[146:149], off, off offset:496
	scratch_load_b128 v[150:153], off, off offset:320
	;; [unrolled: 1-line block ×3, first 2 shown]
	s_wait_loadcnt_dscnt 0xc00
	v_mul_f64_e32 v[162:163], v[144:145], v[6:7]
	v_mul_f64_e32 v[166:167], v[142:143], v[6:7]
	ds_load_b128 v[154:157], v2 offset:1120
	v_fma_f64 v[170:171], v[142:143], v[4:5], -v[162:163]
	v_fmac_f64_e32 v[166:167], v[144:145], v[4:5]
	ds_load_b128 v[4:7], v2 offset:1136
	s_wait_loadcnt_dscnt 0xb01
	v_mul_f64_e32 v[168:169], v[154:155], v[10:11]
	v_mul_f64_e32 v[10:11], v[156:157], v[10:11]
	scratch_load_b128 v[142:145], off, off offset:528
	ds_load_b128 v[162:165], v2 offset:1152
	s_wait_loadcnt_dscnt 0xb01
	v_mul_f64_e32 v[172:173], v[4:5], v[14:15]
	v_mul_f64_e32 v[14:15], v[6:7], v[14:15]
	v_add_f64_e32 v[166:167], 0, v[166:167]
	v_fmac_f64_e32 v[168:169], v[156:157], v[8:9]
	v_fma_f64 v[154:155], v[154:155], v[8:9], -v[10:11]
	v_add_f64_e32 v[156:157], 0, v[170:171]
	scratch_load_b128 v[8:11], off, off offset:544
	v_fmac_f64_e32 v[172:173], v[6:7], v[12:13]
	v_fma_f64 v[174:175], v[4:5], v[12:13], -v[14:15]
	ds_load_b128 v[4:7], v2 offset:1168
	s_wait_loadcnt_dscnt 0xb01
	v_mul_f64_e32 v[170:171], v[162:163], v[18:19]
	v_mul_f64_e32 v[18:19], v[164:165], v[18:19]
	scratch_load_b128 v[12:15], off, off offset:560
	v_add_f64_e32 v[166:167], v[166:167], v[168:169]
	v_add_f64_e32 v[176:177], v[156:157], v[154:155]
	ds_load_b128 v[154:157], v2 offset:1184
	s_wait_loadcnt_dscnt 0xb01
	v_mul_f64_e32 v[168:169], v[4:5], v[22:23]
	v_mul_f64_e32 v[22:23], v[6:7], v[22:23]
	v_fmac_f64_e32 v[170:171], v[164:165], v[16:17]
	v_fma_f64 v[162:163], v[162:163], v[16:17], -v[18:19]
	scratch_load_b128 v[16:19], off, off offset:576
	v_add_f64_e32 v[166:167], v[166:167], v[172:173]
	v_add_f64_e32 v[164:165], v[176:177], v[174:175]
	v_fmac_f64_e32 v[168:169], v[6:7], v[20:21]
	v_fma_f64 v[174:175], v[4:5], v[20:21], -v[22:23]
	ds_load_b128 v[4:7], v2 offset:1200
	s_wait_loadcnt_dscnt 0xb01
	v_mul_f64_e32 v[172:173], v[154:155], v[124:125]
	v_mul_f64_e32 v[124:125], v[156:157], v[124:125]
	scratch_load_b128 v[20:23], off, off offset:592
	v_add_f64_e32 v[166:167], v[166:167], v[170:171]
	s_wait_loadcnt_dscnt 0xb00
	v_mul_f64_e32 v[170:171], v[4:5], v[128:129]
	v_add_f64_e32 v[176:177], v[164:165], v[162:163]
	v_mul_f64_e32 v[128:129], v[6:7], v[128:129]
	ds_load_b128 v[162:165], v2 offset:1216
	v_fmac_f64_e32 v[172:173], v[156:157], v[122:123]
	v_fma_f64 v[154:155], v[154:155], v[122:123], -v[124:125]
	scratch_load_b128 v[122:125], off, off offset:608
	v_add_f64_e32 v[166:167], v[166:167], v[168:169]
	v_fmac_f64_e32 v[170:171], v[6:7], v[126:127]
	v_add_f64_e32 v[156:157], v[176:177], v[174:175]
	v_fma_f64 v[174:175], v[4:5], v[126:127], -v[128:129]
	ds_load_b128 v[4:7], v2 offset:1232
	s_wait_loadcnt_dscnt 0xb01
	v_mul_f64_e32 v[168:169], v[162:163], v[132:133]
	v_mul_f64_e32 v[132:133], v[164:165], v[132:133]
	scratch_load_b128 v[126:129], off, off offset:624
	v_add_f64_e32 v[166:167], v[166:167], v[172:173]
	s_wait_loadcnt_dscnt 0xb00
	v_mul_f64_e32 v[172:173], v[4:5], v[136:137]
	v_add_f64_e32 v[176:177], v[156:157], v[154:155]
	v_mul_f64_e32 v[136:137], v[6:7], v[136:137]
	ds_load_b128 v[154:157], v2 offset:1248
	v_fmac_f64_e32 v[168:169], v[164:165], v[130:131]
	v_fma_f64 v[162:163], v[162:163], v[130:131], -v[132:133]
	scratch_load_b128 v[130:133], off, off offset:640
	v_add_f64_e32 v[166:167], v[166:167], v[170:171]
	v_fmac_f64_e32 v[172:173], v[6:7], v[134:135]
	v_add_f64_e32 v[164:165], v[176:177], v[174:175]
	;; [unrolled: 18-line block ×3, first 2 shown]
	v_fma_f64 v[174:175], v[4:5], v[146:147], -v[148:149]
	ds_load_b128 v[4:7], v2 offset:1296
	s_wait_loadcnt_dscnt 0xa01
	v_mul_f64_e32 v[172:173], v[162:163], v[160:161]
	v_mul_f64_e32 v[160:161], v[164:165], v[160:161]
	scratch_load_b128 v[146:149], off, off offset:688
	v_add_f64_e32 v[166:167], v[166:167], v[170:171]
	v_add_f64_e32 v[176:177], v[156:157], v[154:155]
	s_wait_loadcnt_dscnt 0xa00
	v_mul_f64_e32 v[170:171], v[4:5], v[144:145]
	v_mul_f64_e32 v[144:145], v[6:7], v[144:145]
	v_fmac_f64_e32 v[172:173], v[164:165], v[158:159]
	v_fma_f64 v[162:163], v[162:163], v[158:159], -v[160:161]
	ds_load_b128 v[154:157], v2 offset:1312
	scratch_load_b128 v[158:161], off, off offset:704
	v_add_f64_e32 v[166:167], v[166:167], v[168:169]
	v_add_f64_e32 v[164:165], v[176:177], v[174:175]
	v_fmac_f64_e32 v[170:171], v[6:7], v[142:143]
	v_fma_f64 v[174:175], v[4:5], v[142:143], -v[144:145]
	ds_load_b128 v[4:7], v2 offset:1328
	s_wait_loadcnt_dscnt 0xa01
	v_mul_f64_e32 v[168:169], v[154:155], v[10:11]
	v_mul_f64_e32 v[10:11], v[156:157], v[10:11]
	scratch_load_b128 v[142:145], off, off offset:720
	v_add_f64_e32 v[166:167], v[166:167], v[172:173]
	s_wait_loadcnt_dscnt 0xa00
	v_mul_f64_e32 v[172:173], v[4:5], v[14:15]
	v_add_f64_e32 v[176:177], v[164:165], v[162:163]
	v_mul_f64_e32 v[14:15], v[6:7], v[14:15]
	ds_load_b128 v[162:165], v2 offset:1344
	v_fmac_f64_e32 v[168:169], v[156:157], v[8:9]
	v_fma_f64 v[154:155], v[154:155], v[8:9], -v[10:11]
	scratch_load_b128 v[8:11], off, off offset:736
	v_add_f64_e32 v[166:167], v[166:167], v[170:171]
	v_fmac_f64_e32 v[172:173], v[6:7], v[12:13]
	v_add_f64_e32 v[156:157], v[176:177], v[174:175]
	v_fma_f64 v[174:175], v[4:5], v[12:13], -v[14:15]
	ds_load_b128 v[4:7], v2 offset:1360
	s_wait_loadcnt_dscnt 0xa01
	v_mul_f64_e32 v[170:171], v[162:163], v[18:19]
	v_mul_f64_e32 v[18:19], v[164:165], v[18:19]
	scratch_load_b128 v[12:15], off, off offset:752
	v_add_f64_e32 v[166:167], v[166:167], v[168:169]
	s_wait_loadcnt_dscnt 0xa00
	v_mul_f64_e32 v[168:169], v[4:5], v[22:23]
	v_add_f64_e32 v[176:177], v[156:157], v[154:155]
	v_mul_f64_e32 v[22:23], v[6:7], v[22:23]
	ds_load_b128 v[154:157], v2 offset:1376
	v_fmac_f64_e32 v[170:171], v[164:165], v[16:17]
	v_fma_f64 v[16:17], v[162:163], v[16:17], -v[18:19]
	s_wait_loadcnt_dscnt 0x900
	v_mul_f64_e32 v[164:165], v[154:155], v[124:125]
	v_mul_f64_e32 v[124:125], v[156:157], v[124:125]
	v_add_f64_e32 v[162:163], v[166:167], v[172:173]
	v_fmac_f64_e32 v[168:169], v[6:7], v[20:21]
	v_add_f64_e32 v[18:19], v[176:177], v[174:175]
	v_fma_f64 v[20:21], v[4:5], v[20:21], -v[22:23]
	v_fmac_f64_e32 v[164:165], v[156:157], v[122:123]
	v_fma_f64 v[122:123], v[154:155], v[122:123], -v[124:125]
	v_add_f64_e32 v[162:163], v[162:163], v[170:171]
	v_add_f64_e32 v[22:23], v[18:19], v[16:17]
	ds_load_b128 v[4:7], v2 offset:1392
	ds_load_b128 v[16:19], v2 offset:1408
	s_wait_loadcnt_dscnt 0x801
	v_mul_f64_e32 v[166:167], v[4:5], v[128:129]
	v_mul_f64_e32 v[128:129], v[6:7], v[128:129]
	s_wait_loadcnt_dscnt 0x700
	v_mul_f64_e32 v[124:125], v[16:17], v[132:133]
	v_mul_f64_e32 v[132:133], v[18:19], v[132:133]
	v_add_f64_e32 v[20:21], v[22:23], v[20:21]
	v_add_f64_e32 v[22:23], v[162:163], v[168:169]
	v_fmac_f64_e32 v[166:167], v[6:7], v[126:127]
	v_fma_f64 v[126:127], v[4:5], v[126:127], -v[128:129]
	v_fmac_f64_e32 v[124:125], v[18:19], v[130:131]
	v_fma_f64 v[16:17], v[16:17], v[130:131], -v[132:133]
	v_add_f64_e32 v[122:123], v[20:21], v[122:123]
	v_add_f64_e32 v[128:129], v[22:23], v[164:165]
	ds_load_b128 v[4:7], v2 offset:1424
	ds_load_b128 v[20:23], v2 offset:1440
	s_wait_loadcnt_dscnt 0x601
	v_mul_f64_e32 v[154:155], v[4:5], v[136:137]
	v_mul_f64_e32 v[136:137], v[6:7], v[136:137]
	v_add_f64_e32 v[18:19], v[122:123], v[126:127]
	v_add_f64_e32 v[122:123], v[128:129], v[166:167]
	s_wait_loadcnt_dscnt 0x500
	v_mul_f64_e32 v[126:127], v[20:21], v[140:141]
	v_mul_f64_e32 v[128:129], v[22:23], v[140:141]
	v_fmac_f64_e32 v[154:155], v[6:7], v[134:135]
	v_fma_f64 v[130:131], v[4:5], v[134:135], -v[136:137]
	v_add_f64_e32 v[132:133], v[18:19], v[16:17]
	v_add_f64_e32 v[122:123], v[122:123], v[124:125]
	ds_load_b128 v[4:7], v2 offset:1456
	ds_load_b128 v[16:19], v2 offset:1472
	v_fmac_f64_e32 v[126:127], v[22:23], v[138:139]
	v_fma_f64 v[20:21], v[20:21], v[138:139], -v[128:129]
	s_wait_loadcnt_dscnt 0x401
	v_mul_f64_e32 v[124:125], v[4:5], v[148:149]
	v_mul_f64_e32 v[134:135], v[6:7], v[148:149]
	s_wait_loadcnt_dscnt 0x300
	v_mul_f64_e32 v[128:129], v[16:17], v[160:161]
	v_add_f64_e32 v[22:23], v[132:133], v[130:131]
	v_add_f64_e32 v[122:123], v[122:123], v[154:155]
	v_mul_f64_e32 v[130:131], v[18:19], v[160:161]
	v_fmac_f64_e32 v[124:125], v[6:7], v[146:147]
	v_fma_f64 v[132:133], v[4:5], v[146:147], -v[134:135]
	v_fmac_f64_e32 v[128:129], v[18:19], v[158:159]
	v_add_f64_e32 v[134:135], v[22:23], v[20:21]
	v_add_f64_e32 v[122:123], v[122:123], v[126:127]
	ds_load_b128 v[4:7], v2 offset:1488
	ds_load_b128 v[20:23], v2 offset:1504
	v_fma_f64 v[16:17], v[16:17], v[158:159], -v[130:131]
	s_wait_loadcnt_dscnt 0x201
	v_mul_f64_e32 v[126:127], v[4:5], v[144:145]
	v_mul_f64_e32 v[136:137], v[6:7], v[144:145]
	v_add_f64_e32 v[18:19], v[134:135], v[132:133]
	v_add_f64_e32 v[122:123], v[122:123], v[124:125]
	s_wait_loadcnt_dscnt 0x100
	v_mul_f64_e32 v[124:125], v[20:21], v[10:11]
	v_mul_f64_e32 v[10:11], v[22:23], v[10:11]
	v_fmac_f64_e32 v[126:127], v[6:7], v[142:143]
	v_fma_f64 v[130:131], v[4:5], v[142:143], -v[136:137]
	ds_load_b128 v[4:7], v2 offset:1520
	v_add_f64_e32 v[16:17], v[18:19], v[16:17]
	v_add_f64_e32 v[18:19], v[122:123], v[128:129]
	v_fmac_f64_e32 v[124:125], v[22:23], v[8:9]
	v_fma_f64 v[8:9], v[20:21], v[8:9], -v[10:11]
	s_wait_loadcnt_dscnt 0x0
	v_mul_f64_e32 v[122:123], v[4:5], v[14:15]
	v_mul_f64_e32 v[14:15], v[6:7], v[14:15]
	v_add_f64_e32 v[10:11], v[16:17], v[130:131]
	v_add_f64_e32 v[16:17], v[18:19], v[126:127]
	s_delay_alu instid0(VALU_DEP_4) | instskip(NEXT) | instid1(VALU_DEP_4)
	v_fmac_f64_e32 v[122:123], v[6:7], v[12:13]
	v_fma_f64 v[4:5], v[4:5], v[12:13], -v[14:15]
	s_delay_alu instid0(VALU_DEP_4) | instskip(NEXT) | instid1(VALU_DEP_4)
	v_add_f64_e32 v[6:7], v[10:11], v[8:9]
	v_add_f64_e32 v[8:9], v[16:17], v[124:125]
	s_delay_alu instid0(VALU_DEP_2) | instskip(NEXT) | instid1(VALU_DEP_2)
	v_add_f64_e32 v[4:5], v[6:7], v[4:5]
	v_add_f64_e32 v[6:7], v[8:9], v[122:123]
	s_delay_alu instid0(VALU_DEP_2) | instskip(NEXT) | instid1(VALU_DEP_2)
	v_add_f64_e64 v[4:5], v[150:151], -v[4:5]
	v_add_f64_e64 v[6:7], v[152:153], -v[6:7]
	scratch_store_b128 off, v[4:7], off offset:320
	s_wait_xcnt 0x0
	v_cmpx_lt_u32_e32 19, v1
	s_cbranch_execz .LBB111_263
; %bb.262:
	scratch_load_b128 v[6:9], off, s45
	v_dual_mov_b32 v3, v2 :: v_dual_mov_b32 v4, v2
	v_mov_b32_e32 v5, v2
	scratch_store_b128 off, v[2:5], off offset:304
	s_wait_loadcnt 0x0
	ds_store_b128 v120, v[6:9]
.LBB111_263:
	s_wait_xcnt 0x0
	s_or_b32 exec_lo, exec_lo, s2
	s_wait_storecnt_dscnt 0x0
	s_barrier_signal -1
	s_barrier_wait -1
	s_clause 0x9
	scratch_load_b128 v[4:7], off, off offset:320
	scratch_load_b128 v[8:11], off, off offset:336
	;; [unrolled: 1-line block ×10, first 2 shown]
	ds_load_b128 v[142:145], v2 offset:1088
	ds_load_b128 v[150:153], v2 offset:1104
	s_clause 0x2
	scratch_load_b128 v[146:149], off, off offset:480
	scratch_load_b128 v[154:157], off, off offset:304
	;; [unrolled: 1-line block ×3, first 2 shown]
	s_mov_b32 s2, exec_lo
	s_wait_loadcnt_dscnt 0xc01
	v_mul_f64_e32 v[162:163], v[144:145], v[6:7]
	v_mul_f64_e32 v[166:167], v[142:143], v[6:7]
	s_wait_loadcnt_dscnt 0xb00
	v_mul_f64_e32 v[168:169], v[150:151], v[10:11]
	v_mul_f64_e32 v[10:11], v[152:153], v[10:11]
	s_delay_alu instid0(VALU_DEP_4) | instskip(NEXT) | instid1(VALU_DEP_4)
	v_fma_f64 v[170:171], v[142:143], v[4:5], -v[162:163]
	v_fmac_f64_e32 v[166:167], v[144:145], v[4:5]
	ds_load_b128 v[4:7], v2 offset:1120
	ds_load_b128 v[142:145], v2 offset:1136
	scratch_load_b128 v[162:165], off, off offset:512
	v_fmac_f64_e32 v[168:169], v[152:153], v[8:9]
	v_fma_f64 v[150:151], v[150:151], v[8:9], -v[10:11]
	scratch_load_b128 v[8:11], off, off offset:528
	s_wait_loadcnt_dscnt 0xc01
	v_mul_f64_e32 v[172:173], v[4:5], v[14:15]
	v_mul_f64_e32 v[14:15], v[6:7], v[14:15]
	v_add_f64_e32 v[152:153], 0, v[170:171]
	v_add_f64_e32 v[166:167], 0, v[166:167]
	s_wait_loadcnt_dscnt 0xb00
	v_mul_f64_e32 v[170:171], v[142:143], v[18:19]
	v_mul_f64_e32 v[18:19], v[144:145], v[18:19]
	v_fmac_f64_e32 v[172:173], v[6:7], v[12:13]
	v_fma_f64 v[174:175], v[4:5], v[12:13], -v[14:15]
	ds_load_b128 v[4:7], v2 offset:1152
	ds_load_b128 v[12:15], v2 offset:1168
	v_add_f64_e32 v[176:177], v[152:153], v[150:151]
	v_add_f64_e32 v[166:167], v[166:167], v[168:169]
	scratch_load_b128 v[150:153], off, off offset:544
	v_fmac_f64_e32 v[170:171], v[144:145], v[16:17]
	v_fma_f64 v[142:143], v[142:143], v[16:17], -v[18:19]
	scratch_load_b128 v[16:19], off, off offset:560
	s_wait_loadcnt_dscnt 0xc01
	v_mul_f64_e32 v[168:169], v[4:5], v[22:23]
	v_mul_f64_e32 v[22:23], v[6:7], v[22:23]
	v_add_f64_e32 v[144:145], v[176:177], v[174:175]
	v_add_f64_e32 v[166:167], v[166:167], v[172:173]
	s_wait_loadcnt_dscnt 0xb00
	v_mul_f64_e32 v[172:173], v[12:13], v[124:125]
	v_mul_f64_e32 v[124:125], v[14:15], v[124:125]
	v_fmac_f64_e32 v[168:169], v[6:7], v[20:21]
	v_fma_f64 v[174:175], v[4:5], v[20:21], -v[22:23]
	ds_load_b128 v[4:7], v2 offset:1184
	ds_load_b128 v[20:23], v2 offset:1200
	v_add_f64_e32 v[176:177], v[144:145], v[142:143]
	v_add_f64_e32 v[166:167], v[166:167], v[170:171]
	scratch_load_b128 v[142:145], off, off offset:576
	s_wait_loadcnt_dscnt 0xb01
	v_mul_f64_e32 v[170:171], v[4:5], v[128:129]
	v_mul_f64_e32 v[128:129], v[6:7], v[128:129]
	v_fmac_f64_e32 v[172:173], v[14:15], v[122:123]
	v_fma_f64 v[122:123], v[12:13], v[122:123], -v[124:125]
	scratch_load_b128 v[12:15], off, off offset:592
	v_add_f64_e32 v[124:125], v[176:177], v[174:175]
	v_add_f64_e32 v[166:167], v[166:167], v[168:169]
	s_wait_loadcnt_dscnt 0xb00
	v_mul_f64_e32 v[168:169], v[20:21], v[132:133]
	v_mul_f64_e32 v[132:133], v[22:23], v[132:133]
	v_fmac_f64_e32 v[170:171], v[6:7], v[126:127]
	v_fma_f64 v[174:175], v[4:5], v[126:127], -v[128:129]
	v_add_f64_e32 v[176:177], v[124:125], v[122:123]
	v_add_f64_e32 v[166:167], v[166:167], v[172:173]
	ds_load_b128 v[4:7], v2 offset:1216
	ds_load_b128 v[122:125], v2 offset:1232
	scratch_load_b128 v[126:129], off, off offset:608
	v_fmac_f64_e32 v[168:169], v[22:23], v[130:131]
	v_fma_f64 v[130:131], v[20:21], v[130:131], -v[132:133]
	scratch_load_b128 v[20:23], off, off offset:624
	s_wait_loadcnt_dscnt 0xc01
	v_mul_f64_e32 v[172:173], v[4:5], v[136:137]
	v_mul_f64_e32 v[136:137], v[6:7], v[136:137]
	v_add_f64_e32 v[132:133], v[176:177], v[174:175]
	v_add_f64_e32 v[166:167], v[166:167], v[170:171]
	s_wait_loadcnt_dscnt 0xb00
	v_mul_f64_e32 v[170:171], v[122:123], v[140:141]
	v_mul_f64_e32 v[140:141], v[124:125], v[140:141]
	v_fmac_f64_e32 v[172:173], v[6:7], v[134:135]
	v_fma_f64 v[174:175], v[4:5], v[134:135], -v[136:137]
	v_add_f64_e32 v[176:177], v[132:133], v[130:131]
	v_add_f64_e32 v[166:167], v[166:167], v[168:169]
	ds_load_b128 v[4:7], v2 offset:1248
	ds_load_b128 v[130:133], v2 offset:1264
	scratch_load_b128 v[134:137], off, off offset:640
	v_fmac_f64_e32 v[170:171], v[124:125], v[138:139]
	v_fma_f64 v[138:139], v[122:123], v[138:139], -v[140:141]
	scratch_load_b128 v[122:125], off, off offset:656
	s_wait_loadcnt_dscnt 0xc01
	v_mul_f64_e32 v[168:169], v[4:5], v[148:149]
	v_mul_f64_e32 v[148:149], v[6:7], v[148:149]
	;; [unrolled: 18-line block ×5, first 2 shown]
	v_add_f64_e32 v[160:161], v[176:177], v[174:175]
	v_add_f64_e32 v[166:167], v[166:167], v[172:173]
	s_wait_loadcnt_dscnt 0xa00
	v_mul_f64_e32 v[172:173], v[138:139], v[14:15]
	v_mul_f64_e32 v[14:15], v[140:141], v[14:15]
	v_fmac_f64_e32 v[168:169], v[6:7], v[142:143]
	v_fma_f64 v[174:175], v[4:5], v[142:143], -v[144:145]
	ds_load_b128 v[4:7], v2 offset:1376
	ds_load_b128 v[142:145], v2 offset:1392
	v_add_f64_e32 v[158:159], v[160:161], v[158:159]
	v_add_f64_e32 v[160:161], v[166:167], v[170:171]
	v_fmac_f64_e32 v[172:173], v[140:141], v[12:13]
	v_fma_f64 v[12:13], v[138:139], v[12:13], -v[14:15]
	s_wait_loadcnt_dscnt 0x901
	v_mul_f64_e32 v[166:167], v[4:5], v[128:129]
	v_mul_f64_e32 v[128:129], v[6:7], v[128:129]
	s_wait_loadcnt_dscnt 0x800
	v_mul_f64_e32 v[140:141], v[142:143], v[22:23]
	v_mul_f64_e32 v[22:23], v[144:145], v[22:23]
	v_add_f64_e32 v[14:15], v[158:159], v[174:175]
	v_add_f64_e32 v[138:139], v[160:161], v[168:169]
	v_fmac_f64_e32 v[166:167], v[6:7], v[126:127]
	v_fma_f64 v[126:127], v[4:5], v[126:127], -v[128:129]
	v_fmac_f64_e32 v[140:141], v[144:145], v[20:21]
	v_fma_f64 v[20:21], v[142:143], v[20:21], -v[22:23]
	v_add_f64_e32 v[128:129], v[14:15], v[12:13]
	v_add_f64_e32 v[138:139], v[138:139], v[172:173]
	ds_load_b128 v[4:7], v2 offset:1408
	ds_load_b128 v[12:15], v2 offset:1424
	s_wait_loadcnt_dscnt 0x701
	v_mul_f64_e32 v[158:159], v[4:5], v[136:137]
	v_mul_f64_e32 v[136:137], v[6:7], v[136:137]
	v_add_f64_e32 v[22:23], v[128:129], v[126:127]
	v_add_f64_e32 v[126:127], v[138:139], v[166:167]
	s_wait_loadcnt_dscnt 0x600
	v_mul_f64_e32 v[128:129], v[12:13], v[124:125]
	v_mul_f64_e32 v[124:125], v[14:15], v[124:125]
	v_fmac_f64_e32 v[158:159], v[6:7], v[134:135]
	v_fma_f64 v[134:135], v[4:5], v[134:135], -v[136:137]
	v_add_f64_e32 v[136:137], v[22:23], v[20:21]
	v_add_f64_e32 v[126:127], v[126:127], v[140:141]
	ds_load_b128 v[4:7], v2 offset:1440
	ds_load_b128 v[20:23], v2 offset:1456
	v_fmac_f64_e32 v[128:129], v[14:15], v[122:123]
	v_fma_f64 v[12:13], v[12:13], v[122:123], -v[124:125]
	s_wait_loadcnt_dscnt 0x501
	v_mul_f64_e32 v[138:139], v[4:5], v[148:149]
	v_mul_f64_e32 v[140:141], v[6:7], v[148:149]
	s_wait_loadcnt_dscnt 0x400
	v_mul_f64_e32 v[124:125], v[20:21], v[132:133]
	v_add_f64_e32 v[14:15], v[136:137], v[134:135]
	v_add_f64_e32 v[122:123], v[126:127], v[158:159]
	v_mul_f64_e32 v[126:127], v[22:23], v[132:133]
	v_fmac_f64_e32 v[138:139], v[6:7], v[146:147]
	v_fma_f64 v[132:133], v[4:5], v[146:147], -v[140:141]
	v_fmac_f64_e32 v[124:125], v[22:23], v[130:131]
	v_add_f64_e32 v[134:135], v[14:15], v[12:13]
	v_add_f64_e32 v[122:123], v[122:123], v[128:129]
	ds_load_b128 v[4:7], v2 offset:1472
	ds_load_b128 v[12:15], v2 offset:1488
	v_fma_f64 v[20:21], v[20:21], v[130:131], -v[126:127]
	s_wait_loadcnt_dscnt 0x301
	v_mul_f64_e32 v[128:129], v[4:5], v[164:165]
	v_mul_f64_e32 v[136:137], v[6:7], v[164:165]
	s_wait_loadcnt_dscnt 0x200
	v_mul_f64_e32 v[126:127], v[12:13], v[10:11]
	v_mul_f64_e32 v[10:11], v[14:15], v[10:11]
	v_add_f64_e32 v[22:23], v[134:135], v[132:133]
	v_add_f64_e32 v[122:123], v[122:123], v[138:139]
	v_fmac_f64_e32 v[128:129], v[6:7], v[162:163]
	v_fma_f64 v[130:131], v[4:5], v[162:163], -v[136:137]
	v_fmac_f64_e32 v[126:127], v[14:15], v[8:9]
	v_fma_f64 v[8:9], v[12:13], v[8:9], -v[10:11]
	v_add_f64_e32 v[132:133], v[22:23], v[20:21]
	v_add_f64_e32 v[122:123], v[122:123], v[124:125]
	ds_load_b128 v[4:7], v2 offset:1504
	ds_load_b128 v[20:23], v2 offset:1520
	s_wait_loadcnt_dscnt 0x101
	v_mul_f64_e32 v[2:3], v[4:5], v[152:153]
	v_mul_f64_e32 v[124:125], v[6:7], v[152:153]
	s_wait_loadcnt_dscnt 0x0
	v_mul_f64_e32 v[14:15], v[20:21], v[18:19]
	v_mul_f64_e32 v[18:19], v[22:23], v[18:19]
	v_add_f64_e32 v[10:11], v[132:133], v[130:131]
	v_add_f64_e32 v[12:13], v[122:123], v[128:129]
	v_fmac_f64_e32 v[2:3], v[6:7], v[150:151]
	v_fma_f64 v[4:5], v[4:5], v[150:151], -v[124:125]
	v_fmac_f64_e32 v[14:15], v[22:23], v[16:17]
	v_add_f64_e32 v[6:7], v[10:11], v[8:9]
	v_add_f64_e32 v[8:9], v[12:13], v[126:127]
	v_fma_f64 v[10:11], v[20:21], v[16:17], -v[18:19]
	s_delay_alu instid0(VALU_DEP_3) | instskip(NEXT) | instid1(VALU_DEP_3)
	v_add_f64_e32 v[4:5], v[6:7], v[4:5]
	v_add_f64_e32 v[2:3], v[8:9], v[2:3]
	s_delay_alu instid0(VALU_DEP_2) | instskip(NEXT) | instid1(VALU_DEP_2)
	v_add_f64_e32 v[4:5], v[4:5], v[10:11]
	v_add_f64_e32 v[6:7], v[2:3], v[14:15]
	s_delay_alu instid0(VALU_DEP_2) | instskip(NEXT) | instid1(VALU_DEP_2)
	v_add_f64_e64 v[2:3], v[154:155], -v[4:5]
	v_add_f64_e64 v[4:5], v[156:157], -v[6:7]
	scratch_store_b128 off, v[2:5], off offset:304
	s_wait_xcnt 0x0
	v_cmpx_lt_u32_e32 18, v1
	s_cbranch_execz .LBB111_265
; %bb.264:
	scratch_load_b128 v[2:5], off, s46
	v_mov_b32_e32 v6, 0
	s_delay_alu instid0(VALU_DEP_1)
	v_dual_mov_b32 v7, v6 :: v_dual_mov_b32 v8, v6
	v_mov_b32_e32 v9, v6
	scratch_store_b128 off, v[6:9], off offset:288
	s_wait_loadcnt 0x0
	ds_store_b128 v120, v[2:5]
.LBB111_265:
	s_wait_xcnt 0x0
	s_or_b32 exec_lo, exec_lo, s2
	s_wait_storecnt_dscnt 0x0
	s_barrier_signal -1
	s_barrier_wait -1
	s_clause 0x9
	scratch_load_b128 v[4:7], off, off offset:304
	scratch_load_b128 v[8:11], off, off offset:320
	scratch_load_b128 v[12:15], off, off offset:336
	scratch_load_b128 v[16:19], off, off offset:352
	scratch_load_b128 v[20:23], off, off offset:368
	scratch_load_b128 v[122:125], off, off offset:384
	scratch_load_b128 v[126:129], off, off offset:400
	scratch_load_b128 v[130:133], off, off offset:416
	scratch_load_b128 v[134:137], off, off offset:432
	scratch_load_b128 v[138:141], off, off offset:448
	v_mov_b32_e32 v2, 0
	s_mov_b32 s2, exec_lo
	ds_load_b128 v[142:145], v2 offset:1072
	s_clause 0x2
	scratch_load_b128 v[146:149], off, off offset:464
	scratch_load_b128 v[150:153], off, off offset:288
	;; [unrolled: 1-line block ×3, first 2 shown]
	s_wait_loadcnt_dscnt 0xc00
	v_mul_f64_e32 v[162:163], v[144:145], v[6:7]
	v_mul_f64_e32 v[166:167], v[142:143], v[6:7]
	ds_load_b128 v[154:157], v2 offset:1088
	v_fma_f64 v[170:171], v[142:143], v[4:5], -v[162:163]
	v_fmac_f64_e32 v[166:167], v[144:145], v[4:5]
	ds_load_b128 v[4:7], v2 offset:1104
	s_wait_loadcnt_dscnt 0xb01
	v_mul_f64_e32 v[168:169], v[154:155], v[10:11]
	v_mul_f64_e32 v[10:11], v[156:157], v[10:11]
	scratch_load_b128 v[142:145], off, off offset:496
	ds_load_b128 v[162:165], v2 offset:1120
	s_wait_loadcnt_dscnt 0xb01
	v_mul_f64_e32 v[172:173], v[4:5], v[14:15]
	v_mul_f64_e32 v[14:15], v[6:7], v[14:15]
	v_add_f64_e32 v[166:167], 0, v[166:167]
	v_fmac_f64_e32 v[168:169], v[156:157], v[8:9]
	v_fma_f64 v[154:155], v[154:155], v[8:9], -v[10:11]
	v_add_f64_e32 v[156:157], 0, v[170:171]
	scratch_load_b128 v[8:11], off, off offset:512
	v_fmac_f64_e32 v[172:173], v[6:7], v[12:13]
	v_fma_f64 v[174:175], v[4:5], v[12:13], -v[14:15]
	ds_load_b128 v[4:7], v2 offset:1136
	s_wait_loadcnt_dscnt 0xb01
	v_mul_f64_e32 v[170:171], v[162:163], v[18:19]
	v_mul_f64_e32 v[18:19], v[164:165], v[18:19]
	scratch_load_b128 v[12:15], off, off offset:528
	v_add_f64_e32 v[166:167], v[166:167], v[168:169]
	v_add_f64_e32 v[176:177], v[156:157], v[154:155]
	ds_load_b128 v[154:157], v2 offset:1152
	s_wait_loadcnt_dscnt 0xb01
	v_mul_f64_e32 v[168:169], v[4:5], v[22:23]
	v_mul_f64_e32 v[22:23], v[6:7], v[22:23]
	v_fmac_f64_e32 v[170:171], v[164:165], v[16:17]
	v_fma_f64 v[162:163], v[162:163], v[16:17], -v[18:19]
	scratch_load_b128 v[16:19], off, off offset:544
	v_add_f64_e32 v[166:167], v[166:167], v[172:173]
	v_add_f64_e32 v[164:165], v[176:177], v[174:175]
	v_fmac_f64_e32 v[168:169], v[6:7], v[20:21]
	v_fma_f64 v[174:175], v[4:5], v[20:21], -v[22:23]
	ds_load_b128 v[4:7], v2 offset:1168
	s_wait_loadcnt_dscnt 0xb01
	v_mul_f64_e32 v[172:173], v[154:155], v[124:125]
	v_mul_f64_e32 v[124:125], v[156:157], v[124:125]
	scratch_load_b128 v[20:23], off, off offset:560
	v_add_f64_e32 v[166:167], v[166:167], v[170:171]
	s_wait_loadcnt_dscnt 0xb00
	v_mul_f64_e32 v[170:171], v[4:5], v[128:129]
	v_add_f64_e32 v[176:177], v[164:165], v[162:163]
	v_mul_f64_e32 v[128:129], v[6:7], v[128:129]
	ds_load_b128 v[162:165], v2 offset:1184
	v_fmac_f64_e32 v[172:173], v[156:157], v[122:123]
	v_fma_f64 v[154:155], v[154:155], v[122:123], -v[124:125]
	scratch_load_b128 v[122:125], off, off offset:576
	v_add_f64_e32 v[166:167], v[166:167], v[168:169]
	v_fmac_f64_e32 v[170:171], v[6:7], v[126:127]
	v_add_f64_e32 v[156:157], v[176:177], v[174:175]
	v_fma_f64 v[174:175], v[4:5], v[126:127], -v[128:129]
	ds_load_b128 v[4:7], v2 offset:1200
	s_wait_loadcnt_dscnt 0xb01
	v_mul_f64_e32 v[168:169], v[162:163], v[132:133]
	v_mul_f64_e32 v[132:133], v[164:165], v[132:133]
	scratch_load_b128 v[126:129], off, off offset:592
	v_add_f64_e32 v[166:167], v[166:167], v[172:173]
	s_wait_loadcnt_dscnt 0xb00
	v_mul_f64_e32 v[172:173], v[4:5], v[136:137]
	v_add_f64_e32 v[176:177], v[156:157], v[154:155]
	v_mul_f64_e32 v[136:137], v[6:7], v[136:137]
	ds_load_b128 v[154:157], v2 offset:1216
	v_fmac_f64_e32 v[168:169], v[164:165], v[130:131]
	v_fma_f64 v[162:163], v[162:163], v[130:131], -v[132:133]
	scratch_load_b128 v[130:133], off, off offset:608
	v_add_f64_e32 v[166:167], v[166:167], v[170:171]
	v_fmac_f64_e32 v[172:173], v[6:7], v[134:135]
	v_add_f64_e32 v[164:165], v[176:177], v[174:175]
	;; [unrolled: 18-line block ×3, first 2 shown]
	v_fma_f64 v[174:175], v[4:5], v[146:147], -v[148:149]
	ds_load_b128 v[4:7], v2 offset:1264
	s_wait_loadcnt_dscnt 0xa01
	v_mul_f64_e32 v[172:173], v[162:163], v[160:161]
	v_mul_f64_e32 v[160:161], v[164:165], v[160:161]
	scratch_load_b128 v[146:149], off, off offset:656
	v_add_f64_e32 v[166:167], v[166:167], v[170:171]
	v_add_f64_e32 v[176:177], v[156:157], v[154:155]
	s_wait_loadcnt_dscnt 0xa00
	v_mul_f64_e32 v[170:171], v[4:5], v[144:145]
	v_mul_f64_e32 v[144:145], v[6:7], v[144:145]
	v_fmac_f64_e32 v[172:173], v[164:165], v[158:159]
	v_fma_f64 v[162:163], v[162:163], v[158:159], -v[160:161]
	ds_load_b128 v[154:157], v2 offset:1280
	scratch_load_b128 v[158:161], off, off offset:672
	v_add_f64_e32 v[166:167], v[166:167], v[168:169]
	v_add_f64_e32 v[164:165], v[176:177], v[174:175]
	v_fmac_f64_e32 v[170:171], v[6:7], v[142:143]
	v_fma_f64 v[174:175], v[4:5], v[142:143], -v[144:145]
	ds_load_b128 v[4:7], v2 offset:1296
	s_wait_loadcnt_dscnt 0xa01
	v_mul_f64_e32 v[168:169], v[154:155], v[10:11]
	v_mul_f64_e32 v[10:11], v[156:157], v[10:11]
	scratch_load_b128 v[142:145], off, off offset:688
	v_add_f64_e32 v[166:167], v[166:167], v[172:173]
	s_wait_loadcnt_dscnt 0xa00
	v_mul_f64_e32 v[172:173], v[4:5], v[14:15]
	v_add_f64_e32 v[176:177], v[164:165], v[162:163]
	v_mul_f64_e32 v[14:15], v[6:7], v[14:15]
	ds_load_b128 v[162:165], v2 offset:1312
	v_fmac_f64_e32 v[168:169], v[156:157], v[8:9]
	v_fma_f64 v[154:155], v[154:155], v[8:9], -v[10:11]
	scratch_load_b128 v[8:11], off, off offset:704
	v_add_f64_e32 v[166:167], v[166:167], v[170:171]
	v_fmac_f64_e32 v[172:173], v[6:7], v[12:13]
	v_add_f64_e32 v[156:157], v[176:177], v[174:175]
	v_fma_f64 v[174:175], v[4:5], v[12:13], -v[14:15]
	ds_load_b128 v[4:7], v2 offset:1328
	s_wait_loadcnt_dscnt 0xa01
	v_mul_f64_e32 v[170:171], v[162:163], v[18:19]
	v_mul_f64_e32 v[18:19], v[164:165], v[18:19]
	scratch_load_b128 v[12:15], off, off offset:720
	v_add_f64_e32 v[166:167], v[166:167], v[168:169]
	s_wait_loadcnt_dscnt 0xa00
	v_mul_f64_e32 v[168:169], v[4:5], v[22:23]
	v_add_f64_e32 v[176:177], v[156:157], v[154:155]
	v_mul_f64_e32 v[22:23], v[6:7], v[22:23]
	ds_load_b128 v[154:157], v2 offset:1344
	v_fmac_f64_e32 v[170:171], v[164:165], v[16:17]
	v_fma_f64 v[162:163], v[162:163], v[16:17], -v[18:19]
	scratch_load_b128 v[16:19], off, off offset:736
	v_add_f64_e32 v[166:167], v[166:167], v[172:173]
	v_fmac_f64_e32 v[168:169], v[6:7], v[20:21]
	v_add_f64_e32 v[164:165], v[176:177], v[174:175]
	v_fma_f64 v[174:175], v[4:5], v[20:21], -v[22:23]
	ds_load_b128 v[4:7], v2 offset:1360
	s_wait_loadcnt_dscnt 0xa01
	v_mul_f64_e32 v[172:173], v[154:155], v[124:125]
	v_mul_f64_e32 v[124:125], v[156:157], v[124:125]
	scratch_load_b128 v[20:23], off, off offset:752
	v_add_f64_e32 v[166:167], v[166:167], v[170:171]
	s_wait_loadcnt_dscnt 0xa00
	v_mul_f64_e32 v[170:171], v[4:5], v[128:129]
	v_add_f64_e32 v[176:177], v[164:165], v[162:163]
	v_mul_f64_e32 v[128:129], v[6:7], v[128:129]
	ds_load_b128 v[162:165], v2 offset:1376
	v_fmac_f64_e32 v[172:173], v[156:157], v[122:123]
	v_fma_f64 v[122:123], v[154:155], v[122:123], -v[124:125]
	s_wait_loadcnt_dscnt 0x900
	v_mul_f64_e32 v[156:157], v[162:163], v[132:133]
	v_mul_f64_e32 v[132:133], v[164:165], v[132:133]
	v_add_f64_e32 v[154:155], v[166:167], v[168:169]
	v_fmac_f64_e32 v[170:171], v[6:7], v[126:127]
	v_add_f64_e32 v[124:125], v[176:177], v[174:175]
	v_fma_f64 v[126:127], v[4:5], v[126:127], -v[128:129]
	v_fmac_f64_e32 v[156:157], v[164:165], v[130:131]
	v_fma_f64 v[130:131], v[162:163], v[130:131], -v[132:133]
	v_add_f64_e32 v[154:155], v[154:155], v[172:173]
	v_add_f64_e32 v[128:129], v[124:125], v[122:123]
	ds_load_b128 v[4:7], v2 offset:1392
	ds_load_b128 v[122:125], v2 offset:1408
	s_wait_loadcnt_dscnt 0x801
	v_mul_f64_e32 v[166:167], v[4:5], v[136:137]
	v_mul_f64_e32 v[136:137], v[6:7], v[136:137]
	s_wait_loadcnt_dscnt 0x700
	v_mul_f64_e32 v[132:133], v[122:123], v[140:141]
	v_mul_f64_e32 v[140:141], v[124:125], v[140:141]
	v_add_f64_e32 v[126:127], v[128:129], v[126:127]
	v_add_f64_e32 v[128:129], v[154:155], v[170:171]
	v_fmac_f64_e32 v[166:167], v[6:7], v[134:135]
	v_fma_f64 v[134:135], v[4:5], v[134:135], -v[136:137]
	v_fmac_f64_e32 v[132:133], v[124:125], v[138:139]
	v_fma_f64 v[122:123], v[122:123], v[138:139], -v[140:141]
	v_add_f64_e32 v[130:131], v[126:127], v[130:131]
	v_add_f64_e32 v[136:137], v[128:129], v[156:157]
	ds_load_b128 v[4:7], v2 offset:1424
	ds_load_b128 v[126:129], v2 offset:1440
	s_wait_loadcnt_dscnt 0x601
	v_mul_f64_e32 v[154:155], v[4:5], v[148:149]
	v_mul_f64_e32 v[148:149], v[6:7], v[148:149]
	v_add_f64_e32 v[124:125], v[130:131], v[134:135]
	v_add_f64_e32 v[130:131], v[136:137], v[166:167]
	s_wait_loadcnt_dscnt 0x500
	v_mul_f64_e32 v[134:135], v[126:127], v[160:161]
	v_mul_f64_e32 v[136:137], v[128:129], v[160:161]
	v_fmac_f64_e32 v[154:155], v[6:7], v[146:147]
	v_fma_f64 v[138:139], v[4:5], v[146:147], -v[148:149]
	v_add_f64_e32 v[140:141], v[124:125], v[122:123]
	v_add_f64_e32 v[130:131], v[130:131], v[132:133]
	ds_load_b128 v[4:7], v2 offset:1456
	ds_load_b128 v[122:125], v2 offset:1472
	v_fmac_f64_e32 v[134:135], v[128:129], v[158:159]
	v_fma_f64 v[126:127], v[126:127], v[158:159], -v[136:137]
	s_wait_loadcnt_dscnt 0x401
	v_mul_f64_e32 v[132:133], v[4:5], v[144:145]
	v_mul_f64_e32 v[144:145], v[6:7], v[144:145]
	s_wait_loadcnt_dscnt 0x300
	v_mul_f64_e32 v[136:137], v[122:123], v[10:11]
	v_mul_f64_e32 v[10:11], v[124:125], v[10:11]
	v_add_f64_e32 v[128:129], v[140:141], v[138:139]
	v_add_f64_e32 v[130:131], v[130:131], v[154:155]
	v_fmac_f64_e32 v[132:133], v[6:7], v[142:143]
	v_fma_f64 v[138:139], v[4:5], v[142:143], -v[144:145]
	v_fmac_f64_e32 v[136:137], v[124:125], v[8:9]
	v_fma_f64 v[8:9], v[122:123], v[8:9], -v[10:11]
	v_add_f64_e32 v[140:141], v[128:129], v[126:127]
	v_add_f64_e32 v[130:131], v[130:131], v[134:135]
	ds_load_b128 v[4:7], v2 offset:1488
	ds_load_b128 v[126:129], v2 offset:1504
	s_wait_loadcnt_dscnt 0x201
	v_mul_f64_e32 v[134:135], v[4:5], v[14:15]
	v_mul_f64_e32 v[14:15], v[6:7], v[14:15]
	s_wait_loadcnt_dscnt 0x100
	v_mul_f64_e32 v[124:125], v[126:127], v[18:19]
	v_mul_f64_e32 v[18:19], v[128:129], v[18:19]
	v_add_f64_e32 v[10:11], v[140:141], v[138:139]
	v_add_f64_e32 v[122:123], v[130:131], v[132:133]
	v_fmac_f64_e32 v[134:135], v[6:7], v[12:13]
	v_fma_f64 v[12:13], v[4:5], v[12:13], -v[14:15]
	ds_load_b128 v[4:7], v2 offset:1520
	v_fmac_f64_e32 v[124:125], v[128:129], v[16:17]
	v_fma_f64 v[16:17], v[126:127], v[16:17], -v[18:19]
	v_add_f64_e32 v[8:9], v[10:11], v[8:9]
	v_add_f64_e32 v[10:11], v[122:123], v[136:137]
	s_wait_loadcnt_dscnt 0x0
	v_mul_f64_e32 v[14:15], v[4:5], v[22:23]
	v_mul_f64_e32 v[22:23], v[6:7], v[22:23]
	s_delay_alu instid0(VALU_DEP_4) | instskip(NEXT) | instid1(VALU_DEP_4)
	v_add_f64_e32 v[8:9], v[8:9], v[12:13]
	v_add_f64_e32 v[10:11], v[10:11], v[134:135]
	s_delay_alu instid0(VALU_DEP_4) | instskip(NEXT) | instid1(VALU_DEP_4)
	v_fmac_f64_e32 v[14:15], v[6:7], v[20:21]
	v_fma_f64 v[4:5], v[4:5], v[20:21], -v[22:23]
	s_delay_alu instid0(VALU_DEP_4) | instskip(NEXT) | instid1(VALU_DEP_4)
	v_add_f64_e32 v[6:7], v[8:9], v[16:17]
	v_add_f64_e32 v[8:9], v[10:11], v[124:125]
	s_delay_alu instid0(VALU_DEP_2) | instskip(NEXT) | instid1(VALU_DEP_2)
	v_add_f64_e32 v[4:5], v[6:7], v[4:5]
	v_add_f64_e32 v[6:7], v[8:9], v[14:15]
	s_delay_alu instid0(VALU_DEP_2) | instskip(NEXT) | instid1(VALU_DEP_2)
	v_add_f64_e64 v[4:5], v[150:151], -v[4:5]
	v_add_f64_e64 v[6:7], v[152:153], -v[6:7]
	scratch_store_b128 off, v[4:7], off offset:288
	s_wait_xcnt 0x0
	v_cmpx_lt_u32_e32 17, v1
	s_cbranch_execz .LBB111_267
; %bb.266:
	scratch_load_b128 v[6:9], off, s47
	v_dual_mov_b32 v3, v2 :: v_dual_mov_b32 v4, v2
	v_mov_b32_e32 v5, v2
	scratch_store_b128 off, v[2:5], off offset:272
	s_wait_loadcnt 0x0
	ds_store_b128 v120, v[6:9]
.LBB111_267:
	s_wait_xcnt 0x0
	s_or_b32 exec_lo, exec_lo, s2
	s_wait_storecnt_dscnt 0x0
	s_barrier_signal -1
	s_barrier_wait -1
	s_clause 0x9
	scratch_load_b128 v[4:7], off, off offset:288
	scratch_load_b128 v[8:11], off, off offset:304
	;; [unrolled: 1-line block ×10, first 2 shown]
	ds_load_b128 v[142:145], v2 offset:1056
	ds_load_b128 v[150:153], v2 offset:1072
	s_clause 0x2
	scratch_load_b128 v[146:149], off, off offset:448
	scratch_load_b128 v[154:157], off, off offset:272
	;; [unrolled: 1-line block ×3, first 2 shown]
	s_mov_b32 s2, exec_lo
	s_wait_loadcnt_dscnt 0xc01
	v_mul_f64_e32 v[162:163], v[144:145], v[6:7]
	v_mul_f64_e32 v[166:167], v[142:143], v[6:7]
	s_wait_loadcnt_dscnt 0xb00
	v_mul_f64_e32 v[168:169], v[150:151], v[10:11]
	v_mul_f64_e32 v[10:11], v[152:153], v[10:11]
	s_delay_alu instid0(VALU_DEP_4) | instskip(NEXT) | instid1(VALU_DEP_4)
	v_fma_f64 v[170:171], v[142:143], v[4:5], -v[162:163]
	v_fmac_f64_e32 v[166:167], v[144:145], v[4:5]
	ds_load_b128 v[4:7], v2 offset:1088
	ds_load_b128 v[142:145], v2 offset:1104
	scratch_load_b128 v[162:165], off, off offset:480
	v_fmac_f64_e32 v[168:169], v[152:153], v[8:9]
	v_fma_f64 v[150:151], v[150:151], v[8:9], -v[10:11]
	scratch_load_b128 v[8:11], off, off offset:496
	s_wait_loadcnt_dscnt 0xc01
	v_mul_f64_e32 v[172:173], v[4:5], v[14:15]
	v_mul_f64_e32 v[14:15], v[6:7], v[14:15]
	v_add_f64_e32 v[152:153], 0, v[170:171]
	v_add_f64_e32 v[166:167], 0, v[166:167]
	s_wait_loadcnt_dscnt 0xb00
	v_mul_f64_e32 v[170:171], v[142:143], v[18:19]
	v_mul_f64_e32 v[18:19], v[144:145], v[18:19]
	v_fmac_f64_e32 v[172:173], v[6:7], v[12:13]
	v_fma_f64 v[174:175], v[4:5], v[12:13], -v[14:15]
	ds_load_b128 v[4:7], v2 offset:1120
	ds_load_b128 v[12:15], v2 offset:1136
	v_add_f64_e32 v[176:177], v[152:153], v[150:151]
	v_add_f64_e32 v[166:167], v[166:167], v[168:169]
	scratch_load_b128 v[150:153], off, off offset:512
	v_fmac_f64_e32 v[170:171], v[144:145], v[16:17]
	v_fma_f64 v[142:143], v[142:143], v[16:17], -v[18:19]
	scratch_load_b128 v[16:19], off, off offset:528
	s_wait_loadcnt_dscnt 0xc01
	v_mul_f64_e32 v[168:169], v[4:5], v[22:23]
	v_mul_f64_e32 v[22:23], v[6:7], v[22:23]
	v_add_f64_e32 v[144:145], v[176:177], v[174:175]
	v_add_f64_e32 v[166:167], v[166:167], v[172:173]
	s_wait_loadcnt_dscnt 0xb00
	v_mul_f64_e32 v[172:173], v[12:13], v[124:125]
	v_mul_f64_e32 v[124:125], v[14:15], v[124:125]
	v_fmac_f64_e32 v[168:169], v[6:7], v[20:21]
	v_fma_f64 v[174:175], v[4:5], v[20:21], -v[22:23]
	ds_load_b128 v[4:7], v2 offset:1152
	ds_load_b128 v[20:23], v2 offset:1168
	v_add_f64_e32 v[176:177], v[144:145], v[142:143]
	v_add_f64_e32 v[166:167], v[166:167], v[170:171]
	scratch_load_b128 v[142:145], off, off offset:544
	s_wait_loadcnt_dscnt 0xb01
	v_mul_f64_e32 v[170:171], v[4:5], v[128:129]
	v_mul_f64_e32 v[128:129], v[6:7], v[128:129]
	v_fmac_f64_e32 v[172:173], v[14:15], v[122:123]
	v_fma_f64 v[122:123], v[12:13], v[122:123], -v[124:125]
	scratch_load_b128 v[12:15], off, off offset:560
	v_add_f64_e32 v[124:125], v[176:177], v[174:175]
	v_add_f64_e32 v[166:167], v[166:167], v[168:169]
	s_wait_loadcnt_dscnt 0xb00
	v_mul_f64_e32 v[168:169], v[20:21], v[132:133]
	v_mul_f64_e32 v[132:133], v[22:23], v[132:133]
	v_fmac_f64_e32 v[170:171], v[6:7], v[126:127]
	v_fma_f64 v[174:175], v[4:5], v[126:127], -v[128:129]
	v_add_f64_e32 v[176:177], v[124:125], v[122:123]
	v_add_f64_e32 v[166:167], v[166:167], v[172:173]
	ds_load_b128 v[4:7], v2 offset:1184
	ds_load_b128 v[122:125], v2 offset:1200
	scratch_load_b128 v[126:129], off, off offset:576
	v_fmac_f64_e32 v[168:169], v[22:23], v[130:131]
	v_fma_f64 v[130:131], v[20:21], v[130:131], -v[132:133]
	scratch_load_b128 v[20:23], off, off offset:592
	s_wait_loadcnt_dscnt 0xc01
	v_mul_f64_e32 v[172:173], v[4:5], v[136:137]
	v_mul_f64_e32 v[136:137], v[6:7], v[136:137]
	v_add_f64_e32 v[132:133], v[176:177], v[174:175]
	v_add_f64_e32 v[166:167], v[166:167], v[170:171]
	s_wait_loadcnt_dscnt 0xb00
	v_mul_f64_e32 v[170:171], v[122:123], v[140:141]
	v_mul_f64_e32 v[140:141], v[124:125], v[140:141]
	v_fmac_f64_e32 v[172:173], v[6:7], v[134:135]
	v_fma_f64 v[174:175], v[4:5], v[134:135], -v[136:137]
	v_add_f64_e32 v[176:177], v[132:133], v[130:131]
	v_add_f64_e32 v[166:167], v[166:167], v[168:169]
	ds_load_b128 v[4:7], v2 offset:1216
	ds_load_b128 v[130:133], v2 offset:1232
	scratch_load_b128 v[134:137], off, off offset:608
	v_fmac_f64_e32 v[170:171], v[124:125], v[138:139]
	v_fma_f64 v[138:139], v[122:123], v[138:139], -v[140:141]
	scratch_load_b128 v[122:125], off, off offset:624
	s_wait_loadcnt_dscnt 0xc01
	v_mul_f64_e32 v[168:169], v[4:5], v[148:149]
	v_mul_f64_e32 v[148:149], v[6:7], v[148:149]
	;; [unrolled: 18-line block ×5, first 2 shown]
	v_add_f64_e32 v[160:161], v[176:177], v[174:175]
	v_add_f64_e32 v[166:167], v[166:167], v[172:173]
	s_wait_loadcnt_dscnt 0xa00
	v_mul_f64_e32 v[172:173], v[138:139], v[14:15]
	v_mul_f64_e32 v[14:15], v[140:141], v[14:15]
	v_fmac_f64_e32 v[168:169], v[6:7], v[142:143]
	v_fma_f64 v[174:175], v[4:5], v[142:143], -v[144:145]
	ds_load_b128 v[4:7], v2 offset:1344
	ds_load_b128 v[142:145], v2 offset:1360
	v_add_f64_e32 v[176:177], v[160:161], v[158:159]
	v_add_f64_e32 v[166:167], v[166:167], v[170:171]
	scratch_load_b128 v[158:161], off, off offset:736
	v_fmac_f64_e32 v[172:173], v[140:141], v[12:13]
	v_fma_f64 v[138:139], v[138:139], v[12:13], -v[14:15]
	scratch_load_b128 v[12:15], off, off offset:752
	s_wait_loadcnt_dscnt 0xb01
	v_mul_f64_e32 v[170:171], v[4:5], v[128:129]
	v_mul_f64_e32 v[128:129], v[6:7], v[128:129]
	v_add_f64_e32 v[140:141], v[176:177], v[174:175]
	v_add_f64_e32 v[166:167], v[166:167], v[168:169]
	s_wait_loadcnt_dscnt 0xa00
	v_mul_f64_e32 v[168:169], v[142:143], v[22:23]
	v_mul_f64_e32 v[22:23], v[144:145], v[22:23]
	v_fmac_f64_e32 v[170:171], v[6:7], v[126:127]
	v_fma_f64 v[174:175], v[4:5], v[126:127], -v[128:129]
	ds_load_b128 v[4:7], v2 offset:1376
	ds_load_b128 v[126:129], v2 offset:1392
	v_add_f64_e32 v[138:139], v[140:141], v[138:139]
	v_add_f64_e32 v[140:141], v[166:167], v[172:173]
	v_fmac_f64_e32 v[168:169], v[144:145], v[20:21]
	s_wait_loadcnt_dscnt 0x901
	v_mul_f64_e32 v[166:167], v[4:5], v[136:137]
	v_mul_f64_e32 v[136:137], v[6:7], v[136:137]
	v_fma_f64 v[20:21], v[142:143], v[20:21], -v[22:23]
	v_add_f64_e32 v[22:23], v[138:139], v[174:175]
	v_add_f64_e32 v[138:139], v[140:141], v[170:171]
	s_wait_loadcnt_dscnt 0x800
	v_mul_f64_e32 v[140:141], v[126:127], v[124:125]
	v_mul_f64_e32 v[124:125], v[128:129], v[124:125]
	v_fmac_f64_e32 v[166:167], v[6:7], v[134:135]
	v_fma_f64 v[134:135], v[4:5], v[134:135], -v[136:137]
	v_add_f64_e32 v[136:137], v[22:23], v[20:21]
	v_add_f64_e32 v[138:139], v[138:139], v[168:169]
	ds_load_b128 v[4:7], v2 offset:1408
	ds_load_b128 v[20:23], v2 offset:1424
	v_fmac_f64_e32 v[140:141], v[128:129], v[122:123]
	v_fma_f64 v[122:123], v[126:127], v[122:123], -v[124:125]
	s_wait_loadcnt_dscnt 0x701
	v_mul_f64_e32 v[142:143], v[4:5], v[148:149]
	v_mul_f64_e32 v[144:145], v[6:7], v[148:149]
	s_wait_loadcnt_dscnt 0x600
	v_mul_f64_e32 v[128:129], v[20:21], v[132:133]
	v_mul_f64_e32 v[132:133], v[22:23], v[132:133]
	v_add_f64_e32 v[124:125], v[136:137], v[134:135]
	v_add_f64_e32 v[126:127], v[138:139], v[166:167]
	v_fmac_f64_e32 v[142:143], v[6:7], v[146:147]
	v_fma_f64 v[134:135], v[4:5], v[146:147], -v[144:145]
	v_fmac_f64_e32 v[128:129], v[22:23], v[130:131]
	v_fma_f64 v[20:21], v[20:21], v[130:131], -v[132:133]
	v_add_f64_e32 v[136:137], v[124:125], v[122:123]
	v_add_f64_e32 v[126:127], v[126:127], v[140:141]
	ds_load_b128 v[4:7], v2 offset:1440
	ds_load_b128 v[122:125], v2 offset:1456
	s_wait_loadcnt_dscnt 0x501
	v_mul_f64_e32 v[138:139], v[4:5], v[164:165]
	v_mul_f64_e32 v[140:141], v[6:7], v[164:165]
	s_wait_loadcnt_dscnt 0x400
	v_mul_f64_e32 v[130:131], v[122:123], v[10:11]
	v_mul_f64_e32 v[10:11], v[124:125], v[10:11]
	v_add_f64_e32 v[22:23], v[136:137], v[134:135]
	v_add_f64_e32 v[126:127], v[126:127], v[142:143]
	v_fmac_f64_e32 v[138:139], v[6:7], v[162:163]
	v_fma_f64 v[132:133], v[4:5], v[162:163], -v[140:141]
	v_fmac_f64_e32 v[130:131], v[124:125], v[8:9]
	v_fma_f64 v[8:9], v[122:123], v[8:9], -v[10:11]
	v_add_f64_e32 v[134:135], v[22:23], v[20:21]
	v_add_f64_e32 v[126:127], v[126:127], v[128:129]
	ds_load_b128 v[4:7], v2 offset:1472
	ds_load_b128 v[20:23], v2 offset:1488
	;; [unrolled: 16-line block ×3, first 2 shown]
	s_wait_loadcnt_dscnt 0x101
	v_mul_f64_e32 v[2:3], v[4:5], v[160:161]
	v_mul_f64_e32 v[130:131], v[6:7], v[160:161]
	s_wait_loadcnt_dscnt 0x0
	v_mul_f64_e32 v[22:23], v[8:9], v[14:15]
	v_mul_f64_e32 v[14:15], v[10:11], v[14:15]
	v_add_f64_e32 v[18:19], v[132:133], v[126:127]
	v_add_f64_e32 v[20:21], v[122:123], v[128:129]
	v_fmac_f64_e32 v[2:3], v[6:7], v[158:159]
	v_fma_f64 v[4:5], v[4:5], v[158:159], -v[130:131]
	v_fmac_f64_e32 v[22:23], v[10:11], v[12:13]
	v_fma_f64 v[8:9], v[8:9], v[12:13], -v[14:15]
	v_add_f64_e32 v[6:7], v[18:19], v[16:17]
	v_add_f64_e32 v[16:17], v[20:21], v[124:125]
	s_delay_alu instid0(VALU_DEP_2) | instskip(NEXT) | instid1(VALU_DEP_2)
	v_add_f64_e32 v[4:5], v[6:7], v[4:5]
	v_add_f64_e32 v[2:3], v[16:17], v[2:3]
	s_delay_alu instid0(VALU_DEP_2) | instskip(NEXT) | instid1(VALU_DEP_2)
	;; [unrolled: 3-line block ×3, first 2 shown]
	v_add_f64_e64 v[2:3], v[154:155], -v[4:5]
	v_add_f64_e64 v[4:5], v[156:157], -v[6:7]
	scratch_store_b128 off, v[2:5], off offset:272
	s_wait_xcnt 0x0
	v_cmpx_lt_u32_e32 16, v1
	s_cbranch_execz .LBB111_269
; %bb.268:
	scratch_load_b128 v[2:5], off, s48
	v_mov_b32_e32 v6, 0
	s_delay_alu instid0(VALU_DEP_1)
	v_dual_mov_b32 v7, v6 :: v_dual_mov_b32 v8, v6
	v_mov_b32_e32 v9, v6
	scratch_store_b128 off, v[6:9], off offset:256
	s_wait_loadcnt 0x0
	ds_store_b128 v120, v[2:5]
.LBB111_269:
	s_wait_xcnt 0x0
	s_or_b32 exec_lo, exec_lo, s2
	s_wait_storecnt_dscnt 0x0
	s_barrier_signal -1
	s_barrier_wait -1
	s_clause 0x9
	scratch_load_b128 v[4:7], off, off offset:272
	scratch_load_b128 v[8:11], off, off offset:288
	;; [unrolled: 1-line block ×10, first 2 shown]
	v_mov_b32_e32 v2, 0
	s_mov_b32 s2, exec_lo
	ds_load_b128 v[142:145], v2 offset:1040
	s_clause 0x2
	scratch_load_b128 v[146:149], off, off offset:432
	scratch_load_b128 v[150:153], off, off offset:256
	;; [unrolled: 1-line block ×3, first 2 shown]
	s_wait_loadcnt_dscnt 0xc00
	v_mul_f64_e32 v[162:163], v[144:145], v[6:7]
	v_mul_f64_e32 v[166:167], v[142:143], v[6:7]
	ds_load_b128 v[154:157], v2 offset:1056
	v_fma_f64 v[170:171], v[142:143], v[4:5], -v[162:163]
	v_fmac_f64_e32 v[166:167], v[144:145], v[4:5]
	ds_load_b128 v[4:7], v2 offset:1072
	s_wait_loadcnt_dscnt 0xb01
	v_mul_f64_e32 v[168:169], v[154:155], v[10:11]
	v_mul_f64_e32 v[10:11], v[156:157], v[10:11]
	scratch_load_b128 v[142:145], off, off offset:464
	ds_load_b128 v[162:165], v2 offset:1088
	s_wait_loadcnt_dscnt 0xb01
	v_mul_f64_e32 v[172:173], v[4:5], v[14:15]
	v_mul_f64_e32 v[14:15], v[6:7], v[14:15]
	v_add_f64_e32 v[166:167], 0, v[166:167]
	v_fmac_f64_e32 v[168:169], v[156:157], v[8:9]
	v_fma_f64 v[154:155], v[154:155], v[8:9], -v[10:11]
	v_add_f64_e32 v[156:157], 0, v[170:171]
	scratch_load_b128 v[8:11], off, off offset:480
	v_fmac_f64_e32 v[172:173], v[6:7], v[12:13]
	v_fma_f64 v[174:175], v[4:5], v[12:13], -v[14:15]
	ds_load_b128 v[4:7], v2 offset:1104
	s_wait_loadcnt_dscnt 0xb01
	v_mul_f64_e32 v[170:171], v[162:163], v[18:19]
	v_mul_f64_e32 v[18:19], v[164:165], v[18:19]
	scratch_load_b128 v[12:15], off, off offset:496
	v_add_f64_e32 v[166:167], v[166:167], v[168:169]
	v_add_f64_e32 v[176:177], v[156:157], v[154:155]
	ds_load_b128 v[154:157], v2 offset:1120
	s_wait_loadcnt_dscnt 0xb01
	v_mul_f64_e32 v[168:169], v[4:5], v[22:23]
	v_mul_f64_e32 v[22:23], v[6:7], v[22:23]
	v_fmac_f64_e32 v[170:171], v[164:165], v[16:17]
	v_fma_f64 v[162:163], v[162:163], v[16:17], -v[18:19]
	scratch_load_b128 v[16:19], off, off offset:512
	v_add_f64_e32 v[166:167], v[166:167], v[172:173]
	v_add_f64_e32 v[164:165], v[176:177], v[174:175]
	v_fmac_f64_e32 v[168:169], v[6:7], v[20:21]
	v_fma_f64 v[174:175], v[4:5], v[20:21], -v[22:23]
	ds_load_b128 v[4:7], v2 offset:1136
	s_wait_loadcnt_dscnt 0xb01
	v_mul_f64_e32 v[172:173], v[154:155], v[124:125]
	v_mul_f64_e32 v[124:125], v[156:157], v[124:125]
	scratch_load_b128 v[20:23], off, off offset:528
	v_add_f64_e32 v[166:167], v[166:167], v[170:171]
	s_wait_loadcnt_dscnt 0xb00
	v_mul_f64_e32 v[170:171], v[4:5], v[128:129]
	v_add_f64_e32 v[176:177], v[164:165], v[162:163]
	v_mul_f64_e32 v[128:129], v[6:7], v[128:129]
	ds_load_b128 v[162:165], v2 offset:1152
	v_fmac_f64_e32 v[172:173], v[156:157], v[122:123]
	v_fma_f64 v[154:155], v[154:155], v[122:123], -v[124:125]
	scratch_load_b128 v[122:125], off, off offset:544
	v_add_f64_e32 v[166:167], v[166:167], v[168:169]
	v_fmac_f64_e32 v[170:171], v[6:7], v[126:127]
	v_add_f64_e32 v[156:157], v[176:177], v[174:175]
	v_fma_f64 v[174:175], v[4:5], v[126:127], -v[128:129]
	ds_load_b128 v[4:7], v2 offset:1168
	s_wait_loadcnt_dscnt 0xb01
	v_mul_f64_e32 v[168:169], v[162:163], v[132:133]
	v_mul_f64_e32 v[132:133], v[164:165], v[132:133]
	scratch_load_b128 v[126:129], off, off offset:560
	v_add_f64_e32 v[166:167], v[166:167], v[172:173]
	s_wait_loadcnt_dscnt 0xb00
	v_mul_f64_e32 v[172:173], v[4:5], v[136:137]
	v_add_f64_e32 v[176:177], v[156:157], v[154:155]
	v_mul_f64_e32 v[136:137], v[6:7], v[136:137]
	ds_load_b128 v[154:157], v2 offset:1184
	v_fmac_f64_e32 v[168:169], v[164:165], v[130:131]
	v_fma_f64 v[162:163], v[162:163], v[130:131], -v[132:133]
	scratch_load_b128 v[130:133], off, off offset:576
	v_add_f64_e32 v[166:167], v[166:167], v[170:171]
	v_fmac_f64_e32 v[172:173], v[6:7], v[134:135]
	v_add_f64_e32 v[164:165], v[176:177], v[174:175]
	;; [unrolled: 18-line block ×3, first 2 shown]
	v_fma_f64 v[174:175], v[4:5], v[146:147], -v[148:149]
	ds_load_b128 v[4:7], v2 offset:1232
	s_wait_loadcnt_dscnt 0xa01
	v_mul_f64_e32 v[172:173], v[162:163], v[160:161]
	v_mul_f64_e32 v[160:161], v[164:165], v[160:161]
	scratch_load_b128 v[146:149], off, off offset:624
	v_add_f64_e32 v[166:167], v[166:167], v[170:171]
	v_add_f64_e32 v[176:177], v[156:157], v[154:155]
	s_wait_loadcnt_dscnt 0xa00
	v_mul_f64_e32 v[170:171], v[4:5], v[144:145]
	v_mul_f64_e32 v[144:145], v[6:7], v[144:145]
	v_fmac_f64_e32 v[172:173], v[164:165], v[158:159]
	v_fma_f64 v[162:163], v[162:163], v[158:159], -v[160:161]
	ds_load_b128 v[154:157], v2 offset:1248
	scratch_load_b128 v[158:161], off, off offset:640
	v_add_f64_e32 v[166:167], v[166:167], v[168:169]
	v_add_f64_e32 v[164:165], v[176:177], v[174:175]
	v_fmac_f64_e32 v[170:171], v[6:7], v[142:143]
	v_fma_f64 v[174:175], v[4:5], v[142:143], -v[144:145]
	ds_load_b128 v[4:7], v2 offset:1264
	s_wait_loadcnt_dscnt 0xa01
	v_mul_f64_e32 v[168:169], v[154:155], v[10:11]
	v_mul_f64_e32 v[10:11], v[156:157], v[10:11]
	scratch_load_b128 v[142:145], off, off offset:656
	v_add_f64_e32 v[166:167], v[166:167], v[172:173]
	s_wait_loadcnt_dscnt 0xa00
	v_mul_f64_e32 v[172:173], v[4:5], v[14:15]
	v_add_f64_e32 v[176:177], v[164:165], v[162:163]
	v_mul_f64_e32 v[14:15], v[6:7], v[14:15]
	ds_load_b128 v[162:165], v2 offset:1280
	v_fmac_f64_e32 v[168:169], v[156:157], v[8:9]
	v_fma_f64 v[154:155], v[154:155], v[8:9], -v[10:11]
	scratch_load_b128 v[8:11], off, off offset:672
	v_add_f64_e32 v[166:167], v[166:167], v[170:171]
	v_fmac_f64_e32 v[172:173], v[6:7], v[12:13]
	v_add_f64_e32 v[156:157], v[176:177], v[174:175]
	v_fma_f64 v[174:175], v[4:5], v[12:13], -v[14:15]
	ds_load_b128 v[4:7], v2 offset:1296
	s_wait_loadcnt_dscnt 0xa01
	v_mul_f64_e32 v[170:171], v[162:163], v[18:19]
	v_mul_f64_e32 v[18:19], v[164:165], v[18:19]
	scratch_load_b128 v[12:15], off, off offset:688
	v_add_f64_e32 v[166:167], v[166:167], v[168:169]
	s_wait_loadcnt_dscnt 0xa00
	v_mul_f64_e32 v[168:169], v[4:5], v[22:23]
	v_add_f64_e32 v[176:177], v[156:157], v[154:155]
	v_mul_f64_e32 v[22:23], v[6:7], v[22:23]
	ds_load_b128 v[154:157], v2 offset:1312
	v_fmac_f64_e32 v[170:171], v[164:165], v[16:17]
	v_fma_f64 v[162:163], v[162:163], v[16:17], -v[18:19]
	scratch_load_b128 v[16:19], off, off offset:704
	v_add_f64_e32 v[166:167], v[166:167], v[172:173]
	v_fmac_f64_e32 v[168:169], v[6:7], v[20:21]
	v_add_f64_e32 v[164:165], v[176:177], v[174:175]
	;; [unrolled: 18-line block ×3, first 2 shown]
	v_fma_f64 v[174:175], v[4:5], v[126:127], -v[128:129]
	ds_load_b128 v[4:7], v2 offset:1360
	s_wait_loadcnt_dscnt 0xa01
	v_mul_f64_e32 v[168:169], v[162:163], v[132:133]
	v_mul_f64_e32 v[132:133], v[164:165], v[132:133]
	scratch_load_b128 v[126:129], off, off offset:752
	v_add_f64_e32 v[166:167], v[166:167], v[172:173]
	s_wait_loadcnt_dscnt 0xa00
	v_mul_f64_e32 v[172:173], v[4:5], v[136:137]
	v_add_f64_e32 v[176:177], v[156:157], v[154:155]
	v_mul_f64_e32 v[136:137], v[6:7], v[136:137]
	ds_load_b128 v[154:157], v2 offset:1376
	v_fmac_f64_e32 v[168:169], v[164:165], v[130:131]
	v_fma_f64 v[130:131], v[162:163], v[130:131], -v[132:133]
	s_wait_loadcnt_dscnt 0x900
	v_mul_f64_e32 v[164:165], v[154:155], v[140:141]
	v_mul_f64_e32 v[140:141], v[156:157], v[140:141]
	v_add_f64_e32 v[162:163], v[166:167], v[170:171]
	v_fmac_f64_e32 v[172:173], v[6:7], v[134:135]
	v_add_f64_e32 v[132:133], v[176:177], v[174:175]
	v_fma_f64 v[134:135], v[4:5], v[134:135], -v[136:137]
	v_fmac_f64_e32 v[164:165], v[156:157], v[138:139]
	v_fma_f64 v[138:139], v[154:155], v[138:139], -v[140:141]
	v_add_f64_e32 v[162:163], v[162:163], v[168:169]
	v_add_f64_e32 v[136:137], v[132:133], v[130:131]
	ds_load_b128 v[4:7], v2 offset:1392
	ds_load_b128 v[130:133], v2 offset:1408
	s_wait_loadcnt_dscnt 0x801
	v_mul_f64_e32 v[166:167], v[4:5], v[148:149]
	v_mul_f64_e32 v[148:149], v[6:7], v[148:149]
	s_wait_loadcnt_dscnt 0x700
	v_mul_f64_e32 v[140:141], v[130:131], v[160:161]
	v_mul_f64_e32 v[154:155], v[132:133], v[160:161]
	v_add_f64_e32 v[134:135], v[136:137], v[134:135]
	v_add_f64_e32 v[136:137], v[162:163], v[172:173]
	v_fmac_f64_e32 v[166:167], v[6:7], v[146:147]
	v_fma_f64 v[146:147], v[4:5], v[146:147], -v[148:149]
	v_fmac_f64_e32 v[140:141], v[132:133], v[158:159]
	v_fma_f64 v[130:131], v[130:131], v[158:159], -v[154:155]
	v_add_f64_e32 v[138:139], v[134:135], v[138:139]
	v_add_f64_e32 v[148:149], v[136:137], v[164:165]
	ds_load_b128 v[4:7], v2 offset:1424
	ds_load_b128 v[134:137], v2 offset:1440
	s_wait_loadcnt_dscnt 0x601
	v_mul_f64_e32 v[156:157], v[4:5], v[144:145]
	v_mul_f64_e32 v[144:145], v[6:7], v[144:145]
	v_add_f64_e32 v[132:133], v[138:139], v[146:147]
	v_add_f64_e32 v[138:139], v[148:149], v[166:167]
	s_wait_loadcnt_dscnt 0x500
	v_mul_f64_e32 v[146:147], v[134:135], v[10:11]
	v_mul_f64_e32 v[10:11], v[136:137], v[10:11]
	v_fmac_f64_e32 v[156:157], v[6:7], v[142:143]
	v_fma_f64 v[142:143], v[4:5], v[142:143], -v[144:145]
	v_add_f64_e32 v[144:145], v[132:133], v[130:131]
	v_add_f64_e32 v[138:139], v[138:139], v[140:141]
	ds_load_b128 v[4:7], v2 offset:1456
	ds_load_b128 v[130:133], v2 offset:1472
	v_fmac_f64_e32 v[146:147], v[136:137], v[8:9]
	v_fma_f64 v[8:9], v[134:135], v[8:9], -v[10:11]
	s_wait_loadcnt_dscnt 0x401
	v_mul_f64_e32 v[140:141], v[4:5], v[14:15]
	v_mul_f64_e32 v[14:15], v[6:7], v[14:15]
	s_wait_loadcnt_dscnt 0x300
	v_mul_f64_e32 v[136:137], v[130:131], v[18:19]
	v_mul_f64_e32 v[18:19], v[132:133], v[18:19]
	v_add_f64_e32 v[10:11], v[144:145], v[142:143]
	v_add_f64_e32 v[134:135], v[138:139], v[156:157]
	v_fmac_f64_e32 v[140:141], v[6:7], v[12:13]
	v_fma_f64 v[12:13], v[4:5], v[12:13], -v[14:15]
	v_fmac_f64_e32 v[136:137], v[132:133], v[16:17]
	v_fma_f64 v[16:17], v[130:131], v[16:17], -v[18:19]
	v_add_f64_e32 v[14:15], v[10:11], v[8:9]
	v_add_f64_e32 v[134:135], v[134:135], v[146:147]
	ds_load_b128 v[4:7], v2 offset:1488
	ds_load_b128 v[8:11], v2 offset:1504
	s_wait_loadcnt_dscnt 0x201
	v_mul_f64_e32 v[138:139], v[4:5], v[22:23]
	v_mul_f64_e32 v[22:23], v[6:7], v[22:23]
	s_wait_loadcnt_dscnt 0x100
	v_mul_f64_e32 v[18:19], v[8:9], v[124:125]
	v_mul_f64_e32 v[124:125], v[10:11], v[124:125]
	v_add_f64_e32 v[12:13], v[14:15], v[12:13]
	v_add_f64_e32 v[14:15], v[134:135], v[140:141]
	v_fmac_f64_e32 v[138:139], v[6:7], v[20:21]
	v_fma_f64 v[20:21], v[4:5], v[20:21], -v[22:23]
	ds_load_b128 v[4:7], v2 offset:1520
	v_fmac_f64_e32 v[18:19], v[10:11], v[122:123]
	v_fma_f64 v[8:9], v[8:9], v[122:123], -v[124:125]
	v_add_f64_e32 v[12:13], v[12:13], v[16:17]
	v_add_f64_e32 v[14:15], v[14:15], v[136:137]
	s_wait_loadcnt_dscnt 0x0
	v_mul_f64_e32 v[16:17], v[4:5], v[128:129]
	v_mul_f64_e32 v[22:23], v[6:7], v[128:129]
	s_delay_alu instid0(VALU_DEP_4) | instskip(NEXT) | instid1(VALU_DEP_4)
	v_add_f64_e32 v[10:11], v[12:13], v[20:21]
	v_add_f64_e32 v[12:13], v[14:15], v[138:139]
	s_delay_alu instid0(VALU_DEP_4) | instskip(NEXT) | instid1(VALU_DEP_4)
	v_fmac_f64_e32 v[16:17], v[6:7], v[126:127]
	v_fma_f64 v[4:5], v[4:5], v[126:127], -v[22:23]
	s_delay_alu instid0(VALU_DEP_4) | instskip(NEXT) | instid1(VALU_DEP_4)
	v_add_f64_e32 v[6:7], v[10:11], v[8:9]
	v_add_f64_e32 v[8:9], v[12:13], v[18:19]
	s_delay_alu instid0(VALU_DEP_2) | instskip(NEXT) | instid1(VALU_DEP_2)
	v_add_f64_e32 v[4:5], v[6:7], v[4:5]
	v_add_f64_e32 v[6:7], v[8:9], v[16:17]
	s_delay_alu instid0(VALU_DEP_2) | instskip(NEXT) | instid1(VALU_DEP_2)
	v_add_f64_e64 v[4:5], v[150:151], -v[4:5]
	v_add_f64_e64 v[6:7], v[152:153], -v[6:7]
	scratch_store_b128 off, v[4:7], off offset:256
	s_wait_xcnt 0x0
	v_cmpx_lt_u32_e32 15, v1
	s_cbranch_execz .LBB111_271
; %bb.270:
	scratch_load_b128 v[6:9], off, s49
	v_dual_mov_b32 v3, v2 :: v_dual_mov_b32 v4, v2
	v_mov_b32_e32 v5, v2
	scratch_store_b128 off, v[2:5], off offset:240
	s_wait_loadcnt 0x0
	ds_store_b128 v120, v[6:9]
.LBB111_271:
	s_wait_xcnt 0x0
	s_or_b32 exec_lo, exec_lo, s2
	s_wait_storecnt_dscnt 0x0
	s_barrier_signal -1
	s_barrier_wait -1
	s_clause 0x9
	scratch_load_b128 v[4:7], off, off offset:256
	scratch_load_b128 v[8:11], off, off offset:272
	;; [unrolled: 1-line block ×10, first 2 shown]
	ds_load_b128 v[142:145], v2 offset:1024
	ds_load_b128 v[150:153], v2 offset:1040
	s_clause 0x2
	scratch_load_b128 v[146:149], off, off offset:416
	scratch_load_b128 v[154:157], off, off offset:240
	scratch_load_b128 v[158:161], off, off offset:432
	s_mov_b32 s2, exec_lo
	s_wait_loadcnt_dscnt 0xc01
	v_mul_f64_e32 v[162:163], v[144:145], v[6:7]
	v_mul_f64_e32 v[166:167], v[142:143], v[6:7]
	s_wait_loadcnt_dscnt 0xb00
	v_mul_f64_e32 v[168:169], v[150:151], v[10:11]
	v_mul_f64_e32 v[10:11], v[152:153], v[10:11]
	s_delay_alu instid0(VALU_DEP_4) | instskip(NEXT) | instid1(VALU_DEP_4)
	v_fma_f64 v[170:171], v[142:143], v[4:5], -v[162:163]
	v_fmac_f64_e32 v[166:167], v[144:145], v[4:5]
	ds_load_b128 v[4:7], v2 offset:1056
	ds_load_b128 v[142:145], v2 offset:1072
	scratch_load_b128 v[162:165], off, off offset:448
	v_fmac_f64_e32 v[168:169], v[152:153], v[8:9]
	v_fma_f64 v[150:151], v[150:151], v[8:9], -v[10:11]
	scratch_load_b128 v[8:11], off, off offset:464
	s_wait_loadcnt_dscnt 0xc01
	v_mul_f64_e32 v[172:173], v[4:5], v[14:15]
	v_mul_f64_e32 v[14:15], v[6:7], v[14:15]
	v_add_f64_e32 v[152:153], 0, v[170:171]
	v_add_f64_e32 v[166:167], 0, v[166:167]
	s_wait_loadcnt_dscnt 0xb00
	v_mul_f64_e32 v[170:171], v[142:143], v[18:19]
	v_mul_f64_e32 v[18:19], v[144:145], v[18:19]
	v_fmac_f64_e32 v[172:173], v[6:7], v[12:13]
	v_fma_f64 v[174:175], v[4:5], v[12:13], -v[14:15]
	ds_load_b128 v[4:7], v2 offset:1088
	ds_load_b128 v[12:15], v2 offset:1104
	v_add_f64_e32 v[176:177], v[152:153], v[150:151]
	v_add_f64_e32 v[166:167], v[166:167], v[168:169]
	scratch_load_b128 v[150:153], off, off offset:480
	v_fmac_f64_e32 v[170:171], v[144:145], v[16:17]
	v_fma_f64 v[142:143], v[142:143], v[16:17], -v[18:19]
	scratch_load_b128 v[16:19], off, off offset:496
	s_wait_loadcnt_dscnt 0xc01
	v_mul_f64_e32 v[168:169], v[4:5], v[22:23]
	v_mul_f64_e32 v[22:23], v[6:7], v[22:23]
	v_add_f64_e32 v[144:145], v[176:177], v[174:175]
	v_add_f64_e32 v[166:167], v[166:167], v[172:173]
	s_wait_loadcnt_dscnt 0xb00
	v_mul_f64_e32 v[172:173], v[12:13], v[124:125]
	v_mul_f64_e32 v[124:125], v[14:15], v[124:125]
	v_fmac_f64_e32 v[168:169], v[6:7], v[20:21]
	v_fma_f64 v[174:175], v[4:5], v[20:21], -v[22:23]
	ds_load_b128 v[4:7], v2 offset:1120
	ds_load_b128 v[20:23], v2 offset:1136
	v_add_f64_e32 v[176:177], v[144:145], v[142:143]
	v_add_f64_e32 v[166:167], v[166:167], v[170:171]
	scratch_load_b128 v[142:145], off, off offset:512
	s_wait_loadcnt_dscnt 0xb01
	v_mul_f64_e32 v[170:171], v[4:5], v[128:129]
	v_mul_f64_e32 v[128:129], v[6:7], v[128:129]
	v_fmac_f64_e32 v[172:173], v[14:15], v[122:123]
	v_fma_f64 v[122:123], v[12:13], v[122:123], -v[124:125]
	scratch_load_b128 v[12:15], off, off offset:528
	v_add_f64_e32 v[124:125], v[176:177], v[174:175]
	v_add_f64_e32 v[166:167], v[166:167], v[168:169]
	s_wait_loadcnt_dscnt 0xb00
	v_mul_f64_e32 v[168:169], v[20:21], v[132:133]
	v_mul_f64_e32 v[132:133], v[22:23], v[132:133]
	v_fmac_f64_e32 v[170:171], v[6:7], v[126:127]
	v_fma_f64 v[174:175], v[4:5], v[126:127], -v[128:129]
	v_add_f64_e32 v[176:177], v[124:125], v[122:123]
	v_add_f64_e32 v[166:167], v[166:167], v[172:173]
	ds_load_b128 v[4:7], v2 offset:1152
	ds_load_b128 v[122:125], v2 offset:1168
	scratch_load_b128 v[126:129], off, off offset:544
	v_fmac_f64_e32 v[168:169], v[22:23], v[130:131]
	v_fma_f64 v[130:131], v[20:21], v[130:131], -v[132:133]
	scratch_load_b128 v[20:23], off, off offset:560
	s_wait_loadcnt_dscnt 0xc01
	v_mul_f64_e32 v[172:173], v[4:5], v[136:137]
	v_mul_f64_e32 v[136:137], v[6:7], v[136:137]
	v_add_f64_e32 v[132:133], v[176:177], v[174:175]
	v_add_f64_e32 v[166:167], v[166:167], v[170:171]
	s_wait_loadcnt_dscnt 0xb00
	v_mul_f64_e32 v[170:171], v[122:123], v[140:141]
	v_mul_f64_e32 v[140:141], v[124:125], v[140:141]
	v_fmac_f64_e32 v[172:173], v[6:7], v[134:135]
	v_fma_f64 v[174:175], v[4:5], v[134:135], -v[136:137]
	v_add_f64_e32 v[176:177], v[132:133], v[130:131]
	v_add_f64_e32 v[166:167], v[166:167], v[168:169]
	ds_load_b128 v[4:7], v2 offset:1184
	ds_load_b128 v[130:133], v2 offset:1200
	scratch_load_b128 v[134:137], off, off offset:576
	v_fmac_f64_e32 v[170:171], v[124:125], v[138:139]
	v_fma_f64 v[138:139], v[122:123], v[138:139], -v[140:141]
	scratch_load_b128 v[122:125], off, off offset:592
	s_wait_loadcnt_dscnt 0xc01
	v_mul_f64_e32 v[168:169], v[4:5], v[148:149]
	v_mul_f64_e32 v[148:149], v[6:7], v[148:149]
	;; [unrolled: 18-line block ×5, first 2 shown]
	v_add_f64_e32 v[160:161], v[176:177], v[174:175]
	v_add_f64_e32 v[166:167], v[166:167], v[172:173]
	s_wait_loadcnt_dscnt 0xa00
	v_mul_f64_e32 v[172:173], v[138:139], v[14:15]
	v_mul_f64_e32 v[14:15], v[140:141], v[14:15]
	v_fmac_f64_e32 v[168:169], v[6:7], v[142:143]
	v_fma_f64 v[174:175], v[4:5], v[142:143], -v[144:145]
	ds_load_b128 v[4:7], v2 offset:1312
	ds_load_b128 v[142:145], v2 offset:1328
	v_add_f64_e32 v[176:177], v[160:161], v[158:159]
	v_add_f64_e32 v[166:167], v[166:167], v[170:171]
	scratch_load_b128 v[158:161], off, off offset:704
	v_fmac_f64_e32 v[172:173], v[140:141], v[12:13]
	v_fma_f64 v[138:139], v[138:139], v[12:13], -v[14:15]
	scratch_load_b128 v[12:15], off, off offset:720
	s_wait_loadcnt_dscnt 0xb01
	v_mul_f64_e32 v[170:171], v[4:5], v[128:129]
	v_mul_f64_e32 v[128:129], v[6:7], v[128:129]
	v_add_f64_e32 v[140:141], v[176:177], v[174:175]
	v_add_f64_e32 v[166:167], v[166:167], v[168:169]
	s_wait_loadcnt_dscnt 0xa00
	v_mul_f64_e32 v[168:169], v[142:143], v[22:23]
	v_mul_f64_e32 v[22:23], v[144:145], v[22:23]
	v_fmac_f64_e32 v[170:171], v[6:7], v[126:127]
	v_fma_f64 v[174:175], v[4:5], v[126:127], -v[128:129]
	ds_load_b128 v[4:7], v2 offset:1344
	ds_load_b128 v[126:129], v2 offset:1360
	v_add_f64_e32 v[176:177], v[140:141], v[138:139]
	v_add_f64_e32 v[166:167], v[166:167], v[172:173]
	scratch_load_b128 v[138:141], off, off offset:736
	s_wait_loadcnt_dscnt 0xa01
	v_mul_f64_e32 v[172:173], v[4:5], v[136:137]
	v_mul_f64_e32 v[136:137], v[6:7], v[136:137]
	v_fmac_f64_e32 v[168:169], v[144:145], v[20:21]
	v_fma_f64 v[142:143], v[142:143], v[20:21], -v[22:23]
	scratch_load_b128 v[20:23], off, off offset:752
	v_add_f64_e32 v[144:145], v[176:177], v[174:175]
	v_add_f64_e32 v[166:167], v[166:167], v[170:171]
	s_wait_loadcnt_dscnt 0xa00
	v_mul_f64_e32 v[170:171], v[126:127], v[124:125]
	v_mul_f64_e32 v[124:125], v[128:129], v[124:125]
	v_fmac_f64_e32 v[172:173], v[6:7], v[134:135]
	v_fma_f64 v[174:175], v[4:5], v[134:135], -v[136:137]
	ds_load_b128 v[4:7], v2 offset:1376
	ds_load_b128 v[134:137], v2 offset:1392
	v_add_f64_e32 v[142:143], v[144:145], v[142:143]
	v_add_f64_e32 v[144:145], v[166:167], v[168:169]
	v_fmac_f64_e32 v[170:171], v[128:129], v[122:123]
	s_wait_loadcnt_dscnt 0x901
	v_mul_f64_e32 v[166:167], v[4:5], v[148:149]
	v_mul_f64_e32 v[148:149], v[6:7], v[148:149]
	v_fma_f64 v[122:123], v[126:127], v[122:123], -v[124:125]
	s_wait_loadcnt_dscnt 0x800
	v_mul_f64_e32 v[128:129], v[134:135], v[132:133]
	v_mul_f64_e32 v[132:133], v[136:137], v[132:133]
	v_add_f64_e32 v[124:125], v[142:143], v[174:175]
	v_add_f64_e32 v[126:127], v[144:145], v[172:173]
	v_fmac_f64_e32 v[166:167], v[6:7], v[146:147]
	v_fma_f64 v[142:143], v[4:5], v[146:147], -v[148:149]
	v_fmac_f64_e32 v[128:129], v[136:137], v[130:131]
	v_fma_f64 v[130:131], v[134:135], v[130:131], -v[132:133]
	v_add_f64_e32 v[144:145], v[124:125], v[122:123]
	v_add_f64_e32 v[126:127], v[126:127], v[170:171]
	ds_load_b128 v[4:7], v2 offset:1408
	ds_load_b128 v[122:125], v2 offset:1424
	s_wait_loadcnt_dscnt 0x701
	v_mul_f64_e32 v[146:147], v[4:5], v[164:165]
	v_mul_f64_e32 v[148:149], v[6:7], v[164:165]
	s_wait_loadcnt_dscnt 0x600
	v_mul_f64_e32 v[134:135], v[122:123], v[10:11]
	v_mul_f64_e32 v[10:11], v[124:125], v[10:11]
	v_add_f64_e32 v[132:133], v[144:145], v[142:143]
	v_add_f64_e32 v[126:127], v[126:127], v[166:167]
	v_fmac_f64_e32 v[146:147], v[6:7], v[162:163]
	v_fma_f64 v[136:137], v[4:5], v[162:163], -v[148:149]
	v_fmac_f64_e32 v[134:135], v[124:125], v[8:9]
	v_fma_f64 v[8:9], v[122:123], v[8:9], -v[10:11]
	v_add_f64_e32 v[130:131], v[132:133], v[130:131]
	v_add_f64_e32 v[132:133], v[126:127], v[128:129]
	ds_load_b128 v[4:7], v2 offset:1440
	ds_load_b128 v[126:129], v2 offset:1456
	s_wait_loadcnt_dscnt 0x501
	v_mul_f64_e32 v[142:143], v[4:5], v[152:153]
	v_mul_f64_e32 v[144:145], v[6:7], v[152:153]
	;; [unrolled: 16-line block ×4, first 2 shown]
	v_add_f64_e32 v[10:11], v[18:19], v[130:131]
	v_add_f64_e32 v[12:13], v[122:123], v[134:135]
	s_wait_loadcnt_dscnt 0x0
	v_mul_f64_e32 v[18:19], v[14:15], v[22:23]
	v_mul_f64_e32 v[22:23], v[16:17], v[22:23]
	v_fmac_f64_e32 v[2:3], v[6:7], v[138:139]
	v_fma_f64 v[4:5], v[4:5], v[138:139], -v[124:125]
	v_add_f64_e32 v[6:7], v[10:11], v[8:9]
	v_add_f64_e32 v[8:9], v[12:13], v[126:127]
	v_fmac_f64_e32 v[18:19], v[16:17], v[20:21]
	v_fma_f64 v[10:11], v[14:15], v[20:21], -v[22:23]
	s_delay_alu instid0(VALU_DEP_4) | instskip(NEXT) | instid1(VALU_DEP_4)
	v_add_f64_e32 v[4:5], v[6:7], v[4:5]
	v_add_f64_e32 v[2:3], v[8:9], v[2:3]
	s_delay_alu instid0(VALU_DEP_2) | instskip(NEXT) | instid1(VALU_DEP_2)
	v_add_f64_e32 v[4:5], v[4:5], v[10:11]
	v_add_f64_e32 v[6:7], v[2:3], v[18:19]
	s_delay_alu instid0(VALU_DEP_2) | instskip(NEXT) | instid1(VALU_DEP_2)
	v_add_f64_e64 v[2:3], v[154:155], -v[4:5]
	v_add_f64_e64 v[4:5], v[156:157], -v[6:7]
	scratch_store_b128 off, v[2:5], off offset:240
	s_wait_xcnt 0x0
	v_cmpx_lt_u32_e32 14, v1
	s_cbranch_execz .LBB111_273
; %bb.272:
	scratch_load_b128 v[2:5], off, s50
	v_mov_b32_e32 v6, 0
	s_delay_alu instid0(VALU_DEP_1)
	v_dual_mov_b32 v7, v6 :: v_dual_mov_b32 v8, v6
	v_mov_b32_e32 v9, v6
	scratch_store_b128 off, v[6:9], off offset:224
	s_wait_loadcnt 0x0
	ds_store_b128 v120, v[2:5]
.LBB111_273:
	s_wait_xcnt 0x0
	s_or_b32 exec_lo, exec_lo, s2
	s_wait_storecnt_dscnt 0x0
	s_barrier_signal -1
	s_barrier_wait -1
	s_clause 0x9
	scratch_load_b128 v[4:7], off, off offset:240
	scratch_load_b128 v[8:11], off, off offset:256
	;; [unrolled: 1-line block ×10, first 2 shown]
	v_mov_b32_e32 v2, 0
	s_mov_b32 s2, exec_lo
	ds_load_b128 v[142:145], v2 offset:1008
	s_clause 0x2
	scratch_load_b128 v[146:149], off, off offset:400
	scratch_load_b128 v[150:153], off, off offset:224
	;; [unrolled: 1-line block ×3, first 2 shown]
	s_wait_loadcnt_dscnt 0xc00
	v_mul_f64_e32 v[162:163], v[144:145], v[6:7]
	v_mul_f64_e32 v[166:167], v[142:143], v[6:7]
	ds_load_b128 v[154:157], v2 offset:1024
	v_fma_f64 v[170:171], v[142:143], v[4:5], -v[162:163]
	v_fmac_f64_e32 v[166:167], v[144:145], v[4:5]
	ds_load_b128 v[4:7], v2 offset:1040
	s_wait_loadcnt_dscnt 0xb01
	v_mul_f64_e32 v[168:169], v[154:155], v[10:11]
	v_mul_f64_e32 v[10:11], v[156:157], v[10:11]
	scratch_load_b128 v[142:145], off, off offset:432
	ds_load_b128 v[162:165], v2 offset:1056
	s_wait_loadcnt_dscnt 0xb01
	v_mul_f64_e32 v[172:173], v[4:5], v[14:15]
	v_mul_f64_e32 v[14:15], v[6:7], v[14:15]
	v_add_f64_e32 v[166:167], 0, v[166:167]
	v_fmac_f64_e32 v[168:169], v[156:157], v[8:9]
	v_fma_f64 v[154:155], v[154:155], v[8:9], -v[10:11]
	v_add_f64_e32 v[156:157], 0, v[170:171]
	scratch_load_b128 v[8:11], off, off offset:448
	v_fmac_f64_e32 v[172:173], v[6:7], v[12:13]
	v_fma_f64 v[174:175], v[4:5], v[12:13], -v[14:15]
	ds_load_b128 v[4:7], v2 offset:1072
	s_wait_loadcnt_dscnt 0xb01
	v_mul_f64_e32 v[170:171], v[162:163], v[18:19]
	v_mul_f64_e32 v[18:19], v[164:165], v[18:19]
	scratch_load_b128 v[12:15], off, off offset:464
	v_add_f64_e32 v[166:167], v[166:167], v[168:169]
	v_add_f64_e32 v[176:177], v[156:157], v[154:155]
	ds_load_b128 v[154:157], v2 offset:1088
	s_wait_loadcnt_dscnt 0xb01
	v_mul_f64_e32 v[168:169], v[4:5], v[22:23]
	v_mul_f64_e32 v[22:23], v[6:7], v[22:23]
	v_fmac_f64_e32 v[170:171], v[164:165], v[16:17]
	v_fma_f64 v[162:163], v[162:163], v[16:17], -v[18:19]
	scratch_load_b128 v[16:19], off, off offset:480
	v_add_f64_e32 v[166:167], v[166:167], v[172:173]
	v_add_f64_e32 v[164:165], v[176:177], v[174:175]
	v_fmac_f64_e32 v[168:169], v[6:7], v[20:21]
	v_fma_f64 v[174:175], v[4:5], v[20:21], -v[22:23]
	ds_load_b128 v[4:7], v2 offset:1104
	s_wait_loadcnt_dscnt 0xb01
	v_mul_f64_e32 v[172:173], v[154:155], v[124:125]
	v_mul_f64_e32 v[124:125], v[156:157], v[124:125]
	scratch_load_b128 v[20:23], off, off offset:496
	v_add_f64_e32 v[166:167], v[166:167], v[170:171]
	s_wait_loadcnt_dscnt 0xb00
	v_mul_f64_e32 v[170:171], v[4:5], v[128:129]
	v_add_f64_e32 v[176:177], v[164:165], v[162:163]
	v_mul_f64_e32 v[128:129], v[6:7], v[128:129]
	ds_load_b128 v[162:165], v2 offset:1120
	v_fmac_f64_e32 v[172:173], v[156:157], v[122:123]
	v_fma_f64 v[154:155], v[154:155], v[122:123], -v[124:125]
	scratch_load_b128 v[122:125], off, off offset:512
	v_add_f64_e32 v[166:167], v[166:167], v[168:169]
	v_fmac_f64_e32 v[170:171], v[6:7], v[126:127]
	v_add_f64_e32 v[156:157], v[176:177], v[174:175]
	v_fma_f64 v[174:175], v[4:5], v[126:127], -v[128:129]
	ds_load_b128 v[4:7], v2 offset:1136
	s_wait_loadcnt_dscnt 0xb01
	v_mul_f64_e32 v[168:169], v[162:163], v[132:133]
	v_mul_f64_e32 v[132:133], v[164:165], v[132:133]
	scratch_load_b128 v[126:129], off, off offset:528
	v_add_f64_e32 v[166:167], v[166:167], v[172:173]
	s_wait_loadcnt_dscnt 0xb00
	v_mul_f64_e32 v[172:173], v[4:5], v[136:137]
	v_add_f64_e32 v[176:177], v[156:157], v[154:155]
	v_mul_f64_e32 v[136:137], v[6:7], v[136:137]
	ds_load_b128 v[154:157], v2 offset:1152
	v_fmac_f64_e32 v[168:169], v[164:165], v[130:131]
	v_fma_f64 v[162:163], v[162:163], v[130:131], -v[132:133]
	scratch_load_b128 v[130:133], off, off offset:544
	v_add_f64_e32 v[166:167], v[166:167], v[170:171]
	v_fmac_f64_e32 v[172:173], v[6:7], v[134:135]
	v_add_f64_e32 v[164:165], v[176:177], v[174:175]
	;; [unrolled: 18-line block ×3, first 2 shown]
	v_fma_f64 v[174:175], v[4:5], v[146:147], -v[148:149]
	ds_load_b128 v[4:7], v2 offset:1200
	s_wait_loadcnt_dscnt 0xa01
	v_mul_f64_e32 v[172:173], v[162:163], v[160:161]
	v_mul_f64_e32 v[160:161], v[164:165], v[160:161]
	scratch_load_b128 v[146:149], off, off offset:592
	v_add_f64_e32 v[166:167], v[166:167], v[170:171]
	v_add_f64_e32 v[176:177], v[156:157], v[154:155]
	s_wait_loadcnt_dscnt 0xa00
	v_mul_f64_e32 v[170:171], v[4:5], v[144:145]
	v_mul_f64_e32 v[144:145], v[6:7], v[144:145]
	v_fmac_f64_e32 v[172:173], v[164:165], v[158:159]
	v_fma_f64 v[162:163], v[162:163], v[158:159], -v[160:161]
	ds_load_b128 v[154:157], v2 offset:1216
	scratch_load_b128 v[158:161], off, off offset:608
	v_add_f64_e32 v[166:167], v[166:167], v[168:169]
	v_add_f64_e32 v[164:165], v[176:177], v[174:175]
	v_fmac_f64_e32 v[170:171], v[6:7], v[142:143]
	v_fma_f64 v[174:175], v[4:5], v[142:143], -v[144:145]
	ds_load_b128 v[4:7], v2 offset:1232
	s_wait_loadcnt_dscnt 0xa01
	v_mul_f64_e32 v[168:169], v[154:155], v[10:11]
	v_mul_f64_e32 v[10:11], v[156:157], v[10:11]
	scratch_load_b128 v[142:145], off, off offset:624
	v_add_f64_e32 v[166:167], v[166:167], v[172:173]
	s_wait_loadcnt_dscnt 0xa00
	v_mul_f64_e32 v[172:173], v[4:5], v[14:15]
	v_add_f64_e32 v[176:177], v[164:165], v[162:163]
	v_mul_f64_e32 v[14:15], v[6:7], v[14:15]
	ds_load_b128 v[162:165], v2 offset:1248
	v_fmac_f64_e32 v[168:169], v[156:157], v[8:9]
	v_fma_f64 v[154:155], v[154:155], v[8:9], -v[10:11]
	scratch_load_b128 v[8:11], off, off offset:640
	v_add_f64_e32 v[166:167], v[166:167], v[170:171]
	v_fmac_f64_e32 v[172:173], v[6:7], v[12:13]
	v_add_f64_e32 v[156:157], v[176:177], v[174:175]
	v_fma_f64 v[174:175], v[4:5], v[12:13], -v[14:15]
	ds_load_b128 v[4:7], v2 offset:1264
	s_wait_loadcnt_dscnt 0xa01
	v_mul_f64_e32 v[170:171], v[162:163], v[18:19]
	v_mul_f64_e32 v[18:19], v[164:165], v[18:19]
	scratch_load_b128 v[12:15], off, off offset:656
	v_add_f64_e32 v[166:167], v[166:167], v[168:169]
	s_wait_loadcnt_dscnt 0xa00
	v_mul_f64_e32 v[168:169], v[4:5], v[22:23]
	v_add_f64_e32 v[176:177], v[156:157], v[154:155]
	v_mul_f64_e32 v[22:23], v[6:7], v[22:23]
	ds_load_b128 v[154:157], v2 offset:1280
	v_fmac_f64_e32 v[170:171], v[164:165], v[16:17]
	v_fma_f64 v[162:163], v[162:163], v[16:17], -v[18:19]
	scratch_load_b128 v[16:19], off, off offset:672
	v_add_f64_e32 v[166:167], v[166:167], v[172:173]
	v_fmac_f64_e32 v[168:169], v[6:7], v[20:21]
	v_add_f64_e32 v[164:165], v[176:177], v[174:175]
	v_fma_f64 v[174:175], v[4:5], v[20:21], -v[22:23]
	ds_load_b128 v[4:7], v2 offset:1296
	s_wait_loadcnt_dscnt 0xa01
	v_mul_f64_e32 v[172:173], v[154:155], v[124:125]
	v_mul_f64_e32 v[124:125], v[156:157], v[124:125]
	scratch_load_b128 v[20:23], off, off offset:688
	v_add_f64_e32 v[166:167], v[166:167], v[170:171]
	s_wait_loadcnt_dscnt 0xa00
	v_mul_f64_e32 v[170:171], v[4:5], v[128:129]
	v_add_f64_e32 v[176:177], v[164:165], v[162:163]
	v_mul_f64_e32 v[128:129], v[6:7], v[128:129]
	ds_load_b128 v[162:165], v2 offset:1312
	v_fmac_f64_e32 v[172:173], v[156:157], v[122:123]
	v_fma_f64 v[154:155], v[154:155], v[122:123], -v[124:125]
	scratch_load_b128 v[122:125], off, off offset:704
	v_add_f64_e32 v[166:167], v[166:167], v[168:169]
	v_fmac_f64_e32 v[170:171], v[6:7], v[126:127]
	v_add_f64_e32 v[156:157], v[176:177], v[174:175]
	v_fma_f64 v[174:175], v[4:5], v[126:127], -v[128:129]
	ds_load_b128 v[4:7], v2 offset:1328
	s_wait_loadcnt_dscnt 0xa01
	v_mul_f64_e32 v[168:169], v[162:163], v[132:133]
	v_mul_f64_e32 v[132:133], v[164:165], v[132:133]
	scratch_load_b128 v[126:129], off, off offset:720
	v_add_f64_e32 v[166:167], v[166:167], v[172:173]
	s_wait_loadcnt_dscnt 0xa00
	v_mul_f64_e32 v[172:173], v[4:5], v[136:137]
	v_add_f64_e32 v[176:177], v[156:157], v[154:155]
	v_mul_f64_e32 v[136:137], v[6:7], v[136:137]
	ds_load_b128 v[154:157], v2 offset:1344
	v_fmac_f64_e32 v[168:169], v[164:165], v[130:131]
	v_fma_f64 v[162:163], v[162:163], v[130:131], -v[132:133]
	scratch_load_b128 v[130:133], off, off offset:736
	v_add_f64_e32 v[166:167], v[166:167], v[170:171]
	v_fmac_f64_e32 v[172:173], v[6:7], v[134:135]
	v_add_f64_e32 v[164:165], v[176:177], v[174:175]
	v_fma_f64 v[174:175], v[4:5], v[134:135], -v[136:137]
	ds_load_b128 v[4:7], v2 offset:1360
	s_wait_loadcnt_dscnt 0xa01
	v_mul_f64_e32 v[170:171], v[154:155], v[140:141]
	v_mul_f64_e32 v[140:141], v[156:157], v[140:141]
	scratch_load_b128 v[134:137], off, off offset:752
	v_add_f64_e32 v[166:167], v[166:167], v[168:169]
	s_wait_loadcnt_dscnt 0xa00
	v_mul_f64_e32 v[168:169], v[4:5], v[148:149]
	v_add_f64_e32 v[176:177], v[164:165], v[162:163]
	v_mul_f64_e32 v[148:149], v[6:7], v[148:149]
	ds_load_b128 v[162:165], v2 offset:1376
	v_fmac_f64_e32 v[170:171], v[156:157], v[138:139]
	v_fma_f64 v[138:139], v[154:155], v[138:139], -v[140:141]
	s_wait_loadcnt_dscnt 0x900
	v_mul_f64_e32 v[156:157], v[162:163], v[160:161]
	v_mul_f64_e32 v[160:161], v[164:165], v[160:161]
	v_add_f64_e32 v[154:155], v[166:167], v[172:173]
	v_fmac_f64_e32 v[168:169], v[6:7], v[146:147]
	v_add_f64_e32 v[140:141], v[176:177], v[174:175]
	v_fma_f64 v[146:147], v[4:5], v[146:147], -v[148:149]
	v_fmac_f64_e32 v[156:157], v[164:165], v[158:159]
	v_fma_f64 v[158:159], v[162:163], v[158:159], -v[160:161]
	v_add_f64_e32 v[154:155], v[154:155], v[170:171]
	v_add_f64_e32 v[148:149], v[140:141], v[138:139]
	ds_load_b128 v[4:7], v2 offset:1392
	ds_load_b128 v[138:141], v2 offset:1408
	s_wait_loadcnt_dscnt 0x801
	v_mul_f64_e32 v[166:167], v[4:5], v[144:145]
	v_mul_f64_e32 v[144:145], v[6:7], v[144:145]
	v_add_f64_e32 v[146:147], v[148:149], v[146:147]
	v_add_f64_e32 v[148:149], v[154:155], v[168:169]
	s_wait_loadcnt_dscnt 0x700
	v_mul_f64_e32 v[154:155], v[138:139], v[10:11]
	v_mul_f64_e32 v[10:11], v[140:141], v[10:11]
	v_fmac_f64_e32 v[166:167], v[6:7], v[142:143]
	v_fma_f64 v[160:161], v[4:5], v[142:143], -v[144:145]
	ds_load_b128 v[4:7], v2 offset:1424
	ds_load_b128 v[142:145], v2 offset:1440
	v_add_f64_e32 v[146:147], v[146:147], v[158:159]
	v_add_f64_e32 v[148:149], v[148:149], v[156:157]
	v_fmac_f64_e32 v[154:155], v[140:141], v[8:9]
	v_fma_f64 v[8:9], v[138:139], v[8:9], -v[10:11]
	s_wait_loadcnt_dscnt 0x601
	v_mul_f64_e32 v[156:157], v[4:5], v[14:15]
	v_mul_f64_e32 v[14:15], v[6:7], v[14:15]
	s_wait_loadcnt_dscnt 0x500
	v_mul_f64_e32 v[140:141], v[142:143], v[18:19]
	v_mul_f64_e32 v[18:19], v[144:145], v[18:19]
	v_add_f64_e32 v[10:11], v[146:147], v[160:161]
	v_add_f64_e32 v[138:139], v[148:149], v[166:167]
	v_fmac_f64_e32 v[156:157], v[6:7], v[12:13]
	v_fma_f64 v[12:13], v[4:5], v[12:13], -v[14:15]
	v_fmac_f64_e32 v[140:141], v[144:145], v[16:17]
	v_fma_f64 v[16:17], v[142:143], v[16:17], -v[18:19]
	v_add_f64_e32 v[14:15], v[10:11], v[8:9]
	v_add_f64_e32 v[138:139], v[138:139], v[154:155]
	ds_load_b128 v[4:7], v2 offset:1456
	ds_load_b128 v[8:11], v2 offset:1472
	s_wait_loadcnt_dscnt 0x401
	v_mul_f64_e32 v[146:147], v[4:5], v[22:23]
	v_mul_f64_e32 v[22:23], v[6:7], v[22:23]
	s_wait_loadcnt_dscnt 0x300
	v_mul_f64_e32 v[18:19], v[8:9], v[124:125]
	v_mul_f64_e32 v[124:125], v[10:11], v[124:125]
	v_add_f64_e32 v[12:13], v[14:15], v[12:13]
	v_add_f64_e32 v[14:15], v[138:139], v[156:157]
	v_fmac_f64_e32 v[146:147], v[6:7], v[20:21]
	v_fma_f64 v[20:21], v[4:5], v[20:21], -v[22:23]
	v_fmac_f64_e32 v[18:19], v[10:11], v[122:123]
	v_fma_f64 v[8:9], v[8:9], v[122:123], -v[124:125]
	v_add_f64_e32 v[16:17], v[12:13], v[16:17]
	v_add_f64_e32 v[22:23], v[14:15], v[140:141]
	ds_load_b128 v[4:7], v2 offset:1488
	ds_load_b128 v[12:15], v2 offset:1504
	s_wait_loadcnt_dscnt 0x201
	v_mul_f64_e32 v[138:139], v[4:5], v[128:129]
	v_mul_f64_e32 v[128:129], v[6:7], v[128:129]
	v_add_f64_e32 v[10:11], v[16:17], v[20:21]
	v_add_f64_e32 v[16:17], v[22:23], v[146:147]
	s_wait_loadcnt_dscnt 0x100
	v_mul_f64_e32 v[20:21], v[12:13], v[132:133]
	v_mul_f64_e32 v[22:23], v[14:15], v[132:133]
	v_fmac_f64_e32 v[138:139], v[6:7], v[126:127]
	v_fma_f64 v[122:123], v[4:5], v[126:127], -v[128:129]
	ds_load_b128 v[4:7], v2 offset:1520
	v_add_f64_e32 v[8:9], v[10:11], v[8:9]
	v_add_f64_e32 v[10:11], v[16:17], v[18:19]
	v_fmac_f64_e32 v[20:21], v[14:15], v[130:131]
	v_fma_f64 v[12:13], v[12:13], v[130:131], -v[22:23]
	s_wait_loadcnt_dscnt 0x0
	v_mul_f64_e32 v[16:17], v[4:5], v[136:137]
	v_mul_f64_e32 v[18:19], v[6:7], v[136:137]
	v_add_f64_e32 v[8:9], v[8:9], v[122:123]
	v_add_f64_e32 v[10:11], v[10:11], v[138:139]
	s_delay_alu instid0(VALU_DEP_4) | instskip(NEXT) | instid1(VALU_DEP_4)
	v_fmac_f64_e32 v[16:17], v[6:7], v[134:135]
	v_fma_f64 v[4:5], v[4:5], v[134:135], -v[18:19]
	s_delay_alu instid0(VALU_DEP_4) | instskip(NEXT) | instid1(VALU_DEP_4)
	v_add_f64_e32 v[6:7], v[8:9], v[12:13]
	v_add_f64_e32 v[8:9], v[10:11], v[20:21]
	s_delay_alu instid0(VALU_DEP_2) | instskip(NEXT) | instid1(VALU_DEP_2)
	v_add_f64_e32 v[4:5], v[6:7], v[4:5]
	v_add_f64_e32 v[6:7], v[8:9], v[16:17]
	s_delay_alu instid0(VALU_DEP_2) | instskip(NEXT) | instid1(VALU_DEP_2)
	v_add_f64_e64 v[4:5], v[150:151], -v[4:5]
	v_add_f64_e64 v[6:7], v[152:153], -v[6:7]
	scratch_store_b128 off, v[4:7], off offset:224
	s_wait_xcnt 0x0
	v_cmpx_lt_u32_e32 13, v1
	s_cbranch_execz .LBB111_275
; %bb.274:
	scratch_load_b128 v[6:9], off, s51
	v_dual_mov_b32 v3, v2 :: v_dual_mov_b32 v4, v2
	v_mov_b32_e32 v5, v2
	scratch_store_b128 off, v[2:5], off offset:208
	s_wait_loadcnt 0x0
	ds_store_b128 v120, v[6:9]
.LBB111_275:
	s_wait_xcnt 0x0
	s_or_b32 exec_lo, exec_lo, s2
	s_wait_storecnt_dscnt 0x0
	s_barrier_signal -1
	s_barrier_wait -1
	s_clause 0x9
	scratch_load_b128 v[4:7], off, off offset:224
	scratch_load_b128 v[8:11], off, off offset:240
	;; [unrolled: 1-line block ×10, first 2 shown]
	ds_load_b128 v[142:145], v2 offset:992
	ds_load_b128 v[150:153], v2 offset:1008
	s_clause 0x2
	scratch_load_b128 v[146:149], off, off offset:384
	scratch_load_b128 v[154:157], off, off offset:208
	;; [unrolled: 1-line block ×3, first 2 shown]
	s_mov_b32 s2, exec_lo
	s_wait_loadcnt_dscnt 0xc01
	v_mul_f64_e32 v[162:163], v[144:145], v[6:7]
	v_mul_f64_e32 v[166:167], v[142:143], v[6:7]
	s_wait_loadcnt_dscnt 0xb00
	v_mul_f64_e32 v[168:169], v[150:151], v[10:11]
	v_mul_f64_e32 v[10:11], v[152:153], v[10:11]
	s_delay_alu instid0(VALU_DEP_4) | instskip(NEXT) | instid1(VALU_DEP_4)
	v_fma_f64 v[170:171], v[142:143], v[4:5], -v[162:163]
	v_fmac_f64_e32 v[166:167], v[144:145], v[4:5]
	ds_load_b128 v[4:7], v2 offset:1024
	ds_load_b128 v[142:145], v2 offset:1040
	scratch_load_b128 v[162:165], off, off offset:416
	v_fmac_f64_e32 v[168:169], v[152:153], v[8:9]
	v_fma_f64 v[150:151], v[150:151], v[8:9], -v[10:11]
	scratch_load_b128 v[8:11], off, off offset:432
	s_wait_loadcnt_dscnt 0xc01
	v_mul_f64_e32 v[172:173], v[4:5], v[14:15]
	v_mul_f64_e32 v[14:15], v[6:7], v[14:15]
	v_add_f64_e32 v[152:153], 0, v[170:171]
	v_add_f64_e32 v[166:167], 0, v[166:167]
	s_wait_loadcnt_dscnt 0xb00
	v_mul_f64_e32 v[170:171], v[142:143], v[18:19]
	v_mul_f64_e32 v[18:19], v[144:145], v[18:19]
	v_fmac_f64_e32 v[172:173], v[6:7], v[12:13]
	v_fma_f64 v[174:175], v[4:5], v[12:13], -v[14:15]
	ds_load_b128 v[4:7], v2 offset:1056
	ds_load_b128 v[12:15], v2 offset:1072
	v_add_f64_e32 v[176:177], v[152:153], v[150:151]
	v_add_f64_e32 v[166:167], v[166:167], v[168:169]
	scratch_load_b128 v[150:153], off, off offset:448
	v_fmac_f64_e32 v[170:171], v[144:145], v[16:17]
	v_fma_f64 v[142:143], v[142:143], v[16:17], -v[18:19]
	scratch_load_b128 v[16:19], off, off offset:464
	s_wait_loadcnt_dscnt 0xc01
	v_mul_f64_e32 v[168:169], v[4:5], v[22:23]
	v_mul_f64_e32 v[22:23], v[6:7], v[22:23]
	v_add_f64_e32 v[144:145], v[176:177], v[174:175]
	v_add_f64_e32 v[166:167], v[166:167], v[172:173]
	s_wait_loadcnt_dscnt 0xb00
	v_mul_f64_e32 v[172:173], v[12:13], v[124:125]
	v_mul_f64_e32 v[124:125], v[14:15], v[124:125]
	v_fmac_f64_e32 v[168:169], v[6:7], v[20:21]
	v_fma_f64 v[174:175], v[4:5], v[20:21], -v[22:23]
	ds_load_b128 v[4:7], v2 offset:1088
	ds_load_b128 v[20:23], v2 offset:1104
	v_add_f64_e32 v[176:177], v[144:145], v[142:143]
	v_add_f64_e32 v[166:167], v[166:167], v[170:171]
	scratch_load_b128 v[142:145], off, off offset:480
	s_wait_loadcnt_dscnt 0xb01
	v_mul_f64_e32 v[170:171], v[4:5], v[128:129]
	v_mul_f64_e32 v[128:129], v[6:7], v[128:129]
	v_fmac_f64_e32 v[172:173], v[14:15], v[122:123]
	v_fma_f64 v[122:123], v[12:13], v[122:123], -v[124:125]
	scratch_load_b128 v[12:15], off, off offset:496
	v_add_f64_e32 v[124:125], v[176:177], v[174:175]
	v_add_f64_e32 v[166:167], v[166:167], v[168:169]
	s_wait_loadcnt_dscnt 0xb00
	v_mul_f64_e32 v[168:169], v[20:21], v[132:133]
	v_mul_f64_e32 v[132:133], v[22:23], v[132:133]
	v_fmac_f64_e32 v[170:171], v[6:7], v[126:127]
	v_fma_f64 v[174:175], v[4:5], v[126:127], -v[128:129]
	v_add_f64_e32 v[176:177], v[124:125], v[122:123]
	v_add_f64_e32 v[166:167], v[166:167], v[172:173]
	ds_load_b128 v[4:7], v2 offset:1120
	ds_load_b128 v[122:125], v2 offset:1136
	scratch_load_b128 v[126:129], off, off offset:512
	v_fmac_f64_e32 v[168:169], v[22:23], v[130:131]
	v_fma_f64 v[130:131], v[20:21], v[130:131], -v[132:133]
	scratch_load_b128 v[20:23], off, off offset:528
	s_wait_loadcnt_dscnt 0xc01
	v_mul_f64_e32 v[172:173], v[4:5], v[136:137]
	v_mul_f64_e32 v[136:137], v[6:7], v[136:137]
	v_add_f64_e32 v[132:133], v[176:177], v[174:175]
	v_add_f64_e32 v[166:167], v[166:167], v[170:171]
	s_wait_loadcnt_dscnt 0xb00
	v_mul_f64_e32 v[170:171], v[122:123], v[140:141]
	v_mul_f64_e32 v[140:141], v[124:125], v[140:141]
	v_fmac_f64_e32 v[172:173], v[6:7], v[134:135]
	v_fma_f64 v[174:175], v[4:5], v[134:135], -v[136:137]
	v_add_f64_e32 v[176:177], v[132:133], v[130:131]
	v_add_f64_e32 v[166:167], v[166:167], v[168:169]
	ds_load_b128 v[4:7], v2 offset:1152
	ds_load_b128 v[130:133], v2 offset:1168
	scratch_load_b128 v[134:137], off, off offset:544
	v_fmac_f64_e32 v[170:171], v[124:125], v[138:139]
	v_fma_f64 v[138:139], v[122:123], v[138:139], -v[140:141]
	scratch_load_b128 v[122:125], off, off offset:560
	s_wait_loadcnt_dscnt 0xc01
	v_mul_f64_e32 v[168:169], v[4:5], v[148:149]
	v_mul_f64_e32 v[148:149], v[6:7], v[148:149]
	;; [unrolled: 18-line block ×5, first 2 shown]
	v_add_f64_e32 v[160:161], v[176:177], v[174:175]
	v_add_f64_e32 v[166:167], v[166:167], v[172:173]
	s_wait_loadcnt_dscnt 0xa00
	v_mul_f64_e32 v[172:173], v[138:139], v[14:15]
	v_mul_f64_e32 v[14:15], v[140:141], v[14:15]
	v_fmac_f64_e32 v[168:169], v[6:7], v[142:143]
	v_fma_f64 v[174:175], v[4:5], v[142:143], -v[144:145]
	ds_load_b128 v[4:7], v2 offset:1280
	ds_load_b128 v[142:145], v2 offset:1296
	v_add_f64_e32 v[176:177], v[160:161], v[158:159]
	v_add_f64_e32 v[166:167], v[166:167], v[170:171]
	scratch_load_b128 v[158:161], off, off offset:672
	v_fmac_f64_e32 v[172:173], v[140:141], v[12:13]
	v_fma_f64 v[138:139], v[138:139], v[12:13], -v[14:15]
	scratch_load_b128 v[12:15], off, off offset:688
	s_wait_loadcnt_dscnt 0xb01
	v_mul_f64_e32 v[170:171], v[4:5], v[128:129]
	v_mul_f64_e32 v[128:129], v[6:7], v[128:129]
	v_add_f64_e32 v[140:141], v[176:177], v[174:175]
	v_add_f64_e32 v[166:167], v[166:167], v[168:169]
	s_wait_loadcnt_dscnt 0xa00
	v_mul_f64_e32 v[168:169], v[142:143], v[22:23]
	v_mul_f64_e32 v[22:23], v[144:145], v[22:23]
	v_fmac_f64_e32 v[170:171], v[6:7], v[126:127]
	v_fma_f64 v[174:175], v[4:5], v[126:127], -v[128:129]
	ds_load_b128 v[4:7], v2 offset:1312
	ds_load_b128 v[126:129], v2 offset:1328
	v_add_f64_e32 v[176:177], v[140:141], v[138:139]
	v_add_f64_e32 v[166:167], v[166:167], v[172:173]
	scratch_load_b128 v[138:141], off, off offset:704
	s_wait_loadcnt_dscnt 0xa01
	v_mul_f64_e32 v[172:173], v[4:5], v[136:137]
	v_mul_f64_e32 v[136:137], v[6:7], v[136:137]
	v_fmac_f64_e32 v[168:169], v[144:145], v[20:21]
	v_fma_f64 v[142:143], v[142:143], v[20:21], -v[22:23]
	scratch_load_b128 v[20:23], off, off offset:720
	v_add_f64_e32 v[144:145], v[176:177], v[174:175]
	v_add_f64_e32 v[166:167], v[166:167], v[170:171]
	s_wait_loadcnt_dscnt 0xa00
	v_mul_f64_e32 v[170:171], v[126:127], v[124:125]
	v_mul_f64_e32 v[124:125], v[128:129], v[124:125]
	v_fmac_f64_e32 v[172:173], v[6:7], v[134:135]
	v_fma_f64 v[174:175], v[4:5], v[134:135], -v[136:137]
	ds_load_b128 v[4:7], v2 offset:1344
	ds_load_b128 v[134:137], v2 offset:1360
	v_add_f64_e32 v[176:177], v[144:145], v[142:143]
	v_add_f64_e32 v[166:167], v[166:167], v[168:169]
	scratch_load_b128 v[142:145], off, off offset:736
	s_wait_loadcnt_dscnt 0xa01
	v_mul_f64_e32 v[168:169], v[4:5], v[148:149]
	v_mul_f64_e32 v[148:149], v[6:7], v[148:149]
	v_fmac_f64_e32 v[170:171], v[128:129], v[122:123]
	v_fma_f64 v[126:127], v[126:127], v[122:123], -v[124:125]
	scratch_load_b128 v[122:125], off, off offset:752
	v_add_f64_e32 v[128:129], v[176:177], v[174:175]
	v_add_f64_e32 v[166:167], v[166:167], v[172:173]
	s_wait_loadcnt_dscnt 0xa00
	v_mul_f64_e32 v[172:173], v[134:135], v[132:133]
	v_mul_f64_e32 v[132:133], v[136:137], v[132:133]
	v_fmac_f64_e32 v[168:169], v[6:7], v[146:147]
	v_fma_f64 v[146:147], v[4:5], v[146:147], -v[148:149]
	v_add_f64_e32 v[148:149], v[128:129], v[126:127]
	v_add_f64_e32 v[166:167], v[166:167], v[170:171]
	ds_load_b128 v[4:7], v2 offset:1376
	ds_load_b128 v[126:129], v2 offset:1392
	v_fmac_f64_e32 v[172:173], v[136:137], v[130:131]
	v_fma_f64 v[130:131], v[134:135], v[130:131], -v[132:133]
	s_wait_loadcnt_dscnt 0x901
	v_mul_f64_e32 v[170:171], v[4:5], v[164:165]
	v_mul_f64_e32 v[164:165], v[6:7], v[164:165]
	s_wait_loadcnt_dscnt 0x800
	v_mul_f64_e32 v[136:137], v[126:127], v[10:11]
	v_mul_f64_e32 v[10:11], v[128:129], v[10:11]
	v_add_f64_e32 v[132:133], v[148:149], v[146:147]
	v_add_f64_e32 v[134:135], v[166:167], v[168:169]
	v_fmac_f64_e32 v[170:171], v[6:7], v[162:163]
	v_fma_f64 v[146:147], v[4:5], v[162:163], -v[164:165]
	v_fmac_f64_e32 v[136:137], v[128:129], v[8:9]
	v_fma_f64 v[8:9], v[126:127], v[8:9], -v[10:11]
	v_add_f64_e32 v[148:149], v[132:133], v[130:131]
	v_add_f64_e32 v[134:135], v[134:135], v[172:173]
	ds_load_b128 v[4:7], v2 offset:1408
	ds_load_b128 v[130:133], v2 offset:1424
	s_wait_loadcnt_dscnt 0x701
	v_mul_f64_e32 v[162:163], v[4:5], v[152:153]
	v_mul_f64_e32 v[152:153], v[6:7], v[152:153]
	s_wait_loadcnt_dscnt 0x600
	v_mul_f64_e32 v[128:129], v[130:131], v[18:19]
	v_mul_f64_e32 v[18:19], v[132:133], v[18:19]
	v_add_f64_e32 v[10:11], v[148:149], v[146:147]
	v_add_f64_e32 v[126:127], v[134:135], v[170:171]
	v_fmac_f64_e32 v[162:163], v[6:7], v[150:151]
	v_fma_f64 v[134:135], v[4:5], v[150:151], -v[152:153]
	v_fmac_f64_e32 v[128:129], v[132:133], v[16:17]
	v_fma_f64 v[16:17], v[130:131], v[16:17], -v[18:19]
	v_add_f64_e32 v[146:147], v[10:11], v[8:9]
	v_add_f64_e32 v[126:127], v[126:127], v[136:137]
	ds_load_b128 v[4:7], v2 offset:1440
	ds_load_b128 v[8:11], v2 offset:1456
	;; [unrolled: 16-line block ×3, first 2 shown]
	s_wait_loadcnt_dscnt 0x301
	v_mul_f64_e32 v[128:129], v[4:5], v[140:141]
	v_mul_f64_e32 v[140:141], v[6:7], v[140:141]
	v_add_f64_e32 v[10:11], v[18:19], v[134:135]
	v_add_f64_e32 v[12:13], v[126:127], v[136:137]
	s_wait_loadcnt_dscnt 0x200
	v_mul_f64_e32 v[18:19], v[14:15], v[22:23]
	v_mul_f64_e32 v[22:23], v[16:17], v[22:23]
	v_fmac_f64_e32 v[128:129], v[6:7], v[138:139]
	v_fma_f64 v[126:127], v[4:5], v[138:139], -v[140:141]
	v_add_f64_e32 v[132:133], v[10:11], v[8:9]
	v_add_f64_e32 v[12:13], v[12:13], v[130:131]
	ds_load_b128 v[4:7], v2 offset:1504
	ds_load_b128 v[8:11], v2 offset:1520
	v_fmac_f64_e32 v[18:19], v[16:17], v[20:21]
	v_fma_f64 v[14:15], v[14:15], v[20:21], -v[22:23]
	s_wait_loadcnt_dscnt 0x101
	v_mul_f64_e32 v[2:3], v[4:5], v[144:145]
	v_mul_f64_e32 v[130:131], v[6:7], v[144:145]
	s_wait_loadcnt_dscnt 0x0
	v_mul_f64_e32 v[20:21], v[8:9], v[124:125]
	v_mul_f64_e32 v[22:23], v[10:11], v[124:125]
	v_add_f64_e32 v[16:17], v[132:133], v[126:127]
	v_add_f64_e32 v[12:13], v[12:13], v[128:129]
	v_fmac_f64_e32 v[2:3], v[6:7], v[142:143]
	v_fma_f64 v[4:5], v[4:5], v[142:143], -v[130:131]
	v_fmac_f64_e32 v[20:21], v[10:11], v[122:123]
	v_fma_f64 v[8:9], v[8:9], v[122:123], -v[22:23]
	v_add_f64_e32 v[6:7], v[16:17], v[14:15]
	v_add_f64_e32 v[12:13], v[12:13], v[18:19]
	s_delay_alu instid0(VALU_DEP_2) | instskip(NEXT) | instid1(VALU_DEP_2)
	v_add_f64_e32 v[4:5], v[6:7], v[4:5]
	v_add_f64_e32 v[2:3], v[12:13], v[2:3]
	s_delay_alu instid0(VALU_DEP_2) | instskip(NEXT) | instid1(VALU_DEP_2)
	;; [unrolled: 3-line block ×3, first 2 shown]
	v_add_f64_e64 v[2:3], v[154:155], -v[4:5]
	v_add_f64_e64 v[4:5], v[156:157], -v[6:7]
	scratch_store_b128 off, v[2:5], off offset:208
	s_wait_xcnt 0x0
	v_cmpx_lt_u32_e32 12, v1
	s_cbranch_execz .LBB111_277
; %bb.276:
	scratch_load_b128 v[2:5], off, s52
	v_mov_b32_e32 v6, 0
	s_delay_alu instid0(VALU_DEP_1)
	v_dual_mov_b32 v7, v6 :: v_dual_mov_b32 v8, v6
	v_mov_b32_e32 v9, v6
	scratch_store_b128 off, v[6:9], off offset:192
	s_wait_loadcnt 0x0
	ds_store_b128 v120, v[2:5]
.LBB111_277:
	s_wait_xcnt 0x0
	s_or_b32 exec_lo, exec_lo, s2
	s_wait_storecnt_dscnt 0x0
	s_barrier_signal -1
	s_barrier_wait -1
	s_clause 0x9
	scratch_load_b128 v[4:7], off, off offset:208
	scratch_load_b128 v[8:11], off, off offset:224
	;; [unrolled: 1-line block ×10, first 2 shown]
	v_mov_b32_e32 v2, 0
	s_mov_b32 s2, exec_lo
	ds_load_b128 v[142:145], v2 offset:976
	s_clause 0x2
	scratch_load_b128 v[146:149], off, off offset:368
	scratch_load_b128 v[150:153], off, off offset:192
	;; [unrolled: 1-line block ×3, first 2 shown]
	s_wait_loadcnt_dscnt 0xc00
	v_mul_f64_e32 v[162:163], v[144:145], v[6:7]
	v_mul_f64_e32 v[166:167], v[142:143], v[6:7]
	ds_load_b128 v[154:157], v2 offset:992
	v_fma_f64 v[170:171], v[142:143], v[4:5], -v[162:163]
	v_fmac_f64_e32 v[166:167], v[144:145], v[4:5]
	ds_load_b128 v[4:7], v2 offset:1008
	s_wait_loadcnt_dscnt 0xb01
	v_mul_f64_e32 v[168:169], v[154:155], v[10:11]
	v_mul_f64_e32 v[10:11], v[156:157], v[10:11]
	scratch_load_b128 v[142:145], off, off offset:400
	ds_load_b128 v[162:165], v2 offset:1024
	s_wait_loadcnt_dscnt 0xb01
	v_mul_f64_e32 v[172:173], v[4:5], v[14:15]
	v_mul_f64_e32 v[14:15], v[6:7], v[14:15]
	v_add_f64_e32 v[166:167], 0, v[166:167]
	v_fmac_f64_e32 v[168:169], v[156:157], v[8:9]
	v_fma_f64 v[154:155], v[154:155], v[8:9], -v[10:11]
	v_add_f64_e32 v[156:157], 0, v[170:171]
	scratch_load_b128 v[8:11], off, off offset:416
	v_fmac_f64_e32 v[172:173], v[6:7], v[12:13]
	v_fma_f64 v[174:175], v[4:5], v[12:13], -v[14:15]
	ds_load_b128 v[4:7], v2 offset:1040
	s_wait_loadcnt_dscnt 0xb01
	v_mul_f64_e32 v[170:171], v[162:163], v[18:19]
	v_mul_f64_e32 v[18:19], v[164:165], v[18:19]
	scratch_load_b128 v[12:15], off, off offset:432
	v_add_f64_e32 v[166:167], v[166:167], v[168:169]
	v_add_f64_e32 v[176:177], v[156:157], v[154:155]
	ds_load_b128 v[154:157], v2 offset:1056
	s_wait_loadcnt_dscnt 0xb01
	v_mul_f64_e32 v[168:169], v[4:5], v[22:23]
	v_mul_f64_e32 v[22:23], v[6:7], v[22:23]
	v_fmac_f64_e32 v[170:171], v[164:165], v[16:17]
	v_fma_f64 v[162:163], v[162:163], v[16:17], -v[18:19]
	scratch_load_b128 v[16:19], off, off offset:448
	v_add_f64_e32 v[166:167], v[166:167], v[172:173]
	v_add_f64_e32 v[164:165], v[176:177], v[174:175]
	v_fmac_f64_e32 v[168:169], v[6:7], v[20:21]
	v_fma_f64 v[174:175], v[4:5], v[20:21], -v[22:23]
	ds_load_b128 v[4:7], v2 offset:1072
	s_wait_loadcnt_dscnt 0xb01
	v_mul_f64_e32 v[172:173], v[154:155], v[124:125]
	v_mul_f64_e32 v[124:125], v[156:157], v[124:125]
	scratch_load_b128 v[20:23], off, off offset:464
	v_add_f64_e32 v[166:167], v[166:167], v[170:171]
	s_wait_loadcnt_dscnt 0xb00
	v_mul_f64_e32 v[170:171], v[4:5], v[128:129]
	v_add_f64_e32 v[176:177], v[164:165], v[162:163]
	v_mul_f64_e32 v[128:129], v[6:7], v[128:129]
	ds_load_b128 v[162:165], v2 offset:1088
	v_fmac_f64_e32 v[172:173], v[156:157], v[122:123]
	v_fma_f64 v[154:155], v[154:155], v[122:123], -v[124:125]
	scratch_load_b128 v[122:125], off, off offset:480
	v_add_f64_e32 v[166:167], v[166:167], v[168:169]
	v_fmac_f64_e32 v[170:171], v[6:7], v[126:127]
	v_add_f64_e32 v[156:157], v[176:177], v[174:175]
	v_fma_f64 v[174:175], v[4:5], v[126:127], -v[128:129]
	ds_load_b128 v[4:7], v2 offset:1104
	s_wait_loadcnt_dscnt 0xb01
	v_mul_f64_e32 v[168:169], v[162:163], v[132:133]
	v_mul_f64_e32 v[132:133], v[164:165], v[132:133]
	scratch_load_b128 v[126:129], off, off offset:496
	v_add_f64_e32 v[166:167], v[166:167], v[172:173]
	s_wait_loadcnt_dscnt 0xb00
	v_mul_f64_e32 v[172:173], v[4:5], v[136:137]
	v_add_f64_e32 v[176:177], v[156:157], v[154:155]
	v_mul_f64_e32 v[136:137], v[6:7], v[136:137]
	ds_load_b128 v[154:157], v2 offset:1120
	v_fmac_f64_e32 v[168:169], v[164:165], v[130:131]
	v_fma_f64 v[162:163], v[162:163], v[130:131], -v[132:133]
	scratch_load_b128 v[130:133], off, off offset:512
	v_add_f64_e32 v[166:167], v[166:167], v[170:171]
	v_fmac_f64_e32 v[172:173], v[6:7], v[134:135]
	v_add_f64_e32 v[164:165], v[176:177], v[174:175]
	;; [unrolled: 18-line block ×3, first 2 shown]
	v_fma_f64 v[174:175], v[4:5], v[146:147], -v[148:149]
	ds_load_b128 v[4:7], v2 offset:1168
	s_wait_loadcnt_dscnt 0xa01
	v_mul_f64_e32 v[172:173], v[162:163], v[160:161]
	v_mul_f64_e32 v[160:161], v[164:165], v[160:161]
	scratch_load_b128 v[146:149], off, off offset:560
	v_add_f64_e32 v[166:167], v[166:167], v[170:171]
	v_add_f64_e32 v[176:177], v[156:157], v[154:155]
	s_wait_loadcnt_dscnt 0xa00
	v_mul_f64_e32 v[170:171], v[4:5], v[144:145]
	v_mul_f64_e32 v[144:145], v[6:7], v[144:145]
	v_fmac_f64_e32 v[172:173], v[164:165], v[158:159]
	v_fma_f64 v[162:163], v[162:163], v[158:159], -v[160:161]
	ds_load_b128 v[154:157], v2 offset:1184
	scratch_load_b128 v[158:161], off, off offset:576
	v_add_f64_e32 v[166:167], v[166:167], v[168:169]
	v_add_f64_e32 v[164:165], v[176:177], v[174:175]
	v_fmac_f64_e32 v[170:171], v[6:7], v[142:143]
	v_fma_f64 v[174:175], v[4:5], v[142:143], -v[144:145]
	ds_load_b128 v[4:7], v2 offset:1200
	s_wait_loadcnt_dscnt 0xa01
	v_mul_f64_e32 v[168:169], v[154:155], v[10:11]
	v_mul_f64_e32 v[10:11], v[156:157], v[10:11]
	scratch_load_b128 v[142:145], off, off offset:592
	v_add_f64_e32 v[166:167], v[166:167], v[172:173]
	s_wait_loadcnt_dscnt 0xa00
	v_mul_f64_e32 v[172:173], v[4:5], v[14:15]
	v_add_f64_e32 v[176:177], v[164:165], v[162:163]
	v_mul_f64_e32 v[14:15], v[6:7], v[14:15]
	ds_load_b128 v[162:165], v2 offset:1216
	v_fmac_f64_e32 v[168:169], v[156:157], v[8:9]
	v_fma_f64 v[154:155], v[154:155], v[8:9], -v[10:11]
	scratch_load_b128 v[8:11], off, off offset:608
	v_add_f64_e32 v[166:167], v[166:167], v[170:171]
	v_fmac_f64_e32 v[172:173], v[6:7], v[12:13]
	v_add_f64_e32 v[156:157], v[176:177], v[174:175]
	v_fma_f64 v[174:175], v[4:5], v[12:13], -v[14:15]
	ds_load_b128 v[4:7], v2 offset:1232
	s_wait_loadcnt_dscnt 0xa01
	v_mul_f64_e32 v[170:171], v[162:163], v[18:19]
	v_mul_f64_e32 v[18:19], v[164:165], v[18:19]
	scratch_load_b128 v[12:15], off, off offset:624
	v_add_f64_e32 v[166:167], v[166:167], v[168:169]
	s_wait_loadcnt_dscnt 0xa00
	v_mul_f64_e32 v[168:169], v[4:5], v[22:23]
	v_add_f64_e32 v[176:177], v[156:157], v[154:155]
	v_mul_f64_e32 v[22:23], v[6:7], v[22:23]
	ds_load_b128 v[154:157], v2 offset:1248
	v_fmac_f64_e32 v[170:171], v[164:165], v[16:17]
	v_fma_f64 v[162:163], v[162:163], v[16:17], -v[18:19]
	scratch_load_b128 v[16:19], off, off offset:640
	v_add_f64_e32 v[166:167], v[166:167], v[172:173]
	v_fmac_f64_e32 v[168:169], v[6:7], v[20:21]
	v_add_f64_e32 v[164:165], v[176:177], v[174:175]
	;; [unrolled: 18-line block ×5, first 2 shown]
	v_fma_f64 v[174:175], v[4:5], v[146:147], -v[148:149]
	ds_load_b128 v[4:7], v2 offset:1360
	s_wait_loadcnt_dscnt 0xa01
	v_mul_f64_e32 v[172:173], v[162:163], v[160:161]
	v_mul_f64_e32 v[160:161], v[164:165], v[160:161]
	scratch_load_b128 v[146:149], off, off offset:752
	v_add_f64_e32 v[166:167], v[166:167], v[170:171]
	s_wait_loadcnt_dscnt 0xa00
	v_mul_f64_e32 v[170:171], v[4:5], v[144:145]
	v_add_f64_e32 v[176:177], v[156:157], v[154:155]
	v_mul_f64_e32 v[144:145], v[6:7], v[144:145]
	ds_load_b128 v[154:157], v2 offset:1376
	v_fmac_f64_e32 v[172:173], v[164:165], v[158:159]
	v_fma_f64 v[158:159], v[162:163], v[158:159], -v[160:161]
	s_wait_loadcnt_dscnt 0x900
	v_mul_f64_e32 v[164:165], v[154:155], v[10:11]
	v_mul_f64_e32 v[10:11], v[156:157], v[10:11]
	v_add_f64_e32 v[162:163], v[166:167], v[168:169]
	v_fmac_f64_e32 v[170:171], v[6:7], v[142:143]
	v_add_f64_e32 v[160:161], v[176:177], v[174:175]
	v_fma_f64 v[166:167], v[4:5], v[142:143], -v[144:145]
	ds_load_b128 v[4:7], v2 offset:1392
	ds_load_b128 v[142:145], v2 offset:1408
	v_fmac_f64_e32 v[164:165], v[156:157], v[8:9]
	v_fma_f64 v[8:9], v[154:155], v[8:9], -v[10:11]
	v_add_f64_e32 v[158:159], v[160:161], v[158:159]
	v_add_f64_e32 v[160:161], v[162:163], v[172:173]
	s_wait_loadcnt_dscnt 0x801
	v_mul_f64_e32 v[162:163], v[4:5], v[14:15]
	v_mul_f64_e32 v[14:15], v[6:7], v[14:15]
	s_wait_loadcnt_dscnt 0x700
	v_mul_f64_e32 v[156:157], v[142:143], v[18:19]
	v_mul_f64_e32 v[18:19], v[144:145], v[18:19]
	v_add_f64_e32 v[10:11], v[158:159], v[166:167]
	v_add_f64_e32 v[154:155], v[160:161], v[170:171]
	v_fmac_f64_e32 v[162:163], v[6:7], v[12:13]
	v_fma_f64 v[12:13], v[4:5], v[12:13], -v[14:15]
	v_fmac_f64_e32 v[156:157], v[144:145], v[16:17]
	v_fma_f64 v[16:17], v[142:143], v[16:17], -v[18:19]
	v_add_f64_e32 v[14:15], v[10:11], v[8:9]
	v_add_f64_e32 v[154:155], v[154:155], v[164:165]
	ds_load_b128 v[4:7], v2 offset:1424
	ds_load_b128 v[8:11], v2 offset:1440
	s_wait_loadcnt_dscnt 0x601
	v_mul_f64_e32 v[158:159], v[4:5], v[22:23]
	v_mul_f64_e32 v[22:23], v[6:7], v[22:23]
	s_wait_loadcnt_dscnt 0x500
	v_mul_f64_e32 v[18:19], v[8:9], v[124:125]
	v_mul_f64_e32 v[124:125], v[10:11], v[124:125]
	v_add_f64_e32 v[12:13], v[14:15], v[12:13]
	v_add_f64_e32 v[14:15], v[154:155], v[162:163]
	v_fmac_f64_e32 v[158:159], v[6:7], v[20:21]
	v_fma_f64 v[20:21], v[4:5], v[20:21], -v[22:23]
	v_fmac_f64_e32 v[18:19], v[10:11], v[122:123]
	v_fma_f64 v[8:9], v[8:9], v[122:123], -v[124:125]
	v_add_f64_e32 v[16:17], v[12:13], v[16:17]
	v_add_f64_e32 v[22:23], v[14:15], v[156:157]
	ds_load_b128 v[4:7], v2 offset:1456
	ds_load_b128 v[12:15], v2 offset:1472
	s_wait_loadcnt_dscnt 0x401
	v_mul_f64_e32 v[142:143], v[4:5], v[128:129]
	v_mul_f64_e32 v[128:129], v[6:7], v[128:129]
	v_add_f64_e32 v[10:11], v[16:17], v[20:21]
	v_add_f64_e32 v[16:17], v[22:23], v[158:159]
	s_wait_loadcnt_dscnt 0x300
	v_mul_f64_e32 v[20:21], v[12:13], v[132:133]
	v_mul_f64_e32 v[22:23], v[14:15], v[132:133]
	v_fmac_f64_e32 v[142:143], v[6:7], v[126:127]
	v_fma_f64 v[122:123], v[4:5], v[126:127], -v[128:129]
	v_add_f64_e32 v[124:125], v[10:11], v[8:9]
	v_add_f64_e32 v[16:17], v[16:17], v[18:19]
	ds_load_b128 v[4:7], v2 offset:1488
	ds_load_b128 v[8:11], v2 offset:1504
	v_fmac_f64_e32 v[20:21], v[14:15], v[130:131]
	v_fma_f64 v[12:13], v[12:13], v[130:131], -v[22:23]
	s_wait_loadcnt_dscnt 0x201
	v_mul_f64_e32 v[18:19], v[4:5], v[136:137]
	v_mul_f64_e32 v[126:127], v[6:7], v[136:137]
	s_wait_loadcnt_dscnt 0x100
	v_mul_f64_e32 v[22:23], v[8:9], v[140:141]
	v_add_f64_e32 v[14:15], v[124:125], v[122:123]
	v_add_f64_e32 v[16:17], v[16:17], v[142:143]
	v_mul_f64_e32 v[122:123], v[10:11], v[140:141]
	v_fmac_f64_e32 v[18:19], v[6:7], v[134:135]
	v_fma_f64 v[124:125], v[4:5], v[134:135], -v[126:127]
	ds_load_b128 v[4:7], v2 offset:1520
	v_fmac_f64_e32 v[22:23], v[10:11], v[138:139]
	v_add_f64_e32 v[12:13], v[14:15], v[12:13]
	v_add_f64_e32 v[14:15], v[16:17], v[20:21]
	v_fma_f64 v[8:9], v[8:9], v[138:139], -v[122:123]
	s_wait_loadcnt_dscnt 0x0
	v_mul_f64_e32 v[16:17], v[4:5], v[148:149]
	v_mul_f64_e32 v[20:21], v[6:7], v[148:149]
	v_add_f64_e32 v[10:11], v[12:13], v[124:125]
	v_add_f64_e32 v[12:13], v[14:15], v[18:19]
	s_delay_alu instid0(VALU_DEP_4) | instskip(NEXT) | instid1(VALU_DEP_4)
	v_fmac_f64_e32 v[16:17], v[6:7], v[146:147]
	v_fma_f64 v[4:5], v[4:5], v[146:147], -v[20:21]
	s_delay_alu instid0(VALU_DEP_4) | instskip(NEXT) | instid1(VALU_DEP_4)
	v_add_f64_e32 v[6:7], v[10:11], v[8:9]
	v_add_f64_e32 v[8:9], v[12:13], v[22:23]
	s_delay_alu instid0(VALU_DEP_2) | instskip(NEXT) | instid1(VALU_DEP_2)
	v_add_f64_e32 v[4:5], v[6:7], v[4:5]
	v_add_f64_e32 v[6:7], v[8:9], v[16:17]
	s_delay_alu instid0(VALU_DEP_2) | instskip(NEXT) | instid1(VALU_DEP_2)
	v_add_f64_e64 v[4:5], v[150:151], -v[4:5]
	v_add_f64_e64 v[6:7], v[152:153], -v[6:7]
	scratch_store_b128 off, v[4:7], off offset:192
	s_wait_xcnt 0x0
	v_cmpx_lt_u32_e32 11, v1
	s_cbranch_execz .LBB111_279
; %bb.278:
	scratch_load_b128 v[6:9], off, s53
	v_dual_mov_b32 v3, v2 :: v_dual_mov_b32 v4, v2
	v_mov_b32_e32 v5, v2
	scratch_store_b128 off, v[2:5], off offset:176
	s_wait_loadcnt 0x0
	ds_store_b128 v120, v[6:9]
.LBB111_279:
	s_wait_xcnt 0x0
	s_or_b32 exec_lo, exec_lo, s2
	s_wait_storecnt_dscnt 0x0
	s_barrier_signal -1
	s_barrier_wait -1
	s_clause 0x9
	scratch_load_b128 v[4:7], off, off offset:192
	scratch_load_b128 v[8:11], off, off offset:208
	;; [unrolled: 1-line block ×10, first 2 shown]
	ds_load_b128 v[142:145], v2 offset:960
	ds_load_b128 v[150:153], v2 offset:976
	s_clause 0x2
	scratch_load_b128 v[146:149], off, off offset:352
	scratch_load_b128 v[154:157], off, off offset:176
	scratch_load_b128 v[158:161], off, off offset:368
	s_mov_b32 s2, exec_lo
	s_wait_loadcnt_dscnt 0xc01
	v_mul_f64_e32 v[162:163], v[144:145], v[6:7]
	v_mul_f64_e32 v[166:167], v[142:143], v[6:7]
	s_wait_loadcnt_dscnt 0xb00
	v_mul_f64_e32 v[168:169], v[150:151], v[10:11]
	v_mul_f64_e32 v[10:11], v[152:153], v[10:11]
	s_delay_alu instid0(VALU_DEP_4) | instskip(NEXT) | instid1(VALU_DEP_4)
	v_fma_f64 v[170:171], v[142:143], v[4:5], -v[162:163]
	v_fmac_f64_e32 v[166:167], v[144:145], v[4:5]
	ds_load_b128 v[4:7], v2 offset:992
	ds_load_b128 v[142:145], v2 offset:1008
	scratch_load_b128 v[162:165], off, off offset:384
	v_fmac_f64_e32 v[168:169], v[152:153], v[8:9]
	v_fma_f64 v[150:151], v[150:151], v[8:9], -v[10:11]
	scratch_load_b128 v[8:11], off, off offset:400
	s_wait_loadcnt_dscnt 0xc01
	v_mul_f64_e32 v[172:173], v[4:5], v[14:15]
	v_mul_f64_e32 v[14:15], v[6:7], v[14:15]
	v_add_f64_e32 v[152:153], 0, v[170:171]
	v_add_f64_e32 v[166:167], 0, v[166:167]
	s_wait_loadcnt_dscnt 0xb00
	v_mul_f64_e32 v[170:171], v[142:143], v[18:19]
	v_mul_f64_e32 v[18:19], v[144:145], v[18:19]
	v_fmac_f64_e32 v[172:173], v[6:7], v[12:13]
	v_fma_f64 v[174:175], v[4:5], v[12:13], -v[14:15]
	ds_load_b128 v[4:7], v2 offset:1024
	ds_load_b128 v[12:15], v2 offset:1040
	v_add_f64_e32 v[176:177], v[152:153], v[150:151]
	v_add_f64_e32 v[166:167], v[166:167], v[168:169]
	scratch_load_b128 v[150:153], off, off offset:416
	v_fmac_f64_e32 v[170:171], v[144:145], v[16:17]
	v_fma_f64 v[142:143], v[142:143], v[16:17], -v[18:19]
	scratch_load_b128 v[16:19], off, off offset:432
	s_wait_loadcnt_dscnt 0xc01
	v_mul_f64_e32 v[168:169], v[4:5], v[22:23]
	v_mul_f64_e32 v[22:23], v[6:7], v[22:23]
	v_add_f64_e32 v[144:145], v[176:177], v[174:175]
	v_add_f64_e32 v[166:167], v[166:167], v[172:173]
	s_wait_loadcnt_dscnt 0xb00
	v_mul_f64_e32 v[172:173], v[12:13], v[124:125]
	v_mul_f64_e32 v[124:125], v[14:15], v[124:125]
	v_fmac_f64_e32 v[168:169], v[6:7], v[20:21]
	v_fma_f64 v[174:175], v[4:5], v[20:21], -v[22:23]
	ds_load_b128 v[4:7], v2 offset:1056
	ds_load_b128 v[20:23], v2 offset:1072
	v_add_f64_e32 v[176:177], v[144:145], v[142:143]
	v_add_f64_e32 v[166:167], v[166:167], v[170:171]
	scratch_load_b128 v[142:145], off, off offset:448
	s_wait_loadcnt_dscnt 0xb01
	v_mul_f64_e32 v[170:171], v[4:5], v[128:129]
	v_mul_f64_e32 v[128:129], v[6:7], v[128:129]
	v_fmac_f64_e32 v[172:173], v[14:15], v[122:123]
	v_fma_f64 v[122:123], v[12:13], v[122:123], -v[124:125]
	scratch_load_b128 v[12:15], off, off offset:464
	v_add_f64_e32 v[124:125], v[176:177], v[174:175]
	v_add_f64_e32 v[166:167], v[166:167], v[168:169]
	s_wait_loadcnt_dscnt 0xb00
	v_mul_f64_e32 v[168:169], v[20:21], v[132:133]
	v_mul_f64_e32 v[132:133], v[22:23], v[132:133]
	v_fmac_f64_e32 v[170:171], v[6:7], v[126:127]
	v_fma_f64 v[174:175], v[4:5], v[126:127], -v[128:129]
	v_add_f64_e32 v[176:177], v[124:125], v[122:123]
	v_add_f64_e32 v[166:167], v[166:167], v[172:173]
	ds_load_b128 v[4:7], v2 offset:1088
	ds_load_b128 v[122:125], v2 offset:1104
	scratch_load_b128 v[126:129], off, off offset:480
	v_fmac_f64_e32 v[168:169], v[22:23], v[130:131]
	v_fma_f64 v[130:131], v[20:21], v[130:131], -v[132:133]
	scratch_load_b128 v[20:23], off, off offset:496
	s_wait_loadcnt_dscnt 0xc01
	v_mul_f64_e32 v[172:173], v[4:5], v[136:137]
	v_mul_f64_e32 v[136:137], v[6:7], v[136:137]
	v_add_f64_e32 v[132:133], v[176:177], v[174:175]
	v_add_f64_e32 v[166:167], v[166:167], v[170:171]
	s_wait_loadcnt_dscnt 0xb00
	v_mul_f64_e32 v[170:171], v[122:123], v[140:141]
	v_mul_f64_e32 v[140:141], v[124:125], v[140:141]
	v_fmac_f64_e32 v[172:173], v[6:7], v[134:135]
	v_fma_f64 v[174:175], v[4:5], v[134:135], -v[136:137]
	v_add_f64_e32 v[176:177], v[132:133], v[130:131]
	v_add_f64_e32 v[166:167], v[166:167], v[168:169]
	ds_load_b128 v[4:7], v2 offset:1120
	ds_load_b128 v[130:133], v2 offset:1136
	scratch_load_b128 v[134:137], off, off offset:512
	v_fmac_f64_e32 v[170:171], v[124:125], v[138:139]
	v_fma_f64 v[138:139], v[122:123], v[138:139], -v[140:141]
	scratch_load_b128 v[122:125], off, off offset:528
	s_wait_loadcnt_dscnt 0xc01
	v_mul_f64_e32 v[168:169], v[4:5], v[148:149]
	v_mul_f64_e32 v[148:149], v[6:7], v[148:149]
	;; [unrolled: 18-line block ×5, first 2 shown]
	v_add_f64_e32 v[160:161], v[176:177], v[174:175]
	v_add_f64_e32 v[166:167], v[166:167], v[172:173]
	s_wait_loadcnt_dscnt 0xa00
	v_mul_f64_e32 v[172:173], v[138:139], v[14:15]
	v_mul_f64_e32 v[14:15], v[140:141], v[14:15]
	v_fmac_f64_e32 v[168:169], v[6:7], v[142:143]
	v_fma_f64 v[174:175], v[4:5], v[142:143], -v[144:145]
	ds_load_b128 v[4:7], v2 offset:1248
	ds_load_b128 v[142:145], v2 offset:1264
	v_add_f64_e32 v[176:177], v[160:161], v[158:159]
	v_add_f64_e32 v[166:167], v[166:167], v[170:171]
	scratch_load_b128 v[158:161], off, off offset:640
	v_fmac_f64_e32 v[172:173], v[140:141], v[12:13]
	v_fma_f64 v[138:139], v[138:139], v[12:13], -v[14:15]
	scratch_load_b128 v[12:15], off, off offset:656
	s_wait_loadcnt_dscnt 0xb01
	v_mul_f64_e32 v[170:171], v[4:5], v[128:129]
	v_mul_f64_e32 v[128:129], v[6:7], v[128:129]
	v_add_f64_e32 v[140:141], v[176:177], v[174:175]
	v_add_f64_e32 v[166:167], v[166:167], v[168:169]
	s_wait_loadcnt_dscnt 0xa00
	v_mul_f64_e32 v[168:169], v[142:143], v[22:23]
	v_mul_f64_e32 v[22:23], v[144:145], v[22:23]
	v_fmac_f64_e32 v[170:171], v[6:7], v[126:127]
	v_fma_f64 v[174:175], v[4:5], v[126:127], -v[128:129]
	ds_load_b128 v[4:7], v2 offset:1280
	ds_load_b128 v[126:129], v2 offset:1296
	v_add_f64_e32 v[176:177], v[140:141], v[138:139]
	v_add_f64_e32 v[166:167], v[166:167], v[172:173]
	scratch_load_b128 v[138:141], off, off offset:672
	s_wait_loadcnt_dscnt 0xa01
	v_mul_f64_e32 v[172:173], v[4:5], v[136:137]
	v_mul_f64_e32 v[136:137], v[6:7], v[136:137]
	v_fmac_f64_e32 v[168:169], v[144:145], v[20:21]
	v_fma_f64 v[142:143], v[142:143], v[20:21], -v[22:23]
	scratch_load_b128 v[20:23], off, off offset:688
	v_add_f64_e32 v[144:145], v[176:177], v[174:175]
	v_add_f64_e32 v[166:167], v[166:167], v[170:171]
	s_wait_loadcnt_dscnt 0xa00
	v_mul_f64_e32 v[170:171], v[126:127], v[124:125]
	v_mul_f64_e32 v[124:125], v[128:129], v[124:125]
	v_fmac_f64_e32 v[172:173], v[6:7], v[134:135]
	v_fma_f64 v[174:175], v[4:5], v[134:135], -v[136:137]
	ds_load_b128 v[4:7], v2 offset:1312
	ds_load_b128 v[134:137], v2 offset:1328
	v_add_f64_e32 v[176:177], v[144:145], v[142:143]
	v_add_f64_e32 v[166:167], v[166:167], v[168:169]
	scratch_load_b128 v[142:145], off, off offset:704
	s_wait_loadcnt_dscnt 0xa01
	v_mul_f64_e32 v[168:169], v[4:5], v[148:149]
	v_mul_f64_e32 v[148:149], v[6:7], v[148:149]
	v_fmac_f64_e32 v[170:171], v[128:129], v[122:123]
	v_fma_f64 v[126:127], v[126:127], v[122:123], -v[124:125]
	scratch_load_b128 v[122:125], off, off offset:720
	v_add_f64_e32 v[128:129], v[176:177], v[174:175]
	v_add_f64_e32 v[166:167], v[166:167], v[172:173]
	s_wait_loadcnt_dscnt 0xa00
	v_mul_f64_e32 v[172:173], v[134:135], v[132:133]
	v_mul_f64_e32 v[132:133], v[136:137], v[132:133]
	v_fmac_f64_e32 v[168:169], v[6:7], v[146:147]
	v_fma_f64 v[174:175], v[4:5], v[146:147], -v[148:149]
	v_add_f64_e32 v[176:177], v[128:129], v[126:127]
	v_add_f64_e32 v[166:167], v[166:167], v[170:171]
	ds_load_b128 v[4:7], v2 offset:1344
	ds_load_b128 v[126:129], v2 offset:1360
	scratch_load_b128 v[146:149], off, off offset:736
	v_fmac_f64_e32 v[172:173], v[136:137], v[130:131]
	v_fma_f64 v[134:135], v[134:135], v[130:131], -v[132:133]
	scratch_load_b128 v[130:133], off, off offset:752
	s_wait_loadcnt_dscnt 0xb01
	v_mul_f64_e32 v[170:171], v[4:5], v[164:165]
	v_mul_f64_e32 v[164:165], v[6:7], v[164:165]
	v_add_f64_e32 v[136:137], v[176:177], v[174:175]
	v_add_f64_e32 v[166:167], v[166:167], v[168:169]
	s_wait_loadcnt_dscnt 0xa00
	v_mul_f64_e32 v[168:169], v[126:127], v[10:11]
	v_mul_f64_e32 v[10:11], v[128:129], v[10:11]
	v_fmac_f64_e32 v[170:171], v[6:7], v[162:163]
	v_fma_f64 v[162:163], v[4:5], v[162:163], -v[164:165]
	v_add_f64_e32 v[164:165], v[136:137], v[134:135]
	v_add_f64_e32 v[166:167], v[166:167], v[172:173]
	ds_load_b128 v[4:7], v2 offset:1376
	ds_load_b128 v[134:137], v2 offset:1392
	v_fmac_f64_e32 v[168:169], v[128:129], v[8:9]
	v_fma_f64 v[8:9], v[126:127], v[8:9], -v[10:11]
	s_wait_loadcnt_dscnt 0x901
	v_mul_f64_e32 v[172:173], v[4:5], v[152:153]
	v_mul_f64_e32 v[152:153], v[6:7], v[152:153]
	s_wait_loadcnt_dscnt 0x800
	v_mul_f64_e32 v[128:129], v[134:135], v[18:19]
	v_mul_f64_e32 v[18:19], v[136:137], v[18:19]
	v_add_f64_e32 v[10:11], v[164:165], v[162:163]
	v_add_f64_e32 v[126:127], v[166:167], v[170:171]
	v_fmac_f64_e32 v[172:173], v[6:7], v[150:151]
	v_fma_f64 v[150:151], v[4:5], v[150:151], -v[152:153]
	v_fmac_f64_e32 v[128:129], v[136:137], v[16:17]
	v_fma_f64 v[16:17], v[134:135], v[16:17], -v[18:19]
	v_add_f64_e32 v[152:153], v[10:11], v[8:9]
	v_add_f64_e32 v[126:127], v[126:127], v[168:169]
	ds_load_b128 v[4:7], v2 offset:1408
	ds_load_b128 v[8:11], v2 offset:1424
	s_wait_loadcnt_dscnt 0x701
	v_mul_f64_e32 v[162:163], v[4:5], v[160:161]
	v_mul_f64_e32 v[160:161], v[6:7], v[160:161]
	s_wait_loadcnt_dscnt 0x600
	v_mul_f64_e32 v[134:135], v[8:9], v[14:15]
	v_mul_f64_e32 v[136:137], v[10:11], v[14:15]
	v_add_f64_e32 v[18:19], v[152:153], v[150:151]
	v_add_f64_e32 v[126:127], v[126:127], v[172:173]
	v_fmac_f64_e32 v[162:163], v[6:7], v[158:159]
	v_fma_f64 v[150:151], v[4:5], v[158:159], -v[160:161]
	v_fmac_f64_e32 v[134:135], v[10:11], v[12:13]
	v_fma_f64 v[8:9], v[8:9], v[12:13], -v[136:137]
	v_add_f64_e32 v[18:19], v[18:19], v[16:17]
	v_add_f64_e32 v[126:127], v[126:127], v[128:129]
	ds_load_b128 v[4:7], v2 offset:1440
	ds_load_b128 v[14:17], v2 offset:1456
	s_wait_loadcnt_dscnt 0x501
	v_mul_f64_e32 v[128:129], v[4:5], v[140:141]
	v_mul_f64_e32 v[140:141], v[6:7], v[140:141]
	v_add_f64_e32 v[10:11], v[18:19], v[150:151]
	v_add_f64_e32 v[12:13], v[126:127], v[162:163]
	s_wait_loadcnt_dscnt 0x400
	v_mul_f64_e32 v[18:19], v[14:15], v[22:23]
	v_mul_f64_e32 v[22:23], v[16:17], v[22:23]
	v_fmac_f64_e32 v[128:129], v[6:7], v[138:139]
	v_fma_f64 v[126:127], v[4:5], v[138:139], -v[140:141]
	v_add_f64_e32 v[136:137], v[10:11], v[8:9]
	v_add_f64_e32 v[12:13], v[12:13], v[134:135]
	ds_load_b128 v[4:7], v2 offset:1472
	ds_load_b128 v[8:11], v2 offset:1488
	v_fmac_f64_e32 v[18:19], v[16:17], v[20:21]
	v_fma_f64 v[14:15], v[14:15], v[20:21], -v[22:23]
	s_wait_loadcnt_dscnt 0x301
	v_mul_f64_e32 v[134:135], v[4:5], v[144:145]
	v_mul_f64_e32 v[138:139], v[6:7], v[144:145]
	s_wait_loadcnt_dscnt 0x200
	v_mul_f64_e32 v[20:21], v[8:9], v[124:125]
	v_mul_f64_e32 v[22:23], v[10:11], v[124:125]
	v_add_f64_e32 v[16:17], v[136:137], v[126:127]
	v_add_f64_e32 v[12:13], v[12:13], v[128:129]
	v_fmac_f64_e32 v[134:135], v[6:7], v[142:143]
	v_fma_f64 v[124:125], v[4:5], v[142:143], -v[138:139]
	v_fmac_f64_e32 v[20:21], v[10:11], v[122:123]
	v_fma_f64 v[8:9], v[8:9], v[122:123], -v[22:23]
	v_add_f64_e32 v[16:17], v[16:17], v[14:15]
	v_add_f64_e32 v[18:19], v[12:13], v[18:19]
	ds_load_b128 v[4:7], v2 offset:1504
	ds_load_b128 v[12:15], v2 offset:1520
	s_wait_loadcnt_dscnt 0x101
	v_mul_f64_e32 v[2:3], v[4:5], v[148:149]
	v_mul_f64_e32 v[126:127], v[6:7], v[148:149]
	s_wait_loadcnt_dscnt 0x0
	v_mul_f64_e32 v[22:23], v[14:15], v[132:133]
	v_add_f64_e32 v[10:11], v[16:17], v[124:125]
	v_add_f64_e32 v[16:17], v[18:19], v[134:135]
	v_mul_f64_e32 v[18:19], v[12:13], v[132:133]
	v_fmac_f64_e32 v[2:3], v[6:7], v[146:147]
	v_fma_f64 v[4:5], v[4:5], v[146:147], -v[126:127]
	v_add_f64_e32 v[6:7], v[10:11], v[8:9]
	v_add_f64_e32 v[8:9], v[16:17], v[20:21]
	v_fmac_f64_e32 v[18:19], v[14:15], v[130:131]
	v_fma_f64 v[10:11], v[12:13], v[130:131], -v[22:23]
	s_delay_alu instid0(VALU_DEP_4) | instskip(NEXT) | instid1(VALU_DEP_4)
	v_add_f64_e32 v[4:5], v[6:7], v[4:5]
	v_add_f64_e32 v[2:3], v[8:9], v[2:3]
	s_delay_alu instid0(VALU_DEP_2) | instskip(NEXT) | instid1(VALU_DEP_2)
	v_add_f64_e32 v[4:5], v[4:5], v[10:11]
	v_add_f64_e32 v[6:7], v[2:3], v[18:19]
	s_delay_alu instid0(VALU_DEP_2) | instskip(NEXT) | instid1(VALU_DEP_2)
	v_add_f64_e64 v[2:3], v[154:155], -v[4:5]
	v_add_f64_e64 v[4:5], v[156:157], -v[6:7]
	scratch_store_b128 off, v[2:5], off offset:176
	s_wait_xcnt 0x0
	v_cmpx_lt_u32_e32 10, v1
	s_cbranch_execz .LBB111_281
; %bb.280:
	scratch_load_b128 v[2:5], off, s54
	v_mov_b32_e32 v6, 0
	s_delay_alu instid0(VALU_DEP_1)
	v_dual_mov_b32 v7, v6 :: v_dual_mov_b32 v8, v6
	v_mov_b32_e32 v9, v6
	scratch_store_b128 off, v[6:9], off offset:160
	s_wait_loadcnt 0x0
	ds_store_b128 v120, v[2:5]
.LBB111_281:
	s_wait_xcnt 0x0
	s_or_b32 exec_lo, exec_lo, s2
	s_wait_storecnt_dscnt 0x0
	s_barrier_signal -1
	s_barrier_wait -1
	s_clause 0x9
	scratch_load_b128 v[4:7], off, off offset:176
	scratch_load_b128 v[8:11], off, off offset:192
	;; [unrolled: 1-line block ×10, first 2 shown]
	v_mov_b32_e32 v2, 0
	s_mov_b32 s2, exec_lo
	ds_load_b128 v[142:145], v2 offset:944
	s_clause 0x2
	scratch_load_b128 v[146:149], off, off offset:336
	scratch_load_b128 v[150:153], off, off offset:160
	;; [unrolled: 1-line block ×3, first 2 shown]
	s_wait_loadcnt_dscnt 0xc00
	v_mul_f64_e32 v[162:163], v[144:145], v[6:7]
	v_mul_f64_e32 v[166:167], v[142:143], v[6:7]
	ds_load_b128 v[154:157], v2 offset:960
	v_fma_f64 v[170:171], v[142:143], v[4:5], -v[162:163]
	v_fmac_f64_e32 v[166:167], v[144:145], v[4:5]
	ds_load_b128 v[4:7], v2 offset:976
	s_wait_loadcnt_dscnt 0xb01
	v_mul_f64_e32 v[168:169], v[154:155], v[10:11]
	v_mul_f64_e32 v[10:11], v[156:157], v[10:11]
	scratch_load_b128 v[142:145], off, off offset:368
	ds_load_b128 v[162:165], v2 offset:992
	s_wait_loadcnt_dscnt 0xb01
	v_mul_f64_e32 v[172:173], v[4:5], v[14:15]
	v_mul_f64_e32 v[14:15], v[6:7], v[14:15]
	v_add_f64_e32 v[166:167], 0, v[166:167]
	v_fmac_f64_e32 v[168:169], v[156:157], v[8:9]
	v_fma_f64 v[154:155], v[154:155], v[8:9], -v[10:11]
	v_add_f64_e32 v[156:157], 0, v[170:171]
	scratch_load_b128 v[8:11], off, off offset:384
	v_fmac_f64_e32 v[172:173], v[6:7], v[12:13]
	v_fma_f64 v[174:175], v[4:5], v[12:13], -v[14:15]
	ds_load_b128 v[4:7], v2 offset:1008
	s_wait_loadcnt_dscnt 0xb01
	v_mul_f64_e32 v[170:171], v[162:163], v[18:19]
	v_mul_f64_e32 v[18:19], v[164:165], v[18:19]
	scratch_load_b128 v[12:15], off, off offset:400
	v_add_f64_e32 v[166:167], v[166:167], v[168:169]
	v_add_f64_e32 v[176:177], v[156:157], v[154:155]
	ds_load_b128 v[154:157], v2 offset:1024
	s_wait_loadcnt_dscnt 0xb01
	v_mul_f64_e32 v[168:169], v[4:5], v[22:23]
	v_mul_f64_e32 v[22:23], v[6:7], v[22:23]
	v_fmac_f64_e32 v[170:171], v[164:165], v[16:17]
	v_fma_f64 v[162:163], v[162:163], v[16:17], -v[18:19]
	scratch_load_b128 v[16:19], off, off offset:416
	v_add_f64_e32 v[166:167], v[166:167], v[172:173]
	v_add_f64_e32 v[164:165], v[176:177], v[174:175]
	v_fmac_f64_e32 v[168:169], v[6:7], v[20:21]
	v_fma_f64 v[174:175], v[4:5], v[20:21], -v[22:23]
	ds_load_b128 v[4:7], v2 offset:1040
	s_wait_loadcnt_dscnt 0xb01
	v_mul_f64_e32 v[172:173], v[154:155], v[124:125]
	v_mul_f64_e32 v[124:125], v[156:157], v[124:125]
	scratch_load_b128 v[20:23], off, off offset:432
	v_add_f64_e32 v[166:167], v[166:167], v[170:171]
	s_wait_loadcnt_dscnt 0xb00
	v_mul_f64_e32 v[170:171], v[4:5], v[128:129]
	v_add_f64_e32 v[176:177], v[164:165], v[162:163]
	v_mul_f64_e32 v[128:129], v[6:7], v[128:129]
	ds_load_b128 v[162:165], v2 offset:1056
	v_fmac_f64_e32 v[172:173], v[156:157], v[122:123]
	v_fma_f64 v[154:155], v[154:155], v[122:123], -v[124:125]
	scratch_load_b128 v[122:125], off, off offset:448
	v_add_f64_e32 v[166:167], v[166:167], v[168:169]
	v_fmac_f64_e32 v[170:171], v[6:7], v[126:127]
	v_add_f64_e32 v[156:157], v[176:177], v[174:175]
	v_fma_f64 v[174:175], v[4:5], v[126:127], -v[128:129]
	ds_load_b128 v[4:7], v2 offset:1072
	s_wait_loadcnt_dscnt 0xb01
	v_mul_f64_e32 v[168:169], v[162:163], v[132:133]
	v_mul_f64_e32 v[132:133], v[164:165], v[132:133]
	scratch_load_b128 v[126:129], off, off offset:464
	v_add_f64_e32 v[166:167], v[166:167], v[172:173]
	s_wait_loadcnt_dscnt 0xb00
	v_mul_f64_e32 v[172:173], v[4:5], v[136:137]
	v_add_f64_e32 v[176:177], v[156:157], v[154:155]
	v_mul_f64_e32 v[136:137], v[6:7], v[136:137]
	ds_load_b128 v[154:157], v2 offset:1088
	v_fmac_f64_e32 v[168:169], v[164:165], v[130:131]
	v_fma_f64 v[162:163], v[162:163], v[130:131], -v[132:133]
	scratch_load_b128 v[130:133], off, off offset:480
	v_add_f64_e32 v[166:167], v[166:167], v[170:171]
	v_fmac_f64_e32 v[172:173], v[6:7], v[134:135]
	v_add_f64_e32 v[164:165], v[176:177], v[174:175]
	;; [unrolled: 18-line block ×3, first 2 shown]
	v_fma_f64 v[174:175], v[4:5], v[146:147], -v[148:149]
	ds_load_b128 v[4:7], v2 offset:1136
	s_wait_loadcnt_dscnt 0xa01
	v_mul_f64_e32 v[172:173], v[162:163], v[160:161]
	v_mul_f64_e32 v[160:161], v[164:165], v[160:161]
	scratch_load_b128 v[146:149], off, off offset:528
	v_add_f64_e32 v[166:167], v[166:167], v[170:171]
	v_add_f64_e32 v[176:177], v[156:157], v[154:155]
	s_wait_loadcnt_dscnt 0xa00
	v_mul_f64_e32 v[170:171], v[4:5], v[144:145]
	v_mul_f64_e32 v[144:145], v[6:7], v[144:145]
	v_fmac_f64_e32 v[172:173], v[164:165], v[158:159]
	v_fma_f64 v[162:163], v[162:163], v[158:159], -v[160:161]
	ds_load_b128 v[154:157], v2 offset:1152
	scratch_load_b128 v[158:161], off, off offset:544
	v_add_f64_e32 v[166:167], v[166:167], v[168:169]
	v_add_f64_e32 v[164:165], v[176:177], v[174:175]
	v_fmac_f64_e32 v[170:171], v[6:7], v[142:143]
	v_fma_f64 v[174:175], v[4:5], v[142:143], -v[144:145]
	ds_load_b128 v[4:7], v2 offset:1168
	s_wait_loadcnt_dscnt 0xa01
	v_mul_f64_e32 v[168:169], v[154:155], v[10:11]
	v_mul_f64_e32 v[10:11], v[156:157], v[10:11]
	scratch_load_b128 v[142:145], off, off offset:560
	v_add_f64_e32 v[166:167], v[166:167], v[172:173]
	s_wait_loadcnt_dscnt 0xa00
	v_mul_f64_e32 v[172:173], v[4:5], v[14:15]
	v_add_f64_e32 v[176:177], v[164:165], v[162:163]
	v_mul_f64_e32 v[14:15], v[6:7], v[14:15]
	ds_load_b128 v[162:165], v2 offset:1184
	v_fmac_f64_e32 v[168:169], v[156:157], v[8:9]
	v_fma_f64 v[154:155], v[154:155], v[8:9], -v[10:11]
	scratch_load_b128 v[8:11], off, off offset:576
	v_add_f64_e32 v[166:167], v[166:167], v[170:171]
	v_fmac_f64_e32 v[172:173], v[6:7], v[12:13]
	v_add_f64_e32 v[156:157], v[176:177], v[174:175]
	v_fma_f64 v[174:175], v[4:5], v[12:13], -v[14:15]
	ds_load_b128 v[4:7], v2 offset:1200
	s_wait_loadcnt_dscnt 0xa01
	v_mul_f64_e32 v[170:171], v[162:163], v[18:19]
	v_mul_f64_e32 v[18:19], v[164:165], v[18:19]
	scratch_load_b128 v[12:15], off, off offset:592
	v_add_f64_e32 v[166:167], v[166:167], v[168:169]
	s_wait_loadcnt_dscnt 0xa00
	v_mul_f64_e32 v[168:169], v[4:5], v[22:23]
	v_add_f64_e32 v[176:177], v[156:157], v[154:155]
	v_mul_f64_e32 v[22:23], v[6:7], v[22:23]
	ds_load_b128 v[154:157], v2 offset:1216
	v_fmac_f64_e32 v[170:171], v[164:165], v[16:17]
	v_fma_f64 v[162:163], v[162:163], v[16:17], -v[18:19]
	scratch_load_b128 v[16:19], off, off offset:608
	v_add_f64_e32 v[166:167], v[166:167], v[172:173]
	v_fmac_f64_e32 v[168:169], v[6:7], v[20:21]
	v_add_f64_e32 v[164:165], v[176:177], v[174:175]
	;; [unrolled: 18-line block ×6, first 2 shown]
	v_fma_f64 v[174:175], v[4:5], v[142:143], -v[144:145]
	ds_load_b128 v[4:7], v2 offset:1360
	s_wait_loadcnt_dscnt 0xa01
	v_mul_f64_e32 v[168:169], v[154:155], v[10:11]
	v_mul_f64_e32 v[10:11], v[156:157], v[10:11]
	scratch_load_b128 v[142:145], off, off offset:752
	v_add_f64_e32 v[166:167], v[166:167], v[172:173]
	s_wait_loadcnt_dscnt 0xa00
	v_mul_f64_e32 v[172:173], v[4:5], v[14:15]
	v_add_f64_e32 v[176:177], v[164:165], v[162:163]
	v_mul_f64_e32 v[14:15], v[6:7], v[14:15]
	ds_load_b128 v[162:165], v2 offset:1376
	v_fmac_f64_e32 v[168:169], v[156:157], v[8:9]
	v_fma_f64 v[8:9], v[154:155], v[8:9], -v[10:11]
	s_wait_loadcnt_dscnt 0x900
	v_mul_f64_e32 v[156:157], v[162:163], v[18:19]
	v_mul_f64_e32 v[18:19], v[164:165], v[18:19]
	v_add_f64_e32 v[154:155], v[166:167], v[170:171]
	v_fmac_f64_e32 v[172:173], v[6:7], v[12:13]
	v_add_f64_e32 v[10:11], v[176:177], v[174:175]
	v_fma_f64 v[12:13], v[4:5], v[12:13], -v[14:15]
	v_fmac_f64_e32 v[156:157], v[164:165], v[16:17]
	v_fma_f64 v[16:17], v[162:163], v[16:17], -v[18:19]
	v_add_f64_e32 v[154:155], v[154:155], v[168:169]
	v_add_f64_e32 v[14:15], v[10:11], v[8:9]
	ds_load_b128 v[4:7], v2 offset:1392
	ds_load_b128 v[8:11], v2 offset:1408
	s_wait_loadcnt_dscnt 0x801
	v_mul_f64_e32 v[166:167], v[4:5], v[22:23]
	v_mul_f64_e32 v[22:23], v[6:7], v[22:23]
	s_wait_loadcnt_dscnt 0x700
	v_mul_f64_e32 v[18:19], v[8:9], v[124:125]
	v_mul_f64_e32 v[124:125], v[10:11], v[124:125]
	v_add_f64_e32 v[12:13], v[14:15], v[12:13]
	v_add_f64_e32 v[14:15], v[154:155], v[172:173]
	v_fmac_f64_e32 v[166:167], v[6:7], v[20:21]
	v_fma_f64 v[20:21], v[4:5], v[20:21], -v[22:23]
	v_fmac_f64_e32 v[18:19], v[10:11], v[122:123]
	v_fma_f64 v[8:9], v[8:9], v[122:123], -v[124:125]
	v_add_f64_e32 v[16:17], v[12:13], v[16:17]
	v_add_f64_e32 v[22:23], v[14:15], v[156:157]
	ds_load_b128 v[4:7], v2 offset:1424
	ds_load_b128 v[12:15], v2 offset:1440
	s_wait_loadcnt_dscnt 0x601
	v_mul_f64_e32 v[154:155], v[4:5], v[128:129]
	v_mul_f64_e32 v[128:129], v[6:7], v[128:129]
	v_add_f64_e32 v[10:11], v[16:17], v[20:21]
	v_add_f64_e32 v[16:17], v[22:23], v[166:167]
	s_wait_loadcnt_dscnt 0x500
	v_mul_f64_e32 v[20:21], v[12:13], v[132:133]
	v_mul_f64_e32 v[22:23], v[14:15], v[132:133]
	v_fmac_f64_e32 v[154:155], v[6:7], v[126:127]
	v_fma_f64 v[122:123], v[4:5], v[126:127], -v[128:129]
	v_add_f64_e32 v[124:125], v[10:11], v[8:9]
	v_add_f64_e32 v[16:17], v[16:17], v[18:19]
	ds_load_b128 v[4:7], v2 offset:1456
	ds_load_b128 v[8:11], v2 offset:1472
	v_fmac_f64_e32 v[20:21], v[14:15], v[130:131]
	v_fma_f64 v[12:13], v[12:13], v[130:131], -v[22:23]
	s_wait_loadcnt_dscnt 0x401
	v_mul_f64_e32 v[18:19], v[4:5], v[136:137]
	v_mul_f64_e32 v[126:127], v[6:7], v[136:137]
	s_wait_loadcnt_dscnt 0x300
	v_mul_f64_e32 v[22:23], v[8:9], v[140:141]
	v_add_f64_e32 v[14:15], v[124:125], v[122:123]
	v_add_f64_e32 v[16:17], v[16:17], v[154:155]
	v_mul_f64_e32 v[122:123], v[10:11], v[140:141]
	v_fmac_f64_e32 v[18:19], v[6:7], v[134:135]
	v_fma_f64 v[124:125], v[4:5], v[134:135], -v[126:127]
	v_fmac_f64_e32 v[22:23], v[10:11], v[138:139]
	v_add_f64_e32 v[126:127], v[14:15], v[12:13]
	v_add_f64_e32 v[16:17], v[16:17], v[20:21]
	ds_load_b128 v[4:7], v2 offset:1488
	ds_load_b128 v[12:15], v2 offset:1504
	v_fma_f64 v[8:9], v[8:9], v[138:139], -v[122:123]
	s_wait_loadcnt_dscnt 0x201
	v_mul_f64_e32 v[20:21], v[4:5], v[148:149]
	v_mul_f64_e32 v[128:129], v[6:7], v[148:149]
	s_wait_loadcnt_dscnt 0x100
	v_mul_f64_e32 v[122:123], v[14:15], v[160:161]
	v_add_f64_e32 v[10:11], v[126:127], v[124:125]
	v_add_f64_e32 v[16:17], v[16:17], v[18:19]
	v_mul_f64_e32 v[18:19], v[12:13], v[160:161]
	v_fmac_f64_e32 v[20:21], v[6:7], v[146:147]
	v_fma_f64 v[124:125], v[4:5], v[146:147], -v[128:129]
	ds_load_b128 v[4:7], v2 offset:1520
	v_fma_f64 v[12:13], v[12:13], v[158:159], -v[122:123]
	v_add_f64_e32 v[8:9], v[10:11], v[8:9]
	v_add_f64_e32 v[10:11], v[16:17], v[22:23]
	v_fmac_f64_e32 v[18:19], v[14:15], v[158:159]
	s_wait_loadcnt_dscnt 0x0
	v_mul_f64_e32 v[16:17], v[4:5], v[144:145]
	v_mul_f64_e32 v[22:23], v[6:7], v[144:145]
	v_add_f64_e32 v[8:9], v[8:9], v[124:125]
	v_add_f64_e32 v[10:11], v[10:11], v[20:21]
	s_delay_alu instid0(VALU_DEP_4) | instskip(NEXT) | instid1(VALU_DEP_4)
	v_fmac_f64_e32 v[16:17], v[6:7], v[142:143]
	v_fma_f64 v[4:5], v[4:5], v[142:143], -v[22:23]
	s_delay_alu instid0(VALU_DEP_4) | instskip(NEXT) | instid1(VALU_DEP_4)
	v_add_f64_e32 v[6:7], v[8:9], v[12:13]
	v_add_f64_e32 v[8:9], v[10:11], v[18:19]
	s_delay_alu instid0(VALU_DEP_2) | instskip(NEXT) | instid1(VALU_DEP_2)
	v_add_f64_e32 v[4:5], v[6:7], v[4:5]
	v_add_f64_e32 v[6:7], v[8:9], v[16:17]
	s_delay_alu instid0(VALU_DEP_2) | instskip(NEXT) | instid1(VALU_DEP_2)
	v_add_f64_e64 v[4:5], v[150:151], -v[4:5]
	v_add_f64_e64 v[6:7], v[152:153], -v[6:7]
	scratch_store_b128 off, v[4:7], off offset:160
	s_wait_xcnt 0x0
	v_cmpx_lt_u32_e32 9, v1
	s_cbranch_execz .LBB111_283
; %bb.282:
	scratch_load_b128 v[6:9], off, s55
	v_dual_mov_b32 v3, v2 :: v_dual_mov_b32 v4, v2
	v_mov_b32_e32 v5, v2
	scratch_store_b128 off, v[2:5], off offset:144
	s_wait_loadcnt 0x0
	ds_store_b128 v120, v[6:9]
.LBB111_283:
	s_wait_xcnt 0x0
	s_or_b32 exec_lo, exec_lo, s2
	s_wait_storecnt_dscnt 0x0
	s_barrier_signal -1
	s_barrier_wait -1
	s_clause 0x9
	scratch_load_b128 v[4:7], off, off offset:160
	scratch_load_b128 v[8:11], off, off offset:176
	;; [unrolled: 1-line block ×10, first 2 shown]
	ds_load_b128 v[142:145], v2 offset:928
	ds_load_b128 v[150:153], v2 offset:944
	s_clause 0x2
	scratch_load_b128 v[146:149], off, off offset:320
	scratch_load_b128 v[154:157], off, off offset:144
	;; [unrolled: 1-line block ×3, first 2 shown]
	s_mov_b32 s2, exec_lo
	s_wait_loadcnt_dscnt 0xc01
	v_mul_f64_e32 v[162:163], v[144:145], v[6:7]
	v_mul_f64_e32 v[166:167], v[142:143], v[6:7]
	s_wait_loadcnt_dscnt 0xb00
	v_mul_f64_e32 v[168:169], v[150:151], v[10:11]
	v_mul_f64_e32 v[10:11], v[152:153], v[10:11]
	s_delay_alu instid0(VALU_DEP_4) | instskip(NEXT) | instid1(VALU_DEP_4)
	v_fma_f64 v[170:171], v[142:143], v[4:5], -v[162:163]
	v_fmac_f64_e32 v[166:167], v[144:145], v[4:5]
	ds_load_b128 v[4:7], v2 offset:960
	ds_load_b128 v[142:145], v2 offset:976
	scratch_load_b128 v[162:165], off, off offset:352
	v_fmac_f64_e32 v[168:169], v[152:153], v[8:9]
	v_fma_f64 v[150:151], v[150:151], v[8:9], -v[10:11]
	scratch_load_b128 v[8:11], off, off offset:368
	s_wait_loadcnt_dscnt 0xc01
	v_mul_f64_e32 v[172:173], v[4:5], v[14:15]
	v_mul_f64_e32 v[14:15], v[6:7], v[14:15]
	v_add_f64_e32 v[152:153], 0, v[170:171]
	v_add_f64_e32 v[166:167], 0, v[166:167]
	s_wait_loadcnt_dscnt 0xb00
	v_mul_f64_e32 v[170:171], v[142:143], v[18:19]
	v_mul_f64_e32 v[18:19], v[144:145], v[18:19]
	v_fmac_f64_e32 v[172:173], v[6:7], v[12:13]
	v_fma_f64 v[174:175], v[4:5], v[12:13], -v[14:15]
	ds_load_b128 v[4:7], v2 offset:992
	ds_load_b128 v[12:15], v2 offset:1008
	v_add_f64_e32 v[176:177], v[152:153], v[150:151]
	v_add_f64_e32 v[166:167], v[166:167], v[168:169]
	scratch_load_b128 v[150:153], off, off offset:384
	v_fmac_f64_e32 v[170:171], v[144:145], v[16:17]
	v_fma_f64 v[142:143], v[142:143], v[16:17], -v[18:19]
	scratch_load_b128 v[16:19], off, off offset:400
	s_wait_loadcnt_dscnt 0xc01
	v_mul_f64_e32 v[168:169], v[4:5], v[22:23]
	v_mul_f64_e32 v[22:23], v[6:7], v[22:23]
	v_add_f64_e32 v[144:145], v[176:177], v[174:175]
	v_add_f64_e32 v[166:167], v[166:167], v[172:173]
	s_wait_loadcnt_dscnt 0xb00
	v_mul_f64_e32 v[172:173], v[12:13], v[124:125]
	v_mul_f64_e32 v[124:125], v[14:15], v[124:125]
	v_fmac_f64_e32 v[168:169], v[6:7], v[20:21]
	v_fma_f64 v[174:175], v[4:5], v[20:21], -v[22:23]
	ds_load_b128 v[4:7], v2 offset:1024
	ds_load_b128 v[20:23], v2 offset:1040
	v_add_f64_e32 v[176:177], v[144:145], v[142:143]
	v_add_f64_e32 v[166:167], v[166:167], v[170:171]
	scratch_load_b128 v[142:145], off, off offset:416
	s_wait_loadcnt_dscnt 0xb01
	v_mul_f64_e32 v[170:171], v[4:5], v[128:129]
	v_mul_f64_e32 v[128:129], v[6:7], v[128:129]
	v_fmac_f64_e32 v[172:173], v[14:15], v[122:123]
	v_fma_f64 v[122:123], v[12:13], v[122:123], -v[124:125]
	scratch_load_b128 v[12:15], off, off offset:432
	v_add_f64_e32 v[124:125], v[176:177], v[174:175]
	v_add_f64_e32 v[166:167], v[166:167], v[168:169]
	s_wait_loadcnt_dscnt 0xb00
	v_mul_f64_e32 v[168:169], v[20:21], v[132:133]
	v_mul_f64_e32 v[132:133], v[22:23], v[132:133]
	v_fmac_f64_e32 v[170:171], v[6:7], v[126:127]
	v_fma_f64 v[174:175], v[4:5], v[126:127], -v[128:129]
	v_add_f64_e32 v[176:177], v[124:125], v[122:123]
	v_add_f64_e32 v[166:167], v[166:167], v[172:173]
	ds_load_b128 v[4:7], v2 offset:1056
	ds_load_b128 v[122:125], v2 offset:1072
	scratch_load_b128 v[126:129], off, off offset:448
	v_fmac_f64_e32 v[168:169], v[22:23], v[130:131]
	v_fma_f64 v[130:131], v[20:21], v[130:131], -v[132:133]
	scratch_load_b128 v[20:23], off, off offset:464
	s_wait_loadcnt_dscnt 0xc01
	v_mul_f64_e32 v[172:173], v[4:5], v[136:137]
	v_mul_f64_e32 v[136:137], v[6:7], v[136:137]
	v_add_f64_e32 v[132:133], v[176:177], v[174:175]
	v_add_f64_e32 v[166:167], v[166:167], v[170:171]
	s_wait_loadcnt_dscnt 0xb00
	v_mul_f64_e32 v[170:171], v[122:123], v[140:141]
	v_mul_f64_e32 v[140:141], v[124:125], v[140:141]
	v_fmac_f64_e32 v[172:173], v[6:7], v[134:135]
	v_fma_f64 v[174:175], v[4:5], v[134:135], -v[136:137]
	v_add_f64_e32 v[176:177], v[132:133], v[130:131]
	v_add_f64_e32 v[166:167], v[166:167], v[168:169]
	ds_load_b128 v[4:7], v2 offset:1088
	ds_load_b128 v[130:133], v2 offset:1104
	scratch_load_b128 v[134:137], off, off offset:480
	v_fmac_f64_e32 v[170:171], v[124:125], v[138:139]
	v_fma_f64 v[138:139], v[122:123], v[138:139], -v[140:141]
	scratch_load_b128 v[122:125], off, off offset:496
	s_wait_loadcnt_dscnt 0xc01
	v_mul_f64_e32 v[168:169], v[4:5], v[148:149]
	v_mul_f64_e32 v[148:149], v[6:7], v[148:149]
	;; [unrolled: 18-line block ×5, first 2 shown]
	v_add_f64_e32 v[160:161], v[176:177], v[174:175]
	v_add_f64_e32 v[166:167], v[166:167], v[172:173]
	s_wait_loadcnt_dscnt 0xa00
	v_mul_f64_e32 v[172:173], v[138:139], v[14:15]
	v_mul_f64_e32 v[14:15], v[140:141], v[14:15]
	v_fmac_f64_e32 v[168:169], v[6:7], v[142:143]
	v_fma_f64 v[174:175], v[4:5], v[142:143], -v[144:145]
	ds_load_b128 v[4:7], v2 offset:1216
	ds_load_b128 v[142:145], v2 offset:1232
	v_add_f64_e32 v[176:177], v[160:161], v[158:159]
	v_add_f64_e32 v[166:167], v[166:167], v[170:171]
	scratch_load_b128 v[158:161], off, off offset:608
	v_fmac_f64_e32 v[172:173], v[140:141], v[12:13]
	v_fma_f64 v[138:139], v[138:139], v[12:13], -v[14:15]
	scratch_load_b128 v[12:15], off, off offset:624
	s_wait_loadcnt_dscnt 0xb01
	v_mul_f64_e32 v[170:171], v[4:5], v[128:129]
	v_mul_f64_e32 v[128:129], v[6:7], v[128:129]
	v_add_f64_e32 v[140:141], v[176:177], v[174:175]
	v_add_f64_e32 v[166:167], v[166:167], v[168:169]
	s_wait_loadcnt_dscnt 0xa00
	v_mul_f64_e32 v[168:169], v[142:143], v[22:23]
	v_mul_f64_e32 v[22:23], v[144:145], v[22:23]
	v_fmac_f64_e32 v[170:171], v[6:7], v[126:127]
	v_fma_f64 v[174:175], v[4:5], v[126:127], -v[128:129]
	ds_load_b128 v[4:7], v2 offset:1248
	ds_load_b128 v[126:129], v2 offset:1264
	v_add_f64_e32 v[176:177], v[140:141], v[138:139]
	v_add_f64_e32 v[166:167], v[166:167], v[172:173]
	scratch_load_b128 v[138:141], off, off offset:640
	s_wait_loadcnt_dscnt 0xa01
	v_mul_f64_e32 v[172:173], v[4:5], v[136:137]
	v_mul_f64_e32 v[136:137], v[6:7], v[136:137]
	v_fmac_f64_e32 v[168:169], v[144:145], v[20:21]
	v_fma_f64 v[142:143], v[142:143], v[20:21], -v[22:23]
	scratch_load_b128 v[20:23], off, off offset:656
	v_add_f64_e32 v[144:145], v[176:177], v[174:175]
	v_add_f64_e32 v[166:167], v[166:167], v[170:171]
	s_wait_loadcnt_dscnt 0xa00
	v_mul_f64_e32 v[170:171], v[126:127], v[124:125]
	v_mul_f64_e32 v[124:125], v[128:129], v[124:125]
	v_fmac_f64_e32 v[172:173], v[6:7], v[134:135]
	v_fma_f64 v[174:175], v[4:5], v[134:135], -v[136:137]
	ds_load_b128 v[4:7], v2 offset:1280
	ds_load_b128 v[134:137], v2 offset:1296
	v_add_f64_e32 v[176:177], v[144:145], v[142:143]
	v_add_f64_e32 v[166:167], v[166:167], v[168:169]
	scratch_load_b128 v[142:145], off, off offset:672
	s_wait_loadcnt_dscnt 0xa01
	v_mul_f64_e32 v[168:169], v[4:5], v[148:149]
	v_mul_f64_e32 v[148:149], v[6:7], v[148:149]
	v_fmac_f64_e32 v[170:171], v[128:129], v[122:123]
	v_fma_f64 v[126:127], v[126:127], v[122:123], -v[124:125]
	scratch_load_b128 v[122:125], off, off offset:688
	v_add_f64_e32 v[128:129], v[176:177], v[174:175]
	v_add_f64_e32 v[166:167], v[166:167], v[172:173]
	s_wait_loadcnt_dscnt 0xa00
	v_mul_f64_e32 v[172:173], v[134:135], v[132:133]
	v_mul_f64_e32 v[132:133], v[136:137], v[132:133]
	v_fmac_f64_e32 v[168:169], v[6:7], v[146:147]
	v_fma_f64 v[174:175], v[4:5], v[146:147], -v[148:149]
	v_add_f64_e32 v[176:177], v[128:129], v[126:127]
	v_add_f64_e32 v[166:167], v[166:167], v[170:171]
	ds_load_b128 v[4:7], v2 offset:1312
	ds_load_b128 v[126:129], v2 offset:1328
	scratch_load_b128 v[146:149], off, off offset:704
	v_fmac_f64_e32 v[172:173], v[136:137], v[130:131]
	v_fma_f64 v[134:135], v[134:135], v[130:131], -v[132:133]
	scratch_load_b128 v[130:133], off, off offset:720
	s_wait_loadcnt_dscnt 0xb01
	v_mul_f64_e32 v[170:171], v[4:5], v[164:165]
	v_mul_f64_e32 v[164:165], v[6:7], v[164:165]
	v_add_f64_e32 v[136:137], v[176:177], v[174:175]
	v_add_f64_e32 v[166:167], v[166:167], v[168:169]
	s_wait_loadcnt_dscnt 0xa00
	v_mul_f64_e32 v[168:169], v[126:127], v[10:11]
	v_mul_f64_e32 v[10:11], v[128:129], v[10:11]
	v_fmac_f64_e32 v[170:171], v[6:7], v[162:163]
	v_fma_f64 v[174:175], v[4:5], v[162:163], -v[164:165]
	v_add_f64_e32 v[176:177], v[136:137], v[134:135]
	v_add_f64_e32 v[166:167], v[166:167], v[172:173]
	ds_load_b128 v[4:7], v2 offset:1344
	ds_load_b128 v[134:137], v2 offset:1360
	scratch_load_b128 v[162:165], off, off offset:736
	v_fmac_f64_e32 v[168:169], v[128:129], v[8:9]
	v_fma_f64 v[126:127], v[126:127], v[8:9], -v[10:11]
	scratch_load_b128 v[8:11], off, off offset:752
	s_wait_loadcnt_dscnt 0xb01
	v_mul_f64_e32 v[172:173], v[4:5], v[152:153]
	v_mul_f64_e32 v[152:153], v[6:7], v[152:153]
	v_add_f64_e32 v[128:129], v[176:177], v[174:175]
	v_add_f64_e32 v[166:167], v[166:167], v[170:171]
	s_wait_loadcnt_dscnt 0xa00
	v_mul_f64_e32 v[170:171], v[134:135], v[18:19]
	v_mul_f64_e32 v[18:19], v[136:137], v[18:19]
	v_fmac_f64_e32 v[172:173], v[6:7], v[150:151]
	v_fma_f64 v[150:151], v[4:5], v[150:151], -v[152:153]
	v_add_f64_e32 v[152:153], v[128:129], v[126:127]
	v_add_f64_e32 v[166:167], v[166:167], v[168:169]
	ds_load_b128 v[4:7], v2 offset:1376
	ds_load_b128 v[126:129], v2 offset:1392
	v_fmac_f64_e32 v[170:171], v[136:137], v[16:17]
	v_fma_f64 v[16:17], v[134:135], v[16:17], -v[18:19]
	s_wait_loadcnt_dscnt 0x901
	v_mul_f64_e32 v[168:169], v[4:5], v[160:161]
	v_mul_f64_e32 v[160:161], v[6:7], v[160:161]
	s_wait_loadcnt_dscnt 0x800
	v_mul_f64_e32 v[136:137], v[126:127], v[14:15]
	v_add_f64_e32 v[18:19], v[152:153], v[150:151]
	v_add_f64_e32 v[134:135], v[166:167], v[172:173]
	v_mul_f64_e32 v[150:151], v[128:129], v[14:15]
	v_fmac_f64_e32 v[168:169], v[6:7], v[158:159]
	v_fma_f64 v[152:153], v[4:5], v[158:159], -v[160:161]
	v_fmac_f64_e32 v[136:137], v[128:129], v[12:13]
	v_add_f64_e32 v[18:19], v[18:19], v[16:17]
	v_add_f64_e32 v[134:135], v[134:135], v[170:171]
	ds_load_b128 v[4:7], v2 offset:1408
	ds_load_b128 v[14:17], v2 offset:1424
	v_fma_f64 v[12:13], v[126:127], v[12:13], -v[150:151]
	s_wait_loadcnt_dscnt 0x701
	v_mul_f64_e32 v[158:159], v[4:5], v[140:141]
	v_mul_f64_e32 v[140:141], v[6:7], v[140:141]
	v_add_f64_e32 v[18:19], v[18:19], v[152:153]
	v_add_f64_e32 v[126:127], v[134:135], v[168:169]
	s_wait_loadcnt_dscnt 0x600
	v_mul_f64_e32 v[134:135], v[14:15], v[22:23]
	v_mul_f64_e32 v[22:23], v[16:17], v[22:23]
	v_fmac_f64_e32 v[158:159], v[6:7], v[138:139]
	v_fma_f64 v[138:139], v[4:5], v[138:139], -v[140:141]
	v_add_f64_e32 v[12:13], v[18:19], v[12:13]
	v_add_f64_e32 v[18:19], v[126:127], v[136:137]
	ds_load_b128 v[4:7], v2 offset:1440
	ds_load_b128 v[126:129], v2 offset:1456
	v_fmac_f64_e32 v[134:135], v[16:17], v[20:21]
	v_fma_f64 v[14:15], v[14:15], v[20:21], -v[22:23]
	s_wait_loadcnt_dscnt 0x501
	v_mul_f64_e32 v[136:137], v[4:5], v[144:145]
	v_mul_f64_e32 v[140:141], v[6:7], v[144:145]
	s_wait_loadcnt_dscnt 0x400
	v_mul_f64_e32 v[20:21], v[128:129], v[124:125]
	v_add_f64_e32 v[12:13], v[12:13], v[138:139]
	v_add_f64_e32 v[16:17], v[18:19], v[158:159]
	v_mul_f64_e32 v[18:19], v[126:127], v[124:125]
	v_fmac_f64_e32 v[136:137], v[6:7], v[142:143]
	v_fma_f64 v[22:23], v[4:5], v[142:143], -v[140:141]
	v_fma_f64 v[20:21], v[126:127], v[122:123], -v[20:21]
	v_add_f64_e32 v[124:125], v[12:13], v[14:15]
	v_add_f64_e32 v[16:17], v[16:17], v[134:135]
	ds_load_b128 v[4:7], v2 offset:1472
	ds_load_b128 v[12:15], v2 offset:1488
	v_fmac_f64_e32 v[18:19], v[128:129], v[122:123]
	s_wait_loadcnt_dscnt 0x301
	v_mul_f64_e32 v[134:135], v[4:5], v[148:149]
	v_mul_f64_e32 v[138:139], v[6:7], v[148:149]
	s_wait_loadcnt_dscnt 0x200
	v_mul_f64_e32 v[122:123], v[12:13], v[132:133]
	v_add_f64_e32 v[22:23], v[124:125], v[22:23]
	v_add_f64_e32 v[16:17], v[16:17], v[136:137]
	v_mul_f64_e32 v[124:125], v[14:15], v[132:133]
	v_fmac_f64_e32 v[134:135], v[6:7], v[146:147]
	v_fma_f64 v[126:127], v[4:5], v[146:147], -v[138:139]
	v_fmac_f64_e32 v[122:123], v[14:15], v[130:131]
	v_add_f64_e32 v[20:21], v[22:23], v[20:21]
	v_add_f64_e32 v[22:23], v[16:17], v[18:19]
	ds_load_b128 v[4:7], v2 offset:1504
	ds_load_b128 v[16:19], v2 offset:1520
	v_fma_f64 v[12:13], v[12:13], v[130:131], -v[124:125]
	s_wait_loadcnt_dscnt 0x101
	v_mul_f64_e32 v[2:3], v[4:5], v[164:165]
	v_mul_f64_e32 v[128:129], v[6:7], v[164:165]
	v_add_f64_e32 v[14:15], v[20:21], v[126:127]
	v_add_f64_e32 v[20:21], v[22:23], v[134:135]
	s_wait_loadcnt_dscnt 0x0
	v_mul_f64_e32 v[22:23], v[16:17], v[10:11]
	v_mul_f64_e32 v[10:11], v[18:19], v[10:11]
	v_fmac_f64_e32 v[2:3], v[6:7], v[162:163]
	v_fma_f64 v[4:5], v[4:5], v[162:163], -v[128:129]
	v_add_f64_e32 v[6:7], v[14:15], v[12:13]
	v_add_f64_e32 v[12:13], v[20:21], v[122:123]
	v_fmac_f64_e32 v[22:23], v[18:19], v[8:9]
	v_fma_f64 v[8:9], v[16:17], v[8:9], -v[10:11]
	s_delay_alu instid0(VALU_DEP_4) | instskip(NEXT) | instid1(VALU_DEP_4)
	v_add_f64_e32 v[4:5], v[6:7], v[4:5]
	v_add_f64_e32 v[2:3], v[12:13], v[2:3]
	s_delay_alu instid0(VALU_DEP_2) | instskip(NEXT) | instid1(VALU_DEP_2)
	v_add_f64_e32 v[4:5], v[4:5], v[8:9]
	v_add_f64_e32 v[6:7], v[2:3], v[22:23]
	s_delay_alu instid0(VALU_DEP_2) | instskip(NEXT) | instid1(VALU_DEP_2)
	v_add_f64_e64 v[2:3], v[154:155], -v[4:5]
	v_add_f64_e64 v[4:5], v[156:157], -v[6:7]
	scratch_store_b128 off, v[2:5], off offset:144
	s_wait_xcnt 0x0
	v_cmpx_lt_u32_e32 8, v1
	s_cbranch_execz .LBB111_285
; %bb.284:
	scratch_load_b128 v[2:5], off, s56
	v_mov_b32_e32 v6, 0
	s_delay_alu instid0(VALU_DEP_1)
	v_dual_mov_b32 v7, v6 :: v_dual_mov_b32 v8, v6
	v_mov_b32_e32 v9, v6
	scratch_store_b128 off, v[6:9], off offset:128
	s_wait_loadcnt 0x0
	ds_store_b128 v120, v[2:5]
.LBB111_285:
	s_wait_xcnt 0x0
	s_or_b32 exec_lo, exec_lo, s2
	s_wait_storecnt_dscnt 0x0
	s_barrier_signal -1
	s_barrier_wait -1
	s_clause 0x9
	scratch_load_b128 v[4:7], off, off offset:144
	scratch_load_b128 v[8:11], off, off offset:160
	;; [unrolled: 1-line block ×10, first 2 shown]
	v_mov_b32_e32 v2, 0
	s_mov_b32 s2, exec_lo
	ds_load_b128 v[142:145], v2 offset:912
	s_clause 0x2
	scratch_load_b128 v[146:149], off, off offset:304
	scratch_load_b128 v[150:153], off, off offset:128
	;; [unrolled: 1-line block ×3, first 2 shown]
	s_wait_loadcnt_dscnt 0xc00
	v_mul_f64_e32 v[162:163], v[144:145], v[6:7]
	v_mul_f64_e32 v[166:167], v[142:143], v[6:7]
	ds_load_b128 v[154:157], v2 offset:928
	v_fma_f64 v[170:171], v[142:143], v[4:5], -v[162:163]
	v_fmac_f64_e32 v[166:167], v[144:145], v[4:5]
	ds_load_b128 v[4:7], v2 offset:944
	s_wait_loadcnt_dscnt 0xb01
	v_mul_f64_e32 v[168:169], v[154:155], v[10:11]
	v_mul_f64_e32 v[10:11], v[156:157], v[10:11]
	scratch_load_b128 v[142:145], off, off offset:336
	ds_load_b128 v[162:165], v2 offset:960
	s_wait_loadcnt_dscnt 0xb01
	v_mul_f64_e32 v[172:173], v[4:5], v[14:15]
	v_mul_f64_e32 v[14:15], v[6:7], v[14:15]
	v_add_f64_e32 v[166:167], 0, v[166:167]
	v_fmac_f64_e32 v[168:169], v[156:157], v[8:9]
	v_fma_f64 v[154:155], v[154:155], v[8:9], -v[10:11]
	v_add_f64_e32 v[156:157], 0, v[170:171]
	scratch_load_b128 v[8:11], off, off offset:352
	v_fmac_f64_e32 v[172:173], v[6:7], v[12:13]
	v_fma_f64 v[174:175], v[4:5], v[12:13], -v[14:15]
	ds_load_b128 v[4:7], v2 offset:976
	s_wait_loadcnt_dscnt 0xb01
	v_mul_f64_e32 v[170:171], v[162:163], v[18:19]
	v_mul_f64_e32 v[18:19], v[164:165], v[18:19]
	scratch_load_b128 v[12:15], off, off offset:368
	v_add_f64_e32 v[166:167], v[166:167], v[168:169]
	v_add_f64_e32 v[176:177], v[156:157], v[154:155]
	ds_load_b128 v[154:157], v2 offset:992
	s_wait_loadcnt_dscnt 0xb01
	v_mul_f64_e32 v[168:169], v[4:5], v[22:23]
	v_mul_f64_e32 v[22:23], v[6:7], v[22:23]
	v_fmac_f64_e32 v[170:171], v[164:165], v[16:17]
	v_fma_f64 v[162:163], v[162:163], v[16:17], -v[18:19]
	scratch_load_b128 v[16:19], off, off offset:384
	v_add_f64_e32 v[166:167], v[166:167], v[172:173]
	v_add_f64_e32 v[164:165], v[176:177], v[174:175]
	v_fmac_f64_e32 v[168:169], v[6:7], v[20:21]
	v_fma_f64 v[174:175], v[4:5], v[20:21], -v[22:23]
	ds_load_b128 v[4:7], v2 offset:1008
	s_wait_loadcnt_dscnt 0xb01
	v_mul_f64_e32 v[172:173], v[154:155], v[124:125]
	v_mul_f64_e32 v[124:125], v[156:157], v[124:125]
	scratch_load_b128 v[20:23], off, off offset:400
	v_add_f64_e32 v[166:167], v[166:167], v[170:171]
	s_wait_loadcnt_dscnt 0xb00
	v_mul_f64_e32 v[170:171], v[4:5], v[128:129]
	v_add_f64_e32 v[176:177], v[164:165], v[162:163]
	v_mul_f64_e32 v[128:129], v[6:7], v[128:129]
	ds_load_b128 v[162:165], v2 offset:1024
	v_fmac_f64_e32 v[172:173], v[156:157], v[122:123]
	v_fma_f64 v[154:155], v[154:155], v[122:123], -v[124:125]
	scratch_load_b128 v[122:125], off, off offset:416
	v_add_f64_e32 v[166:167], v[166:167], v[168:169]
	v_fmac_f64_e32 v[170:171], v[6:7], v[126:127]
	v_add_f64_e32 v[156:157], v[176:177], v[174:175]
	v_fma_f64 v[174:175], v[4:5], v[126:127], -v[128:129]
	ds_load_b128 v[4:7], v2 offset:1040
	s_wait_loadcnt_dscnt 0xb01
	v_mul_f64_e32 v[168:169], v[162:163], v[132:133]
	v_mul_f64_e32 v[132:133], v[164:165], v[132:133]
	scratch_load_b128 v[126:129], off, off offset:432
	v_add_f64_e32 v[166:167], v[166:167], v[172:173]
	s_wait_loadcnt_dscnt 0xb00
	v_mul_f64_e32 v[172:173], v[4:5], v[136:137]
	v_add_f64_e32 v[176:177], v[156:157], v[154:155]
	v_mul_f64_e32 v[136:137], v[6:7], v[136:137]
	ds_load_b128 v[154:157], v2 offset:1056
	v_fmac_f64_e32 v[168:169], v[164:165], v[130:131]
	v_fma_f64 v[162:163], v[162:163], v[130:131], -v[132:133]
	scratch_load_b128 v[130:133], off, off offset:448
	v_add_f64_e32 v[166:167], v[166:167], v[170:171]
	v_fmac_f64_e32 v[172:173], v[6:7], v[134:135]
	v_add_f64_e32 v[164:165], v[176:177], v[174:175]
	;; [unrolled: 18-line block ×3, first 2 shown]
	v_fma_f64 v[174:175], v[4:5], v[146:147], -v[148:149]
	ds_load_b128 v[4:7], v2 offset:1104
	s_wait_loadcnt_dscnt 0xa01
	v_mul_f64_e32 v[172:173], v[162:163], v[160:161]
	v_mul_f64_e32 v[160:161], v[164:165], v[160:161]
	scratch_load_b128 v[146:149], off, off offset:496
	v_add_f64_e32 v[166:167], v[166:167], v[170:171]
	v_add_f64_e32 v[176:177], v[156:157], v[154:155]
	s_wait_loadcnt_dscnt 0xa00
	v_mul_f64_e32 v[170:171], v[4:5], v[144:145]
	v_mul_f64_e32 v[144:145], v[6:7], v[144:145]
	v_fmac_f64_e32 v[172:173], v[164:165], v[158:159]
	v_fma_f64 v[162:163], v[162:163], v[158:159], -v[160:161]
	ds_load_b128 v[154:157], v2 offset:1120
	scratch_load_b128 v[158:161], off, off offset:512
	v_add_f64_e32 v[166:167], v[166:167], v[168:169]
	v_add_f64_e32 v[164:165], v[176:177], v[174:175]
	v_fmac_f64_e32 v[170:171], v[6:7], v[142:143]
	v_fma_f64 v[174:175], v[4:5], v[142:143], -v[144:145]
	ds_load_b128 v[4:7], v2 offset:1136
	s_wait_loadcnt_dscnt 0xa01
	v_mul_f64_e32 v[168:169], v[154:155], v[10:11]
	v_mul_f64_e32 v[10:11], v[156:157], v[10:11]
	scratch_load_b128 v[142:145], off, off offset:528
	v_add_f64_e32 v[166:167], v[166:167], v[172:173]
	s_wait_loadcnt_dscnt 0xa00
	v_mul_f64_e32 v[172:173], v[4:5], v[14:15]
	v_add_f64_e32 v[176:177], v[164:165], v[162:163]
	v_mul_f64_e32 v[14:15], v[6:7], v[14:15]
	ds_load_b128 v[162:165], v2 offset:1152
	v_fmac_f64_e32 v[168:169], v[156:157], v[8:9]
	v_fma_f64 v[154:155], v[154:155], v[8:9], -v[10:11]
	scratch_load_b128 v[8:11], off, off offset:544
	v_add_f64_e32 v[166:167], v[166:167], v[170:171]
	v_fmac_f64_e32 v[172:173], v[6:7], v[12:13]
	v_add_f64_e32 v[156:157], v[176:177], v[174:175]
	v_fma_f64 v[174:175], v[4:5], v[12:13], -v[14:15]
	ds_load_b128 v[4:7], v2 offset:1168
	s_wait_loadcnt_dscnt 0xa01
	v_mul_f64_e32 v[170:171], v[162:163], v[18:19]
	v_mul_f64_e32 v[18:19], v[164:165], v[18:19]
	scratch_load_b128 v[12:15], off, off offset:560
	v_add_f64_e32 v[166:167], v[166:167], v[168:169]
	s_wait_loadcnt_dscnt 0xa00
	v_mul_f64_e32 v[168:169], v[4:5], v[22:23]
	v_add_f64_e32 v[176:177], v[156:157], v[154:155]
	v_mul_f64_e32 v[22:23], v[6:7], v[22:23]
	ds_load_b128 v[154:157], v2 offset:1184
	v_fmac_f64_e32 v[170:171], v[164:165], v[16:17]
	v_fma_f64 v[162:163], v[162:163], v[16:17], -v[18:19]
	scratch_load_b128 v[16:19], off, off offset:576
	v_add_f64_e32 v[166:167], v[166:167], v[172:173]
	v_fmac_f64_e32 v[168:169], v[6:7], v[20:21]
	v_add_f64_e32 v[164:165], v[176:177], v[174:175]
	;; [unrolled: 18-line block ×7, first 2 shown]
	v_fma_f64 v[174:175], v[4:5], v[12:13], -v[14:15]
	ds_load_b128 v[4:7], v2 offset:1360
	s_wait_loadcnt_dscnt 0xa01
	v_mul_f64_e32 v[170:171], v[162:163], v[18:19]
	v_mul_f64_e32 v[18:19], v[164:165], v[18:19]
	scratch_load_b128 v[12:15], off, off offset:752
	v_add_f64_e32 v[166:167], v[166:167], v[168:169]
	s_wait_loadcnt_dscnt 0xa00
	v_mul_f64_e32 v[168:169], v[4:5], v[22:23]
	v_add_f64_e32 v[176:177], v[156:157], v[154:155]
	v_mul_f64_e32 v[22:23], v[6:7], v[22:23]
	ds_load_b128 v[154:157], v2 offset:1376
	v_fmac_f64_e32 v[170:171], v[164:165], v[16:17]
	v_fma_f64 v[16:17], v[162:163], v[16:17], -v[18:19]
	s_wait_loadcnt_dscnt 0x900
	v_mul_f64_e32 v[164:165], v[154:155], v[124:125]
	v_mul_f64_e32 v[124:125], v[156:157], v[124:125]
	v_add_f64_e32 v[162:163], v[166:167], v[172:173]
	v_fmac_f64_e32 v[168:169], v[6:7], v[20:21]
	v_add_f64_e32 v[18:19], v[176:177], v[174:175]
	v_fma_f64 v[20:21], v[4:5], v[20:21], -v[22:23]
	v_fmac_f64_e32 v[164:165], v[156:157], v[122:123]
	v_fma_f64 v[122:123], v[154:155], v[122:123], -v[124:125]
	v_add_f64_e32 v[162:163], v[162:163], v[170:171]
	v_add_f64_e32 v[22:23], v[18:19], v[16:17]
	ds_load_b128 v[4:7], v2 offset:1392
	ds_load_b128 v[16:19], v2 offset:1408
	s_wait_loadcnt_dscnt 0x801
	v_mul_f64_e32 v[166:167], v[4:5], v[128:129]
	v_mul_f64_e32 v[128:129], v[6:7], v[128:129]
	s_wait_loadcnt_dscnt 0x700
	v_mul_f64_e32 v[124:125], v[16:17], v[132:133]
	v_mul_f64_e32 v[132:133], v[18:19], v[132:133]
	v_add_f64_e32 v[20:21], v[22:23], v[20:21]
	v_add_f64_e32 v[22:23], v[162:163], v[168:169]
	v_fmac_f64_e32 v[166:167], v[6:7], v[126:127]
	v_fma_f64 v[126:127], v[4:5], v[126:127], -v[128:129]
	v_fmac_f64_e32 v[124:125], v[18:19], v[130:131]
	v_fma_f64 v[16:17], v[16:17], v[130:131], -v[132:133]
	v_add_f64_e32 v[122:123], v[20:21], v[122:123]
	v_add_f64_e32 v[128:129], v[22:23], v[164:165]
	ds_load_b128 v[4:7], v2 offset:1424
	ds_load_b128 v[20:23], v2 offset:1440
	s_wait_loadcnt_dscnt 0x601
	v_mul_f64_e32 v[154:155], v[4:5], v[136:137]
	v_mul_f64_e32 v[136:137], v[6:7], v[136:137]
	v_add_f64_e32 v[18:19], v[122:123], v[126:127]
	v_add_f64_e32 v[122:123], v[128:129], v[166:167]
	s_wait_loadcnt_dscnt 0x500
	v_mul_f64_e32 v[126:127], v[20:21], v[140:141]
	v_mul_f64_e32 v[128:129], v[22:23], v[140:141]
	v_fmac_f64_e32 v[154:155], v[6:7], v[134:135]
	v_fma_f64 v[130:131], v[4:5], v[134:135], -v[136:137]
	v_add_f64_e32 v[132:133], v[18:19], v[16:17]
	v_add_f64_e32 v[122:123], v[122:123], v[124:125]
	ds_load_b128 v[4:7], v2 offset:1456
	ds_load_b128 v[16:19], v2 offset:1472
	v_fmac_f64_e32 v[126:127], v[22:23], v[138:139]
	v_fma_f64 v[20:21], v[20:21], v[138:139], -v[128:129]
	s_wait_loadcnt_dscnt 0x401
	v_mul_f64_e32 v[124:125], v[4:5], v[148:149]
	v_mul_f64_e32 v[134:135], v[6:7], v[148:149]
	s_wait_loadcnt_dscnt 0x300
	v_mul_f64_e32 v[128:129], v[16:17], v[160:161]
	v_add_f64_e32 v[22:23], v[132:133], v[130:131]
	v_add_f64_e32 v[122:123], v[122:123], v[154:155]
	v_mul_f64_e32 v[130:131], v[18:19], v[160:161]
	v_fmac_f64_e32 v[124:125], v[6:7], v[146:147]
	v_fma_f64 v[132:133], v[4:5], v[146:147], -v[134:135]
	v_fmac_f64_e32 v[128:129], v[18:19], v[158:159]
	v_add_f64_e32 v[134:135], v[22:23], v[20:21]
	v_add_f64_e32 v[122:123], v[122:123], v[126:127]
	ds_load_b128 v[4:7], v2 offset:1488
	ds_load_b128 v[20:23], v2 offset:1504
	v_fma_f64 v[16:17], v[16:17], v[158:159], -v[130:131]
	s_wait_loadcnt_dscnt 0x201
	v_mul_f64_e32 v[126:127], v[4:5], v[144:145]
	v_mul_f64_e32 v[136:137], v[6:7], v[144:145]
	v_add_f64_e32 v[18:19], v[134:135], v[132:133]
	v_add_f64_e32 v[122:123], v[122:123], v[124:125]
	s_wait_loadcnt_dscnt 0x100
	v_mul_f64_e32 v[124:125], v[20:21], v[10:11]
	v_mul_f64_e32 v[10:11], v[22:23], v[10:11]
	v_fmac_f64_e32 v[126:127], v[6:7], v[142:143]
	v_fma_f64 v[130:131], v[4:5], v[142:143], -v[136:137]
	ds_load_b128 v[4:7], v2 offset:1520
	v_add_f64_e32 v[16:17], v[18:19], v[16:17]
	v_add_f64_e32 v[18:19], v[122:123], v[128:129]
	v_fmac_f64_e32 v[124:125], v[22:23], v[8:9]
	v_fma_f64 v[8:9], v[20:21], v[8:9], -v[10:11]
	s_wait_loadcnt_dscnt 0x0
	v_mul_f64_e32 v[122:123], v[4:5], v[14:15]
	v_mul_f64_e32 v[14:15], v[6:7], v[14:15]
	v_add_f64_e32 v[10:11], v[16:17], v[130:131]
	v_add_f64_e32 v[16:17], v[18:19], v[126:127]
	s_delay_alu instid0(VALU_DEP_4) | instskip(NEXT) | instid1(VALU_DEP_4)
	v_fmac_f64_e32 v[122:123], v[6:7], v[12:13]
	v_fma_f64 v[4:5], v[4:5], v[12:13], -v[14:15]
	s_delay_alu instid0(VALU_DEP_4) | instskip(NEXT) | instid1(VALU_DEP_4)
	v_add_f64_e32 v[6:7], v[10:11], v[8:9]
	v_add_f64_e32 v[8:9], v[16:17], v[124:125]
	s_delay_alu instid0(VALU_DEP_2) | instskip(NEXT) | instid1(VALU_DEP_2)
	v_add_f64_e32 v[4:5], v[6:7], v[4:5]
	v_add_f64_e32 v[6:7], v[8:9], v[122:123]
	s_delay_alu instid0(VALU_DEP_2) | instskip(NEXT) | instid1(VALU_DEP_2)
	v_add_f64_e64 v[4:5], v[150:151], -v[4:5]
	v_add_f64_e64 v[6:7], v[152:153], -v[6:7]
	scratch_store_b128 off, v[4:7], off offset:128
	s_wait_xcnt 0x0
	v_cmpx_lt_u32_e32 7, v1
	s_cbranch_execz .LBB111_287
; %bb.286:
	scratch_load_b128 v[6:9], off, s57
	v_dual_mov_b32 v3, v2 :: v_dual_mov_b32 v4, v2
	v_mov_b32_e32 v5, v2
	scratch_store_b128 off, v[2:5], off offset:112
	s_wait_loadcnt 0x0
	ds_store_b128 v120, v[6:9]
.LBB111_287:
	s_wait_xcnt 0x0
	s_or_b32 exec_lo, exec_lo, s2
	s_wait_storecnt_dscnt 0x0
	s_barrier_signal -1
	s_barrier_wait -1
	s_clause 0x9
	scratch_load_b128 v[4:7], off, off offset:128
	scratch_load_b128 v[8:11], off, off offset:144
	;; [unrolled: 1-line block ×10, first 2 shown]
	ds_load_b128 v[142:145], v2 offset:896
	ds_load_b128 v[150:153], v2 offset:912
	s_clause 0x2
	scratch_load_b128 v[146:149], off, off offset:288
	scratch_load_b128 v[154:157], off, off offset:112
	;; [unrolled: 1-line block ×3, first 2 shown]
	s_mov_b32 s2, exec_lo
	s_wait_loadcnt_dscnt 0xc01
	v_mul_f64_e32 v[162:163], v[144:145], v[6:7]
	v_mul_f64_e32 v[166:167], v[142:143], v[6:7]
	s_wait_loadcnt_dscnt 0xb00
	v_mul_f64_e32 v[168:169], v[150:151], v[10:11]
	v_mul_f64_e32 v[10:11], v[152:153], v[10:11]
	s_delay_alu instid0(VALU_DEP_4) | instskip(NEXT) | instid1(VALU_DEP_4)
	v_fma_f64 v[170:171], v[142:143], v[4:5], -v[162:163]
	v_fmac_f64_e32 v[166:167], v[144:145], v[4:5]
	ds_load_b128 v[4:7], v2 offset:928
	ds_load_b128 v[142:145], v2 offset:944
	scratch_load_b128 v[162:165], off, off offset:320
	v_fmac_f64_e32 v[168:169], v[152:153], v[8:9]
	v_fma_f64 v[150:151], v[150:151], v[8:9], -v[10:11]
	scratch_load_b128 v[8:11], off, off offset:336
	s_wait_loadcnt_dscnt 0xc01
	v_mul_f64_e32 v[172:173], v[4:5], v[14:15]
	v_mul_f64_e32 v[14:15], v[6:7], v[14:15]
	v_add_f64_e32 v[152:153], 0, v[170:171]
	v_add_f64_e32 v[166:167], 0, v[166:167]
	s_wait_loadcnt_dscnt 0xb00
	v_mul_f64_e32 v[170:171], v[142:143], v[18:19]
	v_mul_f64_e32 v[18:19], v[144:145], v[18:19]
	v_fmac_f64_e32 v[172:173], v[6:7], v[12:13]
	v_fma_f64 v[174:175], v[4:5], v[12:13], -v[14:15]
	ds_load_b128 v[4:7], v2 offset:960
	ds_load_b128 v[12:15], v2 offset:976
	v_add_f64_e32 v[176:177], v[152:153], v[150:151]
	v_add_f64_e32 v[166:167], v[166:167], v[168:169]
	scratch_load_b128 v[150:153], off, off offset:352
	v_fmac_f64_e32 v[170:171], v[144:145], v[16:17]
	v_fma_f64 v[142:143], v[142:143], v[16:17], -v[18:19]
	scratch_load_b128 v[16:19], off, off offset:368
	s_wait_loadcnt_dscnt 0xc01
	v_mul_f64_e32 v[168:169], v[4:5], v[22:23]
	v_mul_f64_e32 v[22:23], v[6:7], v[22:23]
	v_add_f64_e32 v[144:145], v[176:177], v[174:175]
	v_add_f64_e32 v[166:167], v[166:167], v[172:173]
	s_wait_loadcnt_dscnt 0xb00
	v_mul_f64_e32 v[172:173], v[12:13], v[124:125]
	v_mul_f64_e32 v[124:125], v[14:15], v[124:125]
	v_fmac_f64_e32 v[168:169], v[6:7], v[20:21]
	v_fma_f64 v[174:175], v[4:5], v[20:21], -v[22:23]
	ds_load_b128 v[4:7], v2 offset:992
	ds_load_b128 v[20:23], v2 offset:1008
	v_add_f64_e32 v[176:177], v[144:145], v[142:143]
	v_add_f64_e32 v[166:167], v[166:167], v[170:171]
	scratch_load_b128 v[142:145], off, off offset:384
	s_wait_loadcnt_dscnt 0xb01
	v_mul_f64_e32 v[170:171], v[4:5], v[128:129]
	v_mul_f64_e32 v[128:129], v[6:7], v[128:129]
	v_fmac_f64_e32 v[172:173], v[14:15], v[122:123]
	v_fma_f64 v[122:123], v[12:13], v[122:123], -v[124:125]
	scratch_load_b128 v[12:15], off, off offset:400
	v_add_f64_e32 v[124:125], v[176:177], v[174:175]
	v_add_f64_e32 v[166:167], v[166:167], v[168:169]
	s_wait_loadcnt_dscnt 0xb00
	v_mul_f64_e32 v[168:169], v[20:21], v[132:133]
	v_mul_f64_e32 v[132:133], v[22:23], v[132:133]
	v_fmac_f64_e32 v[170:171], v[6:7], v[126:127]
	v_fma_f64 v[174:175], v[4:5], v[126:127], -v[128:129]
	v_add_f64_e32 v[176:177], v[124:125], v[122:123]
	v_add_f64_e32 v[166:167], v[166:167], v[172:173]
	ds_load_b128 v[4:7], v2 offset:1024
	ds_load_b128 v[122:125], v2 offset:1040
	scratch_load_b128 v[126:129], off, off offset:416
	v_fmac_f64_e32 v[168:169], v[22:23], v[130:131]
	v_fma_f64 v[130:131], v[20:21], v[130:131], -v[132:133]
	scratch_load_b128 v[20:23], off, off offset:432
	s_wait_loadcnt_dscnt 0xc01
	v_mul_f64_e32 v[172:173], v[4:5], v[136:137]
	v_mul_f64_e32 v[136:137], v[6:7], v[136:137]
	v_add_f64_e32 v[132:133], v[176:177], v[174:175]
	v_add_f64_e32 v[166:167], v[166:167], v[170:171]
	s_wait_loadcnt_dscnt 0xb00
	v_mul_f64_e32 v[170:171], v[122:123], v[140:141]
	v_mul_f64_e32 v[140:141], v[124:125], v[140:141]
	v_fmac_f64_e32 v[172:173], v[6:7], v[134:135]
	v_fma_f64 v[174:175], v[4:5], v[134:135], -v[136:137]
	v_add_f64_e32 v[176:177], v[132:133], v[130:131]
	v_add_f64_e32 v[166:167], v[166:167], v[168:169]
	ds_load_b128 v[4:7], v2 offset:1056
	ds_load_b128 v[130:133], v2 offset:1072
	scratch_load_b128 v[134:137], off, off offset:448
	v_fmac_f64_e32 v[170:171], v[124:125], v[138:139]
	v_fma_f64 v[138:139], v[122:123], v[138:139], -v[140:141]
	scratch_load_b128 v[122:125], off, off offset:464
	s_wait_loadcnt_dscnt 0xc01
	v_mul_f64_e32 v[168:169], v[4:5], v[148:149]
	v_mul_f64_e32 v[148:149], v[6:7], v[148:149]
	;; [unrolled: 18-line block ×5, first 2 shown]
	v_add_f64_e32 v[160:161], v[176:177], v[174:175]
	v_add_f64_e32 v[166:167], v[166:167], v[172:173]
	s_wait_loadcnt_dscnt 0xa00
	v_mul_f64_e32 v[172:173], v[138:139], v[14:15]
	v_mul_f64_e32 v[14:15], v[140:141], v[14:15]
	v_fmac_f64_e32 v[168:169], v[6:7], v[142:143]
	v_fma_f64 v[174:175], v[4:5], v[142:143], -v[144:145]
	ds_load_b128 v[4:7], v2 offset:1184
	ds_load_b128 v[142:145], v2 offset:1200
	v_add_f64_e32 v[176:177], v[160:161], v[158:159]
	v_add_f64_e32 v[166:167], v[166:167], v[170:171]
	scratch_load_b128 v[158:161], off, off offset:576
	v_fmac_f64_e32 v[172:173], v[140:141], v[12:13]
	v_fma_f64 v[138:139], v[138:139], v[12:13], -v[14:15]
	scratch_load_b128 v[12:15], off, off offset:592
	s_wait_loadcnt_dscnt 0xb01
	v_mul_f64_e32 v[170:171], v[4:5], v[128:129]
	v_mul_f64_e32 v[128:129], v[6:7], v[128:129]
	v_add_f64_e32 v[140:141], v[176:177], v[174:175]
	v_add_f64_e32 v[166:167], v[166:167], v[168:169]
	s_wait_loadcnt_dscnt 0xa00
	v_mul_f64_e32 v[168:169], v[142:143], v[22:23]
	v_mul_f64_e32 v[22:23], v[144:145], v[22:23]
	v_fmac_f64_e32 v[170:171], v[6:7], v[126:127]
	v_fma_f64 v[174:175], v[4:5], v[126:127], -v[128:129]
	ds_load_b128 v[4:7], v2 offset:1216
	ds_load_b128 v[126:129], v2 offset:1232
	v_add_f64_e32 v[176:177], v[140:141], v[138:139]
	v_add_f64_e32 v[166:167], v[166:167], v[172:173]
	scratch_load_b128 v[138:141], off, off offset:608
	s_wait_loadcnt_dscnt 0xa01
	v_mul_f64_e32 v[172:173], v[4:5], v[136:137]
	v_mul_f64_e32 v[136:137], v[6:7], v[136:137]
	v_fmac_f64_e32 v[168:169], v[144:145], v[20:21]
	v_fma_f64 v[142:143], v[142:143], v[20:21], -v[22:23]
	scratch_load_b128 v[20:23], off, off offset:624
	v_add_f64_e32 v[144:145], v[176:177], v[174:175]
	v_add_f64_e32 v[166:167], v[166:167], v[170:171]
	s_wait_loadcnt_dscnt 0xa00
	v_mul_f64_e32 v[170:171], v[126:127], v[124:125]
	v_mul_f64_e32 v[124:125], v[128:129], v[124:125]
	v_fmac_f64_e32 v[172:173], v[6:7], v[134:135]
	v_fma_f64 v[174:175], v[4:5], v[134:135], -v[136:137]
	ds_load_b128 v[4:7], v2 offset:1248
	ds_load_b128 v[134:137], v2 offset:1264
	v_add_f64_e32 v[176:177], v[144:145], v[142:143]
	v_add_f64_e32 v[166:167], v[166:167], v[168:169]
	scratch_load_b128 v[142:145], off, off offset:640
	s_wait_loadcnt_dscnt 0xa01
	v_mul_f64_e32 v[168:169], v[4:5], v[148:149]
	v_mul_f64_e32 v[148:149], v[6:7], v[148:149]
	v_fmac_f64_e32 v[170:171], v[128:129], v[122:123]
	v_fma_f64 v[126:127], v[126:127], v[122:123], -v[124:125]
	scratch_load_b128 v[122:125], off, off offset:656
	v_add_f64_e32 v[128:129], v[176:177], v[174:175]
	v_add_f64_e32 v[166:167], v[166:167], v[172:173]
	s_wait_loadcnt_dscnt 0xa00
	v_mul_f64_e32 v[172:173], v[134:135], v[132:133]
	v_mul_f64_e32 v[132:133], v[136:137], v[132:133]
	v_fmac_f64_e32 v[168:169], v[6:7], v[146:147]
	v_fma_f64 v[174:175], v[4:5], v[146:147], -v[148:149]
	v_add_f64_e32 v[176:177], v[128:129], v[126:127]
	v_add_f64_e32 v[166:167], v[166:167], v[170:171]
	ds_load_b128 v[4:7], v2 offset:1280
	ds_load_b128 v[126:129], v2 offset:1296
	scratch_load_b128 v[146:149], off, off offset:672
	v_fmac_f64_e32 v[172:173], v[136:137], v[130:131]
	v_fma_f64 v[134:135], v[134:135], v[130:131], -v[132:133]
	scratch_load_b128 v[130:133], off, off offset:688
	s_wait_loadcnt_dscnt 0xb01
	v_mul_f64_e32 v[170:171], v[4:5], v[164:165]
	v_mul_f64_e32 v[164:165], v[6:7], v[164:165]
	v_add_f64_e32 v[136:137], v[176:177], v[174:175]
	v_add_f64_e32 v[166:167], v[166:167], v[168:169]
	s_wait_loadcnt_dscnt 0xa00
	v_mul_f64_e32 v[168:169], v[126:127], v[10:11]
	v_mul_f64_e32 v[10:11], v[128:129], v[10:11]
	v_fmac_f64_e32 v[170:171], v[6:7], v[162:163]
	v_fma_f64 v[174:175], v[4:5], v[162:163], -v[164:165]
	v_add_f64_e32 v[176:177], v[136:137], v[134:135]
	v_add_f64_e32 v[166:167], v[166:167], v[172:173]
	ds_load_b128 v[4:7], v2 offset:1312
	ds_load_b128 v[134:137], v2 offset:1328
	scratch_load_b128 v[162:165], off, off offset:704
	v_fmac_f64_e32 v[168:169], v[128:129], v[8:9]
	v_fma_f64 v[126:127], v[126:127], v[8:9], -v[10:11]
	scratch_load_b128 v[8:11], off, off offset:720
	s_wait_loadcnt_dscnt 0xb01
	v_mul_f64_e32 v[172:173], v[4:5], v[152:153]
	v_mul_f64_e32 v[152:153], v[6:7], v[152:153]
	;; [unrolled: 18-line block ×3, first 2 shown]
	v_add_f64_e32 v[136:137], v[176:177], v[174:175]
	v_add_f64_e32 v[166:167], v[166:167], v[172:173]
	s_wait_loadcnt_dscnt 0xa00
	v_mul_f64_e32 v[172:173], v[126:127], v[14:15]
	v_mul_f64_e32 v[14:15], v[128:129], v[14:15]
	v_fmac_f64_e32 v[168:169], v[6:7], v[158:159]
	v_fma_f64 v[158:159], v[4:5], v[158:159], -v[160:161]
	v_add_f64_e32 v[160:161], v[136:137], v[134:135]
	v_add_f64_e32 v[166:167], v[166:167], v[170:171]
	ds_load_b128 v[4:7], v2 offset:1376
	ds_load_b128 v[134:137], v2 offset:1392
	v_fmac_f64_e32 v[172:173], v[128:129], v[12:13]
	v_fma_f64 v[12:13], v[126:127], v[12:13], -v[14:15]
	s_wait_loadcnt_dscnt 0x901
	v_mul_f64_e32 v[170:171], v[4:5], v[140:141]
	v_mul_f64_e32 v[140:141], v[6:7], v[140:141]
	s_wait_loadcnt_dscnt 0x800
	v_mul_f64_e32 v[128:129], v[134:135], v[22:23]
	v_mul_f64_e32 v[22:23], v[136:137], v[22:23]
	v_add_f64_e32 v[14:15], v[160:161], v[158:159]
	v_add_f64_e32 v[126:127], v[166:167], v[168:169]
	v_fmac_f64_e32 v[170:171], v[6:7], v[138:139]
	v_fma_f64 v[138:139], v[4:5], v[138:139], -v[140:141]
	v_fmac_f64_e32 v[128:129], v[136:137], v[20:21]
	v_fma_f64 v[20:21], v[134:135], v[20:21], -v[22:23]
	v_add_f64_e32 v[140:141], v[14:15], v[12:13]
	v_add_f64_e32 v[126:127], v[126:127], v[172:173]
	ds_load_b128 v[4:7], v2 offset:1408
	ds_load_b128 v[12:15], v2 offset:1424
	s_wait_loadcnt_dscnt 0x701
	v_mul_f64_e32 v[158:159], v[4:5], v[144:145]
	v_mul_f64_e32 v[144:145], v[6:7], v[144:145]
	s_wait_loadcnt_dscnt 0x600
	v_mul_f64_e32 v[134:135], v[12:13], v[124:125]
	v_mul_f64_e32 v[124:125], v[14:15], v[124:125]
	v_add_f64_e32 v[22:23], v[140:141], v[138:139]
	v_add_f64_e32 v[126:127], v[126:127], v[170:171]
	v_fmac_f64_e32 v[158:159], v[6:7], v[142:143]
	v_fma_f64 v[136:137], v[4:5], v[142:143], -v[144:145]
	v_fmac_f64_e32 v[134:135], v[14:15], v[122:123]
	v_fma_f64 v[12:13], v[12:13], v[122:123], -v[124:125]
	v_add_f64_e32 v[138:139], v[22:23], v[20:21]
	v_add_f64_e32 v[126:127], v[126:127], v[128:129]
	ds_load_b128 v[4:7], v2 offset:1440
	ds_load_b128 v[20:23], v2 offset:1456
	s_wait_loadcnt_dscnt 0x501
	v_mul_f64_e32 v[128:129], v[4:5], v[148:149]
	v_mul_f64_e32 v[140:141], v[6:7], v[148:149]
	s_wait_loadcnt_dscnt 0x400
	v_mul_f64_e32 v[124:125], v[20:21], v[132:133]
	v_add_f64_e32 v[14:15], v[138:139], v[136:137]
	v_add_f64_e32 v[122:123], v[126:127], v[158:159]
	v_mul_f64_e32 v[126:127], v[22:23], v[132:133]
	v_fmac_f64_e32 v[128:129], v[6:7], v[146:147]
	v_fma_f64 v[132:133], v[4:5], v[146:147], -v[140:141]
	v_fmac_f64_e32 v[124:125], v[22:23], v[130:131]
	v_add_f64_e32 v[136:137], v[14:15], v[12:13]
	v_add_f64_e32 v[122:123], v[122:123], v[134:135]
	ds_load_b128 v[4:7], v2 offset:1472
	ds_load_b128 v[12:15], v2 offset:1488
	v_fma_f64 v[20:21], v[20:21], v[130:131], -v[126:127]
	s_wait_loadcnt_dscnt 0x301
	v_mul_f64_e32 v[134:135], v[4:5], v[164:165]
	v_mul_f64_e32 v[138:139], v[6:7], v[164:165]
	s_wait_loadcnt_dscnt 0x200
	v_mul_f64_e32 v[126:127], v[12:13], v[10:11]
	v_mul_f64_e32 v[10:11], v[14:15], v[10:11]
	v_add_f64_e32 v[22:23], v[136:137], v[132:133]
	v_add_f64_e32 v[122:123], v[122:123], v[128:129]
	v_fmac_f64_e32 v[134:135], v[6:7], v[162:163]
	v_fma_f64 v[128:129], v[4:5], v[162:163], -v[138:139]
	v_fmac_f64_e32 v[126:127], v[14:15], v[8:9]
	v_fma_f64 v[8:9], v[12:13], v[8:9], -v[10:11]
	v_add_f64_e32 v[130:131], v[22:23], v[20:21]
	v_add_f64_e32 v[122:123], v[122:123], v[124:125]
	ds_load_b128 v[4:7], v2 offset:1504
	ds_load_b128 v[20:23], v2 offset:1520
	s_wait_loadcnt_dscnt 0x101
	v_mul_f64_e32 v[2:3], v[4:5], v[152:153]
	v_mul_f64_e32 v[124:125], v[6:7], v[152:153]
	s_wait_loadcnt_dscnt 0x0
	v_mul_f64_e32 v[14:15], v[20:21], v[18:19]
	v_mul_f64_e32 v[18:19], v[22:23], v[18:19]
	v_add_f64_e32 v[10:11], v[130:131], v[128:129]
	v_add_f64_e32 v[12:13], v[122:123], v[134:135]
	v_fmac_f64_e32 v[2:3], v[6:7], v[150:151]
	v_fma_f64 v[4:5], v[4:5], v[150:151], -v[124:125]
	v_fmac_f64_e32 v[14:15], v[22:23], v[16:17]
	v_add_f64_e32 v[6:7], v[10:11], v[8:9]
	v_add_f64_e32 v[8:9], v[12:13], v[126:127]
	v_fma_f64 v[10:11], v[20:21], v[16:17], -v[18:19]
	s_delay_alu instid0(VALU_DEP_3) | instskip(NEXT) | instid1(VALU_DEP_3)
	v_add_f64_e32 v[4:5], v[6:7], v[4:5]
	v_add_f64_e32 v[2:3], v[8:9], v[2:3]
	s_delay_alu instid0(VALU_DEP_2) | instskip(NEXT) | instid1(VALU_DEP_2)
	v_add_f64_e32 v[4:5], v[4:5], v[10:11]
	v_add_f64_e32 v[6:7], v[2:3], v[14:15]
	s_delay_alu instid0(VALU_DEP_2) | instskip(NEXT) | instid1(VALU_DEP_2)
	v_add_f64_e64 v[2:3], v[154:155], -v[4:5]
	v_add_f64_e64 v[4:5], v[156:157], -v[6:7]
	scratch_store_b128 off, v[2:5], off offset:112
	s_wait_xcnt 0x0
	v_cmpx_lt_u32_e32 6, v1
	s_cbranch_execz .LBB111_289
; %bb.288:
	scratch_load_b128 v[2:5], off, s58
	v_mov_b32_e32 v6, 0
	s_delay_alu instid0(VALU_DEP_1)
	v_dual_mov_b32 v7, v6 :: v_dual_mov_b32 v8, v6
	v_mov_b32_e32 v9, v6
	scratch_store_b128 off, v[6:9], off offset:96
	s_wait_loadcnt 0x0
	ds_store_b128 v120, v[2:5]
.LBB111_289:
	s_wait_xcnt 0x0
	s_or_b32 exec_lo, exec_lo, s2
	s_wait_storecnt_dscnt 0x0
	s_barrier_signal -1
	s_barrier_wait -1
	s_clause 0x9
	scratch_load_b128 v[4:7], off, off offset:112
	scratch_load_b128 v[8:11], off, off offset:128
	;; [unrolled: 1-line block ×10, first 2 shown]
	v_mov_b32_e32 v2, 0
	s_mov_b32 s2, exec_lo
	ds_load_b128 v[142:145], v2 offset:880
	s_clause 0x2
	scratch_load_b128 v[146:149], off, off offset:272
	scratch_load_b128 v[150:153], off, off offset:96
	;; [unrolled: 1-line block ×3, first 2 shown]
	s_wait_loadcnt_dscnt 0xc00
	v_mul_f64_e32 v[162:163], v[144:145], v[6:7]
	v_mul_f64_e32 v[166:167], v[142:143], v[6:7]
	ds_load_b128 v[154:157], v2 offset:896
	v_fma_f64 v[170:171], v[142:143], v[4:5], -v[162:163]
	v_fmac_f64_e32 v[166:167], v[144:145], v[4:5]
	ds_load_b128 v[4:7], v2 offset:912
	s_wait_loadcnt_dscnt 0xb01
	v_mul_f64_e32 v[168:169], v[154:155], v[10:11]
	v_mul_f64_e32 v[10:11], v[156:157], v[10:11]
	scratch_load_b128 v[142:145], off, off offset:304
	ds_load_b128 v[162:165], v2 offset:928
	s_wait_loadcnt_dscnt 0xb01
	v_mul_f64_e32 v[172:173], v[4:5], v[14:15]
	v_mul_f64_e32 v[14:15], v[6:7], v[14:15]
	v_add_f64_e32 v[166:167], 0, v[166:167]
	v_fmac_f64_e32 v[168:169], v[156:157], v[8:9]
	v_fma_f64 v[154:155], v[154:155], v[8:9], -v[10:11]
	v_add_f64_e32 v[156:157], 0, v[170:171]
	scratch_load_b128 v[8:11], off, off offset:320
	v_fmac_f64_e32 v[172:173], v[6:7], v[12:13]
	v_fma_f64 v[174:175], v[4:5], v[12:13], -v[14:15]
	ds_load_b128 v[4:7], v2 offset:944
	s_wait_loadcnt_dscnt 0xb01
	v_mul_f64_e32 v[170:171], v[162:163], v[18:19]
	v_mul_f64_e32 v[18:19], v[164:165], v[18:19]
	scratch_load_b128 v[12:15], off, off offset:336
	v_add_f64_e32 v[166:167], v[166:167], v[168:169]
	v_add_f64_e32 v[176:177], v[156:157], v[154:155]
	ds_load_b128 v[154:157], v2 offset:960
	s_wait_loadcnt_dscnt 0xb01
	v_mul_f64_e32 v[168:169], v[4:5], v[22:23]
	v_mul_f64_e32 v[22:23], v[6:7], v[22:23]
	v_fmac_f64_e32 v[170:171], v[164:165], v[16:17]
	v_fma_f64 v[162:163], v[162:163], v[16:17], -v[18:19]
	scratch_load_b128 v[16:19], off, off offset:352
	v_add_f64_e32 v[166:167], v[166:167], v[172:173]
	v_add_f64_e32 v[164:165], v[176:177], v[174:175]
	v_fmac_f64_e32 v[168:169], v[6:7], v[20:21]
	v_fma_f64 v[174:175], v[4:5], v[20:21], -v[22:23]
	ds_load_b128 v[4:7], v2 offset:976
	s_wait_loadcnt_dscnt 0xb01
	v_mul_f64_e32 v[172:173], v[154:155], v[124:125]
	v_mul_f64_e32 v[124:125], v[156:157], v[124:125]
	scratch_load_b128 v[20:23], off, off offset:368
	v_add_f64_e32 v[166:167], v[166:167], v[170:171]
	s_wait_loadcnt_dscnt 0xb00
	v_mul_f64_e32 v[170:171], v[4:5], v[128:129]
	v_add_f64_e32 v[176:177], v[164:165], v[162:163]
	v_mul_f64_e32 v[128:129], v[6:7], v[128:129]
	ds_load_b128 v[162:165], v2 offset:992
	v_fmac_f64_e32 v[172:173], v[156:157], v[122:123]
	v_fma_f64 v[154:155], v[154:155], v[122:123], -v[124:125]
	scratch_load_b128 v[122:125], off, off offset:384
	v_add_f64_e32 v[166:167], v[166:167], v[168:169]
	v_fmac_f64_e32 v[170:171], v[6:7], v[126:127]
	v_add_f64_e32 v[156:157], v[176:177], v[174:175]
	v_fma_f64 v[174:175], v[4:5], v[126:127], -v[128:129]
	ds_load_b128 v[4:7], v2 offset:1008
	s_wait_loadcnt_dscnt 0xb01
	v_mul_f64_e32 v[168:169], v[162:163], v[132:133]
	v_mul_f64_e32 v[132:133], v[164:165], v[132:133]
	scratch_load_b128 v[126:129], off, off offset:400
	v_add_f64_e32 v[166:167], v[166:167], v[172:173]
	s_wait_loadcnt_dscnt 0xb00
	v_mul_f64_e32 v[172:173], v[4:5], v[136:137]
	v_add_f64_e32 v[176:177], v[156:157], v[154:155]
	v_mul_f64_e32 v[136:137], v[6:7], v[136:137]
	ds_load_b128 v[154:157], v2 offset:1024
	v_fmac_f64_e32 v[168:169], v[164:165], v[130:131]
	v_fma_f64 v[162:163], v[162:163], v[130:131], -v[132:133]
	scratch_load_b128 v[130:133], off, off offset:416
	v_add_f64_e32 v[166:167], v[166:167], v[170:171]
	v_fmac_f64_e32 v[172:173], v[6:7], v[134:135]
	v_add_f64_e32 v[164:165], v[176:177], v[174:175]
	;; [unrolled: 18-line block ×3, first 2 shown]
	v_fma_f64 v[174:175], v[4:5], v[146:147], -v[148:149]
	ds_load_b128 v[4:7], v2 offset:1072
	s_wait_loadcnt_dscnt 0xa01
	v_mul_f64_e32 v[172:173], v[162:163], v[160:161]
	v_mul_f64_e32 v[160:161], v[164:165], v[160:161]
	scratch_load_b128 v[146:149], off, off offset:464
	v_add_f64_e32 v[166:167], v[166:167], v[170:171]
	v_add_f64_e32 v[176:177], v[156:157], v[154:155]
	s_wait_loadcnt_dscnt 0xa00
	v_mul_f64_e32 v[170:171], v[4:5], v[144:145]
	v_mul_f64_e32 v[144:145], v[6:7], v[144:145]
	v_fmac_f64_e32 v[172:173], v[164:165], v[158:159]
	v_fma_f64 v[162:163], v[162:163], v[158:159], -v[160:161]
	ds_load_b128 v[154:157], v2 offset:1088
	scratch_load_b128 v[158:161], off, off offset:480
	v_add_f64_e32 v[166:167], v[166:167], v[168:169]
	v_add_f64_e32 v[164:165], v[176:177], v[174:175]
	v_fmac_f64_e32 v[170:171], v[6:7], v[142:143]
	v_fma_f64 v[174:175], v[4:5], v[142:143], -v[144:145]
	ds_load_b128 v[4:7], v2 offset:1104
	s_wait_loadcnt_dscnt 0xa01
	v_mul_f64_e32 v[168:169], v[154:155], v[10:11]
	v_mul_f64_e32 v[10:11], v[156:157], v[10:11]
	scratch_load_b128 v[142:145], off, off offset:496
	v_add_f64_e32 v[166:167], v[166:167], v[172:173]
	s_wait_loadcnt_dscnt 0xa00
	v_mul_f64_e32 v[172:173], v[4:5], v[14:15]
	v_add_f64_e32 v[176:177], v[164:165], v[162:163]
	v_mul_f64_e32 v[14:15], v[6:7], v[14:15]
	ds_load_b128 v[162:165], v2 offset:1120
	v_fmac_f64_e32 v[168:169], v[156:157], v[8:9]
	v_fma_f64 v[154:155], v[154:155], v[8:9], -v[10:11]
	scratch_load_b128 v[8:11], off, off offset:512
	v_add_f64_e32 v[166:167], v[166:167], v[170:171]
	v_fmac_f64_e32 v[172:173], v[6:7], v[12:13]
	v_add_f64_e32 v[156:157], v[176:177], v[174:175]
	v_fma_f64 v[174:175], v[4:5], v[12:13], -v[14:15]
	ds_load_b128 v[4:7], v2 offset:1136
	s_wait_loadcnt_dscnt 0xa01
	v_mul_f64_e32 v[170:171], v[162:163], v[18:19]
	v_mul_f64_e32 v[18:19], v[164:165], v[18:19]
	scratch_load_b128 v[12:15], off, off offset:528
	v_add_f64_e32 v[166:167], v[166:167], v[168:169]
	s_wait_loadcnt_dscnt 0xa00
	v_mul_f64_e32 v[168:169], v[4:5], v[22:23]
	v_add_f64_e32 v[176:177], v[156:157], v[154:155]
	v_mul_f64_e32 v[22:23], v[6:7], v[22:23]
	ds_load_b128 v[154:157], v2 offset:1152
	v_fmac_f64_e32 v[170:171], v[164:165], v[16:17]
	v_fma_f64 v[162:163], v[162:163], v[16:17], -v[18:19]
	scratch_load_b128 v[16:19], off, off offset:544
	v_add_f64_e32 v[166:167], v[166:167], v[172:173]
	v_fmac_f64_e32 v[168:169], v[6:7], v[20:21]
	v_add_f64_e32 v[164:165], v[176:177], v[174:175]
	;; [unrolled: 18-line block ×8, first 2 shown]
	v_fma_f64 v[174:175], v[4:5], v[20:21], -v[22:23]
	ds_load_b128 v[4:7], v2 offset:1360
	s_wait_loadcnt_dscnt 0xa01
	v_mul_f64_e32 v[172:173], v[154:155], v[124:125]
	v_mul_f64_e32 v[124:125], v[156:157], v[124:125]
	scratch_load_b128 v[20:23], off, off offset:752
	v_add_f64_e32 v[166:167], v[166:167], v[170:171]
	s_wait_loadcnt_dscnt 0xa00
	v_mul_f64_e32 v[170:171], v[4:5], v[128:129]
	v_add_f64_e32 v[176:177], v[164:165], v[162:163]
	v_mul_f64_e32 v[128:129], v[6:7], v[128:129]
	ds_load_b128 v[162:165], v2 offset:1376
	v_fmac_f64_e32 v[172:173], v[156:157], v[122:123]
	v_fma_f64 v[122:123], v[154:155], v[122:123], -v[124:125]
	s_wait_loadcnt_dscnt 0x900
	v_mul_f64_e32 v[156:157], v[162:163], v[132:133]
	v_mul_f64_e32 v[132:133], v[164:165], v[132:133]
	v_add_f64_e32 v[154:155], v[166:167], v[168:169]
	v_fmac_f64_e32 v[170:171], v[6:7], v[126:127]
	v_add_f64_e32 v[124:125], v[176:177], v[174:175]
	v_fma_f64 v[126:127], v[4:5], v[126:127], -v[128:129]
	v_fmac_f64_e32 v[156:157], v[164:165], v[130:131]
	v_fma_f64 v[130:131], v[162:163], v[130:131], -v[132:133]
	v_add_f64_e32 v[154:155], v[154:155], v[172:173]
	v_add_f64_e32 v[128:129], v[124:125], v[122:123]
	ds_load_b128 v[4:7], v2 offset:1392
	ds_load_b128 v[122:125], v2 offset:1408
	s_wait_loadcnt_dscnt 0x801
	v_mul_f64_e32 v[166:167], v[4:5], v[136:137]
	v_mul_f64_e32 v[136:137], v[6:7], v[136:137]
	s_wait_loadcnt_dscnt 0x700
	v_mul_f64_e32 v[132:133], v[122:123], v[140:141]
	v_mul_f64_e32 v[140:141], v[124:125], v[140:141]
	v_add_f64_e32 v[126:127], v[128:129], v[126:127]
	v_add_f64_e32 v[128:129], v[154:155], v[170:171]
	v_fmac_f64_e32 v[166:167], v[6:7], v[134:135]
	v_fma_f64 v[134:135], v[4:5], v[134:135], -v[136:137]
	v_fmac_f64_e32 v[132:133], v[124:125], v[138:139]
	v_fma_f64 v[122:123], v[122:123], v[138:139], -v[140:141]
	v_add_f64_e32 v[130:131], v[126:127], v[130:131]
	v_add_f64_e32 v[136:137], v[128:129], v[156:157]
	ds_load_b128 v[4:7], v2 offset:1424
	ds_load_b128 v[126:129], v2 offset:1440
	s_wait_loadcnt_dscnt 0x601
	v_mul_f64_e32 v[154:155], v[4:5], v[148:149]
	v_mul_f64_e32 v[148:149], v[6:7], v[148:149]
	v_add_f64_e32 v[124:125], v[130:131], v[134:135]
	v_add_f64_e32 v[130:131], v[136:137], v[166:167]
	s_wait_loadcnt_dscnt 0x500
	v_mul_f64_e32 v[134:135], v[126:127], v[160:161]
	v_mul_f64_e32 v[136:137], v[128:129], v[160:161]
	v_fmac_f64_e32 v[154:155], v[6:7], v[146:147]
	v_fma_f64 v[138:139], v[4:5], v[146:147], -v[148:149]
	v_add_f64_e32 v[140:141], v[124:125], v[122:123]
	v_add_f64_e32 v[130:131], v[130:131], v[132:133]
	ds_load_b128 v[4:7], v2 offset:1456
	ds_load_b128 v[122:125], v2 offset:1472
	v_fmac_f64_e32 v[134:135], v[128:129], v[158:159]
	v_fma_f64 v[126:127], v[126:127], v[158:159], -v[136:137]
	s_wait_loadcnt_dscnt 0x401
	v_mul_f64_e32 v[132:133], v[4:5], v[144:145]
	v_mul_f64_e32 v[144:145], v[6:7], v[144:145]
	s_wait_loadcnt_dscnt 0x300
	v_mul_f64_e32 v[136:137], v[122:123], v[10:11]
	v_mul_f64_e32 v[10:11], v[124:125], v[10:11]
	v_add_f64_e32 v[128:129], v[140:141], v[138:139]
	v_add_f64_e32 v[130:131], v[130:131], v[154:155]
	v_fmac_f64_e32 v[132:133], v[6:7], v[142:143]
	v_fma_f64 v[138:139], v[4:5], v[142:143], -v[144:145]
	v_fmac_f64_e32 v[136:137], v[124:125], v[8:9]
	v_fma_f64 v[8:9], v[122:123], v[8:9], -v[10:11]
	v_add_f64_e32 v[140:141], v[128:129], v[126:127]
	v_add_f64_e32 v[130:131], v[130:131], v[134:135]
	ds_load_b128 v[4:7], v2 offset:1488
	ds_load_b128 v[126:129], v2 offset:1504
	s_wait_loadcnt_dscnt 0x201
	v_mul_f64_e32 v[134:135], v[4:5], v[14:15]
	v_mul_f64_e32 v[14:15], v[6:7], v[14:15]
	s_wait_loadcnt_dscnt 0x100
	v_mul_f64_e32 v[124:125], v[126:127], v[18:19]
	v_mul_f64_e32 v[18:19], v[128:129], v[18:19]
	v_add_f64_e32 v[10:11], v[140:141], v[138:139]
	v_add_f64_e32 v[122:123], v[130:131], v[132:133]
	v_fmac_f64_e32 v[134:135], v[6:7], v[12:13]
	v_fma_f64 v[12:13], v[4:5], v[12:13], -v[14:15]
	ds_load_b128 v[4:7], v2 offset:1520
	v_fmac_f64_e32 v[124:125], v[128:129], v[16:17]
	v_fma_f64 v[16:17], v[126:127], v[16:17], -v[18:19]
	v_add_f64_e32 v[8:9], v[10:11], v[8:9]
	v_add_f64_e32 v[10:11], v[122:123], v[136:137]
	s_wait_loadcnt_dscnt 0x0
	v_mul_f64_e32 v[14:15], v[4:5], v[22:23]
	v_mul_f64_e32 v[22:23], v[6:7], v[22:23]
	s_delay_alu instid0(VALU_DEP_4) | instskip(NEXT) | instid1(VALU_DEP_4)
	v_add_f64_e32 v[8:9], v[8:9], v[12:13]
	v_add_f64_e32 v[10:11], v[10:11], v[134:135]
	s_delay_alu instid0(VALU_DEP_4) | instskip(NEXT) | instid1(VALU_DEP_4)
	v_fmac_f64_e32 v[14:15], v[6:7], v[20:21]
	v_fma_f64 v[4:5], v[4:5], v[20:21], -v[22:23]
	s_delay_alu instid0(VALU_DEP_4) | instskip(NEXT) | instid1(VALU_DEP_4)
	v_add_f64_e32 v[6:7], v[8:9], v[16:17]
	v_add_f64_e32 v[8:9], v[10:11], v[124:125]
	s_delay_alu instid0(VALU_DEP_2) | instskip(NEXT) | instid1(VALU_DEP_2)
	v_add_f64_e32 v[4:5], v[6:7], v[4:5]
	v_add_f64_e32 v[6:7], v[8:9], v[14:15]
	s_delay_alu instid0(VALU_DEP_2) | instskip(NEXT) | instid1(VALU_DEP_2)
	v_add_f64_e64 v[4:5], v[150:151], -v[4:5]
	v_add_f64_e64 v[6:7], v[152:153], -v[6:7]
	scratch_store_b128 off, v[4:7], off offset:96
	s_wait_xcnt 0x0
	v_cmpx_lt_u32_e32 5, v1
	s_cbranch_execz .LBB111_291
; %bb.290:
	scratch_load_b128 v[6:9], off, s59
	v_dual_mov_b32 v3, v2 :: v_dual_mov_b32 v4, v2
	v_mov_b32_e32 v5, v2
	scratch_store_b128 off, v[2:5], off offset:80
	s_wait_loadcnt 0x0
	ds_store_b128 v120, v[6:9]
.LBB111_291:
	s_wait_xcnt 0x0
	s_or_b32 exec_lo, exec_lo, s2
	s_wait_storecnt_dscnt 0x0
	s_barrier_signal -1
	s_barrier_wait -1
	s_clause 0x9
	scratch_load_b128 v[4:7], off, off offset:96
	scratch_load_b128 v[8:11], off, off offset:112
	;; [unrolled: 1-line block ×10, first 2 shown]
	ds_load_b128 v[142:145], v2 offset:864
	ds_load_b128 v[150:153], v2 offset:880
	s_clause 0x2
	scratch_load_b128 v[146:149], off, off offset:256
	scratch_load_b128 v[154:157], off, off offset:80
	;; [unrolled: 1-line block ×3, first 2 shown]
	s_mov_b32 s2, exec_lo
	s_wait_loadcnt_dscnt 0xc01
	v_mul_f64_e32 v[162:163], v[144:145], v[6:7]
	v_mul_f64_e32 v[166:167], v[142:143], v[6:7]
	s_wait_loadcnt_dscnt 0xb00
	v_mul_f64_e32 v[168:169], v[150:151], v[10:11]
	v_mul_f64_e32 v[10:11], v[152:153], v[10:11]
	s_delay_alu instid0(VALU_DEP_4) | instskip(NEXT) | instid1(VALU_DEP_4)
	v_fma_f64 v[170:171], v[142:143], v[4:5], -v[162:163]
	v_fmac_f64_e32 v[166:167], v[144:145], v[4:5]
	ds_load_b128 v[4:7], v2 offset:896
	ds_load_b128 v[142:145], v2 offset:912
	scratch_load_b128 v[162:165], off, off offset:288
	v_fmac_f64_e32 v[168:169], v[152:153], v[8:9]
	v_fma_f64 v[150:151], v[150:151], v[8:9], -v[10:11]
	scratch_load_b128 v[8:11], off, off offset:304
	s_wait_loadcnt_dscnt 0xc01
	v_mul_f64_e32 v[172:173], v[4:5], v[14:15]
	v_mul_f64_e32 v[14:15], v[6:7], v[14:15]
	v_add_f64_e32 v[152:153], 0, v[170:171]
	v_add_f64_e32 v[166:167], 0, v[166:167]
	s_wait_loadcnt_dscnt 0xb00
	v_mul_f64_e32 v[170:171], v[142:143], v[18:19]
	v_mul_f64_e32 v[18:19], v[144:145], v[18:19]
	v_fmac_f64_e32 v[172:173], v[6:7], v[12:13]
	v_fma_f64 v[174:175], v[4:5], v[12:13], -v[14:15]
	ds_load_b128 v[4:7], v2 offset:928
	ds_load_b128 v[12:15], v2 offset:944
	v_add_f64_e32 v[176:177], v[152:153], v[150:151]
	v_add_f64_e32 v[166:167], v[166:167], v[168:169]
	scratch_load_b128 v[150:153], off, off offset:320
	v_fmac_f64_e32 v[170:171], v[144:145], v[16:17]
	v_fma_f64 v[142:143], v[142:143], v[16:17], -v[18:19]
	scratch_load_b128 v[16:19], off, off offset:336
	s_wait_loadcnt_dscnt 0xc01
	v_mul_f64_e32 v[168:169], v[4:5], v[22:23]
	v_mul_f64_e32 v[22:23], v[6:7], v[22:23]
	v_add_f64_e32 v[144:145], v[176:177], v[174:175]
	v_add_f64_e32 v[166:167], v[166:167], v[172:173]
	s_wait_loadcnt_dscnt 0xb00
	v_mul_f64_e32 v[172:173], v[12:13], v[124:125]
	v_mul_f64_e32 v[124:125], v[14:15], v[124:125]
	v_fmac_f64_e32 v[168:169], v[6:7], v[20:21]
	v_fma_f64 v[174:175], v[4:5], v[20:21], -v[22:23]
	ds_load_b128 v[4:7], v2 offset:960
	ds_load_b128 v[20:23], v2 offset:976
	v_add_f64_e32 v[176:177], v[144:145], v[142:143]
	v_add_f64_e32 v[166:167], v[166:167], v[170:171]
	scratch_load_b128 v[142:145], off, off offset:352
	s_wait_loadcnt_dscnt 0xb01
	v_mul_f64_e32 v[170:171], v[4:5], v[128:129]
	v_mul_f64_e32 v[128:129], v[6:7], v[128:129]
	v_fmac_f64_e32 v[172:173], v[14:15], v[122:123]
	v_fma_f64 v[122:123], v[12:13], v[122:123], -v[124:125]
	scratch_load_b128 v[12:15], off, off offset:368
	v_add_f64_e32 v[124:125], v[176:177], v[174:175]
	v_add_f64_e32 v[166:167], v[166:167], v[168:169]
	s_wait_loadcnt_dscnt 0xb00
	v_mul_f64_e32 v[168:169], v[20:21], v[132:133]
	v_mul_f64_e32 v[132:133], v[22:23], v[132:133]
	v_fmac_f64_e32 v[170:171], v[6:7], v[126:127]
	v_fma_f64 v[174:175], v[4:5], v[126:127], -v[128:129]
	v_add_f64_e32 v[176:177], v[124:125], v[122:123]
	v_add_f64_e32 v[166:167], v[166:167], v[172:173]
	ds_load_b128 v[4:7], v2 offset:992
	ds_load_b128 v[122:125], v2 offset:1008
	scratch_load_b128 v[126:129], off, off offset:384
	v_fmac_f64_e32 v[168:169], v[22:23], v[130:131]
	v_fma_f64 v[130:131], v[20:21], v[130:131], -v[132:133]
	scratch_load_b128 v[20:23], off, off offset:400
	s_wait_loadcnt_dscnt 0xc01
	v_mul_f64_e32 v[172:173], v[4:5], v[136:137]
	v_mul_f64_e32 v[136:137], v[6:7], v[136:137]
	v_add_f64_e32 v[132:133], v[176:177], v[174:175]
	v_add_f64_e32 v[166:167], v[166:167], v[170:171]
	s_wait_loadcnt_dscnt 0xb00
	v_mul_f64_e32 v[170:171], v[122:123], v[140:141]
	v_mul_f64_e32 v[140:141], v[124:125], v[140:141]
	v_fmac_f64_e32 v[172:173], v[6:7], v[134:135]
	v_fma_f64 v[174:175], v[4:5], v[134:135], -v[136:137]
	v_add_f64_e32 v[176:177], v[132:133], v[130:131]
	v_add_f64_e32 v[166:167], v[166:167], v[168:169]
	ds_load_b128 v[4:7], v2 offset:1024
	ds_load_b128 v[130:133], v2 offset:1040
	scratch_load_b128 v[134:137], off, off offset:416
	v_fmac_f64_e32 v[170:171], v[124:125], v[138:139]
	v_fma_f64 v[138:139], v[122:123], v[138:139], -v[140:141]
	scratch_load_b128 v[122:125], off, off offset:432
	s_wait_loadcnt_dscnt 0xc01
	v_mul_f64_e32 v[168:169], v[4:5], v[148:149]
	v_mul_f64_e32 v[148:149], v[6:7], v[148:149]
	;; [unrolled: 18-line block ×5, first 2 shown]
	v_add_f64_e32 v[160:161], v[176:177], v[174:175]
	v_add_f64_e32 v[166:167], v[166:167], v[172:173]
	s_wait_loadcnt_dscnt 0xa00
	v_mul_f64_e32 v[172:173], v[138:139], v[14:15]
	v_mul_f64_e32 v[14:15], v[140:141], v[14:15]
	v_fmac_f64_e32 v[168:169], v[6:7], v[142:143]
	v_fma_f64 v[174:175], v[4:5], v[142:143], -v[144:145]
	ds_load_b128 v[4:7], v2 offset:1152
	ds_load_b128 v[142:145], v2 offset:1168
	v_add_f64_e32 v[176:177], v[160:161], v[158:159]
	v_add_f64_e32 v[166:167], v[166:167], v[170:171]
	scratch_load_b128 v[158:161], off, off offset:544
	v_fmac_f64_e32 v[172:173], v[140:141], v[12:13]
	v_fma_f64 v[138:139], v[138:139], v[12:13], -v[14:15]
	scratch_load_b128 v[12:15], off, off offset:560
	s_wait_loadcnt_dscnt 0xb01
	v_mul_f64_e32 v[170:171], v[4:5], v[128:129]
	v_mul_f64_e32 v[128:129], v[6:7], v[128:129]
	v_add_f64_e32 v[140:141], v[176:177], v[174:175]
	v_add_f64_e32 v[166:167], v[166:167], v[168:169]
	s_wait_loadcnt_dscnt 0xa00
	v_mul_f64_e32 v[168:169], v[142:143], v[22:23]
	v_mul_f64_e32 v[22:23], v[144:145], v[22:23]
	v_fmac_f64_e32 v[170:171], v[6:7], v[126:127]
	v_fma_f64 v[174:175], v[4:5], v[126:127], -v[128:129]
	ds_load_b128 v[4:7], v2 offset:1184
	ds_load_b128 v[126:129], v2 offset:1200
	v_add_f64_e32 v[176:177], v[140:141], v[138:139]
	v_add_f64_e32 v[166:167], v[166:167], v[172:173]
	scratch_load_b128 v[138:141], off, off offset:576
	s_wait_loadcnt_dscnt 0xa01
	v_mul_f64_e32 v[172:173], v[4:5], v[136:137]
	v_mul_f64_e32 v[136:137], v[6:7], v[136:137]
	v_fmac_f64_e32 v[168:169], v[144:145], v[20:21]
	v_fma_f64 v[142:143], v[142:143], v[20:21], -v[22:23]
	scratch_load_b128 v[20:23], off, off offset:592
	v_add_f64_e32 v[144:145], v[176:177], v[174:175]
	v_add_f64_e32 v[166:167], v[166:167], v[170:171]
	s_wait_loadcnt_dscnt 0xa00
	v_mul_f64_e32 v[170:171], v[126:127], v[124:125]
	v_mul_f64_e32 v[124:125], v[128:129], v[124:125]
	v_fmac_f64_e32 v[172:173], v[6:7], v[134:135]
	v_fma_f64 v[174:175], v[4:5], v[134:135], -v[136:137]
	ds_load_b128 v[4:7], v2 offset:1216
	ds_load_b128 v[134:137], v2 offset:1232
	v_add_f64_e32 v[176:177], v[144:145], v[142:143]
	v_add_f64_e32 v[166:167], v[166:167], v[168:169]
	scratch_load_b128 v[142:145], off, off offset:608
	s_wait_loadcnt_dscnt 0xa01
	v_mul_f64_e32 v[168:169], v[4:5], v[148:149]
	v_mul_f64_e32 v[148:149], v[6:7], v[148:149]
	v_fmac_f64_e32 v[170:171], v[128:129], v[122:123]
	v_fma_f64 v[126:127], v[126:127], v[122:123], -v[124:125]
	scratch_load_b128 v[122:125], off, off offset:624
	v_add_f64_e32 v[128:129], v[176:177], v[174:175]
	v_add_f64_e32 v[166:167], v[166:167], v[172:173]
	s_wait_loadcnt_dscnt 0xa00
	v_mul_f64_e32 v[172:173], v[134:135], v[132:133]
	v_mul_f64_e32 v[132:133], v[136:137], v[132:133]
	v_fmac_f64_e32 v[168:169], v[6:7], v[146:147]
	v_fma_f64 v[174:175], v[4:5], v[146:147], -v[148:149]
	v_add_f64_e32 v[176:177], v[128:129], v[126:127]
	v_add_f64_e32 v[166:167], v[166:167], v[170:171]
	ds_load_b128 v[4:7], v2 offset:1248
	ds_load_b128 v[126:129], v2 offset:1264
	scratch_load_b128 v[146:149], off, off offset:640
	v_fmac_f64_e32 v[172:173], v[136:137], v[130:131]
	v_fma_f64 v[134:135], v[134:135], v[130:131], -v[132:133]
	scratch_load_b128 v[130:133], off, off offset:656
	s_wait_loadcnt_dscnt 0xb01
	v_mul_f64_e32 v[170:171], v[4:5], v[164:165]
	v_mul_f64_e32 v[164:165], v[6:7], v[164:165]
	v_add_f64_e32 v[136:137], v[176:177], v[174:175]
	v_add_f64_e32 v[166:167], v[166:167], v[168:169]
	s_wait_loadcnt_dscnt 0xa00
	v_mul_f64_e32 v[168:169], v[126:127], v[10:11]
	v_mul_f64_e32 v[10:11], v[128:129], v[10:11]
	v_fmac_f64_e32 v[170:171], v[6:7], v[162:163]
	v_fma_f64 v[174:175], v[4:5], v[162:163], -v[164:165]
	v_add_f64_e32 v[176:177], v[136:137], v[134:135]
	v_add_f64_e32 v[166:167], v[166:167], v[172:173]
	ds_load_b128 v[4:7], v2 offset:1280
	ds_load_b128 v[134:137], v2 offset:1296
	scratch_load_b128 v[162:165], off, off offset:672
	v_fmac_f64_e32 v[168:169], v[128:129], v[8:9]
	v_fma_f64 v[126:127], v[126:127], v[8:9], -v[10:11]
	scratch_load_b128 v[8:11], off, off offset:688
	s_wait_loadcnt_dscnt 0xb01
	v_mul_f64_e32 v[172:173], v[4:5], v[152:153]
	v_mul_f64_e32 v[152:153], v[6:7], v[152:153]
	;; [unrolled: 18-line block ×4, first 2 shown]
	v_add_f64_e32 v[128:129], v[176:177], v[174:175]
	v_add_f64_e32 v[166:167], v[166:167], v[168:169]
	s_wait_loadcnt_dscnt 0xa00
	v_mul_f64_e32 v[168:169], v[134:135], v[22:23]
	v_mul_f64_e32 v[22:23], v[136:137], v[22:23]
	v_fmac_f64_e32 v[170:171], v[6:7], v[138:139]
	v_fma_f64 v[138:139], v[4:5], v[138:139], -v[140:141]
	v_add_f64_e32 v[140:141], v[128:129], v[126:127]
	v_add_f64_e32 v[166:167], v[166:167], v[172:173]
	ds_load_b128 v[4:7], v2 offset:1376
	ds_load_b128 v[126:129], v2 offset:1392
	v_fmac_f64_e32 v[168:169], v[136:137], v[20:21]
	v_fma_f64 v[20:21], v[134:135], v[20:21], -v[22:23]
	s_wait_loadcnt_dscnt 0x901
	v_mul_f64_e32 v[172:173], v[4:5], v[144:145]
	v_mul_f64_e32 v[144:145], v[6:7], v[144:145]
	s_wait_loadcnt_dscnt 0x800
	v_mul_f64_e32 v[136:137], v[126:127], v[124:125]
	v_mul_f64_e32 v[124:125], v[128:129], v[124:125]
	v_add_f64_e32 v[22:23], v[140:141], v[138:139]
	v_add_f64_e32 v[134:135], v[166:167], v[170:171]
	v_fmac_f64_e32 v[172:173], v[6:7], v[142:143]
	v_fma_f64 v[138:139], v[4:5], v[142:143], -v[144:145]
	v_fmac_f64_e32 v[136:137], v[128:129], v[122:123]
	v_fma_f64 v[122:123], v[126:127], v[122:123], -v[124:125]
	v_add_f64_e32 v[140:141], v[22:23], v[20:21]
	v_add_f64_e32 v[134:135], v[134:135], v[168:169]
	ds_load_b128 v[4:7], v2 offset:1408
	ds_load_b128 v[20:23], v2 offset:1424
	s_wait_loadcnt_dscnt 0x701
	v_mul_f64_e32 v[142:143], v[4:5], v[148:149]
	v_mul_f64_e32 v[144:145], v[6:7], v[148:149]
	s_wait_loadcnt_dscnt 0x600
	v_mul_f64_e32 v[128:129], v[20:21], v[132:133]
	v_mul_f64_e32 v[132:133], v[22:23], v[132:133]
	v_add_f64_e32 v[124:125], v[140:141], v[138:139]
	v_add_f64_e32 v[126:127], v[134:135], v[172:173]
	v_fmac_f64_e32 v[142:143], v[6:7], v[146:147]
	v_fma_f64 v[134:135], v[4:5], v[146:147], -v[144:145]
	v_fmac_f64_e32 v[128:129], v[22:23], v[130:131]
	v_fma_f64 v[20:21], v[20:21], v[130:131], -v[132:133]
	v_add_f64_e32 v[138:139], v[124:125], v[122:123]
	v_add_f64_e32 v[126:127], v[126:127], v[136:137]
	ds_load_b128 v[4:7], v2 offset:1440
	ds_load_b128 v[122:125], v2 offset:1456
	s_wait_loadcnt_dscnt 0x501
	v_mul_f64_e32 v[136:137], v[4:5], v[164:165]
	v_mul_f64_e32 v[140:141], v[6:7], v[164:165]
	s_wait_loadcnt_dscnt 0x400
	v_mul_f64_e32 v[130:131], v[122:123], v[10:11]
	v_mul_f64_e32 v[10:11], v[124:125], v[10:11]
	v_add_f64_e32 v[22:23], v[138:139], v[134:135]
	v_add_f64_e32 v[126:127], v[126:127], v[142:143]
	v_fmac_f64_e32 v[136:137], v[6:7], v[162:163]
	v_fma_f64 v[132:133], v[4:5], v[162:163], -v[140:141]
	v_fmac_f64_e32 v[130:131], v[124:125], v[8:9]
	v_fma_f64 v[8:9], v[122:123], v[8:9], -v[10:11]
	v_add_f64_e32 v[134:135], v[22:23], v[20:21]
	v_add_f64_e32 v[126:127], v[126:127], v[128:129]
	ds_load_b128 v[4:7], v2 offset:1472
	ds_load_b128 v[20:23], v2 offset:1488
	s_wait_loadcnt_dscnt 0x301
	v_mul_f64_e32 v[128:129], v[4:5], v[152:153]
	v_mul_f64_e32 v[138:139], v[6:7], v[152:153]
	s_wait_loadcnt_dscnt 0x200
	v_mul_f64_e32 v[124:125], v[20:21], v[18:19]
	v_mul_f64_e32 v[18:19], v[22:23], v[18:19]
	v_add_f64_e32 v[10:11], v[134:135], v[132:133]
	v_add_f64_e32 v[122:123], v[126:127], v[136:137]
	v_fmac_f64_e32 v[128:129], v[6:7], v[150:151]
	v_fma_f64 v[126:127], v[4:5], v[150:151], -v[138:139]
	v_fmac_f64_e32 v[124:125], v[22:23], v[16:17]
	v_fma_f64 v[16:17], v[20:21], v[16:17], -v[18:19]
	v_add_f64_e32 v[132:133], v[10:11], v[8:9]
	v_add_f64_e32 v[122:123], v[122:123], v[130:131]
	ds_load_b128 v[4:7], v2 offset:1504
	ds_load_b128 v[8:11], v2 offset:1520
	s_wait_loadcnt_dscnt 0x101
	v_mul_f64_e32 v[2:3], v[4:5], v[160:161]
	v_mul_f64_e32 v[130:131], v[6:7], v[160:161]
	s_wait_loadcnt_dscnt 0x0
	v_mul_f64_e32 v[22:23], v[8:9], v[14:15]
	v_mul_f64_e32 v[14:15], v[10:11], v[14:15]
	v_add_f64_e32 v[18:19], v[132:133], v[126:127]
	v_add_f64_e32 v[20:21], v[122:123], v[128:129]
	v_fmac_f64_e32 v[2:3], v[6:7], v[158:159]
	v_fma_f64 v[4:5], v[4:5], v[158:159], -v[130:131]
	v_fmac_f64_e32 v[22:23], v[10:11], v[12:13]
	v_fma_f64 v[8:9], v[8:9], v[12:13], -v[14:15]
	v_add_f64_e32 v[6:7], v[18:19], v[16:17]
	v_add_f64_e32 v[16:17], v[20:21], v[124:125]
	s_delay_alu instid0(VALU_DEP_2) | instskip(NEXT) | instid1(VALU_DEP_2)
	v_add_f64_e32 v[4:5], v[6:7], v[4:5]
	v_add_f64_e32 v[2:3], v[16:17], v[2:3]
	s_delay_alu instid0(VALU_DEP_2) | instskip(NEXT) | instid1(VALU_DEP_2)
	;; [unrolled: 3-line block ×3, first 2 shown]
	v_add_f64_e64 v[2:3], v[154:155], -v[4:5]
	v_add_f64_e64 v[4:5], v[156:157], -v[6:7]
	scratch_store_b128 off, v[2:5], off offset:80
	s_wait_xcnt 0x0
	v_cmpx_lt_u32_e32 4, v1
	s_cbranch_execz .LBB111_293
; %bb.292:
	scratch_load_b128 v[2:5], off, s12
	v_mov_b32_e32 v6, 0
	s_delay_alu instid0(VALU_DEP_1)
	v_dual_mov_b32 v7, v6 :: v_dual_mov_b32 v8, v6
	v_mov_b32_e32 v9, v6
	scratch_store_b128 off, v[6:9], off offset:64
	s_wait_loadcnt 0x0
	ds_store_b128 v120, v[2:5]
.LBB111_293:
	s_wait_xcnt 0x0
	s_or_b32 exec_lo, exec_lo, s2
	s_wait_storecnt_dscnt 0x0
	s_barrier_signal -1
	s_barrier_wait -1
	s_clause 0x9
	scratch_load_b128 v[4:7], off, off offset:80
	scratch_load_b128 v[8:11], off, off offset:96
	;; [unrolled: 1-line block ×10, first 2 shown]
	v_mov_b32_e32 v2, 0
	s_mov_b32 s2, exec_lo
	ds_load_b128 v[142:145], v2 offset:848
	s_clause 0x2
	scratch_load_b128 v[146:149], off, off offset:240
	scratch_load_b128 v[150:153], off, off offset:64
	;; [unrolled: 1-line block ×3, first 2 shown]
	s_wait_loadcnt_dscnt 0xc00
	v_mul_f64_e32 v[162:163], v[144:145], v[6:7]
	v_mul_f64_e32 v[166:167], v[142:143], v[6:7]
	ds_load_b128 v[154:157], v2 offset:864
	v_fma_f64 v[170:171], v[142:143], v[4:5], -v[162:163]
	v_fmac_f64_e32 v[166:167], v[144:145], v[4:5]
	ds_load_b128 v[4:7], v2 offset:880
	s_wait_loadcnt_dscnt 0xb01
	v_mul_f64_e32 v[168:169], v[154:155], v[10:11]
	v_mul_f64_e32 v[10:11], v[156:157], v[10:11]
	scratch_load_b128 v[142:145], off, off offset:272
	ds_load_b128 v[162:165], v2 offset:896
	s_wait_loadcnt_dscnt 0xb01
	v_mul_f64_e32 v[172:173], v[4:5], v[14:15]
	v_mul_f64_e32 v[14:15], v[6:7], v[14:15]
	v_add_f64_e32 v[166:167], 0, v[166:167]
	v_fmac_f64_e32 v[168:169], v[156:157], v[8:9]
	v_fma_f64 v[154:155], v[154:155], v[8:9], -v[10:11]
	v_add_f64_e32 v[156:157], 0, v[170:171]
	scratch_load_b128 v[8:11], off, off offset:288
	v_fmac_f64_e32 v[172:173], v[6:7], v[12:13]
	v_fma_f64 v[174:175], v[4:5], v[12:13], -v[14:15]
	ds_load_b128 v[4:7], v2 offset:912
	s_wait_loadcnt_dscnt 0xb01
	v_mul_f64_e32 v[170:171], v[162:163], v[18:19]
	v_mul_f64_e32 v[18:19], v[164:165], v[18:19]
	scratch_load_b128 v[12:15], off, off offset:304
	v_add_f64_e32 v[166:167], v[166:167], v[168:169]
	v_add_f64_e32 v[176:177], v[156:157], v[154:155]
	ds_load_b128 v[154:157], v2 offset:928
	s_wait_loadcnt_dscnt 0xb01
	v_mul_f64_e32 v[168:169], v[4:5], v[22:23]
	v_mul_f64_e32 v[22:23], v[6:7], v[22:23]
	v_fmac_f64_e32 v[170:171], v[164:165], v[16:17]
	v_fma_f64 v[162:163], v[162:163], v[16:17], -v[18:19]
	scratch_load_b128 v[16:19], off, off offset:320
	v_add_f64_e32 v[166:167], v[166:167], v[172:173]
	v_add_f64_e32 v[164:165], v[176:177], v[174:175]
	v_fmac_f64_e32 v[168:169], v[6:7], v[20:21]
	v_fma_f64 v[174:175], v[4:5], v[20:21], -v[22:23]
	ds_load_b128 v[4:7], v2 offset:944
	s_wait_loadcnt_dscnt 0xb01
	v_mul_f64_e32 v[172:173], v[154:155], v[124:125]
	v_mul_f64_e32 v[124:125], v[156:157], v[124:125]
	scratch_load_b128 v[20:23], off, off offset:336
	v_add_f64_e32 v[166:167], v[166:167], v[170:171]
	s_wait_loadcnt_dscnt 0xb00
	v_mul_f64_e32 v[170:171], v[4:5], v[128:129]
	v_add_f64_e32 v[176:177], v[164:165], v[162:163]
	v_mul_f64_e32 v[128:129], v[6:7], v[128:129]
	ds_load_b128 v[162:165], v2 offset:960
	v_fmac_f64_e32 v[172:173], v[156:157], v[122:123]
	v_fma_f64 v[154:155], v[154:155], v[122:123], -v[124:125]
	scratch_load_b128 v[122:125], off, off offset:352
	v_add_f64_e32 v[166:167], v[166:167], v[168:169]
	v_fmac_f64_e32 v[170:171], v[6:7], v[126:127]
	v_add_f64_e32 v[156:157], v[176:177], v[174:175]
	v_fma_f64 v[174:175], v[4:5], v[126:127], -v[128:129]
	ds_load_b128 v[4:7], v2 offset:976
	s_wait_loadcnt_dscnt 0xb01
	v_mul_f64_e32 v[168:169], v[162:163], v[132:133]
	v_mul_f64_e32 v[132:133], v[164:165], v[132:133]
	scratch_load_b128 v[126:129], off, off offset:368
	v_add_f64_e32 v[166:167], v[166:167], v[172:173]
	s_wait_loadcnt_dscnt 0xb00
	v_mul_f64_e32 v[172:173], v[4:5], v[136:137]
	v_add_f64_e32 v[176:177], v[156:157], v[154:155]
	v_mul_f64_e32 v[136:137], v[6:7], v[136:137]
	ds_load_b128 v[154:157], v2 offset:992
	v_fmac_f64_e32 v[168:169], v[164:165], v[130:131]
	v_fma_f64 v[162:163], v[162:163], v[130:131], -v[132:133]
	scratch_load_b128 v[130:133], off, off offset:384
	v_add_f64_e32 v[166:167], v[166:167], v[170:171]
	v_fmac_f64_e32 v[172:173], v[6:7], v[134:135]
	v_add_f64_e32 v[164:165], v[176:177], v[174:175]
	;; [unrolled: 18-line block ×3, first 2 shown]
	v_fma_f64 v[174:175], v[4:5], v[146:147], -v[148:149]
	ds_load_b128 v[4:7], v2 offset:1040
	s_wait_loadcnt_dscnt 0xa01
	v_mul_f64_e32 v[172:173], v[162:163], v[160:161]
	v_mul_f64_e32 v[160:161], v[164:165], v[160:161]
	scratch_load_b128 v[146:149], off, off offset:432
	v_add_f64_e32 v[166:167], v[166:167], v[170:171]
	v_add_f64_e32 v[176:177], v[156:157], v[154:155]
	s_wait_loadcnt_dscnt 0xa00
	v_mul_f64_e32 v[170:171], v[4:5], v[144:145]
	v_mul_f64_e32 v[144:145], v[6:7], v[144:145]
	v_fmac_f64_e32 v[172:173], v[164:165], v[158:159]
	v_fma_f64 v[162:163], v[162:163], v[158:159], -v[160:161]
	ds_load_b128 v[154:157], v2 offset:1056
	scratch_load_b128 v[158:161], off, off offset:448
	v_add_f64_e32 v[166:167], v[166:167], v[168:169]
	v_add_f64_e32 v[164:165], v[176:177], v[174:175]
	v_fmac_f64_e32 v[170:171], v[6:7], v[142:143]
	v_fma_f64 v[174:175], v[4:5], v[142:143], -v[144:145]
	ds_load_b128 v[4:7], v2 offset:1072
	s_wait_loadcnt_dscnt 0xa01
	v_mul_f64_e32 v[168:169], v[154:155], v[10:11]
	v_mul_f64_e32 v[10:11], v[156:157], v[10:11]
	scratch_load_b128 v[142:145], off, off offset:464
	v_add_f64_e32 v[166:167], v[166:167], v[172:173]
	s_wait_loadcnt_dscnt 0xa00
	v_mul_f64_e32 v[172:173], v[4:5], v[14:15]
	v_add_f64_e32 v[176:177], v[164:165], v[162:163]
	v_mul_f64_e32 v[14:15], v[6:7], v[14:15]
	ds_load_b128 v[162:165], v2 offset:1088
	v_fmac_f64_e32 v[168:169], v[156:157], v[8:9]
	v_fma_f64 v[154:155], v[154:155], v[8:9], -v[10:11]
	scratch_load_b128 v[8:11], off, off offset:480
	v_add_f64_e32 v[166:167], v[166:167], v[170:171]
	v_fmac_f64_e32 v[172:173], v[6:7], v[12:13]
	v_add_f64_e32 v[156:157], v[176:177], v[174:175]
	v_fma_f64 v[174:175], v[4:5], v[12:13], -v[14:15]
	ds_load_b128 v[4:7], v2 offset:1104
	s_wait_loadcnt_dscnt 0xa01
	v_mul_f64_e32 v[170:171], v[162:163], v[18:19]
	v_mul_f64_e32 v[18:19], v[164:165], v[18:19]
	scratch_load_b128 v[12:15], off, off offset:496
	v_add_f64_e32 v[166:167], v[166:167], v[168:169]
	s_wait_loadcnt_dscnt 0xa00
	v_mul_f64_e32 v[168:169], v[4:5], v[22:23]
	v_add_f64_e32 v[176:177], v[156:157], v[154:155]
	v_mul_f64_e32 v[22:23], v[6:7], v[22:23]
	ds_load_b128 v[154:157], v2 offset:1120
	v_fmac_f64_e32 v[170:171], v[164:165], v[16:17]
	v_fma_f64 v[162:163], v[162:163], v[16:17], -v[18:19]
	scratch_load_b128 v[16:19], off, off offset:512
	v_add_f64_e32 v[166:167], v[166:167], v[172:173]
	v_fmac_f64_e32 v[168:169], v[6:7], v[20:21]
	v_add_f64_e32 v[164:165], v[176:177], v[174:175]
	v_fma_f64 v[174:175], v[4:5], v[20:21], -v[22:23]
	ds_load_b128 v[4:7], v2 offset:1136
	s_wait_loadcnt_dscnt 0xa01
	v_mul_f64_e32 v[172:173], v[154:155], v[124:125]
	v_mul_f64_e32 v[124:125], v[156:157], v[124:125]
	scratch_load_b128 v[20:23], off, off offset:528
	v_add_f64_e32 v[166:167], v[166:167], v[170:171]
	s_wait_loadcnt_dscnt 0xa00
	v_mul_f64_e32 v[170:171], v[4:5], v[128:129]
	v_add_f64_e32 v[176:177], v[164:165], v[162:163]
	v_mul_f64_e32 v[128:129], v[6:7], v[128:129]
	ds_load_b128 v[162:165], v2 offset:1152
	v_fmac_f64_e32 v[172:173], v[156:157], v[122:123]
	v_fma_f64 v[154:155], v[154:155], v[122:123], -v[124:125]
	scratch_load_b128 v[122:125], off, off offset:544
	v_add_f64_e32 v[166:167], v[166:167], v[168:169]
	v_fmac_f64_e32 v[170:171], v[6:7], v[126:127]
	v_add_f64_e32 v[156:157], v[176:177], v[174:175]
	v_fma_f64 v[174:175], v[4:5], v[126:127], -v[128:129]
	ds_load_b128 v[4:7], v2 offset:1168
	s_wait_loadcnt_dscnt 0xa01
	v_mul_f64_e32 v[168:169], v[162:163], v[132:133]
	v_mul_f64_e32 v[132:133], v[164:165], v[132:133]
	scratch_load_b128 v[126:129], off, off offset:560
	v_add_f64_e32 v[166:167], v[166:167], v[172:173]
	s_wait_loadcnt_dscnt 0xa00
	v_mul_f64_e32 v[172:173], v[4:5], v[136:137]
	v_add_f64_e32 v[176:177], v[156:157], v[154:155]
	v_mul_f64_e32 v[136:137], v[6:7], v[136:137]
	ds_load_b128 v[154:157], v2 offset:1184
	v_fmac_f64_e32 v[168:169], v[164:165], v[130:131]
	v_fma_f64 v[162:163], v[162:163], v[130:131], -v[132:133]
	scratch_load_b128 v[130:133], off, off offset:576
	v_add_f64_e32 v[166:167], v[166:167], v[170:171]
	v_fmac_f64_e32 v[172:173], v[6:7], v[134:135]
	v_add_f64_e32 v[164:165], v[176:177], v[174:175]
	v_fma_f64 v[174:175], v[4:5], v[134:135], -v[136:137]
	ds_load_b128 v[4:7], v2 offset:1200
	s_wait_loadcnt_dscnt 0xa01
	v_mul_f64_e32 v[170:171], v[154:155], v[140:141]
	v_mul_f64_e32 v[140:141], v[156:157], v[140:141]
	scratch_load_b128 v[134:137], off, off offset:592
	v_add_f64_e32 v[166:167], v[166:167], v[168:169]
	s_wait_loadcnt_dscnt 0xa00
	v_mul_f64_e32 v[168:169], v[4:5], v[148:149]
	v_add_f64_e32 v[176:177], v[164:165], v[162:163]
	v_mul_f64_e32 v[148:149], v[6:7], v[148:149]
	ds_load_b128 v[162:165], v2 offset:1216
	v_fmac_f64_e32 v[170:171], v[156:157], v[138:139]
	v_fma_f64 v[154:155], v[154:155], v[138:139], -v[140:141]
	scratch_load_b128 v[138:141], off, off offset:608
	v_add_f64_e32 v[166:167], v[166:167], v[172:173]
	v_fmac_f64_e32 v[168:169], v[6:7], v[146:147]
	v_add_f64_e32 v[156:157], v[176:177], v[174:175]
	v_fma_f64 v[174:175], v[4:5], v[146:147], -v[148:149]
	ds_load_b128 v[4:7], v2 offset:1232
	s_wait_loadcnt_dscnt 0xa01
	v_mul_f64_e32 v[172:173], v[162:163], v[160:161]
	v_mul_f64_e32 v[160:161], v[164:165], v[160:161]
	scratch_load_b128 v[146:149], off, off offset:624
	v_add_f64_e32 v[166:167], v[166:167], v[170:171]
	s_wait_loadcnt_dscnt 0xa00
	v_mul_f64_e32 v[170:171], v[4:5], v[144:145]
	v_add_f64_e32 v[176:177], v[156:157], v[154:155]
	v_mul_f64_e32 v[144:145], v[6:7], v[144:145]
	ds_load_b128 v[154:157], v2 offset:1248
	v_fmac_f64_e32 v[172:173], v[164:165], v[158:159]
	v_fma_f64 v[162:163], v[162:163], v[158:159], -v[160:161]
	scratch_load_b128 v[158:161], off, off offset:640
	v_add_f64_e32 v[166:167], v[166:167], v[168:169]
	v_fmac_f64_e32 v[170:171], v[6:7], v[142:143]
	v_add_f64_e32 v[164:165], v[176:177], v[174:175]
	v_fma_f64 v[174:175], v[4:5], v[142:143], -v[144:145]
	ds_load_b128 v[4:7], v2 offset:1264
	s_wait_loadcnt_dscnt 0xa01
	v_mul_f64_e32 v[168:169], v[154:155], v[10:11]
	v_mul_f64_e32 v[10:11], v[156:157], v[10:11]
	scratch_load_b128 v[142:145], off, off offset:656
	v_add_f64_e32 v[166:167], v[166:167], v[172:173]
	s_wait_loadcnt_dscnt 0xa00
	v_mul_f64_e32 v[172:173], v[4:5], v[14:15]
	v_add_f64_e32 v[176:177], v[164:165], v[162:163]
	v_mul_f64_e32 v[14:15], v[6:7], v[14:15]
	ds_load_b128 v[162:165], v2 offset:1280
	v_fmac_f64_e32 v[168:169], v[156:157], v[8:9]
	v_fma_f64 v[154:155], v[154:155], v[8:9], -v[10:11]
	scratch_load_b128 v[8:11], off, off offset:672
	v_add_f64_e32 v[166:167], v[166:167], v[170:171]
	v_fmac_f64_e32 v[172:173], v[6:7], v[12:13]
	v_add_f64_e32 v[156:157], v[176:177], v[174:175]
	v_fma_f64 v[174:175], v[4:5], v[12:13], -v[14:15]
	ds_load_b128 v[4:7], v2 offset:1296
	s_wait_loadcnt_dscnt 0xa01
	v_mul_f64_e32 v[170:171], v[162:163], v[18:19]
	v_mul_f64_e32 v[18:19], v[164:165], v[18:19]
	scratch_load_b128 v[12:15], off, off offset:688
	v_add_f64_e32 v[166:167], v[166:167], v[168:169]
	s_wait_loadcnt_dscnt 0xa00
	v_mul_f64_e32 v[168:169], v[4:5], v[22:23]
	v_add_f64_e32 v[176:177], v[156:157], v[154:155]
	v_mul_f64_e32 v[22:23], v[6:7], v[22:23]
	ds_load_b128 v[154:157], v2 offset:1312
	v_fmac_f64_e32 v[170:171], v[164:165], v[16:17]
	v_fma_f64 v[162:163], v[162:163], v[16:17], -v[18:19]
	scratch_load_b128 v[16:19], off, off offset:704
	v_add_f64_e32 v[166:167], v[166:167], v[172:173]
	v_fmac_f64_e32 v[168:169], v[6:7], v[20:21]
	v_add_f64_e32 v[164:165], v[176:177], v[174:175]
	v_fma_f64 v[174:175], v[4:5], v[20:21], -v[22:23]
	ds_load_b128 v[4:7], v2 offset:1328
	s_wait_loadcnt_dscnt 0xa01
	v_mul_f64_e32 v[172:173], v[154:155], v[124:125]
	v_mul_f64_e32 v[124:125], v[156:157], v[124:125]
	scratch_load_b128 v[20:23], off, off offset:720
	v_add_f64_e32 v[166:167], v[166:167], v[170:171]
	s_wait_loadcnt_dscnt 0xa00
	v_mul_f64_e32 v[170:171], v[4:5], v[128:129]
	v_add_f64_e32 v[176:177], v[164:165], v[162:163]
	v_mul_f64_e32 v[128:129], v[6:7], v[128:129]
	ds_load_b128 v[162:165], v2 offset:1344
	v_fmac_f64_e32 v[172:173], v[156:157], v[122:123]
	v_fma_f64 v[154:155], v[154:155], v[122:123], -v[124:125]
	scratch_load_b128 v[122:125], off, off offset:736
	v_add_f64_e32 v[166:167], v[166:167], v[168:169]
	v_fmac_f64_e32 v[170:171], v[6:7], v[126:127]
	v_add_f64_e32 v[156:157], v[176:177], v[174:175]
	v_fma_f64 v[174:175], v[4:5], v[126:127], -v[128:129]
	ds_load_b128 v[4:7], v2 offset:1360
	s_wait_loadcnt_dscnt 0xa01
	v_mul_f64_e32 v[168:169], v[162:163], v[132:133]
	v_mul_f64_e32 v[132:133], v[164:165], v[132:133]
	scratch_load_b128 v[126:129], off, off offset:752
	v_add_f64_e32 v[166:167], v[166:167], v[172:173]
	s_wait_loadcnt_dscnt 0xa00
	v_mul_f64_e32 v[172:173], v[4:5], v[136:137]
	v_add_f64_e32 v[176:177], v[156:157], v[154:155]
	v_mul_f64_e32 v[136:137], v[6:7], v[136:137]
	ds_load_b128 v[154:157], v2 offset:1376
	v_fmac_f64_e32 v[168:169], v[164:165], v[130:131]
	v_fma_f64 v[130:131], v[162:163], v[130:131], -v[132:133]
	s_wait_loadcnt_dscnt 0x900
	v_mul_f64_e32 v[164:165], v[154:155], v[140:141]
	v_mul_f64_e32 v[140:141], v[156:157], v[140:141]
	v_add_f64_e32 v[162:163], v[166:167], v[170:171]
	v_fmac_f64_e32 v[172:173], v[6:7], v[134:135]
	v_add_f64_e32 v[132:133], v[176:177], v[174:175]
	v_fma_f64 v[134:135], v[4:5], v[134:135], -v[136:137]
	v_fmac_f64_e32 v[164:165], v[156:157], v[138:139]
	v_fma_f64 v[138:139], v[154:155], v[138:139], -v[140:141]
	v_add_f64_e32 v[162:163], v[162:163], v[168:169]
	v_add_f64_e32 v[136:137], v[132:133], v[130:131]
	ds_load_b128 v[4:7], v2 offset:1392
	ds_load_b128 v[130:133], v2 offset:1408
	s_wait_loadcnt_dscnt 0x801
	v_mul_f64_e32 v[166:167], v[4:5], v[148:149]
	v_mul_f64_e32 v[148:149], v[6:7], v[148:149]
	s_wait_loadcnt_dscnt 0x700
	v_mul_f64_e32 v[140:141], v[130:131], v[160:161]
	v_mul_f64_e32 v[154:155], v[132:133], v[160:161]
	v_add_f64_e32 v[134:135], v[136:137], v[134:135]
	v_add_f64_e32 v[136:137], v[162:163], v[172:173]
	v_fmac_f64_e32 v[166:167], v[6:7], v[146:147]
	v_fma_f64 v[146:147], v[4:5], v[146:147], -v[148:149]
	v_fmac_f64_e32 v[140:141], v[132:133], v[158:159]
	v_fma_f64 v[130:131], v[130:131], v[158:159], -v[154:155]
	v_add_f64_e32 v[138:139], v[134:135], v[138:139]
	v_add_f64_e32 v[148:149], v[136:137], v[164:165]
	ds_load_b128 v[4:7], v2 offset:1424
	ds_load_b128 v[134:137], v2 offset:1440
	s_wait_loadcnt_dscnt 0x601
	v_mul_f64_e32 v[156:157], v[4:5], v[144:145]
	v_mul_f64_e32 v[144:145], v[6:7], v[144:145]
	v_add_f64_e32 v[132:133], v[138:139], v[146:147]
	v_add_f64_e32 v[138:139], v[148:149], v[166:167]
	s_wait_loadcnt_dscnt 0x500
	v_mul_f64_e32 v[146:147], v[134:135], v[10:11]
	v_mul_f64_e32 v[10:11], v[136:137], v[10:11]
	v_fmac_f64_e32 v[156:157], v[6:7], v[142:143]
	v_fma_f64 v[142:143], v[4:5], v[142:143], -v[144:145]
	v_add_f64_e32 v[144:145], v[132:133], v[130:131]
	v_add_f64_e32 v[138:139], v[138:139], v[140:141]
	ds_load_b128 v[4:7], v2 offset:1456
	ds_load_b128 v[130:133], v2 offset:1472
	v_fmac_f64_e32 v[146:147], v[136:137], v[8:9]
	v_fma_f64 v[8:9], v[134:135], v[8:9], -v[10:11]
	s_wait_loadcnt_dscnt 0x401
	v_mul_f64_e32 v[140:141], v[4:5], v[14:15]
	v_mul_f64_e32 v[14:15], v[6:7], v[14:15]
	s_wait_loadcnt_dscnt 0x300
	v_mul_f64_e32 v[136:137], v[130:131], v[18:19]
	v_mul_f64_e32 v[18:19], v[132:133], v[18:19]
	v_add_f64_e32 v[10:11], v[144:145], v[142:143]
	v_add_f64_e32 v[134:135], v[138:139], v[156:157]
	v_fmac_f64_e32 v[140:141], v[6:7], v[12:13]
	v_fma_f64 v[12:13], v[4:5], v[12:13], -v[14:15]
	v_fmac_f64_e32 v[136:137], v[132:133], v[16:17]
	v_fma_f64 v[16:17], v[130:131], v[16:17], -v[18:19]
	v_add_f64_e32 v[14:15], v[10:11], v[8:9]
	v_add_f64_e32 v[134:135], v[134:135], v[146:147]
	ds_load_b128 v[4:7], v2 offset:1488
	ds_load_b128 v[8:11], v2 offset:1504
	s_wait_loadcnt_dscnt 0x201
	v_mul_f64_e32 v[138:139], v[4:5], v[22:23]
	v_mul_f64_e32 v[22:23], v[6:7], v[22:23]
	s_wait_loadcnt_dscnt 0x100
	v_mul_f64_e32 v[18:19], v[8:9], v[124:125]
	v_mul_f64_e32 v[124:125], v[10:11], v[124:125]
	v_add_f64_e32 v[12:13], v[14:15], v[12:13]
	v_add_f64_e32 v[14:15], v[134:135], v[140:141]
	v_fmac_f64_e32 v[138:139], v[6:7], v[20:21]
	v_fma_f64 v[20:21], v[4:5], v[20:21], -v[22:23]
	ds_load_b128 v[4:7], v2 offset:1520
	v_fmac_f64_e32 v[18:19], v[10:11], v[122:123]
	v_fma_f64 v[8:9], v[8:9], v[122:123], -v[124:125]
	v_add_f64_e32 v[12:13], v[12:13], v[16:17]
	v_add_f64_e32 v[14:15], v[14:15], v[136:137]
	s_wait_loadcnt_dscnt 0x0
	v_mul_f64_e32 v[16:17], v[4:5], v[128:129]
	v_mul_f64_e32 v[22:23], v[6:7], v[128:129]
	s_delay_alu instid0(VALU_DEP_4) | instskip(NEXT) | instid1(VALU_DEP_4)
	v_add_f64_e32 v[10:11], v[12:13], v[20:21]
	v_add_f64_e32 v[12:13], v[14:15], v[138:139]
	s_delay_alu instid0(VALU_DEP_4) | instskip(NEXT) | instid1(VALU_DEP_4)
	v_fmac_f64_e32 v[16:17], v[6:7], v[126:127]
	v_fma_f64 v[4:5], v[4:5], v[126:127], -v[22:23]
	s_delay_alu instid0(VALU_DEP_4) | instskip(NEXT) | instid1(VALU_DEP_4)
	v_add_f64_e32 v[6:7], v[10:11], v[8:9]
	v_add_f64_e32 v[8:9], v[12:13], v[18:19]
	s_delay_alu instid0(VALU_DEP_2) | instskip(NEXT) | instid1(VALU_DEP_2)
	v_add_f64_e32 v[4:5], v[6:7], v[4:5]
	v_add_f64_e32 v[6:7], v[8:9], v[16:17]
	s_delay_alu instid0(VALU_DEP_2) | instskip(NEXT) | instid1(VALU_DEP_2)
	v_add_f64_e64 v[4:5], v[150:151], -v[4:5]
	v_add_f64_e64 v[6:7], v[152:153], -v[6:7]
	scratch_store_b128 off, v[4:7], off offset:64
	s_wait_xcnt 0x0
	v_cmpx_lt_u32_e32 3, v1
	s_cbranch_execz .LBB111_295
; %bb.294:
	scratch_load_b128 v[6:9], off, s14
	v_dual_mov_b32 v3, v2 :: v_dual_mov_b32 v4, v2
	v_mov_b32_e32 v5, v2
	scratch_store_b128 off, v[2:5], off offset:48
	s_wait_loadcnt 0x0
	ds_store_b128 v120, v[6:9]
.LBB111_295:
	s_wait_xcnt 0x0
	s_or_b32 exec_lo, exec_lo, s2
	s_wait_storecnt_dscnt 0x0
	s_barrier_signal -1
	s_barrier_wait -1
	s_clause 0x9
	scratch_load_b128 v[4:7], off, off offset:64
	scratch_load_b128 v[8:11], off, off offset:80
	;; [unrolled: 1-line block ×10, first 2 shown]
	ds_load_b128 v[142:145], v2 offset:832
	ds_load_b128 v[150:153], v2 offset:848
	s_clause 0x2
	scratch_load_b128 v[146:149], off, off offset:224
	scratch_load_b128 v[154:157], off, off offset:48
	scratch_load_b128 v[158:161], off, off offset:240
	s_mov_b32 s2, exec_lo
	s_wait_loadcnt_dscnt 0xc01
	v_mul_f64_e32 v[162:163], v[144:145], v[6:7]
	v_mul_f64_e32 v[166:167], v[142:143], v[6:7]
	s_wait_loadcnt_dscnt 0xb00
	v_mul_f64_e32 v[168:169], v[150:151], v[10:11]
	v_mul_f64_e32 v[10:11], v[152:153], v[10:11]
	s_delay_alu instid0(VALU_DEP_4) | instskip(NEXT) | instid1(VALU_DEP_4)
	v_fma_f64 v[170:171], v[142:143], v[4:5], -v[162:163]
	v_fmac_f64_e32 v[166:167], v[144:145], v[4:5]
	ds_load_b128 v[4:7], v2 offset:864
	ds_load_b128 v[142:145], v2 offset:880
	scratch_load_b128 v[162:165], off, off offset:256
	v_fmac_f64_e32 v[168:169], v[152:153], v[8:9]
	v_fma_f64 v[150:151], v[150:151], v[8:9], -v[10:11]
	scratch_load_b128 v[8:11], off, off offset:272
	s_wait_loadcnt_dscnt 0xc01
	v_mul_f64_e32 v[172:173], v[4:5], v[14:15]
	v_mul_f64_e32 v[14:15], v[6:7], v[14:15]
	v_add_f64_e32 v[152:153], 0, v[170:171]
	v_add_f64_e32 v[166:167], 0, v[166:167]
	s_wait_loadcnt_dscnt 0xb00
	v_mul_f64_e32 v[170:171], v[142:143], v[18:19]
	v_mul_f64_e32 v[18:19], v[144:145], v[18:19]
	v_fmac_f64_e32 v[172:173], v[6:7], v[12:13]
	v_fma_f64 v[174:175], v[4:5], v[12:13], -v[14:15]
	ds_load_b128 v[4:7], v2 offset:896
	ds_load_b128 v[12:15], v2 offset:912
	v_add_f64_e32 v[176:177], v[152:153], v[150:151]
	v_add_f64_e32 v[166:167], v[166:167], v[168:169]
	scratch_load_b128 v[150:153], off, off offset:288
	v_fmac_f64_e32 v[170:171], v[144:145], v[16:17]
	v_fma_f64 v[142:143], v[142:143], v[16:17], -v[18:19]
	scratch_load_b128 v[16:19], off, off offset:304
	s_wait_loadcnt_dscnt 0xc01
	v_mul_f64_e32 v[168:169], v[4:5], v[22:23]
	v_mul_f64_e32 v[22:23], v[6:7], v[22:23]
	v_add_f64_e32 v[144:145], v[176:177], v[174:175]
	v_add_f64_e32 v[166:167], v[166:167], v[172:173]
	s_wait_loadcnt_dscnt 0xb00
	v_mul_f64_e32 v[172:173], v[12:13], v[124:125]
	v_mul_f64_e32 v[124:125], v[14:15], v[124:125]
	v_fmac_f64_e32 v[168:169], v[6:7], v[20:21]
	v_fma_f64 v[174:175], v[4:5], v[20:21], -v[22:23]
	ds_load_b128 v[4:7], v2 offset:928
	ds_load_b128 v[20:23], v2 offset:944
	v_add_f64_e32 v[176:177], v[144:145], v[142:143]
	v_add_f64_e32 v[166:167], v[166:167], v[170:171]
	scratch_load_b128 v[142:145], off, off offset:320
	s_wait_loadcnt_dscnt 0xb01
	v_mul_f64_e32 v[170:171], v[4:5], v[128:129]
	v_mul_f64_e32 v[128:129], v[6:7], v[128:129]
	v_fmac_f64_e32 v[172:173], v[14:15], v[122:123]
	v_fma_f64 v[122:123], v[12:13], v[122:123], -v[124:125]
	scratch_load_b128 v[12:15], off, off offset:336
	v_add_f64_e32 v[124:125], v[176:177], v[174:175]
	v_add_f64_e32 v[166:167], v[166:167], v[168:169]
	s_wait_loadcnt_dscnt 0xb00
	v_mul_f64_e32 v[168:169], v[20:21], v[132:133]
	v_mul_f64_e32 v[132:133], v[22:23], v[132:133]
	v_fmac_f64_e32 v[170:171], v[6:7], v[126:127]
	v_fma_f64 v[174:175], v[4:5], v[126:127], -v[128:129]
	v_add_f64_e32 v[176:177], v[124:125], v[122:123]
	v_add_f64_e32 v[166:167], v[166:167], v[172:173]
	ds_load_b128 v[4:7], v2 offset:960
	ds_load_b128 v[122:125], v2 offset:976
	scratch_load_b128 v[126:129], off, off offset:352
	v_fmac_f64_e32 v[168:169], v[22:23], v[130:131]
	v_fma_f64 v[130:131], v[20:21], v[130:131], -v[132:133]
	scratch_load_b128 v[20:23], off, off offset:368
	s_wait_loadcnt_dscnt 0xc01
	v_mul_f64_e32 v[172:173], v[4:5], v[136:137]
	v_mul_f64_e32 v[136:137], v[6:7], v[136:137]
	v_add_f64_e32 v[132:133], v[176:177], v[174:175]
	v_add_f64_e32 v[166:167], v[166:167], v[170:171]
	s_wait_loadcnt_dscnt 0xb00
	v_mul_f64_e32 v[170:171], v[122:123], v[140:141]
	v_mul_f64_e32 v[140:141], v[124:125], v[140:141]
	v_fmac_f64_e32 v[172:173], v[6:7], v[134:135]
	v_fma_f64 v[174:175], v[4:5], v[134:135], -v[136:137]
	v_add_f64_e32 v[176:177], v[132:133], v[130:131]
	v_add_f64_e32 v[166:167], v[166:167], v[168:169]
	ds_load_b128 v[4:7], v2 offset:992
	ds_load_b128 v[130:133], v2 offset:1008
	scratch_load_b128 v[134:137], off, off offset:384
	v_fmac_f64_e32 v[170:171], v[124:125], v[138:139]
	v_fma_f64 v[138:139], v[122:123], v[138:139], -v[140:141]
	scratch_load_b128 v[122:125], off, off offset:400
	s_wait_loadcnt_dscnt 0xc01
	v_mul_f64_e32 v[168:169], v[4:5], v[148:149]
	v_mul_f64_e32 v[148:149], v[6:7], v[148:149]
	v_add_f64_e32 v[140:141], v[176:177], v[174:175]
	v_add_f64_e32 v[166:167], v[166:167], v[172:173]
	s_wait_loadcnt_dscnt 0xa00
	v_mul_f64_e32 v[172:173], v[130:131], v[160:161]
	v_mul_f64_e32 v[160:161], v[132:133], v[160:161]
	v_fmac_f64_e32 v[168:169], v[6:7], v[146:147]
	v_fma_f64 v[174:175], v[4:5], v[146:147], -v[148:149]
	v_add_f64_e32 v[176:177], v[140:141], v[138:139]
	v_add_f64_e32 v[166:167], v[166:167], v[170:171]
	ds_load_b128 v[4:7], v2 offset:1024
	ds_load_b128 v[138:141], v2 offset:1040
	scratch_load_b128 v[146:149], off, off offset:416
	v_fmac_f64_e32 v[172:173], v[132:133], v[158:159]
	v_fma_f64 v[158:159], v[130:131], v[158:159], -v[160:161]
	scratch_load_b128 v[130:133], off, off offset:432
	s_wait_loadcnt_dscnt 0xb01
	v_mul_f64_e32 v[170:171], v[4:5], v[164:165]
	v_mul_f64_e32 v[164:165], v[6:7], v[164:165]
	v_add_f64_e32 v[160:161], v[176:177], v[174:175]
	v_add_f64_e32 v[166:167], v[166:167], v[168:169]
	s_wait_loadcnt_dscnt 0xa00
	v_mul_f64_e32 v[168:169], v[138:139], v[10:11]
	v_mul_f64_e32 v[10:11], v[140:141], v[10:11]
	v_fmac_f64_e32 v[170:171], v[6:7], v[162:163]
	v_fma_f64 v[174:175], v[4:5], v[162:163], -v[164:165]
	v_add_f64_e32 v[176:177], v[160:161], v[158:159]
	v_add_f64_e32 v[166:167], v[166:167], v[172:173]
	ds_load_b128 v[4:7], v2 offset:1056
	ds_load_b128 v[158:161], v2 offset:1072
	scratch_load_b128 v[162:165], off, off offset:448
	v_fmac_f64_e32 v[168:169], v[140:141], v[8:9]
	v_fma_f64 v[138:139], v[138:139], v[8:9], -v[10:11]
	scratch_load_b128 v[8:11], off, off offset:464
	s_wait_loadcnt_dscnt 0xb01
	v_mul_f64_e32 v[172:173], v[4:5], v[152:153]
	v_mul_f64_e32 v[152:153], v[6:7], v[152:153]
	v_add_f64_e32 v[140:141], v[176:177], v[174:175]
	v_add_f64_e32 v[166:167], v[166:167], v[170:171]
	s_wait_loadcnt_dscnt 0xa00
	v_mul_f64_e32 v[170:171], v[158:159], v[18:19]
	v_mul_f64_e32 v[18:19], v[160:161], v[18:19]
	v_fmac_f64_e32 v[172:173], v[6:7], v[150:151]
	v_fma_f64 v[174:175], v[4:5], v[150:151], -v[152:153]
	v_add_f64_e32 v[176:177], v[140:141], v[138:139]
	v_add_f64_e32 v[166:167], v[166:167], v[168:169]
	ds_load_b128 v[4:7], v2 offset:1088
	ds_load_b128 v[138:141], v2 offset:1104
	scratch_load_b128 v[150:153], off, off offset:480
	v_fmac_f64_e32 v[170:171], v[160:161], v[16:17]
	v_fma_f64 v[158:159], v[158:159], v[16:17], -v[18:19]
	scratch_load_b128 v[16:19], off, off offset:496
	s_wait_loadcnt_dscnt 0xb01
	v_mul_f64_e32 v[168:169], v[4:5], v[144:145]
	v_mul_f64_e32 v[144:145], v[6:7], v[144:145]
	v_add_f64_e32 v[160:161], v[176:177], v[174:175]
	v_add_f64_e32 v[166:167], v[166:167], v[172:173]
	s_wait_loadcnt_dscnt 0xa00
	v_mul_f64_e32 v[172:173], v[138:139], v[14:15]
	v_mul_f64_e32 v[14:15], v[140:141], v[14:15]
	v_fmac_f64_e32 v[168:169], v[6:7], v[142:143]
	v_fma_f64 v[174:175], v[4:5], v[142:143], -v[144:145]
	ds_load_b128 v[4:7], v2 offset:1120
	ds_load_b128 v[142:145], v2 offset:1136
	v_add_f64_e32 v[176:177], v[160:161], v[158:159]
	v_add_f64_e32 v[166:167], v[166:167], v[170:171]
	scratch_load_b128 v[158:161], off, off offset:512
	v_fmac_f64_e32 v[172:173], v[140:141], v[12:13]
	v_fma_f64 v[138:139], v[138:139], v[12:13], -v[14:15]
	scratch_load_b128 v[12:15], off, off offset:528
	s_wait_loadcnt_dscnt 0xb01
	v_mul_f64_e32 v[170:171], v[4:5], v[128:129]
	v_mul_f64_e32 v[128:129], v[6:7], v[128:129]
	v_add_f64_e32 v[140:141], v[176:177], v[174:175]
	v_add_f64_e32 v[166:167], v[166:167], v[168:169]
	s_wait_loadcnt_dscnt 0xa00
	v_mul_f64_e32 v[168:169], v[142:143], v[22:23]
	v_mul_f64_e32 v[22:23], v[144:145], v[22:23]
	v_fmac_f64_e32 v[170:171], v[6:7], v[126:127]
	v_fma_f64 v[174:175], v[4:5], v[126:127], -v[128:129]
	ds_load_b128 v[4:7], v2 offset:1152
	ds_load_b128 v[126:129], v2 offset:1168
	v_add_f64_e32 v[176:177], v[140:141], v[138:139]
	v_add_f64_e32 v[166:167], v[166:167], v[172:173]
	scratch_load_b128 v[138:141], off, off offset:544
	s_wait_loadcnt_dscnt 0xa01
	v_mul_f64_e32 v[172:173], v[4:5], v[136:137]
	v_mul_f64_e32 v[136:137], v[6:7], v[136:137]
	v_fmac_f64_e32 v[168:169], v[144:145], v[20:21]
	v_fma_f64 v[142:143], v[142:143], v[20:21], -v[22:23]
	scratch_load_b128 v[20:23], off, off offset:560
	v_add_f64_e32 v[144:145], v[176:177], v[174:175]
	v_add_f64_e32 v[166:167], v[166:167], v[170:171]
	s_wait_loadcnt_dscnt 0xa00
	v_mul_f64_e32 v[170:171], v[126:127], v[124:125]
	v_mul_f64_e32 v[124:125], v[128:129], v[124:125]
	v_fmac_f64_e32 v[172:173], v[6:7], v[134:135]
	v_fma_f64 v[174:175], v[4:5], v[134:135], -v[136:137]
	ds_load_b128 v[4:7], v2 offset:1184
	ds_load_b128 v[134:137], v2 offset:1200
	v_add_f64_e32 v[176:177], v[144:145], v[142:143]
	v_add_f64_e32 v[166:167], v[166:167], v[168:169]
	scratch_load_b128 v[142:145], off, off offset:576
	s_wait_loadcnt_dscnt 0xa01
	v_mul_f64_e32 v[168:169], v[4:5], v[148:149]
	v_mul_f64_e32 v[148:149], v[6:7], v[148:149]
	v_fmac_f64_e32 v[170:171], v[128:129], v[122:123]
	v_fma_f64 v[126:127], v[126:127], v[122:123], -v[124:125]
	scratch_load_b128 v[122:125], off, off offset:592
	v_add_f64_e32 v[128:129], v[176:177], v[174:175]
	v_add_f64_e32 v[166:167], v[166:167], v[172:173]
	s_wait_loadcnt_dscnt 0xa00
	v_mul_f64_e32 v[172:173], v[134:135], v[132:133]
	v_mul_f64_e32 v[132:133], v[136:137], v[132:133]
	v_fmac_f64_e32 v[168:169], v[6:7], v[146:147]
	v_fma_f64 v[174:175], v[4:5], v[146:147], -v[148:149]
	v_add_f64_e32 v[176:177], v[128:129], v[126:127]
	v_add_f64_e32 v[166:167], v[166:167], v[170:171]
	ds_load_b128 v[4:7], v2 offset:1216
	ds_load_b128 v[126:129], v2 offset:1232
	scratch_load_b128 v[146:149], off, off offset:608
	v_fmac_f64_e32 v[172:173], v[136:137], v[130:131]
	v_fma_f64 v[134:135], v[134:135], v[130:131], -v[132:133]
	scratch_load_b128 v[130:133], off, off offset:624
	s_wait_loadcnt_dscnt 0xb01
	v_mul_f64_e32 v[170:171], v[4:5], v[164:165]
	v_mul_f64_e32 v[164:165], v[6:7], v[164:165]
	v_add_f64_e32 v[136:137], v[176:177], v[174:175]
	v_add_f64_e32 v[166:167], v[166:167], v[168:169]
	s_wait_loadcnt_dscnt 0xa00
	v_mul_f64_e32 v[168:169], v[126:127], v[10:11]
	v_mul_f64_e32 v[10:11], v[128:129], v[10:11]
	v_fmac_f64_e32 v[170:171], v[6:7], v[162:163]
	v_fma_f64 v[174:175], v[4:5], v[162:163], -v[164:165]
	v_add_f64_e32 v[176:177], v[136:137], v[134:135]
	v_add_f64_e32 v[166:167], v[166:167], v[172:173]
	ds_load_b128 v[4:7], v2 offset:1248
	ds_load_b128 v[134:137], v2 offset:1264
	scratch_load_b128 v[162:165], off, off offset:640
	v_fmac_f64_e32 v[168:169], v[128:129], v[8:9]
	v_fma_f64 v[126:127], v[126:127], v[8:9], -v[10:11]
	scratch_load_b128 v[8:11], off, off offset:656
	s_wait_loadcnt_dscnt 0xb01
	v_mul_f64_e32 v[172:173], v[4:5], v[152:153]
	v_mul_f64_e32 v[152:153], v[6:7], v[152:153]
	;; [unrolled: 18-line block ×5, first 2 shown]
	v_add_f64_e32 v[136:137], v[176:177], v[174:175]
	v_add_f64_e32 v[166:167], v[166:167], v[170:171]
	s_wait_loadcnt_dscnt 0xa00
	v_mul_f64_e32 v[170:171], v[126:127], v[124:125]
	v_mul_f64_e32 v[124:125], v[128:129], v[124:125]
	v_fmac_f64_e32 v[172:173], v[6:7], v[142:143]
	v_fma_f64 v[142:143], v[4:5], v[142:143], -v[144:145]
	v_add_f64_e32 v[144:145], v[136:137], v[134:135]
	v_add_f64_e32 v[166:167], v[166:167], v[168:169]
	ds_load_b128 v[4:7], v2 offset:1376
	ds_load_b128 v[134:137], v2 offset:1392
	v_fmac_f64_e32 v[170:171], v[128:129], v[122:123]
	v_fma_f64 v[122:123], v[126:127], v[122:123], -v[124:125]
	s_wait_loadcnt_dscnt 0x901
	v_mul_f64_e32 v[168:169], v[4:5], v[148:149]
	v_mul_f64_e32 v[148:149], v[6:7], v[148:149]
	s_wait_loadcnt_dscnt 0x800
	v_mul_f64_e32 v[128:129], v[134:135], v[132:133]
	v_mul_f64_e32 v[132:133], v[136:137], v[132:133]
	v_add_f64_e32 v[124:125], v[144:145], v[142:143]
	v_add_f64_e32 v[126:127], v[166:167], v[172:173]
	v_fmac_f64_e32 v[168:169], v[6:7], v[146:147]
	v_fma_f64 v[142:143], v[4:5], v[146:147], -v[148:149]
	v_fmac_f64_e32 v[128:129], v[136:137], v[130:131]
	v_fma_f64 v[130:131], v[134:135], v[130:131], -v[132:133]
	v_add_f64_e32 v[144:145], v[124:125], v[122:123]
	v_add_f64_e32 v[126:127], v[126:127], v[170:171]
	ds_load_b128 v[4:7], v2 offset:1408
	ds_load_b128 v[122:125], v2 offset:1424
	s_wait_loadcnt_dscnt 0x701
	v_mul_f64_e32 v[146:147], v[4:5], v[164:165]
	v_mul_f64_e32 v[148:149], v[6:7], v[164:165]
	s_wait_loadcnt_dscnt 0x600
	v_mul_f64_e32 v[134:135], v[122:123], v[10:11]
	v_mul_f64_e32 v[10:11], v[124:125], v[10:11]
	v_add_f64_e32 v[132:133], v[144:145], v[142:143]
	v_add_f64_e32 v[126:127], v[126:127], v[168:169]
	v_fmac_f64_e32 v[146:147], v[6:7], v[162:163]
	v_fma_f64 v[136:137], v[4:5], v[162:163], -v[148:149]
	v_fmac_f64_e32 v[134:135], v[124:125], v[8:9]
	v_fma_f64 v[8:9], v[122:123], v[8:9], -v[10:11]
	v_add_f64_e32 v[130:131], v[132:133], v[130:131]
	v_add_f64_e32 v[132:133], v[126:127], v[128:129]
	ds_load_b128 v[4:7], v2 offset:1440
	ds_load_b128 v[126:129], v2 offset:1456
	;; [unrolled: 16-line block ×4, first 2 shown]
	s_wait_loadcnt_dscnt 0x101
	v_mul_f64_e32 v[2:3], v[4:5], v[140:141]
	v_mul_f64_e32 v[124:125], v[6:7], v[140:141]
	v_add_f64_e32 v[10:11], v[18:19], v[130:131]
	v_add_f64_e32 v[12:13], v[122:123], v[134:135]
	s_wait_loadcnt_dscnt 0x0
	v_mul_f64_e32 v[18:19], v[14:15], v[22:23]
	v_mul_f64_e32 v[22:23], v[16:17], v[22:23]
	v_fmac_f64_e32 v[2:3], v[6:7], v[138:139]
	v_fma_f64 v[4:5], v[4:5], v[138:139], -v[124:125]
	v_add_f64_e32 v[6:7], v[10:11], v[8:9]
	v_add_f64_e32 v[8:9], v[12:13], v[126:127]
	v_fmac_f64_e32 v[18:19], v[16:17], v[20:21]
	v_fma_f64 v[10:11], v[14:15], v[20:21], -v[22:23]
	s_delay_alu instid0(VALU_DEP_4) | instskip(NEXT) | instid1(VALU_DEP_4)
	v_add_f64_e32 v[4:5], v[6:7], v[4:5]
	v_add_f64_e32 v[2:3], v[8:9], v[2:3]
	s_delay_alu instid0(VALU_DEP_2) | instskip(NEXT) | instid1(VALU_DEP_2)
	v_add_f64_e32 v[4:5], v[4:5], v[10:11]
	v_add_f64_e32 v[6:7], v[2:3], v[18:19]
	s_delay_alu instid0(VALU_DEP_2) | instskip(NEXT) | instid1(VALU_DEP_2)
	v_add_f64_e64 v[2:3], v[154:155], -v[4:5]
	v_add_f64_e64 v[4:5], v[156:157], -v[6:7]
	scratch_store_b128 off, v[2:5], off offset:48
	s_wait_xcnt 0x0
	v_cmpx_lt_u32_e32 2, v1
	s_cbranch_execz .LBB111_297
; %bb.296:
	scratch_load_b128 v[2:5], off, s16
	v_mov_b32_e32 v6, 0
	s_delay_alu instid0(VALU_DEP_1)
	v_dual_mov_b32 v7, v6 :: v_dual_mov_b32 v8, v6
	v_mov_b32_e32 v9, v6
	scratch_store_b128 off, v[6:9], off offset:32
	s_wait_loadcnt 0x0
	ds_store_b128 v120, v[2:5]
.LBB111_297:
	s_wait_xcnt 0x0
	s_or_b32 exec_lo, exec_lo, s2
	s_wait_storecnt_dscnt 0x0
	s_barrier_signal -1
	s_barrier_wait -1
	s_clause 0x9
	scratch_load_b128 v[4:7], off, off offset:48
	scratch_load_b128 v[8:11], off, off offset:64
	;; [unrolled: 1-line block ×10, first 2 shown]
	v_mov_b32_e32 v2, 0
	s_mov_b32 s2, exec_lo
	v_dual_ashrrev_i32 v29, 31, v28 :: v_dual_ashrrev_i32 v31, 31, v30
	v_ashrrev_i32_e32 v33, 31, v32
	ds_load_b128 v[142:145], v2 offset:816
	s_clause 0x2
	scratch_load_b128 v[146:149], off, off offset:208
	scratch_load_b128 v[150:153], off, off offset:32
	;; [unrolled: 1-line block ×3, first 2 shown]
	v_ashrrev_i32_e32 v37, 31, v36
	v_ashrrev_i32_e32 v41, 31, v40
	v_dual_ashrrev_i32 v45, 31, v44 :: v_dual_ashrrev_i32 v35, 31, v34
	v_ashrrev_i32_e32 v49, 31, v48
	v_dual_ashrrev_i32 v53, 31, v52 :: v_dual_ashrrev_i32 v39, 31, v38
	;; [unrolled: 2-line block ×3, first 2 shown]
	v_ashrrev_i32_e32 v65, 31, v64
	v_ashrrev_i32_e32 v69, 31, v68
	v_dual_ashrrev_i32 v73, 31, v72 :: v_dual_ashrrev_i32 v47, 31, v46
	v_dual_ashrrev_i32 v51, 31, v50 :: v_dual_ashrrev_i32 v77, 31, v76
	v_ashrrev_i32_e32 v55, 31, v54
	v_ashrrev_i32_e32 v59, 31, v58
	v_dual_ashrrev_i32 v63, 31, v62 :: v_dual_ashrrev_i32 v81, 31, v80
	v_dual_ashrrev_i32 v85, 31, v84 :: v_dual_ashrrev_i32 v67, 31, v66
	;; [unrolled: 1-line block ×4, first 2 shown]
	v_ashrrev_i32_e32 v79, 31, v78
	v_dual_ashrrev_i32 v83, 31, v82 :: v_dual_ashrrev_i32 v97, 31, v96
	v_dual_ashrrev_i32 v87, 31, v86 :: v_dual_ashrrev_i32 v101, 31, v100
	v_ashrrev_i32_e32 v91, 31, v90
	v_dual_ashrrev_i32 v95, 31, v94 :: v_dual_ashrrev_i32 v105, 31, v104
	v_ashrrev_i32_e32 v109, 31, v108
	v_dual_ashrrev_i32 v113, 31, v112 :: v_dual_ashrrev_i32 v99, 31, v98
	v_dual_ashrrev_i32 v103, 31, v102 :: v_dual_ashrrev_i32 v117, 31, v116
	v_ashrrev_i32_e32 v107, 31, v106
	v_ashrrev_i32_e32 v111, 31, v110
	;; [unrolled: 1-line block ×4, first 2 shown]
	s_wait_loadcnt_dscnt 0xc00
	v_mul_f64_e32 v[162:163], v[144:145], v[6:7]
	v_mul_f64_e32 v[166:167], v[142:143], v[6:7]
	ds_load_b128 v[154:157], v2 offset:832
	v_fma_f64 v[170:171], v[142:143], v[4:5], -v[162:163]
	v_fmac_f64_e32 v[166:167], v[144:145], v[4:5]
	ds_load_b128 v[4:7], v2 offset:848
	s_wait_loadcnt_dscnt 0xb01
	v_mul_f64_e32 v[168:169], v[154:155], v[10:11]
	v_mul_f64_e32 v[10:11], v[156:157], v[10:11]
	scratch_load_b128 v[142:145], off, off offset:240
	ds_load_b128 v[162:165], v2 offset:864
	s_wait_loadcnt_dscnt 0xb01
	v_mul_f64_e32 v[172:173], v[4:5], v[14:15]
	v_mul_f64_e32 v[14:15], v[6:7], v[14:15]
	v_add_f64_e32 v[166:167], 0, v[166:167]
	v_fmac_f64_e32 v[168:169], v[156:157], v[8:9]
	v_fma_f64 v[154:155], v[154:155], v[8:9], -v[10:11]
	v_add_f64_e32 v[156:157], 0, v[170:171]
	scratch_load_b128 v[8:11], off, off offset:256
	v_fmac_f64_e32 v[172:173], v[6:7], v[12:13]
	v_fma_f64 v[174:175], v[4:5], v[12:13], -v[14:15]
	ds_load_b128 v[4:7], v2 offset:880
	s_wait_loadcnt_dscnt 0xb01
	v_mul_f64_e32 v[170:171], v[162:163], v[18:19]
	v_mul_f64_e32 v[18:19], v[164:165], v[18:19]
	scratch_load_b128 v[12:15], off, off offset:272
	v_add_f64_e32 v[166:167], v[166:167], v[168:169]
	v_add_f64_e32 v[176:177], v[156:157], v[154:155]
	ds_load_b128 v[154:157], v2 offset:896
	s_wait_loadcnt_dscnt 0xb01
	v_mul_f64_e32 v[168:169], v[4:5], v[22:23]
	v_mul_f64_e32 v[22:23], v[6:7], v[22:23]
	v_fmac_f64_e32 v[170:171], v[164:165], v[16:17]
	v_fma_f64 v[162:163], v[162:163], v[16:17], -v[18:19]
	scratch_load_b128 v[16:19], off, off offset:288
	v_add_f64_e32 v[166:167], v[166:167], v[172:173]
	v_add_f64_e32 v[164:165], v[176:177], v[174:175]
	v_fmac_f64_e32 v[168:169], v[6:7], v[20:21]
	v_fma_f64 v[174:175], v[4:5], v[20:21], -v[22:23]
	ds_load_b128 v[4:7], v2 offset:912
	s_wait_loadcnt_dscnt 0xb01
	v_mul_f64_e32 v[172:173], v[154:155], v[124:125]
	v_mul_f64_e32 v[124:125], v[156:157], v[124:125]
	scratch_load_b128 v[20:23], off, off offset:304
	v_add_f64_e32 v[166:167], v[166:167], v[170:171]
	s_wait_loadcnt_dscnt 0xb00
	v_mul_f64_e32 v[170:171], v[4:5], v[128:129]
	v_add_f64_e32 v[176:177], v[164:165], v[162:163]
	v_mul_f64_e32 v[128:129], v[6:7], v[128:129]
	ds_load_b128 v[162:165], v2 offset:928
	v_fmac_f64_e32 v[172:173], v[156:157], v[122:123]
	v_fma_f64 v[154:155], v[154:155], v[122:123], -v[124:125]
	scratch_load_b128 v[122:125], off, off offset:320
	v_add_f64_e32 v[166:167], v[166:167], v[168:169]
	v_fmac_f64_e32 v[170:171], v[6:7], v[126:127]
	v_add_f64_e32 v[156:157], v[176:177], v[174:175]
	v_fma_f64 v[174:175], v[4:5], v[126:127], -v[128:129]
	ds_load_b128 v[4:7], v2 offset:944
	s_wait_loadcnt_dscnt 0xb01
	v_mul_f64_e32 v[168:169], v[162:163], v[132:133]
	v_mul_f64_e32 v[132:133], v[164:165], v[132:133]
	scratch_load_b128 v[126:129], off, off offset:336
	v_add_f64_e32 v[166:167], v[166:167], v[172:173]
	s_wait_loadcnt_dscnt 0xb00
	v_mul_f64_e32 v[172:173], v[4:5], v[136:137]
	v_add_f64_e32 v[176:177], v[156:157], v[154:155]
	v_mul_f64_e32 v[136:137], v[6:7], v[136:137]
	ds_load_b128 v[154:157], v2 offset:960
	v_fmac_f64_e32 v[168:169], v[164:165], v[130:131]
	v_fma_f64 v[162:163], v[162:163], v[130:131], -v[132:133]
	scratch_load_b128 v[130:133], off, off offset:352
	v_add_f64_e32 v[166:167], v[166:167], v[170:171]
	v_fmac_f64_e32 v[172:173], v[6:7], v[134:135]
	v_add_f64_e32 v[164:165], v[176:177], v[174:175]
	;; [unrolled: 18-line block ×3, first 2 shown]
	v_fma_f64 v[174:175], v[4:5], v[146:147], -v[148:149]
	ds_load_b128 v[4:7], v2 offset:1008
	s_wait_loadcnt_dscnt 0xa01
	v_mul_f64_e32 v[172:173], v[162:163], v[160:161]
	v_mul_f64_e32 v[160:161], v[164:165], v[160:161]
	scratch_load_b128 v[146:149], off, off offset:400
	v_add_f64_e32 v[166:167], v[166:167], v[170:171]
	v_add_f64_e32 v[176:177], v[156:157], v[154:155]
	s_wait_loadcnt_dscnt 0xa00
	v_mul_f64_e32 v[170:171], v[4:5], v[144:145]
	v_mul_f64_e32 v[144:145], v[6:7], v[144:145]
	v_fmac_f64_e32 v[172:173], v[164:165], v[158:159]
	v_fma_f64 v[162:163], v[162:163], v[158:159], -v[160:161]
	ds_load_b128 v[154:157], v2 offset:1024
	scratch_load_b128 v[158:161], off, off offset:416
	v_add_f64_e32 v[166:167], v[166:167], v[168:169]
	v_add_f64_e32 v[164:165], v[176:177], v[174:175]
	v_fmac_f64_e32 v[170:171], v[6:7], v[142:143]
	v_fma_f64 v[174:175], v[4:5], v[142:143], -v[144:145]
	ds_load_b128 v[4:7], v2 offset:1040
	s_wait_loadcnt_dscnt 0xa01
	v_mul_f64_e32 v[168:169], v[154:155], v[10:11]
	v_mul_f64_e32 v[10:11], v[156:157], v[10:11]
	scratch_load_b128 v[142:145], off, off offset:432
	v_add_f64_e32 v[166:167], v[166:167], v[172:173]
	s_wait_loadcnt_dscnt 0xa00
	v_mul_f64_e32 v[172:173], v[4:5], v[14:15]
	v_add_f64_e32 v[176:177], v[164:165], v[162:163]
	v_mul_f64_e32 v[14:15], v[6:7], v[14:15]
	ds_load_b128 v[162:165], v2 offset:1056
	v_fmac_f64_e32 v[168:169], v[156:157], v[8:9]
	v_fma_f64 v[154:155], v[154:155], v[8:9], -v[10:11]
	scratch_load_b128 v[8:11], off, off offset:448
	v_add_f64_e32 v[166:167], v[166:167], v[170:171]
	v_fmac_f64_e32 v[172:173], v[6:7], v[12:13]
	v_add_f64_e32 v[156:157], v[176:177], v[174:175]
	v_fma_f64 v[174:175], v[4:5], v[12:13], -v[14:15]
	ds_load_b128 v[4:7], v2 offset:1072
	s_wait_loadcnt_dscnt 0xa01
	v_mul_f64_e32 v[170:171], v[162:163], v[18:19]
	v_mul_f64_e32 v[18:19], v[164:165], v[18:19]
	scratch_load_b128 v[12:15], off, off offset:464
	v_add_f64_e32 v[166:167], v[166:167], v[168:169]
	s_wait_loadcnt_dscnt 0xa00
	v_mul_f64_e32 v[168:169], v[4:5], v[22:23]
	v_add_f64_e32 v[176:177], v[156:157], v[154:155]
	v_mul_f64_e32 v[22:23], v[6:7], v[22:23]
	ds_load_b128 v[154:157], v2 offset:1088
	v_fmac_f64_e32 v[170:171], v[164:165], v[16:17]
	v_fma_f64 v[162:163], v[162:163], v[16:17], -v[18:19]
	scratch_load_b128 v[16:19], off, off offset:480
	v_add_f64_e32 v[166:167], v[166:167], v[172:173]
	v_fmac_f64_e32 v[168:169], v[6:7], v[20:21]
	v_add_f64_e32 v[164:165], v[176:177], v[174:175]
	;; [unrolled: 18-line block ×10, first 2 shown]
	v_fma_f64 v[174:175], v[4:5], v[134:135], -v[136:137]
	ds_load_b128 v[4:7], v2 offset:1360
	s_wait_loadcnt_dscnt 0xa01
	v_mul_f64_e32 v[170:171], v[154:155], v[140:141]
	v_mul_f64_e32 v[140:141], v[156:157], v[140:141]
	scratch_load_b128 v[134:137], off, off offset:752
	v_add_f64_e32 v[166:167], v[166:167], v[168:169]
	s_wait_loadcnt_dscnt 0xa00
	v_mul_f64_e32 v[168:169], v[4:5], v[148:149]
	v_add_f64_e32 v[176:177], v[164:165], v[162:163]
	v_mul_f64_e32 v[148:149], v[6:7], v[148:149]
	ds_load_b128 v[162:165], v2 offset:1376
	v_fmac_f64_e32 v[170:171], v[156:157], v[138:139]
	v_fma_f64 v[138:139], v[154:155], v[138:139], -v[140:141]
	s_wait_loadcnt_dscnt 0x900
	v_mul_f64_e32 v[156:157], v[162:163], v[160:161]
	v_mul_f64_e32 v[160:161], v[164:165], v[160:161]
	v_add_f64_e32 v[154:155], v[166:167], v[172:173]
	v_fmac_f64_e32 v[168:169], v[6:7], v[146:147]
	v_add_f64_e32 v[140:141], v[176:177], v[174:175]
	v_fma_f64 v[146:147], v[4:5], v[146:147], -v[148:149]
	v_fmac_f64_e32 v[156:157], v[164:165], v[158:159]
	v_fma_f64 v[158:159], v[162:163], v[158:159], -v[160:161]
	v_add_f64_e32 v[154:155], v[154:155], v[170:171]
	v_add_f64_e32 v[148:149], v[140:141], v[138:139]
	ds_load_b128 v[4:7], v2 offset:1392
	ds_load_b128 v[138:141], v2 offset:1408
	s_wait_loadcnt_dscnt 0x801
	v_mul_f64_e32 v[166:167], v[4:5], v[144:145]
	v_mul_f64_e32 v[144:145], v[6:7], v[144:145]
	v_add_f64_e32 v[146:147], v[148:149], v[146:147]
	v_add_f64_e32 v[148:149], v[154:155], v[168:169]
	s_wait_loadcnt_dscnt 0x700
	v_mul_f64_e32 v[154:155], v[138:139], v[10:11]
	v_mul_f64_e32 v[10:11], v[140:141], v[10:11]
	v_fmac_f64_e32 v[166:167], v[6:7], v[142:143]
	v_fma_f64 v[160:161], v[4:5], v[142:143], -v[144:145]
	ds_load_b128 v[4:7], v2 offset:1424
	ds_load_b128 v[142:145], v2 offset:1440
	v_add_f64_e32 v[146:147], v[146:147], v[158:159]
	v_add_f64_e32 v[148:149], v[148:149], v[156:157]
	v_fmac_f64_e32 v[154:155], v[140:141], v[8:9]
	v_fma_f64 v[8:9], v[138:139], v[8:9], -v[10:11]
	s_wait_loadcnt_dscnt 0x601
	v_mul_f64_e32 v[156:157], v[4:5], v[14:15]
	v_mul_f64_e32 v[14:15], v[6:7], v[14:15]
	s_wait_loadcnt_dscnt 0x500
	v_mul_f64_e32 v[140:141], v[142:143], v[18:19]
	v_mul_f64_e32 v[18:19], v[144:145], v[18:19]
	v_add_f64_e32 v[10:11], v[146:147], v[160:161]
	v_add_f64_e32 v[138:139], v[148:149], v[166:167]
	v_fmac_f64_e32 v[156:157], v[6:7], v[12:13]
	v_fma_f64 v[12:13], v[4:5], v[12:13], -v[14:15]
	v_fmac_f64_e32 v[140:141], v[144:145], v[16:17]
	v_fma_f64 v[16:17], v[142:143], v[16:17], -v[18:19]
	v_add_f64_e32 v[14:15], v[10:11], v[8:9]
	v_add_f64_e32 v[138:139], v[138:139], v[154:155]
	ds_load_b128 v[4:7], v2 offset:1456
	ds_load_b128 v[8:11], v2 offset:1472
	s_wait_loadcnt_dscnt 0x401
	v_mul_f64_e32 v[146:147], v[4:5], v[22:23]
	v_mul_f64_e32 v[22:23], v[6:7], v[22:23]
	s_wait_loadcnt_dscnt 0x300
	v_mul_f64_e32 v[18:19], v[8:9], v[124:125]
	v_mul_f64_e32 v[124:125], v[10:11], v[124:125]
	v_add_f64_e32 v[12:13], v[14:15], v[12:13]
	v_add_f64_e32 v[14:15], v[138:139], v[156:157]
	v_fmac_f64_e32 v[146:147], v[6:7], v[20:21]
	v_fma_f64 v[20:21], v[4:5], v[20:21], -v[22:23]
	v_fmac_f64_e32 v[18:19], v[10:11], v[122:123]
	v_fma_f64 v[8:9], v[8:9], v[122:123], -v[124:125]
	v_add_f64_e32 v[16:17], v[12:13], v[16:17]
	v_add_f64_e32 v[22:23], v[14:15], v[140:141]
	ds_load_b128 v[4:7], v2 offset:1488
	ds_load_b128 v[12:15], v2 offset:1504
	s_wait_loadcnt_dscnt 0x201
	v_mul_f64_e32 v[138:139], v[4:5], v[128:129]
	v_mul_f64_e32 v[128:129], v[6:7], v[128:129]
	v_add_f64_e32 v[10:11], v[16:17], v[20:21]
	v_add_f64_e32 v[16:17], v[22:23], v[146:147]
	s_wait_loadcnt_dscnt 0x100
	v_mul_f64_e32 v[20:21], v[12:13], v[132:133]
	v_mul_f64_e32 v[22:23], v[14:15], v[132:133]
	v_fmac_f64_e32 v[138:139], v[6:7], v[126:127]
	v_fma_f64 v[122:123], v[4:5], v[126:127], -v[128:129]
	ds_load_b128 v[4:7], v2 offset:1520
	v_add_f64_e32 v[8:9], v[10:11], v[8:9]
	v_add_f64_e32 v[10:11], v[16:17], v[18:19]
	v_fmac_f64_e32 v[20:21], v[14:15], v[130:131]
	v_fma_f64 v[12:13], v[12:13], v[130:131], -v[22:23]
	s_wait_loadcnt_dscnt 0x0
	v_mul_f64_e32 v[16:17], v[4:5], v[136:137]
	v_mul_f64_e32 v[18:19], v[6:7], v[136:137]
	v_add_f64_e32 v[8:9], v[8:9], v[122:123]
	v_add_f64_e32 v[10:11], v[10:11], v[138:139]
	s_delay_alu instid0(VALU_DEP_4) | instskip(NEXT) | instid1(VALU_DEP_4)
	v_fmac_f64_e32 v[16:17], v[6:7], v[134:135]
	v_fma_f64 v[4:5], v[4:5], v[134:135], -v[18:19]
	s_delay_alu instid0(VALU_DEP_4) | instskip(NEXT) | instid1(VALU_DEP_4)
	v_add_f64_e32 v[6:7], v[8:9], v[12:13]
	v_add_f64_e32 v[8:9], v[10:11], v[20:21]
	s_delay_alu instid0(VALU_DEP_2) | instskip(NEXT) | instid1(VALU_DEP_2)
	v_add_f64_e32 v[4:5], v[6:7], v[4:5]
	v_add_f64_e32 v[6:7], v[8:9], v[16:17]
	s_delay_alu instid0(VALU_DEP_2) | instskip(NEXT) | instid1(VALU_DEP_2)
	v_add_f64_e64 v[4:5], v[150:151], -v[4:5]
	v_add_f64_e64 v[6:7], v[152:153], -v[6:7]
	scratch_store_b128 off, v[4:7], off offset:32
	s_wait_xcnt 0x0
	v_cmpx_lt_u32_e32 1, v1
	s_cbranch_execz .LBB111_299
; %bb.298:
	scratch_load_b128 v[6:9], off, s18
	v_dual_mov_b32 v3, v2 :: v_dual_mov_b32 v4, v2
	v_mov_b32_e32 v5, v2
	scratch_store_b128 off, v[2:5], off offset:16
	s_wait_loadcnt 0x0
	ds_store_b128 v120, v[6:9]
.LBB111_299:
	s_wait_xcnt 0x0
	s_or_b32 exec_lo, exec_lo, s2
	s_wait_storecnt_dscnt 0x0
	s_barrier_signal -1
	s_barrier_wait -1
	s_clause 0x9
	scratch_load_b128 v[4:7], off, off offset:32
	scratch_load_b128 v[8:11], off, off offset:48
	;; [unrolled: 1-line block ×10, first 2 shown]
	ds_load_b128 v[142:145], v2 offset:800
	ds_load_b128 v[150:153], v2 offset:816
	s_clause 0x2
	scratch_load_b128 v[146:149], off, off offset:192
	scratch_load_b128 v[154:157], off, off offset:16
	;; [unrolled: 1-line block ×3, first 2 shown]
	s_mov_b32 s2, exec_lo
	s_wait_loadcnt_dscnt 0xc01
	v_mul_f64_e32 v[162:163], v[144:145], v[6:7]
	v_mul_f64_e32 v[166:167], v[142:143], v[6:7]
	s_wait_loadcnt_dscnt 0xb00
	v_mul_f64_e32 v[168:169], v[150:151], v[10:11]
	v_mul_f64_e32 v[10:11], v[152:153], v[10:11]
	s_delay_alu instid0(VALU_DEP_4) | instskip(NEXT) | instid1(VALU_DEP_4)
	v_fma_f64 v[170:171], v[142:143], v[4:5], -v[162:163]
	v_fmac_f64_e32 v[166:167], v[144:145], v[4:5]
	ds_load_b128 v[4:7], v2 offset:832
	ds_load_b128 v[142:145], v2 offset:848
	scratch_load_b128 v[162:165], off, off offset:224
	v_fmac_f64_e32 v[168:169], v[152:153], v[8:9]
	v_fma_f64 v[150:151], v[150:151], v[8:9], -v[10:11]
	scratch_load_b128 v[8:11], off, off offset:240
	s_wait_loadcnt_dscnt 0xc01
	v_mul_f64_e32 v[172:173], v[4:5], v[14:15]
	v_mul_f64_e32 v[14:15], v[6:7], v[14:15]
	v_add_f64_e32 v[152:153], 0, v[170:171]
	v_add_f64_e32 v[166:167], 0, v[166:167]
	s_wait_loadcnt_dscnt 0xb00
	v_mul_f64_e32 v[170:171], v[142:143], v[18:19]
	v_mul_f64_e32 v[18:19], v[144:145], v[18:19]
	v_fmac_f64_e32 v[172:173], v[6:7], v[12:13]
	v_fma_f64 v[174:175], v[4:5], v[12:13], -v[14:15]
	ds_load_b128 v[4:7], v2 offset:864
	ds_load_b128 v[12:15], v2 offset:880
	v_add_f64_e32 v[176:177], v[152:153], v[150:151]
	v_add_f64_e32 v[166:167], v[166:167], v[168:169]
	scratch_load_b128 v[150:153], off, off offset:256
	v_fmac_f64_e32 v[170:171], v[144:145], v[16:17]
	v_fma_f64 v[142:143], v[142:143], v[16:17], -v[18:19]
	scratch_load_b128 v[16:19], off, off offset:272
	s_wait_loadcnt_dscnt 0xc01
	v_mul_f64_e32 v[168:169], v[4:5], v[22:23]
	v_mul_f64_e32 v[22:23], v[6:7], v[22:23]
	v_add_f64_e32 v[144:145], v[176:177], v[174:175]
	v_add_f64_e32 v[166:167], v[166:167], v[172:173]
	s_wait_loadcnt_dscnt 0xb00
	v_mul_f64_e32 v[172:173], v[12:13], v[124:125]
	v_mul_f64_e32 v[124:125], v[14:15], v[124:125]
	v_fmac_f64_e32 v[168:169], v[6:7], v[20:21]
	v_fma_f64 v[174:175], v[4:5], v[20:21], -v[22:23]
	ds_load_b128 v[4:7], v2 offset:896
	ds_load_b128 v[20:23], v2 offset:912
	v_add_f64_e32 v[176:177], v[144:145], v[142:143]
	v_add_f64_e32 v[166:167], v[166:167], v[170:171]
	scratch_load_b128 v[142:145], off, off offset:288
	s_wait_loadcnt_dscnt 0xb01
	v_mul_f64_e32 v[170:171], v[4:5], v[128:129]
	v_mul_f64_e32 v[128:129], v[6:7], v[128:129]
	v_fmac_f64_e32 v[172:173], v[14:15], v[122:123]
	v_fma_f64 v[122:123], v[12:13], v[122:123], -v[124:125]
	scratch_load_b128 v[12:15], off, off offset:304
	v_add_f64_e32 v[124:125], v[176:177], v[174:175]
	v_add_f64_e32 v[166:167], v[166:167], v[168:169]
	s_wait_loadcnt_dscnt 0xb00
	v_mul_f64_e32 v[168:169], v[20:21], v[132:133]
	v_mul_f64_e32 v[132:133], v[22:23], v[132:133]
	v_fmac_f64_e32 v[170:171], v[6:7], v[126:127]
	v_fma_f64 v[174:175], v[4:5], v[126:127], -v[128:129]
	v_add_f64_e32 v[176:177], v[124:125], v[122:123]
	v_add_f64_e32 v[166:167], v[166:167], v[172:173]
	ds_load_b128 v[4:7], v2 offset:928
	ds_load_b128 v[122:125], v2 offset:944
	scratch_load_b128 v[126:129], off, off offset:320
	v_fmac_f64_e32 v[168:169], v[22:23], v[130:131]
	v_fma_f64 v[130:131], v[20:21], v[130:131], -v[132:133]
	scratch_load_b128 v[20:23], off, off offset:336
	s_wait_loadcnt_dscnt 0xc01
	v_mul_f64_e32 v[172:173], v[4:5], v[136:137]
	v_mul_f64_e32 v[136:137], v[6:7], v[136:137]
	v_add_f64_e32 v[132:133], v[176:177], v[174:175]
	v_add_f64_e32 v[166:167], v[166:167], v[170:171]
	s_wait_loadcnt_dscnt 0xb00
	v_mul_f64_e32 v[170:171], v[122:123], v[140:141]
	v_mul_f64_e32 v[140:141], v[124:125], v[140:141]
	v_fmac_f64_e32 v[172:173], v[6:7], v[134:135]
	v_fma_f64 v[174:175], v[4:5], v[134:135], -v[136:137]
	v_add_f64_e32 v[176:177], v[132:133], v[130:131]
	v_add_f64_e32 v[166:167], v[166:167], v[168:169]
	ds_load_b128 v[4:7], v2 offset:960
	ds_load_b128 v[130:133], v2 offset:976
	scratch_load_b128 v[134:137], off, off offset:352
	v_fmac_f64_e32 v[170:171], v[124:125], v[138:139]
	v_fma_f64 v[138:139], v[122:123], v[138:139], -v[140:141]
	scratch_load_b128 v[122:125], off, off offset:368
	s_wait_loadcnt_dscnt 0xc01
	v_mul_f64_e32 v[168:169], v[4:5], v[148:149]
	v_mul_f64_e32 v[148:149], v[6:7], v[148:149]
	;; [unrolled: 18-line block ×5, first 2 shown]
	v_add_f64_e32 v[160:161], v[176:177], v[174:175]
	v_add_f64_e32 v[166:167], v[166:167], v[172:173]
	s_wait_loadcnt_dscnt 0xa00
	v_mul_f64_e32 v[172:173], v[138:139], v[14:15]
	v_mul_f64_e32 v[14:15], v[140:141], v[14:15]
	v_fmac_f64_e32 v[168:169], v[6:7], v[142:143]
	v_fma_f64 v[174:175], v[4:5], v[142:143], -v[144:145]
	ds_load_b128 v[4:7], v2 offset:1088
	ds_load_b128 v[142:145], v2 offset:1104
	v_add_f64_e32 v[176:177], v[160:161], v[158:159]
	v_add_f64_e32 v[166:167], v[166:167], v[170:171]
	scratch_load_b128 v[158:161], off, off offset:480
	v_fmac_f64_e32 v[172:173], v[140:141], v[12:13]
	v_fma_f64 v[138:139], v[138:139], v[12:13], -v[14:15]
	scratch_load_b128 v[12:15], off, off offset:496
	s_wait_loadcnt_dscnt 0xb01
	v_mul_f64_e32 v[170:171], v[4:5], v[128:129]
	v_mul_f64_e32 v[128:129], v[6:7], v[128:129]
	v_add_f64_e32 v[140:141], v[176:177], v[174:175]
	v_add_f64_e32 v[166:167], v[166:167], v[168:169]
	s_wait_loadcnt_dscnt 0xa00
	v_mul_f64_e32 v[168:169], v[142:143], v[22:23]
	v_mul_f64_e32 v[22:23], v[144:145], v[22:23]
	v_fmac_f64_e32 v[170:171], v[6:7], v[126:127]
	v_fma_f64 v[174:175], v[4:5], v[126:127], -v[128:129]
	ds_load_b128 v[4:7], v2 offset:1120
	ds_load_b128 v[126:129], v2 offset:1136
	v_add_f64_e32 v[176:177], v[140:141], v[138:139]
	v_add_f64_e32 v[166:167], v[166:167], v[172:173]
	scratch_load_b128 v[138:141], off, off offset:512
	s_wait_loadcnt_dscnt 0xa01
	v_mul_f64_e32 v[172:173], v[4:5], v[136:137]
	v_mul_f64_e32 v[136:137], v[6:7], v[136:137]
	v_fmac_f64_e32 v[168:169], v[144:145], v[20:21]
	v_fma_f64 v[142:143], v[142:143], v[20:21], -v[22:23]
	scratch_load_b128 v[20:23], off, off offset:528
	v_add_f64_e32 v[144:145], v[176:177], v[174:175]
	v_add_f64_e32 v[166:167], v[166:167], v[170:171]
	s_wait_loadcnt_dscnt 0xa00
	v_mul_f64_e32 v[170:171], v[126:127], v[124:125]
	v_mul_f64_e32 v[124:125], v[128:129], v[124:125]
	v_fmac_f64_e32 v[172:173], v[6:7], v[134:135]
	v_fma_f64 v[174:175], v[4:5], v[134:135], -v[136:137]
	ds_load_b128 v[4:7], v2 offset:1152
	ds_load_b128 v[134:137], v2 offset:1168
	v_add_f64_e32 v[176:177], v[144:145], v[142:143]
	v_add_f64_e32 v[166:167], v[166:167], v[168:169]
	scratch_load_b128 v[142:145], off, off offset:544
	s_wait_loadcnt_dscnt 0xa01
	v_mul_f64_e32 v[168:169], v[4:5], v[148:149]
	v_mul_f64_e32 v[148:149], v[6:7], v[148:149]
	v_fmac_f64_e32 v[170:171], v[128:129], v[122:123]
	v_fma_f64 v[126:127], v[126:127], v[122:123], -v[124:125]
	scratch_load_b128 v[122:125], off, off offset:560
	v_add_f64_e32 v[128:129], v[176:177], v[174:175]
	v_add_f64_e32 v[166:167], v[166:167], v[172:173]
	s_wait_loadcnt_dscnt 0xa00
	v_mul_f64_e32 v[172:173], v[134:135], v[132:133]
	v_mul_f64_e32 v[132:133], v[136:137], v[132:133]
	v_fmac_f64_e32 v[168:169], v[6:7], v[146:147]
	v_fma_f64 v[174:175], v[4:5], v[146:147], -v[148:149]
	v_add_f64_e32 v[176:177], v[128:129], v[126:127]
	v_add_f64_e32 v[166:167], v[166:167], v[170:171]
	ds_load_b128 v[4:7], v2 offset:1184
	ds_load_b128 v[126:129], v2 offset:1200
	scratch_load_b128 v[146:149], off, off offset:576
	v_fmac_f64_e32 v[172:173], v[136:137], v[130:131]
	v_fma_f64 v[134:135], v[134:135], v[130:131], -v[132:133]
	scratch_load_b128 v[130:133], off, off offset:592
	s_wait_loadcnt_dscnt 0xb01
	v_mul_f64_e32 v[170:171], v[4:5], v[164:165]
	v_mul_f64_e32 v[164:165], v[6:7], v[164:165]
	v_add_f64_e32 v[136:137], v[176:177], v[174:175]
	v_add_f64_e32 v[166:167], v[166:167], v[168:169]
	s_wait_loadcnt_dscnt 0xa00
	v_mul_f64_e32 v[168:169], v[126:127], v[10:11]
	v_mul_f64_e32 v[10:11], v[128:129], v[10:11]
	v_fmac_f64_e32 v[170:171], v[6:7], v[162:163]
	v_fma_f64 v[174:175], v[4:5], v[162:163], -v[164:165]
	v_add_f64_e32 v[176:177], v[136:137], v[134:135]
	v_add_f64_e32 v[166:167], v[166:167], v[172:173]
	ds_load_b128 v[4:7], v2 offset:1216
	ds_load_b128 v[134:137], v2 offset:1232
	scratch_load_b128 v[162:165], off, off offset:608
	v_fmac_f64_e32 v[168:169], v[128:129], v[8:9]
	v_fma_f64 v[126:127], v[126:127], v[8:9], -v[10:11]
	scratch_load_b128 v[8:11], off, off offset:624
	s_wait_loadcnt_dscnt 0xb01
	v_mul_f64_e32 v[172:173], v[4:5], v[152:153]
	v_mul_f64_e32 v[152:153], v[6:7], v[152:153]
	;; [unrolled: 18-line block ×6, first 2 shown]
	v_add_f64_e32 v[128:129], v[176:177], v[174:175]
	v_add_f64_e32 v[166:167], v[166:167], v[172:173]
	s_wait_loadcnt_dscnt 0xa00
	v_mul_f64_e32 v[172:173], v[134:135], v[132:133]
	v_mul_f64_e32 v[132:133], v[136:137], v[132:133]
	v_fmac_f64_e32 v[168:169], v[6:7], v[146:147]
	v_fma_f64 v[146:147], v[4:5], v[146:147], -v[148:149]
	v_add_f64_e32 v[148:149], v[128:129], v[126:127]
	v_add_f64_e32 v[166:167], v[166:167], v[170:171]
	ds_load_b128 v[4:7], v2 offset:1376
	ds_load_b128 v[126:129], v2 offset:1392
	v_fmac_f64_e32 v[172:173], v[136:137], v[130:131]
	v_fma_f64 v[130:131], v[134:135], v[130:131], -v[132:133]
	s_wait_loadcnt_dscnt 0x901
	v_mul_f64_e32 v[170:171], v[4:5], v[164:165]
	v_mul_f64_e32 v[164:165], v[6:7], v[164:165]
	s_wait_loadcnt_dscnt 0x800
	v_mul_f64_e32 v[136:137], v[126:127], v[10:11]
	v_mul_f64_e32 v[10:11], v[128:129], v[10:11]
	v_add_f64_e32 v[132:133], v[148:149], v[146:147]
	v_add_f64_e32 v[134:135], v[166:167], v[168:169]
	v_fmac_f64_e32 v[170:171], v[6:7], v[162:163]
	v_fma_f64 v[146:147], v[4:5], v[162:163], -v[164:165]
	v_fmac_f64_e32 v[136:137], v[128:129], v[8:9]
	v_fma_f64 v[8:9], v[126:127], v[8:9], -v[10:11]
	v_add_f64_e32 v[148:149], v[132:133], v[130:131]
	v_add_f64_e32 v[134:135], v[134:135], v[172:173]
	ds_load_b128 v[4:7], v2 offset:1408
	ds_load_b128 v[130:133], v2 offset:1424
	s_wait_loadcnt_dscnt 0x701
	v_mul_f64_e32 v[162:163], v[4:5], v[152:153]
	v_mul_f64_e32 v[152:153], v[6:7], v[152:153]
	s_wait_loadcnt_dscnt 0x600
	v_mul_f64_e32 v[128:129], v[130:131], v[18:19]
	v_mul_f64_e32 v[18:19], v[132:133], v[18:19]
	v_add_f64_e32 v[10:11], v[148:149], v[146:147]
	v_add_f64_e32 v[126:127], v[134:135], v[170:171]
	v_fmac_f64_e32 v[162:163], v[6:7], v[150:151]
	v_fma_f64 v[134:135], v[4:5], v[150:151], -v[152:153]
	v_fmac_f64_e32 v[128:129], v[132:133], v[16:17]
	v_fma_f64 v[16:17], v[130:131], v[16:17], -v[18:19]
	v_add_f64_e32 v[146:147], v[10:11], v[8:9]
	v_add_f64_e32 v[126:127], v[126:127], v[136:137]
	ds_load_b128 v[4:7], v2 offset:1440
	ds_load_b128 v[8:11], v2 offset:1456
	;; [unrolled: 16-line block ×3, first 2 shown]
	s_wait_loadcnt_dscnt 0x301
	v_mul_f64_e32 v[128:129], v[4:5], v[140:141]
	v_mul_f64_e32 v[140:141], v[6:7], v[140:141]
	v_add_f64_e32 v[10:11], v[18:19], v[134:135]
	v_add_f64_e32 v[12:13], v[126:127], v[136:137]
	s_wait_loadcnt_dscnt 0x200
	v_mul_f64_e32 v[18:19], v[14:15], v[22:23]
	v_mul_f64_e32 v[22:23], v[16:17], v[22:23]
	v_fmac_f64_e32 v[128:129], v[6:7], v[138:139]
	v_fma_f64 v[126:127], v[4:5], v[138:139], -v[140:141]
	v_add_f64_e32 v[132:133], v[10:11], v[8:9]
	v_add_f64_e32 v[12:13], v[12:13], v[130:131]
	ds_load_b128 v[4:7], v2 offset:1504
	ds_load_b128 v[8:11], v2 offset:1520
	v_fmac_f64_e32 v[18:19], v[16:17], v[20:21]
	v_fma_f64 v[14:15], v[14:15], v[20:21], -v[22:23]
	s_wait_loadcnt_dscnt 0x101
	v_mul_f64_e32 v[2:3], v[4:5], v[144:145]
	v_mul_f64_e32 v[130:131], v[6:7], v[144:145]
	s_wait_loadcnt_dscnt 0x0
	v_mul_f64_e32 v[20:21], v[8:9], v[124:125]
	v_mul_f64_e32 v[22:23], v[10:11], v[124:125]
	v_add_f64_e32 v[16:17], v[132:133], v[126:127]
	v_add_f64_e32 v[12:13], v[12:13], v[128:129]
	v_fmac_f64_e32 v[2:3], v[6:7], v[142:143]
	v_fma_f64 v[4:5], v[4:5], v[142:143], -v[130:131]
	v_fmac_f64_e32 v[20:21], v[10:11], v[122:123]
	v_fma_f64 v[8:9], v[8:9], v[122:123], -v[22:23]
	v_add_f64_e32 v[6:7], v[16:17], v[14:15]
	v_add_f64_e32 v[12:13], v[12:13], v[18:19]
	s_delay_alu instid0(VALU_DEP_2) | instskip(NEXT) | instid1(VALU_DEP_2)
	v_add_f64_e32 v[4:5], v[6:7], v[4:5]
	v_add_f64_e32 v[2:3], v[12:13], v[2:3]
	s_delay_alu instid0(VALU_DEP_2) | instskip(NEXT) | instid1(VALU_DEP_2)
	;; [unrolled: 3-line block ×3, first 2 shown]
	v_add_f64_e64 v[2:3], v[154:155], -v[4:5]
	v_add_f64_e64 v[4:5], v[156:157], -v[6:7]
	scratch_store_b128 off, v[2:5], off offset:16
	s_wait_xcnt 0x0
	v_cmpx_ne_u32_e32 0, v1
	s_cbranch_execz .LBB111_301
; %bb.300:
	scratch_load_b128 v[2:5], off, off
	v_mov_b32_e32 v6, 0
	s_delay_alu instid0(VALU_DEP_1)
	v_dual_mov_b32 v7, v6 :: v_dual_mov_b32 v8, v6
	v_mov_b32_e32 v9, v6
	scratch_store_b128 off, v[6:9], off
	s_wait_loadcnt 0x0
	ds_store_b128 v120, v[2:5]
.LBB111_301:
	s_wait_xcnt 0x0
	s_or_b32 exec_lo, exec_lo, s2
	s_wait_storecnt_dscnt 0x0
	s_barrier_signal -1
	s_barrier_wait -1
	s_clause 0x9
	scratch_load_b128 v[2:5], off, off offset:16
	scratch_load_b128 v[6:9], off, off offset:32
	;; [unrolled: 1-line block ×10, first 2 shown]
	v_mov_b32_e32 v154, 0
	s_and_b32 vcc_lo, exec_lo, s60
	ds_load_b128 v[140:143], v154 offset:784
	s_clause 0x2
	scratch_load_b128 v[144:147], off, off offset:176
	scratch_load_b128 v[156:159], off, off
	scratch_load_b128 v[160:163], off, off offset:192
	s_wait_loadcnt_dscnt 0xc00
	v_mul_f64_e32 v[22:23], v[142:143], v[4:5]
	v_mul_f64_e32 v[152:153], v[140:141], v[4:5]
	ds_load_b128 v[148:151], v154 offset:800
	ds_load_b128 v[164:167], v154 offset:832
	v_fma_f64 v[22:23], v[140:141], v[2:3], -v[22:23]
	v_fmac_f64_e32 v[152:153], v[142:143], v[2:3]
	ds_load_b128 v[2:5], v154 offset:816
	s_wait_loadcnt_dscnt 0xb02
	v_mul_f64_e32 v[168:169], v[148:149], v[8:9]
	v_mul_f64_e32 v[8:9], v[150:151], v[8:9]
	scratch_load_b128 v[140:143], off, off offset:208
	s_wait_loadcnt_dscnt 0xb00
	v_mul_f64_e32 v[170:171], v[2:3], v[12:13]
	v_mul_f64_e32 v[12:13], v[4:5], v[12:13]
	v_add_f64_e32 v[22:23], 0, v[22:23]
	v_fmac_f64_e32 v[168:169], v[150:151], v[6:7]
	v_fma_f64 v[148:149], v[148:149], v[6:7], -v[8:9]
	v_add_f64_e32 v[150:151], 0, v[152:153]
	scratch_load_b128 v[6:9], off, off offset:224
	v_fmac_f64_e32 v[170:171], v[4:5], v[10:11]
	v_fma_f64 v[172:173], v[2:3], v[10:11], -v[12:13]
	ds_load_b128 v[2:5], v154 offset:848
	s_wait_loadcnt 0xb
	v_mul_f64_e32 v[152:153], v[164:165], v[16:17]
	v_mul_f64_e32 v[16:17], v[166:167], v[16:17]
	scratch_load_b128 v[10:13], off, off offset:240
	v_add_f64_e32 v[22:23], v[22:23], v[148:149]
	v_add_f64_e32 v[168:169], v[150:151], v[168:169]
	ds_load_b128 v[148:151], v154 offset:864
	s_wait_loadcnt_dscnt 0xb01
	v_mul_f64_e32 v[174:175], v[2:3], v[20:21]
	v_mul_f64_e32 v[20:21], v[4:5], v[20:21]
	v_fmac_f64_e32 v[152:153], v[166:167], v[14:15]
	v_fma_f64 v[164:165], v[164:165], v[14:15], -v[16:17]
	scratch_load_b128 v[14:17], off, off offset:256
	v_add_f64_e32 v[22:23], v[22:23], v[172:173]
	v_add_f64_e32 v[166:167], v[168:169], v[170:171]
	v_fmac_f64_e32 v[174:175], v[4:5], v[18:19]
	v_fma_f64 v[170:171], v[2:3], v[18:19], -v[20:21]
	ds_load_b128 v[2:5], v154 offset:880
	s_wait_loadcnt_dscnt 0xb01
	v_mul_f64_e32 v[168:169], v[148:149], v[122:123]
	v_mul_f64_e32 v[122:123], v[150:151], v[122:123]
	scratch_load_b128 v[18:21], off, off offset:272
	s_wait_loadcnt_dscnt 0xb00
	v_mul_f64_e32 v[172:173], v[2:3], v[126:127]
	v_mul_f64_e32 v[126:127], v[4:5], v[126:127]
	v_add_f64_e32 v[22:23], v[22:23], v[164:165]
	v_add_f64_e32 v[152:153], v[166:167], v[152:153]
	ds_load_b128 v[164:167], v154 offset:896
	v_fmac_f64_e32 v[168:169], v[150:151], v[120:121]
	v_fma_f64 v[148:149], v[148:149], v[120:121], -v[122:123]
	scratch_load_b128 v[120:123], off, off offset:288
	v_fmac_f64_e32 v[172:173], v[4:5], v[124:125]
	v_add_f64_e32 v[22:23], v[22:23], v[170:171]
	v_add_f64_e32 v[150:151], v[152:153], v[174:175]
	v_fma_f64 v[170:171], v[2:3], v[124:125], -v[126:127]
	ds_load_b128 v[2:5], v154 offset:912
	s_wait_loadcnt_dscnt 0xb01
	v_mul_f64_e32 v[152:153], v[164:165], v[130:131]
	v_mul_f64_e32 v[130:131], v[166:167], v[130:131]
	scratch_load_b128 v[124:127], off, off offset:304
	s_wait_loadcnt_dscnt 0xb00
	v_mul_f64_e32 v[174:175], v[2:3], v[134:135]
	v_mul_f64_e32 v[134:135], v[4:5], v[134:135]
	v_add_f64_e32 v[22:23], v[22:23], v[148:149]
	v_add_f64_e32 v[168:169], v[150:151], v[168:169]
	ds_load_b128 v[148:151], v154 offset:928
	v_fmac_f64_e32 v[152:153], v[166:167], v[128:129]
	v_fma_f64 v[164:165], v[164:165], v[128:129], -v[130:131]
	scratch_load_b128 v[128:131], off, off offset:320
	v_fmac_f64_e32 v[174:175], v[4:5], v[132:133]
	v_add_f64_e32 v[22:23], v[22:23], v[170:171]
	v_add_f64_e32 v[166:167], v[168:169], v[172:173]
	;; [unrolled: 18-line block ×3, first 2 shown]
	v_fma_f64 v[170:171], v[2:3], v[144:145], -v[146:147]
	ds_load_b128 v[2:5], v154 offset:976
	s_wait_loadcnt_dscnt 0xa01
	v_mul_f64_e32 v[152:153], v[164:165], v[162:163]
	v_mul_f64_e32 v[162:163], v[166:167], v[162:163]
	scratch_load_b128 v[144:147], off, off offset:368
	v_add_f64_e32 v[22:23], v[22:23], v[148:149]
	v_add_f64_e32 v[168:169], v[150:151], v[168:169]
	s_wait_loadcnt_dscnt 0xa00
	v_mul_f64_e32 v[174:175], v[2:3], v[142:143]
	v_mul_f64_e32 v[142:143], v[4:5], v[142:143]
	v_fmac_f64_e32 v[152:153], v[166:167], v[160:161]
	v_fma_f64 v[164:165], v[164:165], v[160:161], -v[162:163]
	ds_load_b128 v[148:151], v154 offset:992
	scratch_load_b128 v[160:163], off, off offset:384
	v_add_f64_e32 v[22:23], v[22:23], v[170:171]
	v_add_f64_e32 v[166:167], v[168:169], v[172:173]
	v_fmac_f64_e32 v[174:175], v[4:5], v[140:141]
	v_fma_f64 v[170:171], v[2:3], v[140:141], -v[142:143]
	ds_load_b128 v[2:5], v154 offset:1008
	s_wait_loadcnt_dscnt 0xa01
	v_mul_f64_e32 v[168:169], v[148:149], v[8:9]
	v_mul_f64_e32 v[8:9], v[150:151], v[8:9]
	scratch_load_b128 v[140:143], off, off offset:400
	s_wait_loadcnt_dscnt 0xa00
	v_mul_f64_e32 v[172:173], v[2:3], v[12:13]
	v_mul_f64_e32 v[12:13], v[4:5], v[12:13]
	v_add_f64_e32 v[22:23], v[22:23], v[164:165]
	v_add_f64_e32 v[152:153], v[166:167], v[152:153]
	ds_load_b128 v[164:167], v154 offset:1024
	v_fmac_f64_e32 v[168:169], v[150:151], v[6:7]
	v_fma_f64 v[148:149], v[148:149], v[6:7], -v[8:9]
	scratch_load_b128 v[6:9], off, off offset:416
	v_fmac_f64_e32 v[172:173], v[4:5], v[10:11]
	v_add_f64_e32 v[22:23], v[22:23], v[170:171]
	v_add_f64_e32 v[150:151], v[152:153], v[174:175]
	v_fma_f64 v[170:171], v[2:3], v[10:11], -v[12:13]
	ds_load_b128 v[2:5], v154 offset:1040
	s_wait_loadcnt_dscnt 0xa01
	v_mul_f64_e32 v[152:153], v[164:165], v[16:17]
	v_mul_f64_e32 v[16:17], v[166:167], v[16:17]
	scratch_load_b128 v[10:13], off, off offset:432
	s_wait_loadcnt_dscnt 0xa00
	v_mul_f64_e32 v[174:175], v[2:3], v[20:21]
	v_mul_f64_e32 v[20:21], v[4:5], v[20:21]
	v_add_f64_e32 v[22:23], v[22:23], v[148:149]
	v_add_f64_e32 v[168:169], v[150:151], v[168:169]
	ds_load_b128 v[148:151], v154 offset:1056
	v_fmac_f64_e32 v[152:153], v[166:167], v[14:15]
	v_fma_f64 v[164:165], v[164:165], v[14:15], -v[16:17]
	scratch_load_b128 v[14:17], off, off offset:448
	v_fmac_f64_e32 v[174:175], v[4:5], v[18:19]
	v_add_f64_e32 v[22:23], v[22:23], v[170:171]
	v_add_f64_e32 v[166:167], v[168:169], v[172:173]
	;; [unrolled: 18-line block ×11, first 2 shown]
	v_fma_f64 v[170:171], v[2:3], v[144:145], -v[146:147]
	ds_load_b128 v[2:5], v154 offset:1360
	s_wait_loadcnt_dscnt 0xa01
	v_mul_f64_e32 v[152:153], v[164:165], v[162:163]
	v_mul_f64_e32 v[162:163], v[166:167], v[162:163]
	scratch_load_b128 v[144:147], off, off offset:752
	s_wait_loadcnt_dscnt 0xa00
	v_mul_f64_e32 v[174:175], v[2:3], v[142:143]
	v_mul_f64_e32 v[142:143], v[4:5], v[142:143]
	v_add_f64_e32 v[22:23], v[22:23], v[148:149]
	v_add_f64_e32 v[168:169], v[150:151], v[168:169]
	ds_load_b128 v[148:151], v154 offset:1376
	v_fmac_f64_e32 v[152:153], v[166:167], v[160:161]
	v_fma_f64 v[160:161], v[164:165], v[160:161], -v[162:163]
	s_wait_loadcnt_dscnt 0x900
	v_mul_f64_e32 v[164:165], v[148:149], v[8:9]
	v_mul_f64_e32 v[8:9], v[150:151], v[8:9]
	v_fmac_f64_e32 v[174:175], v[4:5], v[140:141]
	v_fma_f64 v[166:167], v[2:3], v[140:141], -v[142:143]
	ds_load_b128 v[2:5], v154 offset:1392
	ds_load_b128 v[140:143], v154 offset:1408
	v_add_f64_e32 v[22:23], v[22:23], v[170:171]
	v_add_f64_e32 v[162:163], v[168:169], v[172:173]
	v_fmac_f64_e32 v[164:165], v[150:151], v[6:7]
	v_fma_f64 v[6:7], v[148:149], v[6:7], -v[8:9]
	s_delay_alu instid0(VALU_DEP_4) | instskip(NEXT) | instid1(VALU_DEP_4)
	v_add_f64_e32 v[22:23], v[22:23], v[160:161]
	v_add_f64_e32 v[152:153], v[162:163], v[152:153]
	s_wait_loadcnt_dscnt 0x801
	v_mul_f64_e32 v[160:161], v[2:3], v[12:13]
	v_mul_f64_e32 v[12:13], v[4:5], v[12:13]
	s_wait_loadcnt_dscnt 0x700
	v_mul_f64_e32 v[148:149], v[140:141], v[16:17]
	v_mul_f64_e32 v[16:17], v[142:143], v[16:17]
	v_add_f64_e32 v[8:9], v[22:23], v[166:167]
	v_add_f64_e32 v[22:23], v[152:153], v[174:175]
	v_fmac_f64_e32 v[160:161], v[4:5], v[10:11]
	v_fma_f64 v[10:11], v[2:3], v[10:11], -v[12:13]
	v_lshl_add_u64 v[152:153], v[28:29], 4, s[4:5]
	v_lshl_add_u64 v[28:29], v[96:97], 4, s[4:5]
	v_fmac_f64_e32 v[148:149], v[142:143], v[14:15]
	v_fma_f64 v[14:15], v[140:141], v[14:15], -v[16:17]
	v_lshl_add_u64 v[142:143], v[38:39], 4, s[4:5]
	v_lshl_add_u64 v[140:141], v[40:41], 4, s[4:5]
	;; [unrolled: 1-line block ×4, first 2 shown]
	v_add_f64_e32 v[12:13], v[8:9], v[6:7]
	v_add_f64_e32 v[22:23], v[22:23], v[164:165]
	ds_load_b128 v[2:5], v154 offset:1424
	ds_load_b128 v[6:9], v154 offset:1440
	s_wait_loadcnt_dscnt 0x601
	v_mul_f64_e32 v[150:151], v[2:3], v[20:21]
	v_mul_f64_e32 v[20:21], v[4:5], v[20:21]
	s_wait_loadcnt_dscnt 0x500
	v_mul_f64_e32 v[16:17], v[6:7], v[122:123]
	v_add_f64_e32 v[10:11], v[12:13], v[10:11]
	v_add_f64_e32 v[12:13], v[22:23], v[160:161]
	v_mul_f64_e32 v[22:23], v[8:9], v[122:123]
	v_fmac_f64_e32 v[150:151], v[4:5], v[18:19]
	v_fma_f64 v[18:19], v[2:3], v[18:19], -v[20:21]
	v_fmac_f64_e32 v[16:17], v[8:9], v[120:121]
	v_add_f64_e32 v[14:15], v[10:11], v[14:15]
	v_add_f64_e32 v[20:21], v[12:13], v[148:149]
	ds_load_b128 v[2:5], v154 offset:1456
	ds_load_b128 v[10:13], v154 offset:1472
	v_fma_f64 v[6:7], v[6:7], v[120:121], -v[22:23]
	v_lshl_add_u64 v[148:149], v[32:33], 4, s[4:5]
	v_lshl_add_u64 v[32:33], v[92:93], 4, s[4:5]
	s_wait_loadcnt_dscnt 0x401
	v_mul_f64_e32 v[122:123], v[2:3], v[126:127]
	v_mul_f64_e32 v[126:127], v[4:5], v[126:127]
	v_add_f64_e32 v[8:9], v[14:15], v[18:19]
	v_add_f64_e32 v[14:15], v[20:21], v[150:151]
	s_wait_loadcnt_dscnt 0x300
	v_mul_f64_e32 v[18:19], v[10:11], v[130:131]
	v_mul_f64_e32 v[20:21], v[12:13], v[130:131]
	v_lshl_add_u64 v[150:151], v[30:31], 4, s[4:5]
	v_lshl_add_u64 v[130:131], v[48:49], 4, s[4:5]
	;; [unrolled: 1-line block ×4, first 2 shown]
	v_fmac_f64_e32 v[122:123], v[4:5], v[124:125]
	v_fma_f64 v[22:23], v[2:3], v[124:125], -v[126:127]
	v_lshl_add_u64 v[126:127], v[50:51], 4, s[4:5]
	v_lshl_add_u64 v[50:51], v[74:75], 4, s[4:5]
	v_add_f64_e32 v[120:121], v[8:9], v[6:7]
	v_add_f64_e32 v[14:15], v[14:15], v[16:17]
	ds_load_b128 v[2:5], v154 offset:1488
	ds_load_b128 v[6:9], v154 offset:1504
	v_fmac_f64_e32 v[18:19], v[12:13], v[128:129]
	v_fma_f64 v[10:11], v[10:11], v[128:129], -v[20:21]
	v_lshl_add_u64 v[128:129], v[62:63], 4, s[4:5]
	v_lshl_add_u64 v[62:63], v[64:65], 4, s[4:5]
	s_wait_loadcnt_dscnt 0x201
	v_mul_f64_e32 v[16:17], v[2:3], v[134:135]
	v_mul_f64_e32 v[124:125], v[4:5], v[134:135]
	s_wait_loadcnt_dscnt 0x100
	v_mul_f64_e32 v[20:21], v[6:7], v[138:139]
	v_lshl_add_u64 v[134:135], v[46:47], 4, s[4:5]
	v_lshl_add_u64 v[46:47], v[78:79], 4, s[4:5]
	v_add_f64_e32 v[12:13], v[120:121], v[22:23]
	v_add_f64_e32 v[14:15], v[14:15], v[122:123]
	v_mul_f64_e32 v[22:23], v[8:9], v[138:139]
	v_lshl_add_u64 v[138:139], v[42:43], 4, s[4:5]
	v_lshl_add_u64 v[122:123], v[54:55], 4, s[4:5]
	;; [unrolled: 1-line block ×5, first 2 shown]
	v_fmac_f64_e32 v[16:17], v[4:5], v[132:133]
	v_fma_f64 v[120:121], v[2:3], v[132:133], -v[124:125]
	ds_load_b128 v[2:5], v154 offset:1520
	v_fmac_f64_e32 v[20:21], v[8:9], v[136:137]
	v_lshl_add_u64 v[124:125], v[52:53], 4, s[4:5]
	v_lshl_add_u64 v[132:133], v[58:59], 4, s[4:5]
	;; [unrolled: 1-line block ×4, first 2 shown]
	v_add_f64_e32 v[10:11], v[12:13], v[10:11]
	v_add_f64_e32 v[12:13], v[14:15], v[18:19]
	v_fma_f64 v[6:7], v[6:7], v[136:137], -v[22:23]
	v_lshl_add_u64 v[136:137], v[44:45], 4, s[4:5]
	v_lshl_add_u64 v[44:45], v[80:81], 4, s[4:5]
	;; [unrolled: 1-line block ×3, first 2 shown]
	s_wait_loadcnt_dscnt 0x0
	v_mul_f64_e32 v[14:15], v[2:3], v[146:147]
	v_mul_f64_e32 v[18:19], v[4:5], v[146:147]
	v_lshl_add_u64 v[146:147], v[34:35], 4, s[4:5]
	v_lshl_add_u64 v[34:35], v[90:91], 4, s[4:5]
	v_add_f64_e32 v[8:9], v[10:11], v[120:121]
	v_add_f64_e32 v[10:11], v[12:13], v[16:17]
	v_lshl_add_u64 v[120:121], v[56:57], 4, s[4:5]
	v_lshl_add_u64 v[56:57], v[70:71], 4, s[4:5]
	;; [unrolled: 1-line block ×4, first 2 shown]
	v_fmac_f64_e32 v[14:15], v[4:5], v[144:145]
	v_fma_f64 v[2:3], v[2:3], v[144:145], -v[18:19]
	v_lshl_add_u64 v[144:145], v[36:37], 4, s[4:5]
	v_lshl_add_u64 v[36:37], v[88:89], 4, s[4:5]
	v_lshl_add_u64 v[18:19], v[102:103], 4, s[4:5]
	v_add_f64_e32 v[4:5], v[8:9], v[6:7]
	v_add_f64_e32 v[6:7], v[10:11], v[20:21]
	v_lshl_add_u64 v[20:21], v[100:101], 4, s[4:5]
	v_lshl_add_u64 v[10:11], v[110:111], 4, s[4:5]
	;; [unrolled: 1-line block ×3, first 2 shown]
	v_add_f64_e32 v[2:3], v[4:5], v[2:3]
	v_add_f64_e32 v[4:5], v[6:7], v[14:15]
	v_lshl_add_u64 v[14:15], v[106:107], 4, s[4:5]
	v_lshl_add_u64 v[6:7], v[114:115], 4, s[4:5]
	s_delay_alu instid0(VALU_DEP_4) | instskip(NEXT) | instid1(VALU_DEP_4)
	v_add_f64_e64 v[156:157], v[156:157], -v[2:3]
	v_add_f64_e64 v[158:159], v[158:159], -v[4:5]
	v_lshl_add_u64 v[4:5], v[116:117], 4, s[4:5]
	v_lshl_add_u64 v[2:3], v[118:119], 4, s[4:5]
	scratch_store_b128 off, v[156:159], off
	s_cbranch_vccz .LBB111_396
; %bb.302:
	global_load_b32 v64, v154, s[8:9] offset:184
	s_load_b64 s[2:3], s[0:1], 0x4
	v_bfe_u32 v65, v0, 10, 10
	v_bfe_u32 v0, v0, 20, 10
	s_wait_kmcnt 0x0
	s_lshr_b32 s0, s2, 16
	s_delay_alu instid0(VALU_DEP_2) | instskip(SKIP_1) | instid1(SALU_CYCLE_1)
	v_mul_u32_u24_e32 v65, s3, v65
	s_mul_i32 s0, s0, s3
	v_mul_u32_u24_e32 v1, s0, v1
	s_delay_alu instid0(VALU_DEP_1) | instskip(NEXT) | instid1(VALU_DEP_1)
	v_add3_u32 v0, v1, v65, v0
	v_lshl_add_u32 v0, v0, 4, 0x608
	s_wait_loadcnt 0x0
	v_cmp_ne_u32_e32 vcc_lo, 47, v64
	s_cbranch_vccz .LBB111_304
; %bb.303:
	v_lshlrev_b32_e32 v1, 4, v64
	s_clause 0x1
	scratch_load_b128 v[64:67], off, s15
	scratch_load_b128 v[68:71], v1, off offset:-16
	s_wait_loadcnt 0x1
	ds_store_2addr_b64 v0, v[64:65], v[66:67] offset1:1
	s_wait_loadcnt 0x0
	s_clause 0x1
	scratch_store_b128 off, v[68:71], s15
	scratch_store_b128 v1, v[64:67], off offset:-16
.LBB111_304:
	s_wait_xcnt 0x0
	v_mov_b32_e32 v1, 0
	global_load_b32 v64, v1, s[8:9] offset:180
	s_wait_loadcnt 0x0
	v_cmp_eq_u32_e32 vcc_lo, 46, v64
	s_cbranch_vccnz .LBB111_306
; %bb.305:
	v_lshlrev_b32_e32 v64, 4, v64
	s_delay_alu instid0(VALU_DEP_1)
	v_mov_b32_e32 v72, v64
	s_clause 0x1
	scratch_load_b128 v[64:67], off, s17
	scratch_load_b128 v[68:71], v72, off offset:-16
	s_wait_loadcnt 0x1
	ds_store_2addr_b64 v0, v[64:65], v[66:67] offset1:1
	s_wait_loadcnt 0x0
	s_clause 0x1
	scratch_store_b128 off, v[68:71], s17
	scratch_store_b128 v72, v[64:67], off offset:-16
.LBB111_306:
	global_load_b32 v1, v1, s[8:9] offset:176
	s_wait_loadcnt 0x0
	v_cmp_eq_u32_e32 vcc_lo, 45, v1
	s_cbranch_vccnz .LBB111_308
; %bb.307:
	s_wait_xcnt 0x0
	v_lshlrev_b32_e32 v1, 4, v1
	s_clause 0x1
	scratch_load_b128 v[64:67], off, s19
	scratch_load_b128 v[68:71], v1, off offset:-16
	s_wait_loadcnt 0x1
	ds_store_2addr_b64 v0, v[64:65], v[66:67] offset1:1
	s_wait_loadcnt 0x0
	s_clause 0x1
	scratch_store_b128 off, v[68:71], s19
	scratch_store_b128 v1, v[64:67], off offset:-16
.LBB111_308:
	s_wait_xcnt 0x0
	v_mov_b32_e32 v1, 0
	global_load_b32 v64, v1, s[8:9] offset:172
	s_wait_loadcnt 0x0
	v_cmp_eq_u32_e32 vcc_lo, 44, v64
	s_cbranch_vccnz .LBB111_310
; %bb.309:
	v_lshlrev_b32_e32 v64, 4, v64
	s_delay_alu instid0(VALU_DEP_1)
	v_mov_b32_e32 v72, v64
	s_clause 0x1
	scratch_load_b128 v[64:67], off, s20
	scratch_load_b128 v[68:71], v72, off offset:-16
	s_wait_loadcnt 0x1
	ds_store_2addr_b64 v0, v[64:65], v[66:67] offset1:1
	s_wait_loadcnt 0x0
	s_clause 0x1
	scratch_store_b128 off, v[68:71], s20
	scratch_store_b128 v72, v[64:67], off offset:-16
.LBB111_310:
	global_load_b32 v1, v1, s[8:9] offset:168
	s_wait_loadcnt 0x0
	v_cmp_eq_u32_e32 vcc_lo, 43, v1
	s_cbranch_vccnz .LBB111_312
; %bb.311:
	s_wait_xcnt 0x0
	v_lshlrev_b32_e32 v1, 4, v1
	s_clause 0x1
	scratch_load_b128 v[64:67], off, s21
	scratch_load_b128 v[68:71], v1, off offset:-16
	s_wait_loadcnt 0x1
	ds_store_2addr_b64 v0, v[64:65], v[66:67] offset1:1
	s_wait_loadcnt 0x0
	s_clause 0x1
	scratch_store_b128 off, v[68:71], s21
	scratch_store_b128 v1, v[64:67], off offset:-16
.LBB111_312:
	;; [unrolled: 37-line block ×22, first 2 shown]
	s_wait_xcnt 0x0
	v_mov_b32_e32 v1, 0
	global_load_b32 v64, v1, s[8:9] offset:4
	s_wait_loadcnt 0x0
	v_cmp_eq_u32_e32 vcc_lo, 2, v64
	s_cbranch_vccnz .LBB111_394
; %bb.393:
	v_lshlrev_b32_e32 v64, 4, v64
	s_delay_alu instid0(VALU_DEP_1)
	v_mov_b32_e32 v72, v64
	s_clause 0x1
	scratch_load_b128 v[64:67], off, s18
	scratch_load_b128 v[68:71], v72, off offset:-16
	s_wait_loadcnt 0x1
	ds_store_2addr_b64 v0, v[64:65], v[66:67] offset1:1
	s_wait_loadcnt 0x0
	s_clause 0x1
	scratch_store_b128 off, v[68:71], s18
	scratch_store_b128 v72, v[64:67], off offset:-16
.LBB111_394:
	global_load_b32 v1, v1, s[8:9]
	s_wait_loadcnt 0x0
	v_cmp_eq_u32_e32 vcc_lo, 1, v1
	s_cbranch_vccnz .LBB111_396
; %bb.395:
	s_wait_xcnt 0x0
	v_lshlrev_b32_e32 v1, 4, v1
	scratch_load_b128 v[64:67], off, off
	scratch_load_b128 v[68:71], v1, off offset:-16
	s_wait_loadcnt 0x1
	ds_store_2addr_b64 v0, v[64:65], v[66:67] offset1:1
	s_wait_loadcnt 0x0
	scratch_store_b128 off, v[68:71], off
	scratch_store_b128 v1, v[64:67], off offset:-16
.LBB111_396:
	scratch_load_b128 v[64:67], off, off
	s_wait_loadcnt 0x0
	flat_store_b128 v[24:25], v[64:67]
	scratch_load_b128 v[64:67], off, s18
	s_wait_loadcnt 0x0
	flat_store_b128 v[26:27], v[64:67]
	scratch_load_b128 v[24:27], off, s16
	;; [unrolled: 3-line block ×47, first 2 shown]
	s_wait_loadcnt 0x0
	flat_store_b128 v[2:3], v[4:7]
	s_sendmsg sendmsg(MSG_DEALLOC_VGPRS)
	s_endpgm
	.section	.rodata,"a",@progbits
	.p2align	6, 0x0
	.amdhsa_kernel _ZN9rocsolver6v33100L18getri_kernel_smallILi48E19rocblas_complex_numIdEPKPS3_EEvT1_iilPiilS8_bb
		.amdhsa_group_segment_fixed_size 2568
		.amdhsa_private_segment_fixed_size 784
		.amdhsa_kernarg_size 60
		.amdhsa_user_sgpr_count 4
		.amdhsa_user_sgpr_dispatch_ptr 1
		.amdhsa_user_sgpr_queue_ptr 0
		.amdhsa_user_sgpr_kernarg_segment_ptr 1
		.amdhsa_user_sgpr_dispatch_id 0
		.amdhsa_user_sgpr_kernarg_preload_length 0
		.amdhsa_user_sgpr_kernarg_preload_offset 0
		.amdhsa_user_sgpr_private_segment_size 0
		.amdhsa_wavefront_size32 1
		.amdhsa_uses_dynamic_stack 0
		.amdhsa_enable_private_segment 1
		.amdhsa_system_sgpr_workgroup_id_x 1
		.amdhsa_system_sgpr_workgroup_id_y 0
		.amdhsa_system_sgpr_workgroup_id_z 0
		.amdhsa_system_sgpr_workgroup_info 0
		.amdhsa_system_vgpr_workitem_id 2
		.amdhsa_next_free_vgpr 178
		.amdhsa_next_free_sgpr 82
		.amdhsa_named_barrier_count 0
		.amdhsa_reserve_vcc 1
		.amdhsa_float_round_mode_32 0
		.amdhsa_float_round_mode_16_64 0
		.amdhsa_float_denorm_mode_32 3
		.amdhsa_float_denorm_mode_16_64 3
		.amdhsa_fp16_overflow 0
		.amdhsa_memory_ordered 1
		.amdhsa_forward_progress 1
		.amdhsa_inst_pref_size 255
		.amdhsa_round_robin_scheduling 0
		.amdhsa_exception_fp_ieee_invalid_op 0
		.amdhsa_exception_fp_denorm_src 0
		.amdhsa_exception_fp_ieee_div_zero 0
		.amdhsa_exception_fp_ieee_overflow 0
		.amdhsa_exception_fp_ieee_underflow 0
		.amdhsa_exception_fp_ieee_inexact 0
		.amdhsa_exception_int_div_zero 0
	.end_amdhsa_kernel
	.section	.text._ZN9rocsolver6v33100L18getri_kernel_smallILi48E19rocblas_complex_numIdEPKPS3_EEvT1_iilPiilS8_bb,"axG",@progbits,_ZN9rocsolver6v33100L18getri_kernel_smallILi48E19rocblas_complex_numIdEPKPS3_EEvT1_iilPiilS8_bb,comdat
.Lfunc_end111:
	.size	_ZN9rocsolver6v33100L18getri_kernel_smallILi48E19rocblas_complex_numIdEPKPS3_EEvT1_iilPiilS8_bb, .Lfunc_end111-_ZN9rocsolver6v33100L18getri_kernel_smallILi48E19rocblas_complex_numIdEPKPS3_EEvT1_iilPiilS8_bb
                                        ; -- End function
	.set _ZN9rocsolver6v33100L18getri_kernel_smallILi48E19rocblas_complex_numIdEPKPS3_EEvT1_iilPiilS8_bb.num_vgpr, 178
	.set _ZN9rocsolver6v33100L18getri_kernel_smallILi48E19rocblas_complex_numIdEPKPS3_EEvT1_iilPiilS8_bb.num_agpr, 0
	.set _ZN9rocsolver6v33100L18getri_kernel_smallILi48E19rocblas_complex_numIdEPKPS3_EEvT1_iilPiilS8_bb.numbered_sgpr, 82
	.set _ZN9rocsolver6v33100L18getri_kernel_smallILi48E19rocblas_complex_numIdEPKPS3_EEvT1_iilPiilS8_bb.num_named_barrier, 0
	.set _ZN9rocsolver6v33100L18getri_kernel_smallILi48E19rocblas_complex_numIdEPKPS3_EEvT1_iilPiilS8_bb.private_seg_size, 784
	.set _ZN9rocsolver6v33100L18getri_kernel_smallILi48E19rocblas_complex_numIdEPKPS3_EEvT1_iilPiilS8_bb.uses_vcc, 1
	.set _ZN9rocsolver6v33100L18getri_kernel_smallILi48E19rocblas_complex_numIdEPKPS3_EEvT1_iilPiilS8_bb.uses_flat_scratch, 1
	.set _ZN9rocsolver6v33100L18getri_kernel_smallILi48E19rocblas_complex_numIdEPKPS3_EEvT1_iilPiilS8_bb.has_dyn_sized_stack, 0
	.set _ZN9rocsolver6v33100L18getri_kernel_smallILi48E19rocblas_complex_numIdEPKPS3_EEvT1_iilPiilS8_bb.has_recursion, 0
	.set _ZN9rocsolver6v33100L18getri_kernel_smallILi48E19rocblas_complex_numIdEPKPS3_EEvT1_iilPiilS8_bb.has_indirect_call, 0
	.section	.AMDGPU.csdata,"",@progbits
; Kernel info:
; codeLenInByte = 88512
; TotalNumSgprs: 84
; NumVgprs: 178
; ScratchSize: 784
; MemoryBound: 0
; FloatMode: 240
; IeeeMode: 1
; LDSByteSize: 2568 bytes/workgroup (compile time only)
; SGPRBlocks: 0
; VGPRBlocks: 11
; NumSGPRsForWavesPerEU: 84
; NumVGPRsForWavesPerEU: 178
; NamedBarCnt: 0
; Occupancy: 5
; WaveLimiterHint : 1
; COMPUTE_PGM_RSRC2:SCRATCH_EN: 1
; COMPUTE_PGM_RSRC2:USER_SGPR: 4
; COMPUTE_PGM_RSRC2:TRAP_HANDLER: 0
; COMPUTE_PGM_RSRC2:TGID_X_EN: 1
; COMPUTE_PGM_RSRC2:TGID_Y_EN: 0
; COMPUTE_PGM_RSRC2:TGID_Z_EN: 0
; COMPUTE_PGM_RSRC2:TIDIG_COMP_CNT: 2
	.section	.text._ZN9rocsolver6v33100L18getri_kernel_smallILi49E19rocblas_complex_numIdEPKPS3_EEvT1_iilPiilS8_bb,"axG",@progbits,_ZN9rocsolver6v33100L18getri_kernel_smallILi49E19rocblas_complex_numIdEPKPS3_EEvT1_iilPiilS8_bb,comdat
	.globl	_ZN9rocsolver6v33100L18getri_kernel_smallILi49E19rocblas_complex_numIdEPKPS3_EEvT1_iilPiilS8_bb ; -- Begin function _ZN9rocsolver6v33100L18getri_kernel_smallILi49E19rocblas_complex_numIdEPKPS3_EEvT1_iilPiilS8_bb
	.p2align	8
	.type	_ZN9rocsolver6v33100L18getri_kernel_smallILi49E19rocblas_complex_numIdEPKPS3_EEvT1_iilPiilS8_bb,@function
_ZN9rocsolver6v33100L18getri_kernel_smallILi49E19rocblas_complex_numIdEPKPS3_EEvT1_iilPiilS8_bb: ; @_ZN9rocsolver6v33100L18getri_kernel_smallILi49E19rocblas_complex_numIdEPKPS3_EEvT1_iilPiilS8_bb
; %bb.0:
	v_and_b32_e32 v1, 0x3ff, v0
	s_mov_b32 s4, exec_lo
	s_delay_alu instid0(VALU_DEP_1)
	v_cmpx_gt_u32_e32 49, v1
	s_cbranch_execz .LBB112_210
; %bb.1:
	s_clause 0x1
	s_load_b32 s16, s[2:3], 0x38
	s_load_b64 s[8:9], s[2:3], 0x0
	s_getreg_b32 s6, hwreg(HW_REG_IB_STS2, 6, 4)
	s_wait_kmcnt 0x0
	s_bitcmp1_b32 s16, 8
	s_cselect_b32 s61, -1, 0
	s_bfe_u32 s4, ttmp6, 0x4000c
	s_and_b32 s5, ttmp6, 15
	s_add_co_i32 s4, s4, 1
	s_delay_alu instid0(SALU_CYCLE_1) | instskip(NEXT) | instid1(SALU_CYCLE_1)
	s_mul_i32 s4, ttmp9, s4
	s_add_co_i32 s5, s5, s4
	s_cmp_eq_u32 s6, 0
	s_cselect_b32 s10, ttmp9, s5
	s_load_b128 s[4:7], s[2:3], 0x28
	s_ashr_i32 s11, s10, 31
	s_delay_alu instid0(SALU_CYCLE_1) | instskip(NEXT) | instid1(SALU_CYCLE_1)
	s_lshl_b64 s[12:13], s[10:11], 3
	s_add_nc_u64 s[8:9], s[8:9], s[12:13]
	s_load_b64 s[14:15], s[8:9], 0x0
	s_wait_xcnt 0x0
	s_bfe_u32 s8, s16, 0x10008
	s_delay_alu instid0(SALU_CYCLE_1)
	s_cmp_eq_u32 s8, 0
                                        ; implicit-def: $sgpr8_sgpr9
	s_cbranch_scc1 .LBB112_3
; %bb.2:
	s_load_b96 s[16:18], s[2:3], 0x18
	s_wait_kmcnt 0x0
	s_mul_u64 s[4:5], s[4:5], s[10:11]
	s_delay_alu instid0(SALU_CYCLE_1) | instskip(SKIP_4) | instid1(SALU_CYCLE_1)
	s_lshl_b64 s[4:5], s[4:5], 2
	s_ashr_i32 s9, s18, 31
	s_mov_b32 s8, s18
	s_add_nc_u64 s[4:5], s[16:17], s[4:5]
	s_lshl_b64 s[8:9], s[8:9], 2
	s_add_nc_u64 s[8:9], s[4:5], s[8:9]
.LBB112_3:
	s_clause 0x1
	s_load_b64 s[12:13], s[2:3], 0x8
	s_load_b32 s62, s[2:3], 0x38
	v_dual_mov_b32 v15, 0 :: v_dual_lshlrev_b32 v14, 4, v1
	s_movk_i32 s63, 0x1c0
	s_movk_i32 s64, 0x1d0
	;; [unrolled: 1-line block ×16, first 2 shown]
	s_wait_kmcnt 0x0
	s_ashr_i32 s3, s12, 31
	s_mov_b32 s2, s12
	v_add3_u32 v28, s13, s13, v1
	s_lshl_b64 s[2:3], s[2:3], 4
	s_movk_i32 s79, 0x2c0
	s_add_nc_u64 s[4:5], s[14:15], s[2:3]
	s_ashr_i32 s3, s13, 31
	flat_load_b128 v[2:5], v1, s[4:5] scale_offset
	v_add_nc_u64_e32 v[24:25], s[4:5], v[14:15]
	s_mov_b32 s2, s13
	v_add_nc_u32_e32 v30, s13, v28
	s_movk_i32 s80, 0x2d0
	s_movk_i32 s81, 0x2e0
	;; [unrolled: 1-line block ×4, first 2 shown]
	v_lshl_add_u64 v[26:27], s[2:3], 4, v[24:25]
	v_add_nc_u32_e32 v32, s13, v30
	s_mov_b32 s18, 16
	s_mov_b32 s16, 32
	;; [unrolled: 1-line block ×4, first 2 shown]
	v_add_nc_u32_e32 v34, s13, v32
	s_movk_i32 s60, 0x50
	s_movk_i32 s59, 0x60
	s_movk_i32 s58, 0x70
	s_movk_i32 s57, 0x80
	v_add_nc_u32_e32 v36, s13, v34
	s_movk_i32 s56, 0x90
	s_movk_i32 s55, 0xa0
	s_movk_i32 s54, 0xb0
	s_movk_i32 s53, 0xc0
	v_add_nc_u32_e32 v38, s13, v36
	s_movk_i32 s52, 0xd0
	s_movk_i32 s51, 0xe0
	s_movk_i32 s50, 0xf0
	s_movk_i32 s49, 0x100
	v_add_nc_u32_e32 v40, s13, v38
	s_movk_i32 s48, 0x110
	s_movk_i32 s47, 0x120
	s_movk_i32 s46, 0x130
	s_movk_i32 s45, 0x140
	v_add_nc_u32_e32 v42, s13, v40
	s_movk_i32 s44, 0x150
	s_movk_i32 s43, 0x160
	s_movk_i32 s42, 0x170
	s_movk_i32 s41, 0x180
	v_add_nc_u32_e32 v44, s13, v42
	s_movk_i32 s40, 0x190
	s_movk_i32 s39, 0x1a0
	;; [unrolled: 1-line block ×3, first 2 shown]
	s_mov_b32 s37, s63
	v_add_nc_u32_e32 v46, s13, v44
	s_mov_b32 s36, s64
	s_mov_b32 s35, s65
	s_mov_b32 s34, s66
	s_mov_b32 s33, s67
	v_add_nc_u32_e32 v48, s13, v46
	s_mov_b32 s31, s68
	s_mov_b32 s30, s69
	s_mov_b32 s29, s70
	;; [unrolled: 5-line block ×5, first 2 shown]
	s_bitcmp0_b32 s62, 0
	v_add_nc_u32_e32 v56, s13, v54
	s_mov_b32 s3, -1
	s_delay_alu instid0(VALU_DEP_1) | instskip(NEXT) | instid1(VALU_DEP_1)
	v_add_nc_u32_e32 v58, s13, v56
	v_add_nc_u32_e32 v62, s13, v58
	s_delay_alu instid0(VALU_DEP_1) | instskip(NEXT) | instid1(VALU_DEP_1)
	v_add_nc_u32_e32 v60, s13, v62
	v_add_nc_u32_e32 v64, s13, v60
	s_delay_alu instid0(VALU_DEP_1) | instskip(NEXT) | instid1(VALU_DEP_1)
	v_add_nc_u32_e32 v66, s13, v64
	v_add_nc_u32_e32 v68, s13, v66
	s_delay_alu instid0(VALU_DEP_1) | instskip(NEXT) | instid1(VALU_DEP_1)
	v_add_nc_u32_e32 v70, s13, v68
	v_add_nc_u32_e32 v72, s13, v70
	s_delay_alu instid0(VALU_DEP_1) | instskip(NEXT) | instid1(VALU_DEP_1)
	v_add_nc_u32_e32 v74, s13, v72
	v_add_nc_u32_e32 v76, s13, v74
	s_delay_alu instid0(VALU_DEP_1) | instskip(NEXT) | instid1(VALU_DEP_1)
	v_add_nc_u32_e32 v78, s13, v76
	v_add_nc_u32_e32 v80, s13, v78
	s_delay_alu instid0(VALU_DEP_1) | instskip(NEXT) | instid1(VALU_DEP_1)
	v_add_nc_u32_e32 v82, s13, v80
	v_add_nc_u32_e32 v84, s13, v82
	s_delay_alu instid0(VALU_DEP_1) | instskip(NEXT) | instid1(VALU_DEP_1)
	v_add_nc_u32_e32 v86, s13, v84
	v_add_nc_u32_e32 v88, s13, v86
	s_delay_alu instid0(VALU_DEP_1) | instskip(NEXT) | instid1(VALU_DEP_1)
	v_add_nc_u32_e32 v90, s13, v88
	v_add_nc_u32_e32 v92, s13, v90
	s_delay_alu instid0(VALU_DEP_1) | instskip(NEXT) | instid1(VALU_DEP_1)
	v_add_nc_u32_e32 v94, s13, v92
	v_add_nc_u32_e32 v96, s13, v94
	s_delay_alu instid0(VALU_DEP_1) | instskip(NEXT) | instid1(VALU_DEP_1)
	v_add_nc_u32_e32 v98, s13, v96
	v_add_nc_u32_e32 v100, s13, v98
	s_delay_alu instid0(VALU_DEP_1) | instskip(NEXT) | instid1(VALU_DEP_1)
	v_add_nc_u32_e32 v102, s13, v100
	v_add_nc_u32_e32 v104, s13, v102
	s_delay_alu instid0(VALU_DEP_1) | instskip(NEXT) | instid1(VALU_DEP_1)
	v_add_nc_u32_e32 v106, s13, v104
	v_add_nc_u32_e32 v108, s13, v106
	s_delay_alu instid0(VALU_DEP_1) | instskip(NEXT) | instid1(VALU_DEP_1)
	v_add_nc_u32_e32 v110, s13, v108
	v_add_nc_u32_e32 v112, s13, v110
	s_delay_alu instid0(VALU_DEP_1) | instskip(NEXT) | instid1(VALU_DEP_1)
	v_add_nc_u32_e32 v114, s13, v112
	v_add_nc_u32_e32 v116, s13, v114
	s_delay_alu instid0(VALU_DEP_1) | instskip(NEXT) | instid1(VALU_DEP_1)
	v_add_nc_u32_e32 v118, s13, v116
	v_add_nc_u32_e32 v120, s13, v118
	s_mov_b32 s13, s83
	s_wait_loadcnt_dscnt 0x0
	scratch_store_b128 off, v[2:5], off
	flat_load_b128 v[2:5], v[26:27]
	s_wait_loadcnt_dscnt 0x0
	scratch_store_b128 off, v[2:5], off offset:16
	flat_load_b128 v[2:5], v28, s[4:5] scale_offset
	s_wait_loadcnt_dscnt 0x0
	scratch_store_b128 off, v[2:5], off offset:32
	flat_load_b128 v[2:5], v30, s[4:5] scale_offset
	;; [unrolled: 3-line block ×47, first 2 shown]
	s_wait_loadcnt_dscnt 0x0
	scratch_store_b128 off, v[2:5], off offset:768
	s_cbranch_scc1 .LBB112_208
; %bb.4:
	v_cmp_eq_u32_e64 s2, 0, v1
	s_wait_xcnt 0x0
	s_and_saveexec_b32 s3, s2
; %bb.5:
	v_mov_b32_e32 v2, 0
	ds_store_b32 v2, v2 offset:1568
; %bb.6:
	s_or_b32 exec_lo, exec_lo, s3
	s_wait_storecnt_dscnt 0x0
	s_barrier_signal -1
	s_barrier_wait -1
	scratch_load_b128 v[2:5], v1, off scale_offset
	s_wait_loadcnt 0x0
	v_cmp_eq_f64_e32 vcc_lo, 0, v[2:3]
	v_cmp_eq_f64_e64 s3, 0, v[4:5]
	s_and_b32 s3, vcc_lo, s3
	s_delay_alu instid0(SALU_CYCLE_1)
	s_and_saveexec_b32 s62, s3
	s_cbranch_execz .LBB112_10
; %bb.7:
	v_mov_b32_e32 v2, 0
	s_mov_b32 s63, 0
	ds_load_b32 v3, v2 offset:1568
	s_wait_dscnt 0x0
	v_readfirstlane_b32 s3, v3
	v_add_nc_u32_e32 v3, 1, v1
	s_cmp_eq_u32 s3, 0
	s_delay_alu instid0(VALU_DEP_1) | instskip(SKIP_1) | instid1(SALU_CYCLE_1)
	v_cmp_gt_i32_e32 vcc_lo, s3, v3
	s_cselect_b32 s64, -1, 0
	s_or_b32 s64, s64, vcc_lo
	s_delay_alu instid0(SALU_CYCLE_1)
	s_and_b32 exec_lo, exec_lo, s64
	s_cbranch_execz .LBB112_10
; %bb.8:
	v_mov_b32_e32 v4, s3
.LBB112_9:                              ; =>This Inner Loop Header: Depth=1
	ds_cmpstore_rtn_b32 v4, v2, v3, v4 offset:1568
	s_wait_dscnt 0x0
	v_cmp_ne_u32_e32 vcc_lo, 0, v4
	v_cmp_le_i32_e64 s3, v4, v3
	s_and_b32 s3, vcc_lo, s3
	s_delay_alu instid0(SALU_CYCLE_1) | instskip(NEXT) | instid1(SALU_CYCLE_1)
	s_and_b32 s3, exec_lo, s3
	s_or_b32 s63, s3, s63
	s_delay_alu instid0(SALU_CYCLE_1)
	s_and_not1_b32 exec_lo, exec_lo, s63
	s_cbranch_execnz .LBB112_9
.LBB112_10:
	s_or_b32 exec_lo, exec_lo, s62
	v_mov_b32_e32 v2, 0
	s_barrier_signal -1
	s_barrier_wait -1
	ds_load_b32 v3, v2 offset:1568
	s_and_saveexec_b32 s3, s2
	s_cbranch_execz .LBB112_12
; %bb.11:
	s_lshl_b64 s[62:63], s[10:11], 2
	s_delay_alu instid0(SALU_CYCLE_1)
	s_add_nc_u64 s[62:63], s[6:7], s[62:63]
	s_wait_dscnt 0x0
	global_store_b32 v2, v3, s[62:63]
.LBB112_12:
	s_wait_xcnt 0x0
	s_or_b32 exec_lo, exec_lo, s3
	s_wait_dscnt 0x0
	v_cmp_ne_u32_e32 vcc_lo, 0, v3
	s_mov_b32 s3, 0
	s_cbranch_vccnz .LBB112_208
; %bb.13:
	v_lshl_add_u32 v15, v1, 4, 0
                                        ; implicit-def: $vgpr6_vgpr7
                                        ; implicit-def: $vgpr10_vgpr11
	scratch_load_b128 v[2:5], v15, off
	s_wait_loadcnt 0x0
	v_cmp_ngt_f64_e64 s3, |v[2:3]|, |v[4:5]|
	s_wait_xcnt 0x0
	s_and_saveexec_b32 s62, s3
	s_delay_alu instid0(SALU_CYCLE_1)
	s_xor_b32 s3, exec_lo, s62
	s_cbranch_execz .LBB112_15
; %bb.14:
	v_div_scale_f64 v[6:7], null, v[4:5], v[4:5], v[2:3]
	v_div_scale_f64 v[12:13], vcc_lo, v[2:3], v[4:5], v[2:3]
	s_delay_alu instid0(VALU_DEP_2) | instskip(SKIP_1) | instid1(TRANS32_DEP_1)
	v_rcp_f64_e32 v[8:9], v[6:7]
	v_nop
	v_fma_f64 v[10:11], -v[6:7], v[8:9], 1.0
	s_delay_alu instid0(VALU_DEP_1) | instskip(NEXT) | instid1(VALU_DEP_1)
	v_fmac_f64_e32 v[8:9], v[8:9], v[10:11]
	v_fma_f64 v[10:11], -v[6:7], v[8:9], 1.0
	s_delay_alu instid0(VALU_DEP_1) | instskip(NEXT) | instid1(VALU_DEP_1)
	v_fmac_f64_e32 v[8:9], v[8:9], v[10:11]
	v_mul_f64_e32 v[10:11], v[12:13], v[8:9]
	s_delay_alu instid0(VALU_DEP_1) | instskip(NEXT) | instid1(VALU_DEP_1)
	v_fma_f64 v[6:7], -v[6:7], v[10:11], v[12:13]
	v_div_fmas_f64 v[6:7], v[6:7], v[8:9], v[10:11]
	s_delay_alu instid0(VALU_DEP_1) | instskip(NEXT) | instid1(VALU_DEP_1)
	v_div_fixup_f64 v[6:7], v[6:7], v[4:5], v[2:3]
	v_fmac_f64_e32 v[4:5], v[2:3], v[6:7]
	s_delay_alu instid0(VALU_DEP_1) | instskip(SKIP_1) | instid1(VALU_DEP_2)
	v_div_scale_f64 v[2:3], null, v[4:5], v[4:5], 1.0
	v_div_scale_f64 v[12:13], vcc_lo, 1.0, v[4:5], 1.0
	v_rcp_f64_e32 v[8:9], v[2:3]
	v_nop
	s_delay_alu instid0(TRANS32_DEP_1) | instskip(NEXT) | instid1(VALU_DEP_1)
	v_fma_f64 v[10:11], -v[2:3], v[8:9], 1.0
	v_fmac_f64_e32 v[8:9], v[8:9], v[10:11]
	s_delay_alu instid0(VALU_DEP_1) | instskip(NEXT) | instid1(VALU_DEP_1)
	v_fma_f64 v[10:11], -v[2:3], v[8:9], 1.0
	v_fmac_f64_e32 v[8:9], v[8:9], v[10:11]
	s_delay_alu instid0(VALU_DEP_1) | instskip(NEXT) | instid1(VALU_DEP_1)
	v_mul_f64_e32 v[10:11], v[12:13], v[8:9]
	v_fma_f64 v[2:3], -v[2:3], v[10:11], v[12:13]
	s_delay_alu instid0(VALU_DEP_1) | instskip(NEXT) | instid1(VALU_DEP_1)
	v_div_fmas_f64 v[2:3], v[2:3], v[8:9], v[10:11]
	v_div_fixup_f64 v[8:9], v[2:3], v[4:5], 1.0
                                        ; implicit-def: $vgpr2_vgpr3
	s_delay_alu instid0(VALU_DEP_1) | instskip(SKIP_1) | instid1(VALU_DEP_2)
	v_mul_f64_e32 v[6:7], v[6:7], v[8:9]
	v_xor_b32_e32 v9, 0x80000000, v9
	v_xor_b32_e32 v11, 0x80000000, v7
	s_delay_alu instid0(VALU_DEP_3)
	v_mov_b32_e32 v10, v6
.LBB112_15:
	s_and_not1_saveexec_b32 s3, s3
	s_cbranch_execz .LBB112_17
; %bb.16:
	v_div_scale_f64 v[6:7], null, v[2:3], v[2:3], v[4:5]
	v_div_scale_f64 v[12:13], vcc_lo, v[4:5], v[2:3], v[4:5]
	s_delay_alu instid0(VALU_DEP_2) | instskip(SKIP_1) | instid1(TRANS32_DEP_1)
	v_rcp_f64_e32 v[8:9], v[6:7]
	v_nop
	v_fma_f64 v[10:11], -v[6:7], v[8:9], 1.0
	s_delay_alu instid0(VALU_DEP_1) | instskip(NEXT) | instid1(VALU_DEP_1)
	v_fmac_f64_e32 v[8:9], v[8:9], v[10:11]
	v_fma_f64 v[10:11], -v[6:7], v[8:9], 1.0
	s_delay_alu instid0(VALU_DEP_1) | instskip(NEXT) | instid1(VALU_DEP_1)
	v_fmac_f64_e32 v[8:9], v[8:9], v[10:11]
	v_mul_f64_e32 v[10:11], v[12:13], v[8:9]
	s_delay_alu instid0(VALU_DEP_1) | instskip(NEXT) | instid1(VALU_DEP_1)
	v_fma_f64 v[6:7], -v[6:7], v[10:11], v[12:13]
	v_div_fmas_f64 v[6:7], v[6:7], v[8:9], v[10:11]
	s_delay_alu instid0(VALU_DEP_1) | instskip(NEXT) | instid1(VALU_DEP_1)
	v_div_fixup_f64 v[8:9], v[6:7], v[2:3], v[4:5]
	v_fmac_f64_e32 v[2:3], v[4:5], v[8:9]
	s_delay_alu instid0(VALU_DEP_1) | instskip(NEXT) | instid1(VALU_DEP_1)
	v_div_scale_f64 v[4:5], null, v[2:3], v[2:3], 1.0
	v_rcp_f64_e32 v[6:7], v[4:5]
	v_nop
	s_delay_alu instid0(TRANS32_DEP_1) | instskip(NEXT) | instid1(VALU_DEP_1)
	v_fma_f64 v[10:11], -v[4:5], v[6:7], 1.0
	v_fmac_f64_e32 v[6:7], v[6:7], v[10:11]
	s_delay_alu instid0(VALU_DEP_1) | instskip(NEXT) | instid1(VALU_DEP_1)
	v_fma_f64 v[10:11], -v[4:5], v[6:7], 1.0
	v_fmac_f64_e32 v[6:7], v[6:7], v[10:11]
	v_div_scale_f64 v[10:11], vcc_lo, 1.0, v[2:3], 1.0
	s_delay_alu instid0(VALU_DEP_1) | instskip(NEXT) | instid1(VALU_DEP_1)
	v_mul_f64_e32 v[12:13], v[10:11], v[6:7]
	v_fma_f64 v[4:5], -v[4:5], v[12:13], v[10:11]
	s_delay_alu instid0(VALU_DEP_1) | instskip(NEXT) | instid1(VALU_DEP_1)
	v_div_fmas_f64 v[4:5], v[4:5], v[6:7], v[12:13]
	v_div_fixup_f64 v[6:7], v[4:5], v[2:3], 1.0
	s_delay_alu instid0(VALU_DEP_1)
	v_mul_f64_e64 v[8:9], v[8:9], -v[6:7]
	v_xor_b32_e32 v11, 0x80000000, v7
	v_mov_b32_e32 v10, v6
.LBB112_17:
	s_or_b32 exec_lo, exec_lo, s3
	s_clause 0x1
	scratch_store_b128 v15, v[6:9], off
	scratch_load_b128 v[2:5], off, s18
	v_xor_b32_e32 v13, 0x80000000, v9
	v_mov_b32_e32 v12, v8
	s_wait_xcnt 0x1
	v_add_nc_u32_e32 v6, 0x310, v14
	ds_store_b128 v14, v[10:13]
	s_wait_loadcnt 0x0
	ds_store_b128 v14, v[2:5] offset:784
	s_wait_storecnt_dscnt 0x0
	s_barrier_signal -1
	s_barrier_wait -1
	s_wait_xcnt 0x0
	s_and_saveexec_b32 s3, s2
	s_cbranch_execz .LBB112_19
; %bb.18:
	scratch_load_b128 v[2:5], v15, off
	ds_load_b128 v[8:11], v6
	v_mov_b32_e32 v7, 0
	ds_load_b128 v[16:19], v7 offset:16
	s_wait_loadcnt_dscnt 0x1
	v_mul_f64_e32 v[12:13], v[8:9], v[4:5]
	v_mul_f64_e32 v[4:5], v[10:11], v[4:5]
	s_delay_alu instid0(VALU_DEP_2) | instskip(NEXT) | instid1(VALU_DEP_2)
	v_fmac_f64_e32 v[12:13], v[10:11], v[2:3]
	v_fma_f64 v[2:3], v[8:9], v[2:3], -v[4:5]
	s_delay_alu instid0(VALU_DEP_2) | instskip(NEXT) | instid1(VALU_DEP_2)
	v_add_f64_e32 v[8:9], 0, v[12:13]
	v_add_f64_e32 v[2:3], 0, v[2:3]
	s_wait_dscnt 0x0
	s_delay_alu instid0(VALU_DEP_2) | instskip(NEXT) | instid1(VALU_DEP_2)
	v_mul_f64_e32 v[10:11], v[8:9], v[18:19]
	v_mul_f64_e32 v[4:5], v[2:3], v[18:19]
	s_delay_alu instid0(VALU_DEP_2) | instskip(NEXT) | instid1(VALU_DEP_2)
	v_fma_f64 v[2:3], v[2:3], v[16:17], -v[10:11]
	v_fmac_f64_e32 v[4:5], v[8:9], v[16:17]
	scratch_store_b128 off, v[2:5], off offset:16
.LBB112_19:
	s_wait_xcnt 0x0
	s_or_b32 exec_lo, exec_lo, s3
	s_wait_storecnt 0x0
	s_barrier_signal -1
	s_barrier_wait -1
	scratch_load_b128 v[2:5], off, s16
	s_mov_b32 s3, exec_lo
	s_wait_loadcnt 0x0
	ds_store_b128 v6, v[2:5]
	s_wait_dscnt 0x0
	s_barrier_signal -1
	s_barrier_wait -1
	v_cmpx_gt_u32_e32 2, v1
	s_cbranch_execz .LBB112_23
; %bb.20:
	scratch_load_b128 v[2:5], v15, off
	ds_load_b128 v[8:11], v6
	s_wait_loadcnt_dscnt 0x0
	v_mul_f64_e32 v[12:13], v[10:11], v[4:5]
	v_mul_f64_e32 v[16:17], v[8:9], v[4:5]
	s_delay_alu instid0(VALU_DEP_2) | instskip(NEXT) | instid1(VALU_DEP_2)
	v_fma_f64 v[4:5], v[8:9], v[2:3], -v[12:13]
	v_fmac_f64_e32 v[16:17], v[10:11], v[2:3]
	s_delay_alu instid0(VALU_DEP_2) | instskip(NEXT) | instid1(VALU_DEP_2)
	v_add_f64_e32 v[4:5], 0, v[4:5]
	v_add_f64_e32 v[2:3], 0, v[16:17]
	s_and_saveexec_b32 s62, s2
	s_cbranch_execz .LBB112_22
; %bb.21:
	scratch_load_b128 v[8:11], off, off offset:16
	v_mov_b32_e32 v7, 0
	ds_load_b128 v[16:19], v7 offset:800
	s_wait_loadcnt_dscnt 0x0
	v_mul_f64_e32 v[12:13], v[16:17], v[10:11]
	v_mul_f64_e32 v[10:11], v[18:19], v[10:11]
	s_delay_alu instid0(VALU_DEP_2) | instskip(NEXT) | instid1(VALU_DEP_2)
	v_fmac_f64_e32 v[12:13], v[18:19], v[8:9]
	v_fma_f64 v[8:9], v[16:17], v[8:9], -v[10:11]
	s_delay_alu instid0(VALU_DEP_2) | instskip(NEXT) | instid1(VALU_DEP_2)
	v_add_f64_e32 v[2:3], v[2:3], v[12:13]
	v_add_f64_e32 v[4:5], v[4:5], v[8:9]
.LBB112_22:
	s_or_b32 exec_lo, exec_lo, s62
	v_mov_b32_e32 v7, 0
	ds_load_b128 v[8:11], v7 offset:32
	s_wait_dscnt 0x0
	v_mul_f64_e32 v[16:17], v[2:3], v[10:11]
	v_mul_f64_e32 v[12:13], v[4:5], v[10:11]
	s_delay_alu instid0(VALU_DEP_2) | instskip(NEXT) | instid1(VALU_DEP_2)
	v_fma_f64 v[10:11], v[4:5], v[8:9], -v[16:17]
	v_fmac_f64_e32 v[12:13], v[2:3], v[8:9]
	scratch_store_b128 off, v[10:13], off offset:32
.LBB112_23:
	s_wait_xcnt 0x0
	s_or_b32 exec_lo, exec_lo, s3
	s_wait_storecnt 0x0
	s_barrier_signal -1
	s_barrier_wait -1
	scratch_load_b128 v[2:5], off, s14
	v_add_nc_u32_e32 v7, -1, v1
	s_mov_b32 s2, exec_lo
	s_wait_loadcnt 0x0
	ds_store_b128 v6, v[2:5]
	s_wait_dscnt 0x0
	s_barrier_signal -1
	s_barrier_wait -1
	v_cmpx_gt_u32_e32 3, v1
	s_cbranch_execz .LBB112_27
; %bb.24:
	v_dual_mov_b32 v10, v14 :: v_dual_add_nc_u32 v8, -1, v1
	v_mov_b64_e32 v[2:3], 0
	v_mov_b64_e32 v[4:5], 0
	v_add_nc_u32_e32 v9, 0x310, v14
	s_delay_alu instid0(VALU_DEP_4)
	v_or_b32_e32 v10, 8, v10
	s_mov_b32 s3, 0
.LBB112_25:                             ; =>This Inner Loop Header: Depth=1
	scratch_load_b128 v[16:19], v10, off offset:-8
	ds_load_b128 v[20:23], v9
	v_dual_add_nc_u32 v8, 1, v8 :: v_dual_add_nc_u32 v9, 16, v9
	s_wait_xcnt 0x0
	v_add_nc_u32_e32 v10, 16, v10
	s_delay_alu instid0(VALU_DEP_2) | instskip(SKIP_4) | instid1(VALU_DEP_2)
	v_cmp_lt_u32_e32 vcc_lo, 1, v8
	s_or_b32 s3, vcc_lo, s3
	s_wait_loadcnt_dscnt 0x0
	v_mul_f64_e32 v[12:13], v[22:23], v[18:19]
	v_mul_f64_e32 v[18:19], v[20:21], v[18:19]
	v_fma_f64 v[12:13], v[20:21], v[16:17], -v[12:13]
	s_delay_alu instid0(VALU_DEP_2) | instskip(NEXT) | instid1(VALU_DEP_2)
	v_fmac_f64_e32 v[18:19], v[22:23], v[16:17]
	v_add_f64_e32 v[4:5], v[4:5], v[12:13]
	s_delay_alu instid0(VALU_DEP_2)
	v_add_f64_e32 v[2:3], v[2:3], v[18:19]
	s_and_not1_b32 exec_lo, exec_lo, s3
	s_cbranch_execnz .LBB112_25
; %bb.26:
	s_or_b32 exec_lo, exec_lo, s3
	v_mov_b32_e32 v8, 0
	ds_load_b128 v[8:11], v8 offset:48
	s_wait_dscnt 0x0
	v_mul_f64_e32 v[16:17], v[2:3], v[10:11]
	v_mul_f64_e32 v[12:13], v[4:5], v[10:11]
	s_delay_alu instid0(VALU_DEP_2) | instskip(NEXT) | instid1(VALU_DEP_2)
	v_fma_f64 v[10:11], v[4:5], v[8:9], -v[16:17]
	v_fmac_f64_e32 v[12:13], v[2:3], v[8:9]
	scratch_store_b128 off, v[10:13], off offset:48
.LBB112_27:
	s_wait_xcnt 0x0
	s_or_b32 exec_lo, exec_lo, s2
	s_wait_storecnt 0x0
	s_barrier_signal -1
	s_barrier_wait -1
	scratch_load_b128 v[2:5], off, s12
	s_mov_b32 s2, exec_lo
	s_wait_loadcnt 0x0
	ds_store_b128 v6, v[2:5]
	s_wait_dscnt 0x0
	s_barrier_signal -1
	s_barrier_wait -1
	v_cmpx_gt_u32_e32 4, v1
	s_cbranch_execz .LBB112_31
; %bb.28:
	v_dual_mov_b32 v10, v14 :: v_dual_add_nc_u32 v8, -1, v1
	v_mov_b64_e32 v[2:3], 0
	v_mov_b64_e32 v[4:5], 0
	v_add_nc_u32_e32 v9, 0x310, v14
	s_delay_alu instid0(VALU_DEP_4)
	v_or_b32_e32 v10, 8, v10
	s_mov_b32 s3, 0
.LBB112_29:                             ; =>This Inner Loop Header: Depth=1
	scratch_load_b128 v[16:19], v10, off offset:-8
	ds_load_b128 v[20:23], v9
	v_dual_add_nc_u32 v8, 1, v8 :: v_dual_add_nc_u32 v9, 16, v9
	s_wait_xcnt 0x0
	v_add_nc_u32_e32 v10, 16, v10
	s_delay_alu instid0(VALU_DEP_2) | instskip(SKIP_4) | instid1(VALU_DEP_2)
	v_cmp_lt_u32_e32 vcc_lo, 2, v8
	s_or_b32 s3, vcc_lo, s3
	s_wait_loadcnt_dscnt 0x0
	v_mul_f64_e32 v[12:13], v[22:23], v[18:19]
	v_mul_f64_e32 v[18:19], v[20:21], v[18:19]
	v_fma_f64 v[12:13], v[20:21], v[16:17], -v[12:13]
	s_delay_alu instid0(VALU_DEP_2) | instskip(NEXT) | instid1(VALU_DEP_2)
	v_fmac_f64_e32 v[18:19], v[22:23], v[16:17]
	v_add_f64_e32 v[4:5], v[4:5], v[12:13]
	s_delay_alu instid0(VALU_DEP_2)
	v_add_f64_e32 v[2:3], v[2:3], v[18:19]
	s_and_not1_b32 exec_lo, exec_lo, s3
	s_cbranch_execnz .LBB112_29
; %bb.30:
	s_or_b32 exec_lo, exec_lo, s3
	v_mov_b32_e32 v8, 0
	ds_load_b128 v[8:11], v8 offset:64
	s_wait_dscnt 0x0
	v_mul_f64_e32 v[16:17], v[2:3], v[10:11]
	v_mul_f64_e32 v[12:13], v[4:5], v[10:11]
	s_delay_alu instid0(VALU_DEP_2) | instskip(NEXT) | instid1(VALU_DEP_2)
	v_fma_f64 v[10:11], v[4:5], v[8:9], -v[16:17]
	v_fmac_f64_e32 v[12:13], v[2:3], v[8:9]
	scratch_store_b128 off, v[10:13], off offset:64
.LBB112_31:
	s_wait_xcnt 0x0
	s_or_b32 exec_lo, exec_lo, s2
	s_wait_storecnt 0x0
	s_barrier_signal -1
	s_barrier_wait -1
	scratch_load_b128 v[2:5], off, s60
	;; [unrolled: 54-line block ×19, first 2 shown]
	s_mov_b32 s2, exec_lo
	s_wait_loadcnt 0x0
	ds_store_b128 v6, v[2:5]
	s_wait_dscnt 0x0
	s_barrier_signal -1
	s_barrier_wait -1
	v_cmpx_gt_u32_e32 22, v1
	s_cbranch_execz .LBB112_103
; %bb.100:
	v_dual_mov_b32 v10, v14 :: v_dual_add_nc_u32 v8, -1, v1
	v_mov_b64_e32 v[2:3], 0
	v_mov_b64_e32 v[4:5], 0
	v_add_nc_u32_e32 v9, 0x310, v14
	s_delay_alu instid0(VALU_DEP_4)
	v_or_b32_e32 v10, 8, v10
	s_mov_b32 s3, 0
.LBB112_101:                            ; =>This Inner Loop Header: Depth=1
	scratch_load_b128 v[16:19], v10, off offset:-8
	ds_load_b128 v[20:23], v9
	v_dual_add_nc_u32 v8, 1, v8 :: v_dual_add_nc_u32 v9, 16, v9
	s_wait_xcnt 0x0
	v_add_nc_u32_e32 v10, 16, v10
	s_delay_alu instid0(VALU_DEP_2) | instskip(SKIP_4) | instid1(VALU_DEP_2)
	v_cmp_lt_u32_e32 vcc_lo, 20, v8
	s_or_b32 s3, vcc_lo, s3
	s_wait_loadcnt_dscnt 0x0
	v_mul_f64_e32 v[12:13], v[22:23], v[18:19]
	v_mul_f64_e32 v[18:19], v[20:21], v[18:19]
	v_fma_f64 v[12:13], v[20:21], v[16:17], -v[12:13]
	s_delay_alu instid0(VALU_DEP_2) | instskip(NEXT) | instid1(VALU_DEP_2)
	v_fmac_f64_e32 v[18:19], v[22:23], v[16:17]
	v_add_f64_e32 v[4:5], v[4:5], v[12:13]
	s_delay_alu instid0(VALU_DEP_2)
	v_add_f64_e32 v[2:3], v[2:3], v[18:19]
	s_and_not1_b32 exec_lo, exec_lo, s3
	s_cbranch_execnz .LBB112_101
; %bb.102:
	s_or_b32 exec_lo, exec_lo, s3
	v_mov_b32_e32 v8, 0
	ds_load_b128 v[8:11], v8 offset:352
	s_wait_dscnt 0x0
	v_mul_f64_e32 v[16:17], v[2:3], v[10:11]
	v_mul_f64_e32 v[12:13], v[4:5], v[10:11]
	s_delay_alu instid0(VALU_DEP_2) | instskip(NEXT) | instid1(VALU_DEP_2)
	v_fma_f64 v[10:11], v[4:5], v[8:9], -v[16:17]
	v_fmac_f64_e32 v[12:13], v[2:3], v[8:9]
	scratch_store_b128 off, v[10:13], off offset:352
.LBB112_103:
	s_wait_xcnt 0x0
	s_or_b32 exec_lo, exec_lo, s2
	s_wait_storecnt 0x0
	s_barrier_signal -1
	s_barrier_wait -1
	scratch_load_b128 v[2:5], off, s42
	s_mov_b32 s2, exec_lo
	s_wait_loadcnt 0x0
	ds_store_b128 v6, v[2:5]
	s_wait_dscnt 0x0
	s_barrier_signal -1
	s_barrier_wait -1
	v_cmpx_gt_u32_e32 23, v1
	s_cbranch_execz .LBB112_107
; %bb.104:
	v_dual_mov_b32 v10, v14 :: v_dual_add_nc_u32 v8, -1, v1
	v_mov_b64_e32 v[2:3], 0
	v_mov_b64_e32 v[4:5], 0
	v_add_nc_u32_e32 v9, 0x310, v14
	s_delay_alu instid0(VALU_DEP_4)
	v_or_b32_e32 v10, 8, v10
	s_mov_b32 s3, 0
.LBB112_105:                            ; =>This Inner Loop Header: Depth=1
	scratch_load_b128 v[16:19], v10, off offset:-8
	ds_load_b128 v[20:23], v9
	v_dual_add_nc_u32 v8, 1, v8 :: v_dual_add_nc_u32 v9, 16, v9
	s_wait_xcnt 0x0
	v_add_nc_u32_e32 v10, 16, v10
	s_delay_alu instid0(VALU_DEP_2) | instskip(SKIP_4) | instid1(VALU_DEP_2)
	v_cmp_lt_u32_e32 vcc_lo, 21, v8
	s_or_b32 s3, vcc_lo, s3
	s_wait_loadcnt_dscnt 0x0
	v_mul_f64_e32 v[12:13], v[22:23], v[18:19]
	v_mul_f64_e32 v[18:19], v[20:21], v[18:19]
	v_fma_f64 v[12:13], v[20:21], v[16:17], -v[12:13]
	s_delay_alu instid0(VALU_DEP_2) | instskip(NEXT) | instid1(VALU_DEP_2)
	v_fmac_f64_e32 v[18:19], v[22:23], v[16:17]
	v_add_f64_e32 v[4:5], v[4:5], v[12:13]
	s_delay_alu instid0(VALU_DEP_2)
	v_add_f64_e32 v[2:3], v[2:3], v[18:19]
	s_and_not1_b32 exec_lo, exec_lo, s3
	s_cbranch_execnz .LBB112_105
; %bb.106:
	s_or_b32 exec_lo, exec_lo, s3
	v_mov_b32_e32 v8, 0
	ds_load_b128 v[8:11], v8 offset:368
	s_wait_dscnt 0x0
	v_mul_f64_e32 v[16:17], v[2:3], v[10:11]
	v_mul_f64_e32 v[12:13], v[4:5], v[10:11]
	s_delay_alu instid0(VALU_DEP_2) | instskip(NEXT) | instid1(VALU_DEP_2)
	v_fma_f64 v[10:11], v[4:5], v[8:9], -v[16:17]
	v_fmac_f64_e32 v[12:13], v[2:3], v[8:9]
	scratch_store_b128 off, v[10:13], off offset:368
.LBB112_107:
	s_wait_xcnt 0x0
	s_or_b32 exec_lo, exec_lo, s2
	s_wait_storecnt 0x0
	s_barrier_signal -1
	s_barrier_wait -1
	scratch_load_b128 v[2:5], off, s41
	;; [unrolled: 54-line block ×26, first 2 shown]
	s_mov_b32 s2, exec_lo
	s_wait_loadcnt 0x0
	ds_store_b128 v6, v[2:5]
	s_wait_dscnt 0x0
	s_barrier_signal -1
	s_barrier_wait -1
	v_cmpx_ne_u32_e32 48, v1
	s_cbranch_execz .LBB112_207
; %bb.204:
	v_mov_b32_e32 v8, v14
	v_mov_b64_e32 v[2:3], 0
	v_mov_b64_e32 v[4:5], 0
	s_mov_b32 s3, 0
	s_delay_alu instid0(VALU_DEP_3)
	v_or_b32_e32 v8, 8, v8
.LBB112_205:                            ; =>This Inner Loop Header: Depth=1
	scratch_load_b128 v[10:13], v8, off offset:-8
	ds_load_b128 v[14:17], v6
	v_dual_add_nc_u32 v7, 1, v7 :: v_dual_add_nc_u32 v6, 16, v6
	s_wait_xcnt 0x0
	v_add_nc_u32_e32 v8, 16, v8
	s_delay_alu instid0(VALU_DEP_2) | instskip(SKIP_4) | instid1(VALU_DEP_2)
	v_cmp_lt_u32_e32 vcc_lo, 46, v7
	s_or_b32 s3, vcc_lo, s3
	s_wait_loadcnt_dscnt 0x0
	v_mul_f64_e32 v[18:19], v[16:17], v[12:13]
	v_mul_f64_e32 v[12:13], v[14:15], v[12:13]
	v_fma_f64 v[14:15], v[14:15], v[10:11], -v[18:19]
	s_delay_alu instid0(VALU_DEP_2) | instskip(NEXT) | instid1(VALU_DEP_2)
	v_fmac_f64_e32 v[12:13], v[16:17], v[10:11]
	v_add_f64_e32 v[4:5], v[4:5], v[14:15]
	s_delay_alu instid0(VALU_DEP_2)
	v_add_f64_e32 v[2:3], v[2:3], v[12:13]
	s_and_not1_b32 exec_lo, exec_lo, s3
	s_cbranch_execnz .LBB112_205
; %bb.206:
	s_or_b32 exec_lo, exec_lo, s3
	v_mov_b32_e32 v6, 0
	ds_load_b128 v[6:9], v6 offset:768
	s_wait_dscnt 0x0
	v_mul_f64_e32 v[12:13], v[2:3], v[8:9]
	v_mul_f64_e32 v[10:11], v[4:5], v[8:9]
	s_delay_alu instid0(VALU_DEP_2) | instskip(NEXT) | instid1(VALU_DEP_2)
	v_fma_f64 v[8:9], v[4:5], v[6:7], -v[12:13]
	v_fmac_f64_e32 v[10:11], v[2:3], v[6:7]
	scratch_store_b128 off, v[8:11], off offset:768
.LBB112_207:
	s_wait_xcnt 0x0
	s_or_b32 exec_lo, exec_lo, s2
	s_mov_b32 s3, -1
	s_wait_storecnt 0x0
	s_barrier_signal -1
	s_barrier_wait -1
.LBB112_208:
	s_and_b32 vcc_lo, exec_lo, s3
	s_cbranch_vccz .LBB112_210
; %bb.209:
	s_wait_xcnt 0x0
	v_mov_b32_e32 v2, 0
	s_lshl_b64 s[2:3], s[10:11], 2
	s_delay_alu instid0(SALU_CYCLE_1)
	s_add_nc_u64 s[2:3], s[6:7], s[2:3]
	global_load_b32 v2, v2, s[2:3]
	s_wait_loadcnt 0x0
	v_cmp_ne_u32_e32 vcc_lo, 0, v2
	s_cbranch_vccz .LBB112_211
.LBB112_210:
	s_sendmsg sendmsg(MSG_DEALLOC_VGPRS)
	s_endpgm
.LBB112_211:
	v_lshl_add_u32 v122, v1, 4, 0x310
	s_wait_xcnt 0x0
	s_mov_b32 s2, exec_lo
	v_cmpx_eq_u32_e32 48, v1
	s_cbranch_execz .LBB112_213
; %bb.212:
	scratch_load_b128 v[2:5], off, s15
	v_mov_b32_e32 v6, 0
	s_delay_alu instid0(VALU_DEP_1)
	v_dual_mov_b32 v7, v6 :: v_dual_mov_b32 v8, v6
	v_mov_b32_e32 v9, v6
	scratch_store_b128 off, v[6:9], off offset:752
	s_wait_loadcnt 0x0
	ds_store_b128 v122, v[2:5]
.LBB112_213:
	s_wait_xcnt 0x0
	s_or_b32 exec_lo, exec_lo, s2
	s_wait_storecnt_dscnt 0x0
	s_barrier_signal -1
	s_barrier_wait -1
	s_clause 0x1
	scratch_load_b128 v[4:7], off, off offset:768
	scratch_load_b128 v[8:11], off, off offset:752
	v_mov_b32_e32 v2, 0
	s_mov_b32 s2, exec_lo
	ds_load_b128 v[12:15], v2 offset:1552
	s_wait_loadcnt_dscnt 0x100
	v_mul_f64_e32 v[16:17], v[14:15], v[6:7]
	v_mul_f64_e32 v[6:7], v[12:13], v[6:7]
	s_delay_alu instid0(VALU_DEP_2) | instskip(NEXT) | instid1(VALU_DEP_2)
	v_fma_f64 v[12:13], v[12:13], v[4:5], -v[16:17]
	v_fmac_f64_e32 v[6:7], v[14:15], v[4:5]
	s_delay_alu instid0(VALU_DEP_2) | instskip(NEXT) | instid1(VALU_DEP_2)
	v_add_f64_e32 v[4:5], 0, v[12:13]
	v_add_f64_e32 v[6:7], 0, v[6:7]
	s_wait_loadcnt 0x0
	s_delay_alu instid0(VALU_DEP_2) | instskip(NEXT) | instid1(VALU_DEP_2)
	v_add_f64_e64 v[4:5], v[8:9], -v[4:5]
	v_add_f64_e64 v[6:7], v[10:11], -v[6:7]
	scratch_store_b128 off, v[4:7], off offset:752
	s_wait_xcnt 0x0
	v_cmpx_lt_u32_e32 46, v1
	s_cbranch_execz .LBB112_215
; %bb.214:
	scratch_load_b128 v[6:9], off, s17
	v_dual_mov_b32 v3, v2 :: v_dual_mov_b32 v4, v2
	v_mov_b32_e32 v5, v2
	scratch_store_b128 off, v[2:5], off offset:736
	s_wait_loadcnt 0x0
	ds_store_b128 v122, v[6:9]
.LBB112_215:
	s_wait_xcnt 0x0
	s_or_b32 exec_lo, exec_lo, s2
	s_wait_storecnt_dscnt 0x0
	s_barrier_signal -1
	s_barrier_wait -1
	s_clause 0x2
	scratch_load_b128 v[4:7], off, off offset:752
	scratch_load_b128 v[8:11], off, off offset:768
	;; [unrolled: 1-line block ×3, first 2 shown]
	ds_load_b128 v[16:19], v2 offset:1536
	ds_load_b128 v[20:23], v2 offset:1552
	s_mov_b32 s2, exec_lo
	s_wait_loadcnt_dscnt 0x201
	v_mul_f64_e32 v[2:3], v[18:19], v[6:7]
	v_mul_f64_e32 v[6:7], v[16:17], v[6:7]
	s_wait_loadcnt_dscnt 0x100
	v_mul_f64_e32 v[124:125], v[20:21], v[10:11]
	v_mul_f64_e32 v[10:11], v[22:23], v[10:11]
	s_delay_alu instid0(VALU_DEP_4) | instskip(NEXT) | instid1(VALU_DEP_4)
	v_fma_f64 v[2:3], v[16:17], v[4:5], -v[2:3]
	v_fmac_f64_e32 v[6:7], v[18:19], v[4:5]
	s_delay_alu instid0(VALU_DEP_4) | instskip(NEXT) | instid1(VALU_DEP_4)
	v_fmac_f64_e32 v[124:125], v[22:23], v[8:9]
	v_fma_f64 v[4:5], v[20:21], v[8:9], -v[10:11]
	s_delay_alu instid0(VALU_DEP_4) | instskip(NEXT) | instid1(VALU_DEP_4)
	v_add_f64_e32 v[2:3], 0, v[2:3]
	v_add_f64_e32 v[6:7], 0, v[6:7]
	s_delay_alu instid0(VALU_DEP_2) | instskip(NEXT) | instid1(VALU_DEP_2)
	v_add_f64_e32 v[2:3], v[2:3], v[4:5]
	v_add_f64_e32 v[4:5], v[6:7], v[124:125]
	s_wait_loadcnt 0x0
	s_delay_alu instid0(VALU_DEP_2) | instskip(NEXT) | instid1(VALU_DEP_2)
	v_add_f64_e64 v[2:3], v[12:13], -v[2:3]
	v_add_f64_e64 v[4:5], v[14:15], -v[4:5]
	scratch_store_b128 off, v[2:5], off offset:736
	s_wait_xcnt 0x0
	v_cmpx_lt_u32_e32 45, v1
	s_cbranch_execz .LBB112_217
; %bb.216:
	scratch_load_b128 v[2:5], off, s19
	v_mov_b32_e32 v6, 0
	s_delay_alu instid0(VALU_DEP_1)
	v_dual_mov_b32 v7, v6 :: v_dual_mov_b32 v8, v6
	v_mov_b32_e32 v9, v6
	scratch_store_b128 off, v[6:9], off offset:720
	s_wait_loadcnt 0x0
	ds_store_b128 v122, v[2:5]
.LBB112_217:
	s_wait_xcnt 0x0
	s_or_b32 exec_lo, exec_lo, s2
	s_wait_storecnt_dscnt 0x0
	s_barrier_signal -1
	s_barrier_wait -1
	s_clause 0x3
	scratch_load_b128 v[4:7], off, off offset:736
	scratch_load_b128 v[8:11], off, off offset:752
	;; [unrolled: 1-line block ×4, first 2 shown]
	v_mov_b32_e32 v2, 0
	ds_load_b128 v[20:23], v2 offset:1520
	ds_load_b128 v[124:127], v2 offset:1536
	s_mov_b32 s2, exec_lo
	s_wait_loadcnt_dscnt 0x301
	v_mul_f64_e32 v[128:129], v[22:23], v[6:7]
	v_mul_f64_e32 v[130:131], v[20:21], v[6:7]
	s_wait_loadcnt_dscnt 0x200
	v_mul_f64_e32 v[132:133], v[124:125], v[10:11]
	v_mul_f64_e32 v[10:11], v[126:127], v[10:11]
	s_delay_alu instid0(VALU_DEP_4) | instskip(NEXT) | instid1(VALU_DEP_4)
	v_fma_f64 v[20:21], v[20:21], v[4:5], -v[128:129]
	v_fmac_f64_e32 v[130:131], v[22:23], v[4:5]
	ds_load_b128 v[4:7], v2 offset:1552
	v_fmac_f64_e32 v[132:133], v[126:127], v[8:9]
	v_fma_f64 v[8:9], v[124:125], v[8:9], -v[10:11]
	s_wait_loadcnt_dscnt 0x100
	v_mul_f64_e32 v[22:23], v[4:5], v[14:15]
	v_mul_f64_e32 v[14:15], v[6:7], v[14:15]
	v_add_f64_e32 v[10:11], 0, v[20:21]
	v_add_f64_e32 v[20:21], 0, v[130:131]
	s_delay_alu instid0(VALU_DEP_4) | instskip(NEXT) | instid1(VALU_DEP_4)
	v_fmac_f64_e32 v[22:23], v[6:7], v[12:13]
	v_fma_f64 v[4:5], v[4:5], v[12:13], -v[14:15]
	s_delay_alu instid0(VALU_DEP_4) | instskip(NEXT) | instid1(VALU_DEP_4)
	v_add_f64_e32 v[6:7], v[10:11], v[8:9]
	v_add_f64_e32 v[8:9], v[20:21], v[132:133]
	s_delay_alu instid0(VALU_DEP_2) | instskip(NEXT) | instid1(VALU_DEP_2)
	v_add_f64_e32 v[4:5], v[6:7], v[4:5]
	v_add_f64_e32 v[6:7], v[8:9], v[22:23]
	s_wait_loadcnt 0x0
	s_delay_alu instid0(VALU_DEP_2) | instskip(NEXT) | instid1(VALU_DEP_2)
	v_add_f64_e64 v[4:5], v[16:17], -v[4:5]
	v_add_f64_e64 v[6:7], v[18:19], -v[6:7]
	scratch_store_b128 off, v[4:7], off offset:720
	s_wait_xcnt 0x0
	v_cmpx_lt_u32_e32 44, v1
	s_cbranch_execz .LBB112_219
; %bb.218:
	scratch_load_b128 v[6:9], off, s20
	v_dual_mov_b32 v3, v2 :: v_dual_mov_b32 v4, v2
	v_mov_b32_e32 v5, v2
	scratch_store_b128 off, v[2:5], off offset:704
	s_wait_loadcnt 0x0
	ds_store_b128 v122, v[6:9]
.LBB112_219:
	s_wait_xcnt 0x0
	s_or_b32 exec_lo, exec_lo, s2
	s_wait_storecnt_dscnt 0x0
	s_barrier_signal -1
	s_barrier_wait -1
	s_clause 0x4
	scratch_load_b128 v[4:7], off, off offset:720
	scratch_load_b128 v[8:11], off, off offset:736
	;; [unrolled: 1-line block ×5, first 2 shown]
	ds_load_b128 v[124:127], v2 offset:1504
	ds_load_b128 v[128:131], v2 offset:1520
	s_mov_b32 s2, exec_lo
	s_wait_loadcnt_dscnt 0x401
	v_mul_f64_e32 v[132:133], v[126:127], v[6:7]
	v_mul_f64_e32 v[134:135], v[124:125], v[6:7]
	s_wait_loadcnt_dscnt 0x300
	v_mul_f64_e32 v[136:137], v[128:129], v[10:11]
	v_mul_f64_e32 v[10:11], v[130:131], v[10:11]
	s_delay_alu instid0(VALU_DEP_4) | instskip(NEXT) | instid1(VALU_DEP_4)
	v_fma_f64 v[132:133], v[124:125], v[4:5], -v[132:133]
	v_fmac_f64_e32 v[134:135], v[126:127], v[4:5]
	ds_load_b128 v[4:7], v2 offset:1536
	ds_load_b128 v[124:127], v2 offset:1552
	v_fmac_f64_e32 v[136:137], v[130:131], v[8:9]
	v_fma_f64 v[8:9], v[128:129], v[8:9], -v[10:11]
	s_wait_loadcnt_dscnt 0x201
	v_mul_f64_e32 v[2:3], v[4:5], v[14:15]
	v_mul_f64_e32 v[14:15], v[6:7], v[14:15]
	s_wait_loadcnt_dscnt 0x100
	v_mul_f64_e32 v[130:131], v[124:125], v[18:19]
	v_mul_f64_e32 v[18:19], v[126:127], v[18:19]
	v_add_f64_e32 v[10:11], 0, v[132:133]
	v_add_f64_e32 v[128:129], 0, v[134:135]
	v_fmac_f64_e32 v[2:3], v[6:7], v[12:13]
	v_fma_f64 v[4:5], v[4:5], v[12:13], -v[14:15]
	v_fmac_f64_e32 v[130:131], v[126:127], v[16:17]
	v_add_f64_e32 v[6:7], v[10:11], v[8:9]
	v_add_f64_e32 v[8:9], v[128:129], v[136:137]
	v_fma_f64 v[10:11], v[124:125], v[16:17], -v[18:19]
	s_delay_alu instid0(VALU_DEP_3) | instskip(NEXT) | instid1(VALU_DEP_3)
	v_add_f64_e32 v[4:5], v[6:7], v[4:5]
	v_add_f64_e32 v[2:3], v[8:9], v[2:3]
	s_delay_alu instid0(VALU_DEP_2) | instskip(NEXT) | instid1(VALU_DEP_2)
	v_add_f64_e32 v[4:5], v[4:5], v[10:11]
	v_add_f64_e32 v[6:7], v[2:3], v[130:131]
	s_wait_loadcnt 0x0
	s_delay_alu instid0(VALU_DEP_2) | instskip(NEXT) | instid1(VALU_DEP_2)
	v_add_f64_e64 v[2:3], v[20:21], -v[4:5]
	v_add_f64_e64 v[4:5], v[22:23], -v[6:7]
	scratch_store_b128 off, v[2:5], off offset:704
	s_wait_xcnt 0x0
	v_cmpx_lt_u32_e32 43, v1
	s_cbranch_execz .LBB112_221
; %bb.220:
	scratch_load_b128 v[2:5], off, s21
	v_mov_b32_e32 v6, 0
	s_delay_alu instid0(VALU_DEP_1)
	v_dual_mov_b32 v7, v6 :: v_dual_mov_b32 v8, v6
	v_mov_b32_e32 v9, v6
	scratch_store_b128 off, v[6:9], off offset:688
	s_wait_loadcnt 0x0
	ds_store_b128 v122, v[2:5]
.LBB112_221:
	s_wait_xcnt 0x0
	s_or_b32 exec_lo, exec_lo, s2
	s_wait_storecnt_dscnt 0x0
	s_barrier_signal -1
	s_barrier_wait -1
	s_clause 0x5
	scratch_load_b128 v[4:7], off, off offset:704
	scratch_load_b128 v[8:11], off, off offset:720
	;; [unrolled: 1-line block ×6, first 2 shown]
	v_mov_b32_e32 v2, 0
	ds_load_b128 v[128:131], v2 offset:1488
	ds_load_b128 v[132:135], v2 offset:1504
	s_mov_b32 s2, exec_lo
	s_wait_loadcnt_dscnt 0x501
	v_mul_f64_e32 v[136:137], v[130:131], v[6:7]
	v_mul_f64_e32 v[138:139], v[128:129], v[6:7]
	s_wait_loadcnt_dscnt 0x400
	v_mul_f64_e32 v[140:141], v[132:133], v[10:11]
	v_mul_f64_e32 v[10:11], v[134:135], v[10:11]
	s_delay_alu instid0(VALU_DEP_4) | instskip(NEXT) | instid1(VALU_DEP_4)
	v_fma_f64 v[136:137], v[128:129], v[4:5], -v[136:137]
	v_fmac_f64_e32 v[138:139], v[130:131], v[4:5]
	ds_load_b128 v[4:7], v2 offset:1520
	ds_load_b128 v[128:131], v2 offset:1536
	v_fmac_f64_e32 v[140:141], v[134:135], v[8:9]
	v_fma_f64 v[8:9], v[132:133], v[8:9], -v[10:11]
	s_wait_loadcnt_dscnt 0x301
	v_mul_f64_e32 v[142:143], v[4:5], v[14:15]
	v_mul_f64_e32 v[14:15], v[6:7], v[14:15]
	s_wait_loadcnt_dscnt 0x200
	v_mul_f64_e32 v[134:135], v[128:129], v[18:19]
	v_mul_f64_e32 v[18:19], v[130:131], v[18:19]
	v_add_f64_e32 v[10:11], 0, v[136:137]
	v_add_f64_e32 v[132:133], 0, v[138:139]
	v_fmac_f64_e32 v[142:143], v[6:7], v[12:13]
	v_fma_f64 v[12:13], v[4:5], v[12:13], -v[14:15]
	ds_load_b128 v[4:7], v2 offset:1552
	v_fmac_f64_e32 v[134:135], v[130:131], v[16:17]
	v_fma_f64 v[16:17], v[128:129], v[16:17], -v[18:19]
	v_add_f64_e32 v[8:9], v[10:11], v[8:9]
	v_add_f64_e32 v[10:11], v[132:133], v[140:141]
	s_wait_loadcnt_dscnt 0x100
	v_mul_f64_e32 v[14:15], v[4:5], v[22:23]
	v_mul_f64_e32 v[22:23], v[6:7], v[22:23]
	s_delay_alu instid0(VALU_DEP_4) | instskip(NEXT) | instid1(VALU_DEP_4)
	v_add_f64_e32 v[8:9], v[8:9], v[12:13]
	v_add_f64_e32 v[10:11], v[10:11], v[142:143]
	s_delay_alu instid0(VALU_DEP_4) | instskip(NEXT) | instid1(VALU_DEP_4)
	v_fmac_f64_e32 v[14:15], v[6:7], v[20:21]
	v_fma_f64 v[4:5], v[4:5], v[20:21], -v[22:23]
	s_delay_alu instid0(VALU_DEP_4) | instskip(NEXT) | instid1(VALU_DEP_4)
	v_add_f64_e32 v[6:7], v[8:9], v[16:17]
	v_add_f64_e32 v[8:9], v[10:11], v[134:135]
	s_delay_alu instid0(VALU_DEP_2) | instskip(NEXT) | instid1(VALU_DEP_2)
	v_add_f64_e32 v[4:5], v[6:7], v[4:5]
	v_add_f64_e32 v[6:7], v[8:9], v[14:15]
	s_wait_loadcnt 0x0
	s_delay_alu instid0(VALU_DEP_2) | instskip(NEXT) | instid1(VALU_DEP_2)
	v_add_f64_e64 v[4:5], v[124:125], -v[4:5]
	v_add_f64_e64 v[6:7], v[126:127], -v[6:7]
	scratch_store_b128 off, v[4:7], off offset:688
	s_wait_xcnt 0x0
	v_cmpx_lt_u32_e32 42, v1
	s_cbranch_execz .LBB112_223
; %bb.222:
	scratch_load_b128 v[6:9], off, s22
	v_dual_mov_b32 v3, v2 :: v_dual_mov_b32 v4, v2
	v_mov_b32_e32 v5, v2
	scratch_store_b128 off, v[2:5], off offset:672
	s_wait_loadcnt 0x0
	ds_store_b128 v122, v[6:9]
.LBB112_223:
	s_wait_xcnt 0x0
	s_or_b32 exec_lo, exec_lo, s2
	s_wait_storecnt_dscnt 0x0
	s_barrier_signal -1
	s_barrier_wait -1
	s_clause 0x6
	scratch_load_b128 v[4:7], off, off offset:688
	scratch_load_b128 v[8:11], off, off offset:704
	;; [unrolled: 1-line block ×7, first 2 shown]
	ds_load_b128 v[132:135], v2 offset:1472
	ds_load_b128 v[136:139], v2 offset:1488
	s_mov_b32 s2, exec_lo
	s_wait_loadcnt_dscnt 0x601
	v_mul_f64_e32 v[140:141], v[134:135], v[6:7]
	v_mul_f64_e32 v[142:143], v[132:133], v[6:7]
	s_wait_loadcnt_dscnt 0x500
	v_mul_f64_e32 v[144:145], v[136:137], v[10:11]
	v_mul_f64_e32 v[10:11], v[138:139], v[10:11]
	s_delay_alu instid0(VALU_DEP_4) | instskip(NEXT) | instid1(VALU_DEP_4)
	v_fma_f64 v[140:141], v[132:133], v[4:5], -v[140:141]
	v_fmac_f64_e32 v[142:143], v[134:135], v[4:5]
	ds_load_b128 v[4:7], v2 offset:1504
	ds_load_b128 v[132:135], v2 offset:1520
	v_fmac_f64_e32 v[144:145], v[138:139], v[8:9]
	v_fma_f64 v[8:9], v[136:137], v[8:9], -v[10:11]
	s_wait_loadcnt_dscnt 0x401
	v_mul_f64_e32 v[146:147], v[4:5], v[14:15]
	v_mul_f64_e32 v[14:15], v[6:7], v[14:15]
	s_wait_loadcnt_dscnt 0x300
	v_mul_f64_e32 v[138:139], v[132:133], v[18:19]
	v_mul_f64_e32 v[18:19], v[134:135], v[18:19]
	v_add_f64_e32 v[10:11], 0, v[140:141]
	v_add_f64_e32 v[136:137], 0, v[142:143]
	v_fmac_f64_e32 v[146:147], v[6:7], v[12:13]
	v_fma_f64 v[12:13], v[4:5], v[12:13], -v[14:15]
	v_fmac_f64_e32 v[138:139], v[134:135], v[16:17]
	v_fma_f64 v[16:17], v[132:133], v[16:17], -v[18:19]
	v_add_f64_e32 v[14:15], v[10:11], v[8:9]
	v_add_f64_e32 v[136:137], v[136:137], v[144:145]
	ds_load_b128 v[4:7], v2 offset:1536
	ds_load_b128 v[8:11], v2 offset:1552
	s_wait_loadcnt_dscnt 0x201
	v_mul_f64_e32 v[2:3], v[4:5], v[22:23]
	v_mul_f64_e32 v[22:23], v[6:7], v[22:23]
	s_wait_loadcnt_dscnt 0x100
	v_mul_f64_e32 v[18:19], v[8:9], v[126:127]
	v_mul_f64_e32 v[126:127], v[10:11], v[126:127]
	v_add_f64_e32 v[12:13], v[14:15], v[12:13]
	v_add_f64_e32 v[14:15], v[136:137], v[146:147]
	v_fmac_f64_e32 v[2:3], v[6:7], v[20:21]
	v_fma_f64 v[4:5], v[4:5], v[20:21], -v[22:23]
	v_fmac_f64_e32 v[18:19], v[10:11], v[124:125]
	v_fma_f64 v[8:9], v[8:9], v[124:125], -v[126:127]
	v_add_f64_e32 v[6:7], v[12:13], v[16:17]
	v_add_f64_e32 v[12:13], v[14:15], v[138:139]
	s_delay_alu instid0(VALU_DEP_2) | instskip(NEXT) | instid1(VALU_DEP_2)
	v_add_f64_e32 v[4:5], v[6:7], v[4:5]
	v_add_f64_e32 v[2:3], v[12:13], v[2:3]
	s_delay_alu instid0(VALU_DEP_2) | instskip(NEXT) | instid1(VALU_DEP_2)
	v_add_f64_e32 v[4:5], v[4:5], v[8:9]
	v_add_f64_e32 v[6:7], v[2:3], v[18:19]
	s_wait_loadcnt 0x0
	s_delay_alu instid0(VALU_DEP_2) | instskip(NEXT) | instid1(VALU_DEP_2)
	v_add_f64_e64 v[2:3], v[128:129], -v[4:5]
	v_add_f64_e64 v[4:5], v[130:131], -v[6:7]
	scratch_store_b128 off, v[2:5], off offset:672
	s_wait_xcnt 0x0
	v_cmpx_lt_u32_e32 41, v1
	s_cbranch_execz .LBB112_225
; %bb.224:
	scratch_load_b128 v[2:5], off, s23
	v_mov_b32_e32 v6, 0
	s_delay_alu instid0(VALU_DEP_1)
	v_dual_mov_b32 v7, v6 :: v_dual_mov_b32 v8, v6
	v_mov_b32_e32 v9, v6
	scratch_store_b128 off, v[6:9], off offset:656
	s_wait_loadcnt 0x0
	ds_store_b128 v122, v[2:5]
.LBB112_225:
	s_wait_xcnt 0x0
	s_or_b32 exec_lo, exec_lo, s2
	s_wait_storecnt_dscnt 0x0
	s_barrier_signal -1
	s_barrier_wait -1
	s_clause 0x7
	scratch_load_b128 v[4:7], off, off offset:672
	scratch_load_b128 v[8:11], off, off offset:688
	;; [unrolled: 1-line block ×8, first 2 shown]
	v_mov_b32_e32 v2, 0
	ds_load_b128 v[136:139], v2 offset:1456
	ds_load_b128 v[140:143], v2 offset:1472
	s_mov_b32 s2, exec_lo
	s_wait_loadcnt_dscnt 0x701
	v_mul_f64_e32 v[144:145], v[138:139], v[6:7]
	v_mul_f64_e32 v[146:147], v[136:137], v[6:7]
	s_wait_loadcnt_dscnt 0x600
	v_mul_f64_e32 v[148:149], v[140:141], v[10:11]
	v_mul_f64_e32 v[10:11], v[142:143], v[10:11]
	s_delay_alu instid0(VALU_DEP_4) | instskip(NEXT) | instid1(VALU_DEP_4)
	v_fma_f64 v[144:145], v[136:137], v[4:5], -v[144:145]
	v_fmac_f64_e32 v[146:147], v[138:139], v[4:5]
	ds_load_b128 v[4:7], v2 offset:1488
	ds_load_b128 v[136:139], v2 offset:1504
	v_fmac_f64_e32 v[148:149], v[142:143], v[8:9]
	v_fma_f64 v[8:9], v[140:141], v[8:9], -v[10:11]
	s_wait_loadcnt_dscnt 0x501
	v_mul_f64_e32 v[150:151], v[4:5], v[14:15]
	v_mul_f64_e32 v[14:15], v[6:7], v[14:15]
	s_wait_loadcnt_dscnt 0x400
	v_mul_f64_e32 v[142:143], v[136:137], v[18:19]
	v_mul_f64_e32 v[18:19], v[138:139], v[18:19]
	v_add_f64_e32 v[10:11], 0, v[144:145]
	v_add_f64_e32 v[140:141], 0, v[146:147]
	v_fmac_f64_e32 v[150:151], v[6:7], v[12:13]
	v_fma_f64 v[12:13], v[4:5], v[12:13], -v[14:15]
	v_fmac_f64_e32 v[142:143], v[138:139], v[16:17]
	v_fma_f64 v[16:17], v[136:137], v[16:17], -v[18:19]
	v_add_f64_e32 v[14:15], v[10:11], v[8:9]
	v_add_f64_e32 v[140:141], v[140:141], v[148:149]
	ds_load_b128 v[4:7], v2 offset:1520
	ds_load_b128 v[8:11], v2 offset:1536
	s_wait_loadcnt_dscnt 0x301
	v_mul_f64_e32 v[144:145], v[4:5], v[22:23]
	v_mul_f64_e32 v[22:23], v[6:7], v[22:23]
	s_wait_loadcnt_dscnt 0x200
	v_mul_f64_e32 v[18:19], v[8:9], v[126:127]
	v_mul_f64_e32 v[126:127], v[10:11], v[126:127]
	v_add_f64_e32 v[12:13], v[14:15], v[12:13]
	v_add_f64_e32 v[14:15], v[140:141], v[150:151]
	v_fmac_f64_e32 v[144:145], v[6:7], v[20:21]
	v_fma_f64 v[20:21], v[4:5], v[20:21], -v[22:23]
	ds_load_b128 v[4:7], v2 offset:1552
	v_fmac_f64_e32 v[18:19], v[10:11], v[124:125]
	v_fma_f64 v[8:9], v[8:9], v[124:125], -v[126:127]
	v_add_f64_e32 v[12:13], v[12:13], v[16:17]
	v_add_f64_e32 v[14:15], v[14:15], v[142:143]
	s_wait_loadcnt_dscnt 0x100
	v_mul_f64_e32 v[16:17], v[4:5], v[130:131]
	v_mul_f64_e32 v[22:23], v[6:7], v[130:131]
	s_delay_alu instid0(VALU_DEP_4) | instskip(NEXT) | instid1(VALU_DEP_4)
	v_add_f64_e32 v[10:11], v[12:13], v[20:21]
	v_add_f64_e32 v[12:13], v[14:15], v[144:145]
	s_delay_alu instid0(VALU_DEP_4) | instskip(NEXT) | instid1(VALU_DEP_4)
	v_fmac_f64_e32 v[16:17], v[6:7], v[128:129]
	v_fma_f64 v[4:5], v[4:5], v[128:129], -v[22:23]
	s_delay_alu instid0(VALU_DEP_4) | instskip(NEXT) | instid1(VALU_DEP_4)
	v_add_f64_e32 v[6:7], v[10:11], v[8:9]
	v_add_f64_e32 v[8:9], v[12:13], v[18:19]
	s_delay_alu instid0(VALU_DEP_2) | instskip(NEXT) | instid1(VALU_DEP_2)
	v_add_f64_e32 v[4:5], v[6:7], v[4:5]
	v_add_f64_e32 v[6:7], v[8:9], v[16:17]
	s_wait_loadcnt 0x0
	s_delay_alu instid0(VALU_DEP_2) | instskip(NEXT) | instid1(VALU_DEP_2)
	v_add_f64_e64 v[4:5], v[132:133], -v[4:5]
	v_add_f64_e64 v[6:7], v[134:135], -v[6:7]
	scratch_store_b128 off, v[4:7], off offset:656
	s_wait_xcnt 0x0
	v_cmpx_lt_u32_e32 40, v1
	s_cbranch_execz .LBB112_227
; %bb.226:
	scratch_load_b128 v[6:9], off, s24
	v_dual_mov_b32 v3, v2 :: v_dual_mov_b32 v4, v2
	v_mov_b32_e32 v5, v2
	scratch_store_b128 off, v[2:5], off offset:640
	s_wait_loadcnt 0x0
	ds_store_b128 v122, v[6:9]
.LBB112_227:
	s_wait_xcnt 0x0
	s_or_b32 exec_lo, exec_lo, s2
	s_wait_storecnt_dscnt 0x0
	s_barrier_signal -1
	s_barrier_wait -1
	s_clause 0x7
	scratch_load_b128 v[4:7], off, off offset:656
	scratch_load_b128 v[8:11], off, off offset:672
	;; [unrolled: 1-line block ×8, first 2 shown]
	ds_load_b128 v[136:139], v2 offset:1440
	ds_load_b128 v[140:143], v2 offset:1456
	scratch_load_b128 v[144:147], off, off offset:640
	s_mov_b32 s2, exec_lo
	s_wait_loadcnt_dscnt 0x801
	v_mul_f64_e32 v[148:149], v[138:139], v[6:7]
	v_mul_f64_e32 v[150:151], v[136:137], v[6:7]
	s_wait_loadcnt_dscnt 0x700
	v_mul_f64_e32 v[152:153], v[140:141], v[10:11]
	v_mul_f64_e32 v[10:11], v[142:143], v[10:11]
	s_delay_alu instid0(VALU_DEP_4) | instskip(NEXT) | instid1(VALU_DEP_4)
	v_fma_f64 v[148:149], v[136:137], v[4:5], -v[148:149]
	v_fmac_f64_e32 v[150:151], v[138:139], v[4:5]
	ds_load_b128 v[4:7], v2 offset:1472
	ds_load_b128 v[136:139], v2 offset:1488
	v_fmac_f64_e32 v[152:153], v[142:143], v[8:9]
	v_fma_f64 v[8:9], v[140:141], v[8:9], -v[10:11]
	s_wait_loadcnt_dscnt 0x601
	v_mul_f64_e32 v[154:155], v[4:5], v[14:15]
	v_mul_f64_e32 v[14:15], v[6:7], v[14:15]
	s_wait_loadcnt_dscnt 0x500
	v_mul_f64_e32 v[142:143], v[136:137], v[18:19]
	v_mul_f64_e32 v[18:19], v[138:139], v[18:19]
	v_add_f64_e32 v[10:11], 0, v[148:149]
	v_add_f64_e32 v[140:141], 0, v[150:151]
	v_fmac_f64_e32 v[154:155], v[6:7], v[12:13]
	v_fma_f64 v[12:13], v[4:5], v[12:13], -v[14:15]
	v_fmac_f64_e32 v[142:143], v[138:139], v[16:17]
	v_fma_f64 v[16:17], v[136:137], v[16:17], -v[18:19]
	v_add_f64_e32 v[14:15], v[10:11], v[8:9]
	v_add_f64_e32 v[140:141], v[140:141], v[152:153]
	ds_load_b128 v[4:7], v2 offset:1504
	ds_load_b128 v[8:11], v2 offset:1520
	s_wait_loadcnt_dscnt 0x401
	v_mul_f64_e32 v[148:149], v[4:5], v[22:23]
	v_mul_f64_e32 v[22:23], v[6:7], v[22:23]
	s_wait_loadcnt_dscnt 0x300
	v_mul_f64_e32 v[18:19], v[8:9], v[126:127]
	v_mul_f64_e32 v[126:127], v[10:11], v[126:127]
	v_add_f64_e32 v[12:13], v[14:15], v[12:13]
	v_add_f64_e32 v[14:15], v[140:141], v[154:155]
	v_fmac_f64_e32 v[148:149], v[6:7], v[20:21]
	v_fma_f64 v[20:21], v[4:5], v[20:21], -v[22:23]
	v_fmac_f64_e32 v[18:19], v[10:11], v[124:125]
	v_fma_f64 v[8:9], v[8:9], v[124:125], -v[126:127]
	v_add_f64_e32 v[16:17], v[12:13], v[16:17]
	v_add_f64_e32 v[22:23], v[14:15], v[142:143]
	ds_load_b128 v[4:7], v2 offset:1536
	ds_load_b128 v[12:15], v2 offset:1552
	s_wait_loadcnt_dscnt 0x201
	v_mul_f64_e32 v[2:3], v[4:5], v[130:131]
	v_mul_f64_e32 v[130:131], v[6:7], v[130:131]
	v_add_f64_e32 v[10:11], v[16:17], v[20:21]
	v_add_f64_e32 v[16:17], v[22:23], v[148:149]
	s_wait_loadcnt_dscnt 0x100
	v_mul_f64_e32 v[20:21], v[12:13], v[134:135]
	v_mul_f64_e32 v[22:23], v[14:15], v[134:135]
	v_fmac_f64_e32 v[2:3], v[6:7], v[128:129]
	v_fma_f64 v[4:5], v[4:5], v[128:129], -v[130:131]
	v_add_f64_e32 v[6:7], v[10:11], v[8:9]
	v_add_f64_e32 v[8:9], v[16:17], v[18:19]
	v_fmac_f64_e32 v[20:21], v[14:15], v[132:133]
	v_fma_f64 v[10:11], v[12:13], v[132:133], -v[22:23]
	s_delay_alu instid0(VALU_DEP_4) | instskip(NEXT) | instid1(VALU_DEP_4)
	v_add_f64_e32 v[4:5], v[6:7], v[4:5]
	v_add_f64_e32 v[2:3], v[8:9], v[2:3]
	s_delay_alu instid0(VALU_DEP_2) | instskip(NEXT) | instid1(VALU_DEP_2)
	v_add_f64_e32 v[4:5], v[4:5], v[10:11]
	v_add_f64_e32 v[6:7], v[2:3], v[20:21]
	s_wait_loadcnt 0x0
	s_delay_alu instid0(VALU_DEP_2) | instskip(NEXT) | instid1(VALU_DEP_2)
	v_add_f64_e64 v[2:3], v[144:145], -v[4:5]
	v_add_f64_e64 v[4:5], v[146:147], -v[6:7]
	scratch_store_b128 off, v[2:5], off offset:640
	s_wait_xcnt 0x0
	v_cmpx_lt_u32_e32 39, v1
	s_cbranch_execz .LBB112_229
; %bb.228:
	scratch_load_b128 v[2:5], off, s25
	v_mov_b32_e32 v6, 0
	s_delay_alu instid0(VALU_DEP_1)
	v_dual_mov_b32 v7, v6 :: v_dual_mov_b32 v8, v6
	v_mov_b32_e32 v9, v6
	scratch_store_b128 off, v[6:9], off offset:624
	s_wait_loadcnt 0x0
	ds_store_b128 v122, v[2:5]
.LBB112_229:
	s_wait_xcnt 0x0
	s_or_b32 exec_lo, exec_lo, s2
	s_wait_storecnt_dscnt 0x0
	s_barrier_signal -1
	s_barrier_wait -1
	s_clause 0x8
	scratch_load_b128 v[4:7], off, off offset:640
	scratch_load_b128 v[8:11], off, off offset:656
	;; [unrolled: 1-line block ×9, first 2 shown]
	v_mov_b32_e32 v2, 0
	scratch_load_b128 v[144:147], off, off offset:624
	s_mov_b32 s2, exec_lo
	ds_load_b128 v[140:143], v2 offset:1424
	ds_load_b128 v[148:151], v2 offset:1440
	s_wait_loadcnt_dscnt 0x901
	v_mul_f64_e32 v[152:153], v[142:143], v[6:7]
	v_mul_f64_e32 v[154:155], v[140:141], v[6:7]
	s_wait_loadcnt_dscnt 0x800
	v_mul_f64_e32 v[156:157], v[148:149], v[10:11]
	v_mul_f64_e32 v[10:11], v[150:151], v[10:11]
	s_delay_alu instid0(VALU_DEP_4) | instskip(NEXT) | instid1(VALU_DEP_4)
	v_fma_f64 v[152:153], v[140:141], v[4:5], -v[152:153]
	v_fmac_f64_e32 v[154:155], v[142:143], v[4:5]
	ds_load_b128 v[4:7], v2 offset:1456
	ds_load_b128 v[140:143], v2 offset:1472
	v_fmac_f64_e32 v[156:157], v[150:151], v[8:9]
	v_fma_f64 v[8:9], v[148:149], v[8:9], -v[10:11]
	s_wait_loadcnt_dscnt 0x701
	v_mul_f64_e32 v[158:159], v[4:5], v[14:15]
	v_mul_f64_e32 v[14:15], v[6:7], v[14:15]
	s_wait_loadcnt_dscnt 0x600
	v_mul_f64_e32 v[150:151], v[140:141], v[18:19]
	v_mul_f64_e32 v[18:19], v[142:143], v[18:19]
	v_add_f64_e32 v[10:11], 0, v[152:153]
	v_add_f64_e32 v[148:149], 0, v[154:155]
	v_fmac_f64_e32 v[158:159], v[6:7], v[12:13]
	v_fma_f64 v[12:13], v[4:5], v[12:13], -v[14:15]
	v_fmac_f64_e32 v[150:151], v[142:143], v[16:17]
	v_fma_f64 v[16:17], v[140:141], v[16:17], -v[18:19]
	v_add_f64_e32 v[14:15], v[10:11], v[8:9]
	v_add_f64_e32 v[148:149], v[148:149], v[156:157]
	ds_load_b128 v[4:7], v2 offset:1488
	ds_load_b128 v[8:11], v2 offset:1504
	s_wait_loadcnt_dscnt 0x501
	v_mul_f64_e32 v[152:153], v[4:5], v[22:23]
	v_mul_f64_e32 v[22:23], v[6:7], v[22:23]
	s_wait_loadcnt_dscnt 0x400
	v_mul_f64_e32 v[18:19], v[8:9], v[126:127]
	v_mul_f64_e32 v[126:127], v[10:11], v[126:127]
	v_add_f64_e32 v[12:13], v[14:15], v[12:13]
	v_add_f64_e32 v[14:15], v[148:149], v[158:159]
	v_fmac_f64_e32 v[152:153], v[6:7], v[20:21]
	v_fma_f64 v[20:21], v[4:5], v[20:21], -v[22:23]
	v_fmac_f64_e32 v[18:19], v[10:11], v[124:125]
	v_fma_f64 v[8:9], v[8:9], v[124:125], -v[126:127]
	v_add_f64_e32 v[16:17], v[12:13], v[16:17]
	v_add_f64_e32 v[22:23], v[14:15], v[150:151]
	ds_load_b128 v[4:7], v2 offset:1520
	ds_load_b128 v[12:15], v2 offset:1536
	s_wait_loadcnt_dscnt 0x301
	v_mul_f64_e32 v[140:141], v[4:5], v[130:131]
	v_mul_f64_e32 v[130:131], v[6:7], v[130:131]
	v_add_f64_e32 v[10:11], v[16:17], v[20:21]
	v_add_f64_e32 v[16:17], v[22:23], v[152:153]
	s_wait_loadcnt_dscnt 0x200
	v_mul_f64_e32 v[20:21], v[12:13], v[134:135]
	v_mul_f64_e32 v[22:23], v[14:15], v[134:135]
	v_fmac_f64_e32 v[140:141], v[6:7], v[128:129]
	v_fma_f64 v[124:125], v[4:5], v[128:129], -v[130:131]
	ds_load_b128 v[4:7], v2 offset:1552
	v_add_f64_e32 v[8:9], v[10:11], v[8:9]
	v_add_f64_e32 v[10:11], v[16:17], v[18:19]
	v_fmac_f64_e32 v[20:21], v[14:15], v[132:133]
	v_fma_f64 v[12:13], v[12:13], v[132:133], -v[22:23]
	s_wait_loadcnt_dscnt 0x100
	v_mul_f64_e32 v[16:17], v[4:5], v[138:139]
	v_mul_f64_e32 v[18:19], v[6:7], v[138:139]
	v_add_f64_e32 v[8:9], v[8:9], v[124:125]
	v_add_f64_e32 v[10:11], v[10:11], v[140:141]
	s_delay_alu instid0(VALU_DEP_4) | instskip(NEXT) | instid1(VALU_DEP_4)
	v_fmac_f64_e32 v[16:17], v[6:7], v[136:137]
	v_fma_f64 v[4:5], v[4:5], v[136:137], -v[18:19]
	s_delay_alu instid0(VALU_DEP_4) | instskip(NEXT) | instid1(VALU_DEP_4)
	v_add_f64_e32 v[6:7], v[8:9], v[12:13]
	v_add_f64_e32 v[8:9], v[10:11], v[20:21]
	s_delay_alu instid0(VALU_DEP_2) | instskip(NEXT) | instid1(VALU_DEP_2)
	v_add_f64_e32 v[4:5], v[6:7], v[4:5]
	v_add_f64_e32 v[6:7], v[8:9], v[16:17]
	s_wait_loadcnt 0x0
	s_delay_alu instid0(VALU_DEP_2) | instskip(NEXT) | instid1(VALU_DEP_2)
	v_add_f64_e64 v[4:5], v[144:145], -v[4:5]
	v_add_f64_e64 v[6:7], v[146:147], -v[6:7]
	scratch_store_b128 off, v[4:7], off offset:624
	s_wait_xcnt 0x0
	v_cmpx_lt_u32_e32 38, v1
	s_cbranch_execz .LBB112_231
; %bb.230:
	scratch_load_b128 v[6:9], off, s26
	v_dual_mov_b32 v3, v2 :: v_dual_mov_b32 v4, v2
	v_mov_b32_e32 v5, v2
	scratch_store_b128 off, v[2:5], off offset:608
	s_wait_loadcnt 0x0
	ds_store_b128 v122, v[6:9]
.LBB112_231:
	s_wait_xcnt 0x0
	s_or_b32 exec_lo, exec_lo, s2
	s_wait_storecnt_dscnt 0x0
	s_barrier_signal -1
	s_barrier_wait -1
	s_clause 0x9
	scratch_load_b128 v[4:7], off, off offset:624
	scratch_load_b128 v[8:11], off, off offset:640
	;; [unrolled: 1-line block ×10, first 2 shown]
	ds_load_b128 v[144:147], v2 offset:1408
	ds_load_b128 v[148:151], v2 offset:1424
	scratch_load_b128 v[152:155], off, off offset:608
	s_mov_b32 s2, exec_lo
	s_wait_loadcnt_dscnt 0xa01
	v_mul_f64_e32 v[156:157], v[146:147], v[6:7]
	v_mul_f64_e32 v[158:159], v[144:145], v[6:7]
	s_wait_loadcnt_dscnt 0x900
	v_mul_f64_e32 v[160:161], v[148:149], v[10:11]
	v_mul_f64_e32 v[10:11], v[150:151], v[10:11]
	s_delay_alu instid0(VALU_DEP_4) | instskip(NEXT) | instid1(VALU_DEP_4)
	v_fma_f64 v[156:157], v[144:145], v[4:5], -v[156:157]
	v_fmac_f64_e32 v[158:159], v[146:147], v[4:5]
	ds_load_b128 v[4:7], v2 offset:1440
	ds_load_b128 v[144:147], v2 offset:1456
	v_fmac_f64_e32 v[160:161], v[150:151], v[8:9]
	v_fma_f64 v[8:9], v[148:149], v[8:9], -v[10:11]
	s_wait_loadcnt_dscnt 0x801
	v_mul_f64_e32 v[162:163], v[4:5], v[14:15]
	v_mul_f64_e32 v[14:15], v[6:7], v[14:15]
	s_wait_loadcnt_dscnt 0x700
	v_mul_f64_e32 v[150:151], v[144:145], v[18:19]
	v_mul_f64_e32 v[18:19], v[146:147], v[18:19]
	v_add_f64_e32 v[10:11], 0, v[156:157]
	v_add_f64_e32 v[148:149], 0, v[158:159]
	v_fmac_f64_e32 v[162:163], v[6:7], v[12:13]
	v_fma_f64 v[12:13], v[4:5], v[12:13], -v[14:15]
	v_fmac_f64_e32 v[150:151], v[146:147], v[16:17]
	v_fma_f64 v[16:17], v[144:145], v[16:17], -v[18:19]
	v_add_f64_e32 v[14:15], v[10:11], v[8:9]
	v_add_f64_e32 v[148:149], v[148:149], v[160:161]
	ds_load_b128 v[4:7], v2 offset:1472
	ds_load_b128 v[8:11], v2 offset:1488
	s_wait_loadcnt_dscnt 0x601
	v_mul_f64_e32 v[156:157], v[4:5], v[22:23]
	v_mul_f64_e32 v[22:23], v[6:7], v[22:23]
	s_wait_loadcnt_dscnt 0x500
	v_mul_f64_e32 v[18:19], v[8:9], v[126:127]
	v_mul_f64_e32 v[126:127], v[10:11], v[126:127]
	v_add_f64_e32 v[12:13], v[14:15], v[12:13]
	v_add_f64_e32 v[14:15], v[148:149], v[162:163]
	v_fmac_f64_e32 v[156:157], v[6:7], v[20:21]
	v_fma_f64 v[20:21], v[4:5], v[20:21], -v[22:23]
	v_fmac_f64_e32 v[18:19], v[10:11], v[124:125]
	v_fma_f64 v[8:9], v[8:9], v[124:125], -v[126:127]
	v_add_f64_e32 v[16:17], v[12:13], v[16:17]
	v_add_f64_e32 v[22:23], v[14:15], v[150:151]
	ds_load_b128 v[4:7], v2 offset:1504
	ds_load_b128 v[12:15], v2 offset:1520
	s_wait_loadcnt_dscnt 0x401
	v_mul_f64_e32 v[144:145], v[4:5], v[130:131]
	v_mul_f64_e32 v[130:131], v[6:7], v[130:131]
	v_add_f64_e32 v[10:11], v[16:17], v[20:21]
	v_add_f64_e32 v[16:17], v[22:23], v[156:157]
	s_wait_loadcnt_dscnt 0x300
	v_mul_f64_e32 v[20:21], v[12:13], v[134:135]
	v_mul_f64_e32 v[22:23], v[14:15], v[134:135]
	v_fmac_f64_e32 v[144:145], v[6:7], v[128:129]
	v_fma_f64 v[124:125], v[4:5], v[128:129], -v[130:131]
	v_add_f64_e32 v[126:127], v[10:11], v[8:9]
	v_add_f64_e32 v[16:17], v[16:17], v[18:19]
	ds_load_b128 v[4:7], v2 offset:1536
	ds_load_b128 v[8:11], v2 offset:1552
	v_fmac_f64_e32 v[20:21], v[14:15], v[132:133]
	v_fma_f64 v[12:13], v[12:13], v[132:133], -v[22:23]
	s_wait_loadcnt_dscnt 0x201
	v_mul_f64_e32 v[2:3], v[4:5], v[138:139]
	v_mul_f64_e32 v[18:19], v[6:7], v[138:139]
	s_wait_loadcnt_dscnt 0x100
	v_mul_f64_e32 v[22:23], v[8:9], v[142:143]
	v_add_f64_e32 v[14:15], v[126:127], v[124:125]
	v_add_f64_e32 v[16:17], v[16:17], v[144:145]
	v_mul_f64_e32 v[124:125], v[10:11], v[142:143]
	v_fmac_f64_e32 v[2:3], v[6:7], v[136:137]
	v_fma_f64 v[4:5], v[4:5], v[136:137], -v[18:19]
	v_fmac_f64_e32 v[22:23], v[10:11], v[140:141]
	v_add_f64_e32 v[6:7], v[14:15], v[12:13]
	v_add_f64_e32 v[12:13], v[16:17], v[20:21]
	v_fma_f64 v[8:9], v[8:9], v[140:141], -v[124:125]
	s_delay_alu instid0(VALU_DEP_3) | instskip(NEXT) | instid1(VALU_DEP_3)
	v_add_f64_e32 v[4:5], v[6:7], v[4:5]
	v_add_f64_e32 v[2:3], v[12:13], v[2:3]
	s_delay_alu instid0(VALU_DEP_2) | instskip(NEXT) | instid1(VALU_DEP_2)
	v_add_f64_e32 v[4:5], v[4:5], v[8:9]
	v_add_f64_e32 v[6:7], v[2:3], v[22:23]
	s_wait_loadcnt 0x0
	s_delay_alu instid0(VALU_DEP_2) | instskip(NEXT) | instid1(VALU_DEP_2)
	v_add_f64_e64 v[2:3], v[152:153], -v[4:5]
	v_add_f64_e64 v[4:5], v[154:155], -v[6:7]
	scratch_store_b128 off, v[2:5], off offset:608
	s_wait_xcnt 0x0
	v_cmpx_lt_u32_e32 37, v1
	s_cbranch_execz .LBB112_233
; %bb.232:
	scratch_load_b128 v[2:5], off, s27
	v_mov_b32_e32 v6, 0
	s_delay_alu instid0(VALU_DEP_1)
	v_dual_mov_b32 v7, v6 :: v_dual_mov_b32 v8, v6
	v_mov_b32_e32 v9, v6
	scratch_store_b128 off, v[6:9], off offset:592
	s_wait_loadcnt 0x0
	ds_store_b128 v122, v[2:5]
.LBB112_233:
	s_wait_xcnt 0x0
	s_or_b32 exec_lo, exec_lo, s2
	s_wait_storecnt_dscnt 0x0
	s_barrier_signal -1
	s_barrier_wait -1
	s_clause 0x9
	scratch_load_b128 v[4:7], off, off offset:608
	scratch_load_b128 v[8:11], off, off offset:624
	;; [unrolled: 1-line block ×10, first 2 shown]
	v_mov_b32_e32 v2, 0
	s_mov_b32 s2, exec_lo
	ds_load_b128 v[144:147], v2 offset:1392
	s_clause 0x1
	scratch_load_b128 v[148:151], off, off offset:768
	scratch_load_b128 v[152:155], off, off offset:592
	s_wait_loadcnt_dscnt 0xb00
	v_mul_f64_e32 v[160:161], v[146:147], v[6:7]
	v_mul_f64_e32 v[162:163], v[144:145], v[6:7]
	ds_load_b128 v[156:159], v2 offset:1408
	s_wait_loadcnt_dscnt 0xa00
	v_mul_f64_e32 v[164:165], v[156:157], v[10:11]
	v_mul_f64_e32 v[10:11], v[158:159], v[10:11]
	v_fma_f64 v[160:161], v[144:145], v[4:5], -v[160:161]
	v_fmac_f64_e32 v[162:163], v[146:147], v[4:5]
	ds_load_b128 v[4:7], v2 offset:1424
	ds_load_b128 v[144:147], v2 offset:1440
	s_wait_loadcnt_dscnt 0x901
	v_mul_f64_e32 v[166:167], v[4:5], v[14:15]
	v_mul_f64_e32 v[14:15], v[6:7], v[14:15]
	v_fmac_f64_e32 v[164:165], v[158:159], v[8:9]
	v_fma_f64 v[8:9], v[156:157], v[8:9], -v[10:11]
	s_wait_loadcnt_dscnt 0x800
	v_mul_f64_e32 v[158:159], v[144:145], v[18:19]
	v_mul_f64_e32 v[18:19], v[146:147], v[18:19]
	v_add_f64_e32 v[10:11], 0, v[160:161]
	v_add_f64_e32 v[156:157], 0, v[162:163]
	v_fmac_f64_e32 v[166:167], v[6:7], v[12:13]
	v_fma_f64 v[12:13], v[4:5], v[12:13], -v[14:15]
	v_fmac_f64_e32 v[158:159], v[146:147], v[16:17]
	v_fma_f64 v[16:17], v[144:145], v[16:17], -v[18:19]
	v_add_f64_e32 v[14:15], v[10:11], v[8:9]
	v_add_f64_e32 v[156:157], v[156:157], v[164:165]
	ds_load_b128 v[4:7], v2 offset:1456
	ds_load_b128 v[8:11], v2 offset:1472
	s_wait_loadcnt_dscnt 0x701
	v_mul_f64_e32 v[160:161], v[4:5], v[22:23]
	v_mul_f64_e32 v[22:23], v[6:7], v[22:23]
	s_wait_loadcnt_dscnt 0x600
	v_mul_f64_e32 v[18:19], v[8:9], v[126:127]
	v_mul_f64_e32 v[126:127], v[10:11], v[126:127]
	v_add_f64_e32 v[12:13], v[14:15], v[12:13]
	v_add_f64_e32 v[14:15], v[156:157], v[166:167]
	v_fmac_f64_e32 v[160:161], v[6:7], v[20:21]
	v_fma_f64 v[20:21], v[4:5], v[20:21], -v[22:23]
	v_fmac_f64_e32 v[18:19], v[10:11], v[124:125]
	v_fma_f64 v[8:9], v[8:9], v[124:125], -v[126:127]
	v_add_f64_e32 v[16:17], v[12:13], v[16:17]
	v_add_f64_e32 v[22:23], v[14:15], v[158:159]
	ds_load_b128 v[4:7], v2 offset:1488
	ds_load_b128 v[12:15], v2 offset:1504
	s_wait_loadcnt_dscnt 0x501
	v_mul_f64_e32 v[144:145], v[4:5], v[130:131]
	v_mul_f64_e32 v[130:131], v[6:7], v[130:131]
	v_add_f64_e32 v[10:11], v[16:17], v[20:21]
	v_add_f64_e32 v[16:17], v[22:23], v[160:161]
	s_wait_loadcnt_dscnt 0x400
	v_mul_f64_e32 v[20:21], v[12:13], v[134:135]
	v_mul_f64_e32 v[22:23], v[14:15], v[134:135]
	v_fmac_f64_e32 v[144:145], v[6:7], v[128:129]
	v_fma_f64 v[124:125], v[4:5], v[128:129], -v[130:131]
	v_add_f64_e32 v[126:127], v[10:11], v[8:9]
	v_add_f64_e32 v[16:17], v[16:17], v[18:19]
	ds_load_b128 v[4:7], v2 offset:1520
	ds_load_b128 v[8:11], v2 offset:1536
	v_fmac_f64_e32 v[20:21], v[14:15], v[132:133]
	v_fma_f64 v[12:13], v[12:13], v[132:133], -v[22:23]
	s_wait_loadcnt_dscnt 0x301
	v_mul_f64_e32 v[18:19], v[4:5], v[138:139]
	v_mul_f64_e32 v[128:129], v[6:7], v[138:139]
	s_wait_loadcnt_dscnt 0x200
	v_mul_f64_e32 v[22:23], v[8:9], v[142:143]
	v_add_f64_e32 v[14:15], v[126:127], v[124:125]
	v_add_f64_e32 v[16:17], v[16:17], v[144:145]
	v_mul_f64_e32 v[124:125], v[10:11], v[142:143]
	v_fmac_f64_e32 v[18:19], v[6:7], v[136:137]
	v_fma_f64 v[126:127], v[4:5], v[136:137], -v[128:129]
	ds_load_b128 v[4:7], v2 offset:1552
	v_fmac_f64_e32 v[22:23], v[10:11], v[140:141]
	v_add_f64_e32 v[12:13], v[14:15], v[12:13]
	v_add_f64_e32 v[14:15], v[16:17], v[20:21]
	v_fma_f64 v[8:9], v[8:9], v[140:141], -v[124:125]
	s_wait_loadcnt_dscnt 0x100
	v_mul_f64_e32 v[16:17], v[4:5], v[150:151]
	v_mul_f64_e32 v[20:21], v[6:7], v[150:151]
	v_add_f64_e32 v[10:11], v[12:13], v[126:127]
	v_add_f64_e32 v[12:13], v[14:15], v[18:19]
	s_delay_alu instid0(VALU_DEP_4) | instskip(NEXT) | instid1(VALU_DEP_4)
	v_fmac_f64_e32 v[16:17], v[6:7], v[148:149]
	v_fma_f64 v[4:5], v[4:5], v[148:149], -v[20:21]
	s_delay_alu instid0(VALU_DEP_4) | instskip(NEXT) | instid1(VALU_DEP_4)
	v_add_f64_e32 v[6:7], v[10:11], v[8:9]
	v_add_f64_e32 v[8:9], v[12:13], v[22:23]
	s_delay_alu instid0(VALU_DEP_2) | instskip(NEXT) | instid1(VALU_DEP_2)
	v_add_f64_e32 v[4:5], v[6:7], v[4:5]
	v_add_f64_e32 v[6:7], v[8:9], v[16:17]
	s_wait_loadcnt 0x0
	s_delay_alu instid0(VALU_DEP_2) | instskip(NEXT) | instid1(VALU_DEP_2)
	v_add_f64_e64 v[4:5], v[152:153], -v[4:5]
	v_add_f64_e64 v[6:7], v[154:155], -v[6:7]
	scratch_store_b128 off, v[4:7], off offset:592
	s_wait_xcnt 0x0
	v_cmpx_lt_u32_e32 36, v1
	s_cbranch_execz .LBB112_235
; %bb.234:
	scratch_load_b128 v[6:9], off, s28
	v_dual_mov_b32 v3, v2 :: v_dual_mov_b32 v4, v2
	v_mov_b32_e32 v5, v2
	scratch_store_b128 off, v[2:5], off offset:576
	s_wait_loadcnt 0x0
	ds_store_b128 v122, v[6:9]
.LBB112_235:
	s_wait_xcnt 0x0
	s_or_b32 exec_lo, exec_lo, s2
	s_wait_storecnt_dscnt 0x0
	s_barrier_signal -1
	s_barrier_wait -1
	s_clause 0x9
	scratch_load_b128 v[4:7], off, off offset:592
	scratch_load_b128 v[8:11], off, off offset:608
	;; [unrolled: 1-line block ×10, first 2 shown]
	ds_load_b128 v[144:147], v2 offset:1376
	ds_load_b128 v[152:155], v2 offset:1392
	s_clause 0x2
	scratch_load_b128 v[148:151], off, off offset:752
	scratch_load_b128 v[156:159], off, off offset:576
	;; [unrolled: 1-line block ×3, first 2 shown]
	s_mov_b32 s2, exec_lo
	s_wait_loadcnt_dscnt 0xc01
	v_mul_f64_e32 v[164:165], v[146:147], v[6:7]
	v_mul_f64_e32 v[166:167], v[144:145], v[6:7]
	s_wait_loadcnt_dscnt 0xb00
	v_mul_f64_e32 v[168:169], v[152:153], v[10:11]
	v_mul_f64_e32 v[10:11], v[154:155], v[10:11]
	s_delay_alu instid0(VALU_DEP_4) | instskip(NEXT) | instid1(VALU_DEP_4)
	v_fma_f64 v[164:165], v[144:145], v[4:5], -v[164:165]
	v_fmac_f64_e32 v[166:167], v[146:147], v[4:5]
	ds_load_b128 v[4:7], v2 offset:1408
	ds_load_b128 v[144:147], v2 offset:1424
	v_fmac_f64_e32 v[168:169], v[154:155], v[8:9]
	v_fma_f64 v[8:9], v[152:153], v[8:9], -v[10:11]
	s_wait_loadcnt_dscnt 0xa01
	v_mul_f64_e32 v[170:171], v[4:5], v[14:15]
	v_mul_f64_e32 v[14:15], v[6:7], v[14:15]
	s_wait_loadcnt_dscnt 0x900
	v_mul_f64_e32 v[154:155], v[144:145], v[18:19]
	v_mul_f64_e32 v[18:19], v[146:147], v[18:19]
	v_add_f64_e32 v[10:11], 0, v[164:165]
	v_add_f64_e32 v[152:153], 0, v[166:167]
	v_fmac_f64_e32 v[170:171], v[6:7], v[12:13]
	v_fma_f64 v[12:13], v[4:5], v[12:13], -v[14:15]
	v_fmac_f64_e32 v[154:155], v[146:147], v[16:17]
	v_fma_f64 v[16:17], v[144:145], v[16:17], -v[18:19]
	v_add_f64_e32 v[14:15], v[10:11], v[8:9]
	v_add_f64_e32 v[152:153], v[152:153], v[168:169]
	ds_load_b128 v[4:7], v2 offset:1440
	ds_load_b128 v[8:11], v2 offset:1456
	s_wait_loadcnt_dscnt 0x801
	v_mul_f64_e32 v[164:165], v[4:5], v[22:23]
	v_mul_f64_e32 v[22:23], v[6:7], v[22:23]
	s_wait_loadcnt_dscnt 0x700
	v_mul_f64_e32 v[18:19], v[8:9], v[126:127]
	v_mul_f64_e32 v[126:127], v[10:11], v[126:127]
	v_add_f64_e32 v[12:13], v[14:15], v[12:13]
	v_add_f64_e32 v[14:15], v[152:153], v[170:171]
	v_fmac_f64_e32 v[164:165], v[6:7], v[20:21]
	v_fma_f64 v[20:21], v[4:5], v[20:21], -v[22:23]
	v_fmac_f64_e32 v[18:19], v[10:11], v[124:125]
	v_fma_f64 v[8:9], v[8:9], v[124:125], -v[126:127]
	v_add_f64_e32 v[16:17], v[12:13], v[16:17]
	v_add_f64_e32 v[22:23], v[14:15], v[154:155]
	ds_load_b128 v[4:7], v2 offset:1472
	ds_load_b128 v[12:15], v2 offset:1488
	s_wait_loadcnt_dscnt 0x601
	v_mul_f64_e32 v[144:145], v[4:5], v[130:131]
	v_mul_f64_e32 v[130:131], v[6:7], v[130:131]
	v_add_f64_e32 v[10:11], v[16:17], v[20:21]
	v_add_f64_e32 v[16:17], v[22:23], v[164:165]
	s_wait_loadcnt_dscnt 0x500
	v_mul_f64_e32 v[20:21], v[12:13], v[134:135]
	v_mul_f64_e32 v[22:23], v[14:15], v[134:135]
	v_fmac_f64_e32 v[144:145], v[6:7], v[128:129]
	v_fma_f64 v[124:125], v[4:5], v[128:129], -v[130:131]
	v_add_f64_e32 v[126:127], v[10:11], v[8:9]
	v_add_f64_e32 v[16:17], v[16:17], v[18:19]
	ds_load_b128 v[4:7], v2 offset:1504
	ds_load_b128 v[8:11], v2 offset:1520
	v_fmac_f64_e32 v[20:21], v[14:15], v[132:133]
	v_fma_f64 v[12:13], v[12:13], v[132:133], -v[22:23]
	s_wait_loadcnt_dscnt 0x401
	v_mul_f64_e32 v[18:19], v[4:5], v[138:139]
	v_mul_f64_e32 v[128:129], v[6:7], v[138:139]
	s_wait_loadcnt_dscnt 0x300
	v_mul_f64_e32 v[22:23], v[8:9], v[142:143]
	v_add_f64_e32 v[14:15], v[126:127], v[124:125]
	v_add_f64_e32 v[16:17], v[16:17], v[144:145]
	v_mul_f64_e32 v[124:125], v[10:11], v[142:143]
	v_fmac_f64_e32 v[18:19], v[6:7], v[136:137]
	v_fma_f64 v[126:127], v[4:5], v[136:137], -v[128:129]
	v_fmac_f64_e32 v[22:23], v[10:11], v[140:141]
	v_add_f64_e32 v[128:129], v[14:15], v[12:13]
	v_add_f64_e32 v[16:17], v[16:17], v[20:21]
	ds_load_b128 v[4:7], v2 offset:1536
	ds_load_b128 v[12:15], v2 offset:1552
	v_fma_f64 v[8:9], v[8:9], v[140:141], -v[124:125]
	s_wait_loadcnt_dscnt 0x201
	v_mul_f64_e32 v[2:3], v[4:5], v[150:151]
	v_mul_f64_e32 v[20:21], v[6:7], v[150:151]
	s_wait_loadcnt_dscnt 0x0
	v_mul_f64_e32 v[124:125], v[14:15], v[162:163]
	v_add_f64_e32 v[10:11], v[128:129], v[126:127]
	v_add_f64_e32 v[16:17], v[16:17], v[18:19]
	v_mul_f64_e32 v[18:19], v[12:13], v[162:163]
	v_fmac_f64_e32 v[2:3], v[6:7], v[148:149]
	v_fma_f64 v[4:5], v[4:5], v[148:149], -v[20:21]
	v_add_f64_e32 v[6:7], v[10:11], v[8:9]
	v_add_f64_e32 v[8:9], v[16:17], v[22:23]
	v_fmac_f64_e32 v[18:19], v[14:15], v[160:161]
	v_fma_f64 v[10:11], v[12:13], v[160:161], -v[124:125]
	s_delay_alu instid0(VALU_DEP_4) | instskip(NEXT) | instid1(VALU_DEP_4)
	v_add_f64_e32 v[4:5], v[6:7], v[4:5]
	v_add_f64_e32 v[2:3], v[8:9], v[2:3]
	s_delay_alu instid0(VALU_DEP_2) | instskip(NEXT) | instid1(VALU_DEP_2)
	v_add_f64_e32 v[4:5], v[4:5], v[10:11]
	v_add_f64_e32 v[6:7], v[2:3], v[18:19]
	s_delay_alu instid0(VALU_DEP_2) | instskip(NEXT) | instid1(VALU_DEP_2)
	v_add_f64_e64 v[2:3], v[156:157], -v[4:5]
	v_add_f64_e64 v[4:5], v[158:159], -v[6:7]
	scratch_store_b128 off, v[2:5], off offset:576
	s_wait_xcnt 0x0
	v_cmpx_lt_u32_e32 35, v1
	s_cbranch_execz .LBB112_237
; %bb.236:
	scratch_load_b128 v[2:5], off, s29
	v_mov_b32_e32 v6, 0
	s_delay_alu instid0(VALU_DEP_1)
	v_dual_mov_b32 v7, v6 :: v_dual_mov_b32 v8, v6
	v_mov_b32_e32 v9, v6
	scratch_store_b128 off, v[6:9], off offset:560
	s_wait_loadcnt 0x0
	ds_store_b128 v122, v[2:5]
.LBB112_237:
	s_wait_xcnt 0x0
	s_or_b32 exec_lo, exec_lo, s2
	s_wait_storecnt_dscnt 0x0
	s_barrier_signal -1
	s_barrier_wait -1
	s_clause 0x9
	scratch_load_b128 v[4:7], off, off offset:576
	scratch_load_b128 v[8:11], off, off offset:592
	;; [unrolled: 1-line block ×10, first 2 shown]
	v_mov_b32_e32 v2, 0
	s_mov_b32 s2, exec_lo
	ds_load_b128 v[144:147], v2 offset:1360
	s_clause 0x2
	scratch_load_b128 v[148:151], off, off offset:736
	scratch_load_b128 v[152:155], off, off offset:560
	scratch_load_b128 v[160:163], off, off offset:752
	s_wait_loadcnt_dscnt 0xc00
	v_mul_f64_e32 v[164:165], v[146:147], v[6:7]
	v_mul_f64_e32 v[168:169], v[144:145], v[6:7]
	ds_load_b128 v[156:159], v2 offset:1376
	v_fma_f64 v[172:173], v[144:145], v[4:5], -v[164:165]
	v_fmac_f64_e32 v[168:169], v[146:147], v[4:5]
	ds_load_b128 v[4:7], v2 offset:1392
	s_wait_loadcnt_dscnt 0xb01
	v_mul_f64_e32 v[170:171], v[156:157], v[10:11]
	v_mul_f64_e32 v[10:11], v[158:159], v[10:11]
	scratch_load_b128 v[144:147], off, off offset:768
	ds_load_b128 v[164:167], v2 offset:1408
	s_wait_loadcnt_dscnt 0xb01
	v_mul_f64_e32 v[174:175], v[4:5], v[14:15]
	v_mul_f64_e32 v[14:15], v[6:7], v[14:15]
	v_fmac_f64_e32 v[170:171], v[158:159], v[8:9]
	v_fma_f64 v[8:9], v[156:157], v[8:9], -v[10:11]
	v_add_f64_e32 v[10:11], 0, v[172:173]
	v_add_f64_e32 v[156:157], 0, v[168:169]
	s_wait_loadcnt_dscnt 0xa00
	v_mul_f64_e32 v[158:159], v[164:165], v[18:19]
	v_mul_f64_e32 v[18:19], v[166:167], v[18:19]
	v_fmac_f64_e32 v[174:175], v[6:7], v[12:13]
	v_fma_f64 v[12:13], v[4:5], v[12:13], -v[14:15]
	v_add_f64_e32 v[14:15], v[10:11], v[8:9]
	v_add_f64_e32 v[156:157], v[156:157], v[170:171]
	ds_load_b128 v[4:7], v2 offset:1424
	ds_load_b128 v[8:11], v2 offset:1440
	v_fmac_f64_e32 v[158:159], v[166:167], v[16:17]
	v_fma_f64 v[16:17], v[164:165], v[16:17], -v[18:19]
	s_wait_loadcnt_dscnt 0x901
	v_mul_f64_e32 v[168:169], v[4:5], v[22:23]
	v_mul_f64_e32 v[22:23], v[6:7], v[22:23]
	s_wait_loadcnt_dscnt 0x800
	v_mul_f64_e32 v[18:19], v[8:9], v[126:127]
	v_mul_f64_e32 v[126:127], v[10:11], v[126:127]
	v_add_f64_e32 v[12:13], v[14:15], v[12:13]
	v_add_f64_e32 v[14:15], v[156:157], v[174:175]
	v_fmac_f64_e32 v[168:169], v[6:7], v[20:21]
	v_fma_f64 v[20:21], v[4:5], v[20:21], -v[22:23]
	v_fmac_f64_e32 v[18:19], v[10:11], v[124:125]
	v_fma_f64 v[8:9], v[8:9], v[124:125], -v[126:127]
	v_add_f64_e32 v[16:17], v[12:13], v[16:17]
	v_add_f64_e32 v[22:23], v[14:15], v[158:159]
	ds_load_b128 v[4:7], v2 offset:1456
	ds_load_b128 v[12:15], v2 offset:1472
	s_wait_loadcnt_dscnt 0x701
	v_mul_f64_e32 v[156:157], v[4:5], v[130:131]
	v_mul_f64_e32 v[130:131], v[6:7], v[130:131]
	v_add_f64_e32 v[10:11], v[16:17], v[20:21]
	v_add_f64_e32 v[16:17], v[22:23], v[168:169]
	s_wait_loadcnt_dscnt 0x600
	v_mul_f64_e32 v[20:21], v[12:13], v[134:135]
	v_mul_f64_e32 v[22:23], v[14:15], v[134:135]
	v_fmac_f64_e32 v[156:157], v[6:7], v[128:129]
	v_fma_f64 v[124:125], v[4:5], v[128:129], -v[130:131]
	v_add_f64_e32 v[126:127], v[10:11], v[8:9]
	v_add_f64_e32 v[16:17], v[16:17], v[18:19]
	ds_load_b128 v[4:7], v2 offset:1488
	ds_load_b128 v[8:11], v2 offset:1504
	v_fmac_f64_e32 v[20:21], v[14:15], v[132:133]
	v_fma_f64 v[12:13], v[12:13], v[132:133], -v[22:23]
	s_wait_loadcnt_dscnt 0x501
	v_mul_f64_e32 v[18:19], v[4:5], v[138:139]
	v_mul_f64_e32 v[128:129], v[6:7], v[138:139]
	s_wait_loadcnt_dscnt 0x400
	v_mul_f64_e32 v[22:23], v[8:9], v[142:143]
	v_add_f64_e32 v[14:15], v[126:127], v[124:125]
	v_add_f64_e32 v[16:17], v[16:17], v[156:157]
	v_mul_f64_e32 v[124:125], v[10:11], v[142:143]
	v_fmac_f64_e32 v[18:19], v[6:7], v[136:137]
	v_fma_f64 v[126:127], v[4:5], v[136:137], -v[128:129]
	v_fmac_f64_e32 v[22:23], v[10:11], v[140:141]
	v_add_f64_e32 v[128:129], v[14:15], v[12:13]
	v_add_f64_e32 v[16:17], v[16:17], v[20:21]
	ds_load_b128 v[4:7], v2 offset:1520
	ds_load_b128 v[12:15], v2 offset:1536
	v_fma_f64 v[8:9], v[8:9], v[140:141], -v[124:125]
	s_wait_loadcnt_dscnt 0x301
	v_mul_f64_e32 v[20:21], v[4:5], v[150:151]
	v_mul_f64_e32 v[130:131], v[6:7], v[150:151]
	s_wait_loadcnt_dscnt 0x100
	v_mul_f64_e32 v[124:125], v[14:15], v[162:163]
	v_add_f64_e32 v[10:11], v[128:129], v[126:127]
	v_add_f64_e32 v[16:17], v[16:17], v[18:19]
	v_mul_f64_e32 v[18:19], v[12:13], v[162:163]
	v_fmac_f64_e32 v[20:21], v[6:7], v[148:149]
	v_fma_f64 v[126:127], v[4:5], v[148:149], -v[130:131]
	ds_load_b128 v[4:7], v2 offset:1552
	v_fma_f64 v[12:13], v[12:13], v[160:161], -v[124:125]
	v_add_f64_e32 v[8:9], v[10:11], v[8:9]
	v_add_f64_e32 v[10:11], v[16:17], v[22:23]
	v_fmac_f64_e32 v[18:19], v[14:15], v[160:161]
	s_wait_loadcnt_dscnt 0x0
	v_mul_f64_e32 v[16:17], v[4:5], v[146:147]
	v_mul_f64_e32 v[22:23], v[6:7], v[146:147]
	v_add_f64_e32 v[8:9], v[8:9], v[126:127]
	v_add_f64_e32 v[10:11], v[10:11], v[20:21]
	s_delay_alu instid0(VALU_DEP_4) | instskip(NEXT) | instid1(VALU_DEP_4)
	v_fmac_f64_e32 v[16:17], v[6:7], v[144:145]
	v_fma_f64 v[4:5], v[4:5], v[144:145], -v[22:23]
	s_delay_alu instid0(VALU_DEP_4) | instskip(NEXT) | instid1(VALU_DEP_4)
	v_add_f64_e32 v[6:7], v[8:9], v[12:13]
	v_add_f64_e32 v[8:9], v[10:11], v[18:19]
	s_delay_alu instid0(VALU_DEP_2) | instskip(NEXT) | instid1(VALU_DEP_2)
	v_add_f64_e32 v[4:5], v[6:7], v[4:5]
	v_add_f64_e32 v[6:7], v[8:9], v[16:17]
	s_delay_alu instid0(VALU_DEP_2) | instskip(NEXT) | instid1(VALU_DEP_2)
	v_add_f64_e64 v[4:5], v[152:153], -v[4:5]
	v_add_f64_e64 v[6:7], v[154:155], -v[6:7]
	scratch_store_b128 off, v[4:7], off offset:560
	s_wait_xcnt 0x0
	v_cmpx_lt_u32_e32 34, v1
	s_cbranch_execz .LBB112_239
; %bb.238:
	scratch_load_b128 v[6:9], off, s30
	v_dual_mov_b32 v3, v2 :: v_dual_mov_b32 v4, v2
	v_mov_b32_e32 v5, v2
	scratch_store_b128 off, v[2:5], off offset:544
	s_wait_loadcnt 0x0
	ds_store_b128 v122, v[6:9]
.LBB112_239:
	s_wait_xcnt 0x0
	s_or_b32 exec_lo, exec_lo, s2
	s_wait_storecnt_dscnt 0x0
	s_barrier_signal -1
	s_barrier_wait -1
	s_clause 0x9
	scratch_load_b128 v[4:7], off, off offset:560
	scratch_load_b128 v[8:11], off, off offset:576
	;; [unrolled: 1-line block ×10, first 2 shown]
	ds_load_b128 v[144:147], v2 offset:1344
	ds_load_b128 v[152:155], v2 offset:1360
	s_clause 0x2
	scratch_load_b128 v[148:151], off, off offset:720
	scratch_load_b128 v[156:159], off, off offset:544
	;; [unrolled: 1-line block ×3, first 2 shown]
	s_mov_b32 s2, exec_lo
	s_wait_loadcnt_dscnt 0xc01
	v_mul_f64_e32 v[164:165], v[146:147], v[6:7]
	v_mul_f64_e32 v[168:169], v[144:145], v[6:7]
	s_wait_loadcnt_dscnt 0xb00
	v_mul_f64_e32 v[170:171], v[152:153], v[10:11]
	v_mul_f64_e32 v[10:11], v[154:155], v[10:11]
	s_delay_alu instid0(VALU_DEP_4) | instskip(NEXT) | instid1(VALU_DEP_4)
	v_fma_f64 v[172:173], v[144:145], v[4:5], -v[164:165]
	v_fmac_f64_e32 v[168:169], v[146:147], v[4:5]
	ds_load_b128 v[4:7], v2 offset:1376
	ds_load_b128 v[144:147], v2 offset:1392
	scratch_load_b128 v[164:167], off, off offset:752
	v_fmac_f64_e32 v[170:171], v[154:155], v[8:9]
	v_fma_f64 v[152:153], v[152:153], v[8:9], -v[10:11]
	scratch_load_b128 v[8:11], off, off offset:768
	s_wait_loadcnt_dscnt 0xc01
	v_mul_f64_e32 v[174:175], v[4:5], v[14:15]
	v_mul_f64_e32 v[14:15], v[6:7], v[14:15]
	v_add_f64_e32 v[154:155], 0, v[172:173]
	v_add_f64_e32 v[168:169], 0, v[168:169]
	s_wait_loadcnt_dscnt 0xb00
	v_mul_f64_e32 v[172:173], v[144:145], v[18:19]
	v_mul_f64_e32 v[18:19], v[146:147], v[18:19]
	v_fmac_f64_e32 v[174:175], v[6:7], v[12:13]
	v_fma_f64 v[176:177], v[4:5], v[12:13], -v[14:15]
	ds_load_b128 v[4:7], v2 offset:1408
	ds_load_b128 v[12:15], v2 offset:1424
	v_add_f64_e32 v[152:153], v[154:155], v[152:153]
	v_add_f64_e32 v[154:155], v[168:169], v[170:171]
	v_fmac_f64_e32 v[172:173], v[146:147], v[16:17]
	v_fma_f64 v[16:17], v[144:145], v[16:17], -v[18:19]
	s_wait_loadcnt_dscnt 0xa01
	v_mul_f64_e32 v[168:169], v[4:5], v[22:23]
	v_mul_f64_e32 v[22:23], v[6:7], v[22:23]
	s_wait_loadcnt_dscnt 0x900
	v_mul_f64_e32 v[146:147], v[12:13], v[126:127]
	v_mul_f64_e32 v[126:127], v[14:15], v[126:127]
	v_add_f64_e32 v[18:19], v[152:153], v[176:177]
	v_add_f64_e32 v[144:145], v[154:155], v[174:175]
	v_fmac_f64_e32 v[168:169], v[6:7], v[20:21]
	v_fma_f64 v[20:21], v[4:5], v[20:21], -v[22:23]
	v_fmac_f64_e32 v[146:147], v[14:15], v[124:125]
	v_fma_f64 v[12:13], v[12:13], v[124:125], -v[126:127]
	v_add_f64_e32 v[22:23], v[18:19], v[16:17]
	v_add_f64_e32 v[144:145], v[144:145], v[172:173]
	ds_load_b128 v[4:7], v2 offset:1440
	ds_load_b128 v[16:19], v2 offset:1456
	s_wait_loadcnt_dscnt 0x801
	v_mul_f64_e32 v[152:153], v[4:5], v[130:131]
	v_mul_f64_e32 v[130:131], v[6:7], v[130:131]
	s_wait_loadcnt_dscnt 0x700
	v_mul_f64_e32 v[124:125], v[18:19], v[134:135]
	v_add_f64_e32 v[14:15], v[22:23], v[20:21]
	v_add_f64_e32 v[20:21], v[144:145], v[168:169]
	v_mul_f64_e32 v[22:23], v[16:17], v[134:135]
	v_fmac_f64_e32 v[152:153], v[6:7], v[128:129]
	v_fma_f64 v[126:127], v[4:5], v[128:129], -v[130:131]
	v_fma_f64 v[16:17], v[16:17], v[132:133], -v[124:125]
	v_add_f64_e32 v[128:129], v[14:15], v[12:13]
	v_add_f64_e32 v[20:21], v[20:21], v[146:147]
	ds_load_b128 v[4:7], v2 offset:1472
	ds_load_b128 v[12:15], v2 offset:1488
	v_fmac_f64_e32 v[22:23], v[18:19], v[132:133]
	s_wait_loadcnt_dscnt 0x601
	v_mul_f64_e32 v[130:131], v[4:5], v[138:139]
	v_mul_f64_e32 v[134:135], v[6:7], v[138:139]
	s_wait_loadcnt_dscnt 0x500
	v_mul_f64_e32 v[124:125], v[12:13], v[142:143]
	v_add_f64_e32 v[18:19], v[128:129], v[126:127]
	v_add_f64_e32 v[20:21], v[20:21], v[152:153]
	v_mul_f64_e32 v[126:127], v[14:15], v[142:143]
	v_fmac_f64_e32 v[130:131], v[6:7], v[136:137]
	v_fma_f64 v[128:129], v[4:5], v[136:137], -v[134:135]
	v_fmac_f64_e32 v[124:125], v[14:15], v[140:141]
	v_add_f64_e32 v[132:133], v[18:19], v[16:17]
	v_add_f64_e32 v[20:21], v[20:21], v[22:23]
	ds_load_b128 v[4:7], v2 offset:1504
	ds_load_b128 v[16:19], v2 offset:1520
	v_fma_f64 v[12:13], v[12:13], v[140:141], -v[126:127]
	s_wait_loadcnt_dscnt 0x401
	v_mul_f64_e32 v[22:23], v[4:5], v[150:151]
	v_mul_f64_e32 v[134:135], v[6:7], v[150:151]
	s_wait_loadcnt_dscnt 0x200
	v_mul_f64_e32 v[126:127], v[16:17], v[162:163]
	v_add_f64_e32 v[14:15], v[132:133], v[128:129]
	v_add_f64_e32 v[20:21], v[20:21], v[130:131]
	v_mul_f64_e32 v[128:129], v[18:19], v[162:163]
	v_fmac_f64_e32 v[22:23], v[6:7], v[148:149]
	v_fma_f64 v[130:131], v[4:5], v[148:149], -v[134:135]
	v_fmac_f64_e32 v[126:127], v[18:19], v[160:161]
	v_add_f64_e32 v[132:133], v[14:15], v[12:13]
	v_add_f64_e32 v[20:21], v[20:21], v[124:125]
	ds_load_b128 v[4:7], v2 offset:1536
	ds_load_b128 v[12:15], v2 offset:1552
	v_fma_f64 v[16:17], v[16:17], v[160:161], -v[128:129]
	s_wait_loadcnt_dscnt 0x101
	v_mul_f64_e32 v[2:3], v[4:5], v[166:167]
	v_mul_f64_e32 v[124:125], v[6:7], v[166:167]
	v_add_f64_e32 v[18:19], v[132:133], v[130:131]
	v_add_f64_e32 v[20:21], v[20:21], v[22:23]
	s_wait_loadcnt_dscnt 0x0
	v_mul_f64_e32 v[22:23], v[12:13], v[10:11]
	v_mul_f64_e32 v[10:11], v[14:15], v[10:11]
	v_fmac_f64_e32 v[2:3], v[6:7], v[164:165]
	v_fma_f64 v[4:5], v[4:5], v[164:165], -v[124:125]
	v_add_f64_e32 v[6:7], v[18:19], v[16:17]
	v_add_f64_e32 v[16:17], v[20:21], v[126:127]
	v_fmac_f64_e32 v[22:23], v[14:15], v[8:9]
	v_fma_f64 v[8:9], v[12:13], v[8:9], -v[10:11]
	s_delay_alu instid0(VALU_DEP_4) | instskip(NEXT) | instid1(VALU_DEP_4)
	v_add_f64_e32 v[4:5], v[6:7], v[4:5]
	v_add_f64_e32 v[2:3], v[16:17], v[2:3]
	s_delay_alu instid0(VALU_DEP_2) | instskip(NEXT) | instid1(VALU_DEP_2)
	v_add_f64_e32 v[4:5], v[4:5], v[8:9]
	v_add_f64_e32 v[6:7], v[2:3], v[22:23]
	s_delay_alu instid0(VALU_DEP_2) | instskip(NEXT) | instid1(VALU_DEP_2)
	v_add_f64_e64 v[2:3], v[156:157], -v[4:5]
	v_add_f64_e64 v[4:5], v[158:159], -v[6:7]
	scratch_store_b128 off, v[2:5], off offset:544
	s_wait_xcnt 0x0
	v_cmpx_lt_u32_e32 33, v1
	s_cbranch_execz .LBB112_241
; %bb.240:
	scratch_load_b128 v[2:5], off, s31
	v_mov_b32_e32 v6, 0
	s_delay_alu instid0(VALU_DEP_1)
	v_dual_mov_b32 v7, v6 :: v_dual_mov_b32 v8, v6
	v_mov_b32_e32 v9, v6
	scratch_store_b128 off, v[6:9], off offset:528
	s_wait_loadcnt 0x0
	ds_store_b128 v122, v[2:5]
.LBB112_241:
	s_wait_xcnt 0x0
	s_or_b32 exec_lo, exec_lo, s2
	s_wait_storecnt_dscnt 0x0
	s_barrier_signal -1
	s_barrier_wait -1
	s_clause 0x9
	scratch_load_b128 v[4:7], off, off offset:544
	scratch_load_b128 v[8:11], off, off offset:560
	;; [unrolled: 1-line block ×10, first 2 shown]
	v_mov_b32_e32 v2, 0
	s_mov_b32 s2, exec_lo
	ds_load_b128 v[144:147], v2 offset:1328
	s_clause 0x2
	scratch_load_b128 v[148:151], off, off offset:704
	scratch_load_b128 v[152:155], off, off offset:528
	;; [unrolled: 1-line block ×3, first 2 shown]
	s_wait_loadcnt_dscnt 0xc00
	v_mul_f64_e32 v[164:165], v[146:147], v[6:7]
	v_mul_f64_e32 v[168:169], v[144:145], v[6:7]
	ds_load_b128 v[156:159], v2 offset:1344
	v_fma_f64 v[172:173], v[144:145], v[4:5], -v[164:165]
	v_fmac_f64_e32 v[168:169], v[146:147], v[4:5]
	ds_load_b128 v[4:7], v2 offset:1360
	s_wait_loadcnt_dscnt 0xb01
	v_mul_f64_e32 v[170:171], v[156:157], v[10:11]
	v_mul_f64_e32 v[10:11], v[158:159], v[10:11]
	scratch_load_b128 v[144:147], off, off offset:736
	ds_load_b128 v[164:167], v2 offset:1376
	s_wait_loadcnt_dscnt 0xb01
	v_mul_f64_e32 v[174:175], v[4:5], v[14:15]
	v_mul_f64_e32 v[14:15], v[6:7], v[14:15]
	v_add_f64_e32 v[168:169], 0, v[168:169]
	v_fmac_f64_e32 v[170:171], v[158:159], v[8:9]
	v_fma_f64 v[156:157], v[156:157], v[8:9], -v[10:11]
	v_add_f64_e32 v[158:159], 0, v[172:173]
	scratch_load_b128 v[8:11], off, off offset:752
	v_fmac_f64_e32 v[174:175], v[6:7], v[12:13]
	v_fma_f64 v[176:177], v[4:5], v[12:13], -v[14:15]
	ds_load_b128 v[4:7], v2 offset:1392
	s_wait_loadcnt_dscnt 0xb01
	v_mul_f64_e32 v[172:173], v[164:165], v[18:19]
	v_mul_f64_e32 v[18:19], v[166:167], v[18:19]
	scratch_load_b128 v[12:15], off, off offset:768
	v_add_f64_e32 v[168:169], v[168:169], v[170:171]
	v_add_f64_e32 v[178:179], v[158:159], v[156:157]
	ds_load_b128 v[156:159], v2 offset:1408
	s_wait_loadcnt_dscnt 0xb01
	v_mul_f64_e32 v[170:171], v[4:5], v[22:23]
	v_mul_f64_e32 v[22:23], v[6:7], v[22:23]
	v_fmac_f64_e32 v[172:173], v[166:167], v[16:17]
	v_fma_f64 v[16:17], v[164:165], v[16:17], -v[18:19]
	s_wait_loadcnt_dscnt 0xa00
	v_mul_f64_e32 v[166:167], v[156:157], v[126:127]
	v_mul_f64_e32 v[126:127], v[158:159], v[126:127]
	v_add_f64_e32 v[164:165], v[168:169], v[174:175]
	v_add_f64_e32 v[18:19], v[178:179], v[176:177]
	v_fmac_f64_e32 v[170:171], v[6:7], v[20:21]
	v_fma_f64 v[20:21], v[4:5], v[20:21], -v[22:23]
	v_fmac_f64_e32 v[166:167], v[158:159], v[124:125]
	v_fma_f64 v[124:125], v[156:157], v[124:125], -v[126:127]
	v_add_f64_e32 v[164:165], v[164:165], v[172:173]
	v_add_f64_e32 v[22:23], v[18:19], v[16:17]
	ds_load_b128 v[4:7], v2 offset:1424
	ds_load_b128 v[16:19], v2 offset:1440
	s_wait_loadcnt_dscnt 0x901
	v_mul_f64_e32 v[168:169], v[4:5], v[130:131]
	v_mul_f64_e32 v[130:131], v[6:7], v[130:131]
	s_wait_loadcnt_dscnt 0x800
	v_mul_f64_e32 v[126:127], v[16:17], v[134:135]
	v_mul_f64_e32 v[134:135], v[18:19], v[134:135]
	v_add_f64_e32 v[20:21], v[22:23], v[20:21]
	v_add_f64_e32 v[22:23], v[164:165], v[170:171]
	v_fmac_f64_e32 v[168:169], v[6:7], v[128:129]
	v_fma_f64 v[128:129], v[4:5], v[128:129], -v[130:131]
	v_fmac_f64_e32 v[126:127], v[18:19], v[132:133]
	v_fma_f64 v[16:17], v[16:17], v[132:133], -v[134:135]
	v_add_f64_e32 v[124:125], v[20:21], v[124:125]
	v_add_f64_e32 v[130:131], v[22:23], v[166:167]
	ds_load_b128 v[4:7], v2 offset:1456
	ds_load_b128 v[20:23], v2 offset:1472
	s_wait_loadcnt_dscnt 0x701
	v_mul_f64_e32 v[156:157], v[4:5], v[138:139]
	v_mul_f64_e32 v[138:139], v[6:7], v[138:139]
	v_add_f64_e32 v[18:19], v[124:125], v[128:129]
	v_add_f64_e32 v[124:125], v[130:131], v[168:169]
	s_wait_loadcnt_dscnt 0x600
	v_mul_f64_e32 v[128:129], v[20:21], v[142:143]
	v_mul_f64_e32 v[130:131], v[22:23], v[142:143]
	v_fmac_f64_e32 v[156:157], v[6:7], v[136:137]
	v_fma_f64 v[132:133], v[4:5], v[136:137], -v[138:139]
	v_add_f64_e32 v[134:135], v[18:19], v[16:17]
	v_add_f64_e32 v[124:125], v[124:125], v[126:127]
	ds_load_b128 v[4:7], v2 offset:1488
	ds_load_b128 v[16:19], v2 offset:1504
	v_fmac_f64_e32 v[128:129], v[22:23], v[140:141]
	v_fma_f64 v[20:21], v[20:21], v[140:141], -v[130:131]
	s_wait_loadcnt_dscnt 0x501
	v_mul_f64_e32 v[126:127], v[4:5], v[150:151]
	v_mul_f64_e32 v[136:137], v[6:7], v[150:151]
	s_wait_loadcnt_dscnt 0x300
	v_mul_f64_e32 v[130:131], v[16:17], v[162:163]
	v_add_f64_e32 v[22:23], v[134:135], v[132:133]
	v_add_f64_e32 v[124:125], v[124:125], v[156:157]
	v_mul_f64_e32 v[132:133], v[18:19], v[162:163]
	v_fmac_f64_e32 v[126:127], v[6:7], v[148:149]
	v_fma_f64 v[134:135], v[4:5], v[148:149], -v[136:137]
	v_fmac_f64_e32 v[130:131], v[18:19], v[160:161]
	v_add_f64_e32 v[136:137], v[22:23], v[20:21]
	v_add_f64_e32 v[124:125], v[124:125], v[128:129]
	ds_load_b128 v[4:7], v2 offset:1520
	ds_load_b128 v[20:23], v2 offset:1536
	v_fma_f64 v[16:17], v[16:17], v[160:161], -v[132:133]
	s_wait_loadcnt_dscnt 0x201
	v_mul_f64_e32 v[128:129], v[4:5], v[146:147]
	v_mul_f64_e32 v[138:139], v[6:7], v[146:147]
	v_add_f64_e32 v[18:19], v[136:137], v[134:135]
	v_add_f64_e32 v[124:125], v[124:125], v[126:127]
	s_wait_loadcnt_dscnt 0x100
	v_mul_f64_e32 v[126:127], v[20:21], v[10:11]
	v_mul_f64_e32 v[10:11], v[22:23], v[10:11]
	v_fmac_f64_e32 v[128:129], v[6:7], v[144:145]
	v_fma_f64 v[132:133], v[4:5], v[144:145], -v[138:139]
	ds_load_b128 v[4:7], v2 offset:1552
	v_add_f64_e32 v[16:17], v[18:19], v[16:17]
	v_add_f64_e32 v[18:19], v[124:125], v[130:131]
	v_fmac_f64_e32 v[126:127], v[22:23], v[8:9]
	v_fma_f64 v[8:9], v[20:21], v[8:9], -v[10:11]
	s_wait_loadcnt_dscnt 0x0
	v_mul_f64_e32 v[124:125], v[4:5], v[14:15]
	v_mul_f64_e32 v[14:15], v[6:7], v[14:15]
	v_add_f64_e32 v[10:11], v[16:17], v[132:133]
	v_add_f64_e32 v[16:17], v[18:19], v[128:129]
	s_delay_alu instid0(VALU_DEP_4) | instskip(NEXT) | instid1(VALU_DEP_4)
	v_fmac_f64_e32 v[124:125], v[6:7], v[12:13]
	v_fma_f64 v[4:5], v[4:5], v[12:13], -v[14:15]
	s_delay_alu instid0(VALU_DEP_4) | instskip(NEXT) | instid1(VALU_DEP_4)
	v_add_f64_e32 v[6:7], v[10:11], v[8:9]
	v_add_f64_e32 v[8:9], v[16:17], v[126:127]
	s_delay_alu instid0(VALU_DEP_2) | instskip(NEXT) | instid1(VALU_DEP_2)
	v_add_f64_e32 v[4:5], v[6:7], v[4:5]
	v_add_f64_e32 v[6:7], v[8:9], v[124:125]
	s_delay_alu instid0(VALU_DEP_2) | instskip(NEXT) | instid1(VALU_DEP_2)
	v_add_f64_e64 v[4:5], v[152:153], -v[4:5]
	v_add_f64_e64 v[6:7], v[154:155], -v[6:7]
	scratch_store_b128 off, v[4:7], off offset:528
	s_wait_xcnt 0x0
	v_cmpx_lt_u32_e32 32, v1
	s_cbranch_execz .LBB112_243
; %bb.242:
	scratch_load_b128 v[6:9], off, s33
	v_dual_mov_b32 v3, v2 :: v_dual_mov_b32 v4, v2
	v_mov_b32_e32 v5, v2
	scratch_store_b128 off, v[2:5], off offset:512
	s_wait_loadcnt 0x0
	ds_store_b128 v122, v[6:9]
.LBB112_243:
	s_wait_xcnt 0x0
	s_or_b32 exec_lo, exec_lo, s2
	s_wait_storecnt_dscnt 0x0
	s_barrier_signal -1
	s_barrier_wait -1
	s_clause 0x9
	scratch_load_b128 v[4:7], off, off offset:528
	scratch_load_b128 v[8:11], off, off offset:544
	;; [unrolled: 1-line block ×10, first 2 shown]
	ds_load_b128 v[144:147], v2 offset:1312
	ds_load_b128 v[152:155], v2 offset:1328
	s_clause 0x2
	scratch_load_b128 v[148:151], off, off offset:688
	scratch_load_b128 v[156:159], off, off offset:512
	;; [unrolled: 1-line block ×3, first 2 shown]
	s_mov_b32 s2, exec_lo
	s_wait_loadcnt_dscnt 0xc01
	v_mul_f64_e32 v[164:165], v[146:147], v[6:7]
	v_mul_f64_e32 v[168:169], v[144:145], v[6:7]
	s_wait_loadcnt_dscnt 0xb00
	v_mul_f64_e32 v[170:171], v[152:153], v[10:11]
	v_mul_f64_e32 v[10:11], v[154:155], v[10:11]
	s_delay_alu instid0(VALU_DEP_4) | instskip(NEXT) | instid1(VALU_DEP_4)
	v_fma_f64 v[172:173], v[144:145], v[4:5], -v[164:165]
	v_fmac_f64_e32 v[168:169], v[146:147], v[4:5]
	ds_load_b128 v[4:7], v2 offset:1344
	ds_load_b128 v[144:147], v2 offset:1360
	scratch_load_b128 v[164:167], off, off offset:720
	v_fmac_f64_e32 v[170:171], v[154:155], v[8:9]
	v_fma_f64 v[152:153], v[152:153], v[8:9], -v[10:11]
	scratch_load_b128 v[8:11], off, off offset:736
	s_wait_loadcnt_dscnt 0xc01
	v_mul_f64_e32 v[174:175], v[4:5], v[14:15]
	v_mul_f64_e32 v[14:15], v[6:7], v[14:15]
	v_add_f64_e32 v[154:155], 0, v[172:173]
	v_add_f64_e32 v[168:169], 0, v[168:169]
	s_wait_loadcnt_dscnt 0xb00
	v_mul_f64_e32 v[172:173], v[144:145], v[18:19]
	v_mul_f64_e32 v[18:19], v[146:147], v[18:19]
	v_fmac_f64_e32 v[174:175], v[6:7], v[12:13]
	v_fma_f64 v[176:177], v[4:5], v[12:13], -v[14:15]
	ds_load_b128 v[4:7], v2 offset:1376
	ds_load_b128 v[12:15], v2 offset:1392
	v_add_f64_e32 v[178:179], v[154:155], v[152:153]
	v_add_f64_e32 v[168:169], v[168:169], v[170:171]
	scratch_load_b128 v[152:155], off, off offset:752
	v_fmac_f64_e32 v[172:173], v[146:147], v[16:17]
	v_fma_f64 v[144:145], v[144:145], v[16:17], -v[18:19]
	scratch_load_b128 v[16:19], off, off offset:768
	s_wait_loadcnt_dscnt 0xc01
	v_mul_f64_e32 v[170:171], v[4:5], v[22:23]
	v_mul_f64_e32 v[22:23], v[6:7], v[22:23]
	v_add_f64_e32 v[146:147], v[178:179], v[176:177]
	v_add_f64_e32 v[168:169], v[168:169], v[174:175]
	s_wait_loadcnt_dscnt 0xb00
	v_mul_f64_e32 v[174:175], v[12:13], v[126:127]
	v_mul_f64_e32 v[126:127], v[14:15], v[126:127]
	v_fmac_f64_e32 v[170:171], v[6:7], v[20:21]
	v_fma_f64 v[176:177], v[4:5], v[20:21], -v[22:23]
	ds_load_b128 v[4:7], v2 offset:1408
	ds_load_b128 v[20:23], v2 offset:1424
	v_add_f64_e32 v[144:145], v[146:147], v[144:145]
	v_add_f64_e32 v[146:147], v[168:169], v[172:173]
	s_wait_loadcnt_dscnt 0xa01
	v_mul_f64_e32 v[168:169], v[4:5], v[130:131]
	v_mul_f64_e32 v[130:131], v[6:7], v[130:131]
	v_fmac_f64_e32 v[174:175], v[14:15], v[124:125]
	v_fma_f64 v[12:13], v[12:13], v[124:125], -v[126:127]
	s_wait_loadcnt_dscnt 0x900
	v_mul_f64_e32 v[126:127], v[20:21], v[134:135]
	v_mul_f64_e32 v[134:135], v[22:23], v[134:135]
	v_add_f64_e32 v[14:15], v[144:145], v[176:177]
	v_add_f64_e32 v[124:125], v[146:147], v[170:171]
	v_fmac_f64_e32 v[168:169], v[6:7], v[128:129]
	v_fma_f64 v[128:129], v[4:5], v[128:129], -v[130:131]
	v_fmac_f64_e32 v[126:127], v[22:23], v[132:133]
	v_fma_f64 v[20:21], v[20:21], v[132:133], -v[134:135]
	v_add_f64_e32 v[130:131], v[14:15], v[12:13]
	v_add_f64_e32 v[124:125], v[124:125], v[174:175]
	ds_load_b128 v[4:7], v2 offset:1440
	ds_load_b128 v[12:15], v2 offset:1456
	s_wait_loadcnt_dscnt 0x801
	v_mul_f64_e32 v[144:145], v[4:5], v[138:139]
	v_mul_f64_e32 v[138:139], v[6:7], v[138:139]
	v_add_f64_e32 v[22:23], v[130:131], v[128:129]
	v_add_f64_e32 v[124:125], v[124:125], v[168:169]
	s_wait_loadcnt_dscnt 0x700
	v_mul_f64_e32 v[128:129], v[12:13], v[142:143]
	v_mul_f64_e32 v[130:131], v[14:15], v[142:143]
	v_fmac_f64_e32 v[144:145], v[6:7], v[136:137]
	v_fma_f64 v[132:133], v[4:5], v[136:137], -v[138:139]
	v_add_f64_e32 v[134:135], v[22:23], v[20:21]
	v_add_f64_e32 v[124:125], v[124:125], v[126:127]
	ds_load_b128 v[4:7], v2 offset:1472
	ds_load_b128 v[20:23], v2 offset:1488
	v_fmac_f64_e32 v[128:129], v[14:15], v[140:141]
	v_fma_f64 v[12:13], v[12:13], v[140:141], -v[130:131]
	s_wait_loadcnt_dscnt 0x601
	v_mul_f64_e32 v[126:127], v[4:5], v[150:151]
	v_mul_f64_e32 v[136:137], v[6:7], v[150:151]
	s_wait_loadcnt_dscnt 0x400
	v_mul_f64_e32 v[130:131], v[20:21], v[162:163]
	v_add_f64_e32 v[14:15], v[134:135], v[132:133]
	v_add_f64_e32 v[124:125], v[124:125], v[144:145]
	v_mul_f64_e32 v[132:133], v[22:23], v[162:163]
	v_fmac_f64_e32 v[126:127], v[6:7], v[148:149]
	v_fma_f64 v[134:135], v[4:5], v[148:149], -v[136:137]
	v_fmac_f64_e32 v[130:131], v[22:23], v[160:161]
	v_add_f64_e32 v[136:137], v[14:15], v[12:13]
	v_add_f64_e32 v[124:125], v[124:125], v[128:129]
	ds_load_b128 v[4:7], v2 offset:1504
	ds_load_b128 v[12:15], v2 offset:1520
	v_fma_f64 v[20:21], v[20:21], v[160:161], -v[132:133]
	s_wait_loadcnt_dscnt 0x301
	v_mul_f64_e32 v[128:129], v[4:5], v[166:167]
	v_mul_f64_e32 v[138:139], v[6:7], v[166:167]
	v_add_f64_e32 v[22:23], v[136:137], v[134:135]
	v_add_f64_e32 v[124:125], v[124:125], v[126:127]
	s_wait_loadcnt_dscnt 0x200
	v_mul_f64_e32 v[126:127], v[12:13], v[10:11]
	v_mul_f64_e32 v[10:11], v[14:15], v[10:11]
	v_fmac_f64_e32 v[128:129], v[6:7], v[164:165]
	v_fma_f64 v[132:133], v[4:5], v[164:165], -v[138:139]
	v_add_f64_e32 v[134:135], v[22:23], v[20:21]
	v_add_f64_e32 v[124:125], v[124:125], v[130:131]
	ds_load_b128 v[4:7], v2 offset:1536
	ds_load_b128 v[20:23], v2 offset:1552
	v_fmac_f64_e32 v[126:127], v[14:15], v[8:9]
	v_fma_f64 v[8:9], v[12:13], v[8:9], -v[10:11]
	s_wait_loadcnt_dscnt 0x101
	v_mul_f64_e32 v[2:3], v[4:5], v[154:155]
	v_mul_f64_e32 v[130:131], v[6:7], v[154:155]
	s_wait_loadcnt_dscnt 0x0
	v_mul_f64_e32 v[14:15], v[20:21], v[18:19]
	v_mul_f64_e32 v[18:19], v[22:23], v[18:19]
	v_add_f64_e32 v[10:11], v[134:135], v[132:133]
	v_add_f64_e32 v[12:13], v[124:125], v[128:129]
	v_fmac_f64_e32 v[2:3], v[6:7], v[152:153]
	v_fma_f64 v[4:5], v[4:5], v[152:153], -v[130:131]
	v_fmac_f64_e32 v[14:15], v[22:23], v[16:17]
	v_add_f64_e32 v[6:7], v[10:11], v[8:9]
	v_add_f64_e32 v[8:9], v[12:13], v[126:127]
	v_fma_f64 v[10:11], v[20:21], v[16:17], -v[18:19]
	s_delay_alu instid0(VALU_DEP_3) | instskip(NEXT) | instid1(VALU_DEP_3)
	v_add_f64_e32 v[4:5], v[6:7], v[4:5]
	v_add_f64_e32 v[2:3], v[8:9], v[2:3]
	s_delay_alu instid0(VALU_DEP_2) | instskip(NEXT) | instid1(VALU_DEP_2)
	v_add_f64_e32 v[4:5], v[4:5], v[10:11]
	v_add_f64_e32 v[6:7], v[2:3], v[14:15]
	s_delay_alu instid0(VALU_DEP_2) | instskip(NEXT) | instid1(VALU_DEP_2)
	v_add_f64_e64 v[2:3], v[156:157], -v[4:5]
	v_add_f64_e64 v[4:5], v[158:159], -v[6:7]
	scratch_store_b128 off, v[2:5], off offset:512
	s_wait_xcnt 0x0
	v_cmpx_lt_u32_e32 31, v1
	s_cbranch_execz .LBB112_245
; %bb.244:
	scratch_load_b128 v[2:5], off, s34
	v_mov_b32_e32 v6, 0
	s_delay_alu instid0(VALU_DEP_1)
	v_dual_mov_b32 v7, v6 :: v_dual_mov_b32 v8, v6
	v_mov_b32_e32 v9, v6
	scratch_store_b128 off, v[6:9], off offset:496
	s_wait_loadcnt 0x0
	ds_store_b128 v122, v[2:5]
.LBB112_245:
	s_wait_xcnt 0x0
	s_or_b32 exec_lo, exec_lo, s2
	s_wait_storecnt_dscnt 0x0
	s_barrier_signal -1
	s_barrier_wait -1
	s_clause 0x9
	scratch_load_b128 v[4:7], off, off offset:512
	scratch_load_b128 v[8:11], off, off offset:528
	;; [unrolled: 1-line block ×10, first 2 shown]
	v_mov_b32_e32 v2, 0
	s_mov_b32 s2, exec_lo
	ds_load_b128 v[144:147], v2 offset:1296
	s_clause 0x2
	scratch_load_b128 v[148:151], off, off offset:672
	scratch_load_b128 v[152:155], off, off offset:496
	;; [unrolled: 1-line block ×3, first 2 shown]
	s_wait_loadcnt_dscnt 0xc00
	v_mul_f64_e32 v[164:165], v[146:147], v[6:7]
	v_mul_f64_e32 v[168:169], v[144:145], v[6:7]
	ds_load_b128 v[156:159], v2 offset:1312
	v_fma_f64 v[172:173], v[144:145], v[4:5], -v[164:165]
	v_fmac_f64_e32 v[168:169], v[146:147], v[4:5]
	ds_load_b128 v[4:7], v2 offset:1328
	s_wait_loadcnt_dscnt 0xb01
	v_mul_f64_e32 v[170:171], v[156:157], v[10:11]
	v_mul_f64_e32 v[10:11], v[158:159], v[10:11]
	scratch_load_b128 v[144:147], off, off offset:704
	ds_load_b128 v[164:167], v2 offset:1344
	s_wait_loadcnt_dscnt 0xb01
	v_mul_f64_e32 v[174:175], v[4:5], v[14:15]
	v_mul_f64_e32 v[14:15], v[6:7], v[14:15]
	v_add_f64_e32 v[168:169], 0, v[168:169]
	v_fmac_f64_e32 v[170:171], v[158:159], v[8:9]
	v_fma_f64 v[156:157], v[156:157], v[8:9], -v[10:11]
	v_add_f64_e32 v[158:159], 0, v[172:173]
	scratch_load_b128 v[8:11], off, off offset:720
	v_fmac_f64_e32 v[174:175], v[6:7], v[12:13]
	v_fma_f64 v[176:177], v[4:5], v[12:13], -v[14:15]
	ds_load_b128 v[4:7], v2 offset:1360
	s_wait_loadcnt_dscnt 0xb01
	v_mul_f64_e32 v[172:173], v[164:165], v[18:19]
	v_mul_f64_e32 v[18:19], v[166:167], v[18:19]
	scratch_load_b128 v[12:15], off, off offset:736
	v_add_f64_e32 v[168:169], v[168:169], v[170:171]
	v_add_f64_e32 v[178:179], v[158:159], v[156:157]
	ds_load_b128 v[156:159], v2 offset:1376
	s_wait_loadcnt_dscnt 0xb01
	v_mul_f64_e32 v[170:171], v[4:5], v[22:23]
	v_mul_f64_e32 v[22:23], v[6:7], v[22:23]
	v_fmac_f64_e32 v[172:173], v[166:167], v[16:17]
	v_fma_f64 v[164:165], v[164:165], v[16:17], -v[18:19]
	scratch_load_b128 v[16:19], off, off offset:752
	v_add_f64_e32 v[168:169], v[168:169], v[174:175]
	v_add_f64_e32 v[166:167], v[178:179], v[176:177]
	v_fmac_f64_e32 v[170:171], v[6:7], v[20:21]
	v_fma_f64 v[176:177], v[4:5], v[20:21], -v[22:23]
	ds_load_b128 v[4:7], v2 offset:1392
	s_wait_loadcnt_dscnt 0xb01
	v_mul_f64_e32 v[174:175], v[156:157], v[126:127]
	v_mul_f64_e32 v[126:127], v[158:159], v[126:127]
	scratch_load_b128 v[20:23], off, off offset:768
	v_add_f64_e32 v[168:169], v[168:169], v[172:173]
	s_wait_loadcnt_dscnt 0xb00
	v_mul_f64_e32 v[172:173], v[4:5], v[130:131]
	v_add_f64_e32 v[178:179], v[166:167], v[164:165]
	v_mul_f64_e32 v[130:131], v[6:7], v[130:131]
	ds_load_b128 v[164:167], v2 offset:1408
	v_fmac_f64_e32 v[174:175], v[158:159], v[124:125]
	v_fma_f64 v[124:125], v[156:157], v[124:125], -v[126:127]
	s_wait_loadcnt_dscnt 0xa00
	v_mul_f64_e32 v[158:159], v[164:165], v[134:135]
	v_mul_f64_e32 v[134:135], v[166:167], v[134:135]
	v_add_f64_e32 v[156:157], v[168:169], v[170:171]
	v_fmac_f64_e32 v[172:173], v[6:7], v[128:129]
	v_add_f64_e32 v[126:127], v[178:179], v[176:177]
	v_fma_f64 v[128:129], v[4:5], v[128:129], -v[130:131]
	v_fmac_f64_e32 v[158:159], v[166:167], v[132:133]
	v_fma_f64 v[132:133], v[164:165], v[132:133], -v[134:135]
	v_add_f64_e32 v[156:157], v[156:157], v[174:175]
	v_add_f64_e32 v[130:131], v[126:127], v[124:125]
	ds_load_b128 v[4:7], v2 offset:1424
	ds_load_b128 v[124:127], v2 offset:1440
	s_wait_loadcnt_dscnt 0x901
	v_mul_f64_e32 v[168:169], v[4:5], v[138:139]
	v_mul_f64_e32 v[138:139], v[6:7], v[138:139]
	s_wait_loadcnt_dscnt 0x800
	v_mul_f64_e32 v[134:135], v[124:125], v[142:143]
	v_mul_f64_e32 v[142:143], v[126:127], v[142:143]
	v_add_f64_e32 v[128:129], v[130:131], v[128:129]
	v_add_f64_e32 v[130:131], v[156:157], v[172:173]
	v_fmac_f64_e32 v[168:169], v[6:7], v[136:137]
	v_fma_f64 v[136:137], v[4:5], v[136:137], -v[138:139]
	v_fmac_f64_e32 v[134:135], v[126:127], v[140:141]
	v_fma_f64 v[124:125], v[124:125], v[140:141], -v[142:143]
	v_add_f64_e32 v[132:133], v[128:129], v[132:133]
	v_add_f64_e32 v[138:139], v[130:131], v[158:159]
	ds_load_b128 v[4:7], v2 offset:1456
	ds_load_b128 v[128:131], v2 offset:1472
	s_wait_loadcnt_dscnt 0x701
	v_mul_f64_e32 v[156:157], v[4:5], v[150:151]
	v_mul_f64_e32 v[150:151], v[6:7], v[150:151]
	v_add_f64_e32 v[126:127], v[132:133], v[136:137]
	v_add_f64_e32 v[132:133], v[138:139], v[168:169]
	s_wait_loadcnt_dscnt 0x500
	v_mul_f64_e32 v[136:137], v[128:129], v[162:163]
	v_mul_f64_e32 v[138:139], v[130:131], v[162:163]
	v_fmac_f64_e32 v[156:157], v[6:7], v[148:149]
	v_fma_f64 v[140:141], v[4:5], v[148:149], -v[150:151]
	v_add_f64_e32 v[142:143], v[126:127], v[124:125]
	v_add_f64_e32 v[132:133], v[132:133], v[134:135]
	ds_load_b128 v[4:7], v2 offset:1488
	ds_load_b128 v[124:127], v2 offset:1504
	v_fmac_f64_e32 v[136:137], v[130:131], v[160:161]
	v_fma_f64 v[128:129], v[128:129], v[160:161], -v[138:139]
	s_wait_loadcnt_dscnt 0x401
	v_mul_f64_e32 v[134:135], v[4:5], v[146:147]
	v_mul_f64_e32 v[146:147], v[6:7], v[146:147]
	v_add_f64_e32 v[130:131], v[142:143], v[140:141]
	v_add_f64_e32 v[132:133], v[132:133], v[156:157]
	s_wait_loadcnt_dscnt 0x300
	v_mul_f64_e32 v[138:139], v[124:125], v[10:11]
	v_mul_f64_e32 v[10:11], v[126:127], v[10:11]
	v_fmac_f64_e32 v[134:135], v[6:7], v[144:145]
	v_fma_f64 v[140:141], v[4:5], v[144:145], -v[146:147]
	v_add_f64_e32 v[142:143], v[130:131], v[128:129]
	v_add_f64_e32 v[132:133], v[132:133], v[136:137]
	ds_load_b128 v[4:7], v2 offset:1520
	ds_load_b128 v[128:131], v2 offset:1536
	v_fmac_f64_e32 v[138:139], v[126:127], v[8:9]
	v_fma_f64 v[8:9], v[124:125], v[8:9], -v[10:11]
	s_wait_loadcnt_dscnt 0x201
	v_mul_f64_e32 v[136:137], v[4:5], v[14:15]
	v_mul_f64_e32 v[14:15], v[6:7], v[14:15]
	s_wait_loadcnt_dscnt 0x100
	v_mul_f64_e32 v[126:127], v[128:129], v[18:19]
	v_mul_f64_e32 v[18:19], v[130:131], v[18:19]
	v_add_f64_e32 v[10:11], v[142:143], v[140:141]
	v_add_f64_e32 v[124:125], v[132:133], v[134:135]
	v_fmac_f64_e32 v[136:137], v[6:7], v[12:13]
	v_fma_f64 v[12:13], v[4:5], v[12:13], -v[14:15]
	ds_load_b128 v[4:7], v2 offset:1552
	v_fmac_f64_e32 v[126:127], v[130:131], v[16:17]
	v_fma_f64 v[16:17], v[128:129], v[16:17], -v[18:19]
	v_add_f64_e32 v[8:9], v[10:11], v[8:9]
	v_add_f64_e32 v[10:11], v[124:125], v[138:139]
	s_wait_loadcnt_dscnt 0x0
	v_mul_f64_e32 v[14:15], v[4:5], v[22:23]
	v_mul_f64_e32 v[22:23], v[6:7], v[22:23]
	s_delay_alu instid0(VALU_DEP_4) | instskip(NEXT) | instid1(VALU_DEP_4)
	v_add_f64_e32 v[8:9], v[8:9], v[12:13]
	v_add_f64_e32 v[10:11], v[10:11], v[136:137]
	s_delay_alu instid0(VALU_DEP_4) | instskip(NEXT) | instid1(VALU_DEP_4)
	v_fmac_f64_e32 v[14:15], v[6:7], v[20:21]
	v_fma_f64 v[4:5], v[4:5], v[20:21], -v[22:23]
	s_delay_alu instid0(VALU_DEP_4) | instskip(NEXT) | instid1(VALU_DEP_4)
	v_add_f64_e32 v[6:7], v[8:9], v[16:17]
	v_add_f64_e32 v[8:9], v[10:11], v[126:127]
	s_delay_alu instid0(VALU_DEP_2) | instskip(NEXT) | instid1(VALU_DEP_2)
	v_add_f64_e32 v[4:5], v[6:7], v[4:5]
	v_add_f64_e32 v[6:7], v[8:9], v[14:15]
	s_delay_alu instid0(VALU_DEP_2) | instskip(NEXT) | instid1(VALU_DEP_2)
	v_add_f64_e64 v[4:5], v[152:153], -v[4:5]
	v_add_f64_e64 v[6:7], v[154:155], -v[6:7]
	scratch_store_b128 off, v[4:7], off offset:496
	s_wait_xcnt 0x0
	v_cmpx_lt_u32_e32 30, v1
	s_cbranch_execz .LBB112_247
; %bb.246:
	scratch_load_b128 v[6:9], off, s35
	v_dual_mov_b32 v3, v2 :: v_dual_mov_b32 v4, v2
	v_mov_b32_e32 v5, v2
	scratch_store_b128 off, v[2:5], off offset:480
	s_wait_loadcnt 0x0
	ds_store_b128 v122, v[6:9]
.LBB112_247:
	s_wait_xcnt 0x0
	s_or_b32 exec_lo, exec_lo, s2
	s_wait_storecnt_dscnt 0x0
	s_barrier_signal -1
	s_barrier_wait -1
	s_clause 0x9
	scratch_load_b128 v[4:7], off, off offset:496
	scratch_load_b128 v[8:11], off, off offset:512
	;; [unrolled: 1-line block ×10, first 2 shown]
	ds_load_b128 v[144:147], v2 offset:1280
	ds_load_b128 v[152:155], v2 offset:1296
	s_clause 0x2
	scratch_load_b128 v[148:151], off, off offset:656
	scratch_load_b128 v[156:159], off, off offset:480
	;; [unrolled: 1-line block ×3, first 2 shown]
	s_mov_b32 s2, exec_lo
	s_wait_loadcnt_dscnt 0xc01
	v_mul_f64_e32 v[164:165], v[146:147], v[6:7]
	v_mul_f64_e32 v[168:169], v[144:145], v[6:7]
	s_wait_loadcnt_dscnt 0xb00
	v_mul_f64_e32 v[170:171], v[152:153], v[10:11]
	v_mul_f64_e32 v[10:11], v[154:155], v[10:11]
	s_delay_alu instid0(VALU_DEP_4) | instskip(NEXT) | instid1(VALU_DEP_4)
	v_fma_f64 v[172:173], v[144:145], v[4:5], -v[164:165]
	v_fmac_f64_e32 v[168:169], v[146:147], v[4:5]
	ds_load_b128 v[4:7], v2 offset:1312
	ds_load_b128 v[144:147], v2 offset:1328
	scratch_load_b128 v[164:167], off, off offset:688
	v_fmac_f64_e32 v[170:171], v[154:155], v[8:9]
	v_fma_f64 v[152:153], v[152:153], v[8:9], -v[10:11]
	scratch_load_b128 v[8:11], off, off offset:704
	s_wait_loadcnt_dscnt 0xc01
	v_mul_f64_e32 v[174:175], v[4:5], v[14:15]
	v_mul_f64_e32 v[14:15], v[6:7], v[14:15]
	v_add_f64_e32 v[154:155], 0, v[172:173]
	v_add_f64_e32 v[168:169], 0, v[168:169]
	s_wait_loadcnt_dscnt 0xb00
	v_mul_f64_e32 v[172:173], v[144:145], v[18:19]
	v_mul_f64_e32 v[18:19], v[146:147], v[18:19]
	v_fmac_f64_e32 v[174:175], v[6:7], v[12:13]
	v_fma_f64 v[176:177], v[4:5], v[12:13], -v[14:15]
	ds_load_b128 v[4:7], v2 offset:1344
	ds_load_b128 v[12:15], v2 offset:1360
	v_add_f64_e32 v[178:179], v[154:155], v[152:153]
	v_add_f64_e32 v[168:169], v[168:169], v[170:171]
	scratch_load_b128 v[152:155], off, off offset:720
	v_fmac_f64_e32 v[172:173], v[146:147], v[16:17]
	v_fma_f64 v[144:145], v[144:145], v[16:17], -v[18:19]
	scratch_load_b128 v[16:19], off, off offset:736
	s_wait_loadcnt_dscnt 0xc01
	v_mul_f64_e32 v[170:171], v[4:5], v[22:23]
	v_mul_f64_e32 v[22:23], v[6:7], v[22:23]
	v_add_f64_e32 v[146:147], v[178:179], v[176:177]
	v_add_f64_e32 v[168:169], v[168:169], v[174:175]
	s_wait_loadcnt_dscnt 0xb00
	v_mul_f64_e32 v[174:175], v[12:13], v[126:127]
	v_mul_f64_e32 v[126:127], v[14:15], v[126:127]
	v_fmac_f64_e32 v[170:171], v[6:7], v[20:21]
	v_fma_f64 v[176:177], v[4:5], v[20:21], -v[22:23]
	ds_load_b128 v[4:7], v2 offset:1376
	ds_load_b128 v[20:23], v2 offset:1392
	v_add_f64_e32 v[178:179], v[146:147], v[144:145]
	v_add_f64_e32 v[168:169], v[168:169], v[172:173]
	scratch_load_b128 v[144:147], off, off offset:752
	s_wait_loadcnt_dscnt 0xb01
	v_mul_f64_e32 v[172:173], v[4:5], v[130:131]
	v_mul_f64_e32 v[130:131], v[6:7], v[130:131]
	v_fmac_f64_e32 v[174:175], v[14:15], v[124:125]
	v_fma_f64 v[124:125], v[12:13], v[124:125], -v[126:127]
	scratch_load_b128 v[12:15], off, off offset:768
	v_add_f64_e32 v[126:127], v[178:179], v[176:177]
	v_add_f64_e32 v[168:169], v[168:169], v[170:171]
	s_wait_loadcnt_dscnt 0xb00
	v_mul_f64_e32 v[170:171], v[20:21], v[134:135]
	v_mul_f64_e32 v[134:135], v[22:23], v[134:135]
	v_fmac_f64_e32 v[172:173], v[6:7], v[128:129]
	v_fma_f64 v[128:129], v[4:5], v[128:129], -v[130:131]
	v_add_f64_e32 v[130:131], v[126:127], v[124:125]
	v_add_f64_e32 v[168:169], v[168:169], v[174:175]
	ds_load_b128 v[4:7], v2 offset:1408
	ds_load_b128 v[124:127], v2 offset:1424
	v_fmac_f64_e32 v[170:171], v[22:23], v[132:133]
	v_fma_f64 v[20:21], v[20:21], v[132:133], -v[134:135]
	s_wait_loadcnt_dscnt 0xa01
	v_mul_f64_e32 v[174:175], v[4:5], v[138:139]
	v_mul_f64_e32 v[138:139], v[6:7], v[138:139]
	s_wait_loadcnt_dscnt 0x900
	v_mul_f64_e32 v[132:133], v[126:127], v[142:143]
	v_add_f64_e32 v[22:23], v[130:131], v[128:129]
	v_add_f64_e32 v[128:129], v[168:169], v[172:173]
	v_mul_f64_e32 v[130:131], v[124:125], v[142:143]
	v_fmac_f64_e32 v[174:175], v[6:7], v[136:137]
	v_fma_f64 v[134:135], v[4:5], v[136:137], -v[138:139]
	v_fma_f64 v[124:125], v[124:125], v[140:141], -v[132:133]
	v_add_f64_e32 v[136:137], v[22:23], v[20:21]
	v_add_f64_e32 v[128:129], v[128:129], v[170:171]
	ds_load_b128 v[4:7], v2 offset:1440
	ds_load_b128 v[20:23], v2 offset:1456
	v_fmac_f64_e32 v[130:131], v[126:127], v[140:141]
	s_wait_loadcnt_dscnt 0x801
	v_mul_f64_e32 v[138:139], v[4:5], v[150:151]
	v_mul_f64_e32 v[142:143], v[6:7], v[150:151]
	s_wait_loadcnt_dscnt 0x600
	v_mul_f64_e32 v[132:133], v[20:21], v[162:163]
	v_add_f64_e32 v[126:127], v[136:137], v[134:135]
	v_add_f64_e32 v[128:129], v[128:129], v[174:175]
	v_mul_f64_e32 v[134:135], v[22:23], v[162:163]
	v_fmac_f64_e32 v[138:139], v[6:7], v[148:149]
	v_fma_f64 v[136:137], v[4:5], v[148:149], -v[142:143]
	v_fmac_f64_e32 v[132:133], v[22:23], v[160:161]
	v_add_f64_e32 v[140:141], v[126:127], v[124:125]
	v_add_f64_e32 v[128:129], v[128:129], v[130:131]
	ds_load_b128 v[4:7], v2 offset:1472
	ds_load_b128 v[124:127], v2 offset:1488
	v_fma_f64 v[20:21], v[20:21], v[160:161], -v[134:135]
	s_wait_loadcnt_dscnt 0x501
	v_mul_f64_e32 v[130:131], v[4:5], v[166:167]
	v_mul_f64_e32 v[142:143], v[6:7], v[166:167]
	s_wait_loadcnt_dscnt 0x400
	v_mul_f64_e32 v[134:135], v[124:125], v[10:11]
	v_mul_f64_e32 v[10:11], v[126:127], v[10:11]
	v_add_f64_e32 v[22:23], v[140:141], v[136:137]
	v_add_f64_e32 v[128:129], v[128:129], v[138:139]
	v_fmac_f64_e32 v[130:131], v[6:7], v[164:165]
	v_fma_f64 v[136:137], v[4:5], v[164:165], -v[142:143]
	v_fmac_f64_e32 v[134:135], v[126:127], v[8:9]
	v_fma_f64 v[8:9], v[124:125], v[8:9], -v[10:11]
	v_add_f64_e32 v[138:139], v[22:23], v[20:21]
	v_add_f64_e32 v[128:129], v[128:129], v[132:133]
	ds_load_b128 v[4:7], v2 offset:1504
	ds_load_b128 v[20:23], v2 offset:1520
	s_wait_loadcnt_dscnt 0x301
	v_mul_f64_e32 v[132:133], v[4:5], v[154:155]
	v_mul_f64_e32 v[140:141], v[6:7], v[154:155]
	s_wait_loadcnt_dscnt 0x200
	v_mul_f64_e32 v[126:127], v[20:21], v[18:19]
	v_mul_f64_e32 v[18:19], v[22:23], v[18:19]
	v_add_f64_e32 v[10:11], v[138:139], v[136:137]
	v_add_f64_e32 v[124:125], v[128:129], v[130:131]
	v_fmac_f64_e32 v[132:133], v[6:7], v[152:153]
	v_fma_f64 v[128:129], v[4:5], v[152:153], -v[140:141]
	v_fmac_f64_e32 v[126:127], v[22:23], v[16:17]
	v_fma_f64 v[16:17], v[20:21], v[16:17], -v[18:19]
	v_add_f64_e32 v[130:131], v[10:11], v[8:9]
	v_add_f64_e32 v[124:125], v[124:125], v[134:135]
	ds_load_b128 v[4:7], v2 offset:1536
	ds_load_b128 v[8:11], v2 offset:1552
	s_wait_loadcnt_dscnt 0x101
	v_mul_f64_e32 v[2:3], v[4:5], v[146:147]
	v_mul_f64_e32 v[134:135], v[6:7], v[146:147]
	s_wait_loadcnt_dscnt 0x0
	v_mul_f64_e32 v[22:23], v[8:9], v[14:15]
	v_mul_f64_e32 v[14:15], v[10:11], v[14:15]
	v_add_f64_e32 v[18:19], v[130:131], v[128:129]
	v_add_f64_e32 v[20:21], v[124:125], v[132:133]
	v_fmac_f64_e32 v[2:3], v[6:7], v[144:145]
	v_fma_f64 v[4:5], v[4:5], v[144:145], -v[134:135]
	v_fmac_f64_e32 v[22:23], v[10:11], v[12:13]
	v_fma_f64 v[8:9], v[8:9], v[12:13], -v[14:15]
	v_add_f64_e32 v[6:7], v[18:19], v[16:17]
	v_add_f64_e32 v[16:17], v[20:21], v[126:127]
	s_delay_alu instid0(VALU_DEP_2) | instskip(NEXT) | instid1(VALU_DEP_2)
	v_add_f64_e32 v[4:5], v[6:7], v[4:5]
	v_add_f64_e32 v[2:3], v[16:17], v[2:3]
	s_delay_alu instid0(VALU_DEP_2) | instskip(NEXT) | instid1(VALU_DEP_2)
	;; [unrolled: 3-line block ×3, first 2 shown]
	v_add_f64_e64 v[2:3], v[156:157], -v[4:5]
	v_add_f64_e64 v[4:5], v[158:159], -v[6:7]
	scratch_store_b128 off, v[2:5], off offset:480
	s_wait_xcnt 0x0
	v_cmpx_lt_u32_e32 29, v1
	s_cbranch_execz .LBB112_249
; %bb.248:
	scratch_load_b128 v[2:5], off, s36
	v_mov_b32_e32 v6, 0
	s_delay_alu instid0(VALU_DEP_1)
	v_dual_mov_b32 v7, v6 :: v_dual_mov_b32 v8, v6
	v_mov_b32_e32 v9, v6
	scratch_store_b128 off, v[6:9], off offset:464
	s_wait_loadcnt 0x0
	ds_store_b128 v122, v[2:5]
.LBB112_249:
	s_wait_xcnt 0x0
	s_or_b32 exec_lo, exec_lo, s2
	s_wait_storecnt_dscnt 0x0
	s_barrier_signal -1
	s_barrier_wait -1
	s_clause 0x9
	scratch_load_b128 v[4:7], off, off offset:480
	scratch_load_b128 v[8:11], off, off offset:496
	;; [unrolled: 1-line block ×10, first 2 shown]
	v_mov_b32_e32 v2, 0
	s_mov_b32 s2, exec_lo
	ds_load_b128 v[144:147], v2 offset:1264
	s_clause 0x2
	scratch_load_b128 v[148:151], off, off offset:640
	scratch_load_b128 v[152:155], off, off offset:464
	;; [unrolled: 1-line block ×3, first 2 shown]
	s_wait_loadcnt_dscnt 0xc00
	v_mul_f64_e32 v[164:165], v[146:147], v[6:7]
	v_mul_f64_e32 v[168:169], v[144:145], v[6:7]
	ds_load_b128 v[156:159], v2 offset:1280
	v_fma_f64 v[172:173], v[144:145], v[4:5], -v[164:165]
	v_fmac_f64_e32 v[168:169], v[146:147], v[4:5]
	ds_load_b128 v[4:7], v2 offset:1296
	s_wait_loadcnt_dscnt 0xb01
	v_mul_f64_e32 v[170:171], v[156:157], v[10:11]
	v_mul_f64_e32 v[10:11], v[158:159], v[10:11]
	scratch_load_b128 v[144:147], off, off offset:672
	ds_load_b128 v[164:167], v2 offset:1312
	s_wait_loadcnt_dscnt 0xb01
	v_mul_f64_e32 v[174:175], v[4:5], v[14:15]
	v_mul_f64_e32 v[14:15], v[6:7], v[14:15]
	v_add_f64_e32 v[168:169], 0, v[168:169]
	v_fmac_f64_e32 v[170:171], v[158:159], v[8:9]
	v_fma_f64 v[156:157], v[156:157], v[8:9], -v[10:11]
	v_add_f64_e32 v[158:159], 0, v[172:173]
	scratch_load_b128 v[8:11], off, off offset:688
	v_fmac_f64_e32 v[174:175], v[6:7], v[12:13]
	v_fma_f64 v[176:177], v[4:5], v[12:13], -v[14:15]
	ds_load_b128 v[4:7], v2 offset:1328
	s_wait_loadcnt_dscnt 0xb01
	v_mul_f64_e32 v[172:173], v[164:165], v[18:19]
	v_mul_f64_e32 v[18:19], v[166:167], v[18:19]
	scratch_load_b128 v[12:15], off, off offset:704
	v_add_f64_e32 v[168:169], v[168:169], v[170:171]
	v_add_f64_e32 v[178:179], v[158:159], v[156:157]
	ds_load_b128 v[156:159], v2 offset:1344
	s_wait_loadcnt_dscnt 0xb01
	v_mul_f64_e32 v[170:171], v[4:5], v[22:23]
	v_mul_f64_e32 v[22:23], v[6:7], v[22:23]
	v_fmac_f64_e32 v[172:173], v[166:167], v[16:17]
	v_fma_f64 v[164:165], v[164:165], v[16:17], -v[18:19]
	scratch_load_b128 v[16:19], off, off offset:720
	v_add_f64_e32 v[168:169], v[168:169], v[174:175]
	v_add_f64_e32 v[166:167], v[178:179], v[176:177]
	v_fmac_f64_e32 v[170:171], v[6:7], v[20:21]
	v_fma_f64 v[176:177], v[4:5], v[20:21], -v[22:23]
	ds_load_b128 v[4:7], v2 offset:1360
	s_wait_loadcnt_dscnt 0xb01
	v_mul_f64_e32 v[174:175], v[156:157], v[126:127]
	v_mul_f64_e32 v[126:127], v[158:159], v[126:127]
	scratch_load_b128 v[20:23], off, off offset:736
	v_add_f64_e32 v[168:169], v[168:169], v[172:173]
	s_wait_loadcnt_dscnt 0xb00
	v_mul_f64_e32 v[172:173], v[4:5], v[130:131]
	v_add_f64_e32 v[178:179], v[166:167], v[164:165]
	v_mul_f64_e32 v[130:131], v[6:7], v[130:131]
	ds_load_b128 v[164:167], v2 offset:1376
	v_fmac_f64_e32 v[174:175], v[158:159], v[124:125]
	v_fma_f64 v[156:157], v[156:157], v[124:125], -v[126:127]
	scratch_load_b128 v[124:127], off, off offset:752
	v_add_f64_e32 v[168:169], v[168:169], v[170:171]
	v_fmac_f64_e32 v[172:173], v[6:7], v[128:129]
	v_add_f64_e32 v[158:159], v[178:179], v[176:177]
	v_fma_f64 v[176:177], v[4:5], v[128:129], -v[130:131]
	ds_load_b128 v[4:7], v2 offset:1392
	s_wait_loadcnt_dscnt 0xb01
	v_mul_f64_e32 v[170:171], v[164:165], v[134:135]
	v_mul_f64_e32 v[134:135], v[166:167], v[134:135]
	scratch_load_b128 v[128:131], off, off offset:768
	v_add_f64_e32 v[168:169], v[168:169], v[174:175]
	s_wait_loadcnt_dscnt 0xb00
	v_mul_f64_e32 v[174:175], v[4:5], v[138:139]
	v_add_f64_e32 v[178:179], v[158:159], v[156:157]
	v_mul_f64_e32 v[138:139], v[6:7], v[138:139]
	ds_load_b128 v[156:159], v2 offset:1408
	v_fmac_f64_e32 v[170:171], v[166:167], v[132:133]
	v_fma_f64 v[132:133], v[164:165], v[132:133], -v[134:135]
	s_wait_loadcnt_dscnt 0xa00
	v_mul_f64_e32 v[166:167], v[156:157], v[142:143]
	v_mul_f64_e32 v[142:143], v[158:159], v[142:143]
	v_add_f64_e32 v[164:165], v[168:169], v[172:173]
	v_fmac_f64_e32 v[174:175], v[6:7], v[136:137]
	v_add_f64_e32 v[134:135], v[178:179], v[176:177]
	v_fma_f64 v[136:137], v[4:5], v[136:137], -v[138:139]
	v_fmac_f64_e32 v[166:167], v[158:159], v[140:141]
	v_fma_f64 v[140:141], v[156:157], v[140:141], -v[142:143]
	v_add_f64_e32 v[164:165], v[164:165], v[170:171]
	v_add_f64_e32 v[138:139], v[134:135], v[132:133]
	ds_load_b128 v[4:7], v2 offset:1424
	ds_load_b128 v[132:135], v2 offset:1440
	s_wait_loadcnt_dscnt 0x901
	v_mul_f64_e32 v[168:169], v[4:5], v[150:151]
	v_mul_f64_e32 v[150:151], v[6:7], v[150:151]
	s_wait_loadcnt_dscnt 0x700
	v_mul_f64_e32 v[142:143], v[132:133], v[162:163]
	v_mul_f64_e32 v[156:157], v[134:135], v[162:163]
	v_add_f64_e32 v[136:137], v[138:139], v[136:137]
	v_add_f64_e32 v[138:139], v[164:165], v[174:175]
	v_fmac_f64_e32 v[168:169], v[6:7], v[148:149]
	v_fma_f64 v[148:149], v[4:5], v[148:149], -v[150:151]
	v_fmac_f64_e32 v[142:143], v[134:135], v[160:161]
	v_fma_f64 v[132:133], v[132:133], v[160:161], -v[156:157]
	v_add_f64_e32 v[140:141], v[136:137], v[140:141]
	v_add_f64_e32 v[150:151], v[138:139], v[166:167]
	ds_load_b128 v[4:7], v2 offset:1456
	ds_load_b128 v[136:139], v2 offset:1472
	s_wait_loadcnt_dscnt 0x601
	v_mul_f64_e32 v[158:159], v[4:5], v[146:147]
	v_mul_f64_e32 v[146:147], v[6:7], v[146:147]
	v_add_f64_e32 v[134:135], v[140:141], v[148:149]
	v_add_f64_e32 v[140:141], v[150:151], v[168:169]
	s_wait_loadcnt_dscnt 0x500
	v_mul_f64_e32 v[148:149], v[136:137], v[10:11]
	v_mul_f64_e32 v[10:11], v[138:139], v[10:11]
	v_fmac_f64_e32 v[158:159], v[6:7], v[144:145]
	v_fma_f64 v[144:145], v[4:5], v[144:145], -v[146:147]
	v_add_f64_e32 v[146:147], v[134:135], v[132:133]
	v_add_f64_e32 v[140:141], v[140:141], v[142:143]
	ds_load_b128 v[4:7], v2 offset:1488
	ds_load_b128 v[132:135], v2 offset:1504
	v_fmac_f64_e32 v[148:149], v[138:139], v[8:9]
	v_fma_f64 v[8:9], v[136:137], v[8:9], -v[10:11]
	s_wait_loadcnt_dscnt 0x401
	v_mul_f64_e32 v[142:143], v[4:5], v[14:15]
	v_mul_f64_e32 v[14:15], v[6:7], v[14:15]
	s_wait_loadcnt_dscnt 0x300
	v_mul_f64_e32 v[138:139], v[132:133], v[18:19]
	v_mul_f64_e32 v[18:19], v[134:135], v[18:19]
	v_add_f64_e32 v[10:11], v[146:147], v[144:145]
	v_add_f64_e32 v[136:137], v[140:141], v[158:159]
	v_fmac_f64_e32 v[142:143], v[6:7], v[12:13]
	v_fma_f64 v[12:13], v[4:5], v[12:13], -v[14:15]
	v_fmac_f64_e32 v[138:139], v[134:135], v[16:17]
	v_fma_f64 v[16:17], v[132:133], v[16:17], -v[18:19]
	v_add_f64_e32 v[14:15], v[10:11], v[8:9]
	v_add_f64_e32 v[136:137], v[136:137], v[148:149]
	ds_load_b128 v[4:7], v2 offset:1520
	ds_load_b128 v[8:11], v2 offset:1536
	s_wait_loadcnt_dscnt 0x201
	v_mul_f64_e32 v[140:141], v[4:5], v[22:23]
	v_mul_f64_e32 v[22:23], v[6:7], v[22:23]
	s_wait_loadcnt_dscnt 0x100
	v_mul_f64_e32 v[18:19], v[8:9], v[126:127]
	v_mul_f64_e32 v[126:127], v[10:11], v[126:127]
	v_add_f64_e32 v[12:13], v[14:15], v[12:13]
	v_add_f64_e32 v[14:15], v[136:137], v[142:143]
	v_fmac_f64_e32 v[140:141], v[6:7], v[20:21]
	v_fma_f64 v[20:21], v[4:5], v[20:21], -v[22:23]
	ds_load_b128 v[4:7], v2 offset:1552
	v_fmac_f64_e32 v[18:19], v[10:11], v[124:125]
	v_fma_f64 v[8:9], v[8:9], v[124:125], -v[126:127]
	v_add_f64_e32 v[12:13], v[12:13], v[16:17]
	v_add_f64_e32 v[14:15], v[14:15], v[138:139]
	s_wait_loadcnt_dscnt 0x0
	v_mul_f64_e32 v[16:17], v[4:5], v[130:131]
	v_mul_f64_e32 v[22:23], v[6:7], v[130:131]
	s_delay_alu instid0(VALU_DEP_4) | instskip(NEXT) | instid1(VALU_DEP_4)
	v_add_f64_e32 v[10:11], v[12:13], v[20:21]
	v_add_f64_e32 v[12:13], v[14:15], v[140:141]
	s_delay_alu instid0(VALU_DEP_4) | instskip(NEXT) | instid1(VALU_DEP_4)
	v_fmac_f64_e32 v[16:17], v[6:7], v[128:129]
	v_fma_f64 v[4:5], v[4:5], v[128:129], -v[22:23]
	s_delay_alu instid0(VALU_DEP_4) | instskip(NEXT) | instid1(VALU_DEP_4)
	v_add_f64_e32 v[6:7], v[10:11], v[8:9]
	v_add_f64_e32 v[8:9], v[12:13], v[18:19]
	s_delay_alu instid0(VALU_DEP_2) | instskip(NEXT) | instid1(VALU_DEP_2)
	v_add_f64_e32 v[4:5], v[6:7], v[4:5]
	v_add_f64_e32 v[6:7], v[8:9], v[16:17]
	s_delay_alu instid0(VALU_DEP_2) | instskip(NEXT) | instid1(VALU_DEP_2)
	v_add_f64_e64 v[4:5], v[152:153], -v[4:5]
	v_add_f64_e64 v[6:7], v[154:155], -v[6:7]
	scratch_store_b128 off, v[4:7], off offset:464
	s_wait_xcnt 0x0
	v_cmpx_lt_u32_e32 28, v1
	s_cbranch_execz .LBB112_251
; %bb.250:
	scratch_load_b128 v[6:9], off, s37
	v_dual_mov_b32 v3, v2 :: v_dual_mov_b32 v4, v2
	v_mov_b32_e32 v5, v2
	scratch_store_b128 off, v[2:5], off offset:448
	s_wait_loadcnt 0x0
	ds_store_b128 v122, v[6:9]
.LBB112_251:
	s_wait_xcnt 0x0
	s_or_b32 exec_lo, exec_lo, s2
	s_wait_storecnt_dscnt 0x0
	s_barrier_signal -1
	s_barrier_wait -1
	s_clause 0x9
	scratch_load_b128 v[4:7], off, off offset:464
	scratch_load_b128 v[8:11], off, off offset:480
	;; [unrolled: 1-line block ×10, first 2 shown]
	ds_load_b128 v[144:147], v2 offset:1248
	ds_load_b128 v[152:155], v2 offset:1264
	s_clause 0x2
	scratch_load_b128 v[148:151], off, off offset:624
	scratch_load_b128 v[156:159], off, off offset:448
	;; [unrolled: 1-line block ×3, first 2 shown]
	s_mov_b32 s2, exec_lo
	s_wait_loadcnt_dscnt 0xc01
	v_mul_f64_e32 v[164:165], v[146:147], v[6:7]
	v_mul_f64_e32 v[168:169], v[144:145], v[6:7]
	s_wait_loadcnt_dscnt 0xb00
	v_mul_f64_e32 v[170:171], v[152:153], v[10:11]
	v_mul_f64_e32 v[10:11], v[154:155], v[10:11]
	s_delay_alu instid0(VALU_DEP_4) | instskip(NEXT) | instid1(VALU_DEP_4)
	v_fma_f64 v[172:173], v[144:145], v[4:5], -v[164:165]
	v_fmac_f64_e32 v[168:169], v[146:147], v[4:5]
	ds_load_b128 v[4:7], v2 offset:1280
	ds_load_b128 v[144:147], v2 offset:1296
	scratch_load_b128 v[164:167], off, off offset:656
	v_fmac_f64_e32 v[170:171], v[154:155], v[8:9]
	v_fma_f64 v[152:153], v[152:153], v[8:9], -v[10:11]
	scratch_load_b128 v[8:11], off, off offset:672
	s_wait_loadcnt_dscnt 0xc01
	v_mul_f64_e32 v[174:175], v[4:5], v[14:15]
	v_mul_f64_e32 v[14:15], v[6:7], v[14:15]
	v_add_f64_e32 v[154:155], 0, v[172:173]
	v_add_f64_e32 v[168:169], 0, v[168:169]
	s_wait_loadcnt_dscnt 0xb00
	v_mul_f64_e32 v[172:173], v[144:145], v[18:19]
	v_mul_f64_e32 v[18:19], v[146:147], v[18:19]
	v_fmac_f64_e32 v[174:175], v[6:7], v[12:13]
	v_fma_f64 v[176:177], v[4:5], v[12:13], -v[14:15]
	ds_load_b128 v[4:7], v2 offset:1312
	ds_load_b128 v[12:15], v2 offset:1328
	v_add_f64_e32 v[178:179], v[154:155], v[152:153]
	v_add_f64_e32 v[168:169], v[168:169], v[170:171]
	scratch_load_b128 v[152:155], off, off offset:688
	v_fmac_f64_e32 v[172:173], v[146:147], v[16:17]
	v_fma_f64 v[144:145], v[144:145], v[16:17], -v[18:19]
	scratch_load_b128 v[16:19], off, off offset:704
	s_wait_loadcnt_dscnt 0xc01
	v_mul_f64_e32 v[170:171], v[4:5], v[22:23]
	v_mul_f64_e32 v[22:23], v[6:7], v[22:23]
	v_add_f64_e32 v[146:147], v[178:179], v[176:177]
	v_add_f64_e32 v[168:169], v[168:169], v[174:175]
	s_wait_loadcnt_dscnt 0xb00
	v_mul_f64_e32 v[174:175], v[12:13], v[126:127]
	v_mul_f64_e32 v[126:127], v[14:15], v[126:127]
	v_fmac_f64_e32 v[170:171], v[6:7], v[20:21]
	v_fma_f64 v[176:177], v[4:5], v[20:21], -v[22:23]
	ds_load_b128 v[4:7], v2 offset:1344
	ds_load_b128 v[20:23], v2 offset:1360
	v_add_f64_e32 v[178:179], v[146:147], v[144:145]
	v_add_f64_e32 v[168:169], v[168:169], v[172:173]
	scratch_load_b128 v[144:147], off, off offset:720
	s_wait_loadcnt_dscnt 0xb01
	v_mul_f64_e32 v[172:173], v[4:5], v[130:131]
	v_mul_f64_e32 v[130:131], v[6:7], v[130:131]
	v_fmac_f64_e32 v[174:175], v[14:15], v[124:125]
	v_fma_f64 v[124:125], v[12:13], v[124:125], -v[126:127]
	scratch_load_b128 v[12:15], off, off offset:736
	v_add_f64_e32 v[126:127], v[178:179], v[176:177]
	v_add_f64_e32 v[168:169], v[168:169], v[170:171]
	s_wait_loadcnt_dscnt 0xb00
	v_mul_f64_e32 v[170:171], v[20:21], v[134:135]
	v_mul_f64_e32 v[134:135], v[22:23], v[134:135]
	v_fmac_f64_e32 v[172:173], v[6:7], v[128:129]
	v_fma_f64 v[176:177], v[4:5], v[128:129], -v[130:131]
	v_add_f64_e32 v[178:179], v[126:127], v[124:125]
	v_add_f64_e32 v[168:169], v[168:169], v[174:175]
	ds_load_b128 v[4:7], v2 offset:1376
	ds_load_b128 v[124:127], v2 offset:1392
	scratch_load_b128 v[128:131], off, off offset:752
	v_fmac_f64_e32 v[170:171], v[22:23], v[132:133]
	v_fma_f64 v[132:133], v[20:21], v[132:133], -v[134:135]
	scratch_load_b128 v[20:23], off, off offset:768
	s_wait_loadcnt_dscnt 0xc01
	v_mul_f64_e32 v[174:175], v[4:5], v[138:139]
	v_mul_f64_e32 v[138:139], v[6:7], v[138:139]
	v_add_f64_e32 v[134:135], v[178:179], v[176:177]
	v_add_f64_e32 v[168:169], v[168:169], v[172:173]
	s_wait_loadcnt_dscnt 0xb00
	v_mul_f64_e32 v[172:173], v[124:125], v[142:143]
	v_mul_f64_e32 v[142:143], v[126:127], v[142:143]
	v_fmac_f64_e32 v[174:175], v[6:7], v[136:137]
	v_fma_f64 v[136:137], v[4:5], v[136:137], -v[138:139]
	v_add_f64_e32 v[138:139], v[134:135], v[132:133]
	v_add_f64_e32 v[168:169], v[168:169], v[170:171]
	ds_load_b128 v[4:7], v2 offset:1408
	ds_load_b128 v[132:135], v2 offset:1424
	v_fmac_f64_e32 v[172:173], v[126:127], v[140:141]
	v_fma_f64 v[124:125], v[124:125], v[140:141], -v[142:143]
	s_wait_loadcnt_dscnt 0xa01
	v_mul_f64_e32 v[170:171], v[4:5], v[150:151]
	v_mul_f64_e32 v[150:151], v[6:7], v[150:151]
	s_wait_loadcnt_dscnt 0x800
	v_mul_f64_e32 v[140:141], v[134:135], v[162:163]
	v_add_f64_e32 v[126:127], v[138:139], v[136:137]
	v_add_f64_e32 v[136:137], v[168:169], v[174:175]
	v_mul_f64_e32 v[138:139], v[132:133], v[162:163]
	v_fmac_f64_e32 v[170:171], v[6:7], v[148:149]
	v_fma_f64 v[142:143], v[4:5], v[148:149], -v[150:151]
	v_fma_f64 v[132:133], v[132:133], v[160:161], -v[140:141]
	v_add_f64_e32 v[148:149], v[126:127], v[124:125]
	v_add_f64_e32 v[136:137], v[136:137], v[172:173]
	ds_load_b128 v[4:7], v2 offset:1440
	ds_load_b128 v[124:127], v2 offset:1456
	v_fmac_f64_e32 v[138:139], v[134:135], v[160:161]
	s_wait_loadcnt_dscnt 0x701
	v_mul_f64_e32 v[150:151], v[4:5], v[166:167]
	v_mul_f64_e32 v[162:163], v[6:7], v[166:167]
	s_wait_loadcnt_dscnt 0x600
	v_mul_f64_e32 v[140:141], v[124:125], v[10:11]
	v_mul_f64_e32 v[10:11], v[126:127], v[10:11]
	v_add_f64_e32 v[134:135], v[148:149], v[142:143]
	v_add_f64_e32 v[136:137], v[136:137], v[170:171]
	v_fmac_f64_e32 v[150:151], v[6:7], v[164:165]
	v_fma_f64 v[142:143], v[4:5], v[164:165], -v[162:163]
	v_fmac_f64_e32 v[140:141], v[126:127], v[8:9]
	v_fma_f64 v[8:9], v[124:125], v[8:9], -v[10:11]
	v_add_f64_e32 v[148:149], v[134:135], v[132:133]
	v_add_f64_e32 v[136:137], v[136:137], v[138:139]
	ds_load_b128 v[4:7], v2 offset:1472
	ds_load_b128 v[132:135], v2 offset:1488
	s_wait_loadcnt_dscnt 0x501
	v_mul_f64_e32 v[138:139], v[4:5], v[154:155]
	v_mul_f64_e32 v[154:155], v[6:7], v[154:155]
	s_wait_loadcnt_dscnt 0x400
	v_mul_f64_e32 v[126:127], v[132:133], v[18:19]
	v_mul_f64_e32 v[18:19], v[134:135], v[18:19]
	v_add_f64_e32 v[10:11], v[148:149], v[142:143]
	v_add_f64_e32 v[124:125], v[136:137], v[150:151]
	v_fmac_f64_e32 v[138:139], v[6:7], v[152:153]
	v_fma_f64 v[136:137], v[4:5], v[152:153], -v[154:155]
	v_fmac_f64_e32 v[126:127], v[134:135], v[16:17]
	v_fma_f64 v[16:17], v[132:133], v[16:17], -v[18:19]
	v_add_f64_e32 v[142:143], v[10:11], v[8:9]
	v_add_f64_e32 v[124:125], v[124:125], v[140:141]
	ds_load_b128 v[4:7], v2 offset:1504
	ds_load_b128 v[8:11], v2 offset:1520
	;; [unrolled: 16-line block ×3, first 2 shown]
	s_wait_loadcnt_dscnt 0x101
	v_mul_f64_e32 v[2:3], v[4:5], v[130:131]
	v_mul_f64_e32 v[126:127], v[6:7], v[130:131]
	v_add_f64_e32 v[10:11], v[18:19], v[136:137]
	v_add_f64_e32 v[12:13], v[124:125], v[140:141]
	s_wait_loadcnt_dscnt 0x0
	v_mul_f64_e32 v[18:19], v[14:15], v[22:23]
	v_mul_f64_e32 v[22:23], v[16:17], v[22:23]
	v_fmac_f64_e32 v[2:3], v[6:7], v[128:129]
	v_fma_f64 v[4:5], v[4:5], v[128:129], -v[126:127]
	v_add_f64_e32 v[6:7], v[10:11], v[8:9]
	v_add_f64_e32 v[8:9], v[12:13], v[132:133]
	v_fmac_f64_e32 v[18:19], v[16:17], v[20:21]
	v_fma_f64 v[10:11], v[14:15], v[20:21], -v[22:23]
	s_delay_alu instid0(VALU_DEP_4) | instskip(NEXT) | instid1(VALU_DEP_4)
	v_add_f64_e32 v[4:5], v[6:7], v[4:5]
	v_add_f64_e32 v[2:3], v[8:9], v[2:3]
	s_delay_alu instid0(VALU_DEP_2) | instskip(NEXT) | instid1(VALU_DEP_2)
	v_add_f64_e32 v[4:5], v[4:5], v[10:11]
	v_add_f64_e32 v[6:7], v[2:3], v[18:19]
	s_delay_alu instid0(VALU_DEP_2) | instskip(NEXT) | instid1(VALU_DEP_2)
	v_add_f64_e64 v[2:3], v[156:157], -v[4:5]
	v_add_f64_e64 v[4:5], v[158:159], -v[6:7]
	scratch_store_b128 off, v[2:5], off offset:448
	s_wait_xcnt 0x0
	v_cmpx_lt_u32_e32 27, v1
	s_cbranch_execz .LBB112_253
; %bb.252:
	scratch_load_b128 v[2:5], off, s38
	v_mov_b32_e32 v6, 0
	s_delay_alu instid0(VALU_DEP_1)
	v_dual_mov_b32 v7, v6 :: v_dual_mov_b32 v8, v6
	v_mov_b32_e32 v9, v6
	scratch_store_b128 off, v[6:9], off offset:432
	s_wait_loadcnt 0x0
	ds_store_b128 v122, v[2:5]
.LBB112_253:
	s_wait_xcnt 0x0
	s_or_b32 exec_lo, exec_lo, s2
	s_wait_storecnt_dscnt 0x0
	s_barrier_signal -1
	s_barrier_wait -1
	s_clause 0x9
	scratch_load_b128 v[4:7], off, off offset:448
	scratch_load_b128 v[8:11], off, off offset:464
	;; [unrolled: 1-line block ×10, first 2 shown]
	v_mov_b32_e32 v2, 0
	s_mov_b32 s2, exec_lo
	ds_load_b128 v[144:147], v2 offset:1232
	s_clause 0x2
	scratch_load_b128 v[148:151], off, off offset:608
	scratch_load_b128 v[152:155], off, off offset:432
	;; [unrolled: 1-line block ×3, first 2 shown]
	s_wait_loadcnt_dscnt 0xc00
	v_mul_f64_e32 v[164:165], v[146:147], v[6:7]
	v_mul_f64_e32 v[168:169], v[144:145], v[6:7]
	ds_load_b128 v[156:159], v2 offset:1248
	v_fma_f64 v[172:173], v[144:145], v[4:5], -v[164:165]
	v_fmac_f64_e32 v[168:169], v[146:147], v[4:5]
	ds_load_b128 v[4:7], v2 offset:1264
	s_wait_loadcnt_dscnt 0xb01
	v_mul_f64_e32 v[170:171], v[156:157], v[10:11]
	v_mul_f64_e32 v[10:11], v[158:159], v[10:11]
	scratch_load_b128 v[144:147], off, off offset:640
	ds_load_b128 v[164:167], v2 offset:1280
	s_wait_loadcnt_dscnt 0xb01
	v_mul_f64_e32 v[174:175], v[4:5], v[14:15]
	v_mul_f64_e32 v[14:15], v[6:7], v[14:15]
	v_add_f64_e32 v[168:169], 0, v[168:169]
	v_fmac_f64_e32 v[170:171], v[158:159], v[8:9]
	v_fma_f64 v[156:157], v[156:157], v[8:9], -v[10:11]
	v_add_f64_e32 v[158:159], 0, v[172:173]
	scratch_load_b128 v[8:11], off, off offset:656
	v_fmac_f64_e32 v[174:175], v[6:7], v[12:13]
	v_fma_f64 v[176:177], v[4:5], v[12:13], -v[14:15]
	ds_load_b128 v[4:7], v2 offset:1296
	s_wait_loadcnt_dscnt 0xb01
	v_mul_f64_e32 v[172:173], v[164:165], v[18:19]
	v_mul_f64_e32 v[18:19], v[166:167], v[18:19]
	scratch_load_b128 v[12:15], off, off offset:672
	v_add_f64_e32 v[168:169], v[168:169], v[170:171]
	v_add_f64_e32 v[178:179], v[158:159], v[156:157]
	ds_load_b128 v[156:159], v2 offset:1312
	s_wait_loadcnt_dscnt 0xb01
	v_mul_f64_e32 v[170:171], v[4:5], v[22:23]
	v_mul_f64_e32 v[22:23], v[6:7], v[22:23]
	v_fmac_f64_e32 v[172:173], v[166:167], v[16:17]
	v_fma_f64 v[164:165], v[164:165], v[16:17], -v[18:19]
	scratch_load_b128 v[16:19], off, off offset:688
	v_add_f64_e32 v[168:169], v[168:169], v[174:175]
	v_add_f64_e32 v[166:167], v[178:179], v[176:177]
	v_fmac_f64_e32 v[170:171], v[6:7], v[20:21]
	v_fma_f64 v[176:177], v[4:5], v[20:21], -v[22:23]
	ds_load_b128 v[4:7], v2 offset:1328
	s_wait_loadcnt_dscnt 0xb01
	v_mul_f64_e32 v[174:175], v[156:157], v[126:127]
	v_mul_f64_e32 v[126:127], v[158:159], v[126:127]
	scratch_load_b128 v[20:23], off, off offset:704
	v_add_f64_e32 v[168:169], v[168:169], v[172:173]
	s_wait_loadcnt_dscnt 0xb00
	v_mul_f64_e32 v[172:173], v[4:5], v[130:131]
	v_add_f64_e32 v[178:179], v[166:167], v[164:165]
	v_mul_f64_e32 v[130:131], v[6:7], v[130:131]
	ds_load_b128 v[164:167], v2 offset:1344
	v_fmac_f64_e32 v[174:175], v[158:159], v[124:125]
	v_fma_f64 v[156:157], v[156:157], v[124:125], -v[126:127]
	scratch_load_b128 v[124:127], off, off offset:720
	v_add_f64_e32 v[168:169], v[168:169], v[170:171]
	v_fmac_f64_e32 v[172:173], v[6:7], v[128:129]
	v_add_f64_e32 v[158:159], v[178:179], v[176:177]
	v_fma_f64 v[176:177], v[4:5], v[128:129], -v[130:131]
	ds_load_b128 v[4:7], v2 offset:1360
	s_wait_loadcnt_dscnt 0xb01
	v_mul_f64_e32 v[170:171], v[164:165], v[134:135]
	v_mul_f64_e32 v[134:135], v[166:167], v[134:135]
	scratch_load_b128 v[128:131], off, off offset:736
	v_add_f64_e32 v[168:169], v[168:169], v[174:175]
	s_wait_loadcnt_dscnt 0xb00
	v_mul_f64_e32 v[174:175], v[4:5], v[138:139]
	v_add_f64_e32 v[178:179], v[158:159], v[156:157]
	v_mul_f64_e32 v[138:139], v[6:7], v[138:139]
	ds_load_b128 v[156:159], v2 offset:1376
	v_fmac_f64_e32 v[170:171], v[166:167], v[132:133]
	v_fma_f64 v[164:165], v[164:165], v[132:133], -v[134:135]
	scratch_load_b128 v[132:135], off, off offset:752
	v_add_f64_e32 v[168:169], v[168:169], v[172:173]
	v_fmac_f64_e32 v[174:175], v[6:7], v[136:137]
	v_add_f64_e32 v[166:167], v[178:179], v[176:177]
	v_fma_f64 v[176:177], v[4:5], v[136:137], -v[138:139]
	ds_load_b128 v[4:7], v2 offset:1392
	s_wait_loadcnt_dscnt 0xb01
	v_mul_f64_e32 v[172:173], v[156:157], v[142:143]
	v_mul_f64_e32 v[142:143], v[158:159], v[142:143]
	scratch_load_b128 v[136:139], off, off offset:768
	v_add_f64_e32 v[168:169], v[168:169], v[170:171]
	s_wait_loadcnt_dscnt 0xb00
	v_mul_f64_e32 v[170:171], v[4:5], v[150:151]
	v_add_f64_e32 v[178:179], v[166:167], v[164:165]
	v_mul_f64_e32 v[150:151], v[6:7], v[150:151]
	ds_load_b128 v[164:167], v2 offset:1408
	v_fmac_f64_e32 v[172:173], v[158:159], v[140:141]
	v_fma_f64 v[140:141], v[156:157], v[140:141], -v[142:143]
	s_wait_loadcnt_dscnt 0x900
	v_mul_f64_e32 v[158:159], v[164:165], v[162:163]
	v_mul_f64_e32 v[162:163], v[166:167], v[162:163]
	v_add_f64_e32 v[156:157], v[168:169], v[174:175]
	v_fmac_f64_e32 v[170:171], v[6:7], v[148:149]
	v_add_f64_e32 v[142:143], v[178:179], v[176:177]
	v_fma_f64 v[148:149], v[4:5], v[148:149], -v[150:151]
	v_fmac_f64_e32 v[158:159], v[166:167], v[160:161]
	v_fma_f64 v[160:161], v[164:165], v[160:161], -v[162:163]
	v_add_f64_e32 v[156:157], v[156:157], v[172:173]
	v_add_f64_e32 v[150:151], v[142:143], v[140:141]
	ds_load_b128 v[4:7], v2 offset:1424
	ds_load_b128 v[140:143], v2 offset:1440
	s_wait_loadcnt_dscnt 0x801
	v_mul_f64_e32 v[168:169], v[4:5], v[146:147]
	v_mul_f64_e32 v[146:147], v[6:7], v[146:147]
	v_add_f64_e32 v[148:149], v[150:151], v[148:149]
	v_add_f64_e32 v[150:151], v[156:157], v[170:171]
	s_wait_loadcnt_dscnt 0x700
	v_mul_f64_e32 v[156:157], v[140:141], v[10:11]
	v_mul_f64_e32 v[10:11], v[142:143], v[10:11]
	v_fmac_f64_e32 v[168:169], v[6:7], v[144:145]
	v_fma_f64 v[162:163], v[4:5], v[144:145], -v[146:147]
	ds_load_b128 v[4:7], v2 offset:1456
	ds_load_b128 v[144:147], v2 offset:1472
	v_add_f64_e32 v[148:149], v[148:149], v[160:161]
	v_add_f64_e32 v[150:151], v[150:151], v[158:159]
	v_fmac_f64_e32 v[156:157], v[142:143], v[8:9]
	v_fma_f64 v[8:9], v[140:141], v[8:9], -v[10:11]
	s_wait_loadcnt_dscnt 0x601
	v_mul_f64_e32 v[158:159], v[4:5], v[14:15]
	v_mul_f64_e32 v[14:15], v[6:7], v[14:15]
	s_wait_loadcnt_dscnt 0x500
	v_mul_f64_e32 v[142:143], v[144:145], v[18:19]
	v_mul_f64_e32 v[18:19], v[146:147], v[18:19]
	v_add_f64_e32 v[10:11], v[148:149], v[162:163]
	v_add_f64_e32 v[140:141], v[150:151], v[168:169]
	v_fmac_f64_e32 v[158:159], v[6:7], v[12:13]
	v_fma_f64 v[12:13], v[4:5], v[12:13], -v[14:15]
	v_fmac_f64_e32 v[142:143], v[146:147], v[16:17]
	v_fma_f64 v[16:17], v[144:145], v[16:17], -v[18:19]
	v_add_f64_e32 v[14:15], v[10:11], v[8:9]
	v_add_f64_e32 v[140:141], v[140:141], v[156:157]
	ds_load_b128 v[4:7], v2 offset:1488
	ds_load_b128 v[8:11], v2 offset:1504
	s_wait_loadcnt_dscnt 0x401
	v_mul_f64_e32 v[148:149], v[4:5], v[22:23]
	v_mul_f64_e32 v[22:23], v[6:7], v[22:23]
	s_wait_loadcnt_dscnt 0x300
	v_mul_f64_e32 v[18:19], v[8:9], v[126:127]
	v_mul_f64_e32 v[126:127], v[10:11], v[126:127]
	v_add_f64_e32 v[12:13], v[14:15], v[12:13]
	v_add_f64_e32 v[14:15], v[140:141], v[158:159]
	v_fmac_f64_e32 v[148:149], v[6:7], v[20:21]
	v_fma_f64 v[20:21], v[4:5], v[20:21], -v[22:23]
	v_fmac_f64_e32 v[18:19], v[10:11], v[124:125]
	v_fma_f64 v[8:9], v[8:9], v[124:125], -v[126:127]
	v_add_f64_e32 v[16:17], v[12:13], v[16:17]
	v_add_f64_e32 v[22:23], v[14:15], v[142:143]
	ds_load_b128 v[4:7], v2 offset:1520
	ds_load_b128 v[12:15], v2 offset:1536
	s_wait_loadcnt_dscnt 0x201
	v_mul_f64_e32 v[140:141], v[4:5], v[130:131]
	v_mul_f64_e32 v[130:131], v[6:7], v[130:131]
	v_add_f64_e32 v[10:11], v[16:17], v[20:21]
	v_add_f64_e32 v[16:17], v[22:23], v[148:149]
	s_wait_loadcnt_dscnt 0x100
	v_mul_f64_e32 v[20:21], v[12:13], v[134:135]
	v_mul_f64_e32 v[22:23], v[14:15], v[134:135]
	v_fmac_f64_e32 v[140:141], v[6:7], v[128:129]
	v_fma_f64 v[124:125], v[4:5], v[128:129], -v[130:131]
	ds_load_b128 v[4:7], v2 offset:1552
	v_add_f64_e32 v[8:9], v[10:11], v[8:9]
	v_add_f64_e32 v[10:11], v[16:17], v[18:19]
	v_fmac_f64_e32 v[20:21], v[14:15], v[132:133]
	v_fma_f64 v[12:13], v[12:13], v[132:133], -v[22:23]
	s_wait_loadcnt_dscnt 0x0
	v_mul_f64_e32 v[16:17], v[4:5], v[138:139]
	v_mul_f64_e32 v[18:19], v[6:7], v[138:139]
	v_add_f64_e32 v[8:9], v[8:9], v[124:125]
	v_add_f64_e32 v[10:11], v[10:11], v[140:141]
	s_delay_alu instid0(VALU_DEP_4) | instskip(NEXT) | instid1(VALU_DEP_4)
	v_fmac_f64_e32 v[16:17], v[6:7], v[136:137]
	v_fma_f64 v[4:5], v[4:5], v[136:137], -v[18:19]
	s_delay_alu instid0(VALU_DEP_4) | instskip(NEXT) | instid1(VALU_DEP_4)
	v_add_f64_e32 v[6:7], v[8:9], v[12:13]
	v_add_f64_e32 v[8:9], v[10:11], v[20:21]
	s_delay_alu instid0(VALU_DEP_2) | instskip(NEXT) | instid1(VALU_DEP_2)
	v_add_f64_e32 v[4:5], v[6:7], v[4:5]
	v_add_f64_e32 v[6:7], v[8:9], v[16:17]
	s_delay_alu instid0(VALU_DEP_2) | instskip(NEXT) | instid1(VALU_DEP_2)
	v_add_f64_e64 v[4:5], v[152:153], -v[4:5]
	v_add_f64_e64 v[6:7], v[154:155], -v[6:7]
	scratch_store_b128 off, v[4:7], off offset:432
	s_wait_xcnt 0x0
	v_cmpx_lt_u32_e32 26, v1
	s_cbranch_execz .LBB112_255
; %bb.254:
	scratch_load_b128 v[6:9], off, s39
	v_dual_mov_b32 v3, v2 :: v_dual_mov_b32 v4, v2
	v_mov_b32_e32 v5, v2
	scratch_store_b128 off, v[2:5], off offset:416
	s_wait_loadcnt 0x0
	ds_store_b128 v122, v[6:9]
.LBB112_255:
	s_wait_xcnt 0x0
	s_or_b32 exec_lo, exec_lo, s2
	s_wait_storecnt_dscnt 0x0
	s_barrier_signal -1
	s_barrier_wait -1
	s_clause 0x9
	scratch_load_b128 v[4:7], off, off offset:432
	scratch_load_b128 v[8:11], off, off offset:448
	;; [unrolled: 1-line block ×10, first 2 shown]
	ds_load_b128 v[144:147], v2 offset:1216
	ds_load_b128 v[152:155], v2 offset:1232
	s_clause 0x2
	scratch_load_b128 v[148:151], off, off offset:592
	scratch_load_b128 v[156:159], off, off offset:416
	;; [unrolled: 1-line block ×3, first 2 shown]
	s_mov_b32 s2, exec_lo
	s_wait_loadcnt_dscnt 0xc01
	v_mul_f64_e32 v[164:165], v[146:147], v[6:7]
	v_mul_f64_e32 v[168:169], v[144:145], v[6:7]
	s_wait_loadcnt_dscnt 0xb00
	v_mul_f64_e32 v[170:171], v[152:153], v[10:11]
	v_mul_f64_e32 v[10:11], v[154:155], v[10:11]
	s_delay_alu instid0(VALU_DEP_4) | instskip(NEXT) | instid1(VALU_DEP_4)
	v_fma_f64 v[172:173], v[144:145], v[4:5], -v[164:165]
	v_fmac_f64_e32 v[168:169], v[146:147], v[4:5]
	ds_load_b128 v[4:7], v2 offset:1248
	ds_load_b128 v[144:147], v2 offset:1264
	scratch_load_b128 v[164:167], off, off offset:624
	v_fmac_f64_e32 v[170:171], v[154:155], v[8:9]
	v_fma_f64 v[152:153], v[152:153], v[8:9], -v[10:11]
	scratch_load_b128 v[8:11], off, off offset:640
	s_wait_loadcnt_dscnt 0xc01
	v_mul_f64_e32 v[174:175], v[4:5], v[14:15]
	v_mul_f64_e32 v[14:15], v[6:7], v[14:15]
	v_add_f64_e32 v[154:155], 0, v[172:173]
	v_add_f64_e32 v[168:169], 0, v[168:169]
	s_wait_loadcnt_dscnt 0xb00
	v_mul_f64_e32 v[172:173], v[144:145], v[18:19]
	v_mul_f64_e32 v[18:19], v[146:147], v[18:19]
	v_fmac_f64_e32 v[174:175], v[6:7], v[12:13]
	v_fma_f64 v[176:177], v[4:5], v[12:13], -v[14:15]
	ds_load_b128 v[4:7], v2 offset:1280
	ds_load_b128 v[12:15], v2 offset:1296
	v_add_f64_e32 v[178:179], v[154:155], v[152:153]
	v_add_f64_e32 v[168:169], v[168:169], v[170:171]
	scratch_load_b128 v[152:155], off, off offset:656
	v_fmac_f64_e32 v[172:173], v[146:147], v[16:17]
	v_fma_f64 v[144:145], v[144:145], v[16:17], -v[18:19]
	scratch_load_b128 v[16:19], off, off offset:672
	s_wait_loadcnt_dscnt 0xc01
	v_mul_f64_e32 v[170:171], v[4:5], v[22:23]
	v_mul_f64_e32 v[22:23], v[6:7], v[22:23]
	v_add_f64_e32 v[146:147], v[178:179], v[176:177]
	v_add_f64_e32 v[168:169], v[168:169], v[174:175]
	s_wait_loadcnt_dscnt 0xb00
	v_mul_f64_e32 v[174:175], v[12:13], v[126:127]
	v_mul_f64_e32 v[126:127], v[14:15], v[126:127]
	v_fmac_f64_e32 v[170:171], v[6:7], v[20:21]
	v_fma_f64 v[176:177], v[4:5], v[20:21], -v[22:23]
	ds_load_b128 v[4:7], v2 offset:1312
	ds_load_b128 v[20:23], v2 offset:1328
	v_add_f64_e32 v[178:179], v[146:147], v[144:145]
	v_add_f64_e32 v[168:169], v[168:169], v[172:173]
	scratch_load_b128 v[144:147], off, off offset:688
	s_wait_loadcnt_dscnt 0xb01
	v_mul_f64_e32 v[172:173], v[4:5], v[130:131]
	v_mul_f64_e32 v[130:131], v[6:7], v[130:131]
	v_fmac_f64_e32 v[174:175], v[14:15], v[124:125]
	v_fma_f64 v[124:125], v[12:13], v[124:125], -v[126:127]
	scratch_load_b128 v[12:15], off, off offset:704
	v_add_f64_e32 v[126:127], v[178:179], v[176:177]
	v_add_f64_e32 v[168:169], v[168:169], v[170:171]
	s_wait_loadcnt_dscnt 0xb00
	v_mul_f64_e32 v[170:171], v[20:21], v[134:135]
	v_mul_f64_e32 v[134:135], v[22:23], v[134:135]
	v_fmac_f64_e32 v[172:173], v[6:7], v[128:129]
	v_fma_f64 v[176:177], v[4:5], v[128:129], -v[130:131]
	v_add_f64_e32 v[178:179], v[126:127], v[124:125]
	v_add_f64_e32 v[168:169], v[168:169], v[174:175]
	ds_load_b128 v[4:7], v2 offset:1344
	ds_load_b128 v[124:127], v2 offset:1360
	scratch_load_b128 v[128:131], off, off offset:720
	v_fmac_f64_e32 v[170:171], v[22:23], v[132:133]
	v_fma_f64 v[132:133], v[20:21], v[132:133], -v[134:135]
	scratch_load_b128 v[20:23], off, off offset:736
	s_wait_loadcnt_dscnt 0xc01
	v_mul_f64_e32 v[174:175], v[4:5], v[138:139]
	v_mul_f64_e32 v[138:139], v[6:7], v[138:139]
	v_add_f64_e32 v[134:135], v[178:179], v[176:177]
	v_add_f64_e32 v[168:169], v[168:169], v[172:173]
	s_wait_loadcnt_dscnt 0xb00
	v_mul_f64_e32 v[172:173], v[124:125], v[142:143]
	v_mul_f64_e32 v[142:143], v[126:127], v[142:143]
	v_fmac_f64_e32 v[174:175], v[6:7], v[136:137]
	v_fma_f64 v[176:177], v[4:5], v[136:137], -v[138:139]
	v_add_f64_e32 v[178:179], v[134:135], v[132:133]
	v_add_f64_e32 v[168:169], v[168:169], v[170:171]
	ds_load_b128 v[4:7], v2 offset:1376
	ds_load_b128 v[132:135], v2 offset:1392
	scratch_load_b128 v[136:139], off, off offset:752
	v_fmac_f64_e32 v[172:173], v[126:127], v[140:141]
	v_fma_f64 v[140:141], v[124:125], v[140:141], -v[142:143]
	scratch_load_b128 v[124:127], off, off offset:768
	s_wait_loadcnt_dscnt 0xc01
	v_mul_f64_e32 v[170:171], v[4:5], v[150:151]
	v_mul_f64_e32 v[150:151], v[6:7], v[150:151]
	v_add_f64_e32 v[142:143], v[178:179], v[176:177]
	v_add_f64_e32 v[168:169], v[168:169], v[174:175]
	s_wait_loadcnt_dscnt 0xa00
	v_mul_f64_e32 v[174:175], v[132:133], v[162:163]
	v_mul_f64_e32 v[162:163], v[134:135], v[162:163]
	v_fmac_f64_e32 v[170:171], v[6:7], v[148:149]
	v_fma_f64 v[148:149], v[4:5], v[148:149], -v[150:151]
	v_add_f64_e32 v[150:151], v[142:143], v[140:141]
	v_add_f64_e32 v[168:169], v[168:169], v[172:173]
	ds_load_b128 v[4:7], v2 offset:1408
	ds_load_b128 v[140:143], v2 offset:1424
	v_fmac_f64_e32 v[174:175], v[134:135], v[160:161]
	v_fma_f64 v[132:133], v[132:133], v[160:161], -v[162:163]
	s_wait_loadcnt_dscnt 0x901
	v_mul_f64_e32 v[172:173], v[4:5], v[166:167]
	v_mul_f64_e32 v[166:167], v[6:7], v[166:167]
	v_add_f64_e32 v[134:135], v[150:151], v[148:149]
	v_add_f64_e32 v[148:149], v[168:169], v[170:171]
	s_wait_loadcnt_dscnt 0x800
	v_mul_f64_e32 v[150:151], v[140:141], v[10:11]
	v_mul_f64_e32 v[10:11], v[142:143], v[10:11]
	v_fmac_f64_e32 v[172:173], v[6:7], v[164:165]
	v_fma_f64 v[160:161], v[4:5], v[164:165], -v[166:167]
	v_add_f64_e32 v[162:163], v[134:135], v[132:133]
	v_add_f64_e32 v[148:149], v[148:149], v[174:175]
	ds_load_b128 v[4:7], v2 offset:1440
	ds_load_b128 v[132:135], v2 offset:1456
	v_fmac_f64_e32 v[150:151], v[142:143], v[8:9]
	v_fma_f64 v[8:9], v[140:141], v[8:9], -v[10:11]
	s_wait_loadcnt_dscnt 0x701
	v_mul_f64_e32 v[164:165], v[4:5], v[154:155]
	v_mul_f64_e32 v[154:155], v[6:7], v[154:155]
	s_wait_loadcnt_dscnt 0x600
	v_mul_f64_e32 v[142:143], v[132:133], v[18:19]
	v_mul_f64_e32 v[18:19], v[134:135], v[18:19]
	v_add_f64_e32 v[10:11], v[162:163], v[160:161]
	v_add_f64_e32 v[140:141], v[148:149], v[172:173]
	v_fmac_f64_e32 v[164:165], v[6:7], v[152:153]
	v_fma_f64 v[148:149], v[4:5], v[152:153], -v[154:155]
	v_fmac_f64_e32 v[142:143], v[134:135], v[16:17]
	v_fma_f64 v[16:17], v[132:133], v[16:17], -v[18:19]
	v_add_f64_e32 v[152:153], v[10:11], v[8:9]
	v_add_f64_e32 v[140:141], v[140:141], v[150:151]
	ds_load_b128 v[4:7], v2 offset:1472
	ds_load_b128 v[8:11], v2 offset:1488
	s_wait_loadcnt_dscnt 0x501
	v_mul_f64_e32 v[150:151], v[4:5], v[146:147]
	v_mul_f64_e32 v[146:147], v[6:7], v[146:147]
	s_wait_loadcnt_dscnt 0x400
	v_mul_f64_e32 v[134:135], v[8:9], v[14:15]
	v_add_f64_e32 v[18:19], v[152:153], v[148:149]
	v_add_f64_e32 v[132:133], v[140:141], v[164:165]
	v_mul_f64_e32 v[140:141], v[10:11], v[14:15]
	v_fmac_f64_e32 v[150:151], v[6:7], v[144:145]
	v_fma_f64 v[144:145], v[4:5], v[144:145], -v[146:147]
	v_fmac_f64_e32 v[134:135], v[10:11], v[12:13]
	v_add_f64_e32 v[18:19], v[18:19], v[16:17]
	v_add_f64_e32 v[132:133], v[132:133], v[142:143]
	ds_load_b128 v[4:7], v2 offset:1504
	ds_load_b128 v[14:17], v2 offset:1520
	v_fma_f64 v[8:9], v[8:9], v[12:13], -v[140:141]
	s_wait_loadcnt_dscnt 0x301
	v_mul_f64_e32 v[142:143], v[4:5], v[130:131]
	v_mul_f64_e32 v[130:131], v[6:7], v[130:131]
	v_add_f64_e32 v[10:11], v[18:19], v[144:145]
	v_add_f64_e32 v[12:13], v[132:133], v[150:151]
	s_wait_loadcnt_dscnt 0x200
	v_mul_f64_e32 v[18:19], v[14:15], v[22:23]
	v_mul_f64_e32 v[22:23], v[16:17], v[22:23]
	v_fmac_f64_e32 v[142:143], v[6:7], v[128:129]
	v_fma_f64 v[128:129], v[4:5], v[128:129], -v[130:131]
	v_add_f64_e32 v[130:131], v[10:11], v[8:9]
	v_add_f64_e32 v[12:13], v[12:13], v[134:135]
	ds_load_b128 v[4:7], v2 offset:1536
	ds_load_b128 v[8:11], v2 offset:1552
	v_fmac_f64_e32 v[18:19], v[16:17], v[20:21]
	v_fma_f64 v[14:15], v[14:15], v[20:21], -v[22:23]
	s_wait_loadcnt_dscnt 0x101
	v_mul_f64_e32 v[2:3], v[4:5], v[138:139]
	v_mul_f64_e32 v[132:133], v[6:7], v[138:139]
	s_wait_loadcnt_dscnt 0x0
	v_mul_f64_e32 v[20:21], v[8:9], v[126:127]
	v_mul_f64_e32 v[22:23], v[10:11], v[126:127]
	v_add_f64_e32 v[16:17], v[130:131], v[128:129]
	v_add_f64_e32 v[12:13], v[12:13], v[142:143]
	v_fmac_f64_e32 v[2:3], v[6:7], v[136:137]
	v_fma_f64 v[4:5], v[4:5], v[136:137], -v[132:133]
	v_fmac_f64_e32 v[20:21], v[10:11], v[124:125]
	v_fma_f64 v[8:9], v[8:9], v[124:125], -v[22:23]
	v_add_f64_e32 v[6:7], v[16:17], v[14:15]
	v_add_f64_e32 v[12:13], v[12:13], v[18:19]
	s_delay_alu instid0(VALU_DEP_2) | instskip(NEXT) | instid1(VALU_DEP_2)
	v_add_f64_e32 v[4:5], v[6:7], v[4:5]
	v_add_f64_e32 v[2:3], v[12:13], v[2:3]
	s_delay_alu instid0(VALU_DEP_2) | instskip(NEXT) | instid1(VALU_DEP_2)
	;; [unrolled: 3-line block ×3, first 2 shown]
	v_add_f64_e64 v[2:3], v[156:157], -v[4:5]
	v_add_f64_e64 v[4:5], v[158:159], -v[6:7]
	scratch_store_b128 off, v[2:5], off offset:416
	s_wait_xcnt 0x0
	v_cmpx_lt_u32_e32 25, v1
	s_cbranch_execz .LBB112_257
; %bb.256:
	scratch_load_b128 v[2:5], off, s40
	v_mov_b32_e32 v6, 0
	s_delay_alu instid0(VALU_DEP_1)
	v_dual_mov_b32 v7, v6 :: v_dual_mov_b32 v8, v6
	v_mov_b32_e32 v9, v6
	scratch_store_b128 off, v[6:9], off offset:400
	s_wait_loadcnt 0x0
	ds_store_b128 v122, v[2:5]
.LBB112_257:
	s_wait_xcnt 0x0
	s_or_b32 exec_lo, exec_lo, s2
	s_wait_storecnt_dscnt 0x0
	s_barrier_signal -1
	s_barrier_wait -1
	s_clause 0x9
	scratch_load_b128 v[4:7], off, off offset:416
	scratch_load_b128 v[8:11], off, off offset:432
	;; [unrolled: 1-line block ×10, first 2 shown]
	v_mov_b32_e32 v2, 0
	s_mov_b32 s2, exec_lo
	ds_load_b128 v[144:147], v2 offset:1200
	s_clause 0x2
	scratch_load_b128 v[148:151], off, off offset:576
	scratch_load_b128 v[152:155], off, off offset:400
	;; [unrolled: 1-line block ×3, first 2 shown]
	s_wait_loadcnt_dscnt 0xc00
	v_mul_f64_e32 v[164:165], v[146:147], v[6:7]
	v_mul_f64_e32 v[168:169], v[144:145], v[6:7]
	ds_load_b128 v[156:159], v2 offset:1216
	v_fma_f64 v[172:173], v[144:145], v[4:5], -v[164:165]
	v_fmac_f64_e32 v[168:169], v[146:147], v[4:5]
	ds_load_b128 v[4:7], v2 offset:1232
	s_wait_loadcnt_dscnt 0xb01
	v_mul_f64_e32 v[170:171], v[156:157], v[10:11]
	v_mul_f64_e32 v[10:11], v[158:159], v[10:11]
	scratch_load_b128 v[144:147], off, off offset:608
	ds_load_b128 v[164:167], v2 offset:1248
	s_wait_loadcnt_dscnt 0xb01
	v_mul_f64_e32 v[174:175], v[4:5], v[14:15]
	v_mul_f64_e32 v[14:15], v[6:7], v[14:15]
	v_add_f64_e32 v[168:169], 0, v[168:169]
	v_fmac_f64_e32 v[170:171], v[158:159], v[8:9]
	v_fma_f64 v[156:157], v[156:157], v[8:9], -v[10:11]
	v_add_f64_e32 v[158:159], 0, v[172:173]
	scratch_load_b128 v[8:11], off, off offset:624
	v_fmac_f64_e32 v[174:175], v[6:7], v[12:13]
	v_fma_f64 v[176:177], v[4:5], v[12:13], -v[14:15]
	ds_load_b128 v[4:7], v2 offset:1264
	s_wait_loadcnt_dscnt 0xb01
	v_mul_f64_e32 v[172:173], v[164:165], v[18:19]
	v_mul_f64_e32 v[18:19], v[166:167], v[18:19]
	scratch_load_b128 v[12:15], off, off offset:640
	v_add_f64_e32 v[168:169], v[168:169], v[170:171]
	v_add_f64_e32 v[178:179], v[158:159], v[156:157]
	ds_load_b128 v[156:159], v2 offset:1280
	s_wait_loadcnt_dscnt 0xb01
	v_mul_f64_e32 v[170:171], v[4:5], v[22:23]
	v_mul_f64_e32 v[22:23], v[6:7], v[22:23]
	v_fmac_f64_e32 v[172:173], v[166:167], v[16:17]
	v_fma_f64 v[164:165], v[164:165], v[16:17], -v[18:19]
	scratch_load_b128 v[16:19], off, off offset:656
	v_add_f64_e32 v[168:169], v[168:169], v[174:175]
	v_add_f64_e32 v[166:167], v[178:179], v[176:177]
	v_fmac_f64_e32 v[170:171], v[6:7], v[20:21]
	v_fma_f64 v[176:177], v[4:5], v[20:21], -v[22:23]
	ds_load_b128 v[4:7], v2 offset:1296
	s_wait_loadcnt_dscnt 0xb01
	v_mul_f64_e32 v[174:175], v[156:157], v[126:127]
	v_mul_f64_e32 v[126:127], v[158:159], v[126:127]
	scratch_load_b128 v[20:23], off, off offset:672
	v_add_f64_e32 v[168:169], v[168:169], v[172:173]
	s_wait_loadcnt_dscnt 0xb00
	v_mul_f64_e32 v[172:173], v[4:5], v[130:131]
	v_add_f64_e32 v[178:179], v[166:167], v[164:165]
	v_mul_f64_e32 v[130:131], v[6:7], v[130:131]
	ds_load_b128 v[164:167], v2 offset:1312
	v_fmac_f64_e32 v[174:175], v[158:159], v[124:125]
	v_fma_f64 v[156:157], v[156:157], v[124:125], -v[126:127]
	scratch_load_b128 v[124:127], off, off offset:688
	v_add_f64_e32 v[168:169], v[168:169], v[170:171]
	v_fmac_f64_e32 v[172:173], v[6:7], v[128:129]
	v_add_f64_e32 v[158:159], v[178:179], v[176:177]
	v_fma_f64 v[176:177], v[4:5], v[128:129], -v[130:131]
	ds_load_b128 v[4:7], v2 offset:1328
	s_wait_loadcnt_dscnt 0xb01
	v_mul_f64_e32 v[170:171], v[164:165], v[134:135]
	v_mul_f64_e32 v[134:135], v[166:167], v[134:135]
	scratch_load_b128 v[128:131], off, off offset:704
	v_add_f64_e32 v[168:169], v[168:169], v[174:175]
	s_wait_loadcnt_dscnt 0xb00
	v_mul_f64_e32 v[174:175], v[4:5], v[138:139]
	v_add_f64_e32 v[178:179], v[158:159], v[156:157]
	v_mul_f64_e32 v[138:139], v[6:7], v[138:139]
	ds_load_b128 v[156:159], v2 offset:1344
	v_fmac_f64_e32 v[170:171], v[166:167], v[132:133]
	v_fma_f64 v[164:165], v[164:165], v[132:133], -v[134:135]
	scratch_load_b128 v[132:135], off, off offset:720
	v_add_f64_e32 v[168:169], v[168:169], v[172:173]
	v_fmac_f64_e32 v[174:175], v[6:7], v[136:137]
	v_add_f64_e32 v[166:167], v[178:179], v[176:177]
	v_fma_f64 v[176:177], v[4:5], v[136:137], -v[138:139]
	ds_load_b128 v[4:7], v2 offset:1360
	s_wait_loadcnt_dscnt 0xb01
	v_mul_f64_e32 v[172:173], v[156:157], v[142:143]
	v_mul_f64_e32 v[142:143], v[158:159], v[142:143]
	scratch_load_b128 v[136:139], off, off offset:736
	v_add_f64_e32 v[168:169], v[168:169], v[170:171]
	s_wait_loadcnt_dscnt 0xb00
	v_mul_f64_e32 v[170:171], v[4:5], v[150:151]
	v_add_f64_e32 v[178:179], v[166:167], v[164:165]
	v_mul_f64_e32 v[150:151], v[6:7], v[150:151]
	ds_load_b128 v[164:167], v2 offset:1376
	v_fmac_f64_e32 v[172:173], v[158:159], v[140:141]
	v_fma_f64 v[156:157], v[156:157], v[140:141], -v[142:143]
	scratch_load_b128 v[140:143], off, off offset:752
	v_add_f64_e32 v[168:169], v[168:169], v[174:175]
	v_fmac_f64_e32 v[170:171], v[6:7], v[148:149]
	v_add_f64_e32 v[158:159], v[178:179], v[176:177]
	v_fma_f64 v[176:177], v[4:5], v[148:149], -v[150:151]
	ds_load_b128 v[4:7], v2 offset:1392
	s_wait_loadcnt_dscnt 0xa01
	v_mul_f64_e32 v[174:175], v[164:165], v[162:163]
	v_mul_f64_e32 v[162:163], v[166:167], v[162:163]
	scratch_load_b128 v[148:151], off, off offset:768
	v_add_f64_e32 v[168:169], v[168:169], v[172:173]
	v_add_f64_e32 v[178:179], v[158:159], v[156:157]
	s_wait_loadcnt_dscnt 0xa00
	v_mul_f64_e32 v[172:173], v[4:5], v[146:147]
	v_mul_f64_e32 v[146:147], v[6:7], v[146:147]
	v_fmac_f64_e32 v[174:175], v[166:167], v[160:161]
	v_fma_f64 v[160:161], v[164:165], v[160:161], -v[162:163]
	ds_load_b128 v[156:159], v2 offset:1408
	v_add_f64_e32 v[164:165], v[168:169], v[170:171]
	v_add_f64_e32 v[162:163], v[178:179], v[176:177]
	s_wait_loadcnt_dscnt 0x900
	v_mul_f64_e32 v[166:167], v[156:157], v[10:11]
	v_mul_f64_e32 v[10:11], v[158:159], v[10:11]
	v_fmac_f64_e32 v[172:173], v[6:7], v[144:145]
	v_fma_f64 v[168:169], v[4:5], v[144:145], -v[146:147]
	ds_load_b128 v[4:7], v2 offset:1424
	ds_load_b128 v[144:147], v2 offset:1440
	v_add_f64_e32 v[160:161], v[162:163], v[160:161]
	v_add_f64_e32 v[162:163], v[164:165], v[174:175]
	s_wait_loadcnt_dscnt 0x801
	v_mul_f64_e32 v[164:165], v[4:5], v[14:15]
	v_mul_f64_e32 v[14:15], v[6:7], v[14:15]
	v_fmac_f64_e32 v[166:167], v[158:159], v[8:9]
	v_fma_f64 v[8:9], v[156:157], v[8:9], -v[10:11]
	s_wait_loadcnt_dscnt 0x700
	v_mul_f64_e32 v[158:159], v[144:145], v[18:19]
	v_mul_f64_e32 v[18:19], v[146:147], v[18:19]
	v_add_f64_e32 v[10:11], v[160:161], v[168:169]
	v_add_f64_e32 v[156:157], v[162:163], v[172:173]
	v_fmac_f64_e32 v[164:165], v[6:7], v[12:13]
	v_fma_f64 v[12:13], v[4:5], v[12:13], -v[14:15]
	v_fmac_f64_e32 v[158:159], v[146:147], v[16:17]
	v_fma_f64 v[16:17], v[144:145], v[16:17], -v[18:19]
	v_add_f64_e32 v[14:15], v[10:11], v[8:9]
	v_add_f64_e32 v[156:157], v[156:157], v[166:167]
	ds_load_b128 v[4:7], v2 offset:1456
	ds_load_b128 v[8:11], v2 offset:1472
	s_wait_loadcnt_dscnt 0x601
	v_mul_f64_e32 v[160:161], v[4:5], v[22:23]
	v_mul_f64_e32 v[22:23], v[6:7], v[22:23]
	s_wait_loadcnt_dscnt 0x500
	v_mul_f64_e32 v[18:19], v[8:9], v[126:127]
	v_mul_f64_e32 v[126:127], v[10:11], v[126:127]
	v_add_f64_e32 v[12:13], v[14:15], v[12:13]
	v_add_f64_e32 v[14:15], v[156:157], v[164:165]
	v_fmac_f64_e32 v[160:161], v[6:7], v[20:21]
	v_fma_f64 v[20:21], v[4:5], v[20:21], -v[22:23]
	v_fmac_f64_e32 v[18:19], v[10:11], v[124:125]
	v_fma_f64 v[8:9], v[8:9], v[124:125], -v[126:127]
	v_add_f64_e32 v[16:17], v[12:13], v[16:17]
	v_add_f64_e32 v[22:23], v[14:15], v[158:159]
	ds_load_b128 v[4:7], v2 offset:1488
	ds_load_b128 v[12:15], v2 offset:1504
	s_wait_loadcnt_dscnt 0x401
	v_mul_f64_e32 v[144:145], v[4:5], v[130:131]
	v_mul_f64_e32 v[130:131], v[6:7], v[130:131]
	v_add_f64_e32 v[10:11], v[16:17], v[20:21]
	v_add_f64_e32 v[16:17], v[22:23], v[160:161]
	s_wait_loadcnt_dscnt 0x300
	v_mul_f64_e32 v[20:21], v[12:13], v[134:135]
	v_mul_f64_e32 v[22:23], v[14:15], v[134:135]
	v_fmac_f64_e32 v[144:145], v[6:7], v[128:129]
	v_fma_f64 v[124:125], v[4:5], v[128:129], -v[130:131]
	v_add_f64_e32 v[126:127], v[10:11], v[8:9]
	v_add_f64_e32 v[16:17], v[16:17], v[18:19]
	ds_load_b128 v[4:7], v2 offset:1520
	ds_load_b128 v[8:11], v2 offset:1536
	v_fmac_f64_e32 v[20:21], v[14:15], v[132:133]
	v_fma_f64 v[12:13], v[12:13], v[132:133], -v[22:23]
	s_wait_loadcnt_dscnt 0x201
	v_mul_f64_e32 v[18:19], v[4:5], v[138:139]
	v_mul_f64_e32 v[128:129], v[6:7], v[138:139]
	s_wait_loadcnt_dscnt 0x100
	v_mul_f64_e32 v[22:23], v[8:9], v[142:143]
	v_add_f64_e32 v[14:15], v[126:127], v[124:125]
	v_add_f64_e32 v[16:17], v[16:17], v[144:145]
	v_mul_f64_e32 v[124:125], v[10:11], v[142:143]
	v_fmac_f64_e32 v[18:19], v[6:7], v[136:137]
	v_fma_f64 v[126:127], v[4:5], v[136:137], -v[128:129]
	ds_load_b128 v[4:7], v2 offset:1552
	v_fmac_f64_e32 v[22:23], v[10:11], v[140:141]
	v_add_f64_e32 v[12:13], v[14:15], v[12:13]
	v_add_f64_e32 v[14:15], v[16:17], v[20:21]
	v_fma_f64 v[8:9], v[8:9], v[140:141], -v[124:125]
	s_wait_loadcnt_dscnt 0x0
	v_mul_f64_e32 v[16:17], v[4:5], v[150:151]
	v_mul_f64_e32 v[20:21], v[6:7], v[150:151]
	v_add_f64_e32 v[10:11], v[12:13], v[126:127]
	v_add_f64_e32 v[12:13], v[14:15], v[18:19]
	s_delay_alu instid0(VALU_DEP_4) | instskip(NEXT) | instid1(VALU_DEP_4)
	v_fmac_f64_e32 v[16:17], v[6:7], v[148:149]
	v_fma_f64 v[4:5], v[4:5], v[148:149], -v[20:21]
	s_delay_alu instid0(VALU_DEP_4) | instskip(NEXT) | instid1(VALU_DEP_4)
	v_add_f64_e32 v[6:7], v[10:11], v[8:9]
	v_add_f64_e32 v[8:9], v[12:13], v[22:23]
	s_delay_alu instid0(VALU_DEP_2) | instskip(NEXT) | instid1(VALU_DEP_2)
	v_add_f64_e32 v[4:5], v[6:7], v[4:5]
	v_add_f64_e32 v[6:7], v[8:9], v[16:17]
	s_delay_alu instid0(VALU_DEP_2) | instskip(NEXT) | instid1(VALU_DEP_2)
	v_add_f64_e64 v[4:5], v[152:153], -v[4:5]
	v_add_f64_e64 v[6:7], v[154:155], -v[6:7]
	scratch_store_b128 off, v[4:7], off offset:400
	s_wait_xcnt 0x0
	v_cmpx_lt_u32_e32 24, v1
	s_cbranch_execz .LBB112_259
; %bb.258:
	scratch_load_b128 v[6:9], off, s41
	v_dual_mov_b32 v3, v2 :: v_dual_mov_b32 v4, v2
	v_mov_b32_e32 v5, v2
	scratch_store_b128 off, v[2:5], off offset:384
	s_wait_loadcnt 0x0
	ds_store_b128 v122, v[6:9]
.LBB112_259:
	s_wait_xcnt 0x0
	s_or_b32 exec_lo, exec_lo, s2
	s_wait_storecnt_dscnt 0x0
	s_barrier_signal -1
	s_barrier_wait -1
	s_clause 0x9
	scratch_load_b128 v[4:7], off, off offset:400
	scratch_load_b128 v[8:11], off, off offset:416
	;; [unrolled: 1-line block ×10, first 2 shown]
	ds_load_b128 v[144:147], v2 offset:1184
	ds_load_b128 v[152:155], v2 offset:1200
	s_clause 0x2
	scratch_load_b128 v[148:151], off, off offset:560
	scratch_load_b128 v[156:159], off, off offset:384
	;; [unrolled: 1-line block ×3, first 2 shown]
	s_mov_b32 s2, exec_lo
	s_wait_loadcnt_dscnt 0xc01
	v_mul_f64_e32 v[164:165], v[146:147], v[6:7]
	v_mul_f64_e32 v[168:169], v[144:145], v[6:7]
	s_wait_loadcnt_dscnt 0xb00
	v_mul_f64_e32 v[170:171], v[152:153], v[10:11]
	v_mul_f64_e32 v[10:11], v[154:155], v[10:11]
	s_delay_alu instid0(VALU_DEP_4) | instskip(NEXT) | instid1(VALU_DEP_4)
	v_fma_f64 v[172:173], v[144:145], v[4:5], -v[164:165]
	v_fmac_f64_e32 v[168:169], v[146:147], v[4:5]
	ds_load_b128 v[4:7], v2 offset:1216
	ds_load_b128 v[144:147], v2 offset:1232
	scratch_load_b128 v[164:167], off, off offset:592
	v_fmac_f64_e32 v[170:171], v[154:155], v[8:9]
	v_fma_f64 v[152:153], v[152:153], v[8:9], -v[10:11]
	scratch_load_b128 v[8:11], off, off offset:608
	s_wait_loadcnt_dscnt 0xc01
	v_mul_f64_e32 v[174:175], v[4:5], v[14:15]
	v_mul_f64_e32 v[14:15], v[6:7], v[14:15]
	v_add_f64_e32 v[154:155], 0, v[172:173]
	v_add_f64_e32 v[168:169], 0, v[168:169]
	s_wait_loadcnt_dscnt 0xb00
	v_mul_f64_e32 v[172:173], v[144:145], v[18:19]
	v_mul_f64_e32 v[18:19], v[146:147], v[18:19]
	v_fmac_f64_e32 v[174:175], v[6:7], v[12:13]
	v_fma_f64 v[176:177], v[4:5], v[12:13], -v[14:15]
	ds_load_b128 v[4:7], v2 offset:1248
	ds_load_b128 v[12:15], v2 offset:1264
	v_add_f64_e32 v[178:179], v[154:155], v[152:153]
	v_add_f64_e32 v[168:169], v[168:169], v[170:171]
	scratch_load_b128 v[152:155], off, off offset:624
	v_fmac_f64_e32 v[172:173], v[146:147], v[16:17]
	v_fma_f64 v[144:145], v[144:145], v[16:17], -v[18:19]
	scratch_load_b128 v[16:19], off, off offset:640
	s_wait_loadcnt_dscnt 0xc01
	v_mul_f64_e32 v[170:171], v[4:5], v[22:23]
	v_mul_f64_e32 v[22:23], v[6:7], v[22:23]
	v_add_f64_e32 v[146:147], v[178:179], v[176:177]
	v_add_f64_e32 v[168:169], v[168:169], v[174:175]
	s_wait_loadcnt_dscnt 0xb00
	v_mul_f64_e32 v[174:175], v[12:13], v[126:127]
	v_mul_f64_e32 v[126:127], v[14:15], v[126:127]
	v_fmac_f64_e32 v[170:171], v[6:7], v[20:21]
	v_fma_f64 v[176:177], v[4:5], v[20:21], -v[22:23]
	ds_load_b128 v[4:7], v2 offset:1280
	ds_load_b128 v[20:23], v2 offset:1296
	v_add_f64_e32 v[178:179], v[146:147], v[144:145]
	v_add_f64_e32 v[168:169], v[168:169], v[172:173]
	scratch_load_b128 v[144:147], off, off offset:656
	s_wait_loadcnt_dscnt 0xb01
	v_mul_f64_e32 v[172:173], v[4:5], v[130:131]
	v_mul_f64_e32 v[130:131], v[6:7], v[130:131]
	v_fmac_f64_e32 v[174:175], v[14:15], v[124:125]
	v_fma_f64 v[124:125], v[12:13], v[124:125], -v[126:127]
	scratch_load_b128 v[12:15], off, off offset:672
	v_add_f64_e32 v[126:127], v[178:179], v[176:177]
	v_add_f64_e32 v[168:169], v[168:169], v[170:171]
	s_wait_loadcnt_dscnt 0xb00
	v_mul_f64_e32 v[170:171], v[20:21], v[134:135]
	v_mul_f64_e32 v[134:135], v[22:23], v[134:135]
	v_fmac_f64_e32 v[172:173], v[6:7], v[128:129]
	v_fma_f64 v[176:177], v[4:5], v[128:129], -v[130:131]
	v_add_f64_e32 v[178:179], v[126:127], v[124:125]
	v_add_f64_e32 v[168:169], v[168:169], v[174:175]
	ds_load_b128 v[4:7], v2 offset:1312
	ds_load_b128 v[124:127], v2 offset:1328
	scratch_load_b128 v[128:131], off, off offset:688
	v_fmac_f64_e32 v[170:171], v[22:23], v[132:133]
	v_fma_f64 v[132:133], v[20:21], v[132:133], -v[134:135]
	scratch_load_b128 v[20:23], off, off offset:704
	s_wait_loadcnt_dscnt 0xc01
	v_mul_f64_e32 v[174:175], v[4:5], v[138:139]
	v_mul_f64_e32 v[138:139], v[6:7], v[138:139]
	v_add_f64_e32 v[134:135], v[178:179], v[176:177]
	v_add_f64_e32 v[168:169], v[168:169], v[172:173]
	s_wait_loadcnt_dscnt 0xb00
	v_mul_f64_e32 v[172:173], v[124:125], v[142:143]
	v_mul_f64_e32 v[142:143], v[126:127], v[142:143]
	v_fmac_f64_e32 v[174:175], v[6:7], v[136:137]
	v_fma_f64 v[176:177], v[4:5], v[136:137], -v[138:139]
	v_add_f64_e32 v[178:179], v[134:135], v[132:133]
	v_add_f64_e32 v[168:169], v[168:169], v[170:171]
	ds_load_b128 v[4:7], v2 offset:1344
	ds_load_b128 v[132:135], v2 offset:1360
	scratch_load_b128 v[136:139], off, off offset:720
	v_fmac_f64_e32 v[172:173], v[126:127], v[140:141]
	v_fma_f64 v[140:141], v[124:125], v[140:141], -v[142:143]
	scratch_load_b128 v[124:127], off, off offset:736
	s_wait_loadcnt_dscnt 0xc01
	v_mul_f64_e32 v[170:171], v[4:5], v[150:151]
	v_mul_f64_e32 v[150:151], v[6:7], v[150:151]
	;; [unrolled: 18-line block ×3, first 2 shown]
	v_add_f64_e32 v[162:163], v[178:179], v[176:177]
	v_add_f64_e32 v[168:169], v[168:169], v[170:171]
	s_wait_loadcnt_dscnt 0xa00
	v_mul_f64_e32 v[170:171], v[140:141], v[10:11]
	v_mul_f64_e32 v[10:11], v[142:143], v[10:11]
	v_fmac_f64_e32 v[172:173], v[6:7], v[164:165]
	v_fma_f64 v[164:165], v[4:5], v[164:165], -v[166:167]
	v_add_f64_e32 v[166:167], v[162:163], v[160:161]
	v_add_f64_e32 v[168:169], v[168:169], v[174:175]
	ds_load_b128 v[4:7], v2 offset:1408
	ds_load_b128 v[160:163], v2 offset:1424
	v_fmac_f64_e32 v[170:171], v[142:143], v[8:9]
	v_fma_f64 v[8:9], v[140:141], v[8:9], -v[10:11]
	s_wait_loadcnt_dscnt 0x901
	v_mul_f64_e32 v[174:175], v[4:5], v[154:155]
	v_mul_f64_e32 v[154:155], v[6:7], v[154:155]
	s_wait_loadcnt_dscnt 0x800
	v_mul_f64_e32 v[142:143], v[160:161], v[18:19]
	v_mul_f64_e32 v[18:19], v[162:163], v[18:19]
	v_add_f64_e32 v[10:11], v[166:167], v[164:165]
	v_add_f64_e32 v[140:141], v[168:169], v[172:173]
	v_fmac_f64_e32 v[174:175], v[6:7], v[152:153]
	v_fma_f64 v[152:153], v[4:5], v[152:153], -v[154:155]
	v_fmac_f64_e32 v[142:143], v[162:163], v[16:17]
	v_fma_f64 v[16:17], v[160:161], v[16:17], -v[18:19]
	v_add_f64_e32 v[154:155], v[10:11], v[8:9]
	v_add_f64_e32 v[140:141], v[140:141], v[170:171]
	ds_load_b128 v[4:7], v2 offset:1440
	ds_load_b128 v[8:11], v2 offset:1456
	s_wait_loadcnt_dscnt 0x701
	v_mul_f64_e32 v[164:165], v[4:5], v[146:147]
	v_mul_f64_e32 v[146:147], v[6:7], v[146:147]
	v_add_f64_e32 v[18:19], v[154:155], v[152:153]
	v_add_f64_e32 v[140:141], v[140:141], v[174:175]
	s_wait_loadcnt_dscnt 0x600
	v_mul_f64_e32 v[152:153], v[8:9], v[14:15]
	v_mul_f64_e32 v[154:155], v[10:11], v[14:15]
	v_fmac_f64_e32 v[164:165], v[6:7], v[144:145]
	v_fma_f64 v[144:145], v[4:5], v[144:145], -v[146:147]
	v_add_f64_e32 v[18:19], v[18:19], v[16:17]
	v_add_f64_e32 v[140:141], v[140:141], v[142:143]
	ds_load_b128 v[4:7], v2 offset:1472
	ds_load_b128 v[14:17], v2 offset:1488
	v_fmac_f64_e32 v[152:153], v[10:11], v[12:13]
	v_fma_f64 v[8:9], v[8:9], v[12:13], -v[154:155]
	s_wait_loadcnt_dscnt 0x501
	v_mul_f64_e32 v[142:143], v[4:5], v[130:131]
	v_mul_f64_e32 v[130:131], v[6:7], v[130:131]
	v_add_f64_e32 v[10:11], v[18:19], v[144:145]
	v_add_f64_e32 v[12:13], v[140:141], v[164:165]
	s_wait_loadcnt_dscnt 0x400
	v_mul_f64_e32 v[18:19], v[14:15], v[22:23]
	v_mul_f64_e32 v[22:23], v[16:17], v[22:23]
	v_fmac_f64_e32 v[142:143], v[6:7], v[128:129]
	v_fma_f64 v[128:129], v[4:5], v[128:129], -v[130:131]
	v_add_f64_e32 v[130:131], v[10:11], v[8:9]
	v_add_f64_e32 v[12:13], v[12:13], v[152:153]
	ds_load_b128 v[4:7], v2 offset:1504
	ds_load_b128 v[8:11], v2 offset:1520
	v_fmac_f64_e32 v[18:19], v[16:17], v[20:21]
	v_fma_f64 v[14:15], v[14:15], v[20:21], -v[22:23]
	s_wait_loadcnt_dscnt 0x301
	v_mul_f64_e32 v[140:141], v[4:5], v[138:139]
	v_mul_f64_e32 v[138:139], v[6:7], v[138:139]
	s_wait_loadcnt_dscnt 0x200
	v_mul_f64_e32 v[20:21], v[8:9], v[126:127]
	v_mul_f64_e32 v[22:23], v[10:11], v[126:127]
	v_add_f64_e32 v[16:17], v[130:131], v[128:129]
	v_add_f64_e32 v[12:13], v[12:13], v[142:143]
	v_fmac_f64_e32 v[140:141], v[6:7], v[136:137]
	v_fma_f64 v[126:127], v[4:5], v[136:137], -v[138:139]
	v_fmac_f64_e32 v[20:21], v[10:11], v[124:125]
	v_fma_f64 v[8:9], v[8:9], v[124:125], -v[22:23]
	v_add_f64_e32 v[16:17], v[16:17], v[14:15]
	v_add_f64_e32 v[18:19], v[12:13], v[18:19]
	ds_load_b128 v[4:7], v2 offset:1536
	ds_load_b128 v[12:15], v2 offset:1552
	s_wait_loadcnt_dscnt 0x101
	v_mul_f64_e32 v[2:3], v[4:5], v[150:151]
	v_mul_f64_e32 v[128:129], v[6:7], v[150:151]
	s_wait_loadcnt_dscnt 0x0
	v_mul_f64_e32 v[22:23], v[14:15], v[134:135]
	v_add_f64_e32 v[10:11], v[16:17], v[126:127]
	v_add_f64_e32 v[16:17], v[18:19], v[140:141]
	v_mul_f64_e32 v[18:19], v[12:13], v[134:135]
	v_fmac_f64_e32 v[2:3], v[6:7], v[148:149]
	v_fma_f64 v[4:5], v[4:5], v[148:149], -v[128:129]
	v_add_f64_e32 v[6:7], v[10:11], v[8:9]
	v_add_f64_e32 v[8:9], v[16:17], v[20:21]
	v_fmac_f64_e32 v[18:19], v[14:15], v[132:133]
	v_fma_f64 v[10:11], v[12:13], v[132:133], -v[22:23]
	s_delay_alu instid0(VALU_DEP_4) | instskip(NEXT) | instid1(VALU_DEP_4)
	v_add_f64_e32 v[4:5], v[6:7], v[4:5]
	v_add_f64_e32 v[2:3], v[8:9], v[2:3]
	s_delay_alu instid0(VALU_DEP_2) | instskip(NEXT) | instid1(VALU_DEP_2)
	v_add_f64_e32 v[4:5], v[4:5], v[10:11]
	v_add_f64_e32 v[6:7], v[2:3], v[18:19]
	s_delay_alu instid0(VALU_DEP_2) | instskip(NEXT) | instid1(VALU_DEP_2)
	v_add_f64_e64 v[2:3], v[156:157], -v[4:5]
	v_add_f64_e64 v[4:5], v[158:159], -v[6:7]
	scratch_store_b128 off, v[2:5], off offset:384
	s_wait_xcnt 0x0
	v_cmpx_lt_u32_e32 23, v1
	s_cbranch_execz .LBB112_261
; %bb.260:
	scratch_load_b128 v[2:5], off, s42
	v_mov_b32_e32 v6, 0
	s_delay_alu instid0(VALU_DEP_1)
	v_dual_mov_b32 v7, v6 :: v_dual_mov_b32 v8, v6
	v_mov_b32_e32 v9, v6
	scratch_store_b128 off, v[6:9], off offset:368
	s_wait_loadcnt 0x0
	ds_store_b128 v122, v[2:5]
.LBB112_261:
	s_wait_xcnt 0x0
	s_or_b32 exec_lo, exec_lo, s2
	s_wait_storecnt_dscnt 0x0
	s_barrier_signal -1
	s_barrier_wait -1
	s_clause 0x9
	scratch_load_b128 v[4:7], off, off offset:384
	scratch_load_b128 v[8:11], off, off offset:400
	;; [unrolled: 1-line block ×10, first 2 shown]
	v_mov_b32_e32 v2, 0
	s_mov_b32 s2, exec_lo
	ds_load_b128 v[144:147], v2 offset:1168
	s_clause 0x2
	scratch_load_b128 v[148:151], off, off offset:544
	scratch_load_b128 v[152:155], off, off offset:368
	;; [unrolled: 1-line block ×3, first 2 shown]
	s_wait_loadcnt_dscnt 0xc00
	v_mul_f64_e32 v[164:165], v[146:147], v[6:7]
	v_mul_f64_e32 v[168:169], v[144:145], v[6:7]
	ds_load_b128 v[156:159], v2 offset:1184
	v_fma_f64 v[172:173], v[144:145], v[4:5], -v[164:165]
	v_fmac_f64_e32 v[168:169], v[146:147], v[4:5]
	ds_load_b128 v[4:7], v2 offset:1200
	s_wait_loadcnt_dscnt 0xb01
	v_mul_f64_e32 v[170:171], v[156:157], v[10:11]
	v_mul_f64_e32 v[10:11], v[158:159], v[10:11]
	scratch_load_b128 v[144:147], off, off offset:576
	ds_load_b128 v[164:167], v2 offset:1216
	s_wait_loadcnt_dscnt 0xb01
	v_mul_f64_e32 v[174:175], v[4:5], v[14:15]
	v_mul_f64_e32 v[14:15], v[6:7], v[14:15]
	v_add_f64_e32 v[168:169], 0, v[168:169]
	v_fmac_f64_e32 v[170:171], v[158:159], v[8:9]
	v_fma_f64 v[156:157], v[156:157], v[8:9], -v[10:11]
	v_add_f64_e32 v[158:159], 0, v[172:173]
	scratch_load_b128 v[8:11], off, off offset:592
	v_fmac_f64_e32 v[174:175], v[6:7], v[12:13]
	v_fma_f64 v[176:177], v[4:5], v[12:13], -v[14:15]
	ds_load_b128 v[4:7], v2 offset:1232
	s_wait_loadcnt_dscnt 0xb01
	v_mul_f64_e32 v[172:173], v[164:165], v[18:19]
	v_mul_f64_e32 v[18:19], v[166:167], v[18:19]
	scratch_load_b128 v[12:15], off, off offset:608
	v_add_f64_e32 v[168:169], v[168:169], v[170:171]
	v_add_f64_e32 v[178:179], v[158:159], v[156:157]
	ds_load_b128 v[156:159], v2 offset:1248
	s_wait_loadcnt_dscnt 0xb01
	v_mul_f64_e32 v[170:171], v[4:5], v[22:23]
	v_mul_f64_e32 v[22:23], v[6:7], v[22:23]
	v_fmac_f64_e32 v[172:173], v[166:167], v[16:17]
	v_fma_f64 v[164:165], v[164:165], v[16:17], -v[18:19]
	scratch_load_b128 v[16:19], off, off offset:624
	v_add_f64_e32 v[168:169], v[168:169], v[174:175]
	v_add_f64_e32 v[166:167], v[178:179], v[176:177]
	v_fmac_f64_e32 v[170:171], v[6:7], v[20:21]
	v_fma_f64 v[176:177], v[4:5], v[20:21], -v[22:23]
	ds_load_b128 v[4:7], v2 offset:1264
	s_wait_loadcnt_dscnt 0xb01
	v_mul_f64_e32 v[174:175], v[156:157], v[126:127]
	v_mul_f64_e32 v[126:127], v[158:159], v[126:127]
	scratch_load_b128 v[20:23], off, off offset:640
	v_add_f64_e32 v[168:169], v[168:169], v[172:173]
	s_wait_loadcnt_dscnt 0xb00
	v_mul_f64_e32 v[172:173], v[4:5], v[130:131]
	v_add_f64_e32 v[178:179], v[166:167], v[164:165]
	v_mul_f64_e32 v[130:131], v[6:7], v[130:131]
	ds_load_b128 v[164:167], v2 offset:1280
	v_fmac_f64_e32 v[174:175], v[158:159], v[124:125]
	v_fma_f64 v[156:157], v[156:157], v[124:125], -v[126:127]
	scratch_load_b128 v[124:127], off, off offset:656
	v_add_f64_e32 v[168:169], v[168:169], v[170:171]
	v_fmac_f64_e32 v[172:173], v[6:7], v[128:129]
	v_add_f64_e32 v[158:159], v[178:179], v[176:177]
	v_fma_f64 v[176:177], v[4:5], v[128:129], -v[130:131]
	ds_load_b128 v[4:7], v2 offset:1296
	s_wait_loadcnt_dscnt 0xb01
	v_mul_f64_e32 v[170:171], v[164:165], v[134:135]
	v_mul_f64_e32 v[134:135], v[166:167], v[134:135]
	scratch_load_b128 v[128:131], off, off offset:672
	v_add_f64_e32 v[168:169], v[168:169], v[174:175]
	s_wait_loadcnt_dscnt 0xb00
	v_mul_f64_e32 v[174:175], v[4:5], v[138:139]
	v_add_f64_e32 v[178:179], v[158:159], v[156:157]
	v_mul_f64_e32 v[138:139], v[6:7], v[138:139]
	ds_load_b128 v[156:159], v2 offset:1312
	v_fmac_f64_e32 v[170:171], v[166:167], v[132:133]
	v_fma_f64 v[164:165], v[164:165], v[132:133], -v[134:135]
	scratch_load_b128 v[132:135], off, off offset:688
	v_add_f64_e32 v[168:169], v[168:169], v[172:173]
	v_fmac_f64_e32 v[174:175], v[6:7], v[136:137]
	v_add_f64_e32 v[166:167], v[178:179], v[176:177]
	v_fma_f64 v[176:177], v[4:5], v[136:137], -v[138:139]
	ds_load_b128 v[4:7], v2 offset:1328
	s_wait_loadcnt_dscnt 0xb01
	v_mul_f64_e32 v[172:173], v[156:157], v[142:143]
	v_mul_f64_e32 v[142:143], v[158:159], v[142:143]
	scratch_load_b128 v[136:139], off, off offset:704
	v_add_f64_e32 v[168:169], v[168:169], v[170:171]
	s_wait_loadcnt_dscnt 0xb00
	v_mul_f64_e32 v[170:171], v[4:5], v[150:151]
	v_add_f64_e32 v[178:179], v[166:167], v[164:165]
	v_mul_f64_e32 v[150:151], v[6:7], v[150:151]
	ds_load_b128 v[164:167], v2 offset:1344
	v_fmac_f64_e32 v[172:173], v[158:159], v[140:141]
	v_fma_f64 v[156:157], v[156:157], v[140:141], -v[142:143]
	scratch_load_b128 v[140:143], off, off offset:720
	v_add_f64_e32 v[168:169], v[168:169], v[174:175]
	v_fmac_f64_e32 v[170:171], v[6:7], v[148:149]
	v_add_f64_e32 v[158:159], v[178:179], v[176:177]
	v_fma_f64 v[176:177], v[4:5], v[148:149], -v[150:151]
	ds_load_b128 v[4:7], v2 offset:1360
	s_wait_loadcnt_dscnt 0xa01
	v_mul_f64_e32 v[174:175], v[164:165], v[162:163]
	v_mul_f64_e32 v[162:163], v[166:167], v[162:163]
	scratch_load_b128 v[148:151], off, off offset:736
	v_add_f64_e32 v[168:169], v[168:169], v[172:173]
	v_add_f64_e32 v[178:179], v[158:159], v[156:157]
	s_wait_loadcnt_dscnt 0xa00
	v_mul_f64_e32 v[172:173], v[4:5], v[146:147]
	v_mul_f64_e32 v[146:147], v[6:7], v[146:147]
	v_fmac_f64_e32 v[174:175], v[166:167], v[160:161]
	v_fma_f64 v[164:165], v[164:165], v[160:161], -v[162:163]
	ds_load_b128 v[156:159], v2 offset:1376
	scratch_load_b128 v[160:163], off, off offset:752
	v_add_f64_e32 v[168:169], v[168:169], v[170:171]
	v_add_f64_e32 v[166:167], v[178:179], v[176:177]
	v_fmac_f64_e32 v[172:173], v[6:7], v[144:145]
	v_fma_f64 v[176:177], v[4:5], v[144:145], -v[146:147]
	ds_load_b128 v[4:7], v2 offset:1392
	s_wait_loadcnt_dscnt 0xa01
	v_mul_f64_e32 v[170:171], v[156:157], v[10:11]
	v_mul_f64_e32 v[10:11], v[158:159], v[10:11]
	scratch_load_b128 v[144:147], off, off offset:768
	v_add_f64_e32 v[168:169], v[168:169], v[174:175]
	s_wait_loadcnt_dscnt 0xa00
	v_mul_f64_e32 v[174:175], v[4:5], v[14:15]
	v_add_f64_e32 v[178:179], v[166:167], v[164:165]
	v_mul_f64_e32 v[14:15], v[6:7], v[14:15]
	ds_load_b128 v[164:167], v2 offset:1408
	v_fmac_f64_e32 v[170:171], v[158:159], v[8:9]
	v_fma_f64 v[8:9], v[156:157], v[8:9], -v[10:11]
	s_wait_loadcnt_dscnt 0x900
	v_mul_f64_e32 v[158:159], v[164:165], v[18:19]
	v_mul_f64_e32 v[18:19], v[166:167], v[18:19]
	v_add_f64_e32 v[156:157], v[168:169], v[172:173]
	v_fmac_f64_e32 v[174:175], v[6:7], v[12:13]
	v_add_f64_e32 v[10:11], v[178:179], v[176:177]
	v_fma_f64 v[12:13], v[4:5], v[12:13], -v[14:15]
	v_fmac_f64_e32 v[158:159], v[166:167], v[16:17]
	v_fma_f64 v[16:17], v[164:165], v[16:17], -v[18:19]
	v_add_f64_e32 v[156:157], v[156:157], v[170:171]
	v_add_f64_e32 v[14:15], v[10:11], v[8:9]
	ds_load_b128 v[4:7], v2 offset:1424
	ds_load_b128 v[8:11], v2 offset:1440
	s_wait_loadcnt_dscnt 0x801
	v_mul_f64_e32 v[168:169], v[4:5], v[22:23]
	v_mul_f64_e32 v[22:23], v[6:7], v[22:23]
	s_wait_loadcnt_dscnt 0x700
	v_mul_f64_e32 v[18:19], v[8:9], v[126:127]
	v_mul_f64_e32 v[126:127], v[10:11], v[126:127]
	v_add_f64_e32 v[12:13], v[14:15], v[12:13]
	v_add_f64_e32 v[14:15], v[156:157], v[174:175]
	v_fmac_f64_e32 v[168:169], v[6:7], v[20:21]
	v_fma_f64 v[20:21], v[4:5], v[20:21], -v[22:23]
	v_fmac_f64_e32 v[18:19], v[10:11], v[124:125]
	v_fma_f64 v[8:9], v[8:9], v[124:125], -v[126:127]
	v_add_f64_e32 v[16:17], v[12:13], v[16:17]
	v_add_f64_e32 v[22:23], v[14:15], v[158:159]
	ds_load_b128 v[4:7], v2 offset:1456
	ds_load_b128 v[12:15], v2 offset:1472
	s_wait_loadcnt_dscnt 0x601
	v_mul_f64_e32 v[156:157], v[4:5], v[130:131]
	v_mul_f64_e32 v[130:131], v[6:7], v[130:131]
	v_add_f64_e32 v[10:11], v[16:17], v[20:21]
	v_add_f64_e32 v[16:17], v[22:23], v[168:169]
	s_wait_loadcnt_dscnt 0x500
	v_mul_f64_e32 v[20:21], v[12:13], v[134:135]
	v_mul_f64_e32 v[22:23], v[14:15], v[134:135]
	v_fmac_f64_e32 v[156:157], v[6:7], v[128:129]
	v_fma_f64 v[124:125], v[4:5], v[128:129], -v[130:131]
	v_add_f64_e32 v[126:127], v[10:11], v[8:9]
	v_add_f64_e32 v[16:17], v[16:17], v[18:19]
	ds_load_b128 v[4:7], v2 offset:1488
	ds_load_b128 v[8:11], v2 offset:1504
	v_fmac_f64_e32 v[20:21], v[14:15], v[132:133]
	v_fma_f64 v[12:13], v[12:13], v[132:133], -v[22:23]
	s_wait_loadcnt_dscnt 0x401
	v_mul_f64_e32 v[18:19], v[4:5], v[138:139]
	v_mul_f64_e32 v[128:129], v[6:7], v[138:139]
	s_wait_loadcnt_dscnt 0x300
	v_mul_f64_e32 v[22:23], v[8:9], v[142:143]
	v_add_f64_e32 v[14:15], v[126:127], v[124:125]
	v_add_f64_e32 v[16:17], v[16:17], v[156:157]
	v_mul_f64_e32 v[124:125], v[10:11], v[142:143]
	v_fmac_f64_e32 v[18:19], v[6:7], v[136:137]
	v_fma_f64 v[126:127], v[4:5], v[136:137], -v[128:129]
	v_fmac_f64_e32 v[22:23], v[10:11], v[140:141]
	v_add_f64_e32 v[128:129], v[14:15], v[12:13]
	v_add_f64_e32 v[16:17], v[16:17], v[20:21]
	ds_load_b128 v[4:7], v2 offset:1520
	ds_load_b128 v[12:15], v2 offset:1536
	v_fma_f64 v[8:9], v[8:9], v[140:141], -v[124:125]
	s_wait_loadcnt_dscnt 0x201
	v_mul_f64_e32 v[20:21], v[4:5], v[150:151]
	v_mul_f64_e32 v[130:131], v[6:7], v[150:151]
	s_wait_loadcnt_dscnt 0x100
	v_mul_f64_e32 v[124:125], v[14:15], v[162:163]
	v_add_f64_e32 v[10:11], v[128:129], v[126:127]
	v_add_f64_e32 v[16:17], v[16:17], v[18:19]
	v_mul_f64_e32 v[18:19], v[12:13], v[162:163]
	v_fmac_f64_e32 v[20:21], v[6:7], v[148:149]
	v_fma_f64 v[126:127], v[4:5], v[148:149], -v[130:131]
	ds_load_b128 v[4:7], v2 offset:1552
	v_fma_f64 v[12:13], v[12:13], v[160:161], -v[124:125]
	v_add_f64_e32 v[8:9], v[10:11], v[8:9]
	v_add_f64_e32 v[10:11], v[16:17], v[22:23]
	v_fmac_f64_e32 v[18:19], v[14:15], v[160:161]
	s_wait_loadcnt_dscnt 0x0
	v_mul_f64_e32 v[16:17], v[4:5], v[146:147]
	v_mul_f64_e32 v[22:23], v[6:7], v[146:147]
	v_add_f64_e32 v[8:9], v[8:9], v[126:127]
	v_add_f64_e32 v[10:11], v[10:11], v[20:21]
	s_delay_alu instid0(VALU_DEP_4) | instskip(NEXT) | instid1(VALU_DEP_4)
	v_fmac_f64_e32 v[16:17], v[6:7], v[144:145]
	v_fma_f64 v[4:5], v[4:5], v[144:145], -v[22:23]
	s_delay_alu instid0(VALU_DEP_4) | instskip(NEXT) | instid1(VALU_DEP_4)
	v_add_f64_e32 v[6:7], v[8:9], v[12:13]
	v_add_f64_e32 v[8:9], v[10:11], v[18:19]
	s_delay_alu instid0(VALU_DEP_2) | instskip(NEXT) | instid1(VALU_DEP_2)
	v_add_f64_e32 v[4:5], v[6:7], v[4:5]
	v_add_f64_e32 v[6:7], v[8:9], v[16:17]
	s_delay_alu instid0(VALU_DEP_2) | instskip(NEXT) | instid1(VALU_DEP_2)
	v_add_f64_e64 v[4:5], v[152:153], -v[4:5]
	v_add_f64_e64 v[6:7], v[154:155], -v[6:7]
	scratch_store_b128 off, v[4:7], off offset:368
	s_wait_xcnt 0x0
	v_cmpx_lt_u32_e32 22, v1
	s_cbranch_execz .LBB112_263
; %bb.262:
	scratch_load_b128 v[6:9], off, s43
	v_dual_mov_b32 v3, v2 :: v_dual_mov_b32 v4, v2
	v_mov_b32_e32 v5, v2
	scratch_store_b128 off, v[2:5], off offset:352
	s_wait_loadcnt 0x0
	ds_store_b128 v122, v[6:9]
.LBB112_263:
	s_wait_xcnt 0x0
	s_or_b32 exec_lo, exec_lo, s2
	s_wait_storecnt_dscnt 0x0
	s_barrier_signal -1
	s_barrier_wait -1
	s_clause 0x9
	scratch_load_b128 v[4:7], off, off offset:368
	scratch_load_b128 v[8:11], off, off offset:384
	;; [unrolled: 1-line block ×10, first 2 shown]
	ds_load_b128 v[144:147], v2 offset:1152
	ds_load_b128 v[152:155], v2 offset:1168
	s_clause 0x2
	scratch_load_b128 v[148:151], off, off offset:528
	scratch_load_b128 v[156:159], off, off offset:352
	;; [unrolled: 1-line block ×3, first 2 shown]
	s_mov_b32 s2, exec_lo
	s_wait_loadcnt_dscnt 0xc01
	v_mul_f64_e32 v[164:165], v[146:147], v[6:7]
	v_mul_f64_e32 v[168:169], v[144:145], v[6:7]
	s_wait_loadcnt_dscnt 0xb00
	v_mul_f64_e32 v[170:171], v[152:153], v[10:11]
	v_mul_f64_e32 v[10:11], v[154:155], v[10:11]
	s_delay_alu instid0(VALU_DEP_4) | instskip(NEXT) | instid1(VALU_DEP_4)
	v_fma_f64 v[172:173], v[144:145], v[4:5], -v[164:165]
	v_fmac_f64_e32 v[168:169], v[146:147], v[4:5]
	ds_load_b128 v[4:7], v2 offset:1184
	ds_load_b128 v[144:147], v2 offset:1200
	scratch_load_b128 v[164:167], off, off offset:560
	v_fmac_f64_e32 v[170:171], v[154:155], v[8:9]
	v_fma_f64 v[152:153], v[152:153], v[8:9], -v[10:11]
	scratch_load_b128 v[8:11], off, off offset:576
	s_wait_loadcnt_dscnt 0xc01
	v_mul_f64_e32 v[174:175], v[4:5], v[14:15]
	v_mul_f64_e32 v[14:15], v[6:7], v[14:15]
	v_add_f64_e32 v[154:155], 0, v[172:173]
	v_add_f64_e32 v[168:169], 0, v[168:169]
	s_wait_loadcnt_dscnt 0xb00
	v_mul_f64_e32 v[172:173], v[144:145], v[18:19]
	v_mul_f64_e32 v[18:19], v[146:147], v[18:19]
	v_fmac_f64_e32 v[174:175], v[6:7], v[12:13]
	v_fma_f64 v[176:177], v[4:5], v[12:13], -v[14:15]
	ds_load_b128 v[4:7], v2 offset:1216
	ds_load_b128 v[12:15], v2 offset:1232
	v_add_f64_e32 v[178:179], v[154:155], v[152:153]
	v_add_f64_e32 v[168:169], v[168:169], v[170:171]
	scratch_load_b128 v[152:155], off, off offset:592
	v_fmac_f64_e32 v[172:173], v[146:147], v[16:17]
	v_fma_f64 v[144:145], v[144:145], v[16:17], -v[18:19]
	scratch_load_b128 v[16:19], off, off offset:608
	s_wait_loadcnt_dscnt 0xc01
	v_mul_f64_e32 v[170:171], v[4:5], v[22:23]
	v_mul_f64_e32 v[22:23], v[6:7], v[22:23]
	v_add_f64_e32 v[146:147], v[178:179], v[176:177]
	v_add_f64_e32 v[168:169], v[168:169], v[174:175]
	s_wait_loadcnt_dscnt 0xb00
	v_mul_f64_e32 v[174:175], v[12:13], v[126:127]
	v_mul_f64_e32 v[126:127], v[14:15], v[126:127]
	v_fmac_f64_e32 v[170:171], v[6:7], v[20:21]
	v_fma_f64 v[176:177], v[4:5], v[20:21], -v[22:23]
	ds_load_b128 v[4:7], v2 offset:1248
	ds_load_b128 v[20:23], v2 offset:1264
	v_add_f64_e32 v[178:179], v[146:147], v[144:145]
	v_add_f64_e32 v[168:169], v[168:169], v[172:173]
	scratch_load_b128 v[144:147], off, off offset:624
	s_wait_loadcnt_dscnt 0xb01
	v_mul_f64_e32 v[172:173], v[4:5], v[130:131]
	v_mul_f64_e32 v[130:131], v[6:7], v[130:131]
	v_fmac_f64_e32 v[174:175], v[14:15], v[124:125]
	v_fma_f64 v[124:125], v[12:13], v[124:125], -v[126:127]
	scratch_load_b128 v[12:15], off, off offset:640
	v_add_f64_e32 v[126:127], v[178:179], v[176:177]
	v_add_f64_e32 v[168:169], v[168:169], v[170:171]
	s_wait_loadcnt_dscnt 0xb00
	v_mul_f64_e32 v[170:171], v[20:21], v[134:135]
	v_mul_f64_e32 v[134:135], v[22:23], v[134:135]
	v_fmac_f64_e32 v[172:173], v[6:7], v[128:129]
	v_fma_f64 v[176:177], v[4:5], v[128:129], -v[130:131]
	v_add_f64_e32 v[178:179], v[126:127], v[124:125]
	v_add_f64_e32 v[168:169], v[168:169], v[174:175]
	ds_load_b128 v[4:7], v2 offset:1280
	ds_load_b128 v[124:127], v2 offset:1296
	scratch_load_b128 v[128:131], off, off offset:656
	v_fmac_f64_e32 v[170:171], v[22:23], v[132:133]
	v_fma_f64 v[132:133], v[20:21], v[132:133], -v[134:135]
	scratch_load_b128 v[20:23], off, off offset:672
	s_wait_loadcnt_dscnt 0xc01
	v_mul_f64_e32 v[174:175], v[4:5], v[138:139]
	v_mul_f64_e32 v[138:139], v[6:7], v[138:139]
	v_add_f64_e32 v[134:135], v[178:179], v[176:177]
	v_add_f64_e32 v[168:169], v[168:169], v[172:173]
	s_wait_loadcnt_dscnt 0xb00
	v_mul_f64_e32 v[172:173], v[124:125], v[142:143]
	v_mul_f64_e32 v[142:143], v[126:127], v[142:143]
	v_fmac_f64_e32 v[174:175], v[6:7], v[136:137]
	v_fma_f64 v[176:177], v[4:5], v[136:137], -v[138:139]
	v_add_f64_e32 v[178:179], v[134:135], v[132:133]
	v_add_f64_e32 v[168:169], v[168:169], v[170:171]
	ds_load_b128 v[4:7], v2 offset:1312
	ds_load_b128 v[132:135], v2 offset:1328
	scratch_load_b128 v[136:139], off, off offset:688
	v_fmac_f64_e32 v[172:173], v[126:127], v[140:141]
	v_fma_f64 v[140:141], v[124:125], v[140:141], -v[142:143]
	scratch_load_b128 v[124:127], off, off offset:704
	s_wait_loadcnt_dscnt 0xc01
	v_mul_f64_e32 v[170:171], v[4:5], v[150:151]
	v_mul_f64_e32 v[150:151], v[6:7], v[150:151]
	;; [unrolled: 18-line block ×4, first 2 shown]
	v_add_f64_e32 v[142:143], v[178:179], v[176:177]
	v_add_f64_e32 v[168:169], v[168:169], v[172:173]
	s_wait_loadcnt_dscnt 0xa00
	v_mul_f64_e32 v[172:173], v[160:161], v[18:19]
	v_mul_f64_e32 v[18:19], v[162:163], v[18:19]
	v_fmac_f64_e32 v[174:175], v[6:7], v[152:153]
	v_fma_f64 v[152:153], v[4:5], v[152:153], -v[154:155]
	v_add_f64_e32 v[154:155], v[142:143], v[140:141]
	v_add_f64_e32 v[168:169], v[168:169], v[170:171]
	ds_load_b128 v[4:7], v2 offset:1408
	ds_load_b128 v[140:143], v2 offset:1424
	v_fmac_f64_e32 v[172:173], v[162:163], v[16:17]
	v_fma_f64 v[16:17], v[160:161], v[16:17], -v[18:19]
	s_wait_loadcnt_dscnt 0x901
	v_mul_f64_e32 v[170:171], v[4:5], v[146:147]
	v_mul_f64_e32 v[146:147], v[6:7], v[146:147]
	s_wait_loadcnt_dscnt 0x800
	v_mul_f64_e32 v[160:161], v[142:143], v[14:15]
	v_add_f64_e32 v[18:19], v[154:155], v[152:153]
	v_add_f64_e32 v[152:153], v[168:169], v[174:175]
	v_mul_f64_e32 v[154:155], v[140:141], v[14:15]
	v_fmac_f64_e32 v[170:171], v[6:7], v[144:145]
	v_fma_f64 v[144:145], v[4:5], v[144:145], -v[146:147]
	v_add_f64_e32 v[18:19], v[18:19], v[16:17]
	v_add_f64_e32 v[146:147], v[152:153], v[172:173]
	ds_load_b128 v[4:7], v2 offset:1440
	ds_load_b128 v[14:17], v2 offset:1456
	v_fmac_f64_e32 v[154:155], v[142:143], v[12:13]
	v_fma_f64 v[12:13], v[140:141], v[12:13], -v[160:161]
	s_wait_loadcnt_dscnt 0x701
	v_mul_f64_e32 v[152:153], v[4:5], v[130:131]
	v_mul_f64_e32 v[130:131], v[6:7], v[130:131]
	s_wait_loadcnt_dscnt 0x600
	v_mul_f64_e32 v[142:143], v[14:15], v[22:23]
	v_mul_f64_e32 v[22:23], v[16:17], v[22:23]
	v_add_f64_e32 v[18:19], v[18:19], v[144:145]
	v_add_f64_e32 v[140:141], v[146:147], v[170:171]
	v_fmac_f64_e32 v[152:153], v[6:7], v[128:129]
	v_fma_f64 v[144:145], v[4:5], v[128:129], -v[130:131]
	ds_load_b128 v[4:7], v2 offset:1472
	ds_load_b128 v[128:131], v2 offset:1488
	v_fmac_f64_e32 v[142:143], v[16:17], v[20:21]
	v_fma_f64 v[14:15], v[14:15], v[20:21], -v[22:23]
	v_add_f64_e32 v[12:13], v[18:19], v[12:13]
	v_add_f64_e32 v[18:19], v[140:141], v[154:155]
	s_wait_loadcnt_dscnt 0x501
	v_mul_f64_e32 v[140:141], v[4:5], v[138:139]
	v_mul_f64_e32 v[138:139], v[6:7], v[138:139]
	s_wait_loadcnt_dscnt 0x400
	v_mul_f64_e32 v[20:21], v[130:131], v[126:127]
	v_add_f64_e32 v[12:13], v[12:13], v[144:145]
	v_add_f64_e32 v[16:17], v[18:19], v[152:153]
	v_mul_f64_e32 v[18:19], v[128:129], v[126:127]
	v_fmac_f64_e32 v[140:141], v[6:7], v[136:137]
	v_fma_f64 v[22:23], v[4:5], v[136:137], -v[138:139]
	v_fma_f64 v[20:21], v[128:129], v[124:125], -v[20:21]
	v_add_f64_e32 v[126:127], v[12:13], v[14:15]
	v_add_f64_e32 v[16:17], v[16:17], v[142:143]
	ds_load_b128 v[4:7], v2 offset:1504
	ds_load_b128 v[12:15], v2 offset:1520
	v_fmac_f64_e32 v[18:19], v[130:131], v[124:125]
	s_wait_loadcnt_dscnt 0x301
	v_mul_f64_e32 v[136:137], v[4:5], v[150:151]
	v_mul_f64_e32 v[138:139], v[6:7], v[150:151]
	s_wait_loadcnt_dscnt 0x200
	v_mul_f64_e32 v[124:125], v[12:13], v[134:135]
	v_add_f64_e32 v[22:23], v[126:127], v[22:23]
	v_add_f64_e32 v[16:17], v[16:17], v[140:141]
	v_mul_f64_e32 v[126:127], v[14:15], v[134:135]
	v_fmac_f64_e32 v[136:137], v[6:7], v[148:149]
	v_fma_f64 v[128:129], v[4:5], v[148:149], -v[138:139]
	v_fmac_f64_e32 v[124:125], v[14:15], v[132:133]
	v_add_f64_e32 v[20:21], v[22:23], v[20:21]
	v_add_f64_e32 v[22:23], v[16:17], v[18:19]
	ds_load_b128 v[4:7], v2 offset:1536
	ds_load_b128 v[16:19], v2 offset:1552
	v_fma_f64 v[12:13], v[12:13], v[132:133], -v[126:127]
	s_wait_loadcnt_dscnt 0x101
	v_mul_f64_e32 v[2:3], v[4:5], v[166:167]
	v_mul_f64_e32 v[130:131], v[6:7], v[166:167]
	v_add_f64_e32 v[14:15], v[20:21], v[128:129]
	v_add_f64_e32 v[20:21], v[22:23], v[136:137]
	s_wait_loadcnt_dscnt 0x0
	v_mul_f64_e32 v[22:23], v[16:17], v[10:11]
	v_mul_f64_e32 v[10:11], v[18:19], v[10:11]
	v_fmac_f64_e32 v[2:3], v[6:7], v[164:165]
	v_fma_f64 v[4:5], v[4:5], v[164:165], -v[130:131]
	v_add_f64_e32 v[6:7], v[14:15], v[12:13]
	v_add_f64_e32 v[12:13], v[20:21], v[124:125]
	v_fmac_f64_e32 v[22:23], v[18:19], v[8:9]
	v_fma_f64 v[8:9], v[16:17], v[8:9], -v[10:11]
	s_delay_alu instid0(VALU_DEP_4) | instskip(NEXT) | instid1(VALU_DEP_4)
	v_add_f64_e32 v[4:5], v[6:7], v[4:5]
	v_add_f64_e32 v[2:3], v[12:13], v[2:3]
	s_delay_alu instid0(VALU_DEP_2) | instskip(NEXT) | instid1(VALU_DEP_2)
	v_add_f64_e32 v[4:5], v[4:5], v[8:9]
	v_add_f64_e32 v[6:7], v[2:3], v[22:23]
	s_delay_alu instid0(VALU_DEP_2) | instskip(NEXT) | instid1(VALU_DEP_2)
	v_add_f64_e64 v[2:3], v[156:157], -v[4:5]
	v_add_f64_e64 v[4:5], v[158:159], -v[6:7]
	scratch_store_b128 off, v[2:5], off offset:352
	s_wait_xcnt 0x0
	v_cmpx_lt_u32_e32 21, v1
	s_cbranch_execz .LBB112_265
; %bb.264:
	scratch_load_b128 v[2:5], off, s44
	v_mov_b32_e32 v6, 0
	s_delay_alu instid0(VALU_DEP_1)
	v_dual_mov_b32 v7, v6 :: v_dual_mov_b32 v8, v6
	v_mov_b32_e32 v9, v6
	scratch_store_b128 off, v[6:9], off offset:336
	s_wait_loadcnt 0x0
	ds_store_b128 v122, v[2:5]
.LBB112_265:
	s_wait_xcnt 0x0
	s_or_b32 exec_lo, exec_lo, s2
	s_wait_storecnt_dscnt 0x0
	s_barrier_signal -1
	s_barrier_wait -1
	s_clause 0x9
	scratch_load_b128 v[4:7], off, off offset:352
	scratch_load_b128 v[8:11], off, off offset:368
	;; [unrolled: 1-line block ×10, first 2 shown]
	v_mov_b32_e32 v2, 0
	s_mov_b32 s2, exec_lo
	ds_load_b128 v[144:147], v2 offset:1136
	s_clause 0x2
	scratch_load_b128 v[148:151], off, off offset:512
	scratch_load_b128 v[152:155], off, off offset:336
	;; [unrolled: 1-line block ×3, first 2 shown]
	s_wait_loadcnt_dscnt 0xc00
	v_mul_f64_e32 v[164:165], v[146:147], v[6:7]
	v_mul_f64_e32 v[168:169], v[144:145], v[6:7]
	ds_load_b128 v[156:159], v2 offset:1152
	v_fma_f64 v[172:173], v[144:145], v[4:5], -v[164:165]
	v_fmac_f64_e32 v[168:169], v[146:147], v[4:5]
	ds_load_b128 v[4:7], v2 offset:1168
	s_wait_loadcnt_dscnt 0xb01
	v_mul_f64_e32 v[170:171], v[156:157], v[10:11]
	v_mul_f64_e32 v[10:11], v[158:159], v[10:11]
	scratch_load_b128 v[144:147], off, off offset:544
	ds_load_b128 v[164:167], v2 offset:1184
	s_wait_loadcnt_dscnt 0xb01
	v_mul_f64_e32 v[174:175], v[4:5], v[14:15]
	v_mul_f64_e32 v[14:15], v[6:7], v[14:15]
	v_add_f64_e32 v[168:169], 0, v[168:169]
	v_fmac_f64_e32 v[170:171], v[158:159], v[8:9]
	v_fma_f64 v[156:157], v[156:157], v[8:9], -v[10:11]
	v_add_f64_e32 v[158:159], 0, v[172:173]
	scratch_load_b128 v[8:11], off, off offset:560
	v_fmac_f64_e32 v[174:175], v[6:7], v[12:13]
	v_fma_f64 v[176:177], v[4:5], v[12:13], -v[14:15]
	ds_load_b128 v[4:7], v2 offset:1200
	s_wait_loadcnt_dscnt 0xb01
	v_mul_f64_e32 v[172:173], v[164:165], v[18:19]
	v_mul_f64_e32 v[18:19], v[166:167], v[18:19]
	scratch_load_b128 v[12:15], off, off offset:576
	v_add_f64_e32 v[168:169], v[168:169], v[170:171]
	v_add_f64_e32 v[178:179], v[158:159], v[156:157]
	ds_load_b128 v[156:159], v2 offset:1216
	s_wait_loadcnt_dscnt 0xb01
	v_mul_f64_e32 v[170:171], v[4:5], v[22:23]
	v_mul_f64_e32 v[22:23], v[6:7], v[22:23]
	v_fmac_f64_e32 v[172:173], v[166:167], v[16:17]
	v_fma_f64 v[164:165], v[164:165], v[16:17], -v[18:19]
	scratch_load_b128 v[16:19], off, off offset:592
	v_add_f64_e32 v[168:169], v[168:169], v[174:175]
	v_add_f64_e32 v[166:167], v[178:179], v[176:177]
	v_fmac_f64_e32 v[170:171], v[6:7], v[20:21]
	v_fma_f64 v[176:177], v[4:5], v[20:21], -v[22:23]
	ds_load_b128 v[4:7], v2 offset:1232
	s_wait_loadcnt_dscnt 0xb01
	v_mul_f64_e32 v[174:175], v[156:157], v[126:127]
	v_mul_f64_e32 v[126:127], v[158:159], v[126:127]
	scratch_load_b128 v[20:23], off, off offset:608
	v_add_f64_e32 v[168:169], v[168:169], v[172:173]
	s_wait_loadcnt_dscnt 0xb00
	v_mul_f64_e32 v[172:173], v[4:5], v[130:131]
	v_add_f64_e32 v[178:179], v[166:167], v[164:165]
	v_mul_f64_e32 v[130:131], v[6:7], v[130:131]
	ds_load_b128 v[164:167], v2 offset:1248
	v_fmac_f64_e32 v[174:175], v[158:159], v[124:125]
	v_fma_f64 v[156:157], v[156:157], v[124:125], -v[126:127]
	scratch_load_b128 v[124:127], off, off offset:624
	v_add_f64_e32 v[168:169], v[168:169], v[170:171]
	v_fmac_f64_e32 v[172:173], v[6:7], v[128:129]
	v_add_f64_e32 v[158:159], v[178:179], v[176:177]
	v_fma_f64 v[176:177], v[4:5], v[128:129], -v[130:131]
	ds_load_b128 v[4:7], v2 offset:1264
	s_wait_loadcnt_dscnt 0xb01
	v_mul_f64_e32 v[170:171], v[164:165], v[134:135]
	v_mul_f64_e32 v[134:135], v[166:167], v[134:135]
	scratch_load_b128 v[128:131], off, off offset:640
	v_add_f64_e32 v[168:169], v[168:169], v[174:175]
	s_wait_loadcnt_dscnt 0xb00
	v_mul_f64_e32 v[174:175], v[4:5], v[138:139]
	v_add_f64_e32 v[178:179], v[158:159], v[156:157]
	v_mul_f64_e32 v[138:139], v[6:7], v[138:139]
	ds_load_b128 v[156:159], v2 offset:1280
	v_fmac_f64_e32 v[170:171], v[166:167], v[132:133]
	v_fma_f64 v[164:165], v[164:165], v[132:133], -v[134:135]
	scratch_load_b128 v[132:135], off, off offset:656
	v_add_f64_e32 v[168:169], v[168:169], v[172:173]
	v_fmac_f64_e32 v[174:175], v[6:7], v[136:137]
	v_add_f64_e32 v[166:167], v[178:179], v[176:177]
	;; [unrolled: 18-line block ×3, first 2 shown]
	v_fma_f64 v[176:177], v[4:5], v[148:149], -v[150:151]
	ds_load_b128 v[4:7], v2 offset:1328
	s_wait_loadcnt_dscnt 0xa01
	v_mul_f64_e32 v[174:175], v[164:165], v[162:163]
	v_mul_f64_e32 v[162:163], v[166:167], v[162:163]
	scratch_load_b128 v[148:151], off, off offset:704
	v_add_f64_e32 v[168:169], v[168:169], v[172:173]
	v_add_f64_e32 v[178:179], v[158:159], v[156:157]
	s_wait_loadcnt_dscnt 0xa00
	v_mul_f64_e32 v[172:173], v[4:5], v[146:147]
	v_mul_f64_e32 v[146:147], v[6:7], v[146:147]
	v_fmac_f64_e32 v[174:175], v[166:167], v[160:161]
	v_fma_f64 v[164:165], v[164:165], v[160:161], -v[162:163]
	ds_load_b128 v[156:159], v2 offset:1344
	scratch_load_b128 v[160:163], off, off offset:720
	v_add_f64_e32 v[168:169], v[168:169], v[170:171]
	v_add_f64_e32 v[166:167], v[178:179], v[176:177]
	v_fmac_f64_e32 v[172:173], v[6:7], v[144:145]
	v_fma_f64 v[176:177], v[4:5], v[144:145], -v[146:147]
	ds_load_b128 v[4:7], v2 offset:1360
	s_wait_loadcnt_dscnt 0xa01
	v_mul_f64_e32 v[170:171], v[156:157], v[10:11]
	v_mul_f64_e32 v[10:11], v[158:159], v[10:11]
	scratch_load_b128 v[144:147], off, off offset:736
	v_add_f64_e32 v[168:169], v[168:169], v[174:175]
	s_wait_loadcnt_dscnt 0xa00
	v_mul_f64_e32 v[174:175], v[4:5], v[14:15]
	v_add_f64_e32 v[178:179], v[166:167], v[164:165]
	v_mul_f64_e32 v[14:15], v[6:7], v[14:15]
	ds_load_b128 v[164:167], v2 offset:1376
	v_fmac_f64_e32 v[170:171], v[158:159], v[8:9]
	v_fma_f64 v[156:157], v[156:157], v[8:9], -v[10:11]
	scratch_load_b128 v[8:11], off, off offset:752
	v_add_f64_e32 v[168:169], v[168:169], v[172:173]
	v_fmac_f64_e32 v[174:175], v[6:7], v[12:13]
	v_add_f64_e32 v[158:159], v[178:179], v[176:177]
	v_fma_f64 v[176:177], v[4:5], v[12:13], -v[14:15]
	ds_load_b128 v[4:7], v2 offset:1392
	s_wait_loadcnt_dscnt 0xa01
	v_mul_f64_e32 v[172:173], v[164:165], v[18:19]
	v_mul_f64_e32 v[18:19], v[166:167], v[18:19]
	scratch_load_b128 v[12:15], off, off offset:768
	v_add_f64_e32 v[168:169], v[168:169], v[170:171]
	s_wait_loadcnt_dscnt 0xa00
	v_mul_f64_e32 v[170:171], v[4:5], v[22:23]
	v_add_f64_e32 v[178:179], v[158:159], v[156:157]
	v_mul_f64_e32 v[22:23], v[6:7], v[22:23]
	ds_load_b128 v[156:159], v2 offset:1408
	v_fmac_f64_e32 v[172:173], v[166:167], v[16:17]
	v_fma_f64 v[16:17], v[164:165], v[16:17], -v[18:19]
	s_wait_loadcnt_dscnt 0x900
	v_mul_f64_e32 v[166:167], v[156:157], v[126:127]
	v_mul_f64_e32 v[126:127], v[158:159], v[126:127]
	v_add_f64_e32 v[164:165], v[168:169], v[174:175]
	v_fmac_f64_e32 v[170:171], v[6:7], v[20:21]
	v_add_f64_e32 v[18:19], v[178:179], v[176:177]
	v_fma_f64 v[20:21], v[4:5], v[20:21], -v[22:23]
	v_fmac_f64_e32 v[166:167], v[158:159], v[124:125]
	v_fma_f64 v[124:125], v[156:157], v[124:125], -v[126:127]
	v_add_f64_e32 v[164:165], v[164:165], v[172:173]
	v_add_f64_e32 v[22:23], v[18:19], v[16:17]
	ds_load_b128 v[4:7], v2 offset:1424
	ds_load_b128 v[16:19], v2 offset:1440
	s_wait_loadcnt_dscnt 0x801
	v_mul_f64_e32 v[168:169], v[4:5], v[130:131]
	v_mul_f64_e32 v[130:131], v[6:7], v[130:131]
	s_wait_loadcnt_dscnt 0x700
	v_mul_f64_e32 v[126:127], v[16:17], v[134:135]
	v_mul_f64_e32 v[134:135], v[18:19], v[134:135]
	v_add_f64_e32 v[20:21], v[22:23], v[20:21]
	v_add_f64_e32 v[22:23], v[164:165], v[170:171]
	v_fmac_f64_e32 v[168:169], v[6:7], v[128:129]
	v_fma_f64 v[128:129], v[4:5], v[128:129], -v[130:131]
	v_fmac_f64_e32 v[126:127], v[18:19], v[132:133]
	v_fma_f64 v[16:17], v[16:17], v[132:133], -v[134:135]
	v_add_f64_e32 v[124:125], v[20:21], v[124:125]
	v_add_f64_e32 v[130:131], v[22:23], v[166:167]
	ds_load_b128 v[4:7], v2 offset:1456
	ds_load_b128 v[20:23], v2 offset:1472
	s_wait_loadcnt_dscnt 0x601
	v_mul_f64_e32 v[156:157], v[4:5], v[138:139]
	v_mul_f64_e32 v[138:139], v[6:7], v[138:139]
	v_add_f64_e32 v[18:19], v[124:125], v[128:129]
	v_add_f64_e32 v[124:125], v[130:131], v[168:169]
	s_wait_loadcnt_dscnt 0x500
	v_mul_f64_e32 v[128:129], v[20:21], v[142:143]
	v_mul_f64_e32 v[130:131], v[22:23], v[142:143]
	v_fmac_f64_e32 v[156:157], v[6:7], v[136:137]
	v_fma_f64 v[132:133], v[4:5], v[136:137], -v[138:139]
	v_add_f64_e32 v[134:135], v[18:19], v[16:17]
	v_add_f64_e32 v[124:125], v[124:125], v[126:127]
	ds_load_b128 v[4:7], v2 offset:1488
	ds_load_b128 v[16:19], v2 offset:1504
	v_fmac_f64_e32 v[128:129], v[22:23], v[140:141]
	v_fma_f64 v[20:21], v[20:21], v[140:141], -v[130:131]
	s_wait_loadcnt_dscnt 0x401
	v_mul_f64_e32 v[126:127], v[4:5], v[150:151]
	v_mul_f64_e32 v[136:137], v[6:7], v[150:151]
	s_wait_loadcnt_dscnt 0x300
	v_mul_f64_e32 v[130:131], v[16:17], v[162:163]
	v_add_f64_e32 v[22:23], v[134:135], v[132:133]
	v_add_f64_e32 v[124:125], v[124:125], v[156:157]
	v_mul_f64_e32 v[132:133], v[18:19], v[162:163]
	v_fmac_f64_e32 v[126:127], v[6:7], v[148:149]
	v_fma_f64 v[134:135], v[4:5], v[148:149], -v[136:137]
	v_fmac_f64_e32 v[130:131], v[18:19], v[160:161]
	v_add_f64_e32 v[136:137], v[22:23], v[20:21]
	v_add_f64_e32 v[124:125], v[124:125], v[128:129]
	ds_load_b128 v[4:7], v2 offset:1520
	ds_load_b128 v[20:23], v2 offset:1536
	v_fma_f64 v[16:17], v[16:17], v[160:161], -v[132:133]
	s_wait_loadcnt_dscnt 0x201
	v_mul_f64_e32 v[128:129], v[4:5], v[146:147]
	v_mul_f64_e32 v[138:139], v[6:7], v[146:147]
	v_add_f64_e32 v[18:19], v[136:137], v[134:135]
	v_add_f64_e32 v[124:125], v[124:125], v[126:127]
	s_wait_loadcnt_dscnt 0x100
	v_mul_f64_e32 v[126:127], v[20:21], v[10:11]
	v_mul_f64_e32 v[10:11], v[22:23], v[10:11]
	v_fmac_f64_e32 v[128:129], v[6:7], v[144:145]
	v_fma_f64 v[132:133], v[4:5], v[144:145], -v[138:139]
	ds_load_b128 v[4:7], v2 offset:1552
	v_add_f64_e32 v[16:17], v[18:19], v[16:17]
	v_add_f64_e32 v[18:19], v[124:125], v[130:131]
	v_fmac_f64_e32 v[126:127], v[22:23], v[8:9]
	v_fma_f64 v[8:9], v[20:21], v[8:9], -v[10:11]
	s_wait_loadcnt_dscnt 0x0
	v_mul_f64_e32 v[124:125], v[4:5], v[14:15]
	v_mul_f64_e32 v[14:15], v[6:7], v[14:15]
	v_add_f64_e32 v[10:11], v[16:17], v[132:133]
	v_add_f64_e32 v[16:17], v[18:19], v[128:129]
	s_delay_alu instid0(VALU_DEP_4) | instskip(NEXT) | instid1(VALU_DEP_4)
	v_fmac_f64_e32 v[124:125], v[6:7], v[12:13]
	v_fma_f64 v[4:5], v[4:5], v[12:13], -v[14:15]
	s_delay_alu instid0(VALU_DEP_4) | instskip(NEXT) | instid1(VALU_DEP_4)
	v_add_f64_e32 v[6:7], v[10:11], v[8:9]
	v_add_f64_e32 v[8:9], v[16:17], v[126:127]
	s_delay_alu instid0(VALU_DEP_2) | instskip(NEXT) | instid1(VALU_DEP_2)
	v_add_f64_e32 v[4:5], v[6:7], v[4:5]
	v_add_f64_e32 v[6:7], v[8:9], v[124:125]
	s_delay_alu instid0(VALU_DEP_2) | instskip(NEXT) | instid1(VALU_DEP_2)
	v_add_f64_e64 v[4:5], v[152:153], -v[4:5]
	v_add_f64_e64 v[6:7], v[154:155], -v[6:7]
	scratch_store_b128 off, v[4:7], off offset:336
	s_wait_xcnt 0x0
	v_cmpx_lt_u32_e32 20, v1
	s_cbranch_execz .LBB112_267
; %bb.266:
	scratch_load_b128 v[6:9], off, s45
	v_dual_mov_b32 v3, v2 :: v_dual_mov_b32 v4, v2
	v_mov_b32_e32 v5, v2
	scratch_store_b128 off, v[2:5], off offset:320
	s_wait_loadcnt 0x0
	ds_store_b128 v122, v[6:9]
.LBB112_267:
	s_wait_xcnt 0x0
	s_or_b32 exec_lo, exec_lo, s2
	s_wait_storecnt_dscnt 0x0
	s_barrier_signal -1
	s_barrier_wait -1
	s_clause 0x9
	scratch_load_b128 v[4:7], off, off offset:336
	scratch_load_b128 v[8:11], off, off offset:352
	;; [unrolled: 1-line block ×10, first 2 shown]
	ds_load_b128 v[144:147], v2 offset:1120
	ds_load_b128 v[152:155], v2 offset:1136
	s_clause 0x2
	scratch_load_b128 v[148:151], off, off offset:496
	scratch_load_b128 v[156:159], off, off offset:320
	;; [unrolled: 1-line block ×3, first 2 shown]
	s_mov_b32 s2, exec_lo
	s_wait_loadcnt_dscnt 0xc01
	v_mul_f64_e32 v[164:165], v[146:147], v[6:7]
	v_mul_f64_e32 v[168:169], v[144:145], v[6:7]
	s_wait_loadcnt_dscnt 0xb00
	v_mul_f64_e32 v[170:171], v[152:153], v[10:11]
	v_mul_f64_e32 v[10:11], v[154:155], v[10:11]
	s_delay_alu instid0(VALU_DEP_4) | instskip(NEXT) | instid1(VALU_DEP_4)
	v_fma_f64 v[172:173], v[144:145], v[4:5], -v[164:165]
	v_fmac_f64_e32 v[168:169], v[146:147], v[4:5]
	ds_load_b128 v[4:7], v2 offset:1152
	ds_load_b128 v[144:147], v2 offset:1168
	scratch_load_b128 v[164:167], off, off offset:528
	v_fmac_f64_e32 v[170:171], v[154:155], v[8:9]
	v_fma_f64 v[152:153], v[152:153], v[8:9], -v[10:11]
	scratch_load_b128 v[8:11], off, off offset:544
	s_wait_loadcnt_dscnt 0xc01
	v_mul_f64_e32 v[174:175], v[4:5], v[14:15]
	v_mul_f64_e32 v[14:15], v[6:7], v[14:15]
	v_add_f64_e32 v[154:155], 0, v[172:173]
	v_add_f64_e32 v[168:169], 0, v[168:169]
	s_wait_loadcnt_dscnt 0xb00
	v_mul_f64_e32 v[172:173], v[144:145], v[18:19]
	v_mul_f64_e32 v[18:19], v[146:147], v[18:19]
	v_fmac_f64_e32 v[174:175], v[6:7], v[12:13]
	v_fma_f64 v[176:177], v[4:5], v[12:13], -v[14:15]
	ds_load_b128 v[4:7], v2 offset:1184
	ds_load_b128 v[12:15], v2 offset:1200
	v_add_f64_e32 v[178:179], v[154:155], v[152:153]
	v_add_f64_e32 v[168:169], v[168:169], v[170:171]
	scratch_load_b128 v[152:155], off, off offset:560
	v_fmac_f64_e32 v[172:173], v[146:147], v[16:17]
	v_fma_f64 v[144:145], v[144:145], v[16:17], -v[18:19]
	scratch_load_b128 v[16:19], off, off offset:576
	s_wait_loadcnt_dscnt 0xc01
	v_mul_f64_e32 v[170:171], v[4:5], v[22:23]
	v_mul_f64_e32 v[22:23], v[6:7], v[22:23]
	v_add_f64_e32 v[146:147], v[178:179], v[176:177]
	v_add_f64_e32 v[168:169], v[168:169], v[174:175]
	s_wait_loadcnt_dscnt 0xb00
	v_mul_f64_e32 v[174:175], v[12:13], v[126:127]
	v_mul_f64_e32 v[126:127], v[14:15], v[126:127]
	v_fmac_f64_e32 v[170:171], v[6:7], v[20:21]
	v_fma_f64 v[176:177], v[4:5], v[20:21], -v[22:23]
	ds_load_b128 v[4:7], v2 offset:1216
	ds_load_b128 v[20:23], v2 offset:1232
	v_add_f64_e32 v[178:179], v[146:147], v[144:145]
	v_add_f64_e32 v[168:169], v[168:169], v[172:173]
	scratch_load_b128 v[144:147], off, off offset:592
	s_wait_loadcnt_dscnt 0xb01
	v_mul_f64_e32 v[172:173], v[4:5], v[130:131]
	v_mul_f64_e32 v[130:131], v[6:7], v[130:131]
	v_fmac_f64_e32 v[174:175], v[14:15], v[124:125]
	v_fma_f64 v[124:125], v[12:13], v[124:125], -v[126:127]
	scratch_load_b128 v[12:15], off, off offset:608
	v_add_f64_e32 v[126:127], v[178:179], v[176:177]
	v_add_f64_e32 v[168:169], v[168:169], v[170:171]
	s_wait_loadcnt_dscnt 0xb00
	v_mul_f64_e32 v[170:171], v[20:21], v[134:135]
	v_mul_f64_e32 v[134:135], v[22:23], v[134:135]
	v_fmac_f64_e32 v[172:173], v[6:7], v[128:129]
	v_fma_f64 v[176:177], v[4:5], v[128:129], -v[130:131]
	v_add_f64_e32 v[178:179], v[126:127], v[124:125]
	v_add_f64_e32 v[168:169], v[168:169], v[174:175]
	ds_load_b128 v[4:7], v2 offset:1248
	ds_load_b128 v[124:127], v2 offset:1264
	scratch_load_b128 v[128:131], off, off offset:624
	v_fmac_f64_e32 v[170:171], v[22:23], v[132:133]
	v_fma_f64 v[132:133], v[20:21], v[132:133], -v[134:135]
	scratch_load_b128 v[20:23], off, off offset:640
	s_wait_loadcnt_dscnt 0xc01
	v_mul_f64_e32 v[174:175], v[4:5], v[138:139]
	v_mul_f64_e32 v[138:139], v[6:7], v[138:139]
	v_add_f64_e32 v[134:135], v[178:179], v[176:177]
	v_add_f64_e32 v[168:169], v[168:169], v[172:173]
	s_wait_loadcnt_dscnt 0xb00
	v_mul_f64_e32 v[172:173], v[124:125], v[142:143]
	v_mul_f64_e32 v[142:143], v[126:127], v[142:143]
	v_fmac_f64_e32 v[174:175], v[6:7], v[136:137]
	v_fma_f64 v[176:177], v[4:5], v[136:137], -v[138:139]
	v_add_f64_e32 v[178:179], v[134:135], v[132:133]
	v_add_f64_e32 v[168:169], v[168:169], v[170:171]
	ds_load_b128 v[4:7], v2 offset:1280
	ds_load_b128 v[132:135], v2 offset:1296
	scratch_load_b128 v[136:139], off, off offset:656
	v_fmac_f64_e32 v[172:173], v[126:127], v[140:141]
	v_fma_f64 v[140:141], v[124:125], v[140:141], -v[142:143]
	scratch_load_b128 v[124:127], off, off offset:672
	s_wait_loadcnt_dscnt 0xc01
	v_mul_f64_e32 v[170:171], v[4:5], v[150:151]
	v_mul_f64_e32 v[150:151], v[6:7], v[150:151]
	;; [unrolled: 18-line block ×5, first 2 shown]
	v_add_f64_e32 v[162:163], v[178:179], v[176:177]
	v_add_f64_e32 v[168:169], v[168:169], v[174:175]
	s_wait_loadcnt_dscnt 0xa00
	v_mul_f64_e32 v[174:175], v[140:141], v[14:15]
	v_mul_f64_e32 v[14:15], v[142:143], v[14:15]
	v_fmac_f64_e32 v[170:171], v[6:7], v[144:145]
	v_fma_f64 v[176:177], v[4:5], v[144:145], -v[146:147]
	ds_load_b128 v[4:7], v2 offset:1408
	ds_load_b128 v[144:147], v2 offset:1424
	v_add_f64_e32 v[160:161], v[162:163], v[160:161]
	v_add_f64_e32 v[162:163], v[168:169], v[172:173]
	v_fmac_f64_e32 v[174:175], v[142:143], v[12:13]
	v_fma_f64 v[12:13], v[140:141], v[12:13], -v[14:15]
	s_wait_loadcnt_dscnt 0x901
	v_mul_f64_e32 v[168:169], v[4:5], v[130:131]
	v_mul_f64_e32 v[130:131], v[6:7], v[130:131]
	s_wait_loadcnt_dscnt 0x800
	v_mul_f64_e32 v[142:143], v[144:145], v[22:23]
	v_mul_f64_e32 v[22:23], v[146:147], v[22:23]
	v_add_f64_e32 v[14:15], v[160:161], v[176:177]
	v_add_f64_e32 v[140:141], v[162:163], v[170:171]
	v_fmac_f64_e32 v[168:169], v[6:7], v[128:129]
	v_fma_f64 v[128:129], v[4:5], v[128:129], -v[130:131]
	v_fmac_f64_e32 v[142:143], v[146:147], v[20:21]
	v_fma_f64 v[20:21], v[144:145], v[20:21], -v[22:23]
	v_add_f64_e32 v[130:131], v[14:15], v[12:13]
	v_add_f64_e32 v[140:141], v[140:141], v[174:175]
	ds_load_b128 v[4:7], v2 offset:1440
	ds_load_b128 v[12:15], v2 offset:1456
	s_wait_loadcnt_dscnt 0x701
	v_mul_f64_e32 v[160:161], v[4:5], v[138:139]
	v_mul_f64_e32 v[138:139], v[6:7], v[138:139]
	v_add_f64_e32 v[22:23], v[130:131], v[128:129]
	v_add_f64_e32 v[128:129], v[140:141], v[168:169]
	s_wait_loadcnt_dscnt 0x600
	v_mul_f64_e32 v[130:131], v[12:13], v[126:127]
	v_mul_f64_e32 v[126:127], v[14:15], v[126:127]
	v_fmac_f64_e32 v[160:161], v[6:7], v[136:137]
	v_fma_f64 v[136:137], v[4:5], v[136:137], -v[138:139]
	v_add_f64_e32 v[138:139], v[22:23], v[20:21]
	v_add_f64_e32 v[128:129], v[128:129], v[142:143]
	ds_load_b128 v[4:7], v2 offset:1472
	ds_load_b128 v[20:23], v2 offset:1488
	v_fmac_f64_e32 v[130:131], v[14:15], v[124:125]
	v_fma_f64 v[12:13], v[12:13], v[124:125], -v[126:127]
	s_wait_loadcnt_dscnt 0x501
	v_mul_f64_e32 v[140:141], v[4:5], v[150:151]
	v_mul_f64_e32 v[142:143], v[6:7], v[150:151]
	s_wait_loadcnt_dscnt 0x400
	v_mul_f64_e32 v[126:127], v[20:21], v[134:135]
	v_add_f64_e32 v[14:15], v[138:139], v[136:137]
	v_add_f64_e32 v[124:125], v[128:129], v[160:161]
	v_mul_f64_e32 v[128:129], v[22:23], v[134:135]
	v_fmac_f64_e32 v[140:141], v[6:7], v[148:149]
	v_fma_f64 v[134:135], v[4:5], v[148:149], -v[142:143]
	v_fmac_f64_e32 v[126:127], v[22:23], v[132:133]
	v_add_f64_e32 v[136:137], v[14:15], v[12:13]
	v_add_f64_e32 v[124:125], v[124:125], v[130:131]
	ds_load_b128 v[4:7], v2 offset:1504
	ds_load_b128 v[12:15], v2 offset:1520
	v_fma_f64 v[20:21], v[20:21], v[132:133], -v[128:129]
	s_wait_loadcnt_dscnt 0x301
	v_mul_f64_e32 v[130:131], v[4:5], v[166:167]
	v_mul_f64_e32 v[138:139], v[6:7], v[166:167]
	s_wait_loadcnt_dscnt 0x200
	v_mul_f64_e32 v[128:129], v[12:13], v[10:11]
	v_mul_f64_e32 v[10:11], v[14:15], v[10:11]
	v_add_f64_e32 v[22:23], v[136:137], v[134:135]
	v_add_f64_e32 v[124:125], v[124:125], v[140:141]
	v_fmac_f64_e32 v[130:131], v[6:7], v[164:165]
	v_fma_f64 v[132:133], v[4:5], v[164:165], -v[138:139]
	v_fmac_f64_e32 v[128:129], v[14:15], v[8:9]
	v_fma_f64 v[8:9], v[12:13], v[8:9], -v[10:11]
	v_add_f64_e32 v[134:135], v[22:23], v[20:21]
	v_add_f64_e32 v[124:125], v[124:125], v[126:127]
	ds_load_b128 v[4:7], v2 offset:1536
	ds_load_b128 v[20:23], v2 offset:1552
	s_wait_loadcnt_dscnt 0x101
	v_mul_f64_e32 v[2:3], v[4:5], v[154:155]
	v_mul_f64_e32 v[126:127], v[6:7], v[154:155]
	s_wait_loadcnt_dscnt 0x0
	v_mul_f64_e32 v[14:15], v[20:21], v[18:19]
	v_mul_f64_e32 v[18:19], v[22:23], v[18:19]
	v_add_f64_e32 v[10:11], v[134:135], v[132:133]
	v_add_f64_e32 v[12:13], v[124:125], v[130:131]
	v_fmac_f64_e32 v[2:3], v[6:7], v[152:153]
	v_fma_f64 v[4:5], v[4:5], v[152:153], -v[126:127]
	v_fmac_f64_e32 v[14:15], v[22:23], v[16:17]
	v_add_f64_e32 v[6:7], v[10:11], v[8:9]
	v_add_f64_e32 v[8:9], v[12:13], v[128:129]
	v_fma_f64 v[10:11], v[20:21], v[16:17], -v[18:19]
	s_delay_alu instid0(VALU_DEP_3) | instskip(NEXT) | instid1(VALU_DEP_3)
	v_add_f64_e32 v[4:5], v[6:7], v[4:5]
	v_add_f64_e32 v[2:3], v[8:9], v[2:3]
	s_delay_alu instid0(VALU_DEP_2) | instskip(NEXT) | instid1(VALU_DEP_2)
	v_add_f64_e32 v[4:5], v[4:5], v[10:11]
	v_add_f64_e32 v[6:7], v[2:3], v[14:15]
	s_delay_alu instid0(VALU_DEP_2) | instskip(NEXT) | instid1(VALU_DEP_2)
	v_add_f64_e64 v[2:3], v[156:157], -v[4:5]
	v_add_f64_e64 v[4:5], v[158:159], -v[6:7]
	scratch_store_b128 off, v[2:5], off offset:320
	s_wait_xcnt 0x0
	v_cmpx_lt_u32_e32 19, v1
	s_cbranch_execz .LBB112_269
; %bb.268:
	scratch_load_b128 v[2:5], off, s46
	v_mov_b32_e32 v6, 0
	s_delay_alu instid0(VALU_DEP_1)
	v_dual_mov_b32 v7, v6 :: v_dual_mov_b32 v8, v6
	v_mov_b32_e32 v9, v6
	scratch_store_b128 off, v[6:9], off offset:304
	s_wait_loadcnt 0x0
	ds_store_b128 v122, v[2:5]
.LBB112_269:
	s_wait_xcnt 0x0
	s_or_b32 exec_lo, exec_lo, s2
	s_wait_storecnt_dscnt 0x0
	s_barrier_signal -1
	s_barrier_wait -1
	s_clause 0x9
	scratch_load_b128 v[4:7], off, off offset:320
	scratch_load_b128 v[8:11], off, off offset:336
	;; [unrolled: 1-line block ×10, first 2 shown]
	v_mov_b32_e32 v2, 0
	s_mov_b32 s2, exec_lo
	ds_load_b128 v[144:147], v2 offset:1104
	s_clause 0x2
	scratch_load_b128 v[148:151], off, off offset:480
	scratch_load_b128 v[152:155], off, off offset:304
	;; [unrolled: 1-line block ×3, first 2 shown]
	s_wait_loadcnt_dscnt 0xc00
	v_mul_f64_e32 v[164:165], v[146:147], v[6:7]
	v_mul_f64_e32 v[168:169], v[144:145], v[6:7]
	ds_load_b128 v[156:159], v2 offset:1120
	v_fma_f64 v[172:173], v[144:145], v[4:5], -v[164:165]
	v_fmac_f64_e32 v[168:169], v[146:147], v[4:5]
	ds_load_b128 v[4:7], v2 offset:1136
	s_wait_loadcnt_dscnt 0xb01
	v_mul_f64_e32 v[170:171], v[156:157], v[10:11]
	v_mul_f64_e32 v[10:11], v[158:159], v[10:11]
	scratch_load_b128 v[144:147], off, off offset:512
	ds_load_b128 v[164:167], v2 offset:1152
	s_wait_loadcnt_dscnt 0xb01
	v_mul_f64_e32 v[174:175], v[4:5], v[14:15]
	v_mul_f64_e32 v[14:15], v[6:7], v[14:15]
	v_add_f64_e32 v[168:169], 0, v[168:169]
	v_fmac_f64_e32 v[170:171], v[158:159], v[8:9]
	v_fma_f64 v[156:157], v[156:157], v[8:9], -v[10:11]
	v_add_f64_e32 v[158:159], 0, v[172:173]
	scratch_load_b128 v[8:11], off, off offset:528
	v_fmac_f64_e32 v[174:175], v[6:7], v[12:13]
	v_fma_f64 v[176:177], v[4:5], v[12:13], -v[14:15]
	ds_load_b128 v[4:7], v2 offset:1168
	s_wait_loadcnt_dscnt 0xb01
	v_mul_f64_e32 v[172:173], v[164:165], v[18:19]
	v_mul_f64_e32 v[18:19], v[166:167], v[18:19]
	scratch_load_b128 v[12:15], off, off offset:544
	v_add_f64_e32 v[168:169], v[168:169], v[170:171]
	v_add_f64_e32 v[178:179], v[158:159], v[156:157]
	ds_load_b128 v[156:159], v2 offset:1184
	s_wait_loadcnt_dscnt 0xb01
	v_mul_f64_e32 v[170:171], v[4:5], v[22:23]
	v_mul_f64_e32 v[22:23], v[6:7], v[22:23]
	v_fmac_f64_e32 v[172:173], v[166:167], v[16:17]
	v_fma_f64 v[164:165], v[164:165], v[16:17], -v[18:19]
	scratch_load_b128 v[16:19], off, off offset:560
	v_add_f64_e32 v[168:169], v[168:169], v[174:175]
	v_add_f64_e32 v[166:167], v[178:179], v[176:177]
	v_fmac_f64_e32 v[170:171], v[6:7], v[20:21]
	v_fma_f64 v[176:177], v[4:5], v[20:21], -v[22:23]
	ds_load_b128 v[4:7], v2 offset:1200
	s_wait_loadcnt_dscnt 0xb01
	v_mul_f64_e32 v[174:175], v[156:157], v[126:127]
	v_mul_f64_e32 v[126:127], v[158:159], v[126:127]
	scratch_load_b128 v[20:23], off, off offset:576
	v_add_f64_e32 v[168:169], v[168:169], v[172:173]
	s_wait_loadcnt_dscnt 0xb00
	v_mul_f64_e32 v[172:173], v[4:5], v[130:131]
	v_add_f64_e32 v[178:179], v[166:167], v[164:165]
	v_mul_f64_e32 v[130:131], v[6:7], v[130:131]
	ds_load_b128 v[164:167], v2 offset:1216
	v_fmac_f64_e32 v[174:175], v[158:159], v[124:125]
	v_fma_f64 v[156:157], v[156:157], v[124:125], -v[126:127]
	scratch_load_b128 v[124:127], off, off offset:592
	v_add_f64_e32 v[168:169], v[168:169], v[170:171]
	v_fmac_f64_e32 v[172:173], v[6:7], v[128:129]
	v_add_f64_e32 v[158:159], v[178:179], v[176:177]
	v_fma_f64 v[176:177], v[4:5], v[128:129], -v[130:131]
	ds_load_b128 v[4:7], v2 offset:1232
	s_wait_loadcnt_dscnt 0xb01
	v_mul_f64_e32 v[170:171], v[164:165], v[134:135]
	v_mul_f64_e32 v[134:135], v[166:167], v[134:135]
	scratch_load_b128 v[128:131], off, off offset:608
	v_add_f64_e32 v[168:169], v[168:169], v[174:175]
	s_wait_loadcnt_dscnt 0xb00
	v_mul_f64_e32 v[174:175], v[4:5], v[138:139]
	v_add_f64_e32 v[178:179], v[158:159], v[156:157]
	v_mul_f64_e32 v[138:139], v[6:7], v[138:139]
	ds_load_b128 v[156:159], v2 offset:1248
	v_fmac_f64_e32 v[170:171], v[166:167], v[132:133]
	v_fma_f64 v[164:165], v[164:165], v[132:133], -v[134:135]
	scratch_load_b128 v[132:135], off, off offset:624
	v_add_f64_e32 v[168:169], v[168:169], v[172:173]
	v_fmac_f64_e32 v[174:175], v[6:7], v[136:137]
	v_add_f64_e32 v[166:167], v[178:179], v[176:177]
	;; [unrolled: 18-line block ×3, first 2 shown]
	v_fma_f64 v[176:177], v[4:5], v[148:149], -v[150:151]
	ds_load_b128 v[4:7], v2 offset:1296
	s_wait_loadcnt_dscnt 0xa01
	v_mul_f64_e32 v[174:175], v[164:165], v[162:163]
	v_mul_f64_e32 v[162:163], v[166:167], v[162:163]
	scratch_load_b128 v[148:151], off, off offset:672
	v_add_f64_e32 v[168:169], v[168:169], v[172:173]
	v_add_f64_e32 v[178:179], v[158:159], v[156:157]
	s_wait_loadcnt_dscnt 0xa00
	v_mul_f64_e32 v[172:173], v[4:5], v[146:147]
	v_mul_f64_e32 v[146:147], v[6:7], v[146:147]
	v_fmac_f64_e32 v[174:175], v[166:167], v[160:161]
	v_fma_f64 v[164:165], v[164:165], v[160:161], -v[162:163]
	ds_load_b128 v[156:159], v2 offset:1312
	scratch_load_b128 v[160:163], off, off offset:688
	v_add_f64_e32 v[168:169], v[168:169], v[170:171]
	v_add_f64_e32 v[166:167], v[178:179], v[176:177]
	v_fmac_f64_e32 v[172:173], v[6:7], v[144:145]
	v_fma_f64 v[176:177], v[4:5], v[144:145], -v[146:147]
	ds_load_b128 v[4:7], v2 offset:1328
	s_wait_loadcnt_dscnt 0xa01
	v_mul_f64_e32 v[170:171], v[156:157], v[10:11]
	v_mul_f64_e32 v[10:11], v[158:159], v[10:11]
	scratch_load_b128 v[144:147], off, off offset:704
	v_add_f64_e32 v[168:169], v[168:169], v[174:175]
	s_wait_loadcnt_dscnt 0xa00
	v_mul_f64_e32 v[174:175], v[4:5], v[14:15]
	v_add_f64_e32 v[178:179], v[166:167], v[164:165]
	v_mul_f64_e32 v[14:15], v[6:7], v[14:15]
	ds_load_b128 v[164:167], v2 offset:1344
	v_fmac_f64_e32 v[170:171], v[158:159], v[8:9]
	v_fma_f64 v[156:157], v[156:157], v[8:9], -v[10:11]
	scratch_load_b128 v[8:11], off, off offset:720
	v_add_f64_e32 v[168:169], v[168:169], v[172:173]
	v_fmac_f64_e32 v[174:175], v[6:7], v[12:13]
	v_add_f64_e32 v[158:159], v[178:179], v[176:177]
	v_fma_f64 v[176:177], v[4:5], v[12:13], -v[14:15]
	ds_load_b128 v[4:7], v2 offset:1360
	s_wait_loadcnt_dscnt 0xa01
	v_mul_f64_e32 v[172:173], v[164:165], v[18:19]
	v_mul_f64_e32 v[18:19], v[166:167], v[18:19]
	scratch_load_b128 v[12:15], off, off offset:736
	v_add_f64_e32 v[168:169], v[168:169], v[170:171]
	s_wait_loadcnt_dscnt 0xa00
	v_mul_f64_e32 v[170:171], v[4:5], v[22:23]
	v_add_f64_e32 v[178:179], v[158:159], v[156:157]
	v_mul_f64_e32 v[22:23], v[6:7], v[22:23]
	ds_load_b128 v[156:159], v2 offset:1376
	v_fmac_f64_e32 v[172:173], v[166:167], v[16:17]
	v_fma_f64 v[164:165], v[164:165], v[16:17], -v[18:19]
	scratch_load_b128 v[16:19], off, off offset:752
	v_add_f64_e32 v[168:169], v[168:169], v[174:175]
	v_fmac_f64_e32 v[170:171], v[6:7], v[20:21]
	v_add_f64_e32 v[166:167], v[178:179], v[176:177]
	v_fma_f64 v[176:177], v[4:5], v[20:21], -v[22:23]
	ds_load_b128 v[4:7], v2 offset:1392
	s_wait_loadcnt_dscnt 0xa01
	v_mul_f64_e32 v[174:175], v[156:157], v[126:127]
	v_mul_f64_e32 v[126:127], v[158:159], v[126:127]
	scratch_load_b128 v[20:23], off, off offset:768
	v_add_f64_e32 v[168:169], v[168:169], v[172:173]
	s_wait_loadcnt_dscnt 0xa00
	v_mul_f64_e32 v[172:173], v[4:5], v[130:131]
	v_add_f64_e32 v[178:179], v[166:167], v[164:165]
	v_mul_f64_e32 v[130:131], v[6:7], v[130:131]
	ds_load_b128 v[164:167], v2 offset:1408
	v_fmac_f64_e32 v[174:175], v[158:159], v[124:125]
	v_fma_f64 v[124:125], v[156:157], v[124:125], -v[126:127]
	s_wait_loadcnt_dscnt 0x900
	v_mul_f64_e32 v[158:159], v[164:165], v[134:135]
	v_mul_f64_e32 v[134:135], v[166:167], v[134:135]
	v_add_f64_e32 v[156:157], v[168:169], v[170:171]
	v_fmac_f64_e32 v[172:173], v[6:7], v[128:129]
	v_add_f64_e32 v[126:127], v[178:179], v[176:177]
	v_fma_f64 v[128:129], v[4:5], v[128:129], -v[130:131]
	v_fmac_f64_e32 v[158:159], v[166:167], v[132:133]
	v_fma_f64 v[132:133], v[164:165], v[132:133], -v[134:135]
	v_add_f64_e32 v[156:157], v[156:157], v[174:175]
	v_add_f64_e32 v[130:131], v[126:127], v[124:125]
	ds_load_b128 v[4:7], v2 offset:1424
	ds_load_b128 v[124:127], v2 offset:1440
	s_wait_loadcnt_dscnt 0x801
	v_mul_f64_e32 v[168:169], v[4:5], v[138:139]
	v_mul_f64_e32 v[138:139], v[6:7], v[138:139]
	s_wait_loadcnt_dscnt 0x700
	v_mul_f64_e32 v[134:135], v[124:125], v[142:143]
	v_mul_f64_e32 v[142:143], v[126:127], v[142:143]
	v_add_f64_e32 v[128:129], v[130:131], v[128:129]
	v_add_f64_e32 v[130:131], v[156:157], v[172:173]
	v_fmac_f64_e32 v[168:169], v[6:7], v[136:137]
	v_fma_f64 v[136:137], v[4:5], v[136:137], -v[138:139]
	v_fmac_f64_e32 v[134:135], v[126:127], v[140:141]
	v_fma_f64 v[124:125], v[124:125], v[140:141], -v[142:143]
	v_add_f64_e32 v[132:133], v[128:129], v[132:133]
	v_add_f64_e32 v[138:139], v[130:131], v[158:159]
	ds_load_b128 v[4:7], v2 offset:1456
	ds_load_b128 v[128:131], v2 offset:1472
	s_wait_loadcnt_dscnt 0x601
	v_mul_f64_e32 v[156:157], v[4:5], v[150:151]
	v_mul_f64_e32 v[150:151], v[6:7], v[150:151]
	v_add_f64_e32 v[126:127], v[132:133], v[136:137]
	v_add_f64_e32 v[132:133], v[138:139], v[168:169]
	s_wait_loadcnt_dscnt 0x500
	v_mul_f64_e32 v[136:137], v[128:129], v[162:163]
	v_mul_f64_e32 v[138:139], v[130:131], v[162:163]
	v_fmac_f64_e32 v[156:157], v[6:7], v[148:149]
	v_fma_f64 v[140:141], v[4:5], v[148:149], -v[150:151]
	v_add_f64_e32 v[142:143], v[126:127], v[124:125]
	v_add_f64_e32 v[132:133], v[132:133], v[134:135]
	ds_load_b128 v[4:7], v2 offset:1488
	ds_load_b128 v[124:127], v2 offset:1504
	v_fmac_f64_e32 v[136:137], v[130:131], v[160:161]
	v_fma_f64 v[128:129], v[128:129], v[160:161], -v[138:139]
	s_wait_loadcnt_dscnt 0x401
	v_mul_f64_e32 v[134:135], v[4:5], v[146:147]
	v_mul_f64_e32 v[146:147], v[6:7], v[146:147]
	s_wait_loadcnt_dscnt 0x300
	v_mul_f64_e32 v[138:139], v[124:125], v[10:11]
	v_mul_f64_e32 v[10:11], v[126:127], v[10:11]
	v_add_f64_e32 v[130:131], v[142:143], v[140:141]
	v_add_f64_e32 v[132:133], v[132:133], v[156:157]
	v_fmac_f64_e32 v[134:135], v[6:7], v[144:145]
	v_fma_f64 v[140:141], v[4:5], v[144:145], -v[146:147]
	v_fmac_f64_e32 v[138:139], v[126:127], v[8:9]
	v_fma_f64 v[8:9], v[124:125], v[8:9], -v[10:11]
	v_add_f64_e32 v[142:143], v[130:131], v[128:129]
	v_add_f64_e32 v[132:133], v[132:133], v[136:137]
	ds_load_b128 v[4:7], v2 offset:1520
	ds_load_b128 v[128:131], v2 offset:1536
	s_wait_loadcnt_dscnt 0x201
	v_mul_f64_e32 v[136:137], v[4:5], v[14:15]
	v_mul_f64_e32 v[14:15], v[6:7], v[14:15]
	s_wait_loadcnt_dscnt 0x100
	v_mul_f64_e32 v[126:127], v[128:129], v[18:19]
	v_mul_f64_e32 v[18:19], v[130:131], v[18:19]
	v_add_f64_e32 v[10:11], v[142:143], v[140:141]
	v_add_f64_e32 v[124:125], v[132:133], v[134:135]
	v_fmac_f64_e32 v[136:137], v[6:7], v[12:13]
	v_fma_f64 v[12:13], v[4:5], v[12:13], -v[14:15]
	ds_load_b128 v[4:7], v2 offset:1552
	v_fmac_f64_e32 v[126:127], v[130:131], v[16:17]
	v_fma_f64 v[16:17], v[128:129], v[16:17], -v[18:19]
	v_add_f64_e32 v[8:9], v[10:11], v[8:9]
	v_add_f64_e32 v[10:11], v[124:125], v[138:139]
	s_wait_loadcnt_dscnt 0x0
	v_mul_f64_e32 v[14:15], v[4:5], v[22:23]
	v_mul_f64_e32 v[22:23], v[6:7], v[22:23]
	s_delay_alu instid0(VALU_DEP_4) | instskip(NEXT) | instid1(VALU_DEP_4)
	v_add_f64_e32 v[8:9], v[8:9], v[12:13]
	v_add_f64_e32 v[10:11], v[10:11], v[136:137]
	s_delay_alu instid0(VALU_DEP_4) | instskip(NEXT) | instid1(VALU_DEP_4)
	v_fmac_f64_e32 v[14:15], v[6:7], v[20:21]
	v_fma_f64 v[4:5], v[4:5], v[20:21], -v[22:23]
	s_delay_alu instid0(VALU_DEP_4) | instskip(NEXT) | instid1(VALU_DEP_4)
	v_add_f64_e32 v[6:7], v[8:9], v[16:17]
	v_add_f64_e32 v[8:9], v[10:11], v[126:127]
	s_delay_alu instid0(VALU_DEP_2) | instskip(NEXT) | instid1(VALU_DEP_2)
	v_add_f64_e32 v[4:5], v[6:7], v[4:5]
	v_add_f64_e32 v[6:7], v[8:9], v[14:15]
	s_delay_alu instid0(VALU_DEP_2) | instskip(NEXT) | instid1(VALU_DEP_2)
	v_add_f64_e64 v[4:5], v[152:153], -v[4:5]
	v_add_f64_e64 v[6:7], v[154:155], -v[6:7]
	scratch_store_b128 off, v[4:7], off offset:304
	s_wait_xcnt 0x0
	v_cmpx_lt_u32_e32 18, v1
	s_cbranch_execz .LBB112_271
; %bb.270:
	scratch_load_b128 v[6:9], off, s47
	v_dual_mov_b32 v3, v2 :: v_dual_mov_b32 v4, v2
	v_mov_b32_e32 v5, v2
	scratch_store_b128 off, v[2:5], off offset:288
	s_wait_loadcnt 0x0
	ds_store_b128 v122, v[6:9]
.LBB112_271:
	s_wait_xcnt 0x0
	s_or_b32 exec_lo, exec_lo, s2
	s_wait_storecnt_dscnt 0x0
	s_barrier_signal -1
	s_barrier_wait -1
	s_clause 0x9
	scratch_load_b128 v[4:7], off, off offset:304
	scratch_load_b128 v[8:11], off, off offset:320
	;; [unrolled: 1-line block ×10, first 2 shown]
	ds_load_b128 v[144:147], v2 offset:1088
	ds_load_b128 v[152:155], v2 offset:1104
	s_clause 0x2
	scratch_load_b128 v[148:151], off, off offset:464
	scratch_load_b128 v[156:159], off, off offset:288
	;; [unrolled: 1-line block ×3, first 2 shown]
	s_mov_b32 s2, exec_lo
	s_wait_loadcnt_dscnt 0xc01
	v_mul_f64_e32 v[164:165], v[146:147], v[6:7]
	v_mul_f64_e32 v[168:169], v[144:145], v[6:7]
	s_wait_loadcnt_dscnt 0xb00
	v_mul_f64_e32 v[170:171], v[152:153], v[10:11]
	v_mul_f64_e32 v[10:11], v[154:155], v[10:11]
	s_delay_alu instid0(VALU_DEP_4) | instskip(NEXT) | instid1(VALU_DEP_4)
	v_fma_f64 v[172:173], v[144:145], v[4:5], -v[164:165]
	v_fmac_f64_e32 v[168:169], v[146:147], v[4:5]
	ds_load_b128 v[4:7], v2 offset:1120
	ds_load_b128 v[144:147], v2 offset:1136
	scratch_load_b128 v[164:167], off, off offset:496
	v_fmac_f64_e32 v[170:171], v[154:155], v[8:9]
	v_fma_f64 v[152:153], v[152:153], v[8:9], -v[10:11]
	scratch_load_b128 v[8:11], off, off offset:512
	s_wait_loadcnt_dscnt 0xc01
	v_mul_f64_e32 v[174:175], v[4:5], v[14:15]
	v_mul_f64_e32 v[14:15], v[6:7], v[14:15]
	v_add_f64_e32 v[154:155], 0, v[172:173]
	v_add_f64_e32 v[168:169], 0, v[168:169]
	s_wait_loadcnt_dscnt 0xb00
	v_mul_f64_e32 v[172:173], v[144:145], v[18:19]
	v_mul_f64_e32 v[18:19], v[146:147], v[18:19]
	v_fmac_f64_e32 v[174:175], v[6:7], v[12:13]
	v_fma_f64 v[176:177], v[4:5], v[12:13], -v[14:15]
	ds_load_b128 v[4:7], v2 offset:1152
	ds_load_b128 v[12:15], v2 offset:1168
	v_add_f64_e32 v[178:179], v[154:155], v[152:153]
	v_add_f64_e32 v[168:169], v[168:169], v[170:171]
	scratch_load_b128 v[152:155], off, off offset:528
	v_fmac_f64_e32 v[172:173], v[146:147], v[16:17]
	v_fma_f64 v[144:145], v[144:145], v[16:17], -v[18:19]
	scratch_load_b128 v[16:19], off, off offset:544
	s_wait_loadcnt_dscnt 0xc01
	v_mul_f64_e32 v[170:171], v[4:5], v[22:23]
	v_mul_f64_e32 v[22:23], v[6:7], v[22:23]
	v_add_f64_e32 v[146:147], v[178:179], v[176:177]
	v_add_f64_e32 v[168:169], v[168:169], v[174:175]
	s_wait_loadcnt_dscnt 0xb00
	v_mul_f64_e32 v[174:175], v[12:13], v[126:127]
	v_mul_f64_e32 v[126:127], v[14:15], v[126:127]
	v_fmac_f64_e32 v[170:171], v[6:7], v[20:21]
	v_fma_f64 v[176:177], v[4:5], v[20:21], -v[22:23]
	ds_load_b128 v[4:7], v2 offset:1184
	ds_load_b128 v[20:23], v2 offset:1200
	v_add_f64_e32 v[178:179], v[146:147], v[144:145]
	v_add_f64_e32 v[168:169], v[168:169], v[172:173]
	scratch_load_b128 v[144:147], off, off offset:560
	s_wait_loadcnt_dscnt 0xb01
	v_mul_f64_e32 v[172:173], v[4:5], v[130:131]
	v_mul_f64_e32 v[130:131], v[6:7], v[130:131]
	v_fmac_f64_e32 v[174:175], v[14:15], v[124:125]
	v_fma_f64 v[124:125], v[12:13], v[124:125], -v[126:127]
	scratch_load_b128 v[12:15], off, off offset:576
	v_add_f64_e32 v[126:127], v[178:179], v[176:177]
	v_add_f64_e32 v[168:169], v[168:169], v[170:171]
	s_wait_loadcnt_dscnt 0xb00
	v_mul_f64_e32 v[170:171], v[20:21], v[134:135]
	v_mul_f64_e32 v[134:135], v[22:23], v[134:135]
	v_fmac_f64_e32 v[172:173], v[6:7], v[128:129]
	v_fma_f64 v[176:177], v[4:5], v[128:129], -v[130:131]
	v_add_f64_e32 v[178:179], v[126:127], v[124:125]
	v_add_f64_e32 v[168:169], v[168:169], v[174:175]
	ds_load_b128 v[4:7], v2 offset:1216
	ds_load_b128 v[124:127], v2 offset:1232
	scratch_load_b128 v[128:131], off, off offset:592
	v_fmac_f64_e32 v[170:171], v[22:23], v[132:133]
	v_fma_f64 v[132:133], v[20:21], v[132:133], -v[134:135]
	scratch_load_b128 v[20:23], off, off offset:608
	s_wait_loadcnt_dscnt 0xc01
	v_mul_f64_e32 v[174:175], v[4:5], v[138:139]
	v_mul_f64_e32 v[138:139], v[6:7], v[138:139]
	v_add_f64_e32 v[134:135], v[178:179], v[176:177]
	v_add_f64_e32 v[168:169], v[168:169], v[172:173]
	s_wait_loadcnt_dscnt 0xb00
	v_mul_f64_e32 v[172:173], v[124:125], v[142:143]
	v_mul_f64_e32 v[142:143], v[126:127], v[142:143]
	v_fmac_f64_e32 v[174:175], v[6:7], v[136:137]
	v_fma_f64 v[176:177], v[4:5], v[136:137], -v[138:139]
	v_add_f64_e32 v[178:179], v[134:135], v[132:133]
	v_add_f64_e32 v[168:169], v[168:169], v[170:171]
	ds_load_b128 v[4:7], v2 offset:1248
	ds_load_b128 v[132:135], v2 offset:1264
	scratch_load_b128 v[136:139], off, off offset:624
	v_fmac_f64_e32 v[172:173], v[126:127], v[140:141]
	v_fma_f64 v[140:141], v[124:125], v[140:141], -v[142:143]
	scratch_load_b128 v[124:127], off, off offset:640
	s_wait_loadcnt_dscnt 0xc01
	v_mul_f64_e32 v[170:171], v[4:5], v[150:151]
	v_mul_f64_e32 v[150:151], v[6:7], v[150:151]
	;; [unrolled: 18-line block ×5, first 2 shown]
	v_add_f64_e32 v[162:163], v[178:179], v[176:177]
	v_add_f64_e32 v[168:169], v[168:169], v[174:175]
	s_wait_loadcnt_dscnt 0xa00
	v_mul_f64_e32 v[174:175], v[140:141], v[14:15]
	v_mul_f64_e32 v[14:15], v[142:143], v[14:15]
	v_fmac_f64_e32 v[170:171], v[6:7], v[144:145]
	v_fma_f64 v[176:177], v[4:5], v[144:145], -v[146:147]
	ds_load_b128 v[4:7], v2 offset:1376
	ds_load_b128 v[144:147], v2 offset:1392
	v_add_f64_e32 v[178:179], v[162:163], v[160:161]
	v_add_f64_e32 v[168:169], v[168:169], v[172:173]
	scratch_load_b128 v[160:163], off, off offset:752
	v_fmac_f64_e32 v[174:175], v[142:143], v[12:13]
	v_fma_f64 v[140:141], v[140:141], v[12:13], -v[14:15]
	scratch_load_b128 v[12:15], off, off offset:768
	s_wait_loadcnt_dscnt 0xb01
	v_mul_f64_e32 v[172:173], v[4:5], v[130:131]
	v_mul_f64_e32 v[130:131], v[6:7], v[130:131]
	v_add_f64_e32 v[142:143], v[178:179], v[176:177]
	v_add_f64_e32 v[168:169], v[168:169], v[170:171]
	s_wait_loadcnt_dscnt 0xa00
	v_mul_f64_e32 v[170:171], v[144:145], v[22:23]
	v_mul_f64_e32 v[22:23], v[146:147], v[22:23]
	v_fmac_f64_e32 v[172:173], v[6:7], v[128:129]
	v_fma_f64 v[176:177], v[4:5], v[128:129], -v[130:131]
	ds_load_b128 v[4:7], v2 offset:1408
	ds_load_b128 v[128:131], v2 offset:1424
	v_add_f64_e32 v[140:141], v[142:143], v[140:141]
	v_add_f64_e32 v[142:143], v[168:169], v[174:175]
	v_fmac_f64_e32 v[170:171], v[146:147], v[20:21]
	s_wait_loadcnt_dscnt 0x901
	v_mul_f64_e32 v[168:169], v[4:5], v[138:139]
	v_mul_f64_e32 v[138:139], v[6:7], v[138:139]
	v_fma_f64 v[20:21], v[144:145], v[20:21], -v[22:23]
	v_add_f64_e32 v[22:23], v[140:141], v[176:177]
	v_add_f64_e32 v[140:141], v[142:143], v[172:173]
	s_wait_loadcnt_dscnt 0x800
	v_mul_f64_e32 v[142:143], v[128:129], v[126:127]
	v_mul_f64_e32 v[126:127], v[130:131], v[126:127]
	v_fmac_f64_e32 v[168:169], v[6:7], v[136:137]
	v_fma_f64 v[136:137], v[4:5], v[136:137], -v[138:139]
	v_add_f64_e32 v[138:139], v[22:23], v[20:21]
	v_add_f64_e32 v[140:141], v[140:141], v[170:171]
	ds_load_b128 v[4:7], v2 offset:1440
	ds_load_b128 v[20:23], v2 offset:1456
	v_fmac_f64_e32 v[142:143], v[130:131], v[124:125]
	v_fma_f64 v[124:125], v[128:129], v[124:125], -v[126:127]
	s_wait_loadcnt_dscnt 0x701
	v_mul_f64_e32 v[144:145], v[4:5], v[150:151]
	v_mul_f64_e32 v[146:147], v[6:7], v[150:151]
	s_wait_loadcnt_dscnt 0x600
	v_mul_f64_e32 v[130:131], v[20:21], v[134:135]
	v_mul_f64_e32 v[134:135], v[22:23], v[134:135]
	v_add_f64_e32 v[126:127], v[138:139], v[136:137]
	v_add_f64_e32 v[128:129], v[140:141], v[168:169]
	v_fmac_f64_e32 v[144:145], v[6:7], v[148:149]
	v_fma_f64 v[136:137], v[4:5], v[148:149], -v[146:147]
	v_fmac_f64_e32 v[130:131], v[22:23], v[132:133]
	v_fma_f64 v[20:21], v[20:21], v[132:133], -v[134:135]
	v_add_f64_e32 v[138:139], v[126:127], v[124:125]
	v_add_f64_e32 v[128:129], v[128:129], v[142:143]
	ds_load_b128 v[4:7], v2 offset:1472
	ds_load_b128 v[124:127], v2 offset:1488
	s_wait_loadcnt_dscnt 0x501
	v_mul_f64_e32 v[140:141], v[4:5], v[166:167]
	v_mul_f64_e32 v[142:143], v[6:7], v[166:167]
	s_wait_loadcnt_dscnt 0x400
	v_mul_f64_e32 v[132:133], v[124:125], v[10:11]
	v_mul_f64_e32 v[10:11], v[126:127], v[10:11]
	v_add_f64_e32 v[22:23], v[138:139], v[136:137]
	v_add_f64_e32 v[128:129], v[128:129], v[144:145]
	v_fmac_f64_e32 v[140:141], v[6:7], v[164:165]
	v_fma_f64 v[134:135], v[4:5], v[164:165], -v[142:143]
	v_fmac_f64_e32 v[132:133], v[126:127], v[8:9]
	v_fma_f64 v[8:9], v[124:125], v[8:9], -v[10:11]
	v_add_f64_e32 v[136:137], v[22:23], v[20:21]
	v_add_f64_e32 v[128:129], v[128:129], v[130:131]
	ds_load_b128 v[4:7], v2 offset:1504
	ds_load_b128 v[20:23], v2 offset:1520
	;; [unrolled: 16-line block ×3, first 2 shown]
	s_wait_loadcnt_dscnt 0x101
	v_mul_f64_e32 v[2:3], v[4:5], v[162:163]
	v_mul_f64_e32 v[132:133], v[6:7], v[162:163]
	s_wait_loadcnt_dscnt 0x0
	v_mul_f64_e32 v[22:23], v[8:9], v[14:15]
	v_mul_f64_e32 v[14:15], v[10:11], v[14:15]
	v_add_f64_e32 v[18:19], v[134:135], v[128:129]
	v_add_f64_e32 v[20:21], v[124:125], v[130:131]
	v_fmac_f64_e32 v[2:3], v[6:7], v[160:161]
	v_fma_f64 v[4:5], v[4:5], v[160:161], -v[132:133]
	v_fmac_f64_e32 v[22:23], v[10:11], v[12:13]
	v_fma_f64 v[8:9], v[8:9], v[12:13], -v[14:15]
	v_add_f64_e32 v[6:7], v[18:19], v[16:17]
	v_add_f64_e32 v[16:17], v[20:21], v[126:127]
	s_delay_alu instid0(VALU_DEP_2) | instskip(NEXT) | instid1(VALU_DEP_2)
	v_add_f64_e32 v[4:5], v[6:7], v[4:5]
	v_add_f64_e32 v[2:3], v[16:17], v[2:3]
	s_delay_alu instid0(VALU_DEP_2) | instskip(NEXT) | instid1(VALU_DEP_2)
	;; [unrolled: 3-line block ×3, first 2 shown]
	v_add_f64_e64 v[2:3], v[156:157], -v[4:5]
	v_add_f64_e64 v[4:5], v[158:159], -v[6:7]
	scratch_store_b128 off, v[2:5], off offset:288
	s_wait_xcnt 0x0
	v_cmpx_lt_u32_e32 17, v1
	s_cbranch_execz .LBB112_273
; %bb.272:
	scratch_load_b128 v[2:5], off, s48
	v_mov_b32_e32 v6, 0
	s_delay_alu instid0(VALU_DEP_1)
	v_dual_mov_b32 v7, v6 :: v_dual_mov_b32 v8, v6
	v_mov_b32_e32 v9, v6
	scratch_store_b128 off, v[6:9], off offset:272
	s_wait_loadcnt 0x0
	ds_store_b128 v122, v[2:5]
.LBB112_273:
	s_wait_xcnt 0x0
	s_or_b32 exec_lo, exec_lo, s2
	s_wait_storecnt_dscnt 0x0
	s_barrier_signal -1
	s_barrier_wait -1
	s_clause 0x9
	scratch_load_b128 v[4:7], off, off offset:288
	scratch_load_b128 v[8:11], off, off offset:304
	scratch_load_b128 v[12:15], off, off offset:320
	scratch_load_b128 v[16:19], off, off offset:336
	scratch_load_b128 v[20:23], off, off offset:352
	scratch_load_b128 v[124:127], off, off offset:368
	scratch_load_b128 v[128:131], off, off offset:384
	scratch_load_b128 v[132:135], off, off offset:400
	scratch_load_b128 v[136:139], off, off offset:416
	scratch_load_b128 v[140:143], off, off offset:432
	v_mov_b32_e32 v2, 0
	s_mov_b32 s2, exec_lo
	ds_load_b128 v[144:147], v2 offset:1072
	s_clause 0x2
	scratch_load_b128 v[148:151], off, off offset:448
	scratch_load_b128 v[152:155], off, off offset:272
	;; [unrolled: 1-line block ×3, first 2 shown]
	s_wait_loadcnt_dscnt 0xc00
	v_mul_f64_e32 v[164:165], v[146:147], v[6:7]
	v_mul_f64_e32 v[168:169], v[144:145], v[6:7]
	ds_load_b128 v[156:159], v2 offset:1088
	v_fma_f64 v[172:173], v[144:145], v[4:5], -v[164:165]
	v_fmac_f64_e32 v[168:169], v[146:147], v[4:5]
	ds_load_b128 v[4:7], v2 offset:1104
	s_wait_loadcnt_dscnt 0xb01
	v_mul_f64_e32 v[170:171], v[156:157], v[10:11]
	v_mul_f64_e32 v[10:11], v[158:159], v[10:11]
	scratch_load_b128 v[144:147], off, off offset:480
	ds_load_b128 v[164:167], v2 offset:1120
	s_wait_loadcnt_dscnt 0xb01
	v_mul_f64_e32 v[174:175], v[4:5], v[14:15]
	v_mul_f64_e32 v[14:15], v[6:7], v[14:15]
	v_add_f64_e32 v[168:169], 0, v[168:169]
	v_fmac_f64_e32 v[170:171], v[158:159], v[8:9]
	v_fma_f64 v[156:157], v[156:157], v[8:9], -v[10:11]
	v_add_f64_e32 v[158:159], 0, v[172:173]
	scratch_load_b128 v[8:11], off, off offset:496
	v_fmac_f64_e32 v[174:175], v[6:7], v[12:13]
	v_fma_f64 v[176:177], v[4:5], v[12:13], -v[14:15]
	ds_load_b128 v[4:7], v2 offset:1136
	s_wait_loadcnt_dscnt 0xb01
	v_mul_f64_e32 v[172:173], v[164:165], v[18:19]
	v_mul_f64_e32 v[18:19], v[166:167], v[18:19]
	scratch_load_b128 v[12:15], off, off offset:512
	v_add_f64_e32 v[168:169], v[168:169], v[170:171]
	v_add_f64_e32 v[178:179], v[158:159], v[156:157]
	ds_load_b128 v[156:159], v2 offset:1152
	s_wait_loadcnt_dscnt 0xb01
	v_mul_f64_e32 v[170:171], v[4:5], v[22:23]
	v_mul_f64_e32 v[22:23], v[6:7], v[22:23]
	v_fmac_f64_e32 v[172:173], v[166:167], v[16:17]
	v_fma_f64 v[164:165], v[164:165], v[16:17], -v[18:19]
	scratch_load_b128 v[16:19], off, off offset:528
	v_add_f64_e32 v[168:169], v[168:169], v[174:175]
	v_add_f64_e32 v[166:167], v[178:179], v[176:177]
	v_fmac_f64_e32 v[170:171], v[6:7], v[20:21]
	v_fma_f64 v[176:177], v[4:5], v[20:21], -v[22:23]
	ds_load_b128 v[4:7], v2 offset:1168
	s_wait_loadcnt_dscnt 0xb01
	v_mul_f64_e32 v[174:175], v[156:157], v[126:127]
	v_mul_f64_e32 v[126:127], v[158:159], v[126:127]
	scratch_load_b128 v[20:23], off, off offset:544
	v_add_f64_e32 v[168:169], v[168:169], v[172:173]
	s_wait_loadcnt_dscnt 0xb00
	v_mul_f64_e32 v[172:173], v[4:5], v[130:131]
	v_add_f64_e32 v[178:179], v[166:167], v[164:165]
	v_mul_f64_e32 v[130:131], v[6:7], v[130:131]
	ds_load_b128 v[164:167], v2 offset:1184
	v_fmac_f64_e32 v[174:175], v[158:159], v[124:125]
	v_fma_f64 v[156:157], v[156:157], v[124:125], -v[126:127]
	scratch_load_b128 v[124:127], off, off offset:560
	v_add_f64_e32 v[168:169], v[168:169], v[170:171]
	v_fmac_f64_e32 v[172:173], v[6:7], v[128:129]
	v_add_f64_e32 v[158:159], v[178:179], v[176:177]
	v_fma_f64 v[176:177], v[4:5], v[128:129], -v[130:131]
	ds_load_b128 v[4:7], v2 offset:1200
	s_wait_loadcnt_dscnt 0xb01
	v_mul_f64_e32 v[170:171], v[164:165], v[134:135]
	v_mul_f64_e32 v[134:135], v[166:167], v[134:135]
	scratch_load_b128 v[128:131], off, off offset:576
	v_add_f64_e32 v[168:169], v[168:169], v[174:175]
	s_wait_loadcnt_dscnt 0xb00
	v_mul_f64_e32 v[174:175], v[4:5], v[138:139]
	v_add_f64_e32 v[178:179], v[158:159], v[156:157]
	v_mul_f64_e32 v[138:139], v[6:7], v[138:139]
	ds_load_b128 v[156:159], v2 offset:1216
	v_fmac_f64_e32 v[170:171], v[166:167], v[132:133]
	v_fma_f64 v[164:165], v[164:165], v[132:133], -v[134:135]
	scratch_load_b128 v[132:135], off, off offset:592
	v_add_f64_e32 v[168:169], v[168:169], v[172:173]
	v_fmac_f64_e32 v[174:175], v[6:7], v[136:137]
	v_add_f64_e32 v[166:167], v[178:179], v[176:177]
	;; [unrolled: 18-line block ×3, first 2 shown]
	v_fma_f64 v[176:177], v[4:5], v[148:149], -v[150:151]
	ds_load_b128 v[4:7], v2 offset:1264
	s_wait_loadcnt_dscnt 0xa01
	v_mul_f64_e32 v[174:175], v[164:165], v[162:163]
	v_mul_f64_e32 v[162:163], v[166:167], v[162:163]
	scratch_load_b128 v[148:151], off, off offset:640
	v_add_f64_e32 v[168:169], v[168:169], v[172:173]
	v_add_f64_e32 v[178:179], v[158:159], v[156:157]
	s_wait_loadcnt_dscnt 0xa00
	v_mul_f64_e32 v[172:173], v[4:5], v[146:147]
	v_mul_f64_e32 v[146:147], v[6:7], v[146:147]
	v_fmac_f64_e32 v[174:175], v[166:167], v[160:161]
	v_fma_f64 v[164:165], v[164:165], v[160:161], -v[162:163]
	ds_load_b128 v[156:159], v2 offset:1280
	scratch_load_b128 v[160:163], off, off offset:656
	v_add_f64_e32 v[168:169], v[168:169], v[170:171]
	v_add_f64_e32 v[166:167], v[178:179], v[176:177]
	v_fmac_f64_e32 v[172:173], v[6:7], v[144:145]
	v_fma_f64 v[176:177], v[4:5], v[144:145], -v[146:147]
	ds_load_b128 v[4:7], v2 offset:1296
	s_wait_loadcnt_dscnt 0xa01
	v_mul_f64_e32 v[170:171], v[156:157], v[10:11]
	v_mul_f64_e32 v[10:11], v[158:159], v[10:11]
	scratch_load_b128 v[144:147], off, off offset:672
	v_add_f64_e32 v[168:169], v[168:169], v[174:175]
	s_wait_loadcnt_dscnt 0xa00
	v_mul_f64_e32 v[174:175], v[4:5], v[14:15]
	v_add_f64_e32 v[178:179], v[166:167], v[164:165]
	v_mul_f64_e32 v[14:15], v[6:7], v[14:15]
	ds_load_b128 v[164:167], v2 offset:1312
	v_fmac_f64_e32 v[170:171], v[158:159], v[8:9]
	v_fma_f64 v[156:157], v[156:157], v[8:9], -v[10:11]
	scratch_load_b128 v[8:11], off, off offset:688
	v_add_f64_e32 v[168:169], v[168:169], v[172:173]
	v_fmac_f64_e32 v[174:175], v[6:7], v[12:13]
	v_add_f64_e32 v[158:159], v[178:179], v[176:177]
	v_fma_f64 v[176:177], v[4:5], v[12:13], -v[14:15]
	ds_load_b128 v[4:7], v2 offset:1328
	s_wait_loadcnt_dscnt 0xa01
	v_mul_f64_e32 v[172:173], v[164:165], v[18:19]
	v_mul_f64_e32 v[18:19], v[166:167], v[18:19]
	scratch_load_b128 v[12:15], off, off offset:704
	v_add_f64_e32 v[168:169], v[168:169], v[170:171]
	s_wait_loadcnt_dscnt 0xa00
	v_mul_f64_e32 v[170:171], v[4:5], v[22:23]
	v_add_f64_e32 v[178:179], v[158:159], v[156:157]
	v_mul_f64_e32 v[22:23], v[6:7], v[22:23]
	ds_load_b128 v[156:159], v2 offset:1344
	v_fmac_f64_e32 v[172:173], v[166:167], v[16:17]
	v_fma_f64 v[164:165], v[164:165], v[16:17], -v[18:19]
	scratch_load_b128 v[16:19], off, off offset:720
	v_add_f64_e32 v[168:169], v[168:169], v[174:175]
	v_fmac_f64_e32 v[170:171], v[6:7], v[20:21]
	v_add_f64_e32 v[166:167], v[178:179], v[176:177]
	;; [unrolled: 18-line block ×3, first 2 shown]
	v_fma_f64 v[176:177], v[4:5], v[128:129], -v[130:131]
	ds_load_b128 v[4:7], v2 offset:1392
	s_wait_loadcnt_dscnt 0xa01
	v_mul_f64_e32 v[170:171], v[164:165], v[134:135]
	v_mul_f64_e32 v[134:135], v[166:167], v[134:135]
	scratch_load_b128 v[128:131], off, off offset:768
	v_add_f64_e32 v[168:169], v[168:169], v[174:175]
	s_wait_loadcnt_dscnt 0xa00
	v_mul_f64_e32 v[174:175], v[4:5], v[138:139]
	v_add_f64_e32 v[178:179], v[158:159], v[156:157]
	v_mul_f64_e32 v[138:139], v[6:7], v[138:139]
	ds_load_b128 v[156:159], v2 offset:1408
	v_fmac_f64_e32 v[170:171], v[166:167], v[132:133]
	v_fma_f64 v[132:133], v[164:165], v[132:133], -v[134:135]
	s_wait_loadcnt_dscnt 0x900
	v_mul_f64_e32 v[166:167], v[156:157], v[142:143]
	v_mul_f64_e32 v[142:143], v[158:159], v[142:143]
	v_add_f64_e32 v[164:165], v[168:169], v[172:173]
	v_fmac_f64_e32 v[174:175], v[6:7], v[136:137]
	v_add_f64_e32 v[134:135], v[178:179], v[176:177]
	v_fma_f64 v[136:137], v[4:5], v[136:137], -v[138:139]
	v_fmac_f64_e32 v[166:167], v[158:159], v[140:141]
	v_fma_f64 v[140:141], v[156:157], v[140:141], -v[142:143]
	v_add_f64_e32 v[164:165], v[164:165], v[170:171]
	v_add_f64_e32 v[138:139], v[134:135], v[132:133]
	ds_load_b128 v[4:7], v2 offset:1424
	ds_load_b128 v[132:135], v2 offset:1440
	s_wait_loadcnt_dscnt 0x801
	v_mul_f64_e32 v[168:169], v[4:5], v[150:151]
	v_mul_f64_e32 v[150:151], v[6:7], v[150:151]
	s_wait_loadcnt_dscnt 0x700
	v_mul_f64_e32 v[142:143], v[132:133], v[162:163]
	v_mul_f64_e32 v[156:157], v[134:135], v[162:163]
	v_add_f64_e32 v[136:137], v[138:139], v[136:137]
	v_add_f64_e32 v[138:139], v[164:165], v[174:175]
	v_fmac_f64_e32 v[168:169], v[6:7], v[148:149]
	v_fma_f64 v[148:149], v[4:5], v[148:149], -v[150:151]
	v_fmac_f64_e32 v[142:143], v[134:135], v[160:161]
	v_fma_f64 v[132:133], v[132:133], v[160:161], -v[156:157]
	v_add_f64_e32 v[140:141], v[136:137], v[140:141]
	v_add_f64_e32 v[150:151], v[138:139], v[166:167]
	ds_load_b128 v[4:7], v2 offset:1456
	ds_load_b128 v[136:139], v2 offset:1472
	s_wait_loadcnt_dscnt 0x601
	v_mul_f64_e32 v[158:159], v[4:5], v[146:147]
	v_mul_f64_e32 v[146:147], v[6:7], v[146:147]
	v_add_f64_e32 v[134:135], v[140:141], v[148:149]
	v_add_f64_e32 v[140:141], v[150:151], v[168:169]
	s_wait_loadcnt_dscnt 0x500
	v_mul_f64_e32 v[148:149], v[136:137], v[10:11]
	v_mul_f64_e32 v[10:11], v[138:139], v[10:11]
	v_fmac_f64_e32 v[158:159], v[6:7], v[144:145]
	v_fma_f64 v[144:145], v[4:5], v[144:145], -v[146:147]
	v_add_f64_e32 v[146:147], v[134:135], v[132:133]
	v_add_f64_e32 v[140:141], v[140:141], v[142:143]
	ds_load_b128 v[4:7], v2 offset:1488
	ds_load_b128 v[132:135], v2 offset:1504
	v_fmac_f64_e32 v[148:149], v[138:139], v[8:9]
	v_fma_f64 v[8:9], v[136:137], v[8:9], -v[10:11]
	s_wait_loadcnt_dscnt 0x401
	v_mul_f64_e32 v[142:143], v[4:5], v[14:15]
	v_mul_f64_e32 v[14:15], v[6:7], v[14:15]
	s_wait_loadcnt_dscnt 0x300
	v_mul_f64_e32 v[138:139], v[132:133], v[18:19]
	v_mul_f64_e32 v[18:19], v[134:135], v[18:19]
	v_add_f64_e32 v[10:11], v[146:147], v[144:145]
	v_add_f64_e32 v[136:137], v[140:141], v[158:159]
	v_fmac_f64_e32 v[142:143], v[6:7], v[12:13]
	v_fma_f64 v[12:13], v[4:5], v[12:13], -v[14:15]
	v_fmac_f64_e32 v[138:139], v[134:135], v[16:17]
	v_fma_f64 v[16:17], v[132:133], v[16:17], -v[18:19]
	v_add_f64_e32 v[14:15], v[10:11], v[8:9]
	v_add_f64_e32 v[136:137], v[136:137], v[148:149]
	ds_load_b128 v[4:7], v2 offset:1520
	ds_load_b128 v[8:11], v2 offset:1536
	s_wait_loadcnt_dscnt 0x201
	v_mul_f64_e32 v[140:141], v[4:5], v[22:23]
	v_mul_f64_e32 v[22:23], v[6:7], v[22:23]
	s_wait_loadcnt_dscnt 0x100
	v_mul_f64_e32 v[18:19], v[8:9], v[126:127]
	v_mul_f64_e32 v[126:127], v[10:11], v[126:127]
	v_add_f64_e32 v[12:13], v[14:15], v[12:13]
	v_add_f64_e32 v[14:15], v[136:137], v[142:143]
	v_fmac_f64_e32 v[140:141], v[6:7], v[20:21]
	v_fma_f64 v[20:21], v[4:5], v[20:21], -v[22:23]
	ds_load_b128 v[4:7], v2 offset:1552
	v_fmac_f64_e32 v[18:19], v[10:11], v[124:125]
	v_fma_f64 v[8:9], v[8:9], v[124:125], -v[126:127]
	v_add_f64_e32 v[12:13], v[12:13], v[16:17]
	v_add_f64_e32 v[14:15], v[14:15], v[138:139]
	s_wait_loadcnt_dscnt 0x0
	v_mul_f64_e32 v[16:17], v[4:5], v[130:131]
	v_mul_f64_e32 v[22:23], v[6:7], v[130:131]
	s_delay_alu instid0(VALU_DEP_4) | instskip(NEXT) | instid1(VALU_DEP_4)
	v_add_f64_e32 v[10:11], v[12:13], v[20:21]
	v_add_f64_e32 v[12:13], v[14:15], v[140:141]
	s_delay_alu instid0(VALU_DEP_4) | instskip(NEXT) | instid1(VALU_DEP_4)
	v_fmac_f64_e32 v[16:17], v[6:7], v[128:129]
	v_fma_f64 v[4:5], v[4:5], v[128:129], -v[22:23]
	s_delay_alu instid0(VALU_DEP_4) | instskip(NEXT) | instid1(VALU_DEP_4)
	v_add_f64_e32 v[6:7], v[10:11], v[8:9]
	v_add_f64_e32 v[8:9], v[12:13], v[18:19]
	s_delay_alu instid0(VALU_DEP_2) | instskip(NEXT) | instid1(VALU_DEP_2)
	v_add_f64_e32 v[4:5], v[6:7], v[4:5]
	v_add_f64_e32 v[6:7], v[8:9], v[16:17]
	s_delay_alu instid0(VALU_DEP_2) | instskip(NEXT) | instid1(VALU_DEP_2)
	v_add_f64_e64 v[4:5], v[152:153], -v[4:5]
	v_add_f64_e64 v[6:7], v[154:155], -v[6:7]
	scratch_store_b128 off, v[4:7], off offset:272
	s_wait_xcnt 0x0
	v_cmpx_lt_u32_e32 16, v1
	s_cbranch_execz .LBB112_275
; %bb.274:
	scratch_load_b128 v[6:9], off, s49
	v_dual_mov_b32 v3, v2 :: v_dual_mov_b32 v4, v2
	v_mov_b32_e32 v5, v2
	scratch_store_b128 off, v[2:5], off offset:256
	s_wait_loadcnt 0x0
	ds_store_b128 v122, v[6:9]
.LBB112_275:
	s_wait_xcnt 0x0
	s_or_b32 exec_lo, exec_lo, s2
	s_wait_storecnt_dscnt 0x0
	s_barrier_signal -1
	s_barrier_wait -1
	s_clause 0x9
	scratch_load_b128 v[4:7], off, off offset:272
	scratch_load_b128 v[8:11], off, off offset:288
	;; [unrolled: 1-line block ×10, first 2 shown]
	ds_load_b128 v[144:147], v2 offset:1056
	ds_load_b128 v[152:155], v2 offset:1072
	s_clause 0x2
	scratch_load_b128 v[148:151], off, off offset:432
	scratch_load_b128 v[156:159], off, off offset:256
	;; [unrolled: 1-line block ×3, first 2 shown]
	s_mov_b32 s2, exec_lo
	s_wait_loadcnt_dscnt 0xc01
	v_mul_f64_e32 v[164:165], v[146:147], v[6:7]
	v_mul_f64_e32 v[168:169], v[144:145], v[6:7]
	s_wait_loadcnt_dscnt 0xb00
	v_mul_f64_e32 v[170:171], v[152:153], v[10:11]
	v_mul_f64_e32 v[10:11], v[154:155], v[10:11]
	s_delay_alu instid0(VALU_DEP_4) | instskip(NEXT) | instid1(VALU_DEP_4)
	v_fma_f64 v[172:173], v[144:145], v[4:5], -v[164:165]
	v_fmac_f64_e32 v[168:169], v[146:147], v[4:5]
	ds_load_b128 v[4:7], v2 offset:1088
	ds_load_b128 v[144:147], v2 offset:1104
	scratch_load_b128 v[164:167], off, off offset:464
	v_fmac_f64_e32 v[170:171], v[154:155], v[8:9]
	v_fma_f64 v[152:153], v[152:153], v[8:9], -v[10:11]
	scratch_load_b128 v[8:11], off, off offset:480
	s_wait_loadcnt_dscnt 0xc01
	v_mul_f64_e32 v[174:175], v[4:5], v[14:15]
	v_mul_f64_e32 v[14:15], v[6:7], v[14:15]
	v_add_f64_e32 v[154:155], 0, v[172:173]
	v_add_f64_e32 v[168:169], 0, v[168:169]
	s_wait_loadcnt_dscnt 0xb00
	v_mul_f64_e32 v[172:173], v[144:145], v[18:19]
	v_mul_f64_e32 v[18:19], v[146:147], v[18:19]
	v_fmac_f64_e32 v[174:175], v[6:7], v[12:13]
	v_fma_f64 v[176:177], v[4:5], v[12:13], -v[14:15]
	ds_load_b128 v[4:7], v2 offset:1120
	ds_load_b128 v[12:15], v2 offset:1136
	v_add_f64_e32 v[178:179], v[154:155], v[152:153]
	v_add_f64_e32 v[168:169], v[168:169], v[170:171]
	scratch_load_b128 v[152:155], off, off offset:496
	v_fmac_f64_e32 v[172:173], v[146:147], v[16:17]
	v_fma_f64 v[144:145], v[144:145], v[16:17], -v[18:19]
	scratch_load_b128 v[16:19], off, off offset:512
	s_wait_loadcnt_dscnt 0xc01
	v_mul_f64_e32 v[170:171], v[4:5], v[22:23]
	v_mul_f64_e32 v[22:23], v[6:7], v[22:23]
	v_add_f64_e32 v[146:147], v[178:179], v[176:177]
	v_add_f64_e32 v[168:169], v[168:169], v[174:175]
	s_wait_loadcnt_dscnt 0xb00
	v_mul_f64_e32 v[174:175], v[12:13], v[126:127]
	v_mul_f64_e32 v[126:127], v[14:15], v[126:127]
	v_fmac_f64_e32 v[170:171], v[6:7], v[20:21]
	v_fma_f64 v[176:177], v[4:5], v[20:21], -v[22:23]
	ds_load_b128 v[4:7], v2 offset:1152
	ds_load_b128 v[20:23], v2 offset:1168
	v_add_f64_e32 v[178:179], v[146:147], v[144:145]
	v_add_f64_e32 v[168:169], v[168:169], v[172:173]
	scratch_load_b128 v[144:147], off, off offset:528
	s_wait_loadcnt_dscnt 0xb01
	v_mul_f64_e32 v[172:173], v[4:5], v[130:131]
	v_mul_f64_e32 v[130:131], v[6:7], v[130:131]
	v_fmac_f64_e32 v[174:175], v[14:15], v[124:125]
	v_fma_f64 v[124:125], v[12:13], v[124:125], -v[126:127]
	scratch_load_b128 v[12:15], off, off offset:544
	v_add_f64_e32 v[126:127], v[178:179], v[176:177]
	v_add_f64_e32 v[168:169], v[168:169], v[170:171]
	s_wait_loadcnt_dscnt 0xb00
	v_mul_f64_e32 v[170:171], v[20:21], v[134:135]
	v_mul_f64_e32 v[134:135], v[22:23], v[134:135]
	v_fmac_f64_e32 v[172:173], v[6:7], v[128:129]
	v_fma_f64 v[176:177], v[4:5], v[128:129], -v[130:131]
	v_add_f64_e32 v[178:179], v[126:127], v[124:125]
	v_add_f64_e32 v[168:169], v[168:169], v[174:175]
	ds_load_b128 v[4:7], v2 offset:1184
	ds_load_b128 v[124:127], v2 offset:1200
	scratch_load_b128 v[128:131], off, off offset:560
	v_fmac_f64_e32 v[170:171], v[22:23], v[132:133]
	v_fma_f64 v[132:133], v[20:21], v[132:133], -v[134:135]
	scratch_load_b128 v[20:23], off, off offset:576
	s_wait_loadcnt_dscnt 0xc01
	v_mul_f64_e32 v[174:175], v[4:5], v[138:139]
	v_mul_f64_e32 v[138:139], v[6:7], v[138:139]
	v_add_f64_e32 v[134:135], v[178:179], v[176:177]
	v_add_f64_e32 v[168:169], v[168:169], v[172:173]
	s_wait_loadcnt_dscnt 0xb00
	v_mul_f64_e32 v[172:173], v[124:125], v[142:143]
	v_mul_f64_e32 v[142:143], v[126:127], v[142:143]
	v_fmac_f64_e32 v[174:175], v[6:7], v[136:137]
	v_fma_f64 v[176:177], v[4:5], v[136:137], -v[138:139]
	v_add_f64_e32 v[178:179], v[134:135], v[132:133]
	v_add_f64_e32 v[168:169], v[168:169], v[170:171]
	ds_load_b128 v[4:7], v2 offset:1216
	ds_load_b128 v[132:135], v2 offset:1232
	scratch_load_b128 v[136:139], off, off offset:592
	v_fmac_f64_e32 v[172:173], v[126:127], v[140:141]
	v_fma_f64 v[140:141], v[124:125], v[140:141], -v[142:143]
	scratch_load_b128 v[124:127], off, off offset:608
	s_wait_loadcnt_dscnt 0xc01
	v_mul_f64_e32 v[170:171], v[4:5], v[150:151]
	v_mul_f64_e32 v[150:151], v[6:7], v[150:151]
	;; [unrolled: 18-line block ×5, first 2 shown]
	v_add_f64_e32 v[162:163], v[178:179], v[176:177]
	v_add_f64_e32 v[168:169], v[168:169], v[174:175]
	s_wait_loadcnt_dscnt 0xa00
	v_mul_f64_e32 v[174:175], v[140:141], v[14:15]
	v_mul_f64_e32 v[14:15], v[142:143], v[14:15]
	v_fmac_f64_e32 v[170:171], v[6:7], v[144:145]
	v_fma_f64 v[176:177], v[4:5], v[144:145], -v[146:147]
	ds_load_b128 v[4:7], v2 offset:1344
	ds_load_b128 v[144:147], v2 offset:1360
	v_add_f64_e32 v[178:179], v[162:163], v[160:161]
	v_add_f64_e32 v[168:169], v[168:169], v[172:173]
	scratch_load_b128 v[160:163], off, off offset:720
	v_fmac_f64_e32 v[174:175], v[142:143], v[12:13]
	v_fma_f64 v[140:141], v[140:141], v[12:13], -v[14:15]
	scratch_load_b128 v[12:15], off, off offset:736
	s_wait_loadcnt_dscnt 0xb01
	v_mul_f64_e32 v[172:173], v[4:5], v[130:131]
	v_mul_f64_e32 v[130:131], v[6:7], v[130:131]
	v_add_f64_e32 v[142:143], v[178:179], v[176:177]
	v_add_f64_e32 v[168:169], v[168:169], v[170:171]
	s_wait_loadcnt_dscnt 0xa00
	v_mul_f64_e32 v[170:171], v[144:145], v[22:23]
	v_mul_f64_e32 v[22:23], v[146:147], v[22:23]
	v_fmac_f64_e32 v[172:173], v[6:7], v[128:129]
	v_fma_f64 v[176:177], v[4:5], v[128:129], -v[130:131]
	ds_load_b128 v[4:7], v2 offset:1376
	ds_load_b128 v[128:131], v2 offset:1392
	v_add_f64_e32 v[178:179], v[142:143], v[140:141]
	v_add_f64_e32 v[168:169], v[168:169], v[174:175]
	scratch_load_b128 v[140:143], off, off offset:752
	s_wait_loadcnt_dscnt 0xa01
	v_mul_f64_e32 v[174:175], v[4:5], v[138:139]
	v_mul_f64_e32 v[138:139], v[6:7], v[138:139]
	v_fmac_f64_e32 v[170:171], v[146:147], v[20:21]
	v_fma_f64 v[144:145], v[144:145], v[20:21], -v[22:23]
	scratch_load_b128 v[20:23], off, off offset:768
	v_add_f64_e32 v[146:147], v[178:179], v[176:177]
	v_add_f64_e32 v[168:169], v[168:169], v[172:173]
	s_wait_loadcnt_dscnt 0xa00
	v_mul_f64_e32 v[172:173], v[128:129], v[126:127]
	v_mul_f64_e32 v[126:127], v[130:131], v[126:127]
	v_fmac_f64_e32 v[174:175], v[6:7], v[136:137]
	v_fma_f64 v[176:177], v[4:5], v[136:137], -v[138:139]
	ds_load_b128 v[4:7], v2 offset:1408
	ds_load_b128 v[136:139], v2 offset:1424
	v_add_f64_e32 v[144:145], v[146:147], v[144:145]
	v_add_f64_e32 v[146:147], v[168:169], v[170:171]
	v_fmac_f64_e32 v[172:173], v[130:131], v[124:125]
	s_wait_loadcnt_dscnt 0x901
	v_mul_f64_e32 v[168:169], v[4:5], v[150:151]
	v_mul_f64_e32 v[150:151], v[6:7], v[150:151]
	v_fma_f64 v[124:125], v[128:129], v[124:125], -v[126:127]
	s_wait_loadcnt_dscnt 0x800
	v_mul_f64_e32 v[130:131], v[136:137], v[134:135]
	v_mul_f64_e32 v[134:135], v[138:139], v[134:135]
	v_add_f64_e32 v[126:127], v[144:145], v[176:177]
	v_add_f64_e32 v[128:129], v[146:147], v[174:175]
	v_fmac_f64_e32 v[168:169], v[6:7], v[148:149]
	v_fma_f64 v[144:145], v[4:5], v[148:149], -v[150:151]
	v_fmac_f64_e32 v[130:131], v[138:139], v[132:133]
	v_fma_f64 v[132:133], v[136:137], v[132:133], -v[134:135]
	v_add_f64_e32 v[146:147], v[126:127], v[124:125]
	v_add_f64_e32 v[128:129], v[128:129], v[172:173]
	ds_load_b128 v[4:7], v2 offset:1440
	ds_load_b128 v[124:127], v2 offset:1456
	s_wait_loadcnt_dscnt 0x701
	v_mul_f64_e32 v[148:149], v[4:5], v[166:167]
	v_mul_f64_e32 v[150:151], v[6:7], v[166:167]
	s_wait_loadcnt_dscnt 0x600
	v_mul_f64_e32 v[136:137], v[124:125], v[10:11]
	v_mul_f64_e32 v[10:11], v[126:127], v[10:11]
	v_add_f64_e32 v[134:135], v[146:147], v[144:145]
	v_add_f64_e32 v[128:129], v[128:129], v[168:169]
	v_fmac_f64_e32 v[148:149], v[6:7], v[164:165]
	v_fma_f64 v[138:139], v[4:5], v[164:165], -v[150:151]
	v_fmac_f64_e32 v[136:137], v[126:127], v[8:9]
	v_fma_f64 v[8:9], v[124:125], v[8:9], -v[10:11]
	v_add_f64_e32 v[132:133], v[134:135], v[132:133]
	v_add_f64_e32 v[134:135], v[128:129], v[130:131]
	ds_load_b128 v[4:7], v2 offset:1472
	ds_load_b128 v[128:131], v2 offset:1488
	s_wait_loadcnt_dscnt 0x501
	v_mul_f64_e32 v[144:145], v[4:5], v[154:155]
	v_mul_f64_e32 v[146:147], v[6:7], v[154:155]
	;; [unrolled: 16-line block ×4, first 2 shown]
	v_add_f64_e32 v[10:11], v[18:19], v[132:133]
	v_add_f64_e32 v[12:13], v[124:125], v[136:137]
	s_wait_loadcnt_dscnt 0x0
	v_mul_f64_e32 v[18:19], v[14:15], v[22:23]
	v_mul_f64_e32 v[22:23], v[16:17], v[22:23]
	v_fmac_f64_e32 v[2:3], v[6:7], v[140:141]
	v_fma_f64 v[4:5], v[4:5], v[140:141], -v[126:127]
	v_add_f64_e32 v[6:7], v[10:11], v[8:9]
	v_add_f64_e32 v[8:9], v[12:13], v[128:129]
	v_fmac_f64_e32 v[18:19], v[16:17], v[20:21]
	v_fma_f64 v[10:11], v[14:15], v[20:21], -v[22:23]
	s_delay_alu instid0(VALU_DEP_4) | instskip(NEXT) | instid1(VALU_DEP_4)
	v_add_f64_e32 v[4:5], v[6:7], v[4:5]
	v_add_f64_e32 v[2:3], v[8:9], v[2:3]
	s_delay_alu instid0(VALU_DEP_2) | instskip(NEXT) | instid1(VALU_DEP_2)
	v_add_f64_e32 v[4:5], v[4:5], v[10:11]
	v_add_f64_e32 v[6:7], v[2:3], v[18:19]
	s_delay_alu instid0(VALU_DEP_2) | instskip(NEXT) | instid1(VALU_DEP_2)
	v_add_f64_e64 v[2:3], v[156:157], -v[4:5]
	v_add_f64_e64 v[4:5], v[158:159], -v[6:7]
	scratch_store_b128 off, v[2:5], off offset:256
	s_wait_xcnt 0x0
	v_cmpx_lt_u32_e32 15, v1
	s_cbranch_execz .LBB112_277
; %bb.276:
	scratch_load_b128 v[2:5], off, s50
	v_mov_b32_e32 v6, 0
	s_delay_alu instid0(VALU_DEP_1)
	v_dual_mov_b32 v7, v6 :: v_dual_mov_b32 v8, v6
	v_mov_b32_e32 v9, v6
	scratch_store_b128 off, v[6:9], off offset:240
	s_wait_loadcnt 0x0
	ds_store_b128 v122, v[2:5]
.LBB112_277:
	s_wait_xcnt 0x0
	s_or_b32 exec_lo, exec_lo, s2
	s_wait_storecnt_dscnt 0x0
	s_barrier_signal -1
	s_barrier_wait -1
	s_clause 0x9
	scratch_load_b128 v[4:7], off, off offset:256
	scratch_load_b128 v[8:11], off, off offset:272
	;; [unrolled: 1-line block ×10, first 2 shown]
	v_mov_b32_e32 v2, 0
	s_mov_b32 s2, exec_lo
	ds_load_b128 v[144:147], v2 offset:1040
	s_clause 0x2
	scratch_load_b128 v[148:151], off, off offset:416
	scratch_load_b128 v[152:155], off, off offset:240
	;; [unrolled: 1-line block ×3, first 2 shown]
	s_wait_loadcnt_dscnt 0xc00
	v_mul_f64_e32 v[164:165], v[146:147], v[6:7]
	v_mul_f64_e32 v[168:169], v[144:145], v[6:7]
	ds_load_b128 v[156:159], v2 offset:1056
	v_fma_f64 v[172:173], v[144:145], v[4:5], -v[164:165]
	v_fmac_f64_e32 v[168:169], v[146:147], v[4:5]
	ds_load_b128 v[4:7], v2 offset:1072
	s_wait_loadcnt_dscnt 0xb01
	v_mul_f64_e32 v[170:171], v[156:157], v[10:11]
	v_mul_f64_e32 v[10:11], v[158:159], v[10:11]
	scratch_load_b128 v[144:147], off, off offset:448
	ds_load_b128 v[164:167], v2 offset:1088
	s_wait_loadcnt_dscnt 0xb01
	v_mul_f64_e32 v[174:175], v[4:5], v[14:15]
	v_mul_f64_e32 v[14:15], v[6:7], v[14:15]
	v_add_f64_e32 v[168:169], 0, v[168:169]
	v_fmac_f64_e32 v[170:171], v[158:159], v[8:9]
	v_fma_f64 v[156:157], v[156:157], v[8:9], -v[10:11]
	v_add_f64_e32 v[158:159], 0, v[172:173]
	scratch_load_b128 v[8:11], off, off offset:464
	v_fmac_f64_e32 v[174:175], v[6:7], v[12:13]
	v_fma_f64 v[176:177], v[4:5], v[12:13], -v[14:15]
	ds_load_b128 v[4:7], v2 offset:1104
	s_wait_loadcnt_dscnt 0xb01
	v_mul_f64_e32 v[172:173], v[164:165], v[18:19]
	v_mul_f64_e32 v[18:19], v[166:167], v[18:19]
	scratch_load_b128 v[12:15], off, off offset:480
	v_add_f64_e32 v[168:169], v[168:169], v[170:171]
	v_add_f64_e32 v[178:179], v[158:159], v[156:157]
	ds_load_b128 v[156:159], v2 offset:1120
	s_wait_loadcnt_dscnt 0xb01
	v_mul_f64_e32 v[170:171], v[4:5], v[22:23]
	v_mul_f64_e32 v[22:23], v[6:7], v[22:23]
	v_fmac_f64_e32 v[172:173], v[166:167], v[16:17]
	v_fma_f64 v[164:165], v[164:165], v[16:17], -v[18:19]
	scratch_load_b128 v[16:19], off, off offset:496
	v_add_f64_e32 v[168:169], v[168:169], v[174:175]
	v_add_f64_e32 v[166:167], v[178:179], v[176:177]
	v_fmac_f64_e32 v[170:171], v[6:7], v[20:21]
	v_fma_f64 v[176:177], v[4:5], v[20:21], -v[22:23]
	ds_load_b128 v[4:7], v2 offset:1136
	s_wait_loadcnt_dscnt 0xb01
	v_mul_f64_e32 v[174:175], v[156:157], v[126:127]
	v_mul_f64_e32 v[126:127], v[158:159], v[126:127]
	scratch_load_b128 v[20:23], off, off offset:512
	v_add_f64_e32 v[168:169], v[168:169], v[172:173]
	s_wait_loadcnt_dscnt 0xb00
	v_mul_f64_e32 v[172:173], v[4:5], v[130:131]
	v_add_f64_e32 v[178:179], v[166:167], v[164:165]
	v_mul_f64_e32 v[130:131], v[6:7], v[130:131]
	ds_load_b128 v[164:167], v2 offset:1152
	v_fmac_f64_e32 v[174:175], v[158:159], v[124:125]
	v_fma_f64 v[156:157], v[156:157], v[124:125], -v[126:127]
	scratch_load_b128 v[124:127], off, off offset:528
	v_add_f64_e32 v[168:169], v[168:169], v[170:171]
	v_fmac_f64_e32 v[172:173], v[6:7], v[128:129]
	v_add_f64_e32 v[158:159], v[178:179], v[176:177]
	v_fma_f64 v[176:177], v[4:5], v[128:129], -v[130:131]
	ds_load_b128 v[4:7], v2 offset:1168
	s_wait_loadcnt_dscnt 0xb01
	v_mul_f64_e32 v[170:171], v[164:165], v[134:135]
	v_mul_f64_e32 v[134:135], v[166:167], v[134:135]
	scratch_load_b128 v[128:131], off, off offset:544
	v_add_f64_e32 v[168:169], v[168:169], v[174:175]
	s_wait_loadcnt_dscnt 0xb00
	v_mul_f64_e32 v[174:175], v[4:5], v[138:139]
	v_add_f64_e32 v[178:179], v[158:159], v[156:157]
	v_mul_f64_e32 v[138:139], v[6:7], v[138:139]
	ds_load_b128 v[156:159], v2 offset:1184
	v_fmac_f64_e32 v[170:171], v[166:167], v[132:133]
	v_fma_f64 v[164:165], v[164:165], v[132:133], -v[134:135]
	scratch_load_b128 v[132:135], off, off offset:560
	v_add_f64_e32 v[168:169], v[168:169], v[172:173]
	v_fmac_f64_e32 v[174:175], v[6:7], v[136:137]
	v_add_f64_e32 v[166:167], v[178:179], v[176:177]
	;; [unrolled: 18-line block ×3, first 2 shown]
	v_fma_f64 v[176:177], v[4:5], v[148:149], -v[150:151]
	ds_load_b128 v[4:7], v2 offset:1232
	s_wait_loadcnt_dscnt 0xa01
	v_mul_f64_e32 v[174:175], v[164:165], v[162:163]
	v_mul_f64_e32 v[162:163], v[166:167], v[162:163]
	scratch_load_b128 v[148:151], off, off offset:608
	v_add_f64_e32 v[168:169], v[168:169], v[172:173]
	v_add_f64_e32 v[178:179], v[158:159], v[156:157]
	s_wait_loadcnt_dscnt 0xa00
	v_mul_f64_e32 v[172:173], v[4:5], v[146:147]
	v_mul_f64_e32 v[146:147], v[6:7], v[146:147]
	v_fmac_f64_e32 v[174:175], v[166:167], v[160:161]
	v_fma_f64 v[164:165], v[164:165], v[160:161], -v[162:163]
	ds_load_b128 v[156:159], v2 offset:1248
	scratch_load_b128 v[160:163], off, off offset:624
	v_add_f64_e32 v[168:169], v[168:169], v[170:171]
	v_add_f64_e32 v[166:167], v[178:179], v[176:177]
	v_fmac_f64_e32 v[172:173], v[6:7], v[144:145]
	v_fma_f64 v[176:177], v[4:5], v[144:145], -v[146:147]
	ds_load_b128 v[4:7], v2 offset:1264
	s_wait_loadcnt_dscnt 0xa01
	v_mul_f64_e32 v[170:171], v[156:157], v[10:11]
	v_mul_f64_e32 v[10:11], v[158:159], v[10:11]
	scratch_load_b128 v[144:147], off, off offset:640
	v_add_f64_e32 v[168:169], v[168:169], v[174:175]
	s_wait_loadcnt_dscnt 0xa00
	v_mul_f64_e32 v[174:175], v[4:5], v[14:15]
	v_add_f64_e32 v[178:179], v[166:167], v[164:165]
	v_mul_f64_e32 v[14:15], v[6:7], v[14:15]
	ds_load_b128 v[164:167], v2 offset:1280
	v_fmac_f64_e32 v[170:171], v[158:159], v[8:9]
	v_fma_f64 v[156:157], v[156:157], v[8:9], -v[10:11]
	scratch_load_b128 v[8:11], off, off offset:656
	v_add_f64_e32 v[168:169], v[168:169], v[172:173]
	v_fmac_f64_e32 v[174:175], v[6:7], v[12:13]
	v_add_f64_e32 v[158:159], v[178:179], v[176:177]
	v_fma_f64 v[176:177], v[4:5], v[12:13], -v[14:15]
	ds_load_b128 v[4:7], v2 offset:1296
	s_wait_loadcnt_dscnt 0xa01
	v_mul_f64_e32 v[172:173], v[164:165], v[18:19]
	v_mul_f64_e32 v[18:19], v[166:167], v[18:19]
	scratch_load_b128 v[12:15], off, off offset:672
	v_add_f64_e32 v[168:169], v[168:169], v[170:171]
	s_wait_loadcnt_dscnt 0xa00
	v_mul_f64_e32 v[170:171], v[4:5], v[22:23]
	v_add_f64_e32 v[178:179], v[158:159], v[156:157]
	v_mul_f64_e32 v[22:23], v[6:7], v[22:23]
	ds_load_b128 v[156:159], v2 offset:1312
	v_fmac_f64_e32 v[172:173], v[166:167], v[16:17]
	v_fma_f64 v[164:165], v[164:165], v[16:17], -v[18:19]
	scratch_load_b128 v[16:19], off, off offset:688
	v_add_f64_e32 v[168:169], v[168:169], v[174:175]
	v_fmac_f64_e32 v[170:171], v[6:7], v[20:21]
	v_add_f64_e32 v[166:167], v[178:179], v[176:177]
	;; [unrolled: 18-line block ×4, first 2 shown]
	v_fma_f64 v[176:177], v[4:5], v[136:137], -v[138:139]
	ds_load_b128 v[4:7], v2 offset:1392
	s_wait_loadcnt_dscnt 0xa01
	v_mul_f64_e32 v[172:173], v[156:157], v[142:143]
	v_mul_f64_e32 v[142:143], v[158:159], v[142:143]
	scratch_load_b128 v[136:139], off, off offset:768
	v_add_f64_e32 v[168:169], v[168:169], v[170:171]
	s_wait_loadcnt_dscnt 0xa00
	v_mul_f64_e32 v[170:171], v[4:5], v[150:151]
	v_add_f64_e32 v[178:179], v[166:167], v[164:165]
	v_mul_f64_e32 v[150:151], v[6:7], v[150:151]
	ds_load_b128 v[164:167], v2 offset:1408
	v_fmac_f64_e32 v[172:173], v[158:159], v[140:141]
	v_fma_f64 v[140:141], v[156:157], v[140:141], -v[142:143]
	s_wait_loadcnt_dscnt 0x900
	v_mul_f64_e32 v[158:159], v[164:165], v[162:163]
	v_mul_f64_e32 v[162:163], v[166:167], v[162:163]
	v_add_f64_e32 v[156:157], v[168:169], v[174:175]
	v_fmac_f64_e32 v[170:171], v[6:7], v[148:149]
	v_add_f64_e32 v[142:143], v[178:179], v[176:177]
	v_fma_f64 v[148:149], v[4:5], v[148:149], -v[150:151]
	v_fmac_f64_e32 v[158:159], v[166:167], v[160:161]
	v_fma_f64 v[160:161], v[164:165], v[160:161], -v[162:163]
	v_add_f64_e32 v[156:157], v[156:157], v[172:173]
	v_add_f64_e32 v[150:151], v[142:143], v[140:141]
	ds_load_b128 v[4:7], v2 offset:1424
	ds_load_b128 v[140:143], v2 offset:1440
	s_wait_loadcnt_dscnt 0x801
	v_mul_f64_e32 v[168:169], v[4:5], v[146:147]
	v_mul_f64_e32 v[146:147], v[6:7], v[146:147]
	v_add_f64_e32 v[148:149], v[150:151], v[148:149]
	v_add_f64_e32 v[150:151], v[156:157], v[170:171]
	s_wait_loadcnt_dscnt 0x700
	v_mul_f64_e32 v[156:157], v[140:141], v[10:11]
	v_mul_f64_e32 v[10:11], v[142:143], v[10:11]
	v_fmac_f64_e32 v[168:169], v[6:7], v[144:145]
	v_fma_f64 v[162:163], v[4:5], v[144:145], -v[146:147]
	ds_load_b128 v[4:7], v2 offset:1456
	ds_load_b128 v[144:147], v2 offset:1472
	v_add_f64_e32 v[148:149], v[148:149], v[160:161]
	v_add_f64_e32 v[150:151], v[150:151], v[158:159]
	v_fmac_f64_e32 v[156:157], v[142:143], v[8:9]
	v_fma_f64 v[8:9], v[140:141], v[8:9], -v[10:11]
	s_wait_loadcnt_dscnt 0x601
	v_mul_f64_e32 v[158:159], v[4:5], v[14:15]
	v_mul_f64_e32 v[14:15], v[6:7], v[14:15]
	s_wait_loadcnt_dscnt 0x500
	v_mul_f64_e32 v[142:143], v[144:145], v[18:19]
	v_mul_f64_e32 v[18:19], v[146:147], v[18:19]
	v_add_f64_e32 v[10:11], v[148:149], v[162:163]
	v_add_f64_e32 v[140:141], v[150:151], v[168:169]
	v_fmac_f64_e32 v[158:159], v[6:7], v[12:13]
	v_fma_f64 v[12:13], v[4:5], v[12:13], -v[14:15]
	v_fmac_f64_e32 v[142:143], v[146:147], v[16:17]
	v_fma_f64 v[16:17], v[144:145], v[16:17], -v[18:19]
	v_add_f64_e32 v[14:15], v[10:11], v[8:9]
	v_add_f64_e32 v[140:141], v[140:141], v[156:157]
	ds_load_b128 v[4:7], v2 offset:1488
	ds_load_b128 v[8:11], v2 offset:1504
	s_wait_loadcnt_dscnt 0x401
	v_mul_f64_e32 v[148:149], v[4:5], v[22:23]
	v_mul_f64_e32 v[22:23], v[6:7], v[22:23]
	s_wait_loadcnt_dscnt 0x300
	v_mul_f64_e32 v[18:19], v[8:9], v[126:127]
	v_mul_f64_e32 v[126:127], v[10:11], v[126:127]
	v_add_f64_e32 v[12:13], v[14:15], v[12:13]
	v_add_f64_e32 v[14:15], v[140:141], v[158:159]
	v_fmac_f64_e32 v[148:149], v[6:7], v[20:21]
	v_fma_f64 v[20:21], v[4:5], v[20:21], -v[22:23]
	v_fmac_f64_e32 v[18:19], v[10:11], v[124:125]
	v_fma_f64 v[8:9], v[8:9], v[124:125], -v[126:127]
	v_add_f64_e32 v[16:17], v[12:13], v[16:17]
	v_add_f64_e32 v[22:23], v[14:15], v[142:143]
	ds_load_b128 v[4:7], v2 offset:1520
	ds_load_b128 v[12:15], v2 offset:1536
	s_wait_loadcnt_dscnt 0x201
	v_mul_f64_e32 v[140:141], v[4:5], v[130:131]
	v_mul_f64_e32 v[130:131], v[6:7], v[130:131]
	v_add_f64_e32 v[10:11], v[16:17], v[20:21]
	v_add_f64_e32 v[16:17], v[22:23], v[148:149]
	s_wait_loadcnt_dscnt 0x100
	v_mul_f64_e32 v[20:21], v[12:13], v[134:135]
	v_mul_f64_e32 v[22:23], v[14:15], v[134:135]
	v_fmac_f64_e32 v[140:141], v[6:7], v[128:129]
	v_fma_f64 v[124:125], v[4:5], v[128:129], -v[130:131]
	ds_load_b128 v[4:7], v2 offset:1552
	v_add_f64_e32 v[8:9], v[10:11], v[8:9]
	v_add_f64_e32 v[10:11], v[16:17], v[18:19]
	v_fmac_f64_e32 v[20:21], v[14:15], v[132:133]
	v_fma_f64 v[12:13], v[12:13], v[132:133], -v[22:23]
	s_wait_loadcnt_dscnt 0x0
	v_mul_f64_e32 v[16:17], v[4:5], v[138:139]
	v_mul_f64_e32 v[18:19], v[6:7], v[138:139]
	v_add_f64_e32 v[8:9], v[8:9], v[124:125]
	v_add_f64_e32 v[10:11], v[10:11], v[140:141]
	s_delay_alu instid0(VALU_DEP_4) | instskip(NEXT) | instid1(VALU_DEP_4)
	v_fmac_f64_e32 v[16:17], v[6:7], v[136:137]
	v_fma_f64 v[4:5], v[4:5], v[136:137], -v[18:19]
	s_delay_alu instid0(VALU_DEP_4) | instskip(NEXT) | instid1(VALU_DEP_4)
	v_add_f64_e32 v[6:7], v[8:9], v[12:13]
	v_add_f64_e32 v[8:9], v[10:11], v[20:21]
	s_delay_alu instid0(VALU_DEP_2) | instskip(NEXT) | instid1(VALU_DEP_2)
	v_add_f64_e32 v[4:5], v[6:7], v[4:5]
	v_add_f64_e32 v[6:7], v[8:9], v[16:17]
	s_delay_alu instid0(VALU_DEP_2) | instskip(NEXT) | instid1(VALU_DEP_2)
	v_add_f64_e64 v[4:5], v[152:153], -v[4:5]
	v_add_f64_e64 v[6:7], v[154:155], -v[6:7]
	scratch_store_b128 off, v[4:7], off offset:240
	s_wait_xcnt 0x0
	v_cmpx_lt_u32_e32 14, v1
	s_cbranch_execz .LBB112_279
; %bb.278:
	scratch_load_b128 v[6:9], off, s51
	v_dual_mov_b32 v3, v2 :: v_dual_mov_b32 v4, v2
	v_mov_b32_e32 v5, v2
	scratch_store_b128 off, v[2:5], off offset:224
	s_wait_loadcnt 0x0
	ds_store_b128 v122, v[6:9]
.LBB112_279:
	s_wait_xcnt 0x0
	s_or_b32 exec_lo, exec_lo, s2
	s_wait_storecnt_dscnt 0x0
	s_barrier_signal -1
	s_barrier_wait -1
	s_clause 0x9
	scratch_load_b128 v[4:7], off, off offset:240
	scratch_load_b128 v[8:11], off, off offset:256
	;; [unrolled: 1-line block ×10, first 2 shown]
	ds_load_b128 v[144:147], v2 offset:1024
	ds_load_b128 v[152:155], v2 offset:1040
	s_clause 0x2
	scratch_load_b128 v[148:151], off, off offset:400
	scratch_load_b128 v[156:159], off, off offset:224
	;; [unrolled: 1-line block ×3, first 2 shown]
	s_mov_b32 s2, exec_lo
	s_wait_loadcnt_dscnt 0xc01
	v_mul_f64_e32 v[164:165], v[146:147], v[6:7]
	v_mul_f64_e32 v[168:169], v[144:145], v[6:7]
	s_wait_loadcnt_dscnt 0xb00
	v_mul_f64_e32 v[170:171], v[152:153], v[10:11]
	v_mul_f64_e32 v[10:11], v[154:155], v[10:11]
	s_delay_alu instid0(VALU_DEP_4) | instskip(NEXT) | instid1(VALU_DEP_4)
	v_fma_f64 v[172:173], v[144:145], v[4:5], -v[164:165]
	v_fmac_f64_e32 v[168:169], v[146:147], v[4:5]
	ds_load_b128 v[4:7], v2 offset:1056
	ds_load_b128 v[144:147], v2 offset:1072
	scratch_load_b128 v[164:167], off, off offset:432
	v_fmac_f64_e32 v[170:171], v[154:155], v[8:9]
	v_fma_f64 v[152:153], v[152:153], v[8:9], -v[10:11]
	scratch_load_b128 v[8:11], off, off offset:448
	s_wait_loadcnt_dscnt 0xc01
	v_mul_f64_e32 v[174:175], v[4:5], v[14:15]
	v_mul_f64_e32 v[14:15], v[6:7], v[14:15]
	v_add_f64_e32 v[154:155], 0, v[172:173]
	v_add_f64_e32 v[168:169], 0, v[168:169]
	s_wait_loadcnt_dscnt 0xb00
	v_mul_f64_e32 v[172:173], v[144:145], v[18:19]
	v_mul_f64_e32 v[18:19], v[146:147], v[18:19]
	v_fmac_f64_e32 v[174:175], v[6:7], v[12:13]
	v_fma_f64 v[176:177], v[4:5], v[12:13], -v[14:15]
	ds_load_b128 v[4:7], v2 offset:1088
	ds_load_b128 v[12:15], v2 offset:1104
	v_add_f64_e32 v[178:179], v[154:155], v[152:153]
	v_add_f64_e32 v[168:169], v[168:169], v[170:171]
	scratch_load_b128 v[152:155], off, off offset:464
	v_fmac_f64_e32 v[172:173], v[146:147], v[16:17]
	v_fma_f64 v[144:145], v[144:145], v[16:17], -v[18:19]
	scratch_load_b128 v[16:19], off, off offset:480
	s_wait_loadcnt_dscnt 0xc01
	v_mul_f64_e32 v[170:171], v[4:5], v[22:23]
	v_mul_f64_e32 v[22:23], v[6:7], v[22:23]
	v_add_f64_e32 v[146:147], v[178:179], v[176:177]
	v_add_f64_e32 v[168:169], v[168:169], v[174:175]
	s_wait_loadcnt_dscnt 0xb00
	v_mul_f64_e32 v[174:175], v[12:13], v[126:127]
	v_mul_f64_e32 v[126:127], v[14:15], v[126:127]
	v_fmac_f64_e32 v[170:171], v[6:7], v[20:21]
	v_fma_f64 v[176:177], v[4:5], v[20:21], -v[22:23]
	ds_load_b128 v[4:7], v2 offset:1120
	ds_load_b128 v[20:23], v2 offset:1136
	v_add_f64_e32 v[178:179], v[146:147], v[144:145]
	v_add_f64_e32 v[168:169], v[168:169], v[172:173]
	scratch_load_b128 v[144:147], off, off offset:496
	s_wait_loadcnt_dscnt 0xb01
	v_mul_f64_e32 v[172:173], v[4:5], v[130:131]
	v_mul_f64_e32 v[130:131], v[6:7], v[130:131]
	v_fmac_f64_e32 v[174:175], v[14:15], v[124:125]
	v_fma_f64 v[124:125], v[12:13], v[124:125], -v[126:127]
	scratch_load_b128 v[12:15], off, off offset:512
	v_add_f64_e32 v[126:127], v[178:179], v[176:177]
	v_add_f64_e32 v[168:169], v[168:169], v[170:171]
	s_wait_loadcnt_dscnt 0xb00
	v_mul_f64_e32 v[170:171], v[20:21], v[134:135]
	v_mul_f64_e32 v[134:135], v[22:23], v[134:135]
	v_fmac_f64_e32 v[172:173], v[6:7], v[128:129]
	v_fma_f64 v[176:177], v[4:5], v[128:129], -v[130:131]
	v_add_f64_e32 v[178:179], v[126:127], v[124:125]
	v_add_f64_e32 v[168:169], v[168:169], v[174:175]
	ds_load_b128 v[4:7], v2 offset:1152
	ds_load_b128 v[124:127], v2 offset:1168
	scratch_load_b128 v[128:131], off, off offset:528
	v_fmac_f64_e32 v[170:171], v[22:23], v[132:133]
	v_fma_f64 v[132:133], v[20:21], v[132:133], -v[134:135]
	scratch_load_b128 v[20:23], off, off offset:544
	s_wait_loadcnt_dscnt 0xc01
	v_mul_f64_e32 v[174:175], v[4:5], v[138:139]
	v_mul_f64_e32 v[138:139], v[6:7], v[138:139]
	v_add_f64_e32 v[134:135], v[178:179], v[176:177]
	v_add_f64_e32 v[168:169], v[168:169], v[172:173]
	s_wait_loadcnt_dscnt 0xb00
	v_mul_f64_e32 v[172:173], v[124:125], v[142:143]
	v_mul_f64_e32 v[142:143], v[126:127], v[142:143]
	v_fmac_f64_e32 v[174:175], v[6:7], v[136:137]
	v_fma_f64 v[176:177], v[4:5], v[136:137], -v[138:139]
	v_add_f64_e32 v[178:179], v[134:135], v[132:133]
	v_add_f64_e32 v[168:169], v[168:169], v[170:171]
	ds_load_b128 v[4:7], v2 offset:1184
	ds_load_b128 v[132:135], v2 offset:1200
	scratch_load_b128 v[136:139], off, off offset:560
	v_fmac_f64_e32 v[172:173], v[126:127], v[140:141]
	v_fma_f64 v[140:141], v[124:125], v[140:141], -v[142:143]
	scratch_load_b128 v[124:127], off, off offset:576
	s_wait_loadcnt_dscnt 0xc01
	v_mul_f64_e32 v[170:171], v[4:5], v[150:151]
	v_mul_f64_e32 v[150:151], v[6:7], v[150:151]
	;; [unrolled: 18-line block ×5, first 2 shown]
	v_add_f64_e32 v[162:163], v[178:179], v[176:177]
	v_add_f64_e32 v[168:169], v[168:169], v[174:175]
	s_wait_loadcnt_dscnt 0xa00
	v_mul_f64_e32 v[174:175], v[140:141], v[14:15]
	v_mul_f64_e32 v[14:15], v[142:143], v[14:15]
	v_fmac_f64_e32 v[170:171], v[6:7], v[144:145]
	v_fma_f64 v[176:177], v[4:5], v[144:145], -v[146:147]
	ds_load_b128 v[4:7], v2 offset:1312
	ds_load_b128 v[144:147], v2 offset:1328
	v_add_f64_e32 v[178:179], v[162:163], v[160:161]
	v_add_f64_e32 v[168:169], v[168:169], v[172:173]
	scratch_load_b128 v[160:163], off, off offset:688
	v_fmac_f64_e32 v[174:175], v[142:143], v[12:13]
	v_fma_f64 v[140:141], v[140:141], v[12:13], -v[14:15]
	scratch_load_b128 v[12:15], off, off offset:704
	s_wait_loadcnt_dscnt 0xb01
	v_mul_f64_e32 v[172:173], v[4:5], v[130:131]
	v_mul_f64_e32 v[130:131], v[6:7], v[130:131]
	v_add_f64_e32 v[142:143], v[178:179], v[176:177]
	v_add_f64_e32 v[168:169], v[168:169], v[170:171]
	s_wait_loadcnt_dscnt 0xa00
	v_mul_f64_e32 v[170:171], v[144:145], v[22:23]
	v_mul_f64_e32 v[22:23], v[146:147], v[22:23]
	v_fmac_f64_e32 v[172:173], v[6:7], v[128:129]
	v_fma_f64 v[176:177], v[4:5], v[128:129], -v[130:131]
	ds_load_b128 v[4:7], v2 offset:1344
	ds_load_b128 v[128:131], v2 offset:1360
	v_add_f64_e32 v[178:179], v[142:143], v[140:141]
	v_add_f64_e32 v[168:169], v[168:169], v[174:175]
	scratch_load_b128 v[140:143], off, off offset:720
	s_wait_loadcnt_dscnt 0xa01
	v_mul_f64_e32 v[174:175], v[4:5], v[138:139]
	v_mul_f64_e32 v[138:139], v[6:7], v[138:139]
	v_fmac_f64_e32 v[170:171], v[146:147], v[20:21]
	v_fma_f64 v[144:145], v[144:145], v[20:21], -v[22:23]
	scratch_load_b128 v[20:23], off, off offset:736
	v_add_f64_e32 v[146:147], v[178:179], v[176:177]
	v_add_f64_e32 v[168:169], v[168:169], v[172:173]
	s_wait_loadcnt_dscnt 0xa00
	v_mul_f64_e32 v[172:173], v[128:129], v[126:127]
	v_mul_f64_e32 v[126:127], v[130:131], v[126:127]
	v_fmac_f64_e32 v[174:175], v[6:7], v[136:137]
	v_fma_f64 v[176:177], v[4:5], v[136:137], -v[138:139]
	ds_load_b128 v[4:7], v2 offset:1376
	ds_load_b128 v[136:139], v2 offset:1392
	v_add_f64_e32 v[178:179], v[146:147], v[144:145]
	v_add_f64_e32 v[168:169], v[168:169], v[170:171]
	scratch_load_b128 v[144:147], off, off offset:752
	s_wait_loadcnt_dscnt 0xa01
	v_mul_f64_e32 v[170:171], v[4:5], v[150:151]
	v_mul_f64_e32 v[150:151], v[6:7], v[150:151]
	v_fmac_f64_e32 v[172:173], v[130:131], v[124:125]
	v_fma_f64 v[128:129], v[128:129], v[124:125], -v[126:127]
	scratch_load_b128 v[124:127], off, off offset:768
	v_add_f64_e32 v[130:131], v[178:179], v[176:177]
	v_add_f64_e32 v[168:169], v[168:169], v[174:175]
	s_wait_loadcnt_dscnt 0xa00
	v_mul_f64_e32 v[174:175], v[136:137], v[134:135]
	v_mul_f64_e32 v[134:135], v[138:139], v[134:135]
	v_fmac_f64_e32 v[170:171], v[6:7], v[148:149]
	v_fma_f64 v[148:149], v[4:5], v[148:149], -v[150:151]
	v_add_f64_e32 v[150:151], v[130:131], v[128:129]
	v_add_f64_e32 v[168:169], v[168:169], v[172:173]
	ds_load_b128 v[4:7], v2 offset:1408
	ds_load_b128 v[128:131], v2 offset:1424
	v_fmac_f64_e32 v[174:175], v[138:139], v[132:133]
	v_fma_f64 v[132:133], v[136:137], v[132:133], -v[134:135]
	s_wait_loadcnt_dscnt 0x901
	v_mul_f64_e32 v[172:173], v[4:5], v[166:167]
	v_mul_f64_e32 v[166:167], v[6:7], v[166:167]
	s_wait_loadcnt_dscnt 0x800
	v_mul_f64_e32 v[138:139], v[128:129], v[10:11]
	v_mul_f64_e32 v[10:11], v[130:131], v[10:11]
	v_add_f64_e32 v[134:135], v[150:151], v[148:149]
	v_add_f64_e32 v[136:137], v[168:169], v[170:171]
	v_fmac_f64_e32 v[172:173], v[6:7], v[164:165]
	v_fma_f64 v[148:149], v[4:5], v[164:165], -v[166:167]
	v_fmac_f64_e32 v[138:139], v[130:131], v[8:9]
	v_fma_f64 v[8:9], v[128:129], v[8:9], -v[10:11]
	v_add_f64_e32 v[150:151], v[134:135], v[132:133]
	v_add_f64_e32 v[136:137], v[136:137], v[174:175]
	ds_load_b128 v[4:7], v2 offset:1440
	ds_load_b128 v[132:135], v2 offset:1456
	s_wait_loadcnt_dscnt 0x701
	v_mul_f64_e32 v[164:165], v[4:5], v[154:155]
	v_mul_f64_e32 v[154:155], v[6:7], v[154:155]
	s_wait_loadcnt_dscnt 0x600
	v_mul_f64_e32 v[130:131], v[132:133], v[18:19]
	v_mul_f64_e32 v[18:19], v[134:135], v[18:19]
	v_add_f64_e32 v[10:11], v[150:151], v[148:149]
	v_add_f64_e32 v[128:129], v[136:137], v[172:173]
	v_fmac_f64_e32 v[164:165], v[6:7], v[152:153]
	v_fma_f64 v[136:137], v[4:5], v[152:153], -v[154:155]
	v_fmac_f64_e32 v[130:131], v[134:135], v[16:17]
	v_fma_f64 v[16:17], v[132:133], v[16:17], -v[18:19]
	v_add_f64_e32 v[148:149], v[10:11], v[8:9]
	v_add_f64_e32 v[128:129], v[128:129], v[138:139]
	ds_load_b128 v[4:7], v2 offset:1472
	ds_load_b128 v[8:11], v2 offset:1488
	;; [unrolled: 16-line block ×3, first 2 shown]
	s_wait_loadcnt_dscnt 0x301
	v_mul_f64_e32 v[130:131], v[4:5], v[142:143]
	v_mul_f64_e32 v[142:143], v[6:7], v[142:143]
	v_add_f64_e32 v[10:11], v[18:19], v[136:137]
	v_add_f64_e32 v[12:13], v[128:129], v[138:139]
	s_wait_loadcnt_dscnt 0x200
	v_mul_f64_e32 v[18:19], v[14:15], v[22:23]
	v_mul_f64_e32 v[22:23], v[16:17], v[22:23]
	v_fmac_f64_e32 v[130:131], v[6:7], v[140:141]
	v_fma_f64 v[128:129], v[4:5], v[140:141], -v[142:143]
	v_add_f64_e32 v[134:135], v[10:11], v[8:9]
	v_add_f64_e32 v[12:13], v[12:13], v[132:133]
	ds_load_b128 v[4:7], v2 offset:1536
	ds_load_b128 v[8:11], v2 offset:1552
	v_fmac_f64_e32 v[18:19], v[16:17], v[20:21]
	v_fma_f64 v[14:15], v[14:15], v[20:21], -v[22:23]
	s_wait_loadcnt_dscnt 0x101
	v_mul_f64_e32 v[2:3], v[4:5], v[146:147]
	v_mul_f64_e32 v[132:133], v[6:7], v[146:147]
	s_wait_loadcnt_dscnt 0x0
	v_mul_f64_e32 v[20:21], v[8:9], v[126:127]
	v_mul_f64_e32 v[22:23], v[10:11], v[126:127]
	v_add_f64_e32 v[16:17], v[134:135], v[128:129]
	v_add_f64_e32 v[12:13], v[12:13], v[130:131]
	v_fmac_f64_e32 v[2:3], v[6:7], v[144:145]
	v_fma_f64 v[4:5], v[4:5], v[144:145], -v[132:133]
	v_fmac_f64_e32 v[20:21], v[10:11], v[124:125]
	v_fma_f64 v[8:9], v[8:9], v[124:125], -v[22:23]
	v_add_f64_e32 v[6:7], v[16:17], v[14:15]
	v_add_f64_e32 v[12:13], v[12:13], v[18:19]
	s_delay_alu instid0(VALU_DEP_2) | instskip(NEXT) | instid1(VALU_DEP_2)
	v_add_f64_e32 v[4:5], v[6:7], v[4:5]
	v_add_f64_e32 v[2:3], v[12:13], v[2:3]
	s_delay_alu instid0(VALU_DEP_2) | instskip(NEXT) | instid1(VALU_DEP_2)
	;; [unrolled: 3-line block ×3, first 2 shown]
	v_add_f64_e64 v[2:3], v[156:157], -v[4:5]
	v_add_f64_e64 v[4:5], v[158:159], -v[6:7]
	scratch_store_b128 off, v[2:5], off offset:224
	s_wait_xcnt 0x0
	v_cmpx_lt_u32_e32 13, v1
	s_cbranch_execz .LBB112_281
; %bb.280:
	scratch_load_b128 v[2:5], off, s52
	v_mov_b32_e32 v6, 0
	s_delay_alu instid0(VALU_DEP_1)
	v_dual_mov_b32 v7, v6 :: v_dual_mov_b32 v8, v6
	v_mov_b32_e32 v9, v6
	scratch_store_b128 off, v[6:9], off offset:208
	s_wait_loadcnt 0x0
	ds_store_b128 v122, v[2:5]
.LBB112_281:
	s_wait_xcnt 0x0
	s_or_b32 exec_lo, exec_lo, s2
	s_wait_storecnt_dscnt 0x0
	s_barrier_signal -1
	s_barrier_wait -1
	s_clause 0x9
	scratch_load_b128 v[4:7], off, off offset:224
	scratch_load_b128 v[8:11], off, off offset:240
	;; [unrolled: 1-line block ×10, first 2 shown]
	v_mov_b32_e32 v2, 0
	s_mov_b32 s2, exec_lo
	ds_load_b128 v[144:147], v2 offset:1008
	s_clause 0x2
	scratch_load_b128 v[148:151], off, off offset:384
	scratch_load_b128 v[152:155], off, off offset:208
	;; [unrolled: 1-line block ×3, first 2 shown]
	s_wait_loadcnt_dscnt 0xc00
	v_mul_f64_e32 v[164:165], v[146:147], v[6:7]
	v_mul_f64_e32 v[168:169], v[144:145], v[6:7]
	ds_load_b128 v[156:159], v2 offset:1024
	v_fma_f64 v[172:173], v[144:145], v[4:5], -v[164:165]
	v_fmac_f64_e32 v[168:169], v[146:147], v[4:5]
	ds_load_b128 v[4:7], v2 offset:1040
	s_wait_loadcnt_dscnt 0xb01
	v_mul_f64_e32 v[170:171], v[156:157], v[10:11]
	v_mul_f64_e32 v[10:11], v[158:159], v[10:11]
	scratch_load_b128 v[144:147], off, off offset:416
	ds_load_b128 v[164:167], v2 offset:1056
	s_wait_loadcnt_dscnt 0xb01
	v_mul_f64_e32 v[174:175], v[4:5], v[14:15]
	v_mul_f64_e32 v[14:15], v[6:7], v[14:15]
	v_add_f64_e32 v[168:169], 0, v[168:169]
	v_fmac_f64_e32 v[170:171], v[158:159], v[8:9]
	v_fma_f64 v[156:157], v[156:157], v[8:9], -v[10:11]
	v_add_f64_e32 v[158:159], 0, v[172:173]
	scratch_load_b128 v[8:11], off, off offset:432
	v_fmac_f64_e32 v[174:175], v[6:7], v[12:13]
	v_fma_f64 v[176:177], v[4:5], v[12:13], -v[14:15]
	ds_load_b128 v[4:7], v2 offset:1072
	s_wait_loadcnt_dscnt 0xb01
	v_mul_f64_e32 v[172:173], v[164:165], v[18:19]
	v_mul_f64_e32 v[18:19], v[166:167], v[18:19]
	scratch_load_b128 v[12:15], off, off offset:448
	v_add_f64_e32 v[168:169], v[168:169], v[170:171]
	v_add_f64_e32 v[178:179], v[158:159], v[156:157]
	ds_load_b128 v[156:159], v2 offset:1088
	s_wait_loadcnt_dscnt 0xb01
	v_mul_f64_e32 v[170:171], v[4:5], v[22:23]
	v_mul_f64_e32 v[22:23], v[6:7], v[22:23]
	v_fmac_f64_e32 v[172:173], v[166:167], v[16:17]
	v_fma_f64 v[164:165], v[164:165], v[16:17], -v[18:19]
	scratch_load_b128 v[16:19], off, off offset:464
	v_add_f64_e32 v[168:169], v[168:169], v[174:175]
	v_add_f64_e32 v[166:167], v[178:179], v[176:177]
	v_fmac_f64_e32 v[170:171], v[6:7], v[20:21]
	v_fma_f64 v[176:177], v[4:5], v[20:21], -v[22:23]
	ds_load_b128 v[4:7], v2 offset:1104
	s_wait_loadcnt_dscnt 0xb01
	v_mul_f64_e32 v[174:175], v[156:157], v[126:127]
	v_mul_f64_e32 v[126:127], v[158:159], v[126:127]
	scratch_load_b128 v[20:23], off, off offset:480
	v_add_f64_e32 v[168:169], v[168:169], v[172:173]
	s_wait_loadcnt_dscnt 0xb00
	v_mul_f64_e32 v[172:173], v[4:5], v[130:131]
	v_add_f64_e32 v[178:179], v[166:167], v[164:165]
	v_mul_f64_e32 v[130:131], v[6:7], v[130:131]
	ds_load_b128 v[164:167], v2 offset:1120
	v_fmac_f64_e32 v[174:175], v[158:159], v[124:125]
	v_fma_f64 v[156:157], v[156:157], v[124:125], -v[126:127]
	scratch_load_b128 v[124:127], off, off offset:496
	v_add_f64_e32 v[168:169], v[168:169], v[170:171]
	v_fmac_f64_e32 v[172:173], v[6:7], v[128:129]
	v_add_f64_e32 v[158:159], v[178:179], v[176:177]
	v_fma_f64 v[176:177], v[4:5], v[128:129], -v[130:131]
	ds_load_b128 v[4:7], v2 offset:1136
	s_wait_loadcnt_dscnt 0xb01
	v_mul_f64_e32 v[170:171], v[164:165], v[134:135]
	v_mul_f64_e32 v[134:135], v[166:167], v[134:135]
	scratch_load_b128 v[128:131], off, off offset:512
	v_add_f64_e32 v[168:169], v[168:169], v[174:175]
	s_wait_loadcnt_dscnt 0xb00
	v_mul_f64_e32 v[174:175], v[4:5], v[138:139]
	v_add_f64_e32 v[178:179], v[158:159], v[156:157]
	v_mul_f64_e32 v[138:139], v[6:7], v[138:139]
	ds_load_b128 v[156:159], v2 offset:1152
	v_fmac_f64_e32 v[170:171], v[166:167], v[132:133]
	v_fma_f64 v[164:165], v[164:165], v[132:133], -v[134:135]
	scratch_load_b128 v[132:135], off, off offset:528
	v_add_f64_e32 v[168:169], v[168:169], v[172:173]
	v_fmac_f64_e32 v[174:175], v[6:7], v[136:137]
	v_add_f64_e32 v[166:167], v[178:179], v[176:177]
	;; [unrolled: 18-line block ×3, first 2 shown]
	v_fma_f64 v[176:177], v[4:5], v[148:149], -v[150:151]
	ds_load_b128 v[4:7], v2 offset:1200
	s_wait_loadcnt_dscnt 0xa01
	v_mul_f64_e32 v[174:175], v[164:165], v[162:163]
	v_mul_f64_e32 v[162:163], v[166:167], v[162:163]
	scratch_load_b128 v[148:151], off, off offset:576
	v_add_f64_e32 v[168:169], v[168:169], v[172:173]
	v_add_f64_e32 v[178:179], v[158:159], v[156:157]
	s_wait_loadcnt_dscnt 0xa00
	v_mul_f64_e32 v[172:173], v[4:5], v[146:147]
	v_mul_f64_e32 v[146:147], v[6:7], v[146:147]
	v_fmac_f64_e32 v[174:175], v[166:167], v[160:161]
	v_fma_f64 v[164:165], v[164:165], v[160:161], -v[162:163]
	ds_load_b128 v[156:159], v2 offset:1216
	scratch_load_b128 v[160:163], off, off offset:592
	v_add_f64_e32 v[168:169], v[168:169], v[170:171]
	v_add_f64_e32 v[166:167], v[178:179], v[176:177]
	v_fmac_f64_e32 v[172:173], v[6:7], v[144:145]
	v_fma_f64 v[176:177], v[4:5], v[144:145], -v[146:147]
	ds_load_b128 v[4:7], v2 offset:1232
	s_wait_loadcnt_dscnt 0xa01
	v_mul_f64_e32 v[170:171], v[156:157], v[10:11]
	v_mul_f64_e32 v[10:11], v[158:159], v[10:11]
	scratch_load_b128 v[144:147], off, off offset:608
	v_add_f64_e32 v[168:169], v[168:169], v[174:175]
	s_wait_loadcnt_dscnt 0xa00
	v_mul_f64_e32 v[174:175], v[4:5], v[14:15]
	v_add_f64_e32 v[178:179], v[166:167], v[164:165]
	v_mul_f64_e32 v[14:15], v[6:7], v[14:15]
	ds_load_b128 v[164:167], v2 offset:1248
	v_fmac_f64_e32 v[170:171], v[158:159], v[8:9]
	v_fma_f64 v[156:157], v[156:157], v[8:9], -v[10:11]
	scratch_load_b128 v[8:11], off, off offset:624
	v_add_f64_e32 v[168:169], v[168:169], v[172:173]
	v_fmac_f64_e32 v[174:175], v[6:7], v[12:13]
	v_add_f64_e32 v[158:159], v[178:179], v[176:177]
	v_fma_f64 v[176:177], v[4:5], v[12:13], -v[14:15]
	ds_load_b128 v[4:7], v2 offset:1264
	s_wait_loadcnt_dscnt 0xa01
	v_mul_f64_e32 v[172:173], v[164:165], v[18:19]
	v_mul_f64_e32 v[18:19], v[166:167], v[18:19]
	scratch_load_b128 v[12:15], off, off offset:640
	v_add_f64_e32 v[168:169], v[168:169], v[170:171]
	s_wait_loadcnt_dscnt 0xa00
	v_mul_f64_e32 v[170:171], v[4:5], v[22:23]
	v_add_f64_e32 v[178:179], v[158:159], v[156:157]
	v_mul_f64_e32 v[22:23], v[6:7], v[22:23]
	ds_load_b128 v[156:159], v2 offset:1280
	v_fmac_f64_e32 v[172:173], v[166:167], v[16:17]
	v_fma_f64 v[164:165], v[164:165], v[16:17], -v[18:19]
	scratch_load_b128 v[16:19], off, off offset:656
	v_add_f64_e32 v[168:169], v[168:169], v[174:175]
	v_fmac_f64_e32 v[170:171], v[6:7], v[20:21]
	v_add_f64_e32 v[166:167], v[178:179], v[176:177]
	;; [unrolled: 18-line block ×5, first 2 shown]
	v_fma_f64 v[176:177], v[4:5], v[148:149], -v[150:151]
	ds_load_b128 v[4:7], v2 offset:1392
	s_wait_loadcnt_dscnt 0xa01
	v_mul_f64_e32 v[174:175], v[164:165], v[162:163]
	v_mul_f64_e32 v[162:163], v[166:167], v[162:163]
	scratch_load_b128 v[148:151], off, off offset:768
	v_add_f64_e32 v[168:169], v[168:169], v[172:173]
	s_wait_loadcnt_dscnt 0xa00
	v_mul_f64_e32 v[172:173], v[4:5], v[146:147]
	v_add_f64_e32 v[178:179], v[158:159], v[156:157]
	v_mul_f64_e32 v[146:147], v[6:7], v[146:147]
	ds_load_b128 v[156:159], v2 offset:1408
	v_fmac_f64_e32 v[174:175], v[166:167], v[160:161]
	v_fma_f64 v[160:161], v[164:165], v[160:161], -v[162:163]
	s_wait_loadcnt_dscnt 0x900
	v_mul_f64_e32 v[166:167], v[156:157], v[10:11]
	v_mul_f64_e32 v[10:11], v[158:159], v[10:11]
	v_add_f64_e32 v[164:165], v[168:169], v[170:171]
	v_fmac_f64_e32 v[172:173], v[6:7], v[144:145]
	v_add_f64_e32 v[162:163], v[178:179], v[176:177]
	v_fma_f64 v[168:169], v[4:5], v[144:145], -v[146:147]
	ds_load_b128 v[4:7], v2 offset:1424
	ds_load_b128 v[144:147], v2 offset:1440
	v_fmac_f64_e32 v[166:167], v[158:159], v[8:9]
	v_fma_f64 v[8:9], v[156:157], v[8:9], -v[10:11]
	v_add_f64_e32 v[160:161], v[162:163], v[160:161]
	v_add_f64_e32 v[162:163], v[164:165], v[174:175]
	s_wait_loadcnt_dscnt 0x801
	v_mul_f64_e32 v[164:165], v[4:5], v[14:15]
	v_mul_f64_e32 v[14:15], v[6:7], v[14:15]
	s_wait_loadcnt_dscnt 0x700
	v_mul_f64_e32 v[158:159], v[144:145], v[18:19]
	v_mul_f64_e32 v[18:19], v[146:147], v[18:19]
	v_add_f64_e32 v[10:11], v[160:161], v[168:169]
	v_add_f64_e32 v[156:157], v[162:163], v[172:173]
	v_fmac_f64_e32 v[164:165], v[6:7], v[12:13]
	v_fma_f64 v[12:13], v[4:5], v[12:13], -v[14:15]
	v_fmac_f64_e32 v[158:159], v[146:147], v[16:17]
	v_fma_f64 v[16:17], v[144:145], v[16:17], -v[18:19]
	v_add_f64_e32 v[14:15], v[10:11], v[8:9]
	v_add_f64_e32 v[156:157], v[156:157], v[166:167]
	ds_load_b128 v[4:7], v2 offset:1456
	ds_load_b128 v[8:11], v2 offset:1472
	s_wait_loadcnt_dscnt 0x601
	v_mul_f64_e32 v[160:161], v[4:5], v[22:23]
	v_mul_f64_e32 v[22:23], v[6:7], v[22:23]
	s_wait_loadcnt_dscnt 0x500
	v_mul_f64_e32 v[18:19], v[8:9], v[126:127]
	v_mul_f64_e32 v[126:127], v[10:11], v[126:127]
	v_add_f64_e32 v[12:13], v[14:15], v[12:13]
	v_add_f64_e32 v[14:15], v[156:157], v[164:165]
	v_fmac_f64_e32 v[160:161], v[6:7], v[20:21]
	v_fma_f64 v[20:21], v[4:5], v[20:21], -v[22:23]
	v_fmac_f64_e32 v[18:19], v[10:11], v[124:125]
	v_fma_f64 v[8:9], v[8:9], v[124:125], -v[126:127]
	v_add_f64_e32 v[16:17], v[12:13], v[16:17]
	v_add_f64_e32 v[22:23], v[14:15], v[158:159]
	ds_load_b128 v[4:7], v2 offset:1488
	ds_load_b128 v[12:15], v2 offset:1504
	s_wait_loadcnt_dscnt 0x401
	v_mul_f64_e32 v[144:145], v[4:5], v[130:131]
	v_mul_f64_e32 v[130:131], v[6:7], v[130:131]
	v_add_f64_e32 v[10:11], v[16:17], v[20:21]
	v_add_f64_e32 v[16:17], v[22:23], v[160:161]
	s_wait_loadcnt_dscnt 0x300
	v_mul_f64_e32 v[20:21], v[12:13], v[134:135]
	v_mul_f64_e32 v[22:23], v[14:15], v[134:135]
	v_fmac_f64_e32 v[144:145], v[6:7], v[128:129]
	v_fma_f64 v[124:125], v[4:5], v[128:129], -v[130:131]
	v_add_f64_e32 v[126:127], v[10:11], v[8:9]
	v_add_f64_e32 v[16:17], v[16:17], v[18:19]
	ds_load_b128 v[4:7], v2 offset:1520
	ds_load_b128 v[8:11], v2 offset:1536
	v_fmac_f64_e32 v[20:21], v[14:15], v[132:133]
	v_fma_f64 v[12:13], v[12:13], v[132:133], -v[22:23]
	s_wait_loadcnt_dscnt 0x201
	v_mul_f64_e32 v[18:19], v[4:5], v[138:139]
	v_mul_f64_e32 v[128:129], v[6:7], v[138:139]
	s_wait_loadcnt_dscnt 0x100
	v_mul_f64_e32 v[22:23], v[8:9], v[142:143]
	v_add_f64_e32 v[14:15], v[126:127], v[124:125]
	v_add_f64_e32 v[16:17], v[16:17], v[144:145]
	v_mul_f64_e32 v[124:125], v[10:11], v[142:143]
	v_fmac_f64_e32 v[18:19], v[6:7], v[136:137]
	v_fma_f64 v[126:127], v[4:5], v[136:137], -v[128:129]
	ds_load_b128 v[4:7], v2 offset:1552
	v_fmac_f64_e32 v[22:23], v[10:11], v[140:141]
	v_add_f64_e32 v[12:13], v[14:15], v[12:13]
	v_add_f64_e32 v[14:15], v[16:17], v[20:21]
	v_fma_f64 v[8:9], v[8:9], v[140:141], -v[124:125]
	s_wait_loadcnt_dscnt 0x0
	v_mul_f64_e32 v[16:17], v[4:5], v[150:151]
	v_mul_f64_e32 v[20:21], v[6:7], v[150:151]
	v_add_f64_e32 v[10:11], v[12:13], v[126:127]
	v_add_f64_e32 v[12:13], v[14:15], v[18:19]
	s_delay_alu instid0(VALU_DEP_4) | instskip(NEXT) | instid1(VALU_DEP_4)
	v_fmac_f64_e32 v[16:17], v[6:7], v[148:149]
	v_fma_f64 v[4:5], v[4:5], v[148:149], -v[20:21]
	s_delay_alu instid0(VALU_DEP_4) | instskip(NEXT) | instid1(VALU_DEP_4)
	v_add_f64_e32 v[6:7], v[10:11], v[8:9]
	v_add_f64_e32 v[8:9], v[12:13], v[22:23]
	s_delay_alu instid0(VALU_DEP_2) | instskip(NEXT) | instid1(VALU_DEP_2)
	v_add_f64_e32 v[4:5], v[6:7], v[4:5]
	v_add_f64_e32 v[6:7], v[8:9], v[16:17]
	s_delay_alu instid0(VALU_DEP_2) | instskip(NEXT) | instid1(VALU_DEP_2)
	v_add_f64_e64 v[4:5], v[152:153], -v[4:5]
	v_add_f64_e64 v[6:7], v[154:155], -v[6:7]
	scratch_store_b128 off, v[4:7], off offset:208
	s_wait_xcnt 0x0
	v_cmpx_lt_u32_e32 12, v1
	s_cbranch_execz .LBB112_283
; %bb.282:
	scratch_load_b128 v[6:9], off, s53
	v_dual_mov_b32 v3, v2 :: v_dual_mov_b32 v4, v2
	v_mov_b32_e32 v5, v2
	scratch_store_b128 off, v[2:5], off offset:192
	s_wait_loadcnt 0x0
	ds_store_b128 v122, v[6:9]
.LBB112_283:
	s_wait_xcnt 0x0
	s_or_b32 exec_lo, exec_lo, s2
	s_wait_storecnt_dscnt 0x0
	s_barrier_signal -1
	s_barrier_wait -1
	s_clause 0x9
	scratch_load_b128 v[4:7], off, off offset:208
	scratch_load_b128 v[8:11], off, off offset:224
	;; [unrolled: 1-line block ×10, first 2 shown]
	ds_load_b128 v[144:147], v2 offset:992
	ds_load_b128 v[152:155], v2 offset:1008
	s_clause 0x2
	scratch_load_b128 v[148:151], off, off offset:368
	scratch_load_b128 v[156:159], off, off offset:192
	;; [unrolled: 1-line block ×3, first 2 shown]
	s_mov_b32 s2, exec_lo
	s_wait_loadcnt_dscnt 0xc01
	v_mul_f64_e32 v[164:165], v[146:147], v[6:7]
	v_mul_f64_e32 v[168:169], v[144:145], v[6:7]
	s_wait_loadcnt_dscnt 0xb00
	v_mul_f64_e32 v[170:171], v[152:153], v[10:11]
	v_mul_f64_e32 v[10:11], v[154:155], v[10:11]
	s_delay_alu instid0(VALU_DEP_4) | instskip(NEXT) | instid1(VALU_DEP_4)
	v_fma_f64 v[172:173], v[144:145], v[4:5], -v[164:165]
	v_fmac_f64_e32 v[168:169], v[146:147], v[4:5]
	ds_load_b128 v[4:7], v2 offset:1024
	ds_load_b128 v[144:147], v2 offset:1040
	scratch_load_b128 v[164:167], off, off offset:400
	v_fmac_f64_e32 v[170:171], v[154:155], v[8:9]
	v_fma_f64 v[152:153], v[152:153], v[8:9], -v[10:11]
	scratch_load_b128 v[8:11], off, off offset:416
	s_wait_loadcnt_dscnt 0xc01
	v_mul_f64_e32 v[174:175], v[4:5], v[14:15]
	v_mul_f64_e32 v[14:15], v[6:7], v[14:15]
	v_add_f64_e32 v[154:155], 0, v[172:173]
	v_add_f64_e32 v[168:169], 0, v[168:169]
	s_wait_loadcnt_dscnt 0xb00
	v_mul_f64_e32 v[172:173], v[144:145], v[18:19]
	v_mul_f64_e32 v[18:19], v[146:147], v[18:19]
	v_fmac_f64_e32 v[174:175], v[6:7], v[12:13]
	v_fma_f64 v[176:177], v[4:5], v[12:13], -v[14:15]
	ds_load_b128 v[4:7], v2 offset:1056
	ds_load_b128 v[12:15], v2 offset:1072
	v_add_f64_e32 v[178:179], v[154:155], v[152:153]
	v_add_f64_e32 v[168:169], v[168:169], v[170:171]
	scratch_load_b128 v[152:155], off, off offset:432
	v_fmac_f64_e32 v[172:173], v[146:147], v[16:17]
	v_fma_f64 v[144:145], v[144:145], v[16:17], -v[18:19]
	scratch_load_b128 v[16:19], off, off offset:448
	s_wait_loadcnt_dscnt 0xc01
	v_mul_f64_e32 v[170:171], v[4:5], v[22:23]
	v_mul_f64_e32 v[22:23], v[6:7], v[22:23]
	v_add_f64_e32 v[146:147], v[178:179], v[176:177]
	v_add_f64_e32 v[168:169], v[168:169], v[174:175]
	s_wait_loadcnt_dscnt 0xb00
	v_mul_f64_e32 v[174:175], v[12:13], v[126:127]
	v_mul_f64_e32 v[126:127], v[14:15], v[126:127]
	v_fmac_f64_e32 v[170:171], v[6:7], v[20:21]
	v_fma_f64 v[176:177], v[4:5], v[20:21], -v[22:23]
	ds_load_b128 v[4:7], v2 offset:1088
	ds_load_b128 v[20:23], v2 offset:1104
	v_add_f64_e32 v[178:179], v[146:147], v[144:145]
	v_add_f64_e32 v[168:169], v[168:169], v[172:173]
	scratch_load_b128 v[144:147], off, off offset:464
	s_wait_loadcnt_dscnt 0xb01
	v_mul_f64_e32 v[172:173], v[4:5], v[130:131]
	v_mul_f64_e32 v[130:131], v[6:7], v[130:131]
	v_fmac_f64_e32 v[174:175], v[14:15], v[124:125]
	v_fma_f64 v[124:125], v[12:13], v[124:125], -v[126:127]
	scratch_load_b128 v[12:15], off, off offset:480
	v_add_f64_e32 v[126:127], v[178:179], v[176:177]
	v_add_f64_e32 v[168:169], v[168:169], v[170:171]
	s_wait_loadcnt_dscnt 0xb00
	v_mul_f64_e32 v[170:171], v[20:21], v[134:135]
	v_mul_f64_e32 v[134:135], v[22:23], v[134:135]
	v_fmac_f64_e32 v[172:173], v[6:7], v[128:129]
	v_fma_f64 v[176:177], v[4:5], v[128:129], -v[130:131]
	v_add_f64_e32 v[178:179], v[126:127], v[124:125]
	v_add_f64_e32 v[168:169], v[168:169], v[174:175]
	ds_load_b128 v[4:7], v2 offset:1120
	ds_load_b128 v[124:127], v2 offset:1136
	scratch_load_b128 v[128:131], off, off offset:496
	v_fmac_f64_e32 v[170:171], v[22:23], v[132:133]
	v_fma_f64 v[132:133], v[20:21], v[132:133], -v[134:135]
	scratch_load_b128 v[20:23], off, off offset:512
	s_wait_loadcnt_dscnt 0xc01
	v_mul_f64_e32 v[174:175], v[4:5], v[138:139]
	v_mul_f64_e32 v[138:139], v[6:7], v[138:139]
	v_add_f64_e32 v[134:135], v[178:179], v[176:177]
	v_add_f64_e32 v[168:169], v[168:169], v[172:173]
	s_wait_loadcnt_dscnt 0xb00
	v_mul_f64_e32 v[172:173], v[124:125], v[142:143]
	v_mul_f64_e32 v[142:143], v[126:127], v[142:143]
	v_fmac_f64_e32 v[174:175], v[6:7], v[136:137]
	v_fma_f64 v[176:177], v[4:5], v[136:137], -v[138:139]
	v_add_f64_e32 v[178:179], v[134:135], v[132:133]
	v_add_f64_e32 v[168:169], v[168:169], v[170:171]
	ds_load_b128 v[4:7], v2 offset:1152
	ds_load_b128 v[132:135], v2 offset:1168
	scratch_load_b128 v[136:139], off, off offset:528
	v_fmac_f64_e32 v[172:173], v[126:127], v[140:141]
	v_fma_f64 v[140:141], v[124:125], v[140:141], -v[142:143]
	scratch_load_b128 v[124:127], off, off offset:544
	s_wait_loadcnt_dscnt 0xc01
	v_mul_f64_e32 v[170:171], v[4:5], v[150:151]
	v_mul_f64_e32 v[150:151], v[6:7], v[150:151]
	;; [unrolled: 18-line block ×5, first 2 shown]
	v_add_f64_e32 v[162:163], v[178:179], v[176:177]
	v_add_f64_e32 v[168:169], v[168:169], v[174:175]
	s_wait_loadcnt_dscnt 0xa00
	v_mul_f64_e32 v[174:175], v[140:141], v[14:15]
	v_mul_f64_e32 v[14:15], v[142:143], v[14:15]
	v_fmac_f64_e32 v[170:171], v[6:7], v[144:145]
	v_fma_f64 v[176:177], v[4:5], v[144:145], -v[146:147]
	ds_load_b128 v[4:7], v2 offset:1280
	ds_load_b128 v[144:147], v2 offset:1296
	v_add_f64_e32 v[178:179], v[162:163], v[160:161]
	v_add_f64_e32 v[168:169], v[168:169], v[172:173]
	scratch_load_b128 v[160:163], off, off offset:656
	v_fmac_f64_e32 v[174:175], v[142:143], v[12:13]
	v_fma_f64 v[140:141], v[140:141], v[12:13], -v[14:15]
	scratch_load_b128 v[12:15], off, off offset:672
	s_wait_loadcnt_dscnt 0xb01
	v_mul_f64_e32 v[172:173], v[4:5], v[130:131]
	v_mul_f64_e32 v[130:131], v[6:7], v[130:131]
	v_add_f64_e32 v[142:143], v[178:179], v[176:177]
	v_add_f64_e32 v[168:169], v[168:169], v[170:171]
	s_wait_loadcnt_dscnt 0xa00
	v_mul_f64_e32 v[170:171], v[144:145], v[22:23]
	v_mul_f64_e32 v[22:23], v[146:147], v[22:23]
	v_fmac_f64_e32 v[172:173], v[6:7], v[128:129]
	v_fma_f64 v[176:177], v[4:5], v[128:129], -v[130:131]
	ds_load_b128 v[4:7], v2 offset:1312
	ds_load_b128 v[128:131], v2 offset:1328
	v_add_f64_e32 v[178:179], v[142:143], v[140:141]
	v_add_f64_e32 v[168:169], v[168:169], v[174:175]
	scratch_load_b128 v[140:143], off, off offset:688
	s_wait_loadcnt_dscnt 0xa01
	v_mul_f64_e32 v[174:175], v[4:5], v[138:139]
	v_mul_f64_e32 v[138:139], v[6:7], v[138:139]
	v_fmac_f64_e32 v[170:171], v[146:147], v[20:21]
	v_fma_f64 v[144:145], v[144:145], v[20:21], -v[22:23]
	scratch_load_b128 v[20:23], off, off offset:704
	v_add_f64_e32 v[146:147], v[178:179], v[176:177]
	v_add_f64_e32 v[168:169], v[168:169], v[172:173]
	s_wait_loadcnt_dscnt 0xa00
	v_mul_f64_e32 v[172:173], v[128:129], v[126:127]
	v_mul_f64_e32 v[126:127], v[130:131], v[126:127]
	v_fmac_f64_e32 v[174:175], v[6:7], v[136:137]
	v_fma_f64 v[176:177], v[4:5], v[136:137], -v[138:139]
	ds_load_b128 v[4:7], v2 offset:1344
	ds_load_b128 v[136:139], v2 offset:1360
	v_add_f64_e32 v[178:179], v[146:147], v[144:145]
	v_add_f64_e32 v[168:169], v[168:169], v[170:171]
	scratch_load_b128 v[144:147], off, off offset:720
	s_wait_loadcnt_dscnt 0xa01
	v_mul_f64_e32 v[170:171], v[4:5], v[150:151]
	v_mul_f64_e32 v[150:151], v[6:7], v[150:151]
	v_fmac_f64_e32 v[172:173], v[130:131], v[124:125]
	v_fma_f64 v[128:129], v[128:129], v[124:125], -v[126:127]
	scratch_load_b128 v[124:127], off, off offset:736
	v_add_f64_e32 v[130:131], v[178:179], v[176:177]
	v_add_f64_e32 v[168:169], v[168:169], v[174:175]
	s_wait_loadcnt_dscnt 0xa00
	v_mul_f64_e32 v[174:175], v[136:137], v[134:135]
	v_mul_f64_e32 v[134:135], v[138:139], v[134:135]
	v_fmac_f64_e32 v[170:171], v[6:7], v[148:149]
	v_fma_f64 v[176:177], v[4:5], v[148:149], -v[150:151]
	v_add_f64_e32 v[178:179], v[130:131], v[128:129]
	v_add_f64_e32 v[168:169], v[168:169], v[172:173]
	ds_load_b128 v[4:7], v2 offset:1376
	ds_load_b128 v[128:131], v2 offset:1392
	scratch_load_b128 v[148:151], off, off offset:752
	v_fmac_f64_e32 v[174:175], v[138:139], v[132:133]
	v_fma_f64 v[136:137], v[136:137], v[132:133], -v[134:135]
	scratch_load_b128 v[132:135], off, off offset:768
	s_wait_loadcnt_dscnt 0xb01
	v_mul_f64_e32 v[172:173], v[4:5], v[166:167]
	v_mul_f64_e32 v[166:167], v[6:7], v[166:167]
	v_add_f64_e32 v[138:139], v[178:179], v[176:177]
	v_add_f64_e32 v[168:169], v[168:169], v[170:171]
	s_wait_loadcnt_dscnt 0xa00
	v_mul_f64_e32 v[170:171], v[128:129], v[10:11]
	v_mul_f64_e32 v[10:11], v[130:131], v[10:11]
	v_fmac_f64_e32 v[172:173], v[6:7], v[164:165]
	v_fma_f64 v[164:165], v[4:5], v[164:165], -v[166:167]
	v_add_f64_e32 v[166:167], v[138:139], v[136:137]
	v_add_f64_e32 v[168:169], v[168:169], v[174:175]
	ds_load_b128 v[4:7], v2 offset:1408
	ds_load_b128 v[136:139], v2 offset:1424
	v_fmac_f64_e32 v[170:171], v[130:131], v[8:9]
	v_fma_f64 v[8:9], v[128:129], v[8:9], -v[10:11]
	s_wait_loadcnt_dscnt 0x901
	v_mul_f64_e32 v[174:175], v[4:5], v[154:155]
	v_mul_f64_e32 v[154:155], v[6:7], v[154:155]
	s_wait_loadcnt_dscnt 0x800
	v_mul_f64_e32 v[130:131], v[136:137], v[18:19]
	v_mul_f64_e32 v[18:19], v[138:139], v[18:19]
	v_add_f64_e32 v[10:11], v[166:167], v[164:165]
	v_add_f64_e32 v[128:129], v[168:169], v[172:173]
	v_fmac_f64_e32 v[174:175], v[6:7], v[152:153]
	v_fma_f64 v[152:153], v[4:5], v[152:153], -v[154:155]
	v_fmac_f64_e32 v[130:131], v[138:139], v[16:17]
	v_fma_f64 v[16:17], v[136:137], v[16:17], -v[18:19]
	v_add_f64_e32 v[154:155], v[10:11], v[8:9]
	v_add_f64_e32 v[128:129], v[128:129], v[170:171]
	ds_load_b128 v[4:7], v2 offset:1440
	ds_load_b128 v[8:11], v2 offset:1456
	s_wait_loadcnt_dscnt 0x701
	v_mul_f64_e32 v[164:165], v[4:5], v[162:163]
	v_mul_f64_e32 v[162:163], v[6:7], v[162:163]
	s_wait_loadcnt_dscnt 0x600
	v_mul_f64_e32 v[136:137], v[8:9], v[14:15]
	v_mul_f64_e32 v[138:139], v[10:11], v[14:15]
	v_add_f64_e32 v[18:19], v[154:155], v[152:153]
	v_add_f64_e32 v[128:129], v[128:129], v[174:175]
	v_fmac_f64_e32 v[164:165], v[6:7], v[160:161]
	v_fma_f64 v[152:153], v[4:5], v[160:161], -v[162:163]
	v_fmac_f64_e32 v[136:137], v[10:11], v[12:13]
	v_fma_f64 v[8:9], v[8:9], v[12:13], -v[138:139]
	v_add_f64_e32 v[18:19], v[18:19], v[16:17]
	v_add_f64_e32 v[128:129], v[128:129], v[130:131]
	ds_load_b128 v[4:7], v2 offset:1472
	ds_load_b128 v[14:17], v2 offset:1488
	s_wait_loadcnt_dscnt 0x501
	v_mul_f64_e32 v[130:131], v[4:5], v[142:143]
	v_mul_f64_e32 v[142:143], v[6:7], v[142:143]
	v_add_f64_e32 v[10:11], v[18:19], v[152:153]
	v_add_f64_e32 v[12:13], v[128:129], v[164:165]
	s_wait_loadcnt_dscnt 0x400
	v_mul_f64_e32 v[18:19], v[14:15], v[22:23]
	v_mul_f64_e32 v[22:23], v[16:17], v[22:23]
	v_fmac_f64_e32 v[130:131], v[6:7], v[140:141]
	v_fma_f64 v[128:129], v[4:5], v[140:141], -v[142:143]
	v_add_f64_e32 v[138:139], v[10:11], v[8:9]
	v_add_f64_e32 v[12:13], v[12:13], v[136:137]
	ds_load_b128 v[4:7], v2 offset:1504
	ds_load_b128 v[8:11], v2 offset:1520
	v_fmac_f64_e32 v[18:19], v[16:17], v[20:21]
	v_fma_f64 v[14:15], v[14:15], v[20:21], -v[22:23]
	s_wait_loadcnt_dscnt 0x301
	v_mul_f64_e32 v[136:137], v[4:5], v[146:147]
	v_mul_f64_e32 v[140:141], v[6:7], v[146:147]
	s_wait_loadcnt_dscnt 0x200
	v_mul_f64_e32 v[20:21], v[8:9], v[126:127]
	v_mul_f64_e32 v[22:23], v[10:11], v[126:127]
	v_add_f64_e32 v[16:17], v[138:139], v[128:129]
	v_add_f64_e32 v[12:13], v[12:13], v[130:131]
	v_fmac_f64_e32 v[136:137], v[6:7], v[144:145]
	v_fma_f64 v[126:127], v[4:5], v[144:145], -v[140:141]
	v_fmac_f64_e32 v[20:21], v[10:11], v[124:125]
	v_fma_f64 v[8:9], v[8:9], v[124:125], -v[22:23]
	v_add_f64_e32 v[16:17], v[16:17], v[14:15]
	v_add_f64_e32 v[18:19], v[12:13], v[18:19]
	ds_load_b128 v[4:7], v2 offset:1536
	ds_load_b128 v[12:15], v2 offset:1552
	s_wait_loadcnt_dscnt 0x101
	v_mul_f64_e32 v[2:3], v[4:5], v[150:151]
	v_mul_f64_e32 v[128:129], v[6:7], v[150:151]
	s_wait_loadcnt_dscnt 0x0
	v_mul_f64_e32 v[22:23], v[14:15], v[134:135]
	v_add_f64_e32 v[10:11], v[16:17], v[126:127]
	v_add_f64_e32 v[16:17], v[18:19], v[136:137]
	v_mul_f64_e32 v[18:19], v[12:13], v[134:135]
	v_fmac_f64_e32 v[2:3], v[6:7], v[148:149]
	v_fma_f64 v[4:5], v[4:5], v[148:149], -v[128:129]
	v_add_f64_e32 v[6:7], v[10:11], v[8:9]
	v_add_f64_e32 v[8:9], v[16:17], v[20:21]
	v_fmac_f64_e32 v[18:19], v[14:15], v[132:133]
	v_fma_f64 v[10:11], v[12:13], v[132:133], -v[22:23]
	s_delay_alu instid0(VALU_DEP_4) | instskip(NEXT) | instid1(VALU_DEP_4)
	v_add_f64_e32 v[4:5], v[6:7], v[4:5]
	v_add_f64_e32 v[2:3], v[8:9], v[2:3]
	s_delay_alu instid0(VALU_DEP_2) | instskip(NEXT) | instid1(VALU_DEP_2)
	v_add_f64_e32 v[4:5], v[4:5], v[10:11]
	v_add_f64_e32 v[6:7], v[2:3], v[18:19]
	s_delay_alu instid0(VALU_DEP_2) | instskip(NEXT) | instid1(VALU_DEP_2)
	v_add_f64_e64 v[2:3], v[156:157], -v[4:5]
	v_add_f64_e64 v[4:5], v[158:159], -v[6:7]
	scratch_store_b128 off, v[2:5], off offset:192
	s_wait_xcnt 0x0
	v_cmpx_lt_u32_e32 11, v1
	s_cbranch_execz .LBB112_285
; %bb.284:
	scratch_load_b128 v[2:5], off, s54
	v_mov_b32_e32 v6, 0
	s_delay_alu instid0(VALU_DEP_1)
	v_dual_mov_b32 v7, v6 :: v_dual_mov_b32 v8, v6
	v_mov_b32_e32 v9, v6
	scratch_store_b128 off, v[6:9], off offset:176
	s_wait_loadcnt 0x0
	ds_store_b128 v122, v[2:5]
.LBB112_285:
	s_wait_xcnt 0x0
	s_or_b32 exec_lo, exec_lo, s2
	s_wait_storecnt_dscnt 0x0
	s_barrier_signal -1
	s_barrier_wait -1
	s_clause 0x9
	scratch_load_b128 v[4:7], off, off offset:192
	scratch_load_b128 v[8:11], off, off offset:208
	;; [unrolled: 1-line block ×10, first 2 shown]
	v_mov_b32_e32 v2, 0
	s_mov_b32 s2, exec_lo
	ds_load_b128 v[144:147], v2 offset:976
	s_clause 0x2
	scratch_load_b128 v[148:151], off, off offset:352
	scratch_load_b128 v[152:155], off, off offset:176
	;; [unrolled: 1-line block ×3, first 2 shown]
	s_wait_loadcnt_dscnt 0xc00
	v_mul_f64_e32 v[164:165], v[146:147], v[6:7]
	v_mul_f64_e32 v[168:169], v[144:145], v[6:7]
	ds_load_b128 v[156:159], v2 offset:992
	v_fma_f64 v[172:173], v[144:145], v[4:5], -v[164:165]
	v_fmac_f64_e32 v[168:169], v[146:147], v[4:5]
	ds_load_b128 v[4:7], v2 offset:1008
	s_wait_loadcnt_dscnt 0xb01
	v_mul_f64_e32 v[170:171], v[156:157], v[10:11]
	v_mul_f64_e32 v[10:11], v[158:159], v[10:11]
	scratch_load_b128 v[144:147], off, off offset:384
	ds_load_b128 v[164:167], v2 offset:1024
	s_wait_loadcnt_dscnt 0xb01
	v_mul_f64_e32 v[174:175], v[4:5], v[14:15]
	v_mul_f64_e32 v[14:15], v[6:7], v[14:15]
	v_add_f64_e32 v[168:169], 0, v[168:169]
	v_fmac_f64_e32 v[170:171], v[158:159], v[8:9]
	v_fma_f64 v[156:157], v[156:157], v[8:9], -v[10:11]
	v_add_f64_e32 v[158:159], 0, v[172:173]
	scratch_load_b128 v[8:11], off, off offset:400
	v_fmac_f64_e32 v[174:175], v[6:7], v[12:13]
	v_fma_f64 v[176:177], v[4:5], v[12:13], -v[14:15]
	ds_load_b128 v[4:7], v2 offset:1040
	s_wait_loadcnt_dscnt 0xb01
	v_mul_f64_e32 v[172:173], v[164:165], v[18:19]
	v_mul_f64_e32 v[18:19], v[166:167], v[18:19]
	scratch_load_b128 v[12:15], off, off offset:416
	v_add_f64_e32 v[168:169], v[168:169], v[170:171]
	v_add_f64_e32 v[178:179], v[158:159], v[156:157]
	ds_load_b128 v[156:159], v2 offset:1056
	s_wait_loadcnt_dscnt 0xb01
	v_mul_f64_e32 v[170:171], v[4:5], v[22:23]
	v_mul_f64_e32 v[22:23], v[6:7], v[22:23]
	v_fmac_f64_e32 v[172:173], v[166:167], v[16:17]
	v_fma_f64 v[164:165], v[164:165], v[16:17], -v[18:19]
	scratch_load_b128 v[16:19], off, off offset:432
	v_add_f64_e32 v[168:169], v[168:169], v[174:175]
	v_add_f64_e32 v[166:167], v[178:179], v[176:177]
	v_fmac_f64_e32 v[170:171], v[6:7], v[20:21]
	v_fma_f64 v[176:177], v[4:5], v[20:21], -v[22:23]
	ds_load_b128 v[4:7], v2 offset:1072
	s_wait_loadcnt_dscnt 0xb01
	v_mul_f64_e32 v[174:175], v[156:157], v[126:127]
	v_mul_f64_e32 v[126:127], v[158:159], v[126:127]
	scratch_load_b128 v[20:23], off, off offset:448
	v_add_f64_e32 v[168:169], v[168:169], v[172:173]
	s_wait_loadcnt_dscnt 0xb00
	v_mul_f64_e32 v[172:173], v[4:5], v[130:131]
	v_add_f64_e32 v[178:179], v[166:167], v[164:165]
	v_mul_f64_e32 v[130:131], v[6:7], v[130:131]
	ds_load_b128 v[164:167], v2 offset:1088
	v_fmac_f64_e32 v[174:175], v[158:159], v[124:125]
	v_fma_f64 v[156:157], v[156:157], v[124:125], -v[126:127]
	scratch_load_b128 v[124:127], off, off offset:464
	v_add_f64_e32 v[168:169], v[168:169], v[170:171]
	v_fmac_f64_e32 v[172:173], v[6:7], v[128:129]
	v_add_f64_e32 v[158:159], v[178:179], v[176:177]
	v_fma_f64 v[176:177], v[4:5], v[128:129], -v[130:131]
	ds_load_b128 v[4:7], v2 offset:1104
	s_wait_loadcnt_dscnt 0xb01
	v_mul_f64_e32 v[170:171], v[164:165], v[134:135]
	v_mul_f64_e32 v[134:135], v[166:167], v[134:135]
	scratch_load_b128 v[128:131], off, off offset:480
	v_add_f64_e32 v[168:169], v[168:169], v[174:175]
	s_wait_loadcnt_dscnt 0xb00
	v_mul_f64_e32 v[174:175], v[4:5], v[138:139]
	v_add_f64_e32 v[178:179], v[158:159], v[156:157]
	v_mul_f64_e32 v[138:139], v[6:7], v[138:139]
	ds_load_b128 v[156:159], v2 offset:1120
	v_fmac_f64_e32 v[170:171], v[166:167], v[132:133]
	v_fma_f64 v[164:165], v[164:165], v[132:133], -v[134:135]
	scratch_load_b128 v[132:135], off, off offset:496
	v_add_f64_e32 v[168:169], v[168:169], v[172:173]
	v_fmac_f64_e32 v[174:175], v[6:7], v[136:137]
	v_add_f64_e32 v[166:167], v[178:179], v[176:177]
	v_fma_f64 v[176:177], v[4:5], v[136:137], -v[138:139]
	ds_load_b128 v[4:7], v2 offset:1136
	s_wait_loadcnt_dscnt 0xb01
	v_mul_f64_e32 v[172:173], v[156:157], v[142:143]
	v_mul_f64_e32 v[142:143], v[158:159], v[142:143]
	scratch_load_b128 v[136:139], off, off offset:512
	v_add_f64_e32 v[168:169], v[168:169], v[170:171]
	s_wait_loadcnt_dscnt 0xb00
	v_mul_f64_e32 v[170:171], v[4:5], v[150:151]
	v_add_f64_e32 v[178:179], v[166:167], v[164:165]
	v_mul_f64_e32 v[150:151], v[6:7], v[150:151]
	ds_load_b128 v[164:167], v2 offset:1152
	v_fmac_f64_e32 v[172:173], v[158:159], v[140:141]
	v_fma_f64 v[156:157], v[156:157], v[140:141], -v[142:143]
	scratch_load_b128 v[140:143], off, off offset:528
	v_add_f64_e32 v[168:169], v[168:169], v[174:175]
	v_fmac_f64_e32 v[170:171], v[6:7], v[148:149]
	v_add_f64_e32 v[158:159], v[178:179], v[176:177]
	v_fma_f64 v[176:177], v[4:5], v[148:149], -v[150:151]
	ds_load_b128 v[4:7], v2 offset:1168
	s_wait_loadcnt_dscnt 0xa01
	v_mul_f64_e32 v[174:175], v[164:165], v[162:163]
	v_mul_f64_e32 v[162:163], v[166:167], v[162:163]
	scratch_load_b128 v[148:151], off, off offset:544
	v_add_f64_e32 v[168:169], v[168:169], v[172:173]
	v_add_f64_e32 v[178:179], v[158:159], v[156:157]
	s_wait_loadcnt_dscnt 0xa00
	v_mul_f64_e32 v[172:173], v[4:5], v[146:147]
	v_mul_f64_e32 v[146:147], v[6:7], v[146:147]
	v_fmac_f64_e32 v[174:175], v[166:167], v[160:161]
	v_fma_f64 v[164:165], v[164:165], v[160:161], -v[162:163]
	ds_load_b128 v[156:159], v2 offset:1184
	scratch_load_b128 v[160:163], off, off offset:560
	v_add_f64_e32 v[168:169], v[168:169], v[170:171]
	v_add_f64_e32 v[166:167], v[178:179], v[176:177]
	v_fmac_f64_e32 v[172:173], v[6:7], v[144:145]
	v_fma_f64 v[176:177], v[4:5], v[144:145], -v[146:147]
	ds_load_b128 v[4:7], v2 offset:1200
	s_wait_loadcnt_dscnt 0xa01
	v_mul_f64_e32 v[170:171], v[156:157], v[10:11]
	v_mul_f64_e32 v[10:11], v[158:159], v[10:11]
	scratch_load_b128 v[144:147], off, off offset:576
	v_add_f64_e32 v[168:169], v[168:169], v[174:175]
	s_wait_loadcnt_dscnt 0xa00
	v_mul_f64_e32 v[174:175], v[4:5], v[14:15]
	v_add_f64_e32 v[178:179], v[166:167], v[164:165]
	v_mul_f64_e32 v[14:15], v[6:7], v[14:15]
	ds_load_b128 v[164:167], v2 offset:1216
	v_fmac_f64_e32 v[170:171], v[158:159], v[8:9]
	v_fma_f64 v[156:157], v[156:157], v[8:9], -v[10:11]
	scratch_load_b128 v[8:11], off, off offset:592
	v_add_f64_e32 v[168:169], v[168:169], v[172:173]
	v_fmac_f64_e32 v[174:175], v[6:7], v[12:13]
	v_add_f64_e32 v[158:159], v[178:179], v[176:177]
	v_fma_f64 v[176:177], v[4:5], v[12:13], -v[14:15]
	ds_load_b128 v[4:7], v2 offset:1232
	s_wait_loadcnt_dscnt 0xa01
	v_mul_f64_e32 v[172:173], v[164:165], v[18:19]
	v_mul_f64_e32 v[18:19], v[166:167], v[18:19]
	scratch_load_b128 v[12:15], off, off offset:608
	v_add_f64_e32 v[168:169], v[168:169], v[170:171]
	s_wait_loadcnt_dscnt 0xa00
	v_mul_f64_e32 v[170:171], v[4:5], v[22:23]
	v_add_f64_e32 v[178:179], v[158:159], v[156:157]
	v_mul_f64_e32 v[22:23], v[6:7], v[22:23]
	ds_load_b128 v[156:159], v2 offset:1248
	v_fmac_f64_e32 v[172:173], v[166:167], v[16:17]
	v_fma_f64 v[164:165], v[164:165], v[16:17], -v[18:19]
	scratch_load_b128 v[16:19], off, off offset:624
	v_add_f64_e32 v[168:169], v[168:169], v[174:175]
	v_fmac_f64_e32 v[170:171], v[6:7], v[20:21]
	v_add_f64_e32 v[166:167], v[178:179], v[176:177]
	;; [unrolled: 18-line block ×6, first 2 shown]
	v_fma_f64 v[176:177], v[4:5], v[144:145], -v[146:147]
	ds_load_b128 v[4:7], v2 offset:1392
	s_wait_loadcnt_dscnt 0xa01
	v_mul_f64_e32 v[170:171], v[156:157], v[10:11]
	v_mul_f64_e32 v[10:11], v[158:159], v[10:11]
	scratch_load_b128 v[144:147], off, off offset:768
	v_add_f64_e32 v[168:169], v[168:169], v[174:175]
	s_wait_loadcnt_dscnt 0xa00
	v_mul_f64_e32 v[174:175], v[4:5], v[14:15]
	v_add_f64_e32 v[178:179], v[166:167], v[164:165]
	v_mul_f64_e32 v[14:15], v[6:7], v[14:15]
	ds_load_b128 v[164:167], v2 offset:1408
	v_fmac_f64_e32 v[170:171], v[158:159], v[8:9]
	v_fma_f64 v[8:9], v[156:157], v[8:9], -v[10:11]
	s_wait_loadcnt_dscnt 0x900
	v_mul_f64_e32 v[158:159], v[164:165], v[18:19]
	v_mul_f64_e32 v[18:19], v[166:167], v[18:19]
	v_add_f64_e32 v[156:157], v[168:169], v[172:173]
	v_fmac_f64_e32 v[174:175], v[6:7], v[12:13]
	v_add_f64_e32 v[10:11], v[178:179], v[176:177]
	v_fma_f64 v[12:13], v[4:5], v[12:13], -v[14:15]
	v_fmac_f64_e32 v[158:159], v[166:167], v[16:17]
	v_fma_f64 v[16:17], v[164:165], v[16:17], -v[18:19]
	v_add_f64_e32 v[156:157], v[156:157], v[170:171]
	v_add_f64_e32 v[14:15], v[10:11], v[8:9]
	ds_load_b128 v[4:7], v2 offset:1424
	ds_load_b128 v[8:11], v2 offset:1440
	s_wait_loadcnt_dscnt 0x801
	v_mul_f64_e32 v[168:169], v[4:5], v[22:23]
	v_mul_f64_e32 v[22:23], v[6:7], v[22:23]
	s_wait_loadcnt_dscnt 0x700
	v_mul_f64_e32 v[18:19], v[8:9], v[126:127]
	v_mul_f64_e32 v[126:127], v[10:11], v[126:127]
	v_add_f64_e32 v[12:13], v[14:15], v[12:13]
	v_add_f64_e32 v[14:15], v[156:157], v[174:175]
	v_fmac_f64_e32 v[168:169], v[6:7], v[20:21]
	v_fma_f64 v[20:21], v[4:5], v[20:21], -v[22:23]
	v_fmac_f64_e32 v[18:19], v[10:11], v[124:125]
	v_fma_f64 v[8:9], v[8:9], v[124:125], -v[126:127]
	v_add_f64_e32 v[16:17], v[12:13], v[16:17]
	v_add_f64_e32 v[22:23], v[14:15], v[158:159]
	ds_load_b128 v[4:7], v2 offset:1456
	ds_load_b128 v[12:15], v2 offset:1472
	s_wait_loadcnt_dscnt 0x601
	v_mul_f64_e32 v[156:157], v[4:5], v[130:131]
	v_mul_f64_e32 v[130:131], v[6:7], v[130:131]
	v_add_f64_e32 v[10:11], v[16:17], v[20:21]
	v_add_f64_e32 v[16:17], v[22:23], v[168:169]
	s_wait_loadcnt_dscnt 0x500
	v_mul_f64_e32 v[20:21], v[12:13], v[134:135]
	v_mul_f64_e32 v[22:23], v[14:15], v[134:135]
	v_fmac_f64_e32 v[156:157], v[6:7], v[128:129]
	v_fma_f64 v[124:125], v[4:5], v[128:129], -v[130:131]
	v_add_f64_e32 v[126:127], v[10:11], v[8:9]
	v_add_f64_e32 v[16:17], v[16:17], v[18:19]
	ds_load_b128 v[4:7], v2 offset:1488
	ds_load_b128 v[8:11], v2 offset:1504
	v_fmac_f64_e32 v[20:21], v[14:15], v[132:133]
	v_fma_f64 v[12:13], v[12:13], v[132:133], -v[22:23]
	s_wait_loadcnt_dscnt 0x401
	v_mul_f64_e32 v[18:19], v[4:5], v[138:139]
	v_mul_f64_e32 v[128:129], v[6:7], v[138:139]
	s_wait_loadcnt_dscnt 0x300
	v_mul_f64_e32 v[22:23], v[8:9], v[142:143]
	v_add_f64_e32 v[14:15], v[126:127], v[124:125]
	v_add_f64_e32 v[16:17], v[16:17], v[156:157]
	v_mul_f64_e32 v[124:125], v[10:11], v[142:143]
	v_fmac_f64_e32 v[18:19], v[6:7], v[136:137]
	v_fma_f64 v[126:127], v[4:5], v[136:137], -v[128:129]
	v_fmac_f64_e32 v[22:23], v[10:11], v[140:141]
	v_add_f64_e32 v[128:129], v[14:15], v[12:13]
	v_add_f64_e32 v[16:17], v[16:17], v[20:21]
	ds_load_b128 v[4:7], v2 offset:1520
	ds_load_b128 v[12:15], v2 offset:1536
	v_fma_f64 v[8:9], v[8:9], v[140:141], -v[124:125]
	s_wait_loadcnt_dscnt 0x201
	v_mul_f64_e32 v[20:21], v[4:5], v[150:151]
	v_mul_f64_e32 v[130:131], v[6:7], v[150:151]
	s_wait_loadcnt_dscnt 0x100
	v_mul_f64_e32 v[124:125], v[14:15], v[162:163]
	v_add_f64_e32 v[10:11], v[128:129], v[126:127]
	v_add_f64_e32 v[16:17], v[16:17], v[18:19]
	v_mul_f64_e32 v[18:19], v[12:13], v[162:163]
	v_fmac_f64_e32 v[20:21], v[6:7], v[148:149]
	v_fma_f64 v[126:127], v[4:5], v[148:149], -v[130:131]
	ds_load_b128 v[4:7], v2 offset:1552
	v_fma_f64 v[12:13], v[12:13], v[160:161], -v[124:125]
	v_add_f64_e32 v[8:9], v[10:11], v[8:9]
	v_add_f64_e32 v[10:11], v[16:17], v[22:23]
	v_fmac_f64_e32 v[18:19], v[14:15], v[160:161]
	s_wait_loadcnt_dscnt 0x0
	v_mul_f64_e32 v[16:17], v[4:5], v[146:147]
	v_mul_f64_e32 v[22:23], v[6:7], v[146:147]
	v_add_f64_e32 v[8:9], v[8:9], v[126:127]
	v_add_f64_e32 v[10:11], v[10:11], v[20:21]
	s_delay_alu instid0(VALU_DEP_4) | instskip(NEXT) | instid1(VALU_DEP_4)
	v_fmac_f64_e32 v[16:17], v[6:7], v[144:145]
	v_fma_f64 v[4:5], v[4:5], v[144:145], -v[22:23]
	s_delay_alu instid0(VALU_DEP_4) | instskip(NEXT) | instid1(VALU_DEP_4)
	v_add_f64_e32 v[6:7], v[8:9], v[12:13]
	v_add_f64_e32 v[8:9], v[10:11], v[18:19]
	s_delay_alu instid0(VALU_DEP_2) | instskip(NEXT) | instid1(VALU_DEP_2)
	v_add_f64_e32 v[4:5], v[6:7], v[4:5]
	v_add_f64_e32 v[6:7], v[8:9], v[16:17]
	s_delay_alu instid0(VALU_DEP_2) | instskip(NEXT) | instid1(VALU_DEP_2)
	v_add_f64_e64 v[4:5], v[152:153], -v[4:5]
	v_add_f64_e64 v[6:7], v[154:155], -v[6:7]
	scratch_store_b128 off, v[4:7], off offset:176
	s_wait_xcnt 0x0
	v_cmpx_lt_u32_e32 10, v1
	s_cbranch_execz .LBB112_287
; %bb.286:
	scratch_load_b128 v[6:9], off, s55
	v_dual_mov_b32 v3, v2 :: v_dual_mov_b32 v4, v2
	v_mov_b32_e32 v5, v2
	scratch_store_b128 off, v[2:5], off offset:160
	s_wait_loadcnt 0x0
	ds_store_b128 v122, v[6:9]
.LBB112_287:
	s_wait_xcnt 0x0
	s_or_b32 exec_lo, exec_lo, s2
	s_wait_storecnt_dscnt 0x0
	s_barrier_signal -1
	s_barrier_wait -1
	s_clause 0x9
	scratch_load_b128 v[4:7], off, off offset:176
	scratch_load_b128 v[8:11], off, off offset:192
	;; [unrolled: 1-line block ×10, first 2 shown]
	ds_load_b128 v[144:147], v2 offset:960
	ds_load_b128 v[152:155], v2 offset:976
	s_clause 0x2
	scratch_load_b128 v[148:151], off, off offset:336
	scratch_load_b128 v[156:159], off, off offset:160
	;; [unrolled: 1-line block ×3, first 2 shown]
	s_mov_b32 s2, exec_lo
	s_wait_loadcnt_dscnt 0xc01
	v_mul_f64_e32 v[164:165], v[146:147], v[6:7]
	v_mul_f64_e32 v[168:169], v[144:145], v[6:7]
	s_wait_loadcnt_dscnt 0xb00
	v_mul_f64_e32 v[170:171], v[152:153], v[10:11]
	v_mul_f64_e32 v[10:11], v[154:155], v[10:11]
	s_delay_alu instid0(VALU_DEP_4) | instskip(NEXT) | instid1(VALU_DEP_4)
	v_fma_f64 v[172:173], v[144:145], v[4:5], -v[164:165]
	v_fmac_f64_e32 v[168:169], v[146:147], v[4:5]
	ds_load_b128 v[4:7], v2 offset:992
	ds_load_b128 v[144:147], v2 offset:1008
	scratch_load_b128 v[164:167], off, off offset:368
	v_fmac_f64_e32 v[170:171], v[154:155], v[8:9]
	v_fma_f64 v[152:153], v[152:153], v[8:9], -v[10:11]
	scratch_load_b128 v[8:11], off, off offset:384
	s_wait_loadcnt_dscnt 0xc01
	v_mul_f64_e32 v[174:175], v[4:5], v[14:15]
	v_mul_f64_e32 v[14:15], v[6:7], v[14:15]
	v_add_f64_e32 v[154:155], 0, v[172:173]
	v_add_f64_e32 v[168:169], 0, v[168:169]
	s_wait_loadcnt_dscnt 0xb00
	v_mul_f64_e32 v[172:173], v[144:145], v[18:19]
	v_mul_f64_e32 v[18:19], v[146:147], v[18:19]
	v_fmac_f64_e32 v[174:175], v[6:7], v[12:13]
	v_fma_f64 v[176:177], v[4:5], v[12:13], -v[14:15]
	ds_load_b128 v[4:7], v2 offset:1024
	ds_load_b128 v[12:15], v2 offset:1040
	v_add_f64_e32 v[178:179], v[154:155], v[152:153]
	v_add_f64_e32 v[168:169], v[168:169], v[170:171]
	scratch_load_b128 v[152:155], off, off offset:400
	v_fmac_f64_e32 v[172:173], v[146:147], v[16:17]
	v_fma_f64 v[144:145], v[144:145], v[16:17], -v[18:19]
	scratch_load_b128 v[16:19], off, off offset:416
	s_wait_loadcnt_dscnt 0xc01
	v_mul_f64_e32 v[170:171], v[4:5], v[22:23]
	v_mul_f64_e32 v[22:23], v[6:7], v[22:23]
	v_add_f64_e32 v[146:147], v[178:179], v[176:177]
	v_add_f64_e32 v[168:169], v[168:169], v[174:175]
	s_wait_loadcnt_dscnt 0xb00
	v_mul_f64_e32 v[174:175], v[12:13], v[126:127]
	v_mul_f64_e32 v[126:127], v[14:15], v[126:127]
	v_fmac_f64_e32 v[170:171], v[6:7], v[20:21]
	v_fma_f64 v[176:177], v[4:5], v[20:21], -v[22:23]
	ds_load_b128 v[4:7], v2 offset:1056
	ds_load_b128 v[20:23], v2 offset:1072
	v_add_f64_e32 v[178:179], v[146:147], v[144:145]
	v_add_f64_e32 v[168:169], v[168:169], v[172:173]
	scratch_load_b128 v[144:147], off, off offset:432
	s_wait_loadcnt_dscnt 0xb01
	v_mul_f64_e32 v[172:173], v[4:5], v[130:131]
	v_mul_f64_e32 v[130:131], v[6:7], v[130:131]
	v_fmac_f64_e32 v[174:175], v[14:15], v[124:125]
	v_fma_f64 v[124:125], v[12:13], v[124:125], -v[126:127]
	scratch_load_b128 v[12:15], off, off offset:448
	v_add_f64_e32 v[126:127], v[178:179], v[176:177]
	v_add_f64_e32 v[168:169], v[168:169], v[170:171]
	s_wait_loadcnt_dscnt 0xb00
	v_mul_f64_e32 v[170:171], v[20:21], v[134:135]
	v_mul_f64_e32 v[134:135], v[22:23], v[134:135]
	v_fmac_f64_e32 v[172:173], v[6:7], v[128:129]
	v_fma_f64 v[176:177], v[4:5], v[128:129], -v[130:131]
	v_add_f64_e32 v[178:179], v[126:127], v[124:125]
	v_add_f64_e32 v[168:169], v[168:169], v[174:175]
	ds_load_b128 v[4:7], v2 offset:1088
	ds_load_b128 v[124:127], v2 offset:1104
	scratch_load_b128 v[128:131], off, off offset:464
	v_fmac_f64_e32 v[170:171], v[22:23], v[132:133]
	v_fma_f64 v[132:133], v[20:21], v[132:133], -v[134:135]
	scratch_load_b128 v[20:23], off, off offset:480
	s_wait_loadcnt_dscnt 0xc01
	v_mul_f64_e32 v[174:175], v[4:5], v[138:139]
	v_mul_f64_e32 v[138:139], v[6:7], v[138:139]
	v_add_f64_e32 v[134:135], v[178:179], v[176:177]
	v_add_f64_e32 v[168:169], v[168:169], v[172:173]
	s_wait_loadcnt_dscnt 0xb00
	v_mul_f64_e32 v[172:173], v[124:125], v[142:143]
	v_mul_f64_e32 v[142:143], v[126:127], v[142:143]
	v_fmac_f64_e32 v[174:175], v[6:7], v[136:137]
	v_fma_f64 v[176:177], v[4:5], v[136:137], -v[138:139]
	v_add_f64_e32 v[178:179], v[134:135], v[132:133]
	v_add_f64_e32 v[168:169], v[168:169], v[170:171]
	ds_load_b128 v[4:7], v2 offset:1120
	ds_load_b128 v[132:135], v2 offset:1136
	scratch_load_b128 v[136:139], off, off offset:496
	v_fmac_f64_e32 v[172:173], v[126:127], v[140:141]
	v_fma_f64 v[140:141], v[124:125], v[140:141], -v[142:143]
	scratch_load_b128 v[124:127], off, off offset:512
	s_wait_loadcnt_dscnt 0xc01
	v_mul_f64_e32 v[170:171], v[4:5], v[150:151]
	v_mul_f64_e32 v[150:151], v[6:7], v[150:151]
	;; [unrolled: 18-line block ×5, first 2 shown]
	v_add_f64_e32 v[162:163], v[178:179], v[176:177]
	v_add_f64_e32 v[168:169], v[168:169], v[174:175]
	s_wait_loadcnt_dscnt 0xa00
	v_mul_f64_e32 v[174:175], v[140:141], v[14:15]
	v_mul_f64_e32 v[14:15], v[142:143], v[14:15]
	v_fmac_f64_e32 v[170:171], v[6:7], v[144:145]
	v_fma_f64 v[176:177], v[4:5], v[144:145], -v[146:147]
	ds_load_b128 v[4:7], v2 offset:1248
	ds_load_b128 v[144:147], v2 offset:1264
	v_add_f64_e32 v[178:179], v[162:163], v[160:161]
	v_add_f64_e32 v[168:169], v[168:169], v[172:173]
	scratch_load_b128 v[160:163], off, off offset:624
	v_fmac_f64_e32 v[174:175], v[142:143], v[12:13]
	v_fma_f64 v[140:141], v[140:141], v[12:13], -v[14:15]
	scratch_load_b128 v[12:15], off, off offset:640
	s_wait_loadcnt_dscnt 0xb01
	v_mul_f64_e32 v[172:173], v[4:5], v[130:131]
	v_mul_f64_e32 v[130:131], v[6:7], v[130:131]
	v_add_f64_e32 v[142:143], v[178:179], v[176:177]
	v_add_f64_e32 v[168:169], v[168:169], v[170:171]
	s_wait_loadcnt_dscnt 0xa00
	v_mul_f64_e32 v[170:171], v[144:145], v[22:23]
	v_mul_f64_e32 v[22:23], v[146:147], v[22:23]
	v_fmac_f64_e32 v[172:173], v[6:7], v[128:129]
	v_fma_f64 v[176:177], v[4:5], v[128:129], -v[130:131]
	ds_load_b128 v[4:7], v2 offset:1280
	ds_load_b128 v[128:131], v2 offset:1296
	v_add_f64_e32 v[178:179], v[142:143], v[140:141]
	v_add_f64_e32 v[168:169], v[168:169], v[174:175]
	scratch_load_b128 v[140:143], off, off offset:656
	s_wait_loadcnt_dscnt 0xa01
	v_mul_f64_e32 v[174:175], v[4:5], v[138:139]
	v_mul_f64_e32 v[138:139], v[6:7], v[138:139]
	v_fmac_f64_e32 v[170:171], v[146:147], v[20:21]
	v_fma_f64 v[144:145], v[144:145], v[20:21], -v[22:23]
	scratch_load_b128 v[20:23], off, off offset:672
	v_add_f64_e32 v[146:147], v[178:179], v[176:177]
	v_add_f64_e32 v[168:169], v[168:169], v[172:173]
	s_wait_loadcnt_dscnt 0xa00
	v_mul_f64_e32 v[172:173], v[128:129], v[126:127]
	v_mul_f64_e32 v[126:127], v[130:131], v[126:127]
	v_fmac_f64_e32 v[174:175], v[6:7], v[136:137]
	v_fma_f64 v[176:177], v[4:5], v[136:137], -v[138:139]
	ds_load_b128 v[4:7], v2 offset:1312
	ds_load_b128 v[136:139], v2 offset:1328
	v_add_f64_e32 v[178:179], v[146:147], v[144:145]
	v_add_f64_e32 v[168:169], v[168:169], v[170:171]
	scratch_load_b128 v[144:147], off, off offset:688
	s_wait_loadcnt_dscnt 0xa01
	v_mul_f64_e32 v[170:171], v[4:5], v[150:151]
	v_mul_f64_e32 v[150:151], v[6:7], v[150:151]
	v_fmac_f64_e32 v[172:173], v[130:131], v[124:125]
	v_fma_f64 v[128:129], v[128:129], v[124:125], -v[126:127]
	scratch_load_b128 v[124:127], off, off offset:704
	v_add_f64_e32 v[130:131], v[178:179], v[176:177]
	v_add_f64_e32 v[168:169], v[168:169], v[174:175]
	s_wait_loadcnt_dscnt 0xa00
	v_mul_f64_e32 v[174:175], v[136:137], v[134:135]
	v_mul_f64_e32 v[134:135], v[138:139], v[134:135]
	v_fmac_f64_e32 v[170:171], v[6:7], v[148:149]
	v_fma_f64 v[176:177], v[4:5], v[148:149], -v[150:151]
	v_add_f64_e32 v[178:179], v[130:131], v[128:129]
	v_add_f64_e32 v[168:169], v[168:169], v[172:173]
	ds_load_b128 v[4:7], v2 offset:1344
	ds_load_b128 v[128:131], v2 offset:1360
	scratch_load_b128 v[148:151], off, off offset:720
	v_fmac_f64_e32 v[174:175], v[138:139], v[132:133]
	v_fma_f64 v[136:137], v[136:137], v[132:133], -v[134:135]
	scratch_load_b128 v[132:135], off, off offset:736
	s_wait_loadcnt_dscnt 0xb01
	v_mul_f64_e32 v[172:173], v[4:5], v[166:167]
	v_mul_f64_e32 v[166:167], v[6:7], v[166:167]
	v_add_f64_e32 v[138:139], v[178:179], v[176:177]
	v_add_f64_e32 v[168:169], v[168:169], v[170:171]
	s_wait_loadcnt_dscnt 0xa00
	v_mul_f64_e32 v[170:171], v[128:129], v[10:11]
	v_mul_f64_e32 v[10:11], v[130:131], v[10:11]
	v_fmac_f64_e32 v[172:173], v[6:7], v[164:165]
	v_fma_f64 v[176:177], v[4:5], v[164:165], -v[166:167]
	v_add_f64_e32 v[178:179], v[138:139], v[136:137]
	v_add_f64_e32 v[168:169], v[168:169], v[174:175]
	ds_load_b128 v[4:7], v2 offset:1376
	ds_load_b128 v[136:139], v2 offset:1392
	scratch_load_b128 v[164:167], off, off offset:752
	v_fmac_f64_e32 v[170:171], v[130:131], v[8:9]
	v_fma_f64 v[128:129], v[128:129], v[8:9], -v[10:11]
	scratch_load_b128 v[8:11], off, off offset:768
	s_wait_loadcnt_dscnt 0xb01
	v_mul_f64_e32 v[174:175], v[4:5], v[154:155]
	v_mul_f64_e32 v[154:155], v[6:7], v[154:155]
	v_add_f64_e32 v[130:131], v[178:179], v[176:177]
	v_add_f64_e32 v[168:169], v[168:169], v[172:173]
	s_wait_loadcnt_dscnt 0xa00
	v_mul_f64_e32 v[172:173], v[136:137], v[18:19]
	v_mul_f64_e32 v[18:19], v[138:139], v[18:19]
	v_fmac_f64_e32 v[174:175], v[6:7], v[152:153]
	v_fma_f64 v[152:153], v[4:5], v[152:153], -v[154:155]
	v_add_f64_e32 v[154:155], v[130:131], v[128:129]
	v_add_f64_e32 v[168:169], v[168:169], v[170:171]
	ds_load_b128 v[4:7], v2 offset:1408
	ds_load_b128 v[128:131], v2 offset:1424
	v_fmac_f64_e32 v[172:173], v[138:139], v[16:17]
	v_fma_f64 v[16:17], v[136:137], v[16:17], -v[18:19]
	s_wait_loadcnt_dscnt 0x901
	v_mul_f64_e32 v[170:171], v[4:5], v[162:163]
	v_mul_f64_e32 v[162:163], v[6:7], v[162:163]
	s_wait_loadcnt_dscnt 0x800
	v_mul_f64_e32 v[138:139], v[128:129], v[14:15]
	v_add_f64_e32 v[18:19], v[154:155], v[152:153]
	v_add_f64_e32 v[136:137], v[168:169], v[174:175]
	v_mul_f64_e32 v[152:153], v[130:131], v[14:15]
	v_fmac_f64_e32 v[170:171], v[6:7], v[160:161]
	v_fma_f64 v[154:155], v[4:5], v[160:161], -v[162:163]
	v_fmac_f64_e32 v[138:139], v[130:131], v[12:13]
	v_add_f64_e32 v[18:19], v[18:19], v[16:17]
	v_add_f64_e32 v[136:137], v[136:137], v[172:173]
	ds_load_b128 v[4:7], v2 offset:1440
	ds_load_b128 v[14:17], v2 offset:1456
	v_fma_f64 v[12:13], v[128:129], v[12:13], -v[152:153]
	s_wait_loadcnt_dscnt 0x701
	v_mul_f64_e32 v[160:161], v[4:5], v[142:143]
	v_mul_f64_e32 v[142:143], v[6:7], v[142:143]
	v_add_f64_e32 v[18:19], v[18:19], v[154:155]
	v_add_f64_e32 v[128:129], v[136:137], v[170:171]
	s_wait_loadcnt_dscnt 0x600
	v_mul_f64_e32 v[136:137], v[14:15], v[22:23]
	v_mul_f64_e32 v[22:23], v[16:17], v[22:23]
	v_fmac_f64_e32 v[160:161], v[6:7], v[140:141]
	v_fma_f64 v[140:141], v[4:5], v[140:141], -v[142:143]
	v_add_f64_e32 v[12:13], v[18:19], v[12:13]
	v_add_f64_e32 v[18:19], v[128:129], v[138:139]
	ds_load_b128 v[4:7], v2 offset:1472
	ds_load_b128 v[128:131], v2 offset:1488
	v_fmac_f64_e32 v[136:137], v[16:17], v[20:21]
	v_fma_f64 v[14:15], v[14:15], v[20:21], -v[22:23]
	s_wait_loadcnt_dscnt 0x501
	v_mul_f64_e32 v[138:139], v[4:5], v[146:147]
	v_mul_f64_e32 v[142:143], v[6:7], v[146:147]
	s_wait_loadcnt_dscnt 0x400
	v_mul_f64_e32 v[20:21], v[130:131], v[126:127]
	v_add_f64_e32 v[12:13], v[12:13], v[140:141]
	v_add_f64_e32 v[16:17], v[18:19], v[160:161]
	v_mul_f64_e32 v[18:19], v[128:129], v[126:127]
	v_fmac_f64_e32 v[138:139], v[6:7], v[144:145]
	v_fma_f64 v[22:23], v[4:5], v[144:145], -v[142:143]
	v_fma_f64 v[20:21], v[128:129], v[124:125], -v[20:21]
	v_add_f64_e32 v[126:127], v[12:13], v[14:15]
	v_add_f64_e32 v[16:17], v[16:17], v[136:137]
	ds_load_b128 v[4:7], v2 offset:1504
	ds_load_b128 v[12:15], v2 offset:1520
	v_fmac_f64_e32 v[18:19], v[130:131], v[124:125]
	s_wait_loadcnt_dscnt 0x301
	v_mul_f64_e32 v[136:137], v[4:5], v[150:151]
	v_mul_f64_e32 v[140:141], v[6:7], v[150:151]
	s_wait_loadcnt_dscnt 0x200
	v_mul_f64_e32 v[124:125], v[12:13], v[134:135]
	v_add_f64_e32 v[22:23], v[126:127], v[22:23]
	v_add_f64_e32 v[16:17], v[16:17], v[138:139]
	v_mul_f64_e32 v[126:127], v[14:15], v[134:135]
	v_fmac_f64_e32 v[136:137], v[6:7], v[148:149]
	v_fma_f64 v[128:129], v[4:5], v[148:149], -v[140:141]
	v_fmac_f64_e32 v[124:125], v[14:15], v[132:133]
	v_add_f64_e32 v[20:21], v[22:23], v[20:21]
	v_add_f64_e32 v[22:23], v[16:17], v[18:19]
	ds_load_b128 v[4:7], v2 offset:1536
	ds_load_b128 v[16:19], v2 offset:1552
	v_fma_f64 v[12:13], v[12:13], v[132:133], -v[126:127]
	s_wait_loadcnt_dscnt 0x101
	v_mul_f64_e32 v[2:3], v[4:5], v[166:167]
	v_mul_f64_e32 v[130:131], v[6:7], v[166:167]
	v_add_f64_e32 v[14:15], v[20:21], v[128:129]
	v_add_f64_e32 v[20:21], v[22:23], v[136:137]
	s_wait_loadcnt_dscnt 0x0
	v_mul_f64_e32 v[22:23], v[16:17], v[10:11]
	v_mul_f64_e32 v[10:11], v[18:19], v[10:11]
	v_fmac_f64_e32 v[2:3], v[6:7], v[164:165]
	v_fma_f64 v[4:5], v[4:5], v[164:165], -v[130:131]
	v_add_f64_e32 v[6:7], v[14:15], v[12:13]
	v_add_f64_e32 v[12:13], v[20:21], v[124:125]
	v_fmac_f64_e32 v[22:23], v[18:19], v[8:9]
	v_fma_f64 v[8:9], v[16:17], v[8:9], -v[10:11]
	s_delay_alu instid0(VALU_DEP_4) | instskip(NEXT) | instid1(VALU_DEP_4)
	v_add_f64_e32 v[4:5], v[6:7], v[4:5]
	v_add_f64_e32 v[2:3], v[12:13], v[2:3]
	s_delay_alu instid0(VALU_DEP_2) | instskip(NEXT) | instid1(VALU_DEP_2)
	v_add_f64_e32 v[4:5], v[4:5], v[8:9]
	v_add_f64_e32 v[6:7], v[2:3], v[22:23]
	s_delay_alu instid0(VALU_DEP_2) | instskip(NEXT) | instid1(VALU_DEP_2)
	v_add_f64_e64 v[2:3], v[156:157], -v[4:5]
	v_add_f64_e64 v[4:5], v[158:159], -v[6:7]
	scratch_store_b128 off, v[2:5], off offset:160
	s_wait_xcnt 0x0
	v_cmpx_lt_u32_e32 9, v1
	s_cbranch_execz .LBB112_289
; %bb.288:
	scratch_load_b128 v[2:5], off, s56
	v_mov_b32_e32 v6, 0
	s_delay_alu instid0(VALU_DEP_1)
	v_dual_mov_b32 v7, v6 :: v_dual_mov_b32 v8, v6
	v_mov_b32_e32 v9, v6
	scratch_store_b128 off, v[6:9], off offset:144
	s_wait_loadcnt 0x0
	ds_store_b128 v122, v[2:5]
.LBB112_289:
	s_wait_xcnt 0x0
	s_or_b32 exec_lo, exec_lo, s2
	s_wait_storecnt_dscnt 0x0
	s_barrier_signal -1
	s_barrier_wait -1
	s_clause 0x9
	scratch_load_b128 v[4:7], off, off offset:160
	scratch_load_b128 v[8:11], off, off offset:176
	scratch_load_b128 v[12:15], off, off offset:192
	scratch_load_b128 v[16:19], off, off offset:208
	scratch_load_b128 v[20:23], off, off offset:224
	scratch_load_b128 v[124:127], off, off offset:240
	scratch_load_b128 v[128:131], off, off offset:256
	scratch_load_b128 v[132:135], off, off offset:272
	scratch_load_b128 v[136:139], off, off offset:288
	scratch_load_b128 v[140:143], off, off offset:304
	v_mov_b32_e32 v2, 0
	s_mov_b32 s2, exec_lo
	ds_load_b128 v[144:147], v2 offset:944
	s_clause 0x2
	scratch_load_b128 v[148:151], off, off offset:320
	scratch_load_b128 v[152:155], off, off offset:144
	;; [unrolled: 1-line block ×3, first 2 shown]
	s_wait_loadcnt_dscnt 0xc00
	v_mul_f64_e32 v[164:165], v[146:147], v[6:7]
	v_mul_f64_e32 v[168:169], v[144:145], v[6:7]
	ds_load_b128 v[156:159], v2 offset:960
	v_fma_f64 v[172:173], v[144:145], v[4:5], -v[164:165]
	v_fmac_f64_e32 v[168:169], v[146:147], v[4:5]
	ds_load_b128 v[4:7], v2 offset:976
	s_wait_loadcnt_dscnt 0xb01
	v_mul_f64_e32 v[170:171], v[156:157], v[10:11]
	v_mul_f64_e32 v[10:11], v[158:159], v[10:11]
	scratch_load_b128 v[144:147], off, off offset:352
	ds_load_b128 v[164:167], v2 offset:992
	s_wait_loadcnt_dscnt 0xb01
	v_mul_f64_e32 v[174:175], v[4:5], v[14:15]
	v_mul_f64_e32 v[14:15], v[6:7], v[14:15]
	v_add_f64_e32 v[168:169], 0, v[168:169]
	v_fmac_f64_e32 v[170:171], v[158:159], v[8:9]
	v_fma_f64 v[156:157], v[156:157], v[8:9], -v[10:11]
	v_add_f64_e32 v[158:159], 0, v[172:173]
	scratch_load_b128 v[8:11], off, off offset:368
	v_fmac_f64_e32 v[174:175], v[6:7], v[12:13]
	v_fma_f64 v[176:177], v[4:5], v[12:13], -v[14:15]
	ds_load_b128 v[4:7], v2 offset:1008
	s_wait_loadcnt_dscnt 0xb01
	v_mul_f64_e32 v[172:173], v[164:165], v[18:19]
	v_mul_f64_e32 v[18:19], v[166:167], v[18:19]
	scratch_load_b128 v[12:15], off, off offset:384
	v_add_f64_e32 v[168:169], v[168:169], v[170:171]
	v_add_f64_e32 v[178:179], v[158:159], v[156:157]
	ds_load_b128 v[156:159], v2 offset:1024
	s_wait_loadcnt_dscnt 0xb01
	v_mul_f64_e32 v[170:171], v[4:5], v[22:23]
	v_mul_f64_e32 v[22:23], v[6:7], v[22:23]
	v_fmac_f64_e32 v[172:173], v[166:167], v[16:17]
	v_fma_f64 v[164:165], v[164:165], v[16:17], -v[18:19]
	scratch_load_b128 v[16:19], off, off offset:400
	v_add_f64_e32 v[168:169], v[168:169], v[174:175]
	v_add_f64_e32 v[166:167], v[178:179], v[176:177]
	v_fmac_f64_e32 v[170:171], v[6:7], v[20:21]
	v_fma_f64 v[176:177], v[4:5], v[20:21], -v[22:23]
	ds_load_b128 v[4:7], v2 offset:1040
	s_wait_loadcnt_dscnt 0xb01
	v_mul_f64_e32 v[174:175], v[156:157], v[126:127]
	v_mul_f64_e32 v[126:127], v[158:159], v[126:127]
	scratch_load_b128 v[20:23], off, off offset:416
	v_add_f64_e32 v[168:169], v[168:169], v[172:173]
	s_wait_loadcnt_dscnt 0xb00
	v_mul_f64_e32 v[172:173], v[4:5], v[130:131]
	v_add_f64_e32 v[178:179], v[166:167], v[164:165]
	v_mul_f64_e32 v[130:131], v[6:7], v[130:131]
	ds_load_b128 v[164:167], v2 offset:1056
	v_fmac_f64_e32 v[174:175], v[158:159], v[124:125]
	v_fma_f64 v[156:157], v[156:157], v[124:125], -v[126:127]
	scratch_load_b128 v[124:127], off, off offset:432
	v_add_f64_e32 v[168:169], v[168:169], v[170:171]
	v_fmac_f64_e32 v[172:173], v[6:7], v[128:129]
	v_add_f64_e32 v[158:159], v[178:179], v[176:177]
	v_fma_f64 v[176:177], v[4:5], v[128:129], -v[130:131]
	ds_load_b128 v[4:7], v2 offset:1072
	s_wait_loadcnt_dscnt 0xb01
	v_mul_f64_e32 v[170:171], v[164:165], v[134:135]
	v_mul_f64_e32 v[134:135], v[166:167], v[134:135]
	scratch_load_b128 v[128:131], off, off offset:448
	v_add_f64_e32 v[168:169], v[168:169], v[174:175]
	s_wait_loadcnt_dscnt 0xb00
	v_mul_f64_e32 v[174:175], v[4:5], v[138:139]
	v_add_f64_e32 v[178:179], v[158:159], v[156:157]
	v_mul_f64_e32 v[138:139], v[6:7], v[138:139]
	ds_load_b128 v[156:159], v2 offset:1088
	v_fmac_f64_e32 v[170:171], v[166:167], v[132:133]
	v_fma_f64 v[164:165], v[164:165], v[132:133], -v[134:135]
	scratch_load_b128 v[132:135], off, off offset:464
	v_add_f64_e32 v[168:169], v[168:169], v[172:173]
	v_fmac_f64_e32 v[174:175], v[6:7], v[136:137]
	v_add_f64_e32 v[166:167], v[178:179], v[176:177]
	;; [unrolled: 18-line block ×3, first 2 shown]
	v_fma_f64 v[176:177], v[4:5], v[148:149], -v[150:151]
	ds_load_b128 v[4:7], v2 offset:1136
	s_wait_loadcnt_dscnt 0xa01
	v_mul_f64_e32 v[174:175], v[164:165], v[162:163]
	v_mul_f64_e32 v[162:163], v[166:167], v[162:163]
	scratch_load_b128 v[148:151], off, off offset:512
	v_add_f64_e32 v[168:169], v[168:169], v[172:173]
	v_add_f64_e32 v[178:179], v[158:159], v[156:157]
	s_wait_loadcnt_dscnt 0xa00
	v_mul_f64_e32 v[172:173], v[4:5], v[146:147]
	v_mul_f64_e32 v[146:147], v[6:7], v[146:147]
	v_fmac_f64_e32 v[174:175], v[166:167], v[160:161]
	v_fma_f64 v[164:165], v[164:165], v[160:161], -v[162:163]
	ds_load_b128 v[156:159], v2 offset:1152
	scratch_load_b128 v[160:163], off, off offset:528
	v_add_f64_e32 v[168:169], v[168:169], v[170:171]
	v_add_f64_e32 v[166:167], v[178:179], v[176:177]
	v_fmac_f64_e32 v[172:173], v[6:7], v[144:145]
	v_fma_f64 v[176:177], v[4:5], v[144:145], -v[146:147]
	ds_load_b128 v[4:7], v2 offset:1168
	s_wait_loadcnt_dscnt 0xa01
	v_mul_f64_e32 v[170:171], v[156:157], v[10:11]
	v_mul_f64_e32 v[10:11], v[158:159], v[10:11]
	scratch_load_b128 v[144:147], off, off offset:544
	v_add_f64_e32 v[168:169], v[168:169], v[174:175]
	s_wait_loadcnt_dscnt 0xa00
	v_mul_f64_e32 v[174:175], v[4:5], v[14:15]
	v_add_f64_e32 v[178:179], v[166:167], v[164:165]
	v_mul_f64_e32 v[14:15], v[6:7], v[14:15]
	ds_load_b128 v[164:167], v2 offset:1184
	v_fmac_f64_e32 v[170:171], v[158:159], v[8:9]
	v_fma_f64 v[156:157], v[156:157], v[8:9], -v[10:11]
	scratch_load_b128 v[8:11], off, off offset:560
	v_add_f64_e32 v[168:169], v[168:169], v[172:173]
	v_fmac_f64_e32 v[174:175], v[6:7], v[12:13]
	v_add_f64_e32 v[158:159], v[178:179], v[176:177]
	v_fma_f64 v[176:177], v[4:5], v[12:13], -v[14:15]
	ds_load_b128 v[4:7], v2 offset:1200
	s_wait_loadcnt_dscnt 0xa01
	v_mul_f64_e32 v[172:173], v[164:165], v[18:19]
	v_mul_f64_e32 v[18:19], v[166:167], v[18:19]
	scratch_load_b128 v[12:15], off, off offset:576
	v_add_f64_e32 v[168:169], v[168:169], v[170:171]
	s_wait_loadcnt_dscnt 0xa00
	v_mul_f64_e32 v[170:171], v[4:5], v[22:23]
	v_add_f64_e32 v[178:179], v[158:159], v[156:157]
	v_mul_f64_e32 v[22:23], v[6:7], v[22:23]
	ds_load_b128 v[156:159], v2 offset:1216
	v_fmac_f64_e32 v[172:173], v[166:167], v[16:17]
	v_fma_f64 v[164:165], v[164:165], v[16:17], -v[18:19]
	scratch_load_b128 v[16:19], off, off offset:592
	v_add_f64_e32 v[168:169], v[168:169], v[174:175]
	v_fmac_f64_e32 v[170:171], v[6:7], v[20:21]
	v_add_f64_e32 v[166:167], v[178:179], v[176:177]
	;; [unrolled: 18-line block ×7, first 2 shown]
	v_fma_f64 v[176:177], v[4:5], v[12:13], -v[14:15]
	ds_load_b128 v[4:7], v2 offset:1392
	s_wait_loadcnt_dscnt 0xa01
	v_mul_f64_e32 v[172:173], v[164:165], v[18:19]
	v_mul_f64_e32 v[18:19], v[166:167], v[18:19]
	scratch_load_b128 v[12:15], off, off offset:768
	v_add_f64_e32 v[168:169], v[168:169], v[170:171]
	s_wait_loadcnt_dscnt 0xa00
	v_mul_f64_e32 v[170:171], v[4:5], v[22:23]
	v_add_f64_e32 v[178:179], v[158:159], v[156:157]
	v_mul_f64_e32 v[22:23], v[6:7], v[22:23]
	ds_load_b128 v[156:159], v2 offset:1408
	v_fmac_f64_e32 v[172:173], v[166:167], v[16:17]
	v_fma_f64 v[16:17], v[164:165], v[16:17], -v[18:19]
	s_wait_loadcnt_dscnt 0x900
	v_mul_f64_e32 v[166:167], v[156:157], v[126:127]
	v_mul_f64_e32 v[126:127], v[158:159], v[126:127]
	v_add_f64_e32 v[164:165], v[168:169], v[174:175]
	v_fmac_f64_e32 v[170:171], v[6:7], v[20:21]
	v_add_f64_e32 v[18:19], v[178:179], v[176:177]
	v_fma_f64 v[20:21], v[4:5], v[20:21], -v[22:23]
	v_fmac_f64_e32 v[166:167], v[158:159], v[124:125]
	v_fma_f64 v[124:125], v[156:157], v[124:125], -v[126:127]
	v_add_f64_e32 v[164:165], v[164:165], v[172:173]
	v_add_f64_e32 v[22:23], v[18:19], v[16:17]
	ds_load_b128 v[4:7], v2 offset:1424
	ds_load_b128 v[16:19], v2 offset:1440
	s_wait_loadcnt_dscnt 0x801
	v_mul_f64_e32 v[168:169], v[4:5], v[130:131]
	v_mul_f64_e32 v[130:131], v[6:7], v[130:131]
	s_wait_loadcnt_dscnt 0x700
	v_mul_f64_e32 v[126:127], v[16:17], v[134:135]
	v_mul_f64_e32 v[134:135], v[18:19], v[134:135]
	v_add_f64_e32 v[20:21], v[22:23], v[20:21]
	v_add_f64_e32 v[22:23], v[164:165], v[170:171]
	v_fmac_f64_e32 v[168:169], v[6:7], v[128:129]
	v_fma_f64 v[128:129], v[4:5], v[128:129], -v[130:131]
	v_fmac_f64_e32 v[126:127], v[18:19], v[132:133]
	v_fma_f64 v[16:17], v[16:17], v[132:133], -v[134:135]
	v_add_f64_e32 v[124:125], v[20:21], v[124:125]
	v_add_f64_e32 v[130:131], v[22:23], v[166:167]
	ds_load_b128 v[4:7], v2 offset:1456
	ds_load_b128 v[20:23], v2 offset:1472
	s_wait_loadcnt_dscnt 0x601
	v_mul_f64_e32 v[156:157], v[4:5], v[138:139]
	v_mul_f64_e32 v[138:139], v[6:7], v[138:139]
	v_add_f64_e32 v[18:19], v[124:125], v[128:129]
	v_add_f64_e32 v[124:125], v[130:131], v[168:169]
	s_wait_loadcnt_dscnt 0x500
	v_mul_f64_e32 v[128:129], v[20:21], v[142:143]
	v_mul_f64_e32 v[130:131], v[22:23], v[142:143]
	v_fmac_f64_e32 v[156:157], v[6:7], v[136:137]
	v_fma_f64 v[132:133], v[4:5], v[136:137], -v[138:139]
	v_add_f64_e32 v[134:135], v[18:19], v[16:17]
	v_add_f64_e32 v[124:125], v[124:125], v[126:127]
	ds_load_b128 v[4:7], v2 offset:1488
	ds_load_b128 v[16:19], v2 offset:1504
	v_fmac_f64_e32 v[128:129], v[22:23], v[140:141]
	v_fma_f64 v[20:21], v[20:21], v[140:141], -v[130:131]
	s_wait_loadcnt_dscnt 0x401
	v_mul_f64_e32 v[126:127], v[4:5], v[150:151]
	v_mul_f64_e32 v[136:137], v[6:7], v[150:151]
	s_wait_loadcnt_dscnt 0x300
	v_mul_f64_e32 v[130:131], v[16:17], v[162:163]
	v_add_f64_e32 v[22:23], v[134:135], v[132:133]
	v_add_f64_e32 v[124:125], v[124:125], v[156:157]
	v_mul_f64_e32 v[132:133], v[18:19], v[162:163]
	v_fmac_f64_e32 v[126:127], v[6:7], v[148:149]
	v_fma_f64 v[134:135], v[4:5], v[148:149], -v[136:137]
	v_fmac_f64_e32 v[130:131], v[18:19], v[160:161]
	v_add_f64_e32 v[136:137], v[22:23], v[20:21]
	v_add_f64_e32 v[124:125], v[124:125], v[128:129]
	ds_load_b128 v[4:7], v2 offset:1520
	ds_load_b128 v[20:23], v2 offset:1536
	v_fma_f64 v[16:17], v[16:17], v[160:161], -v[132:133]
	s_wait_loadcnt_dscnt 0x201
	v_mul_f64_e32 v[128:129], v[4:5], v[146:147]
	v_mul_f64_e32 v[138:139], v[6:7], v[146:147]
	v_add_f64_e32 v[18:19], v[136:137], v[134:135]
	v_add_f64_e32 v[124:125], v[124:125], v[126:127]
	s_wait_loadcnt_dscnt 0x100
	v_mul_f64_e32 v[126:127], v[20:21], v[10:11]
	v_mul_f64_e32 v[10:11], v[22:23], v[10:11]
	v_fmac_f64_e32 v[128:129], v[6:7], v[144:145]
	v_fma_f64 v[132:133], v[4:5], v[144:145], -v[138:139]
	ds_load_b128 v[4:7], v2 offset:1552
	v_add_f64_e32 v[16:17], v[18:19], v[16:17]
	v_add_f64_e32 v[18:19], v[124:125], v[130:131]
	v_fmac_f64_e32 v[126:127], v[22:23], v[8:9]
	v_fma_f64 v[8:9], v[20:21], v[8:9], -v[10:11]
	s_wait_loadcnt_dscnt 0x0
	v_mul_f64_e32 v[124:125], v[4:5], v[14:15]
	v_mul_f64_e32 v[14:15], v[6:7], v[14:15]
	v_add_f64_e32 v[10:11], v[16:17], v[132:133]
	v_add_f64_e32 v[16:17], v[18:19], v[128:129]
	s_delay_alu instid0(VALU_DEP_4) | instskip(NEXT) | instid1(VALU_DEP_4)
	v_fmac_f64_e32 v[124:125], v[6:7], v[12:13]
	v_fma_f64 v[4:5], v[4:5], v[12:13], -v[14:15]
	s_delay_alu instid0(VALU_DEP_4) | instskip(NEXT) | instid1(VALU_DEP_4)
	v_add_f64_e32 v[6:7], v[10:11], v[8:9]
	v_add_f64_e32 v[8:9], v[16:17], v[126:127]
	s_delay_alu instid0(VALU_DEP_2) | instskip(NEXT) | instid1(VALU_DEP_2)
	v_add_f64_e32 v[4:5], v[6:7], v[4:5]
	v_add_f64_e32 v[6:7], v[8:9], v[124:125]
	s_delay_alu instid0(VALU_DEP_2) | instskip(NEXT) | instid1(VALU_DEP_2)
	v_add_f64_e64 v[4:5], v[152:153], -v[4:5]
	v_add_f64_e64 v[6:7], v[154:155], -v[6:7]
	scratch_store_b128 off, v[4:7], off offset:144
	s_wait_xcnt 0x0
	v_cmpx_lt_u32_e32 8, v1
	s_cbranch_execz .LBB112_291
; %bb.290:
	scratch_load_b128 v[6:9], off, s57
	v_dual_mov_b32 v3, v2 :: v_dual_mov_b32 v4, v2
	v_mov_b32_e32 v5, v2
	scratch_store_b128 off, v[2:5], off offset:128
	s_wait_loadcnt 0x0
	ds_store_b128 v122, v[6:9]
.LBB112_291:
	s_wait_xcnt 0x0
	s_or_b32 exec_lo, exec_lo, s2
	s_wait_storecnt_dscnt 0x0
	s_barrier_signal -1
	s_barrier_wait -1
	s_clause 0x9
	scratch_load_b128 v[4:7], off, off offset:144
	scratch_load_b128 v[8:11], off, off offset:160
	;; [unrolled: 1-line block ×10, first 2 shown]
	ds_load_b128 v[144:147], v2 offset:928
	ds_load_b128 v[152:155], v2 offset:944
	s_clause 0x2
	scratch_load_b128 v[148:151], off, off offset:304
	scratch_load_b128 v[156:159], off, off offset:128
	;; [unrolled: 1-line block ×3, first 2 shown]
	s_mov_b32 s2, exec_lo
	s_wait_loadcnt_dscnt 0xc01
	v_mul_f64_e32 v[164:165], v[146:147], v[6:7]
	v_mul_f64_e32 v[168:169], v[144:145], v[6:7]
	s_wait_loadcnt_dscnt 0xb00
	v_mul_f64_e32 v[170:171], v[152:153], v[10:11]
	v_mul_f64_e32 v[10:11], v[154:155], v[10:11]
	s_delay_alu instid0(VALU_DEP_4) | instskip(NEXT) | instid1(VALU_DEP_4)
	v_fma_f64 v[172:173], v[144:145], v[4:5], -v[164:165]
	v_fmac_f64_e32 v[168:169], v[146:147], v[4:5]
	ds_load_b128 v[4:7], v2 offset:960
	ds_load_b128 v[144:147], v2 offset:976
	scratch_load_b128 v[164:167], off, off offset:336
	v_fmac_f64_e32 v[170:171], v[154:155], v[8:9]
	v_fma_f64 v[152:153], v[152:153], v[8:9], -v[10:11]
	scratch_load_b128 v[8:11], off, off offset:352
	s_wait_loadcnt_dscnt 0xc01
	v_mul_f64_e32 v[174:175], v[4:5], v[14:15]
	v_mul_f64_e32 v[14:15], v[6:7], v[14:15]
	v_add_f64_e32 v[154:155], 0, v[172:173]
	v_add_f64_e32 v[168:169], 0, v[168:169]
	s_wait_loadcnt_dscnt 0xb00
	v_mul_f64_e32 v[172:173], v[144:145], v[18:19]
	v_mul_f64_e32 v[18:19], v[146:147], v[18:19]
	v_fmac_f64_e32 v[174:175], v[6:7], v[12:13]
	v_fma_f64 v[176:177], v[4:5], v[12:13], -v[14:15]
	ds_load_b128 v[4:7], v2 offset:992
	ds_load_b128 v[12:15], v2 offset:1008
	v_add_f64_e32 v[178:179], v[154:155], v[152:153]
	v_add_f64_e32 v[168:169], v[168:169], v[170:171]
	scratch_load_b128 v[152:155], off, off offset:368
	v_fmac_f64_e32 v[172:173], v[146:147], v[16:17]
	v_fma_f64 v[144:145], v[144:145], v[16:17], -v[18:19]
	scratch_load_b128 v[16:19], off, off offset:384
	s_wait_loadcnt_dscnt 0xc01
	v_mul_f64_e32 v[170:171], v[4:5], v[22:23]
	v_mul_f64_e32 v[22:23], v[6:7], v[22:23]
	v_add_f64_e32 v[146:147], v[178:179], v[176:177]
	v_add_f64_e32 v[168:169], v[168:169], v[174:175]
	s_wait_loadcnt_dscnt 0xb00
	v_mul_f64_e32 v[174:175], v[12:13], v[126:127]
	v_mul_f64_e32 v[126:127], v[14:15], v[126:127]
	v_fmac_f64_e32 v[170:171], v[6:7], v[20:21]
	v_fma_f64 v[176:177], v[4:5], v[20:21], -v[22:23]
	ds_load_b128 v[4:7], v2 offset:1024
	ds_load_b128 v[20:23], v2 offset:1040
	v_add_f64_e32 v[178:179], v[146:147], v[144:145]
	v_add_f64_e32 v[168:169], v[168:169], v[172:173]
	scratch_load_b128 v[144:147], off, off offset:400
	s_wait_loadcnt_dscnt 0xb01
	v_mul_f64_e32 v[172:173], v[4:5], v[130:131]
	v_mul_f64_e32 v[130:131], v[6:7], v[130:131]
	v_fmac_f64_e32 v[174:175], v[14:15], v[124:125]
	v_fma_f64 v[124:125], v[12:13], v[124:125], -v[126:127]
	scratch_load_b128 v[12:15], off, off offset:416
	v_add_f64_e32 v[126:127], v[178:179], v[176:177]
	v_add_f64_e32 v[168:169], v[168:169], v[170:171]
	s_wait_loadcnt_dscnt 0xb00
	v_mul_f64_e32 v[170:171], v[20:21], v[134:135]
	v_mul_f64_e32 v[134:135], v[22:23], v[134:135]
	v_fmac_f64_e32 v[172:173], v[6:7], v[128:129]
	v_fma_f64 v[176:177], v[4:5], v[128:129], -v[130:131]
	v_add_f64_e32 v[178:179], v[126:127], v[124:125]
	v_add_f64_e32 v[168:169], v[168:169], v[174:175]
	ds_load_b128 v[4:7], v2 offset:1056
	ds_load_b128 v[124:127], v2 offset:1072
	scratch_load_b128 v[128:131], off, off offset:432
	v_fmac_f64_e32 v[170:171], v[22:23], v[132:133]
	v_fma_f64 v[132:133], v[20:21], v[132:133], -v[134:135]
	scratch_load_b128 v[20:23], off, off offset:448
	s_wait_loadcnt_dscnt 0xc01
	v_mul_f64_e32 v[174:175], v[4:5], v[138:139]
	v_mul_f64_e32 v[138:139], v[6:7], v[138:139]
	v_add_f64_e32 v[134:135], v[178:179], v[176:177]
	v_add_f64_e32 v[168:169], v[168:169], v[172:173]
	s_wait_loadcnt_dscnt 0xb00
	v_mul_f64_e32 v[172:173], v[124:125], v[142:143]
	v_mul_f64_e32 v[142:143], v[126:127], v[142:143]
	v_fmac_f64_e32 v[174:175], v[6:7], v[136:137]
	v_fma_f64 v[176:177], v[4:5], v[136:137], -v[138:139]
	v_add_f64_e32 v[178:179], v[134:135], v[132:133]
	v_add_f64_e32 v[168:169], v[168:169], v[170:171]
	ds_load_b128 v[4:7], v2 offset:1088
	ds_load_b128 v[132:135], v2 offset:1104
	scratch_load_b128 v[136:139], off, off offset:464
	v_fmac_f64_e32 v[172:173], v[126:127], v[140:141]
	v_fma_f64 v[140:141], v[124:125], v[140:141], -v[142:143]
	scratch_load_b128 v[124:127], off, off offset:480
	s_wait_loadcnt_dscnt 0xc01
	v_mul_f64_e32 v[170:171], v[4:5], v[150:151]
	v_mul_f64_e32 v[150:151], v[6:7], v[150:151]
	;; [unrolled: 18-line block ×5, first 2 shown]
	v_add_f64_e32 v[162:163], v[178:179], v[176:177]
	v_add_f64_e32 v[168:169], v[168:169], v[174:175]
	s_wait_loadcnt_dscnt 0xa00
	v_mul_f64_e32 v[174:175], v[140:141], v[14:15]
	v_mul_f64_e32 v[14:15], v[142:143], v[14:15]
	v_fmac_f64_e32 v[170:171], v[6:7], v[144:145]
	v_fma_f64 v[176:177], v[4:5], v[144:145], -v[146:147]
	ds_load_b128 v[4:7], v2 offset:1216
	ds_load_b128 v[144:147], v2 offset:1232
	v_add_f64_e32 v[178:179], v[162:163], v[160:161]
	v_add_f64_e32 v[168:169], v[168:169], v[172:173]
	scratch_load_b128 v[160:163], off, off offset:592
	v_fmac_f64_e32 v[174:175], v[142:143], v[12:13]
	v_fma_f64 v[140:141], v[140:141], v[12:13], -v[14:15]
	scratch_load_b128 v[12:15], off, off offset:608
	s_wait_loadcnt_dscnt 0xb01
	v_mul_f64_e32 v[172:173], v[4:5], v[130:131]
	v_mul_f64_e32 v[130:131], v[6:7], v[130:131]
	v_add_f64_e32 v[142:143], v[178:179], v[176:177]
	v_add_f64_e32 v[168:169], v[168:169], v[170:171]
	s_wait_loadcnt_dscnt 0xa00
	v_mul_f64_e32 v[170:171], v[144:145], v[22:23]
	v_mul_f64_e32 v[22:23], v[146:147], v[22:23]
	v_fmac_f64_e32 v[172:173], v[6:7], v[128:129]
	v_fma_f64 v[176:177], v[4:5], v[128:129], -v[130:131]
	ds_load_b128 v[4:7], v2 offset:1248
	ds_load_b128 v[128:131], v2 offset:1264
	v_add_f64_e32 v[178:179], v[142:143], v[140:141]
	v_add_f64_e32 v[168:169], v[168:169], v[174:175]
	scratch_load_b128 v[140:143], off, off offset:624
	s_wait_loadcnt_dscnt 0xa01
	v_mul_f64_e32 v[174:175], v[4:5], v[138:139]
	v_mul_f64_e32 v[138:139], v[6:7], v[138:139]
	v_fmac_f64_e32 v[170:171], v[146:147], v[20:21]
	v_fma_f64 v[144:145], v[144:145], v[20:21], -v[22:23]
	scratch_load_b128 v[20:23], off, off offset:640
	v_add_f64_e32 v[146:147], v[178:179], v[176:177]
	v_add_f64_e32 v[168:169], v[168:169], v[172:173]
	s_wait_loadcnt_dscnt 0xa00
	v_mul_f64_e32 v[172:173], v[128:129], v[126:127]
	v_mul_f64_e32 v[126:127], v[130:131], v[126:127]
	v_fmac_f64_e32 v[174:175], v[6:7], v[136:137]
	v_fma_f64 v[176:177], v[4:5], v[136:137], -v[138:139]
	ds_load_b128 v[4:7], v2 offset:1280
	ds_load_b128 v[136:139], v2 offset:1296
	v_add_f64_e32 v[178:179], v[146:147], v[144:145]
	v_add_f64_e32 v[168:169], v[168:169], v[170:171]
	scratch_load_b128 v[144:147], off, off offset:656
	s_wait_loadcnt_dscnt 0xa01
	v_mul_f64_e32 v[170:171], v[4:5], v[150:151]
	v_mul_f64_e32 v[150:151], v[6:7], v[150:151]
	v_fmac_f64_e32 v[172:173], v[130:131], v[124:125]
	v_fma_f64 v[128:129], v[128:129], v[124:125], -v[126:127]
	scratch_load_b128 v[124:127], off, off offset:672
	v_add_f64_e32 v[130:131], v[178:179], v[176:177]
	v_add_f64_e32 v[168:169], v[168:169], v[174:175]
	s_wait_loadcnt_dscnt 0xa00
	v_mul_f64_e32 v[174:175], v[136:137], v[134:135]
	v_mul_f64_e32 v[134:135], v[138:139], v[134:135]
	v_fmac_f64_e32 v[170:171], v[6:7], v[148:149]
	v_fma_f64 v[176:177], v[4:5], v[148:149], -v[150:151]
	v_add_f64_e32 v[178:179], v[130:131], v[128:129]
	v_add_f64_e32 v[168:169], v[168:169], v[172:173]
	ds_load_b128 v[4:7], v2 offset:1312
	ds_load_b128 v[128:131], v2 offset:1328
	scratch_load_b128 v[148:151], off, off offset:688
	v_fmac_f64_e32 v[174:175], v[138:139], v[132:133]
	v_fma_f64 v[136:137], v[136:137], v[132:133], -v[134:135]
	scratch_load_b128 v[132:135], off, off offset:704
	s_wait_loadcnt_dscnt 0xb01
	v_mul_f64_e32 v[172:173], v[4:5], v[166:167]
	v_mul_f64_e32 v[166:167], v[6:7], v[166:167]
	v_add_f64_e32 v[138:139], v[178:179], v[176:177]
	v_add_f64_e32 v[168:169], v[168:169], v[170:171]
	s_wait_loadcnt_dscnt 0xa00
	v_mul_f64_e32 v[170:171], v[128:129], v[10:11]
	v_mul_f64_e32 v[10:11], v[130:131], v[10:11]
	v_fmac_f64_e32 v[172:173], v[6:7], v[164:165]
	v_fma_f64 v[176:177], v[4:5], v[164:165], -v[166:167]
	v_add_f64_e32 v[178:179], v[138:139], v[136:137]
	v_add_f64_e32 v[168:169], v[168:169], v[174:175]
	ds_load_b128 v[4:7], v2 offset:1344
	ds_load_b128 v[136:139], v2 offset:1360
	scratch_load_b128 v[164:167], off, off offset:720
	v_fmac_f64_e32 v[170:171], v[130:131], v[8:9]
	v_fma_f64 v[128:129], v[128:129], v[8:9], -v[10:11]
	scratch_load_b128 v[8:11], off, off offset:736
	s_wait_loadcnt_dscnt 0xb01
	v_mul_f64_e32 v[174:175], v[4:5], v[154:155]
	v_mul_f64_e32 v[154:155], v[6:7], v[154:155]
	;; [unrolled: 18-line block ×3, first 2 shown]
	v_add_f64_e32 v[138:139], v[178:179], v[176:177]
	v_add_f64_e32 v[168:169], v[168:169], v[174:175]
	s_wait_loadcnt_dscnt 0xa00
	v_mul_f64_e32 v[174:175], v[128:129], v[14:15]
	v_mul_f64_e32 v[14:15], v[130:131], v[14:15]
	v_fmac_f64_e32 v[170:171], v[6:7], v[160:161]
	v_fma_f64 v[160:161], v[4:5], v[160:161], -v[162:163]
	v_add_f64_e32 v[162:163], v[138:139], v[136:137]
	v_add_f64_e32 v[168:169], v[168:169], v[172:173]
	ds_load_b128 v[4:7], v2 offset:1408
	ds_load_b128 v[136:139], v2 offset:1424
	v_fmac_f64_e32 v[174:175], v[130:131], v[12:13]
	v_fma_f64 v[12:13], v[128:129], v[12:13], -v[14:15]
	s_wait_loadcnt_dscnt 0x901
	v_mul_f64_e32 v[172:173], v[4:5], v[142:143]
	v_mul_f64_e32 v[142:143], v[6:7], v[142:143]
	s_wait_loadcnt_dscnt 0x800
	v_mul_f64_e32 v[130:131], v[136:137], v[22:23]
	v_mul_f64_e32 v[22:23], v[138:139], v[22:23]
	v_add_f64_e32 v[14:15], v[162:163], v[160:161]
	v_add_f64_e32 v[128:129], v[168:169], v[170:171]
	v_fmac_f64_e32 v[172:173], v[6:7], v[140:141]
	v_fma_f64 v[140:141], v[4:5], v[140:141], -v[142:143]
	v_fmac_f64_e32 v[130:131], v[138:139], v[20:21]
	v_fma_f64 v[20:21], v[136:137], v[20:21], -v[22:23]
	v_add_f64_e32 v[142:143], v[14:15], v[12:13]
	v_add_f64_e32 v[128:129], v[128:129], v[174:175]
	ds_load_b128 v[4:7], v2 offset:1440
	ds_load_b128 v[12:15], v2 offset:1456
	s_wait_loadcnt_dscnt 0x701
	v_mul_f64_e32 v[160:161], v[4:5], v[146:147]
	v_mul_f64_e32 v[146:147], v[6:7], v[146:147]
	s_wait_loadcnt_dscnt 0x600
	v_mul_f64_e32 v[136:137], v[12:13], v[126:127]
	v_mul_f64_e32 v[126:127], v[14:15], v[126:127]
	v_add_f64_e32 v[22:23], v[142:143], v[140:141]
	v_add_f64_e32 v[128:129], v[128:129], v[172:173]
	v_fmac_f64_e32 v[160:161], v[6:7], v[144:145]
	v_fma_f64 v[138:139], v[4:5], v[144:145], -v[146:147]
	v_fmac_f64_e32 v[136:137], v[14:15], v[124:125]
	v_fma_f64 v[12:13], v[12:13], v[124:125], -v[126:127]
	v_add_f64_e32 v[140:141], v[22:23], v[20:21]
	v_add_f64_e32 v[128:129], v[128:129], v[130:131]
	ds_load_b128 v[4:7], v2 offset:1472
	ds_load_b128 v[20:23], v2 offset:1488
	s_wait_loadcnt_dscnt 0x501
	v_mul_f64_e32 v[130:131], v[4:5], v[150:151]
	v_mul_f64_e32 v[142:143], v[6:7], v[150:151]
	s_wait_loadcnt_dscnt 0x400
	v_mul_f64_e32 v[126:127], v[20:21], v[134:135]
	v_add_f64_e32 v[14:15], v[140:141], v[138:139]
	v_add_f64_e32 v[124:125], v[128:129], v[160:161]
	v_mul_f64_e32 v[128:129], v[22:23], v[134:135]
	v_fmac_f64_e32 v[130:131], v[6:7], v[148:149]
	v_fma_f64 v[134:135], v[4:5], v[148:149], -v[142:143]
	v_fmac_f64_e32 v[126:127], v[22:23], v[132:133]
	v_add_f64_e32 v[138:139], v[14:15], v[12:13]
	v_add_f64_e32 v[124:125], v[124:125], v[136:137]
	ds_load_b128 v[4:7], v2 offset:1504
	ds_load_b128 v[12:15], v2 offset:1520
	v_fma_f64 v[20:21], v[20:21], v[132:133], -v[128:129]
	s_wait_loadcnt_dscnt 0x301
	v_mul_f64_e32 v[136:137], v[4:5], v[166:167]
	v_mul_f64_e32 v[140:141], v[6:7], v[166:167]
	s_wait_loadcnt_dscnt 0x200
	v_mul_f64_e32 v[128:129], v[12:13], v[10:11]
	v_mul_f64_e32 v[10:11], v[14:15], v[10:11]
	v_add_f64_e32 v[22:23], v[138:139], v[134:135]
	v_add_f64_e32 v[124:125], v[124:125], v[130:131]
	v_fmac_f64_e32 v[136:137], v[6:7], v[164:165]
	v_fma_f64 v[130:131], v[4:5], v[164:165], -v[140:141]
	v_fmac_f64_e32 v[128:129], v[14:15], v[8:9]
	v_fma_f64 v[8:9], v[12:13], v[8:9], -v[10:11]
	v_add_f64_e32 v[132:133], v[22:23], v[20:21]
	v_add_f64_e32 v[124:125], v[124:125], v[126:127]
	ds_load_b128 v[4:7], v2 offset:1536
	ds_load_b128 v[20:23], v2 offset:1552
	s_wait_loadcnt_dscnt 0x101
	v_mul_f64_e32 v[2:3], v[4:5], v[154:155]
	v_mul_f64_e32 v[126:127], v[6:7], v[154:155]
	s_wait_loadcnt_dscnt 0x0
	v_mul_f64_e32 v[14:15], v[20:21], v[18:19]
	v_mul_f64_e32 v[18:19], v[22:23], v[18:19]
	v_add_f64_e32 v[10:11], v[132:133], v[130:131]
	v_add_f64_e32 v[12:13], v[124:125], v[136:137]
	v_fmac_f64_e32 v[2:3], v[6:7], v[152:153]
	v_fma_f64 v[4:5], v[4:5], v[152:153], -v[126:127]
	v_fmac_f64_e32 v[14:15], v[22:23], v[16:17]
	v_add_f64_e32 v[6:7], v[10:11], v[8:9]
	v_add_f64_e32 v[8:9], v[12:13], v[128:129]
	v_fma_f64 v[10:11], v[20:21], v[16:17], -v[18:19]
	s_delay_alu instid0(VALU_DEP_3) | instskip(NEXT) | instid1(VALU_DEP_3)
	v_add_f64_e32 v[4:5], v[6:7], v[4:5]
	v_add_f64_e32 v[2:3], v[8:9], v[2:3]
	s_delay_alu instid0(VALU_DEP_2) | instskip(NEXT) | instid1(VALU_DEP_2)
	v_add_f64_e32 v[4:5], v[4:5], v[10:11]
	v_add_f64_e32 v[6:7], v[2:3], v[14:15]
	s_delay_alu instid0(VALU_DEP_2) | instskip(NEXT) | instid1(VALU_DEP_2)
	v_add_f64_e64 v[2:3], v[156:157], -v[4:5]
	v_add_f64_e64 v[4:5], v[158:159], -v[6:7]
	scratch_store_b128 off, v[2:5], off offset:128
	s_wait_xcnt 0x0
	v_cmpx_lt_u32_e32 7, v1
	s_cbranch_execz .LBB112_293
; %bb.292:
	scratch_load_b128 v[2:5], off, s58
	v_mov_b32_e32 v6, 0
	s_delay_alu instid0(VALU_DEP_1)
	v_dual_mov_b32 v7, v6 :: v_dual_mov_b32 v8, v6
	v_mov_b32_e32 v9, v6
	scratch_store_b128 off, v[6:9], off offset:112
	s_wait_loadcnt 0x0
	ds_store_b128 v122, v[2:5]
.LBB112_293:
	s_wait_xcnt 0x0
	s_or_b32 exec_lo, exec_lo, s2
	s_wait_storecnt_dscnt 0x0
	s_barrier_signal -1
	s_barrier_wait -1
	s_clause 0x9
	scratch_load_b128 v[4:7], off, off offset:128
	scratch_load_b128 v[8:11], off, off offset:144
	;; [unrolled: 1-line block ×10, first 2 shown]
	v_mov_b32_e32 v2, 0
	s_mov_b32 s2, exec_lo
	ds_load_b128 v[144:147], v2 offset:912
	s_clause 0x2
	scratch_load_b128 v[148:151], off, off offset:288
	scratch_load_b128 v[152:155], off, off offset:112
	scratch_load_b128 v[160:163], off, off offset:304
	s_wait_loadcnt_dscnt 0xc00
	v_mul_f64_e32 v[164:165], v[146:147], v[6:7]
	v_mul_f64_e32 v[168:169], v[144:145], v[6:7]
	ds_load_b128 v[156:159], v2 offset:928
	v_fma_f64 v[172:173], v[144:145], v[4:5], -v[164:165]
	v_fmac_f64_e32 v[168:169], v[146:147], v[4:5]
	ds_load_b128 v[4:7], v2 offset:944
	s_wait_loadcnt_dscnt 0xb01
	v_mul_f64_e32 v[170:171], v[156:157], v[10:11]
	v_mul_f64_e32 v[10:11], v[158:159], v[10:11]
	scratch_load_b128 v[144:147], off, off offset:320
	ds_load_b128 v[164:167], v2 offset:960
	s_wait_loadcnt_dscnt 0xb01
	v_mul_f64_e32 v[174:175], v[4:5], v[14:15]
	v_mul_f64_e32 v[14:15], v[6:7], v[14:15]
	v_add_f64_e32 v[168:169], 0, v[168:169]
	v_fmac_f64_e32 v[170:171], v[158:159], v[8:9]
	v_fma_f64 v[156:157], v[156:157], v[8:9], -v[10:11]
	v_add_f64_e32 v[158:159], 0, v[172:173]
	scratch_load_b128 v[8:11], off, off offset:336
	v_fmac_f64_e32 v[174:175], v[6:7], v[12:13]
	v_fma_f64 v[176:177], v[4:5], v[12:13], -v[14:15]
	ds_load_b128 v[4:7], v2 offset:976
	s_wait_loadcnt_dscnt 0xb01
	v_mul_f64_e32 v[172:173], v[164:165], v[18:19]
	v_mul_f64_e32 v[18:19], v[166:167], v[18:19]
	scratch_load_b128 v[12:15], off, off offset:352
	v_add_f64_e32 v[168:169], v[168:169], v[170:171]
	v_add_f64_e32 v[178:179], v[158:159], v[156:157]
	ds_load_b128 v[156:159], v2 offset:992
	s_wait_loadcnt_dscnt 0xb01
	v_mul_f64_e32 v[170:171], v[4:5], v[22:23]
	v_mul_f64_e32 v[22:23], v[6:7], v[22:23]
	v_fmac_f64_e32 v[172:173], v[166:167], v[16:17]
	v_fma_f64 v[164:165], v[164:165], v[16:17], -v[18:19]
	scratch_load_b128 v[16:19], off, off offset:368
	v_add_f64_e32 v[168:169], v[168:169], v[174:175]
	v_add_f64_e32 v[166:167], v[178:179], v[176:177]
	v_fmac_f64_e32 v[170:171], v[6:7], v[20:21]
	v_fma_f64 v[176:177], v[4:5], v[20:21], -v[22:23]
	ds_load_b128 v[4:7], v2 offset:1008
	s_wait_loadcnt_dscnt 0xb01
	v_mul_f64_e32 v[174:175], v[156:157], v[126:127]
	v_mul_f64_e32 v[126:127], v[158:159], v[126:127]
	scratch_load_b128 v[20:23], off, off offset:384
	v_add_f64_e32 v[168:169], v[168:169], v[172:173]
	s_wait_loadcnt_dscnt 0xb00
	v_mul_f64_e32 v[172:173], v[4:5], v[130:131]
	v_add_f64_e32 v[178:179], v[166:167], v[164:165]
	v_mul_f64_e32 v[130:131], v[6:7], v[130:131]
	ds_load_b128 v[164:167], v2 offset:1024
	v_fmac_f64_e32 v[174:175], v[158:159], v[124:125]
	v_fma_f64 v[156:157], v[156:157], v[124:125], -v[126:127]
	scratch_load_b128 v[124:127], off, off offset:400
	v_add_f64_e32 v[168:169], v[168:169], v[170:171]
	v_fmac_f64_e32 v[172:173], v[6:7], v[128:129]
	v_add_f64_e32 v[158:159], v[178:179], v[176:177]
	v_fma_f64 v[176:177], v[4:5], v[128:129], -v[130:131]
	ds_load_b128 v[4:7], v2 offset:1040
	s_wait_loadcnt_dscnt 0xb01
	v_mul_f64_e32 v[170:171], v[164:165], v[134:135]
	v_mul_f64_e32 v[134:135], v[166:167], v[134:135]
	scratch_load_b128 v[128:131], off, off offset:416
	v_add_f64_e32 v[168:169], v[168:169], v[174:175]
	s_wait_loadcnt_dscnt 0xb00
	v_mul_f64_e32 v[174:175], v[4:5], v[138:139]
	v_add_f64_e32 v[178:179], v[158:159], v[156:157]
	v_mul_f64_e32 v[138:139], v[6:7], v[138:139]
	ds_load_b128 v[156:159], v2 offset:1056
	v_fmac_f64_e32 v[170:171], v[166:167], v[132:133]
	v_fma_f64 v[164:165], v[164:165], v[132:133], -v[134:135]
	scratch_load_b128 v[132:135], off, off offset:432
	v_add_f64_e32 v[168:169], v[168:169], v[172:173]
	v_fmac_f64_e32 v[174:175], v[6:7], v[136:137]
	v_add_f64_e32 v[166:167], v[178:179], v[176:177]
	;; [unrolled: 18-line block ×3, first 2 shown]
	v_fma_f64 v[176:177], v[4:5], v[148:149], -v[150:151]
	ds_load_b128 v[4:7], v2 offset:1104
	s_wait_loadcnt_dscnt 0xa01
	v_mul_f64_e32 v[174:175], v[164:165], v[162:163]
	v_mul_f64_e32 v[162:163], v[166:167], v[162:163]
	scratch_load_b128 v[148:151], off, off offset:480
	v_add_f64_e32 v[168:169], v[168:169], v[172:173]
	v_add_f64_e32 v[178:179], v[158:159], v[156:157]
	s_wait_loadcnt_dscnt 0xa00
	v_mul_f64_e32 v[172:173], v[4:5], v[146:147]
	v_mul_f64_e32 v[146:147], v[6:7], v[146:147]
	v_fmac_f64_e32 v[174:175], v[166:167], v[160:161]
	v_fma_f64 v[164:165], v[164:165], v[160:161], -v[162:163]
	ds_load_b128 v[156:159], v2 offset:1120
	scratch_load_b128 v[160:163], off, off offset:496
	v_add_f64_e32 v[168:169], v[168:169], v[170:171]
	v_add_f64_e32 v[166:167], v[178:179], v[176:177]
	v_fmac_f64_e32 v[172:173], v[6:7], v[144:145]
	v_fma_f64 v[176:177], v[4:5], v[144:145], -v[146:147]
	ds_load_b128 v[4:7], v2 offset:1136
	s_wait_loadcnt_dscnt 0xa01
	v_mul_f64_e32 v[170:171], v[156:157], v[10:11]
	v_mul_f64_e32 v[10:11], v[158:159], v[10:11]
	scratch_load_b128 v[144:147], off, off offset:512
	v_add_f64_e32 v[168:169], v[168:169], v[174:175]
	s_wait_loadcnt_dscnt 0xa00
	v_mul_f64_e32 v[174:175], v[4:5], v[14:15]
	v_add_f64_e32 v[178:179], v[166:167], v[164:165]
	v_mul_f64_e32 v[14:15], v[6:7], v[14:15]
	ds_load_b128 v[164:167], v2 offset:1152
	v_fmac_f64_e32 v[170:171], v[158:159], v[8:9]
	v_fma_f64 v[156:157], v[156:157], v[8:9], -v[10:11]
	scratch_load_b128 v[8:11], off, off offset:528
	v_add_f64_e32 v[168:169], v[168:169], v[172:173]
	v_fmac_f64_e32 v[174:175], v[6:7], v[12:13]
	v_add_f64_e32 v[158:159], v[178:179], v[176:177]
	v_fma_f64 v[176:177], v[4:5], v[12:13], -v[14:15]
	ds_load_b128 v[4:7], v2 offset:1168
	s_wait_loadcnt_dscnt 0xa01
	v_mul_f64_e32 v[172:173], v[164:165], v[18:19]
	v_mul_f64_e32 v[18:19], v[166:167], v[18:19]
	scratch_load_b128 v[12:15], off, off offset:544
	v_add_f64_e32 v[168:169], v[168:169], v[170:171]
	s_wait_loadcnt_dscnt 0xa00
	v_mul_f64_e32 v[170:171], v[4:5], v[22:23]
	v_add_f64_e32 v[178:179], v[158:159], v[156:157]
	v_mul_f64_e32 v[22:23], v[6:7], v[22:23]
	ds_load_b128 v[156:159], v2 offset:1184
	v_fmac_f64_e32 v[172:173], v[166:167], v[16:17]
	v_fma_f64 v[164:165], v[164:165], v[16:17], -v[18:19]
	scratch_load_b128 v[16:19], off, off offset:560
	v_add_f64_e32 v[168:169], v[168:169], v[174:175]
	v_fmac_f64_e32 v[170:171], v[6:7], v[20:21]
	v_add_f64_e32 v[166:167], v[178:179], v[176:177]
	v_fma_f64 v[176:177], v[4:5], v[20:21], -v[22:23]
	ds_load_b128 v[4:7], v2 offset:1200
	s_wait_loadcnt_dscnt 0xa01
	v_mul_f64_e32 v[174:175], v[156:157], v[126:127]
	v_mul_f64_e32 v[126:127], v[158:159], v[126:127]
	scratch_load_b128 v[20:23], off, off offset:576
	v_add_f64_e32 v[168:169], v[168:169], v[172:173]
	s_wait_loadcnt_dscnt 0xa00
	v_mul_f64_e32 v[172:173], v[4:5], v[130:131]
	v_add_f64_e32 v[178:179], v[166:167], v[164:165]
	v_mul_f64_e32 v[130:131], v[6:7], v[130:131]
	ds_load_b128 v[164:167], v2 offset:1216
	v_fmac_f64_e32 v[174:175], v[158:159], v[124:125]
	v_fma_f64 v[156:157], v[156:157], v[124:125], -v[126:127]
	scratch_load_b128 v[124:127], off, off offset:592
	v_add_f64_e32 v[168:169], v[168:169], v[170:171]
	v_fmac_f64_e32 v[172:173], v[6:7], v[128:129]
	v_add_f64_e32 v[158:159], v[178:179], v[176:177]
	v_fma_f64 v[176:177], v[4:5], v[128:129], -v[130:131]
	ds_load_b128 v[4:7], v2 offset:1232
	s_wait_loadcnt_dscnt 0xa01
	v_mul_f64_e32 v[170:171], v[164:165], v[134:135]
	v_mul_f64_e32 v[134:135], v[166:167], v[134:135]
	scratch_load_b128 v[128:131], off, off offset:608
	v_add_f64_e32 v[168:169], v[168:169], v[174:175]
	s_wait_loadcnt_dscnt 0xa00
	v_mul_f64_e32 v[174:175], v[4:5], v[138:139]
	v_add_f64_e32 v[178:179], v[158:159], v[156:157]
	v_mul_f64_e32 v[138:139], v[6:7], v[138:139]
	ds_load_b128 v[156:159], v2 offset:1248
	v_fmac_f64_e32 v[170:171], v[166:167], v[132:133]
	v_fma_f64 v[164:165], v[164:165], v[132:133], -v[134:135]
	scratch_load_b128 v[132:135], off, off offset:624
	v_add_f64_e32 v[168:169], v[168:169], v[172:173]
	v_fmac_f64_e32 v[174:175], v[6:7], v[136:137]
	v_add_f64_e32 v[166:167], v[178:179], v[176:177]
	v_fma_f64 v[176:177], v[4:5], v[136:137], -v[138:139]
	ds_load_b128 v[4:7], v2 offset:1264
	s_wait_loadcnt_dscnt 0xa01
	v_mul_f64_e32 v[172:173], v[156:157], v[142:143]
	v_mul_f64_e32 v[142:143], v[158:159], v[142:143]
	scratch_load_b128 v[136:139], off, off offset:640
	v_add_f64_e32 v[168:169], v[168:169], v[170:171]
	s_wait_loadcnt_dscnt 0xa00
	v_mul_f64_e32 v[170:171], v[4:5], v[150:151]
	v_add_f64_e32 v[178:179], v[166:167], v[164:165]
	v_mul_f64_e32 v[150:151], v[6:7], v[150:151]
	ds_load_b128 v[164:167], v2 offset:1280
	v_fmac_f64_e32 v[172:173], v[158:159], v[140:141]
	v_fma_f64 v[156:157], v[156:157], v[140:141], -v[142:143]
	scratch_load_b128 v[140:143], off, off offset:656
	v_add_f64_e32 v[168:169], v[168:169], v[174:175]
	v_fmac_f64_e32 v[170:171], v[6:7], v[148:149]
	v_add_f64_e32 v[158:159], v[178:179], v[176:177]
	v_fma_f64 v[176:177], v[4:5], v[148:149], -v[150:151]
	ds_load_b128 v[4:7], v2 offset:1296
	s_wait_loadcnt_dscnt 0xa01
	v_mul_f64_e32 v[174:175], v[164:165], v[162:163]
	v_mul_f64_e32 v[162:163], v[166:167], v[162:163]
	scratch_load_b128 v[148:151], off, off offset:672
	v_add_f64_e32 v[168:169], v[168:169], v[172:173]
	s_wait_loadcnt_dscnt 0xa00
	v_mul_f64_e32 v[172:173], v[4:5], v[146:147]
	v_add_f64_e32 v[178:179], v[158:159], v[156:157]
	v_mul_f64_e32 v[146:147], v[6:7], v[146:147]
	ds_load_b128 v[156:159], v2 offset:1312
	v_fmac_f64_e32 v[174:175], v[166:167], v[160:161]
	v_fma_f64 v[164:165], v[164:165], v[160:161], -v[162:163]
	scratch_load_b128 v[160:163], off, off offset:688
	v_add_f64_e32 v[168:169], v[168:169], v[170:171]
	v_fmac_f64_e32 v[172:173], v[6:7], v[144:145]
	v_add_f64_e32 v[166:167], v[178:179], v[176:177]
	v_fma_f64 v[176:177], v[4:5], v[144:145], -v[146:147]
	ds_load_b128 v[4:7], v2 offset:1328
	s_wait_loadcnt_dscnt 0xa01
	v_mul_f64_e32 v[170:171], v[156:157], v[10:11]
	v_mul_f64_e32 v[10:11], v[158:159], v[10:11]
	scratch_load_b128 v[144:147], off, off offset:704
	v_add_f64_e32 v[168:169], v[168:169], v[174:175]
	s_wait_loadcnt_dscnt 0xa00
	v_mul_f64_e32 v[174:175], v[4:5], v[14:15]
	v_add_f64_e32 v[178:179], v[166:167], v[164:165]
	v_mul_f64_e32 v[14:15], v[6:7], v[14:15]
	ds_load_b128 v[164:167], v2 offset:1344
	v_fmac_f64_e32 v[170:171], v[158:159], v[8:9]
	v_fma_f64 v[156:157], v[156:157], v[8:9], -v[10:11]
	scratch_load_b128 v[8:11], off, off offset:720
	v_add_f64_e32 v[168:169], v[168:169], v[172:173]
	v_fmac_f64_e32 v[174:175], v[6:7], v[12:13]
	v_add_f64_e32 v[158:159], v[178:179], v[176:177]
	v_fma_f64 v[176:177], v[4:5], v[12:13], -v[14:15]
	ds_load_b128 v[4:7], v2 offset:1360
	s_wait_loadcnt_dscnt 0xa01
	v_mul_f64_e32 v[172:173], v[164:165], v[18:19]
	v_mul_f64_e32 v[18:19], v[166:167], v[18:19]
	scratch_load_b128 v[12:15], off, off offset:736
	v_add_f64_e32 v[168:169], v[168:169], v[170:171]
	s_wait_loadcnt_dscnt 0xa00
	v_mul_f64_e32 v[170:171], v[4:5], v[22:23]
	v_add_f64_e32 v[178:179], v[158:159], v[156:157]
	v_mul_f64_e32 v[22:23], v[6:7], v[22:23]
	ds_load_b128 v[156:159], v2 offset:1376
	v_fmac_f64_e32 v[172:173], v[166:167], v[16:17]
	v_fma_f64 v[164:165], v[164:165], v[16:17], -v[18:19]
	scratch_load_b128 v[16:19], off, off offset:752
	v_add_f64_e32 v[168:169], v[168:169], v[174:175]
	v_fmac_f64_e32 v[170:171], v[6:7], v[20:21]
	v_add_f64_e32 v[166:167], v[178:179], v[176:177]
	v_fma_f64 v[176:177], v[4:5], v[20:21], -v[22:23]
	ds_load_b128 v[4:7], v2 offset:1392
	s_wait_loadcnt_dscnt 0xa01
	v_mul_f64_e32 v[174:175], v[156:157], v[126:127]
	v_mul_f64_e32 v[126:127], v[158:159], v[126:127]
	scratch_load_b128 v[20:23], off, off offset:768
	v_add_f64_e32 v[168:169], v[168:169], v[172:173]
	s_wait_loadcnt_dscnt 0xa00
	v_mul_f64_e32 v[172:173], v[4:5], v[130:131]
	v_add_f64_e32 v[178:179], v[166:167], v[164:165]
	v_mul_f64_e32 v[130:131], v[6:7], v[130:131]
	ds_load_b128 v[164:167], v2 offset:1408
	v_fmac_f64_e32 v[174:175], v[158:159], v[124:125]
	v_fma_f64 v[124:125], v[156:157], v[124:125], -v[126:127]
	s_wait_loadcnt_dscnt 0x900
	v_mul_f64_e32 v[158:159], v[164:165], v[134:135]
	v_mul_f64_e32 v[134:135], v[166:167], v[134:135]
	v_add_f64_e32 v[156:157], v[168:169], v[170:171]
	v_fmac_f64_e32 v[172:173], v[6:7], v[128:129]
	v_add_f64_e32 v[126:127], v[178:179], v[176:177]
	v_fma_f64 v[128:129], v[4:5], v[128:129], -v[130:131]
	v_fmac_f64_e32 v[158:159], v[166:167], v[132:133]
	v_fma_f64 v[132:133], v[164:165], v[132:133], -v[134:135]
	v_add_f64_e32 v[156:157], v[156:157], v[174:175]
	v_add_f64_e32 v[130:131], v[126:127], v[124:125]
	ds_load_b128 v[4:7], v2 offset:1424
	ds_load_b128 v[124:127], v2 offset:1440
	s_wait_loadcnt_dscnt 0x801
	v_mul_f64_e32 v[168:169], v[4:5], v[138:139]
	v_mul_f64_e32 v[138:139], v[6:7], v[138:139]
	s_wait_loadcnt_dscnt 0x700
	v_mul_f64_e32 v[134:135], v[124:125], v[142:143]
	v_mul_f64_e32 v[142:143], v[126:127], v[142:143]
	v_add_f64_e32 v[128:129], v[130:131], v[128:129]
	v_add_f64_e32 v[130:131], v[156:157], v[172:173]
	v_fmac_f64_e32 v[168:169], v[6:7], v[136:137]
	v_fma_f64 v[136:137], v[4:5], v[136:137], -v[138:139]
	v_fmac_f64_e32 v[134:135], v[126:127], v[140:141]
	v_fma_f64 v[124:125], v[124:125], v[140:141], -v[142:143]
	v_add_f64_e32 v[132:133], v[128:129], v[132:133]
	v_add_f64_e32 v[138:139], v[130:131], v[158:159]
	ds_load_b128 v[4:7], v2 offset:1456
	ds_load_b128 v[128:131], v2 offset:1472
	s_wait_loadcnt_dscnt 0x601
	v_mul_f64_e32 v[156:157], v[4:5], v[150:151]
	v_mul_f64_e32 v[150:151], v[6:7], v[150:151]
	v_add_f64_e32 v[126:127], v[132:133], v[136:137]
	v_add_f64_e32 v[132:133], v[138:139], v[168:169]
	s_wait_loadcnt_dscnt 0x500
	v_mul_f64_e32 v[136:137], v[128:129], v[162:163]
	v_mul_f64_e32 v[138:139], v[130:131], v[162:163]
	v_fmac_f64_e32 v[156:157], v[6:7], v[148:149]
	v_fma_f64 v[140:141], v[4:5], v[148:149], -v[150:151]
	v_add_f64_e32 v[142:143], v[126:127], v[124:125]
	v_add_f64_e32 v[132:133], v[132:133], v[134:135]
	ds_load_b128 v[4:7], v2 offset:1488
	ds_load_b128 v[124:127], v2 offset:1504
	v_fmac_f64_e32 v[136:137], v[130:131], v[160:161]
	v_fma_f64 v[128:129], v[128:129], v[160:161], -v[138:139]
	s_wait_loadcnt_dscnt 0x401
	v_mul_f64_e32 v[134:135], v[4:5], v[146:147]
	v_mul_f64_e32 v[146:147], v[6:7], v[146:147]
	s_wait_loadcnt_dscnt 0x300
	v_mul_f64_e32 v[138:139], v[124:125], v[10:11]
	v_mul_f64_e32 v[10:11], v[126:127], v[10:11]
	v_add_f64_e32 v[130:131], v[142:143], v[140:141]
	v_add_f64_e32 v[132:133], v[132:133], v[156:157]
	v_fmac_f64_e32 v[134:135], v[6:7], v[144:145]
	v_fma_f64 v[140:141], v[4:5], v[144:145], -v[146:147]
	v_fmac_f64_e32 v[138:139], v[126:127], v[8:9]
	v_fma_f64 v[8:9], v[124:125], v[8:9], -v[10:11]
	v_add_f64_e32 v[142:143], v[130:131], v[128:129]
	v_add_f64_e32 v[132:133], v[132:133], v[136:137]
	ds_load_b128 v[4:7], v2 offset:1520
	ds_load_b128 v[128:131], v2 offset:1536
	s_wait_loadcnt_dscnt 0x201
	v_mul_f64_e32 v[136:137], v[4:5], v[14:15]
	v_mul_f64_e32 v[14:15], v[6:7], v[14:15]
	s_wait_loadcnt_dscnt 0x100
	v_mul_f64_e32 v[126:127], v[128:129], v[18:19]
	v_mul_f64_e32 v[18:19], v[130:131], v[18:19]
	v_add_f64_e32 v[10:11], v[142:143], v[140:141]
	v_add_f64_e32 v[124:125], v[132:133], v[134:135]
	v_fmac_f64_e32 v[136:137], v[6:7], v[12:13]
	v_fma_f64 v[12:13], v[4:5], v[12:13], -v[14:15]
	ds_load_b128 v[4:7], v2 offset:1552
	v_fmac_f64_e32 v[126:127], v[130:131], v[16:17]
	v_fma_f64 v[16:17], v[128:129], v[16:17], -v[18:19]
	v_add_f64_e32 v[8:9], v[10:11], v[8:9]
	v_add_f64_e32 v[10:11], v[124:125], v[138:139]
	s_wait_loadcnt_dscnt 0x0
	v_mul_f64_e32 v[14:15], v[4:5], v[22:23]
	v_mul_f64_e32 v[22:23], v[6:7], v[22:23]
	s_delay_alu instid0(VALU_DEP_4) | instskip(NEXT) | instid1(VALU_DEP_4)
	v_add_f64_e32 v[8:9], v[8:9], v[12:13]
	v_add_f64_e32 v[10:11], v[10:11], v[136:137]
	s_delay_alu instid0(VALU_DEP_4) | instskip(NEXT) | instid1(VALU_DEP_4)
	v_fmac_f64_e32 v[14:15], v[6:7], v[20:21]
	v_fma_f64 v[4:5], v[4:5], v[20:21], -v[22:23]
	s_delay_alu instid0(VALU_DEP_4) | instskip(NEXT) | instid1(VALU_DEP_4)
	v_add_f64_e32 v[6:7], v[8:9], v[16:17]
	v_add_f64_e32 v[8:9], v[10:11], v[126:127]
	s_delay_alu instid0(VALU_DEP_2) | instskip(NEXT) | instid1(VALU_DEP_2)
	v_add_f64_e32 v[4:5], v[6:7], v[4:5]
	v_add_f64_e32 v[6:7], v[8:9], v[14:15]
	s_delay_alu instid0(VALU_DEP_2) | instskip(NEXT) | instid1(VALU_DEP_2)
	v_add_f64_e64 v[4:5], v[152:153], -v[4:5]
	v_add_f64_e64 v[6:7], v[154:155], -v[6:7]
	scratch_store_b128 off, v[4:7], off offset:112
	s_wait_xcnt 0x0
	v_cmpx_lt_u32_e32 6, v1
	s_cbranch_execz .LBB112_295
; %bb.294:
	scratch_load_b128 v[6:9], off, s59
	v_dual_mov_b32 v3, v2 :: v_dual_mov_b32 v4, v2
	v_mov_b32_e32 v5, v2
	scratch_store_b128 off, v[2:5], off offset:96
	s_wait_loadcnt 0x0
	ds_store_b128 v122, v[6:9]
.LBB112_295:
	s_wait_xcnt 0x0
	s_or_b32 exec_lo, exec_lo, s2
	s_wait_storecnt_dscnt 0x0
	s_barrier_signal -1
	s_barrier_wait -1
	s_clause 0x9
	scratch_load_b128 v[4:7], off, off offset:112
	scratch_load_b128 v[8:11], off, off offset:128
	;; [unrolled: 1-line block ×10, first 2 shown]
	ds_load_b128 v[144:147], v2 offset:896
	ds_load_b128 v[152:155], v2 offset:912
	s_clause 0x2
	scratch_load_b128 v[148:151], off, off offset:272
	scratch_load_b128 v[156:159], off, off offset:96
	;; [unrolled: 1-line block ×3, first 2 shown]
	s_mov_b32 s2, exec_lo
	s_wait_loadcnt_dscnt 0xc01
	v_mul_f64_e32 v[164:165], v[146:147], v[6:7]
	v_mul_f64_e32 v[168:169], v[144:145], v[6:7]
	s_wait_loadcnt_dscnt 0xb00
	v_mul_f64_e32 v[170:171], v[152:153], v[10:11]
	v_mul_f64_e32 v[10:11], v[154:155], v[10:11]
	s_delay_alu instid0(VALU_DEP_4) | instskip(NEXT) | instid1(VALU_DEP_4)
	v_fma_f64 v[172:173], v[144:145], v[4:5], -v[164:165]
	v_fmac_f64_e32 v[168:169], v[146:147], v[4:5]
	ds_load_b128 v[4:7], v2 offset:928
	ds_load_b128 v[144:147], v2 offset:944
	scratch_load_b128 v[164:167], off, off offset:304
	v_fmac_f64_e32 v[170:171], v[154:155], v[8:9]
	v_fma_f64 v[152:153], v[152:153], v[8:9], -v[10:11]
	scratch_load_b128 v[8:11], off, off offset:320
	s_wait_loadcnt_dscnt 0xc01
	v_mul_f64_e32 v[174:175], v[4:5], v[14:15]
	v_mul_f64_e32 v[14:15], v[6:7], v[14:15]
	v_add_f64_e32 v[154:155], 0, v[172:173]
	v_add_f64_e32 v[168:169], 0, v[168:169]
	s_wait_loadcnt_dscnt 0xb00
	v_mul_f64_e32 v[172:173], v[144:145], v[18:19]
	v_mul_f64_e32 v[18:19], v[146:147], v[18:19]
	v_fmac_f64_e32 v[174:175], v[6:7], v[12:13]
	v_fma_f64 v[176:177], v[4:5], v[12:13], -v[14:15]
	ds_load_b128 v[4:7], v2 offset:960
	ds_load_b128 v[12:15], v2 offset:976
	v_add_f64_e32 v[178:179], v[154:155], v[152:153]
	v_add_f64_e32 v[168:169], v[168:169], v[170:171]
	scratch_load_b128 v[152:155], off, off offset:336
	v_fmac_f64_e32 v[172:173], v[146:147], v[16:17]
	v_fma_f64 v[144:145], v[144:145], v[16:17], -v[18:19]
	scratch_load_b128 v[16:19], off, off offset:352
	s_wait_loadcnt_dscnt 0xc01
	v_mul_f64_e32 v[170:171], v[4:5], v[22:23]
	v_mul_f64_e32 v[22:23], v[6:7], v[22:23]
	v_add_f64_e32 v[146:147], v[178:179], v[176:177]
	v_add_f64_e32 v[168:169], v[168:169], v[174:175]
	s_wait_loadcnt_dscnt 0xb00
	v_mul_f64_e32 v[174:175], v[12:13], v[126:127]
	v_mul_f64_e32 v[126:127], v[14:15], v[126:127]
	v_fmac_f64_e32 v[170:171], v[6:7], v[20:21]
	v_fma_f64 v[176:177], v[4:5], v[20:21], -v[22:23]
	ds_load_b128 v[4:7], v2 offset:992
	ds_load_b128 v[20:23], v2 offset:1008
	v_add_f64_e32 v[178:179], v[146:147], v[144:145]
	v_add_f64_e32 v[168:169], v[168:169], v[172:173]
	scratch_load_b128 v[144:147], off, off offset:368
	s_wait_loadcnt_dscnt 0xb01
	v_mul_f64_e32 v[172:173], v[4:5], v[130:131]
	v_mul_f64_e32 v[130:131], v[6:7], v[130:131]
	v_fmac_f64_e32 v[174:175], v[14:15], v[124:125]
	v_fma_f64 v[124:125], v[12:13], v[124:125], -v[126:127]
	scratch_load_b128 v[12:15], off, off offset:384
	v_add_f64_e32 v[126:127], v[178:179], v[176:177]
	v_add_f64_e32 v[168:169], v[168:169], v[170:171]
	s_wait_loadcnt_dscnt 0xb00
	v_mul_f64_e32 v[170:171], v[20:21], v[134:135]
	v_mul_f64_e32 v[134:135], v[22:23], v[134:135]
	v_fmac_f64_e32 v[172:173], v[6:7], v[128:129]
	v_fma_f64 v[176:177], v[4:5], v[128:129], -v[130:131]
	v_add_f64_e32 v[178:179], v[126:127], v[124:125]
	v_add_f64_e32 v[168:169], v[168:169], v[174:175]
	ds_load_b128 v[4:7], v2 offset:1024
	ds_load_b128 v[124:127], v2 offset:1040
	scratch_load_b128 v[128:131], off, off offset:400
	v_fmac_f64_e32 v[170:171], v[22:23], v[132:133]
	v_fma_f64 v[132:133], v[20:21], v[132:133], -v[134:135]
	scratch_load_b128 v[20:23], off, off offset:416
	s_wait_loadcnt_dscnt 0xc01
	v_mul_f64_e32 v[174:175], v[4:5], v[138:139]
	v_mul_f64_e32 v[138:139], v[6:7], v[138:139]
	v_add_f64_e32 v[134:135], v[178:179], v[176:177]
	v_add_f64_e32 v[168:169], v[168:169], v[172:173]
	s_wait_loadcnt_dscnt 0xb00
	v_mul_f64_e32 v[172:173], v[124:125], v[142:143]
	v_mul_f64_e32 v[142:143], v[126:127], v[142:143]
	v_fmac_f64_e32 v[174:175], v[6:7], v[136:137]
	v_fma_f64 v[176:177], v[4:5], v[136:137], -v[138:139]
	v_add_f64_e32 v[178:179], v[134:135], v[132:133]
	v_add_f64_e32 v[168:169], v[168:169], v[170:171]
	ds_load_b128 v[4:7], v2 offset:1056
	ds_load_b128 v[132:135], v2 offset:1072
	scratch_load_b128 v[136:139], off, off offset:432
	v_fmac_f64_e32 v[172:173], v[126:127], v[140:141]
	v_fma_f64 v[140:141], v[124:125], v[140:141], -v[142:143]
	scratch_load_b128 v[124:127], off, off offset:448
	s_wait_loadcnt_dscnt 0xc01
	v_mul_f64_e32 v[170:171], v[4:5], v[150:151]
	v_mul_f64_e32 v[150:151], v[6:7], v[150:151]
	;; [unrolled: 18-line block ×5, first 2 shown]
	v_add_f64_e32 v[162:163], v[178:179], v[176:177]
	v_add_f64_e32 v[168:169], v[168:169], v[174:175]
	s_wait_loadcnt_dscnt 0xa00
	v_mul_f64_e32 v[174:175], v[140:141], v[14:15]
	v_mul_f64_e32 v[14:15], v[142:143], v[14:15]
	v_fmac_f64_e32 v[170:171], v[6:7], v[144:145]
	v_fma_f64 v[176:177], v[4:5], v[144:145], -v[146:147]
	ds_load_b128 v[4:7], v2 offset:1184
	ds_load_b128 v[144:147], v2 offset:1200
	v_add_f64_e32 v[178:179], v[162:163], v[160:161]
	v_add_f64_e32 v[168:169], v[168:169], v[172:173]
	scratch_load_b128 v[160:163], off, off offset:560
	v_fmac_f64_e32 v[174:175], v[142:143], v[12:13]
	v_fma_f64 v[140:141], v[140:141], v[12:13], -v[14:15]
	scratch_load_b128 v[12:15], off, off offset:576
	s_wait_loadcnt_dscnt 0xb01
	v_mul_f64_e32 v[172:173], v[4:5], v[130:131]
	v_mul_f64_e32 v[130:131], v[6:7], v[130:131]
	v_add_f64_e32 v[142:143], v[178:179], v[176:177]
	v_add_f64_e32 v[168:169], v[168:169], v[170:171]
	s_wait_loadcnt_dscnt 0xa00
	v_mul_f64_e32 v[170:171], v[144:145], v[22:23]
	v_mul_f64_e32 v[22:23], v[146:147], v[22:23]
	v_fmac_f64_e32 v[172:173], v[6:7], v[128:129]
	v_fma_f64 v[176:177], v[4:5], v[128:129], -v[130:131]
	ds_load_b128 v[4:7], v2 offset:1216
	ds_load_b128 v[128:131], v2 offset:1232
	v_add_f64_e32 v[178:179], v[142:143], v[140:141]
	v_add_f64_e32 v[168:169], v[168:169], v[174:175]
	scratch_load_b128 v[140:143], off, off offset:592
	s_wait_loadcnt_dscnt 0xa01
	v_mul_f64_e32 v[174:175], v[4:5], v[138:139]
	v_mul_f64_e32 v[138:139], v[6:7], v[138:139]
	v_fmac_f64_e32 v[170:171], v[146:147], v[20:21]
	v_fma_f64 v[144:145], v[144:145], v[20:21], -v[22:23]
	scratch_load_b128 v[20:23], off, off offset:608
	v_add_f64_e32 v[146:147], v[178:179], v[176:177]
	v_add_f64_e32 v[168:169], v[168:169], v[172:173]
	s_wait_loadcnt_dscnt 0xa00
	v_mul_f64_e32 v[172:173], v[128:129], v[126:127]
	v_mul_f64_e32 v[126:127], v[130:131], v[126:127]
	v_fmac_f64_e32 v[174:175], v[6:7], v[136:137]
	v_fma_f64 v[176:177], v[4:5], v[136:137], -v[138:139]
	ds_load_b128 v[4:7], v2 offset:1248
	ds_load_b128 v[136:139], v2 offset:1264
	v_add_f64_e32 v[178:179], v[146:147], v[144:145]
	v_add_f64_e32 v[168:169], v[168:169], v[170:171]
	scratch_load_b128 v[144:147], off, off offset:624
	s_wait_loadcnt_dscnt 0xa01
	v_mul_f64_e32 v[170:171], v[4:5], v[150:151]
	v_mul_f64_e32 v[150:151], v[6:7], v[150:151]
	v_fmac_f64_e32 v[172:173], v[130:131], v[124:125]
	v_fma_f64 v[128:129], v[128:129], v[124:125], -v[126:127]
	scratch_load_b128 v[124:127], off, off offset:640
	v_add_f64_e32 v[130:131], v[178:179], v[176:177]
	v_add_f64_e32 v[168:169], v[168:169], v[174:175]
	s_wait_loadcnt_dscnt 0xa00
	v_mul_f64_e32 v[174:175], v[136:137], v[134:135]
	v_mul_f64_e32 v[134:135], v[138:139], v[134:135]
	v_fmac_f64_e32 v[170:171], v[6:7], v[148:149]
	v_fma_f64 v[176:177], v[4:5], v[148:149], -v[150:151]
	v_add_f64_e32 v[178:179], v[130:131], v[128:129]
	v_add_f64_e32 v[168:169], v[168:169], v[172:173]
	ds_load_b128 v[4:7], v2 offset:1280
	ds_load_b128 v[128:131], v2 offset:1296
	scratch_load_b128 v[148:151], off, off offset:656
	v_fmac_f64_e32 v[174:175], v[138:139], v[132:133]
	v_fma_f64 v[136:137], v[136:137], v[132:133], -v[134:135]
	scratch_load_b128 v[132:135], off, off offset:672
	s_wait_loadcnt_dscnt 0xb01
	v_mul_f64_e32 v[172:173], v[4:5], v[166:167]
	v_mul_f64_e32 v[166:167], v[6:7], v[166:167]
	v_add_f64_e32 v[138:139], v[178:179], v[176:177]
	v_add_f64_e32 v[168:169], v[168:169], v[170:171]
	s_wait_loadcnt_dscnt 0xa00
	v_mul_f64_e32 v[170:171], v[128:129], v[10:11]
	v_mul_f64_e32 v[10:11], v[130:131], v[10:11]
	v_fmac_f64_e32 v[172:173], v[6:7], v[164:165]
	v_fma_f64 v[176:177], v[4:5], v[164:165], -v[166:167]
	v_add_f64_e32 v[178:179], v[138:139], v[136:137]
	v_add_f64_e32 v[168:169], v[168:169], v[174:175]
	ds_load_b128 v[4:7], v2 offset:1312
	ds_load_b128 v[136:139], v2 offset:1328
	scratch_load_b128 v[164:167], off, off offset:688
	v_fmac_f64_e32 v[170:171], v[130:131], v[8:9]
	v_fma_f64 v[128:129], v[128:129], v[8:9], -v[10:11]
	scratch_load_b128 v[8:11], off, off offset:704
	s_wait_loadcnt_dscnt 0xb01
	v_mul_f64_e32 v[174:175], v[4:5], v[154:155]
	v_mul_f64_e32 v[154:155], v[6:7], v[154:155]
	;; [unrolled: 18-line block ×4, first 2 shown]
	v_add_f64_e32 v[130:131], v[178:179], v[176:177]
	v_add_f64_e32 v[168:169], v[168:169], v[170:171]
	s_wait_loadcnt_dscnt 0xa00
	v_mul_f64_e32 v[170:171], v[136:137], v[22:23]
	v_mul_f64_e32 v[22:23], v[138:139], v[22:23]
	v_fmac_f64_e32 v[172:173], v[6:7], v[140:141]
	v_fma_f64 v[140:141], v[4:5], v[140:141], -v[142:143]
	v_add_f64_e32 v[142:143], v[130:131], v[128:129]
	v_add_f64_e32 v[168:169], v[168:169], v[174:175]
	ds_load_b128 v[4:7], v2 offset:1408
	ds_load_b128 v[128:131], v2 offset:1424
	v_fmac_f64_e32 v[170:171], v[138:139], v[20:21]
	v_fma_f64 v[20:21], v[136:137], v[20:21], -v[22:23]
	s_wait_loadcnt_dscnt 0x901
	v_mul_f64_e32 v[174:175], v[4:5], v[146:147]
	v_mul_f64_e32 v[146:147], v[6:7], v[146:147]
	s_wait_loadcnt_dscnt 0x800
	v_mul_f64_e32 v[138:139], v[128:129], v[126:127]
	v_mul_f64_e32 v[126:127], v[130:131], v[126:127]
	v_add_f64_e32 v[22:23], v[142:143], v[140:141]
	v_add_f64_e32 v[136:137], v[168:169], v[172:173]
	v_fmac_f64_e32 v[174:175], v[6:7], v[144:145]
	v_fma_f64 v[140:141], v[4:5], v[144:145], -v[146:147]
	v_fmac_f64_e32 v[138:139], v[130:131], v[124:125]
	v_fma_f64 v[124:125], v[128:129], v[124:125], -v[126:127]
	v_add_f64_e32 v[142:143], v[22:23], v[20:21]
	v_add_f64_e32 v[136:137], v[136:137], v[170:171]
	ds_load_b128 v[4:7], v2 offset:1440
	ds_load_b128 v[20:23], v2 offset:1456
	s_wait_loadcnt_dscnt 0x701
	v_mul_f64_e32 v[144:145], v[4:5], v[150:151]
	v_mul_f64_e32 v[146:147], v[6:7], v[150:151]
	s_wait_loadcnt_dscnt 0x600
	v_mul_f64_e32 v[130:131], v[20:21], v[134:135]
	v_mul_f64_e32 v[134:135], v[22:23], v[134:135]
	v_add_f64_e32 v[126:127], v[142:143], v[140:141]
	v_add_f64_e32 v[128:129], v[136:137], v[174:175]
	v_fmac_f64_e32 v[144:145], v[6:7], v[148:149]
	v_fma_f64 v[136:137], v[4:5], v[148:149], -v[146:147]
	v_fmac_f64_e32 v[130:131], v[22:23], v[132:133]
	v_fma_f64 v[20:21], v[20:21], v[132:133], -v[134:135]
	v_add_f64_e32 v[140:141], v[126:127], v[124:125]
	v_add_f64_e32 v[128:129], v[128:129], v[138:139]
	ds_load_b128 v[4:7], v2 offset:1472
	ds_load_b128 v[124:127], v2 offset:1488
	;; [unrolled: 16-line block ×4, first 2 shown]
	s_wait_loadcnt_dscnt 0x101
	v_mul_f64_e32 v[2:3], v[4:5], v[162:163]
	v_mul_f64_e32 v[132:133], v[6:7], v[162:163]
	s_wait_loadcnt_dscnt 0x0
	v_mul_f64_e32 v[22:23], v[8:9], v[14:15]
	v_mul_f64_e32 v[14:15], v[10:11], v[14:15]
	v_add_f64_e32 v[18:19], v[134:135], v[128:129]
	v_add_f64_e32 v[20:21], v[124:125], v[130:131]
	v_fmac_f64_e32 v[2:3], v[6:7], v[160:161]
	v_fma_f64 v[4:5], v[4:5], v[160:161], -v[132:133]
	v_fmac_f64_e32 v[22:23], v[10:11], v[12:13]
	v_fma_f64 v[8:9], v[8:9], v[12:13], -v[14:15]
	v_add_f64_e32 v[6:7], v[18:19], v[16:17]
	v_add_f64_e32 v[16:17], v[20:21], v[126:127]
	s_delay_alu instid0(VALU_DEP_2) | instskip(NEXT) | instid1(VALU_DEP_2)
	v_add_f64_e32 v[4:5], v[6:7], v[4:5]
	v_add_f64_e32 v[2:3], v[16:17], v[2:3]
	s_delay_alu instid0(VALU_DEP_2) | instskip(NEXT) | instid1(VALU_DEP_2)
	;; [unrolled: 3-line block ×3, first 2 shown]
	v_add_f64_e64 v[2:3], v[156:157], -v[4:5]
	v_add_f64_e64 v[4:5], v[158:159], -v[6:7]
	scratch_store_b128 off, v[2:5], off offset:96
	s_wait_xcnt 0x0
	v_cmpx_lt_u32_e32 5, v1
	s_cbranch_execz .LBB112_297
; %bb.296:
	scratch_load_b128 v[2:5], off, s60
	v_mov_b32_e32 v6, 0
	s_delay_alu instid0(VALU_DEP_1)
	v_dual_mov_b32 v7, v6 :: v_dual_mov_b32 v8, v6
	v_mov_b32_e32 v9, v6
	scratch_store_b128 off, v[6:9], off offset:80
	s_wait_loadcnt 0x0
	ds_store_b128 v122, v[2:5]
.LBB112_297:
	s_wait_xcnt 0x0
	s_or_b32 exec_lo, exec_lo, s2
	s_wait_storecnt_dscnt 0x0
	s_barrier_signal -1
	s_barrier_wait -1
	s_clause 0x9
	scratch_load_b128 v[4:7], off, off offset:96
	scratch_load_b128 v[8:11], off, off offset:112
	;; [unrolled: 1-line block ×10, first 2 shown]
	v_mov_b32_e32 v2, 0
	s_mov_b32 s2, exec_lo
	ds_load_b128 v[144:147], v2 offset:880
	s_clause 0x2
	scratch_load_b128 v[148:151], off, off offset:256
	scratch_load_b128 v[152:155], off, off offset:80
	scratch_load_b128 v[160:163], off, off offset:272
	s_wait_loadcnt_dscnt 0xc00
	v_mul_f64_e32 v[164:165], v[146:147], v[6:7]
	v_mul_f64_e32 v[168:169], v[144:145], v[6:7]
	ds_load_b128 v[156:159], v2 offset:896
	v_fma_f64 v[172:173], v[144:145], v[4:5], -v[164:165]
	v_fmac_f64_e32 v[168:169], v[146:147], v[4:5]
	ds_load_b128 v[4:7], v2 offset:912
	s_wait_loadcnt_dscnt 0xb01
	v_mul_f64_e32 v[170:171], v[156:157], v[10:11]
	v_mul_f64_e32 v[10:11], v[158:159], v[10:11]
	scratch_load_b128 v[144:147], off, off offset:288
	ds_load_b128 v[164:167], v2 offset:928
	s_wait_loadcnt_dscnt 0xb01
	v_mul_f64_e32 v[174:175], v[4:5], v[14:15]
	v_mul_f64_e32 v[14:15], v[6:7], v[14:15]
	v_add_f64_e32 v[168:169], 0, v[168:169]
	v_fmac_f64_e32 v[170:171], v[158:159], v[8:9]
	v_fma_f64 v[156:157], v[156:157], v[8:9], -v[10:11]
	v_add_f64_e32 v[158:159], 0, v[172:173]
	scratch_load_b128 v[8:11], off, off offset:304
	v_fmac_f64_e32 v[174:175], v[6:7], v[12:13]
	v_fma_f64 v[176:177], v[4:5], v[12:13], -v[14:15]
	ds_load_b128 v[4:7], v2 offset:944
	s_wait_loadcnt_dscnt 0xb01
	v_mul_f64_e32 v[172:173], v[164:165], v[18:19]
	v_mul_f64_e32 v[18:19], v[166:167], v[18:19]
	scratch_load_b128 v[12:15], off, off offset:320
	v_add_f64_e32 v[168:169], v[168:169], v[170:171]
	v_add_f64_e32 v[178:179], v[158:159], v[156:157]
	ds_load_b128 v[156:159], v2 offset:960
	s_wait_loadcnt_dscnt 0xb01
	v_mul_f64_e32 v[170:171], v[4:5], v[22:23]
	v_mul_f64_e32 v[22:23], v[6:7], v[22:23]
	v_fmac_f64_e32 v[172:173], v[166:167], v[16:17]
	v_fma_f64 v[164:165], v[164:165], v[16:17], -v[18:19]
	scratch_load_b128 v[16:19], off, off offset:336
	v_add_f64_e32 v[168:169], v[168:169], v[174:175]
	v_add_f64_e32 v[166:167], v[178:179], v[176:177]
	v_fmac_f64_e32 v[170:171], v[6:7], v[20:21]
	v_fma_f64 v[176:177], v[4:5], v[20:21], -v[22:23]
	ds_load_b128 v[4:7], v2 offset:976
	s_wait_loadcnt_dscnt 0xb01
	v_mul_f64_e32 v[174:175], v[156:157], v[126:127]
	v_mul_f64_e32 v[126:127], v[158:159], v[126:127]
	scratch_load_b128 v[20:23], off, off offset:352
	v_add_f64_e32 v[168:169], v[168:169], v[172:173]
	s_wait_loadcnt_dscnt 0xb00
	v_mul_f64_e32 v[172:173], v[4:5], v[130:131]
	v_add_f64_e32 v[178:179], v[166:167], v[164:165]
	v_mul_f64_e32 v[130:131], v[6:7], v[130:131]
	ds_load_b128 v[164:167], v2 offset:992
	v_fmac_f64_e32 v[174:175], v[158:159], v[124:125]
	v_fma_f64 v[156:157], v[156:157], v[124:125], -v[126:127]
	scratch_load_b128 v[124:127], off, off offset:368
	v_add_f64_e32 v[168:169], v[168:169], v[170:171]
	v_fmac_f64_e32 v[172:173], v[6:7], v[128:129]
	v_add_f64_e32 v[158:159], v[178:179], v[176:177]
	v_fma_f64 v[176:177], v[4:5], v[128:129], -v[130:131]
	ds_load_b128 v[4:7], v2 offset:1008
	s_wait_loadcnt_dscnt 0xb01
	v_mul_f64_e32 v[170:171], v[164:165], v[134:135]
	v_mul_f64_e32 v[134:135], v[166:167], v[134:135]
	scratch_load_b128 v[128:131], off, off offset:384
	v_add_f64_e32 v[168:169], v[168:169], v[174:175]
	s_wait_loadcnt_dscnt 0xb00
	v_mul_f64_e32 v[174:175], v[4:5], v[138:139]
	v_add_f64_e32 v[178:179], v[158:159], v[156:157]
	v_mul_f64_e32 v[138:139], v[6:7], v[138:139]
	ds_load_b128 v[156:159], v2 offset:1024
	v_fmac_f64_e32 v[170:171], v[166:167], v[132:133]
	v_fma_f64 v[164:165], v[164:165], v[132:133], -v[134:135]
	scratch_load_b128 v[132:135], off, off offset:400
	v_add_f64_e32 v[168:169], v[168:169], v[172:173]
	v_fmac_f64_e32 v[174:175], v[6:7], v[136:137]
	v_add_f64_e32 v[166:167], v[178:179], v[176:177]
	;; [unrolled: 18-line block ×3, first 2 shown]
	v_fma_f64 v[176:177], v[4:5], v[148:149], -v[150:151]
	ds_load_b128 v[4:7], v2 offset:1072
	s_wait_loadcnt_dscnt 0xa01
	v_mul_f64_e32 v[174:175], v[164:165], v[162:163]
	v_mul_f64_e32 v[162:163], v[166:167], v[162:163]
	scratch_load_b128 v[148:151], off, off offset:448
	v_add_f64_e32 v[168:169], v[168:169], v[172:173]
	v_add_f64_e32 v[178:179], v[158:159], v[156:157]
	s_wait_loadcnt_dscnt 0xa00
	v_mul_f64_e32 v[172:173], v[4:5], v[146:147]
	v_mul_f64_e32 v[146:147], v[6:7], v[146:147]
	v_fmac_f64_e32 v[174:175], v[166:167], v[160:161]
	v_fma_f64 v[164:165], v[164:165], v[160:161], -v[162:163]
	ds_load_b128 v[156:159], v2 offset:1088
	scratch_load_b128 v[160:163], off, off offset:464
	v_add_f64_e32 v[168:169], v[168:169], v[170:171]
	v_add_f64_e32 v[166:167], v[178:179], v[176:177]
	v_fmac_f64_e32 v[172:173], v[6:7], v[144:145]
	v_fma_f64 v[176:177], v[4:5], v[144:145], -v[146:147]
	ds_load_b128 v[4:7], v2 offset:1104
	s_wait_loadcnt_dscnt 0xa01
	v_mul_f64_e32 v[170:171], v[156:157], v[10:11]
	v_mul_f64_e32 v[10:11], v[158:159], v[10:11]
	scratch_load_b128 v[144:147], off, off offset:480
	v_add_f64_e32 v[168:169], v[168:169], v[174:175]
	s_wait_loadcnt_dscnt 0xa00
	v_mul_f64_e32 v[174:175], v[4:5], v[14:15]
	v_add_f64_e32 v[178:179], v[166:167], v[164:165]
	v_mul_f64_e32 v[14:15], v[6:7], v[14:15]
	ds_load_b128 v[164:167], v2 offset:1120
	v_fmac_f64_e32 v[170:171], v[158:159], v[8:9]
	v_fma_f64 v[156:157], v[156:157], v[8:9], -v[10:11]
	scratch_load_b128 v[8:11], off, off offset:496
	v_add_f64_e32 v[168:169], v[168:169], v[172:173]
	v_fmac_f64_e32 v[174:175], v[6:7], v[12:13]
	v_add_f64_e32 v[158:159], v[178:179], v[176:177]
	v_fma_f64 v[176:177], v[4:5], v[12:13], -v[14:15]
	ds_load_b128 v[4:7], v2 offset:1136
	s_wait_loadcnt_dscnt 0xa01
	v_mul_f64_e32 v[172:173], v[164:165], v[18:19]
	v_mul_f64_e32 v[18:19], v[166:167], v[18:19]
	scratch_load_b128 v[12:15], off, off offset:512
	v_add_f64_e32 v[168:169], v[168:169], v[170:171]
	s_wait_loadcnt_dscnt 0xa00
	v_mul_f64_e32 v[170:171], v[4:5], v[22:23]
	v_add_f64_e32 v[178:179], v[158:159], v[156:157]
	v_mul_f64_e32 v[22:23], v[6:7], v[22:23]
	ds_load_b128 v[156:159], v2 offset:1152
	v_fmac_f64_e32 v[172:173], v[166:167], v[16:17]
	v_fma_f64 v[164:165], v[164:165], v[16:17], -v[18:19]
	scratch_load_b128 v[16:19], off, off offset:528
	v_add_f64_e32 v[168:169], v[168:169], v[174:175]
	v_fmac_f64_e32 v[170:171], v[6:7], v[20:21]
	v_add_f64_e32 v[166:167], v[178:179], v[176:177]
	;; [unrolled: 18-line block ×9, first 2 shown]
	v_fma_f64 v[176:177], v[4:5], v[128:129], -v[130:131]
	ds_load_b128 v[4:7], v2 offset:1392
	s_wait_loadcnt_dscnt 0xa01
	v_mul_f64_e32 v[170:171], v[164:165], v[134:135]
	v_mul_f64_e32 v[134:135], v[166:167], v[134:135]
	scratch_load_b128 v[128:131], off, off offset:768
	v_add_f64_e32 v[168:169], v[168:169], v[174:175]
	s_wait_loadcnt_dscnt 0xa00
	v_mul_f64_e32 v[174:175], v[4:5], v[138:139]
	v_add_f64_e32 v[178:179], v[158:159], v[156:157]
	v_mul_f64_e32 v[138:139], v[6:7], v[138:139]
	ds_load_b128 v[156:159], v2 offset:1408
	v_fmac_f64_e32 v[170:171], v[166:167], v[132:133]
	v_fma_f64 v[132:133], v[164:165], v[132:133], -v[134:135]
	s_wait_loadcnt_dscnt 0x900
	v_mul_f64_e32 v[166:167], v[156:157], v[142:143]
	v_mul_f64_e32 v[142:143], v[158:159], v[142:143]
	v_add_f64_e32 v[164:165], v[168:169], v[172:173]
	v_fmac_f64_e32 v[174:175], v[6:7], v[136:137]
	v_add_f64_e32 v[134:135], v[178:179], v[176:177]
	v_fma_f64 v[136:137], v[4:5], v[136:137], -v[138:139]
	v_fmac_f64_e32 v[166:167], v[158:159], v[140:141]
	v_fma_f64 v[140:141], v[156:157], v[140:141], -v[142:143]
	v_add_f64_e32 v[164:165], v[164:165], v[170:171]
	v_add_f64_e32 v[138:139], v[134:135], v[132:133]
	ds_load_b128 v[4:7], v2 offset:1424
	ds_load_b128 v[132:135], v2 offset:1440
	s_wait_loadcnt_dscnt 0x801
	v_mul_f64_e32 v[168:169], v[4:5], v[150:151]
	v_mul_f64_e32 v[150:151], v[6:7], v[150:151]
	s_wait_loadcnt_dscnt 0x700
	v_mul_f64_e32 v[142:143], v[132:133], v[162:163]
	v_mul_f64_e32 v[156:157], v[134:135], v[162:163]
	v_add_f64_e32 v[136:137], v[138:139], v[136:137]
	v_add_f64_e32 v[138:139], v[164:165], v[174:175]
	v_fmac_f64_e32 v[168:169], v[6:7], v[148:149]
	v_fma_f64 v[148:149], v[4:5], v[148:149], -v[150:151]
	v_fmac_f64_e32 v[142:143], v[134:135], v[160:161]
	v_fma_f64 v[132:133], v[132:133], v[160:161], -v[156:157]
	v_add_f64_e32 v[140:141], v[136:137], v[140:141]
	v_add_f64_e32 v[150:151], v[138:139], v[166:167]
	ds_load_b128 v[4:7], v2 offset:1456
	ds_load_b128 v[136:139], v2 offset:1472
	s_wait_loadcnt_dscnt 0x601
	v_mul_f64_e32 v[158:159], v[4:5], v[146:147]
	v_mul_f64_e32 v[146:147], v[6:7], v[146:147]
	v_add_f64_e32 v[134:135], v[140:141], v[148:149]
	v_add_f64_e32 v[140:141], v[150:151], v[168:169]
	s_wait_loadcnt_dscnt 0x500
	v_mul_f64_e32 v[148:149], v[136:137], v[10:11]
	v_mul_f64_e32 v[10:11], v[138:139], v[10:11]
	v_fmac_f64_e32 v[158:159], v[6:7], v[144:145]
	v_fma_f64 v[144:145], v[4:5], v[144:145], -v[146:147]
	v_add_f64_e32 v[146:147], v[134:135], v[132:133]
	v_add_f64_e32 v[140:141], v[140:141], v[142:143]
	ds_load_b128 v[4:7], v2 offset:1488
	ds_load_b128 v[132:135], v2 offset:1504
	v_fmac_f64_e32 v[148:149], v[138:139], v[8:9]
	v_fma_f64 v[8:9], v[136:137], v[8:9], -v[10:11]
	s_wait_loadcnt_dscnt 0x401
	v_mul_f64_e32 v[142:143], v[4:5], v[14:15]
	v_mul_f64_e32 v[14:15], v[6:7], v[14:15]
	s_wait_loadcnt_dscnt 0x300
	v_mul_f64_e32 v[138:139], v[132:133], v[18:19]
	v_mul_f64_e32 v[18:19], v[134:135], v[18:19]
	v_add_f64_e32 v[10:11], v[146:147], v[144:145]
	v_add_f64_e32 v[136:137], v[140:141], v[158:159]
	v_fmac_f64_e32 v[142:143], v[6:7], v[12:13]
	v_fma_f64 v[12:13], v[4:5], v[12:13], -v[14:15]
	v_fmac_f64_e32 v[138:139], v[134:135], v[16:17]
	v_fma_f64 v[16:17], v[132:133], v[16:17], -v[18:19]
	v_add_f64_e32 v[14:15], v[10:11], v[8:9]
	v_add_f64_e32 v[136:137], v[136:137], v[148:149]
	ds_load_b128 v[4:7], v2 offset:1520
	ds_load_b128 v[8:11], v2 offset:1536
	s_wait_loadcnt_dscnt 0x201
	v_mul_f64_e32 v[140:141], v[4:5], v[22:23]
	v_mul_f64_e32 v[22:23], v[6:7], v[22:23]
	s_wait_loadcnt_dscnt 0x100
	v_mul_f64_e32 v[18:19], v[8:9], v[126:127]
	v_mul_f64_e32 v[126:127], v[10:11], v[126:127]
	v_add_f64_e32 v[12:13], v[14:15], v[12:13]
	v_add_f64_e32 v[14:15], v[136:137], v[142:143]
	v_fmac_f64_e32 v[140:141], v[6:7], v[20:21]
	v_fma_f64 v[20:21], v[4:5], v[20:21], -v[22:23]
	ds_load_b128 v[4:7], v2 offset:1552
	v_fmac_f64_e32 v[18:19], v[10:11], v[124:125]
	v_fma_f64 v[8:9], v[8:9], v[124:125], -v[126:127]
	v_add_f64_e32 v[12:13], v[12:13], v[16:17]
	v_add_f64_e32 v[14:15], v[14:15], v[138:139]
	s_wait_loadcnt_dscnt 0x0
	v_mul_f64_e32 v[16:17], v[4:5], v[130:131]
	v_mul_f64_e32 v[22:23], v[6:7], v[130:131]
	s_delay_alu instid0(VALU_DEP_4) | instskip(NEXT) | instid1(VALU_DEP_4)
	v_add_f64_e32 v[10:11], v[12:13], v[20:21]
	v_add_f64_e32 v[12:13], v[14:15], v[140:141]
	s_delay_alu instid0(VALU_DEP_4) | instskip(NEXT) | instid1(VALU_DEP_4)
	v_fmac_f64_e32 v[16:17], v[6:7], v[128:129]
	v_fma_f64 v[4:5], v[4:5], v[128:129], -v[22:23]
	s_delay_alu instid0(VALU_DEP_4) | instskip(NEXT) | instid1(VALU_DEP_4)
	v_add_f64_e32 v[6:7], v[10:11], v[8:9]
	v_add_f64_e32 v[8:9], v[12:13], v[18:19]
	s_delay_alu instid0(VALU_DEP_2) | instskip(NEXT) | instid1(VALU_DEP_2)
	v_add_f64_e32 v[4:5], v[6:7], v[4:5]
	v_add_f64_e32 v[6:7], v[8:9], v[16:17]
	s_delay_alu instid0(VALU_DEP_2) | instskip(NEXT) | instid1(VALU_DEP_2)
	v_add_f64_e64 v[4:5], v[152:153], -v[4:5]
	v_add_f64_e64 v[6:7], v[154:155], -v[6:7]
	scratch_store_b128 off, v[4:7], off offset:80
	s_wait_xcnt 0x0
	v_cmpx_lt_u32_e32 4, v1
	s_cbranch_execz .LBB112_299
; %bb.298:
	scratch_load_b128 v[6:9], off, s12
	v_dual_mov_b32 v3, v2 :: v_dual_mov_b32 v4, v2
	v_mov_b32_e32 v5, v2
	scratch_store_b128 off, v[2:5], off offset:64
	s_wait_loadcnt 0x0
	ds_store_b128 v122, v[6:9]
.LBB112_299:
	s_wait_xcnt 0x0
	s_or_b32 exec_lo, exec_lo, s2
	s_wait_storecnt_dscnt 0x0
	s_barrier_signal -1
	s_barrier_wait -1
	s_clause 0x9
	scratch_load_b128 v[4:7], off, off offset:80
	scratch_load_b128 v[8:11], off, off offset:96
	;; [unrolled: 1-line block ×10, first 2 shown]
	ds_load_b128 v[144:147], v2 offset:864
	ds_load_b128 v[152:155], v2 offset:880
	s_clause 0x2
	scratch_load_b128 v[148:151], off, off offset:240
	scratch_load_b128 v[156:159], off, off offset:64
	;; [unrolled: 1-line block ×3, first 2 shown]
	s_mov_b32 s2, exec_lo
	s_wait_loadcnt_dscnt 0xc01
	v_mul_f64_e32 v[164:165], v[146:147], v[6:7]
	v_mul_f64_e32 v[168:169], v[144:145], v[6:7]
	s_wait_loadcnt_dscnt 0xb00
	v_mul_f64_e32 v[170:171], v[152:153], v[10:11]
	v_mul_f64_e32 v[10:11], v[154:155], v[10:11]
	s_delay_alu instid0(VALU_DEP_4) | instskip(NEXT) | instid1(VALU_DEP_4)
	v_fma_f64 v[172:173], v[144:145], v[4:5], -v[164:165]
	v_fmac_f64_e32 v[168:169], v[146:147], v[4:5]
	ds_load_b128 v[4:7], v2 offset:896
	ds_load_b128 v[144:147], v2 offset:912
	scratch_load_b128 v[164:167], off, off offset:272
	v_fmac_f64_e32 v[170:171], v[154:155], v[8:9]
	v_fma_f64 v[152:153], v[152:153], v[8:9], -v[10:11]
	scratch_load_b128 v[8:11], off, off offset:288
	s_wait_loadcnt_dscnt 0xc01
	v_mul_f64_e32 v[174:175], v[4:5], v[14:15]
	v_mul_f64_e32 v[14:15], v[6:7], v[14:15]
	v_add_f64_e32 v[154:155], 0, v[172:173]
	v_add_f64_e32 v[168:169], 0, v[168:169]
	s_wait_loadcnt_dscnt 0xb00
	v_mul_f64_e32 v[172:173], v[144:145], v[18:19]
	v_mul_f64_e32 v[18:19], v[146:147], v[18:19]
	v_fmac_f64_e32 v[174:175], v[6:7], v[12:13]
	v_fma_f64 v[176:177], v[4:5], v[12:13], -v[14:15]
	ds_load_b128 v[4:7], v2 offset:928
	ds_load_b128 v[12:15], v2 offset:944
	v_add_f64_e32 v[178:179], v[154:155], v[152:153]
	v_add_f64_e32 v[168:169], v[168:169], v[170:171]
	scratch_load_b128 v[152:155], off, off offset:304
	v_fmac_f64_e32 v[172:173], v[146:147], v[16:17]
	v_fma_f64 v[144:145], v[144:145], v[16:17], -v[18:19]
	scratch_load_b128 v[16:19], off, off offset:320
	s_wait_loadcnt_dscnt 0xc01
	v_mul_f64_e32 v[170:171], v[4:5], v[22:23]
	v_mul_f64_e32 v[22:23], v[6:7], v[22:23]
	v_add_f64_e32 v[146:147], v[178:179], v[176:177]
	v_add_f64_e32 v[168:169], v[168:169], v[174:175]
	s_wait_loadcnt_dscnt 0xb00
	v_mul_f64_e32 v[174:175], v[12:13], v[126:127]
	v_mul_f64_e32 v[126:127], v[14:15], v[126:127]
	v_fmac_f64_e32 v[170:171], v[6:7], v[20:21]
	v_fma_f64 v[176:177], v[4:5], v[20:21], -v[22:23]
	ds_load_b128 v[4:7], v2 offset:960
	ds_load_b128 v[20:23], v2 offset:976
	v_add_f64_e32 v[178:179], v[146:147], v[144:145]
	v_add_f64_e32 v[168:169], v[168:169], v[172:173]
	scratch_load_b128 v[144:147], off, off offset:336
	s_wait_loadcnt_dscnt 0xb01
	v_mul_f64_e32 v[172:173], v[4:5], v[130:131]
	v_mul_f64_e32 v[130:131], v[6:7], v[130:131]
	v_fmac_f64_e32 v[174:175], v[14:15], v[124:125]
	v_fma_f64 v[124:125], v[12:13], v[124:125], -v[126:127]
	scratch_load_b128 v[12:15], off, off offset:352
	v_add_f64_e32 v[126:127], v[178:179], v[176:177]
	v_add_f64_e32 v[168:169], v[168:169], v[170:171]
	s_wait_loadcnt_dscnt 0xb00
	v_mul_f64_e32 v[170:171], v[20:21], v[134:135]
	v_mul_f64_e32 v[134:135], v[22:23], v[134:135]
	v_fmac_f64_e32 v[172:173], v[6:7], v[128:129]
	v_fma_f64 v[176:177], v[4:5], v[128:129], -v[130:131]
	v_add_f64_e32 v[178:179], v[126:127], v[124:125]
	v_add_f64_e32 v[168:169], v[168:169], v[174:175]
	ds_load_b128 v[4:7], v2 offset:992
	ds_load_b128 v[124:127], v2 offset:1008
	scratch_load_b128 v[128:131], off, off offset:368
	v_fmac_f64_e32 v[170:171], v[22:23], v[132:133]
	v_fma_f64 v[132:133], v[20:21], v[132:133], -v[134:135]
	scratch_load_b128 v[20:23], off, off offset:384
	s_wait_loadcnt_dscnt 0xc01
	v_mul_f64_e32 v[174:175], v[4:5], v[138:139]
	v_mul_f64_e32 v[138:139], v[6:7], v[138:139]
	v_add_f64_e32 v[134:135], v[178:179], v[176:177]
	v_add_f64_e32 v[168:169], v[168:169], v[172:173]
	s_wait_loadcnt_dscnt 0xb00
	v_mul_f64_e32 v[172:173], v[124:125], v[142:143]
	v_mul_f64_e32 v[142:143], v[126:127], v[142:143]
	v_fmac_f64_e32 v[174:175], v[6:7], v[136:137]
	v_fma_f64 v[176:177], v[4:5], v[136:137], -v[138:139]
	v_add_f64_e32 v[178:179], v[134:135], v[132:133]
	v_add_f64_e32 v[168:169], v[168:169], v[170:171]
	ds_load_b128 v[4:7], v2 offset:1024
	ds_load_b128 v[132:135], v2 offset:1040
	scratch_load_b128 v[136:139], off, off offset:400
	v_fmac_f64_e32 v[172:173], v[126:127], v[140:141]
	v_fma_f64 v[140:141], v[124:125], v[140:141], -v[142:143]
	scratch_load_b128 v[124:127], off, off offset:416
	s_wait_loadcnt_dscnt 0xc01
	v_mul_f64_e32 v[170:171], v[4:5], v[150:151]
	v_mul_f64_e32 v[150:151], v[6:7], v[150:151]
	;; [unrolled: 18-line block ×5, first 2 shown]
	v_add_f64_e32 v[162:163], v[178:179], v[176:177]
	v_add_f64_e32 v[168:169], v[168:169], v[174:175]
	s_wait_loadcnt_dscnt 0xa00
	v_mul_f64_e32 v[174:175], v[140:141], v[14:15]
	v_mul_f64_e32 v[14:15], v[142:143], v[14:15]
	v_fmac_f64_e32 v[170:171], v[6:7], v[144:145]
	v_fma_f64 v[176:177], v[4:5], v[144:145], -v[146:147]
	ds_load_b128 v[4:7], v2 offset:1152
	ds_load_b128 v[144:147], v2 offset:1168
	v_add_f64_e32 v[178:179], v[162:163], v[160:161]
	v_add_f64_e32 v[168:169], v[168:169], v[172:173]
	scratch_load_b128 v[160:163], off, off offset:528
	v_fmac_f64_e32 v[174:175], v[142:143], v[12:13]
	v_fma_f64 v[140:141], v[140:141], v[12:13], -v[14:15]
	scratch_load_b128 v[12:15], off, off offset:544
	s_wait_loadcnt_dscnt 0xb01
	v_mul_f64_e32 v[172:173], v[4:5], v[130:131]
	v_mul_f64_e32 v[130:131], v[6:7], v[130:131]
	v_add_f64_e32 v[142:143], v[178:179], v[176:177]
	v_add_f64_e32 v[168:169], v[168:169], v[170:171]
	s_wait_loadcnt_dscnt 0xa00
	v_mul_f64_e32 v[170:171], v[144:145], v[22:23]
	v_mul_f64_e32 v[22:23], v[146:147], v[22:23]
	v_fmac_f64_e32 v[172:173], v[6:7], v[128:129]
	v_fma_f64 v[176:177], v[4:5], v[128:129], -v[130:131]
	ds_load_b128 v[4:7], v2 offset:1184
	ds_load_b128 v[128:131], v2 offset:1200
	v_add_f64_e32 v[178:179], v[142:143], v[140:141]
	v_add_f64_e32 v[168:169], v[168:169], v[174:175]
	scratch_load_b128 v[140:143], off, off offset:560
	s_wait_loadcnt_dscnt 0xa01
	v_mul_f64_e32 v[174:175], v[4:5], v[138:139]
	v_mul_f64_e32 v[138:139], v[6:7], v[138:139]
	v_fmac_f64_e32 v[170:171], v[146:147], v[20:21]
	v_fma_f64 v[144:145], v[144:145], v[20:21], -v[22:23]
	scratch_load_b128 v[20:23], off, off offset:576
	v_add_f64_e32 v[146:147], v[178:179], v[176:177]
	v_add_f64_e32 v[168:169], v[168:169], v[172:173]
	s_wait_loadcnt_dscnt 0xa00
	v_mul_f64_e32 v[172:173], v[128:129], v[126:127]
	v_mul_f64_e32 v[126:127], v[130:131], v[126:127]
	v_fmac_f64_e32 v[174:175], v[6:7], v[136:137]
	v_fma_f64 v[176:177], v[4:5], v[136:137], -v[138:139]
	ds_load_b128 v[4:7], v2 offset:1216
	ds_load_b128 v[136:139], v2 offset:1232
	v_add_f64_e32 v[178:179], v[146:147], v[144:145]
	v_add_f64_e32 v[168:169], v[168:169], v[170:171]
	scratch_load_b128 v[144:147], off, off offset:592
	s_wait_loadcnt_dscnt 0xa01
	v_mul_f64_e32 v[170:171], v[4:5], v[150:151]
	v_mul_f64_e32 v[150:151], v[6:7], v[150:151]
	v_fmac_f64_e32 v[172:173], v[130:131], v[124:125]
	v_fma_f64 v[128:129], v[128:129], v[124:125], -v[126:127]
	scratch_load_b128 v[124:127], off, off offset:608
	v_add_f64_e32 v[130:131], v[178:179], v[176:177]
	v_add_f64_e32 v[168:169], v[168:169], v[174:175]
	s_wait_loadcnt_dscnt 0xa00
	v_mul_f64_e32 v[174:175], v[136:137], v[134:135]
	v_mul_f64_e32 v[134:135], v[138:139], v[134:135]
	v_fmac_f64_e32 v[170:171], v[6:7], v[148:149]
	v_fma_f64 v[176:177], v[4:5], v[148:149], -v[150:151]
	v_add_f64_e32 v[178:179], v[130:131], v[128:129]
	v_add_f64_e32 v[168:169], v[168:169], v[172:173]
	ds_load_b128 v[4:7], v2 offset:1248
	ds_load_b128 v[128:131], v2 offset:1264
	scratch_load_b128 v[148:151], off, off offset:624
	v_fmac_f64_e32 v[174:175], v[138:139], v[132:133]
	v_fma_f64 v[136:137], v[136:137], v[132:133], -v[134:135]
	scratch_load_b128 v[132:135], off, off offset:640
	s_wait_loadcnt_dscnt 0xb01
	v_mul_f64_e32 v[172:173], v[4:5], v[166:167]
	v_mul_f64_e32 v[166:167], v[6:7], v[166:167]
	v_add_f64_e32 v[138:139], v[178:179], v[176:177]
	v_add_f64_e32 v[168:169], v[168:169], v[170:171]
	s_wait_loadcnt_dscnt 0xa00
	v_mul_f64_e32 v[170:171], v[128:129], v[10:11]
	v_mul_f64_e32 v[10:11], v[130:131], v[10:11]
	v_fmac_f64_e32 v[172:173], v[6:7], v[164:165]
	v_fma_f64 v[176:177], v[4:5], v[164:165], -v[166:167]
	v_add_f64_e32 v[178:179], v[138:139], v[136:137]
	v_add_f64_e32 v[168:169], v[168:169], v[174:175]
	ds_load_b128 v[4:7], v2 offset:1280
	ds_load_b128 v[136:139], v2 offset:1296
	scratch_load_b128 v[164:167], off, off offset:656
	v_fmac_f64_e32 v[170:171], v[130:131], v[8:9]
	v_fma_f64 v[128:129], v[128:129], v[8:9], -v[10:11]
	scratch_load_b128 v[8:11], off, off offset:672
	s_wait_loadcnt_dscnt 0xb01
	v_mul_f64_e32 v[174:175], v[4:5], v[154:155]
	v_mul_f64_e32 v[154:155], v[6:7], v[154:155]
	v_add_f64_e32 v[130:131], v[178:179], v[176:177]
	v_add_f64_e32 v[168:169], v[168:169], v[172:173]
	s_wait_loadcnt_dscnt 0xa00
	v_mul_f64_e32 v[172:173], v[136:137], v[18:19]
	v_mul_f64_e32 v[18:19], v[138:139], v[18:19]
	v_fmac_f64_e32 v[174:175], v[6:7], v[152:153]
	v_fma_f64 v[176:177], v[4:5], v[152:153], -v[154:155]
	v_add_f64_e32 v[178:179], v[130:131], v[128:129]
	v_add_f64_e32 v[168:169], v[168:169], v[170:171]
	ds_load_b128 v[4:7], v2 offset:1312
	ds_load_b128 v[128:131], v2 offset:1328
	scratch_load_b128 v[152:155], off, off offset:688
	v_fmac_f64_e32 v[172:173], v[138:139], v[16:17]
	v_fma_f64 v[136:137], v[136:137], v[16:17], -v[18:19]
	scratch_load_b128 v[16:19], off, off offset:704
	s_wait_loadcnt_dscnt 0xb01
	v_mul_f64_e32 v[170:171], v[4:5], v[162:163]
	v_mul_f64_e32 v[162:163], v[6:7], v[162:163]
	v_add_f64_e32 v[138:139], v[178:179], v[176:177]
	v_add_f64_e32 v[168:169], v[168:169], v[174:175]
	s_wait_loadcnt_dscnt 0xa00
	v_mul_f64_e32 v[174:175], v[128:129], v[14:15]
	v_mul_f64_e32 v[14:15], v[130:131], v[14:15]
	v_fmac_f64_e32 v[170:171], v[6:7], v[160:161]
	v_fma_f64 v[176:177], v[4:5], v[160:161], -v[162:163]
	v_add_f64_e32 v[178:179], v[138:139], v[136:137]
	v_add_f64_e32 v[168:169], v[168:169], v[172:173]
	ds_load_b128 v[4:7], v2 offset:1344
	ds_load_b128 v[136:139], v2 offset:1360
	scratch_load_b128 v[160:163], off, off offset:720
	v_fmac_f64_e32 v[174:175], v[130:131], v[12:13]
	v_fma_f64 v[128:129], v[128:129], v[12:13], -v[14:15]
	scratch_load_b128 v[12:15], off, off offset:736
	s_wait_loadcnt_dscnt 0xb01
	v_mul_f64_e32 v[172:173], v[4:5], v[142:143]
	v_mul_f64_e32 v[142:143], v[6:7], v[142:143]
	v_add_f64_e32 v[130:131], v[178:179], v[176:177]
	v_add_f64_e32 v[168:169], v[168:169], v[170:171]
	s_wait_loadcnt_dscnt 0xa00
	v_mul_f64_e32 v[170:171], v[136:137], v[22:23]
	v_mul_f64_e32 v[22:23], v[138:139], v[22:23]
	v_fmac_f64_e32 v[172:173], v[6:7], v[140:141]
	v_fma_f64 v[176:177], v[4:5], v[140:141], -v[142:143]
	v_add_f64_e32 v[178:179], v[130:131], v[128:129]
	v_add_f64_e32 v[168:169], v[168:169], v[174:175]
	ds_load_b128 v[4:7], v2 offset:1376
	ds_load_b128 v[128:131], v2 offset:1392
	scratch_load_b128 v[140:143], off, off offset:752
	v_fmac_f64_e32 v[170:171], v[138:139], v[20:21]
	v_fma_f64 v[136:137], v[136:137], v[20:21], -v[22:23]
	scratch_load_b128 v[20:23], off, off offset:768
	s_wait_loadcnt_dscnt 0xb01
	v_mul_f64_e32 v[174:175], v[4:5], v[146:147]
	v_mul_f64_e32 v[146:147], v[6:7], v[146:147]
	v_add_f64_e32 v[138:139], v[178:179], v[176:177]
	v_add_f64_e32 v[168:169], v[168:169], v[172:173]
	s_wait_loadcnt_dscnt 0xa00
	v_mul_f64_e32 v[172:173], v[128:129], v[126:127]
	v_mul_f64_e32 v[126:127], v[130:131], v[126:127]
	v_fmac_f64_e32 v[174:175], v[6:7], v[144:145]
	v_fma_f64 v[144:145], v[4:5], v[144:145], -v[146:147]
	v_add_f64_e32 v[146:147], v[138:139], v[136:137]
	v_add_f64_e32 v[168:169], v[168:169], v[170:171]
	ds_load_b128 v[4:7], v2 offset:1408
	ds_load_b128 v[136:139], v2 offset:1424
	v_fmac_f64_e32 v[172:173], v[130:131], v[124:125]
	v_fma_f64 v[124:125], v[128:129], v[124:125], -v[126:127]
	s_wait_loadcnt_dscnt 0x901
	v_mul_f64_e32 v[170:171], v[4:5], v[150:151]
	v_mul_f64_e32 v[150:151], v[6:7], v[150:151]
	s_wait_loadcnt_dscnt 0x800
	v_mul_f64_e32 v[130:131], v[136:137], v[134:135]
	v_mul_f64_e32 v[134:135], v[138:139], v[134:135]
	v_add_f64_e32 v[126:127], v[146:147], v[144:145]
	v_add_f64_e32 v[128:129], v[168:169], v[174:175]
	v_fmac_f64_e32 v[170:171], v[6:7], v[148:149]
	v_fma_f64 v[144:145], v[4:5], v[148:149], -v[150:151]
	v_fmac_f64_e32 v[130:131], v[138:139], v[132:133]
	v_fma_f64 v[132:133], v[136:137], v[132:133], -v[134:135]
	v_add_f64_e32 v[146:147], v[126:127], v[124:125]
	v_add_f64_e32 v[128:129], v[128:129], v[172:173]
	ds_load_b128 v[4:7], v2 offset:1440
	ds_load_b128 v[124:127], v2 offset:1456
	s_wait_loadcnt_dscnt 0x701
	v_mul_f64_e32 v[148:149], v[4:5], v[166:167]
	v_mul_f64_e32 v[150:151], v[6:7], v[166:167]
	s_wait_loadcnt_dscnt 0x600
	v_mul_f64_e32 v[136:137], v[124:125], v[10:11]
	v_mul_f64_e32 v[10:11], v[126:127], v[10:11]
	v_add_f64_e32 v[134:135], v[146:147], v[144:145]
	v_add_f64_e32 v[128:129], v[128:129], v[170:171]
	v_fmac_f64_e32 v[148:149], v[6:7], v[164:165]
	v_fma_f64 v[138:139], v[4:5], v[164:165], -v[150:151]
	v_fmac_f64_e32 v[136:137], v[126:127], v[8:9]
	v_fma_f64 v[8:9], v[124:125], v[8:9], -v[10:11]
	v_add_f64_e32 v[132:133], v[134:135], v[132:133]
	v_add_f64_e32 v[134:135], v[128:129], v[130:131]
	ds_load_b128 v[4:7], v2 offset:1472
	ds_load_b128 v[128:131], v2 offset:1488
	;; [unrolled: 16-line block ×4, first 2 shown]
	s_wait_loadcnt_dscnt 0x101
	v_mul_f64_e32 v[2:3], v[4:5], v[142:143]
	v_mul_f64_e32 v[126:127], v[6:7], v[142:143]
	v_add_f64_e32 v[10:11], v[18:19], v[132:133]
	v_add_f64_e32 v[12:13], v[124:125], v[136:137]
	s_wait_loadcnt_dscnt 0x0
	v_mul_f64_e32 v[18:19], v[14:15], v[22:23]
	v_mul_f64_e32 v[22:23], v[16:17], v[22:23]
	v_fmac_f64_e32 v[2:3], v[6:7], v[140:141]
	v_fma_f64 v[4:5], v[4:5], v[140:141], -v[126:127]
	v_add_f64_e32 v[6:7], v[10:11], v[8:9]
	v_add_f64_e32 v[8:9], v[12:13], v[128:129]
	v_fmac_f64_e32 v[18:19], v[16:17], v[20:21]
	v_fma_f64 v[10:11], v[14:15], v[20:21], -v[22:23]
	s_delay_alu instid0(VALU_DEP_4) | instskip(NEXT) | instid1(VALU_DEP_4)
	v_add_f64_e32 v[4:5], v[6:7], v[4:5]
	v_add_f64_e32 v[2:3], v[8:9], v[2:3]
	s_delay_alu instid0(VALU_DEP_2) | instskip(NEXT) | instid1(VALU_DEP_2)
	v_add_f64_e32 v[4:5], v[4:5], v[10:11]
	v_add_f64_e32 v[6:7], v[2:3], v[18:19]
	s_delay_alu instid0(VALU_DEP_2) | instskip(NEXT) | instid1(VALU_DEP_2)
	v_add_f64_e64 v[2:3], v[156:157], -v[4:5]
	v_add_f64_e64 v[4:5], v[158:159], -v[6:7]
	scratch_store_b128 off, v[2:5], off offset:64
	s_wait_xcnt 0x0
	v_cmpx_lt_u32_e32 3, v1
	s_cbranch_execz .LBB112_301
; %bb.300:
	scratch_load_b128 v[2:5], off, s14
	v_mov_b32_e32 v6, 0
	s_delay_alu instid0(VALU_DEP_1)
	v_dual_mov_b32 v7, v6 :: v_dual_mov_b32 v8, v6
	v_mov_b32_e32 v9, v6
	scratch_store_b128 off, v[6:9], off offset:48
	s_wait_loadcnt 0x0
	ds_store_b128 v122, v[2:5]
.LBB112_301:
	s_wait_xcnt 0x0
	s_or_b32 exec_lo, exec_lo, s2
	s_wait_storecnt_dscnt 0x0
	s_barrier_signal -1
	s_barrier_wait -1
	s_clause 0x9
	scratch_load_b128 v[4:7], off, off offset:64
	scratch_load_b128 v[8:11], off, off offset:80
	;; [unrolled: 1-line block ×10, first 2 shown]
	v_mov_b32_e32 v2, 0
	s_mov_b32 s2, exec_lo
	ds_load_b128 v[144:147], v2 offset:848
	s_clause 0x2
	scratch_load_b128 v[148:151], off, off offset:224
	scratch_load_b128 v[152:155], off, off offset:48
	scratch_load_b128 v[160:163], off, off offset:240
	s_wait_loadcnt_dscnt 0xc00
	v_mul_f64_e32 v[164:165], v[146:147], v[6:7]
	v_mul_f64_e32 v[168:169], v[144:145], v[6:7]
	ds_load_b128 v[156:159], v2 offset:864
	v_fma_f64 v[172:173], v[144:145], v[4:5], -v[164:165]
	v_fmac_f64_e32 v[168:169], v[146:147], v[4:5]
	ds_load_b128 v[4:7], v2 offset:880
	s_wait_loadcnt_dscnt 0xb01
	v_mul_f64_e32 v[170:171], v[156:157], v[10:11]
	v_mul_f64_e32 v[10:11], v[158:159], v[10:11]
	scratch_load_b128 v[144:147], off, off offset:256
	ds_load_b128 v[164:167], v2 offset:896
	s_wait_loadcnt_dscnt 0xb01
	v_mul_f64_e32 v[174:175], v[4:5], v[14:15]
	v_mul_f64_e32 v[14:15], v[6:7], v[14:15]
	v_add_f64_e32 v[168:169], 0, v[168:169]
	v_fmac_f64_e32 v[170:171], v[158:159], v[8:9]
	v_fma_f64 v[156:157], v[156:157], v[8:9], -v[10:11]
	v_add_f64_e32 v[158:159], 0, v[172:173]
	scratch_load_b128 v[8:11], off, off offset:272
	v_fmac_f64_e32 v[174:175], v[6:7], v[12:13]
	v_fma_f64 v[176:177], v[4:5], v[12:13], -v[14:15]
	ds_load_b128 v[4:7], v2 offset:912
	s_wait_loadcnt_dscnt 0xb01
	v_mul_f64_e32 v[172:173], v[164:165], v[18:19]
	v_mul_f64_e32 v[18:19], v[166:167], v[18:19]
	scratch_load_b128 v[12:15], off, off offset:288
	v_add_f64_e32 v[168:169], v[168:169], v[170:171]
	v_add_f64_e32 v[178:179], v[158:159], v[156:157]
	ds_load_b128 v[156:159], v2 offset:928
	s_wait_loadcnt_dscnt 0xb01
	v_mul_f64_e32 v[170:171], v[4:5], v[22:23]
	v_mul_f64_e32 v[22:23], v[6:7], v[22:23]
	v_fmac_f64_e32 v[172:173], v[166:167], v[16:17]
	v_fma_f64 v[164:165], v[164:165], v[16:17], -v[18:19]
	scratch_load_b128 v[16:19], off, off offset:304
	v_add_f64_e32 v[168:169], v[168:169], v[174:175]
	v_add_f64_e32 v[166:167], v[178:179], v[176:177]
	v_fmac_f64_e32 v[170:171], v[6:7], v[20:21]
	v_fma_f64 v[176:177], v[4:5], v[20:21], -v[22:23]
	ds_load_b128 v[4:7], v2 offset:944
	s_wait_loadcnt_dscnt 0xb01
	v_mul_f64_e32 v[174:175], v[156:157], v[126:127]
	v_mul_f64_e32 v[126:127], v[158:159], v[126:127]
	scratch_load_b128 v[20:23], off, off offset:320
	v_add_f64_e32 v[168:169], v[168:169], v[172:173]
	s_wait_loadcnt_dscnt 0xb00
	v_mul_f64_e32 v[172:173], v[4:5], v[130:131]
	v_add_f64_e32 v[178:179], v[166:167], v[164:165]
	v_mul_f64_e32 v[130:131], v[6:7], v[130:131]
	ds_load_b128 v[164:167], v2 offset:960
	v_fmac_f64_e32 v[174:175], v[158:159], v[124:125]
	v_fma_f64 v[156:157], v[156:157], v[124:125], -v[126:127]
	scratch_load_b128 v[124:127], off, off offset:336
	v_add_f64_e32 v[168:169], v[168:169], v[170:171]
	v_fmac_f64_e32 v[172:173], v[6:7], v[128:129]
	v_add_f64_e32 v[158:159], v[178:179], v[176:177]
	v_fma_f64 v[176:177], v[4:5], v[128:129], -v[130:131]
	ds_load_b128 v[4:7], v2 offset:976
	s_wait_loadcnt_dscnt 0xb01
	v_mul_f64_e32 v[170:171], v[164:165], v[134:135]
	v_mul_f64_e32 v[134:135], v[166:167], v[134:135]
	scratch_load_b128 v[128:131], off, off offset:352
	v_add_f64_e32 v[168:169], v[168:169], v[174:175]
	s_wait_loadcnt_dscnt 0xb00
	v_mul_f64_e32 v[174:175], v[4:5], v[138:139]
	v_add_f64_e32 v[178:179], v[158:159], v[156:157]
	v_mul_f64_e32 v[138:139], v[6:7], v[138:139]
	ds_load_b128 v[156:159], v2 offset:992
	v_fmac_f64_e32 v[170:171], v[166:167], v[132:133]
	v_fma_f64 v[164:165], v[164:165], v[132:133], -v[134:135]
	scratch_load_b128 v[132:135], off, off offset:368
	v_add_f64_e32 v[168:169], v[168:169], v[172:173]
	v_fmac_f64_e32 v[174:175], v[6:7], v[136:137]
	v_add_f64_e32 v[166:167], v[178:179], v[176:177]
	;; [unrolled: 18-line block ×3, first 2 shown]
	v_fma_f64 v[176:177], v[4:5], v[148:149], -v[150:151]
	ds_load_b128 v[4:7], v2 offset:1040
	s_wait_loadcnt_dscnt 0xa01
	v_mul_f64_e32 v[174:175], v[164:165], v[162:163]
	v_mul_f64_e32 v[162:163], v[166:167], v[162:163]
	scratch_load_b128 v[148:151], off, off offset:416
	v_add_f64_e32 v[168:169], v[168:169], v[172:173]
	v_add_f64_e32 v[178:179], v[158:159], v[156:157]
	s_wait_loadcnt_dscnt 0xa00
	v_mul_f64_e32 v[172:173], v[4:5], v[146:147]
	v_mul_f64_e32 v[146:147], v[6:7], v[146:147]
	v_fmac_f64_e32 v[174:175], v[166:167], v[160:161]
	v_fma_f64 v[164:165], v[164:165], v[160:161], -v[162:163]
	ds_load_b128 v[156:159], v2 offset:1056
	scratch_load_b128 v[160:163], off, off offset:432
	v_add_f64_e32 v[168:169], v[168:169], v[170:171]
	v_add_f64_e32 v[166:167], v[178:179], v[176:177]
	v_fmac_f64_e32 v[172:173], v[6:7], v[144:145]
	v_fma_f64 v[176:177], v[4:5], v[144:145], -v[146:147]
	ds_load_b128 v[4:7], v2 offset:1072
	s_wait_loadcnt_dscnt 0xa01
	v_mul_f64_e32 v[170:171], v[156:157], v[10:11]
	v_mul_f64_e32 v[10:11], v[158:159], v[10:11]
	scratch_load_b128 v[144:147], off, off offset:448
	v_add_f64_e32 v[168:169], v[168:169], v[174:175]
	s_wait_loadcnt_dscnt 0xa00
	v_mul_f64_e32 v[174:175], v[4:5], v[14:15]
	v_add_f64_e32 v[178:179], v[166:167], v[164:165]
	v_mul_f64_e32 v[14:15], v[6:7], v[14:15]
	ds_load_b128 v[164:167], v2 offset:1088
	v_fmac_f64_e32 v[170:171], v[158:159], v[8:9]
	v_fma_f64 v[156:157], v[156:157], v[8:9], -v[10:11]
	scratch_load_b128 v[8:11], off, off offset:464
	v_add_f64_e32 v[168:169], v[168:169], v[172:173]
	v_fmac_f64_e32 v[174:175], v[6:7], v[12:13]
	v_add_f64_e32 v[158:159], v[178:179], v[176:177]
	v_fma_f64 v[176:177], v[4:5], v[12:13], -v[14:15]
	ds_load_b128 v[4:7], v2 offset:1104
	s_wait_loadcnt_dscnt 0xa01
	v_mul_f64_e32 v[172:173], v[164:165], v[18:19]
	v_mul_f64_e32 v[18:19], v[166:167], v[18:19]
	scratch_load_b128 v[12:15], off, off offset:480
	v_add_f64_e32 v[168:169], v[168:169], v[170:171]
	s_wait_loadcnt_dscnt 0xa00
	v_mul_f64_e32 v[170:171], v[4:5], v[22:23]
	v_add_f64_e32 v[178:179], v[158:159], v[156:157]
	v_mul_f64_e32 v[22:23], v[6:7], v[22:23]
	ds_load_b128 v[156:159], v2 offset:1120
	v_fmac_f64_e32 v[172:173], v[166:167], v[16:17]
	v_fma_f64 v[164:165], v[164:165], v[16:17], -v[18:19]
	scratch_load_b128 v[16:19], off, off offset:496
	v_add_f64_e32 v[168:169], v[168:169], v[174:175]
	v_fmac_f64_e32 v[170:171], v[6:7], v[20:21]
	v_add_f64_e32 v[166:167], v[178:179], v[176:177]
	;; [unrolled: 18-line block ×10, first 2 shown]
	v_fma_f64 v[176:177], v[4:5], v[136:137], -v[138:139]
	ds_load_b128 v[4:7], v2 offset:1392
	s_wait_loadcnt_dscnt 0xa01
	v_mul_f64_e32 v[172:173], v[156:157], v[142:143]
	v_mul_f64_e32 v[142:143], v[158:159], v[142:143]
	scratch_load_b128 v[136:139], off, off offset:768
	v_add_f64_e32 v[168:169], v[168:169], v[170:171]
	s_wait_loadcnt_dscnt 0xa00
	v_mul_f64_e32 v[170:171], v[4:5], v[150:151]
	v_add_f64_e32 v[178:179], v[166:167], v[164:165]
	v_mul_f64_e32 v[150:151], v[6:7], v[150:151]
	ds_load_b128 v[164:167], v2 offset:1408
	v_fmac_f64_e32 v[172:173], v[158:159], v[140:141]
	v_fma_f64 v[140:141], v[156:157], v[140:141], -v[142:143]
	s_wait_loadcnt_dscnt 0x900
	v_mul_f64_e32 v[158:159], v[164:165], v[162:163]
	v_mul_f64_e32 v[162:163], v[166:167], v[162:163]
	v_add_f64_e32 v[156:157], v[168:169], v[174:175]
	v_fmac_f64_e32 v[170:171], v[6:7], v[148:149]
	v_add_f64_e32 v[142:143], v[178:179], v[176:177]
	v_fma_f64 v[148:149], v[4:5], v[148:149], -v[150:151]
	v_fmac_f64_e32 v[158:159], v[166:167], v[160:161]
	v_fma_f64 v[160:161], v[164:165], v[160:161], -v[162:163]
	v_add_f64_e32 v[156:157], v[156:157], v[172:173]
	v_add_f64_e32 v[150:151], v[142:143], v[140:141]
	ds_load_b128 v[4:7], v2 offset:1424
	ds_load_b128 v[140:143], v2 offset:1440
	s_wait_loadcnt_dscnt 0x801
	v_mul_f64_e32 v[168:169], v[4:5], v[146:147]
	v_mul_f64_e32 v[146:147], v[6:7], v[146:147]
	v_add_f64_e32 v[148:149], v[150:151], v[148:149]
	v_add_f64_e32 v[150:151], v[156:157], v[170:171]
	s_wait_loadcnt_dscnt 0x700
	v_mul_f64_e32 v[156:157], v[140:141], v[10:11]
	v_mul_f64_e32 v[10:11], v[142:143], v[10:11]
	v_fmac_f64_e32 v[168:169], v[6:7], v[144:145]
	v_fma_f64 v[162:163], v[4:5], v[144:145], -v[146:147]
	ds_load_b128 v[4:7], v2 offset:1456
	ds_load_b128 v[144:147], v2 offset:1472
	v_add_f64_e32 v[148:149], v[148:149], v[160:161]
	v_add_f64_e32 v[150:151], v[150:151], v[158:159]
	v_fmac_f64_e32 v[156:157], v[142:143], v[8:9]
	v_fma_f64 v[8:9], v[140:141], v[8:9], -v[10:11]
	s_wait_loadcnt_dscnt 0x601
	v_mul_f64_e32 v[158:159], v[4:5], v[14:15]
	v_mul_f64_e32 v[14:15], v[6:7], v[14:15]
	s_wait_loadcnt_dscnt 0x500
	v_mul_f64_e32 v[142:143], v[144:145], v[18:19]
	v_mul_f64_e32 v[18:19], v[146:147], v[18:19]
	v_add_f64_e32 v[10:11], v[148:149], v[162:163]
	v_add_f64_e32 v[140:141], v[150:151], v[168:169]
	v_fmac_f64_e32 v[158:159], v[6:7], v[12:13]
	v_fma_f64 v[12:13], v[4:5], v[12:13], -v[14:15]
	v_fmac_f64_e32 v[142:143], v[146:147], v[16:17]
	v_fma_f64 v[16:17], v[144:145], v[16:17], -v[18:19]
	v_add_f64_e32 v[14:15], v[10:11], v[8:9]
	v_add_f64_e32 v[140:141], v[140:141], v[156:157]
	ds_load_b128 v[4:7], v2 offset:1488
	ds_load_b128 v[8:11], v2 offset:1504
	s_wait_loadcnt_dscnt 0x401
	v_mul_f64_e32 v[148:149], v[4:5], v[22:23]
	v_mul_f64_e32 v[22:23], v[6:7], v[22:23]
	s_wait_loadcnt_dscnt 0x300
	v_mul_f64_e32 v[18:19], v[8:9], v[126:127]
	v_mul_f64_e32 v[126:127], v[10:11], v[126:127]
	v_add_f64_e32 v[12:13], v[14:15], v[12:13]
	v_add_f64_e32 v[14:15], v[140:141], v[158:159]
	v_fmac_f64_e32 v[148:149], v[6:7], v[20:21]
	v_fma_f64 v[20:21], v[4:5], v[20:21], -v[22:23]
	v_fmac_f64_e32 v[18:19], v[10:11], v[124:125]
	v_fma_f64 v[8:9], v[8:9], v[124:125], -v[126:127]
	v_add_f64_e32 v[16:17], v[12:13], v[16:17]
	v_add_f64_e32 v[22:23], v[14:15], v[142:143]
	ds_load_b128 v[4:7], v2 offset:1520
	ds_load_b128 v[12:15], v2 offset:1536
	s_wait_loadcnt_dscnt 0x201
	v_mul_f64_e32 v[140:141], v[4:5], v[130:131]
	v_mul_f64_e32 v[130:131], v[6:7], v[130:131]
	v_add_f64_e32 v[10:11], v[16:17], v[20:21]
	v_add_f64_e32 v[16:17], v[22:23], v[148:149]
	s_wait_loadcnt_dscnt 0x100
	v_mul_f64_e32 v[20:21], v[12:13], v[134:135]
	v_mul_f64_e32 v[22:23], v[14:15], v[134:135]
	v_fmac_f64_e32 v[140:141], v[6:7], v[128:129]
	v_fma_f64 v[124:125], v[4:5], v[128:129], -v[130:131]
	ds_load_b128 v[4:7], v2 offset:1552
	v_add_f64_e32 v[8:9], v[10:11], v[8:9]
	v_add_f64_e32 v[10:11], v[16:17], v[18:19]
	v_fmac_f64_e32 v[20:21], v[14:15], v[132:133]
	v_fma_f64 v[12:13], v[12:13], v[132:133], -v[22:23]
	s_wait_loadcnt_dscnt 0x0
	v_mul_f64_e32 v[16:17], v[4:5], v[138:139]
	v_mul_f64_e32 v[18:19], v[6:7], v[138:139]
	v_add_f64_e32 v[8:9], v[8:9], v[124:125]
	v_add_f64_e32 v[10:11], v[10:11], v[140:141]
	s_delay_alu instid0(VALU_DEP_4) | instskip(NEXT) | instid1(VALU_DEP_4)
	v_fmac_f64_e32 v[16:17], v[6:7], v[136:137]
	v_fma_f64 v[4:5], v[4:5], v[136:137], -v[18:19]
	s_delay_alu instid0(VALU_DEP_4) | instskip(NEXT) | instid1(VALU_DEP_4)
	v_add_f64_e32 v[6:7], v[8:9], v[12:13]
	v_add_f64_e32 v[8:9], v[10:11], v[20:21]
	s_delay_alu instid0(VALU_DEP_2) | instskip(NEXT) | instid1(VALU_DEP_2)
	v_add_f64_e32 v[4:5], v[6:7], v[4:5]
	v_add_f64_e32 v[6:7], v[8:9], v[16:17]
	s_delay_alu instid0(VALU_DEP_2) | instskip(NEXT) | instid1(VALU_DEP_2)
	v_add_f64_e64 v[4:5], v[152:153], -v[4:5]
	v_add_f64_e64 v[6:7], v[154:155], -v[6:7]
	scratch_store_b128 off, v[4:7], off offset:48
	s_wait_xcnt 0x0
	v_cmpx_lt_u32_e32 2, v1
	s_cbranch_execz .LBB112_303
; %bb.302:
	scratch_load_b128 v[6:9], off, s16
	v_dual_mov_b32 v3, v2 :: v_dual_mov_b32 v4, v2
	v_mov_b32_e32 v5, v2
	scratch_store_b128 off, v[2:5], off offset:32
	s_wait_loadcnt 0x0
	ds_store_b128 v122, v[6:9]
.LBB112_303:
	s_wait_xcnt 0x0
	s_or_b32 exec_lo, exec_lo, s2
	s_wait_storecnt_dscnt 0x0
	s_barrier_signal -1
	s_barrier_wait -1
	s_clause 0x9
	scratch_load_b128 v[4:7], off, off offset:48
	scratch_load_b128 v[8:11], off, off offset:64
	;; [unrolled: 1-line block ×10, first 2 shown]
	ds_load_b128 v[144:147], v2 offset:832
	ds_load_b128 v[152:155], v2 offset:848
	s_clause 0x2
	scratch_load_b128 v[148:151], off, off offset:208
	scratch_load_b128 v[156:159], off, off offset:32
	;; [unrolled: 1-line block ×3, first 2 shown]
	s_mov_b32 s2, exec_lo
	v_ashrrev_i32_e32 v29, 31, v28
	v_ashrrev_i32_e32 v33, 31, v32
	;; [unrolled: 1-line block ×3, first 2 shown]
	v_dual_ashrrev_i32 v41, 31, v40 :: v_dual_ashrrev_i32 v31, 31, v30
	v_dual_ashrrev_i32 v35, 31, v34 :: v_dual_ashrrev_i32 v45, 31, v44
	;; [unrolled: 1-line block ×8, first 2 shown]
	v_ashrrev_i32_e32 v73, 31, v72
	v_ashrrev_i32_e32 v77, 31, v76
	v_dual_ashrrev_i32 v81, 31, v80 :: v_dual_ashrrev_i32 v63, 31, v62
	v_ashrrev_i32_e32 v67, 31, v66
	v_ashrrev_i32_e32 v71, 31, v70
	v_dual_ashrrev_i32 v75, 31, v74 :: v_dual_ashrrev_i32 v85, 31, v84
	v_dual_ashrrev_i32 v89, 31, v88 :: v_dual_ashrrev_i32 v79, 31, v78
	;; [unrolled: 1-line block ×3, first 2 shown]
	v_ashrrev_i32_e32 v97, 31, v96
	v_dual_ashrrev_i32 v101, 31, v100 :: v_dual_ashrrev_i32 v87, 31, v86
	v_dual_ashrrev_i32 v105, 31, v104 :: v_dual_ashrrev_i32 v91, 31, v90
	v_ashrrev_i32_e32 v109, 31, v108
	v_dual_ashrrev_i32 v113, 31, v112 :: v_dual_ashrrev_i32 v95, 31, v94
	v_ashrrev_i32_e32 v99, 31, v98
	v_dual_ashrrev_i32 v103, 31, v102 :: v_dual_ashrrev_i32 v117, 31, v116
	v_dual_ashrrev_i32 v121, 31, v120 :: v_dual_ashrrev_i32 v107, 31, v106
	v_ashrrev_i32_e32 v111, 31, v110
	v_ashrrev_i32_e32 v115, 31, v114
	;; [unrolled: 1-line block ×3, first 2 shown]
	s_wait_loadcnt_dscnt 0xc01
	v_mul_f64_e32 v[164:165], v[146:147], v[6:7]
	v_mul_f64_e32 v[168:169], v[144:145], v[6:7]
	s_wait_loadcnt_dscnt 0xb00
	v_mul_f64_e32 v[170:171], v[152:153], v[10:11]
	v_mul_f64_e32 v[10:11], v[154:155], v[10:11]
	s_delay_alu instid0(VALU_DEP_4) | instskip(NEXT) | instid1(VALU_DEP_4)
	v_fma_f64 v[172:173], v[144:145], v[4:5], -v[164:165]
	v_fmac_f64_e32 v[168:169], v[146:147], v[4:5]
	ds_load_b128 v[4:7], v2 offset:864
	ds_load_b128 v[164:167], v2 offset:880
	scratch_load_b128 v[144:147], off, off offset:240
	v_fmac_f64_e32 v[170:171], v[154:155], v[8:9]
	v_fma_f64 v[152:153], v[152:153], v[8:9], -v[10:11]
	scratch_load_b128 v[8:11], off, off offset:256
	s_wait_loadcnt_dscnt 0xc01
	v_mul_f64_e32 v[174:175], v[4:5], v[14:15]
	v_mul_f64_e32 v[14:15], v[6:7], v[14:15]
	v_add_f64_e32 v[154:155], 0, v[172:173]
	v_add_f64_e32 v[168:169], 0, v[168:169]
	s_wait_loadcnt_dscnt 0xb00
	v_mul_f64_e32 v[172:173], v[164:165], v[18:19]
	v_mul_f64_e32 v[18:19], v[166:167], v[18:19]
	v_fmac_f64_e32 v[174:175], v[6:7], v[12:13]
	v_fma_f64 v[176:177], v[4:5], v[12:13], -v[14:15]
	ds_load_b128 v[4:7], v2 offset:896
	scratch_load_b128 v[12:15], off, off offset:272
	v_add_f64_e32 v[178:179], v[154:155], v[152:153]
	v_add_f64_e32 v[168:169], v[168:169], v[170:171]
	ds_load_b128 v[152:155], v2 offset:912
	v_fmac_f64_e32 v[172:173], v[166:167], v[16:17]
	v_fma_f64 v[164:165], v[164:165], v[16:17], -v[18:19]
	scratch_load_b128 v[16:19], off, off offset:288
	s_wait_loadcnt_dscnt 0xc01
	v_mul_f64_e32 v[170:171], v[4:5], v[22:23]
	v_mul_f64_e32 v[22:23], v[6:7], v[22:23]
	v_add_f64_e32 v[166:167], v[178:179], v[176:177]
	v_add_f64_e32 v[168:169], v[168:169], v[174:175]
	s_wait_loadcnt_dscnt 0xb00
	v_mul_f64_e32 v[174:175], v[152:153], v[126:127]
	v_mul_f64_e32 v[126:127], v[154:155], v[126:127]
	v_fmac_f64_e32 v[170:171], v[6:7], v[20:21]
	v_fma_f64 v[176:177], v[4:5], v[20:21], -v[22:23]
	ds_load_b128 v[4:7], v2 offset:928
	scratch_load_b128 v[20:23], off, off offset:304
	v_add_f64_e32 v[178:179], v[166:167], v[164:165]
	v_add_f64_e32 v[168:169], v[168:169], v[172:173]
	ds_load_b128 v[164:167], v2 offset:944
	s_wait_loadcnt_dscnt 0xb01
	v_mul_f64_e32 v[172:173], v[4:5], v[130:131]
	v_mul_f64_e32 v[130:131], v[6:7], v[130:131]
	v_fmac_f64_e32 v[174:175], v[154:155], v[124:125]
	v_fma_f64 v[152:153], v[152:153], v[124:125], -v[126:127]
	scratch_load_b128 v[124:127], off, off offset:320
	v_add_f64_e32 v[154:155], v[178:179], v[176:177]
	v_add_f64_e32 v[168:169], v[168:169], v[170:171]
	s_wait_loadcnt_dscnt 0xb00
	v_mul_f64_e32 v[170:171], v[164:165], v[134:135]
	v_mul_f64_e32 v[134:135], v[166:167], v[134:135]
	v_fmac_f64_e32 v[172:173], v[6:7], v[128:129]
	v_fma_f64 v[176:177], v[4:5], v[128:129], -v[130:131]
	ds_load_b128 v[4:7], v2 offset:960
	scratch_load_b128 v[128:131], off, off offset:336
	v_add_f64_e32 v[178:179], v[154:155], v[152:153]
	v_add_f64_e32 v[168:169], v[168:169], v[174:175]
	ds_load_b128 v[152:155], v2 offset:976
	s_wait_loadcnt_dscnt 0xb01
	v_mul_f64_e32 v[174:175], v[4:5], v[138:139]
	v_mul_f64_e32 v[138:139], v[6:7], v[138:139]
	v_fmac_f64_e32 v[170:171], v[166:167], v[132:133]
	v_fma_f64 v[164:165], v[164:165], v[132:133], -v[134:135]
	scratch_load_b128 v[132:135], off, off offset:352
	;; [unrolled: 18-line block ×3, first 2 shown]
	v_add_f64_e32 v[154:155], v[178:179], v[176:177]
	v_add_f64_e32 v[168:169], v[168:169], v[174:175]
	s_wait_loadcnt_dscnt 0xa00
	v_mul_f64_e32 v[174:175], v[164:165], v[162:163]
	v_mul_f64_e32 v[162:163], v[166:167], v[162:163]
	v_fmac_f64_e32 v[170:171], v[6:7], v[148:149]
	v_fma_f64 v[176:177], v[4:5], v[148:149], -v[150:151]
	ds_load_b128 v[4:7], v2 offset:1024
	scratch_load_b128 v[148:151], off, off offset:400
	v_add_f64_e32 v[178:179], v[154:155], v[152:153]
	v_add_f64_e32 v[168:169], v[168:169], v[172:173]
	ds_load_b128 v[152:155], v2 offset:1040
	v_fmac_f64_e32 v[174:175], v[166:167], v[160:161]
	s_wait_loadcnt_dscnt 0xa01
	v_mul_f64_e32 v[172:173], v[4:5], v[146:147]
	v_mul_f64_e32 v[146:147], v[6:7], v[146:147]
	v_fma_f64 v[164:165], v[164:165], v[160:161], -v[162:163]
	scratch_load_b128 v[160:163], off, off offset:416
	v_add_f64_e32 v[166:167], v[178:179], v[176:177]
	v_add_f64_e32 v[168:169], v[168:169], v[170:171]
	s_wait_loadcnt_dscnt 0xa00
	v_mul_f64_e32 v[170:171], v[152:153], v[10:11]
	v_mul_f64_e32 v[10:11], v[154:155], v[10:11]
	v_fmac_f64_e32 v[172:173], v[6:7], v[144:145]
	v_fma_f64 v[176:177], v[4:5], v[144:145], -v[146:147]
	ds_load_b128 v[4:7], v2 offset:1056
	scratch_load_b128 v[144:147], off, off offset:432
	v_add_f64_e32 v[178:179], v[166:167], v[164:165]
	v_add_f64_e32 v[168:169], v[168:169], v[174:175]
	ds_load_b128 v[164:167], v2 offset:1072
	s_wait_loadcnt_dscnt 0xa01
	v_mul_f64_e32 v[174:175], v[4:5], v[14:15]
	v_mul_f64_e32 v[14:15], v[6:7], v[14:15]
	v_fmac_f64_e32 v[170:171], v[154:155], v[8:9]
	v_fma_f64 v[152:153], v[152:153], v[8:9], -v[10:11]
	scratch_load_b128 v[8:11], off, off offset:448
	v_add_f64_e32 v[154:155], v[178:179], v[176:177]
	v_add_f64_e32 v[168:169], v[168:169], v[172:173]
	s_wait_loadcnt_dscnt 0xa00
	v_mul_f64_e32 v[172:173], v[164:165], v[18:19]
	v_mul_f64_e32 v[18:19], v[166:167], v[18:19]
	v_fmac_f64_e32 v[174:175], v[6:7], v[12:13]
	v_fma_f64 v[176:177], v[4:5], v[12:13], -v[14:15]
	ds_load_b128 v[4:7], v2 offset:1088
	scratch_load_b128 v[12:15], off, off offset:464
	v_add_f64_e32 v[178:179], v[154:155], v[152:153]
	v_add_f64_e32 v[168:169], v[168:169], v[170:171]
	ds_load_b128 v[152:155], v2 offset:1104
	s_wait_loadcnt_dscnt 0xa01
	v_mul_f64_e32 v[170:171], v[4:5], v[22:23]
	v_mul_f64_e32 v[22:23], v[6:7], v[22:23]
	v_fmac_f64_e32 v[172:173], v[166:167], v[16:17]
	;; [unrolled: 18-line block ×11, first 2 shown]
	v_fma_f64 v[152:153], v[152:153], v[140:141], -v[142:143]
	scratch_load_b128 v[140:143], off, off offset:768
	v_add_f64_e32 v[154:155], v[178:179], v[176:177]
	v_add_f64_e32 v[168:169], v[168:169], v[174:175]
	s_wait_loadcnt_dscnt 0xa00
	v_mul_f64_e32 v[174:175], v[164:165], v[162:163]
	v_mul_f64_e32 v[162:163], v[166:167], v[162:163]
	v_fmac_f64_e32 v[170:171], v[6:7], v[148:149]
	v_fma_f64 v[176:177], v[4:5], v[148:149], -v[150:151]
	ds_load_b128 v[4:7], v2 offset:1408
	ds_load_b128 v[148:151], v2 offset:1424
	v_add_f64_e32 v[152:153], v[154:155], v[152:153]
	v_add_f64_e32 v[154:155], v[168:169], v[172:173]
	s_wait_loadcnt_dscnt 0x901
	v_mul_f64_e32 v[168:169], v[4:5], v[146:147]
	v_mul_f64_e32 v[146:147], v[6:7], v[146:147]
	v_fmac_f64_e32 v[174:175], v[166:167], v[160:161]
	v_fma_f64 v[160:161], v[164:165], v[160:161], -v[162:163]
	s_wait_loadcnt_dscnt 0x800
	v_mul_f64_e32 v[162:163], v[148:149], v[10:11]
	v_mul_f64_e32 v[10:11], v[150:151], v[10:11]
	v_add_f64_e32 v[152:153], v[152:153], v[176:177]
	v_add_f64_e32 v[154:155], v[154:155], v[170:171]
	v_fmac_f64_e32 v[168:169], v[6:7], v[144:145]
	v_fma_f64 v[164:165], v[4:5], v[144:145], -v[146:147]
	ds_load_b128 v[4:7], v2 offset:1440
	ds_load_b128 v[144:147], v2 offset:1456
	v_fmac_f64_e32 v[162:163], v[150:151], v[8:9]
	v_fma_f64 v[8:9], v[148:149], v[8:9], -v[10:11]
	v_add_f64_e32 v[152:153], v[152:153], v[160:161]
	v_add_f64_e32 v[154:155], v[154:155], v[174:175]
	s_wait_loadcnt_dscnt 0x701
	v_mul_f64_e32 v[160:161], v[4:5], v[14:15]
	v_mul_f64_e32 v[14:15], v[6:7], v[14:15]
	s_wait_loadcnt_dscnt 0x600
	v_mul_f64_e32 v[150:151], v[144:145], v[18:19]
	v_mul_f64_e32 v[18:19], v[146:147], v[18:19]
	v_add_f64_e32 v[10:11], v[152:153], v[164:165]
	v_add_f64_e32 v[148:149], v[154:155], v[168:169]
	v_fmac_f64_e32 v[160:161], v[6:7], v[12:13]
	v_fma_f64 v[12:13], v[4:5], v[12:13], -v[14:15]
	v_fmac_f64_e32 v[150:151], v[146:147], v[16:17]
	v_fma_f64 v[16:17], v[144:145], v[16:17], -v[18:19]
	v_add_f64_e32 v[14:15], v[10:11], v[8:9]
	v_add_f64_e32 v[148:149], v[148:149], v[162:163]
	ds_load_b128 v[4:7], v2 offset:1472
	ds_load_b128 v[8:11], v2 offset:1488
	s_wait_loadcnt_dscnt 0x501
	v_mul_f64_e32 v[152:153], v[4:5], v[22:23]
	v_mul_f64_e32 v[22:23], v[6:7], v[22:23]
	s_wait_loadcnt_dscnt 0x400
	v_mul_f64_e32 v[18:19], v[8:9], v[126:127]
	v_mul_f64_e32 v[126:127], v[10:11], v[126:127]
	v_add_f64_e32 v[12:13], v[14:15], v[12:13]
	v_add_f64_e32 v[14:15], v[148:149], v[160:161]
	v_fmac_f64_e32 v[152:153], v[6:7], v[20:21]
	v_fma_f64 v[20:21], v[4:5], v[20:21], -v[22:23]
	v_fmac_f64_e32 v[18:19], v[10:11], v[124:125]
	v_fma_f64 v[8:9], v[8:9], v[124:125], -v[126:127]
	v_add_f64_e32 v[16:17], v[12:13], v[16:17]
	v_add_f64_e32 v[22:23], v[14:15], v[150:151]
	ds_load_b128 v[4:7], v2 offset:1504
	ds_load_b128 v[12:15], v2 offset:1520
	s_wait_loadcnt_dscnt 0x301
	v_mul_f64_e32 v[144:145], v[4:5], v[130:131]
	v_mul_f64_e32 v[130:131], v[6:7], v[130:131]
	v_add_f64_e32 v[10:11], v[16:17], v[20:21]
	v_add_f64_e32 v[16:17], v[22:23], v[152:153]
	s_wait_loadcnt_dscnt 0x200
	v_mul_f64_e32 v[20:21], v[12:13], v[134:135]
	v_mul_f64_e32 v[22:23], v[14:15], v[134:135]
	v_fmac_f64_e32 v[144:145], v[6:7], v[128:129]
	v_fma_f64 v[124:125], v[4:5], v[128:129], -v[130:131]
	v_add_f64_e32 v[126:127], v[10:11], v[8:9]
	v_add_f64_e32 v[16:17], v[16:17], v[18:19]
	ds_load_b128 v[4:7], v2 offset:1536
	ds_load_b128 v[8:11], v2 offset:1552
	v_fmac_f64_e32 v[20:21], v[14:15], v[132:133]
	v_fma_f64 v[12:13], v[12:13], v[132:133], -v[22:23]
	s_wait_loadcnt_dscnt 0x101
	v_mul_f64_e32 v[2:3], v[4:5], v[138:139]
	v_mul_f64_e32 v[18:19], v[6:7], v[138:139]
	s_wait_loadcnt_dscnt 0x0
	v_mul_f64_e32 v[22:23], v[8:9], v[142:143]
	v_add_f64_e32 v[14:15], v[126:127], v[124:125]
	v_add_f64_e32 v[16:17], v[16:17], v[144:145]
	v_mul_f64_e32 v[124:125], v[10:11], v[142:143]
	v_fmac_f64_e32 v[2:3], v[6:7], v[136:137]
	v_fma_f64 v[4:5], v[4:5], v[136:137], -v[18:19]
	v_fmac_f64_e32 v[22:23], v[10:11], v[140:141]
	v_add_f64_e32 v[6:7], v[14:15], v[12:13]
	v_add_f64_e32 v[12:13], v[16:17], v[20:21]
	v_fma_f64 v[8:9], v[8:9], v[140:141], -v[124:125]
	s_delay_alu instid0(VALU_DEP_3) | instskip(NEXT) | instid1(VALU_DEP_3)
	v_add_f64_e32 v[4:5], v[6:7], v[4:5]
	v_add_f64_e32 v[2:3], v[12:13], v[2:3]
	s_delay_alu instid0(VALU_DEP_2) | instskip(NEXT) | instid1(VALU_DEP_2)
	v_add_f64_e32 v[4:5], v[4:5], v[8:9]
	v_add_f64_e32 v[6:7], v[2:3], v[22:23]
	s_delay_alu instid0(VALU_DEP_2) | instskip(NEXT) | instid1(VALU_DEP_2)
	v_add_f64_e64 v[2:3], v[156:157], -v[4:5]
	v_add_f64_e64 v[4:5], v[158:159], -v[6:7]
	scratch_store_b128 off, v[2:5], off offset:32
	s_wait_xcnt 0x0
	v_cmpx_lt_u32_e32 1, v1
	s_cbranch_execz .LBB112_305
; %bb.304:
	scratch_load_b128 v[2:5], off, s18
	v_mov_b32_e32 v6, 0
	s_delay_alu instid0(VALU_DEP_1)
	v_dual_mov_b32 v7, v6 :: v_dual_mov_b32 v8, v6
	v_mov_b32_e32 v9, v6
	scratch_store_b128 off, v[6:9], off offset:16
	s_wait_loadcnt 0x0
	ds_store_b128 v122, v[2:5]
.LBB112_305:
	s_wait_xcnt 0x0
	s_or_b32 exec_lo, exec_lo, s2
	s_wait_storecnt_dscnt 0x0
	s_barrier_signal -1
	s_barrier_wait -1
	s_clause 0x9
	scratch_load_b128 v[4:7], off, off offset:32
	scratch_load_b128 v[8:11], off, off offset:48
	;; [unrolled: 1-line block ×10, first 2 shown]
	v_mov_b32_e32 v2, 0
	s_mov_b32 s2, exec_lo
	ds_load_b128 v[144:147], v2 offset:816
	s_clause 0x2
	scratch_load_b128 v[148:151], off, off offset:192
	scratch_load_b128 v[152:155], off, off offset:16
	;; [unrolled: 1-line block ×3, first 2 shown]
	s_wait_loadcnt_dscnt 0xc00
	v_mul_f64_e32 v[164:165], v[146:147], v[6:7]
	v_mul_f64_e32 v[168:169], v[144:145], v[6:7]
	ds_load_b128 v[156:159], v2 offset:832
	v_fma_f64 v[172:173], v[144:145], v[4:5], -v[164:165]
	v_fmac_f64_e32 v[168:169], v[146:147], v[4:5]
	ds_load_b128 v[4:7], v2 offset:848
	s_wait_loadcnt_dscnt 0xb01
	v_mul_f64_e32 v[170:171], v[156:157], v[10:11]
	v_mul_f64_e32 v[10:11], v[158:159], v[10:11]
	scratch_load_b128 v[144:147], off, off offset:224
	ds_load_b128 v[164:167], v2 offset:864
	s_wait_loadcnt_dscnt 0xb01
	v_mul_f64_e32 v[174:175], v[4:5], v[14:15]
	v_mul_f64_e32 v[14:15], v[6:7], v[14:15]
	v_add_f64_e32 v[168:169], 0, v[168:169]
	v_fmac_f64_e32 v[170:171], v[158:159], v[8:9]
	v_fma_f64 v[156:157], v[156:157], v[8:9], -v[10:11]
	v_add_f64_e32 v[158:159], 0, v[172:173]
	scratch_load_b128 v[8:11], off, off offset:240
	v_fmac_f64_e32 v[174:175], v[6:7], v[12:13]
	v_fma_f64 v[176:177], v[4:5], v[12:13], -v[14:15]
	ds_load_b128 v[4:7], v2 offset:880
	s_wait_loadcnt_dscnt 0xb01
	v_mul_f64_e32 v[172:173], v[164:165], v[18:19]
	v_mul_f64_e32 v[18:19], v[166:167], v[18:19]
	scratch_load_b128 v[12:15], off, off offset:256
	v_add_f64_e32 v[168:169], v[168:169], v[170:171]
	v_add_f64_e32 v[178:179], v[158:159], v[156:157]
	ds_load_b128 v[156:159], v2 offset:896
	s_wait_loadcnt_dscnt 0xb01
	v_mul_f64_e32 v[170:171], v[4:5], v[22:23]
	v_mul_f64_e32 v[22:23], v[6:7], v[22:23]
	v_fmac_f64_e32 v[172:173], v[166:167], v[16:17]
	v_fma_f64 v[164:165], v[164:165], v[16:17], -v[18:19]
	scratch_load_b128 v[16:19], off, off offset:272
	v_add_f64_e32 v[168:169], v[168:169], v[174:175]
	v_add_f64_e32 v[166:167], v[178:179], v[176:177]
	v_fmac_f64_e32 v[170:171], v[6:7], v[20:21]
	v_fma_f64 v[176:177], v[4:5], v[20:21], -v[22:23]
	ds_load_b128 v[4:7], v2 offset:912
	s_wait_loadcnt_dscnt 0xb01
	v_mul_f64_e32 v[174:175], v[156:157], v[126:127]
	v_mul_f64_e32 v[126:127], v[158:159], v[126:127]
	scratch_load_b128 v[20:23], off, off offset:288
	v_add_f64_e32 v[168:169], v[168:169], v[172:173]
	s_wait_loadcnt_dscnt 0xb00
	v_mul_f64_e32 v[172:173], v[4:5], v[130:131]
	v_add_f64_e32 v[178:179], v[166:167], v[164:165]
	v_mul_f64_e32 v[130:131], v[6:7], v[130:131]
	ds_load_b128 v[164:167], v2 offset:928
	v_fmac_f64_e32 v[174:175], v[158:159], v[124:125]
	v_fma_f64 v[156:157], v[156:157], v[124:125], -v[126:127]
	scratch_load_b128 v[124:127], off, off offset:304
	v_add_f64_e32 v[168:169], v[168:169], v[170:171]
	v_fmac_f64_e32 v[172:173], v[6:7], v[128:129]
	v_add_f64_e32 v[158:159], v[178:179], v[176:177]
	v_fma_f64 v[176:177], v[4:5], v[128:129], -v[130:131]
	ds_load_b128 v[4:7], v2 offset:944
	s_wait_loadcnt_dscnt 0xb01
	v_mul_f64_e32 v[170:171], v[164:165], v[134:135]
	v_mul_f64_e32 v[134:135], v[166:167], v[134:135]
	scratch_load_b128 v[128:131], off, off offset:320
	v_add_f64_e32 v[168:169], v[168:169], v[174:175]
	s_wait_loadcnt_dscnt 0xb00
	v_mul_f64_e32 v[174:175], v[4:5], v[138:139]
	v_add_f64_e32 v[178:179], v[158:159], v[156:157]
	v_mul_f64_e32 v[138:139], v[6:7], v[138:139]
	ds_load_b128 v[156:159], v2 offset:960
	v_fmac_f64_e32 v[170:171], v[166:167], v[132:133]
	v_fma_f64 v[164:165], v[164:165], v[132:133], -v[134:135]
	scratch_load_b128 v[132:135], off, off offset:336
	v_add_f64_e32 v[168:169], v[168:169], v[172:173]
	v_fmac_f64_e32 v[174:175], v[6:7], v[136:137]
	v_add_f64_e32 v[166:167], v[178:179], v[176:177]
	;; [unrolled: 18-line block ×3, first 2 shown]
	v_fma_f64 v[176:177], v[4:5], v[148:149], -v[150:151]
	ds_load_b128 v[4:7], v2 offset:1008
	s_wait_loadcnt_dscnt 0xa01
	v_mul_f64_e32 v[174:175], v[164:165], v[162:163]
	v_mul_f64_e32 v[162:163], v[166:167], v[162:163]
	scratch_load_b128 v[148:151], off, off offset:384
	v_add_f64_e32 v[168:169], v[168:169], v[172:173]
	v_add_f64_e32 v[178:179], v[158:159], v[156:157]
	s_wait_loadcnt_dscnt 0xa00
	v_mul_f64_e32 v[172:173], v[4:5], v[146:147]
	v_mul_f64_e32 v[146:147], v[6:7], v[146:147]
	v_fmac_f64_e32 v[174:175], v[166:167], v[160:161]
	v_fma_f64 v[164:165], v[164:165], v[160:161], -v[162:163]
	ds_load_b128 v[156:159], v2 offset:1024
	scratch_load_b128 v[160:163], off, off offset:400
	v_add_f64_e32 v[168:169], v[168:169], v[170:171]
	v_add_f64_e32 v[166:167], v[178:179], v[176:177]
	v_fmac_f64_e32 v[172:173], v[6:7], v[144:145]
	v_fma_f64 v[176:177], v[4:5], v[144:145], -v[146:147]
	ds_load_b128 v[4:7], v2 offset:1040
	s_wait_loadcnt_dscnt 0xa01
	v_mul_f64_e32 v[170:171], v[156:157], v[10:11]
	v_mul_f64_e32 v[10:11], v[158:159], v[10:11]
	scratch_load_b128 v[144:147], off, off offset:416
	v_add_f64_e32 v[168:169], v[168:169], v[174:175]
	s_wait_loadcnt_dscnt 0xa00
	v_mul_f64_e32 v[174:175], v[4:5], v[14:15]
	v_add_f64_e32 v[178:179], v[166:167], v[164:165]
	v_mul_f64_e32 v[14:15], v[6:7], v[14:15]
	ds_load_b128 v[164:167], v2 offset:1056
	v_fmac_f64_e32 v[170:171], v[158:159], v[8:9]
	v_fma_f64 v[156:157], v[156:157], v[8:9], -v[10:11]
	scratch_load_b128 v[8:11], off, off offset:432
	v_add_f64_e32 v[168:169], v[168:169], v[172:173]
	v_fmac_f64_e32 v[174:175], v[6:7], v[12:13]
	v_add_f64_e32 v[158:159], v[178:179], v[176:177]
	v_fma_f64 v[176:177], v[4:5], v[12:13], -v[14:15]
	ds_load_b128 v[4:7], v2 offset:1072
	s_wait_loadcnt_dscnt 0xa01
	v_mul_f64_e32 v[172:173], v[164:165], v[18:19]
	v_mul_f64_e32 v[18:19], v[166:167], v[18:19]
	scratch_load_b128 v[12:15], off, off offset:448
	v_add_f64_e32 v[168:169], v[168:169], v[170:171]
	s_wait_loadcnt_dscnt 0xa00
	v_mul_f64_e32 v[170:171], v[4:5], v[22:23]
	v_add_f64_e32 v[178:179], v[158:159], v[156:157]
	v_mul_f64_e32 v[22:23], v[6:7], v[22:23]
	ds_load_b128 v[156:159], v2 offset:1088
	v_fmac_f64_e32 v[172:173], v[166:167], v[16:17]
	v_fma_f64 v[164:165], v[164:165], v[16:17], -v[18:19]
	scratch_load_b128 v[16:19], off, off offset:464
	v_add_f64_e32 v[168:169], v[168:169], v[174:175]
	v_fmac_f64_e32 v[170:171], v[6:7], v[20:21]
	v_add_f64_e32 v[166:167], v[178:179], v[176:177]
	;; [unrolled: 18-line block ×11, first 2 shown]
	v_fma_f64 v[176:177], v[4:5], v[148:149], -v[150:151]
	ds_load_b128 v[4:7], v2 offset:1392
	s_wait_loadcnt_dscnt 0xa01
	v_mul_f64_e32 v[174:175], v[164:165], v[162:163]
	v_mul_f64_e32 v[162:163], v[166:167], v[162:163]
	scratch_load_b128 v[148:151], off, off offset:768
	v_add_f64_e32 v[168:169], v[168:169], v[172:173]
	s_wait_loadcnt_dscnt 0xa00
	v_mul_f64_e32 v[172:173], v[4:5], v[146:147]
	v_add_f64_e32 v[178:179], v[158:159], v[156:157]
	v_mul_f64_e32 v[146:147], v[6:7], v[146:147]
	ds_load_b128 v[156:159], v2 offset:1408
	v_fmac_f64_e32 v[174:175], v[166:167], v[160:161]
	v_fma_f64 v[160:161], v[164:165], v[160:161], -v[162:163]
	s_wait_loadcnt_dscnt 0x900
	v_mul_f64_e32 v[166:167], v[156:157], v[10:11]
	v_mul_f64_e32 v[10:11], v[158:159], v[10:11]
	v_add_f64_e32 v[164:165], v[168:169], v[170:171]
	v_fmac_f64_e32 v[172:173], v[6:7], v[144:145]
	v_add_f64_e32 v[162:163], v[178:179], v[176:177]
	v_fma_f64 v[168:169], v[4:5], v[144:145], -v[146:147]
	ds_load_b128 v[4:7], v2 offset:1424
	ds_load_b128 v[144:147], v2 offset:1440
	v_fmac_f64_e32 v[166:167], v[158:159], v[8:9]
	v_fma_f64 v[8:9], v[156:157], v[8:9], -v[10:11]
	v_add_f64_e32 v[160:161], v[162:163], v[160:161]
	v_add_f64_e32 v[162:163], v[164:165], v[174:175]
	s_wait_loadcnt_dscnt 0x801
	v_mul_f64_e32 v[164:165], v[4:5], v[14:15]
	v_mul_f64_e32 v[14:15], v[6:7], v[14:15]
	s_wait_loadcnt_dscnt 0x700
	v_mul_f64_e32 v[158:159], v[144:145], v[18:19]
	v_mul_f64_e32 v[18:19], v[146:147], v[18:19]
	v_add_f64_e32 v[10:11], v[160:161], v[168:169]
	v_add_f64_e32 v[156:157], v[162:163], v[172:173]
	v_fmac_f64_e32 v[164:165], v[6:7], v[12:13]
	v_fma_f64 v[12:13], v[4:5], v[12:13], -v[14:15]
	v_fmac_f64_e32 v[158:159], v[146:147], v[16:17]
	v_fma_f64 v[16:17], v[144:145], v[16:17], -v[18:19]
	v_add_f64_e32 v[14:15], v[10:11], v[8:9]
	v_add_f64_e32 v[156:157], v[156:157], v[166:167]
	ds_load_b128 v[4:7], v2 offset:1456
	ds_load_b128 v[8:11], v2 offset:1472
	s_wait_loadcnt_dscnt 0x601
	v_mul_f64_e32 v[160:161], v[4:5], v[22:23]
	v_mul_f64_e32 v[22:23], v[6:7], v[22:23]
	s_wait_loadcnt_dscnt 0x500
	v_mul_f64_e32 v[18:19], v[8:9], v[126:127]
	v_mul_f64_e32 v[126:127], v[10:11], v[126:127]
	v_add_f64_e32 v[12:13], v[14:15], v[12:13]
	v_add_f64_e32 v[14:15], v[156:157], v[164:165]
	v_fmac_f64_e32 v[160:161], v[6:7], v[20:21]
	v_fma_f64 v[20:21], v[4:5], v[20:21], -v[22:23]
	v_fmac_f64_e32 v[18:19], v[10:11], v[124:125]
	v_fma_f64 v[8:9], v[8:9], v[124:125], -v[126:127]
	v_add_f64_e32 v[16:17], v[12:13], v[16:17]
	v_add_f64_e32 v[22:23], v[14:15], v[158:159]
	ds_load_b128 v[4:7], v2 offset:1488
	ds_load_b128 v[12:15], v2 offset:1504
	s_wait_loadcnt_dscnt 0x401
	v_mul_f64_e32 v[144:145], v[4:5], v[130:131]
	v_mul_f64_e32 v[130:131], v[6:7], v[130:131]
	v_add_f64_e32 v[10:11], v[16:17], v[20:21]
	v_add_f64_e32 v[16:17], v[22:23], v[160:161]
	s_wait_loadcnt_dscnt 0x300
	v_mul_f64_e32 v[20:21], v[12:13], v[134:135]
	v_mul_f64_e32 v[22:23], v[14:15], v[134:135]
	v_fmac_f64_e32 v[144:145], v[6:7], v[128:129]
	v_fma_f64 v[124:125], v[4:5], v[128:129], -v[130:131]
	v_add_f64_e32 v[126:127], v[10:11], v[8:9]
	v_add_f64_e32 v[16:17], v[16:17], v[18:19]
	ds_load_b128 v[4:7], v2 offset:1520
	ds_load_b128 v[8:11], v2 offset:1536
	v_fmac_f64_e32 v[20:21], v[14:15], v[132:133]
	v_fma_f64 v[12:13], v[12:13], v[132:133], -v[22:23]
	s_wait_loadcnt_dscnt 0x201
	v_mul_f64_e32 v[18:19], v[4:5], v[138:139]
	v_mul_f64_e32 v[128:129], v[6:7], v[138:139]
	s_wait_loadcnt_dscnt 0x100
	v_mul_f64_e32 v[22:23], v[8:9], v[142:143]
	v_add_f64_e32 v[14:15], v[126:127], v[124:125]
	v_add_f64_e32 v[16:17], v[16:17], v[144:145]
	v_mul_f64_e32 v[124:125], v[10:11], v[142:143]
	v_fmac_f64_e32 v[18:19], v[6:7], v[136:137]
	v_fma_f64 v[126:127], v[4:5], v[136:137], -v[128:129]
	ds_load_b128 v[4:7], v2 offset:1552
	v_fmac_f64_e32 v[22:23], v[10:11], v[140:141]
	v_add_f64_e32 v[12:13], v[14:15], v[12:13]
	v_add_f64_e32 v[14:15], v[16:17], v[20:21]
	v_fma_f64 v[8:9], v[8:9], v[140:141], -v[124:125]
	s_wait_loadcnt_dscnt 0x0
	v_mul_f64_e32 v[16:17], v[4:5], v[150:151]
	v_mul_f64_e32 v[20:21], v[6:7], v[150:151]
	v_add_f64_e32 v[10:11], v[12:13], v[126:127]
	v_add_f64_e32 v[12:13], v[14:15], v[18:19]
	s_delay_alu instid0(VALU_DEP_4) | instskip(NEXT) | instid1(VALU_DEP_4)
	v_fmac_f64_e32 v[16:17], v[6:7], v[148:149]
	v_fma_f64 v[4:5], v[4:5], v[148:149], -v[20:21]
	s_delay_alu instid0(VALU_DEP_4) | instskip(NEXT) | instid1(VALU_DEP_4)
	v_add_f64_e32 v[6:7], v[10:11], v[8:9]
	v_add_f64_e32 v[8:9], v[12:13], v[22:23]
	s_delay_alu instid0(VALU_DEP_2) | instskip(NEXT) | instid1(VALU_DEP_2)
	v_add_f64_e32 v[4:5], v[6:7], v[4:5]
	v_add_f64_e32 v[6:7], v[8:9], v[16:17]
	s_delay_alu instid0(VALU_DEP_2) | instskip(NEXT) | instid1(VALU_DEP_2)
	v_add_f64_e64 v[4:5], v[152:153], -v[4:5]
	v_add_f64_e64 v[6:7], v[154:155], -v[6:7]
	scratch_store_b128 off, v[4:7], off offset:16
	s_wait_xcnt 0x0
	v_cmpx_ne_u32_e32 0, v1
	s_cbranch_execz .LBB112_307
; %bb.306:
	scratch_load_b128 v[6:9], off, off
	v_dual_mov_b32 v3, v2 :: v_dual_mov_b32 v4, v2
	v_mov_b32_e32 v5, v2
	scratch_store_b128 off, v[2:5], off
	s_wait_loadcnt 0x0
	ds_store_b128 v122, v[6:9]
.LBB112_307:
	s_wait_xcnt 0x0
	s_or_b32 exec_lo, exec_lo, s2
	s_wait_storecnt_dscnt 0x0
	s_barrier_signal -1
	s_barrier_wait -1
	s_clause 0x9
	scratch_load_b128 v[4:7], off, off offset:16
	scratch_load_b128 v[8:11], off, off offset:32
	;; [unrolled: 1-line block ×10, first 2 shown]
	ds_load_b128 v[142:145], v2 offset:800
	ds_load_b128 v[150:153], v2 offset:816
	s_clause 0x2
	scratch_load_b128 v[146:149], off, off offset:176
	scratch_load_b128 v[156:159], off, off
	scratch_load_b128 v[160:163], off, off offset:192
	v_lshl_add_u64 v[58:59], v[58:59], 4, s[4:5]
	s_and_b32 vcc_lo, exec_lo, s61
	s_wait_loadcnt_dscnt 0xc01
	v_mul_f64_e32 v[154:155], v[144:145], v[6:7]
	v_mul_f64_e32 v[168:169], v[142:143], v[6:7]
	s_wait_loadcnt_dscnt 0xb00
	v_mul_f64_e32 v[170:171], v[150:151], v[10:11]
	v_mul_f64_e32 v[10:11], v[152:153], v[10:11]
	s_delay_alu instid0(VALU_DEP_4) | instskip(NEXT) | instid1(VALU_DEP_4)
	v_fma_f64 v[154:155], v[142:143], v[4:5], -v[154:155]
	v_fmac_f64_e32 v[168:169], v[144:145], v[4:5]
	ds_load_b128 v[4:7], v2 offset:832
	ds_load_b128 v[142:145], v2 offset:848
	scratch_load_b128 v[164:167], off, off offset:208
	v_fmac_f64_e32 v[170:171], v[152:153], v[8:9]
	v_fma_f64 v[150:151], v[150:151], v[8:9], -v[10:11]
	scratch_load_b128 v[8:11], off, off offset:224
	s_wait_loadcnt_dscnt 0xc01
	v_mul_f64_e32 v[172:173], v[4:5], v[14:15]
	v_mul_f64_e32 v[14:15], v[6:7], v[14:15]
	v_add_f64_e32 v[152:153], 0, v[154:155]
	v_add_f64_e32 v[154:155], 0, v[168:169]
	s_wait_loadcnt_dscnt 0xb00
	v_mul_f64_e32 v[168:169], v[142:143], v[18:19]
	v_mul_f64_e32 v[18:19], v[144:145], v[18:19]
	v_fmac_f64_e32 v[172:173], v[6:7], v[12:13]
	v_fma_f64 v[174:175], v[4:5], v[12:13], -v[14:15]
	ds_load_b128 v[4:7], v2 offset:864
	ds_load_b128 v[12:15], v2 offset:880
	v_add_f64_e32 v[176:177], v[152:153], v[150:151]
	v_add_f64_e32 v[154:155], v[154:155], v[170:171]
	scratch_load_b128 v[150:153], off, off offset:240
	v_fmac_f64_e32 v[168:169], v[144:145], v[16:17]
	v_fma_f64 v[142:143], v[142:143], v[16:17], -v[18:19]
	scratch_load_b128 v[16:19], off, off offset:256
	s_wait_loadcnt_dscnt 0xc01
	v_mul_f64_e32 v[170:171], v[4:5], v[22:23]
	v_mul_f64_e32 v[22:23], v[6:7], v[22:23]
	v_add_f64_e32 v[144:145], v[176:177], v[174:175]
	v_add_f64_e32 v[154:155], v[154:155], v[172:173]
	s_wait_loadcnt_dscnt 0xb00
	v_mul_f64_e32 v[172:173], v[12:13], v[124:125]
	v_mul_f64_e32 v[124:125], v[14:15], v[124:125]
	v_fmac_f64_e32 v[170:171], v[6:7], v[20:21]
	v_fma_f64 v[174:175], v[4:5], v[20:21], -v[22:23]
	ds_load_b128 v[4:7], v2 offset:896
	ds_load_b128 v[20:23], v2 offset:912
	v_add_f64_e32 v[176:177], v[144:145], v[142:143]
	v_add_f64_e32 v[154:155], v[154:155], v[168:169]
	scratch_load_b128 v[142:145], off, off offset:272
	s_wait_loadcnt_dscnt 0xb01
	v_mul_f64_e32 v[168:169], v[4:5], v[128:129]
	v_mul_f64_e32 v[128:129], v[6:7], v[128:129]
	v_fmac_f64_e32 v[172:173], v[14:15], v[122:123]
	v_fma_f64 v[122:123], v[12:13], v[122:123], -v[124:125]
	scratch_load_b128 v[12:15], off, off offset:288
	v_add_f64_e32 v[124:125], v[176:177], v[174:175]
	v_add_f64_e32 v[154:155], v[154:155], v[170:171]
	s_wait_loadcnt_dscnt 0xb00
	v_mul_f64_e32 v[170:171], v[20:21], v[132:133]
	v_mul_f64_e32 v[132:133], v[22:23], v[132:133]
	v_fmac_f64_e32 v[168:169], v[6:7], v[126:127]
	v_fma_f64 v[174:175], v[4:5], v[126:127], -v[128:129]
	v_add_f64_e32 v[176:177], v[124:125], v[122:123]
	v_add_f64_e32 v[154:155], v[154:155], v[172:173]
	ds_load_b128 v[4:7], v2 offset:928
	ds_load_b128 v[122:125], v2 offset:944
	scratch_load_b128 v[126:129], off, off offset:304
	v_fmac_f64_e32 v[170:171], v[22:23], v[130:131]
	v_fma_f64 v[130:131], v[20:21], v[130:131], -v[132:133]
	scratch_load_b128 v[20:23], off, off offset:320
	s_wait_loadcnt_dscnt 0xc01
	v_mul_f64_e32 v[172:173], v[4:5], v[136:137]
	v_mul_f64_e32 v[136:137], v[6:7], v[136:137]
	v_add_f64_e32 v[132:133], v[176:177], v[174:175]
	v_add_f64_e32 v[154:155], v[154:155], v[168:169]
	s_wait_loadcnt_dscnt 0xb00
	v_mul_f64_e32 v[168:169], v[122:123], v[140:141]
	v_mul_f64_e32 v[140:141], v[124:125], v[140:141]
	v_fmac_f64_e32 v[172:173], v[6:7], v[134:135]
	v_fma_f64 v[174:175], v[4:5], v[134:135], -v[136:137]
	v_add_f64_e32 v[176:177], v[132:133], v[130:131]
	v_add_f64_e32 v[154:155], v[154:155], v[170:171]
	ds_load_b128 v[4:7], v2 offset:960
	ds_load_b128 v[130:133], v2 offset:976
	scratch_load_b128 v[134:137], off, off offset:336
	v_fmac_f64_e32 v[168:169], v[124:125], v[138:139]
	v_fma_f64 v[138:139], v[122:123], v[138:139], -v[140:141]
	scratch_load_b128 v[122:125], off, off offset:352
	s_wait_loadcnt_dscnt 0xc01
	v_mul_f64_e32 v[170:171], v[4:5], v[148:149]
	v_mul_f64_e32 v[148:149], v[6:7], v[148:149]
	;; [unrolled: 18-line block ×5, first 2 shown]
	v_add_f64_e32 v[162:163], v[176:177], v[174:175]
	v_add_f64_e32 v[154:155], v[154:155], v[172:173]
	s_wait_loadcnt_dscnt 0xa00
	v_mul_f64_e32 v[172:173], v[138:139], v[14:15]
	v_mul_f64_e32 v[14:15], v[140:141], v[14:15]
	v_fmac_f64_e32 v[170:171], v[6:7], v[142:143]
	v_fma_f64 v[174:175], v[4:5], v[142:143], -v[144:145]
	ds_load_b128 v[4:7], v2 offset:1088
	ds_load_b128 v[142:145], v2 offset:1104
	v_add_f64_e32 v[176:177], v[162:163], v[160:161]
	v_add_f64_e32 v[154:155], v[154:155], v[168:169]
	scratch_load_b128 v[160:163], off, off offset:464
	v_fmac_f64_e32 v[172:173], v[140:141], v[12:13]
	v_fma_f64 v[138:139], v[138:139], v[12:13], -v[14:15]
	scratch_load_b128 v[12:15], off, off offset:480
	s_wait_loadcnt_dscnt 0xb01
	v_mul_f64_e32 v[168:169], v[4:5], v[128:129]
	v_mul_f64_e32 v[128:129], v[6:7], v[128:129]
	v_add_f64_e32 v[140:141], v[176:177], v[174:175]
	v_add_f64_e32 v[154:155], v[154:155], v[170:171]
	s_wait_loadcnt_dscnt 0xa00
	v_mul_f64_e32 v[170:171], v[142:143], v[22:23]
	v_mul_f64_e32 v[22:23], v[144:145], v[22:23]
	v_fmac_f64_e32 v[168:169], v[6:7], v[126:127]
	v_fma_f64 v[174:175], v[4:5], v[126:127], -v[128:129]
	ds_load_b128 v[4:7], v2 offset:1120
	ds_load_b128 v[126:129], v2 offset:1136
	v_add_f64_e32 v[176:177], v[140:141], v[138:139]
	v_add_f64_e32 v[154:155], v[154:155], v[172:173]
	scratch_load_b128 v[138:141], off, off offset:496
	s_wait_loadcnt_dscnt 0xa01
	v_mul_f64_e32 v[172:173], v[4:5], v[136:137]
	v_mul_f64_e32 v[136:137], v[6:7], v[136:137]
	v_fmac_f64_e32 v[170:171], v[144:145], v[20:21]
	v_fma_f64 v[142:143], v[142:143], v[20:21], -v[22:23]
	scratch_load_b128 v[20:23], off, off offset:512
	v_add_f64_e32 v[144:145], v[176:177], v[174:175]
	v_add_f64_e32 v[154:155], v[154:155], v[168:169]
	s_wait_loadcnt_dscnt 0xa00
	v_mul_f64_e32 v[168:169], v[126:127], v[124:125]
	v_mul_f64_e32 v[124:125], v[128:129], v[124:125]
	v_fmac_f64_e32 v[172:173], v[6:7], v[134:135]
	v_fma_f64 v[174:175], v[4:5], v[134:135], -v[136:137]
	ds_load_b128 v[4:7], v2 offset:1152
	ds_load_b128 v[134:137], v2 offset:1168
	v_add_f64_e32 v[176:177], v[144:145], v[142:143]
	v_add_f64_e32 v[154:155], v[154:155], v[170:171]
	scratch_load_b128 v[142:145], off, off offset:528
	s_wait_loadcnt_dscnt 0xa01
	v_mul_f64_e32 v[170:171], v[4:5], v[148:149]
	v_mul_f64_e32 v[148:149], v[6:7], v[148:149]
	v_fmac_f64_e32 v[168:169], v[128:129], v[122:123]
	v_fma_f64 v[126:127], v[126:127], v[122:123], -v[124:125]
	scratch_load_b128 v[122:125], off, off offset:544
	v_add_f64_e32 v[128:129], v[176:177], v[174:175]
	v_add_f64_e32 v[154:155], v[154:155], v[172:173]
	s_wait_loadcnt_dscnt 0xa00
	v_mul_f64_e32 v[172:173], v[134:135], v[132:133]
	v_mul_f64_e32 v[132:133], v[136:137], v[132:133]
	v_fmac_f64_e32 v[170:171], v[6:7], v[146:147]
	v_fma_f64 v[174:175], v[4:5], v[146:147], -v[148:149]
	v_add_f64_e32 v[176:177], v[128:129], v[126:127]
	v_add_f64_e32 v[154:155], v[154:155], v[168:169]
	ds_load_b128 v[4:7], v2 offset:1184
	ds_load_b128 v[126:129], v2 offset:1200
	scratch_load_b128 v[146:149], off, off offset:560
	v_fmac_f64_e32 v[172:173], v[136:137], v[130:131]
	v_fma_f64 v[134:135], v[134:135], v[130:131], -v[132:133]
	scratch_load_b128 v[130:133], off, off offset:576
	s_wait_loadcnt_dscnt 0xb01
	v_mul_f64_e32 v[168:169], v[4:5], v[166:167]
	v_mul_f64_e32 v[166:167], v[6:7], v[166:167]
	v_add_f64_e32 v[136:137], v[176:177], v[174:175]
	v_add_f64_e32 v[154:155], v[154:155], v[170:171]
	s_wait_loadcnt_dscnt 0xa00
	v_mul_f64_e32 v[170:171], v[126:127], v[10:11]
	v_mul_f64_e32 v[10:11], v[128:129], v[10:11]
	v_fmac_f64_e32 v[168:169], v[6:7], v[164:165]
	v_fma_f64 v[174:175], v[4:5], v[164:165], -v[166:167]
	v_add_f64_e32 v[176:177], v[136:137], v[134:135]
	v_add_f64_e32 v[154:155], v[154:155], v[172:173]
	ds_load_b128 v[4:7], v2 offset:1216
	ds_load_b128 v[134:137], v2 offset:1232
	scratch_load_b128 v[164:167], off, off offset:592
	v_fmac_f64_e32 v[170:171], v[128:129], v[8:9]
	v_fma_f64 v[126:127], v[126:127], v[8:9], -v[10:11]
	scratch_load_b128 v[8:11], off, off offset:608
	s_wait_loadcnt_dscnt 0xb01
	v_mul_f64_e32 v[172:173], v[4:5], v[152:153]
	v_mul_f64_e32 v[152:153], v[6:7], v[152:153]
	;; [unrolled: 18-line block ×7, first 2 shown]
	v_add_f64_e32 v[136:137], v[176:177], v[174:175]
	v_add_f64_e32 v[154:155], v[154:155], v[170:171]
	s_wait_loadcnt_dscnt 0xa00
	v_mul_f64_e32 v[170:171], v[126:127], v[10:11]
	v_mul_f64_e32 v[10:11], v[128:129], v[10:11]
	v_fmac_f64_e32 v[168:169], v[6:7], v[164:165]
	v_fma_f64 v[164:165], v[4:5], v[164:165], -v[166:167]
	v_add_f64_e32 v[166:167], v[136:137], v[134:135]
	v_add_f64_e32 v[154:155], v[154:155], v[172:173]
	ds_load_b128 v[4:7], v2 offset:1408
	ds_load_b128 v[134:137], v2 offset:1424
	v_fmac_f64_e32 v[170:171], v[128:129], v[8:9]
	v_fma_f64 v[8:9], v[126:127], v[8:9], -v[10:11]
	s_wait_loadcnt_dscnt 0x901
	v_mul_f64_e32 v[172:173], v[4:5], v[152:153]
	v_mul_f64_e32 v[152:153], v[6:7], v[152:153]
	s_wait_loadcnt_dscnt 0x800
	v_mul_f64_e32 v[128:129], v[134:135], v[18:19]
	v_mul_f64_e32 v[18:19], v[136:137], v[18:19]
	v_add_f64_e32 v[10:11], v[166:167], v[164:165]
	v_add_f64_e32 v[126:127], v[154:155], v[168:169]
	v_fmac_f64_e32 v[172:173], v[6:7], v[150:151]
	v_fma_f64 v[150:151], v[4:5], v[150:151], -v[152:153]
	v_fmac_f64_e32 v[128:129], v[136:137], v[16:17]
	v_fma_f64 v[16:17], v[134:135], v[16:17], -v[18:19]
	v_add_f64_e32 v[152:153], v[10:11], v[8:9]
	v_add_f64_e32 v[126:127], v[126:127], v[170:171]
	ds_load_b128 v[4:7], v2 offset:1440
	ds_load_b128 v[8:11], v2 offset:1456
	s_wait_loadcnt_dscnt 0x701
	v_mul_f64_e32 v[154:155], v[4:5], v[162:163]
	v_mul_f64_e32 v[162:163], v[6:7], v[162:163]
	s_wait_loadcnt_dscnt 0x600
	v_mul_f64_e32 v[134:135], v[8:9], v[14:15]
	v_mul_f64_e32 v[136:137], v[10:11], v[14:15]
	v_add_f64_e32 v[18:19], v[152:153], v[150:151]
	v_add_f64_e32 v[126:127], v[126:127], v[172:173]
	v_lshl_add_u64 v[152:153], v[30:31], 4, s[4:5]
	v_lshl_add_u64 v[30:31], v[96:97], 4, s[4:5]
	v_fmac_f64_e32 v[154:155], v[6:7], v[160:161]
	v_fma_f64 v[150:151], v[4:5], v[160:161], -v[162:163]
	v_fmac_f64_e32 v[134:135], v[10:11], v[12:13]
	v_fma_f64 v[8:9], v[8:9], v[12:13], -v[136:137]
	v_add_f64_e32 v[18:19], v[18:19], v[16:17]
	v_add_f64_e32 v[126:127], v[126:127], v[128:129]
	ds_load_b128 v[4:7], v2 offset:1472
	ds_load_b128 v[14:17], v2 offset:1488
	s_wait_loadcnt_dscnt 0x501
	v_mul_f64_e32 v[128:129], v[4:5], v[140:141]
	v_mul_f64_e32 v[140:141], v[6:7], v[140:141]
	v_add_f64_e32 v[10:11], v[18:19], v[150:151]
	v_add_f64_e32 v[12:13], v[126:127], v[154:155]
	s_wait_loadcnt_dscnt 0x400
	v_mul_f64_e32 v[18:19], v[14:15], v[22:23]
	v_mul_f64_e32 v[22:23], v[16:17], v[22:23]
	v_lshl_add_u64 v[154:155], v[28:29], 4, s[4:5]
	v_lshl_add_u64 v[150:151], v[32:33], 4, s[4:5]
	v_lshl_add_u64 v[32:33], v[94:95], 4, s[4:5]
	v_lshl_add_u64 v[28:29], v[98:99], 4, s[4:5]
	v_fmac_f64_e32 v[128:129], v[6:7], v[138:139]
	v_fma_f64 v[126:127], v[4:5], v[138:139], -v[140:141]
	v_lshl_add_u64 v[140:141], v[42:43], 4, s[4:5]
	v_lshl_add_u64 v[42:43], v[84:85], 4, s[4:5]
	v_add_f64_e32 v[136:137], v[10:11], v[8:9]
	v_add_f64_e32 v[12:13], v[12:13], v[134:135]
	ds_load_b128 v[4:7], v2 offset:1504
	ds_load_b128 v[8:11], v2 offset:1520
	v_fmac_f64_e32 v[18:19], v[16:17], v[20:21]
	v_fma_f64 v[14:15], v[14:15], v[20:21], -v[22:23]
	s_wait_loadcnt_dscnt 0x301
	v_mul_f64_e32 v[134:135], v[4:5], v[144:145]
	v_mul_f64_e32 v[138:139], v[6:7], v[144:145]
	s_wait_loadcnt_dscnt 0x200
	v_mul_f64_e32 v[20:21], v[8:9], v[124:125]
	v_mul_f64_e32 v[22:23], v[10:11], v[124:125]
	v_lshl_add_u64 v[144:145], v[38:39], 4, s[4:5]
	v_lshl_add_u64 v[38:39], v[88:89], 4, s[4:5]
	v_add_f64_e32 v[16:17], v[136:137], v[126:127]
	v_add_f64_e32 v[12:13], v[12:13], v[128:129]
	v_lshl_add_u64 v[136:137], v[46:47], 4, s[4:5]
	v_lshl_add_u64 v[128:129], v[64:65], 4, s[4:5]
	;; [unrolled: 1-line block ×4, first 2 shown]
	v_fmac_f64_e32 v[134:135], v[6:7], v[142:143]
	v_fma_f64 v[124:125], v[4:5], v[142:143], -v[138:139]
	v_fmac_f64_e32 v[20:21], v[10:11], v[122:123]
	v_fma_f64 v[8:9], v[8:9], v[122:123], -v[22:23]
	v_lshl_add_u64 v[142:143], v[40:41], 4, s[4:5]
	v_lshl_add_u64 v[138:139], v[44:45], 4, s[4:5]
	;; [unrolled: 1-line block ×6, first 2 shown]
	v_add_f64_e32 v[16:17], v[16:17], v[14:15]
	v_add_f64_e32 v[18:19], v[12:13], v[18:19]
	ds_load_b128 v[4:7], v2 offset:1536
	ds_load_b128 v[12:15], v2 offset:1552
	s_wait_loadcnt_dscnt 0x101
	v_mul_f64_e32 v[2:3], v[4:5], v[148:149]
	v_mul_f64_e32 v[126:127], v[6:7], v[148:149]
	s_wait_loadcnt_dscnt 0x0
	v_mul_f64_e32 v[22:23], v[14:15], v[132:133]
	v_lshl_add_u64 v[148:149], v[34:35], 4, s[4:5]
	v_lshl_add_u64 v[34:35], v[92:93], 4, s[4:5]
	v_add_f64_e32 v[10:11], v[16:17], v[124:125]
	v_add_f64_e32 v[16:17], v[18:19], v[134:135]
	v_mul_f64_e32 v[18:19], v[12:13], v[132:133]
	v_lshl_add_u64 v[134:135], v[48:49], 4, s[4:5]
	v_lshl_add_u64 v[124:125], v[54:55], 4, s[4:5]
	;; [unrolled: 1-line block ×7, first 2 shown]
	v_fmac_f64_e32 v[2:3], v[6:7], v[146:147]
	v_fma_f64 v[4:5], v[4:5], v[146:147], -v[126:127]
	v_lshl_add_u64 v[146:147], v[36:37], 4, s[4:5]
	v_lshl_add_u64 v[126:127], v[52:53], 4, s[4:5]
	;; [unrolled: 1-line block ×4, first 2 shown]
	v_add_f64_e32 v[6:7], v[10:11], v[8:9]
	v_add_f64_e32 v[8:9], v[16:17], v[20:21]
	v_fmac_f64_e32 v[18:19], v[14:15], v[130:131]
	v_fma_f64 v[10:11], v[12:13], v[130:131], -v[22:23]
	v_lshl_add_u64 v[130:131], v[50:51], 4, s[4:5]
	v_lshl_add_u64 v[50:51], v[76:77], 4, s[4:5]
	;; [unrolled: 1-line block ×7, first 2 shown]
	v_add_f64_e32 v[4:5], v[6:7], v[4:5]
	v_add_f64_e32 v[2:3], v[8:9], v[2:3]
	v_lshl_add_u64 v[8:9], v[114:115], 4, s[4:5]
	v_lshl_add_u64 v[6:7], v[116:117], 4, s[4:5]
	s_delay_alu instid0(VALU_DEP_4) | instskip(NEXT) | instid1(VALU_DEP_4)
	v_add_f64_e32 v[4:5], v[4:5], v[10:11]
	v_add_f64_e32 v[2:3], v[2:3], v[18:19]
	v_lshl_add_u64 v[18:19], v[104:105], 4, s[4:5]
	v_lshl_add_u64 v[10:11], v[112:113], 4, s[4:5]
	s_delay_alu instid0(VALU_DEP_4) | instskip(NEXT) | instid1(VALU_DEP_4)
	v_add_f64_e64 v[156:157], v[156:157], -v[4:5]
	v_add_f64_e64 v[158:159], v[158:159], -v[2:3]
	v_lshl_add_u64 v[4:5], v[118:119], 4, s[4:5]
	v_lshl_add_u64 v[2:3], v[120:121], 4, s[4:5]
	scratch_store_b128 off, v[156:159], off
	s_cbranch_vccz .LBB112_404
; %bb.308:
	v_mov_b32_e32 v66, 0
	s_load_b64 s[2:3], s[0:1], 0x4
	v_bfe_u32 v68, v0, 10, 10
	v_bfe_u32 v0, v0, 20, 10
	global_load_b32 v67, v66, s[8:9] offset:188
	s_wait_kmcnt 0x0
	s_lshr_b32 s0, s2, 16
	v_mul_u32_u24_e32 v68, s3, v68
	s_mul_i32 s0, s0, s3
	s_delay_alu instid0(SALU_CYCLE_1) | instskip(NEXT) | instid1(VALU_DEP_1)
	v_mul_u32_u24_e32 v1, s0, v1
	v_add3_u32 v0, v1, v68, v0
	s_delay_alu instid0(VALU_DEP_1)
	v_lshl_add_u32 v0, v0, 4, 0x628
	s_wait_loadcnt 0x0
	v_cmp_ne_u32_e32 vcc_lo, 48, v67
	s_cbranch_vccz .LBB112_310
; %bb.309:
	v_lshlrev_b32_e32 v1, 4, v67
	s_clause 0x1
	scratch_load_b128 v[68:71], off, s15
	scratch_load_b128 v[72:75], v1, off offset:-16
	s_wait_loadcnt 0x1
	ds_store_2addr_b64 v0, v[68:69], v[70:71] offset1:1
	s_wait_loadcnt 0x0
	s_clause 0x1
	scratch_store_b128 off, v[72:75], s15
	scratch_store_b128 v1, v[68:71], off offset:-16
.LBB112_310:
	global_load_b32 v1, v66, s[8:9] offset:184
	s_wait_loadcnt 0x0
	v_cmp_eq_u32_e32 vcc_lo, 47, v1
	s_cbranch_vccnz .LBB112_312
; %bb.311:
	v_lshlrev_b32_e32 v1, 4, v1
	s_clause 0x1
	scratch_load_b128 v[66:69], off, s17
	scratch_load_b128 v[70:73], v1, off offset:-16
	s_wait_loadcnt 0x1
	ds_store_2addr_b64 v0, v[66:67], v[68:69] offset1:1
	s_wait_loadcnt 0x0
	s_clause 0x1
	scratch_store_b128 off, v[70:73], s17
	scratch_store_b128 v1, v[66:69], off offset:-16
.LBB112_312:
	s_wait_xcnt 0x0
	v_mov_b32_e32 v1, 0
	global_load_b32 v66, v1, s[8:9] offset:180
	s_wait_loadcnt 0x0
	v_cmp_eq_u32_e32 vcc_lo, 46, v66
	s_cbranch_vccnz .LBB112_314
; %bb.313:
	v_lshlrev_b32_e32 v66, 4, v66
	s_delay_alu instid0(VALU_DEP_1)
	v_mov_b32_e32 v74, v66
	s_clause 0x1
	scratch_load_b128 v[66:69], off, s19
	scratch_load_b128 v[70:73], v74, off offset:-16
	s_wait_loadcnt 0x1
	ds_store_2addr_b64 v0, v[66:67], v[68:69] offset1:1
	s_wait_loadcnt 0x0
	s_clause 0x1
	scratch_store_b128 off, v[70:73], s19
	scratch_store_b128 v74, v[66:69], off offset:-16
.LBB112_314:
	global_load_b32 v1, v1, s[8:9] offset:176
	s_wait_loadcnt 0x0
	v_cmp_eq_u32_e32 vcc_lo, 45, v1
	s_cbranch_vccnz .LBB112_316
; %bb.315:
	s_wait_xcnt 0x0
	v_lshlrev_b32_e32 v1, 4, v1
	s_clause 0x1
	scratch_load_b128 v[66:69], off, s20
	scratch_load_b128 v[70:73], v1, off offset:-16
	s_wait_loadcnt 0x1
	ds_store_2addr_b64 v0, v[66:67], v[68:69] offset1:1
	s_wait_loadcnt 0x0
	s_clause 0x1
	scratch_store_b128 off, v[70:73], s20
	scratch_store_b128 v1, v[66:69], off offset:-16
.LBB112_316:
	s_wait_xcnt 0x0
	v_mov_b32_e32 v1, 0
	global_load_b32 v66, v1, s[8:9] offset:172
	s_wait_loadcnt 0x0
	v_cmp_eq_u32_e32 vcc_lo, 44, v66
	s_cbranch_vccnz .LBB112_318
; %bb.317:
	v_lshlrev_b32_e32 v66, 4, v66
	s_delay_alu instid0(VALU_DEP_1)
	v_mov_b32_e32 v74, v66
	s_clause 0x1
	scratch_load_b128 v[66:69], off, s21
	scratch_load_b128 v[70:73], v74, off offset:-16
	s_wait_loadcnt 0x1
	ds_store_2addr_b64 v0, v[66:67], v[68:69] offset1:1
	s_wait_loadcnt 0x0
	s_clause 0x1
	scratch_store_b128 off, v[70:73], s21
	scratch_store_b128 v74, v[66:69], off offset:-16
.LBB112_318:
	global_load_b32 v1, v1, s[8:9] offset:168
	s_wait_loadcnt 0x0
	v_cmp_eq_u32_e32 vcc_lo, 43, v1
	s_cbranch_vccnz .LBB112_320
; %bb.319:
	s_wait_xcnt 0x0
	v_lshlrev_b32_e32 v1, 4, v1
	s_clause 0x1
	scratch_load_b128 v[66:69], off, s22
	scratch_load_b128 v[70:73], v1, off offset:-16
	s_wait_loadcnt 0x1
	ds_store_2addr_b64 v0, v[66:67], v[68:69] offset1:1
	s_wait_loadcnt 0x0
	s_clause 0x1
	scratch_store_b128 off, v[70:73], s22
	scratch_store_b128 v1, v[66:69], off offset:-16
.LBB112_320:
	;; [unrolled: 37-line block ×22, first 2 shown]
	s_wait_xcnt 0x0
	v_mov_b32_e32 v1, 0
	global_load_b32 v66, v1, s[8:9] offset:4
	s_wait_loadcnt 0x0
	v_cmp_eq_u32_e32 vcc_lo, 2, v66
	s_cbranch_vccnz .LBB112_402
; %bb.401:
	v_lshlrev_b32_e32 v66, 4, v66
	s_delay_alu instid0(VALU_DEP_1)
	v_mov_b32_e32 v74, v66
	s_clause 0x1
	scratch_load_b128 v[66:69], off, s18
	scratch_load_b128 v[70:73], v74, off offset:-16
	s_wait_loadcnt 0x1
	ds_store_2addr_b64 v0, v[66:67], v[68:69] offset1:1
	s_wait_loadcnt 0x0
	s_clause 0x1
	scratch_store_b128 off, v[70:73], s18
	scratch_store_b128 v74, v[66:69], off offset:-16
.LBB112_402:
	global_load_b32 v1, v1, s[8:9]
	s_wait_loadcnt 0x0
	v_cmp_eq_u32_e32 vcc_lo, 1, v1
	s_cbranch_vccnz .LBB112_404
; %bb.403:
	s_wait_xcnt 0x0
	v_lshlrev_b32_e32 v1, 4, v1
	scratch_load_b128 v[66:69], off, off
	scratch_load_b128 v[70:73], v1, off offset:-16
	s_wait_loadcnt 0x1
	ds_store_2addr_b64 v0, v[66:67], v[68:69] offset1:1
	s_wait_loadcnt 0x0
	scratch_store_b128 off, v[70:73], off
	scratch_store_b128 v1, v[66:69], off offset:-16
.LBB112_404:
	scratch_load_b128 v[66:69], off, off
	s_wait_loadcnt 0x0
	flat_store_b128 v[24:25], v[66:69]
	scratch_load_b128 v[66:69], off, s18
	s_wait_loadcnt 0x0
	flat_store_b128 v[26:27], v[66:69]
	scratch_load_b128 v[24:27], off, s16
	;; [unrolled: 3-line block ×48, first 2 shown]
	s_wait_loadcnt 0x0
	flat_store_b128 v[2:3], v[4:7]
	s_sendmsg sendmsg(MSG_DEALLOC_VGPRS)
	s_endpgm
	.section	.rodata,"a",@progbits
	.p2align	6, 0x0
	.amdhsa_kernel _ZN9rocsolver6v33100L18getri_kernel_smallILi49E19rocblas_complex_numIdEPKPS3_EEvT1_iilPiilS8_bb
		.amdhsa_group_segment_fixed_size 2600
		.amdhsa_private_segment_fixed_size 800
		.amdhsa_kernarg_size 60
		.amdhsa_user_sgpr_count 4
		.amdhsa_user_sgpr_dispatch_ptr 1
		.amdhsa_user_sgpr_queue_ptr 0
		.amdhsa_user_sgpr_kernarg_segment_ptr 1
		.amdhsa_user_sgpr_dispatch_id 0
		.amdhsa_user_sgpr_kernarg_preload_length 0
		.amdhsa_user_sgpr_kernarg_preload_offset 0
		.amdhsa_user_sgpr_private_segment_size 0
		.amdhsa_wavefront_size32 1
		.amdhsa_uses_dynamic_stack 0
		.amdhsa_enable_private_segment 1
		.amdhsa_system_sgpr_workgroup_id_x 1
		.amdhsa_system_sgpr_workgroup_id_y 0
		.amdhsa_system_sgpr_workgroup_id_z 0
		.amdhsa_system_sgpr_workgroup_info 0
		.amdhsa_system_vgpr_workitem_id 2
		.amdhsa_next_free_vgpr 180
		.amdhsa_next_free_sgpr 84
		.amdhsa_named_barrier_count 0
		.amdhsa_reserve_vcc 1
		.amdhsa_float_round_mode_32 0
		.amdhsa_float_round_mode_16_64 0
		.amdhsa_float_denorm_mode_32 3
		.amdhsa_float_denorm_mode_16_64 3
		.amdhsa_fp16_overflow 0
		.amdhsa_memory_ordered 1
		.amdhsa_forward_progress 1
		.amdhsa_inst_pref_size 255
		.amdhsa_round_robin_scheduling 0
		.amdhsa_exception_fp_ieee_invalid_op 0
		.amdhsa_exception_fp_denorm_src 0
		.amdhsa_exception_fp_ieee_div_zero 0
		.amdhsa_exception_fp_ieee_overflow 0
		.amdhsa_exception_fp_ieee_underflow 0
		.amdhsa_exception_fp_ieee_inexact 0
		.amdhsa_exception_int_div_zero 0
	.end_amdhsa_kernel
	.section	.text._ZN9rocsolver6v33100L18getri_kernel_smallILi49E19rocblas_complex_numIdEPKPS3_EEvT1_iilPiilS8_bb,"axG",@progbits,_ZN9rocsolver6v33100L18getri_kernel_smallILi49E19rocblas_complex_numIdEPKPS3_EEvT1_iilPiilS8_bb,comdat
.Lfunc_end112:
	.size	_ZN9rocsolver6v33100L18getri_kernel_smallILi49E19rocblas_complex_numIdEPKPS3_EEvT1_iilPiilS8_bb, .Lfunc_end112-_ZN9rocsolver6v33100L18getri_kernel_smallILi49E19rocblas_complex_numIdEPKPS3_EEvT1_iilPiilS8_bb
                                        ; -- End function
	.set _ZN9rocsolver6v33100L18getri_kernel_smallILi49E19rocblas_complex_numIdEPKPS3_EEvT1_iilPiilS8_bb.num_vgpr, 180
	.set _ZN9rocsolver6v33100L18getri_kernel_smallILi49E19rocblas_complex_numIdEPKPS3_EEvT1_iilPiilS8_bb.num_agpr, 0
	.set _ZN9rocsolver6v33100L18getri_kernel_smallILi49E19rocblas_complex_numIdEPKPS3_EEvT1_iilPiilS8_bb.numbered_sgpr, 84
	.set _ZN9rocsolver6v33100L18getri_kernel_smallILi49E19rocblas_complex_numIdEPKPS3_EEvT1_iilPiilS8_bb.num_named_barrier, 0
	.set _ZN9rocsolver6v33100L18getri_kernel_smallILi49E19rocblas_complex_numIdEPKPS3_EEvT1_iilPiilS8_bb.private_seg_size, 800
	.set _ZN9rocsolver6v33100L18getri_kernel_smallILi49E19rocblas_complex_numIdEPKPS3_EEvT1_iilPiilS8_bb.uses_vcc, 1
	.set _ZN9rocsolver6v33100L18getri_kernel_smallILi49E19rocblas_complex_numIdEPKPS3_EEvT1_iilPiilS8_bb.uses_flat_scratch, 1
	.set _ZN9rocsolver6v33100L18getri_kernel_smallILi49E19rocblas_complex_numIdEPKPS3_EEvT1_iilPiilS8_bb.has_dyn_sized_stack, 0
	.set _ZN9rocsolver6v33100L18getri_kernel_smallILi49E19rocblas_complex_numIdEPKPS3_EEvT1_iilPiilS8_bb.has_recursion, 0
	.set _ZN9rocsolver6v33100L18getri_kernel_smallILi49E19rocblas_complex_numIdEPKPS3_EEvT1_iilPiilS8_bb.has_indirect_call, 0
	.section	.AMDGPU.csdata,"",@progbits
; Kernel info:
; codeLenInByte = 91616
; TotalNumSgprs: 86
; NumVgprs: 180
; ScratchSize: 800
; MemoryBound: 0
; FloatMode: 240
; IeeeMode: 1
; LDSByteSize: 2600 bytes/workgroup (compile time only)
; SGPRBlocks: 0
; VGPRBlocks: 11
; NumSGPRsForWavesPerEU: 86
; NumVGPRsForWavesPerEU: 180
; NamedBarCnt: 0
; Occupancy: 5
; WaveLimiterHint : 1
; COMPUTE_PGM_RSRC2:SCRATCH_EN: 1
; COMPUTE_PGM_RSRC2:USER_SGPR: 4
; COMPUTE_PGM_RSRC2:TRAP_HANDLER: 0
; COMPUTE_PGM_RSRC2:TGID_X_EN: 1
; COMPUTE_PGM_RSRC2:TGID_Y_EN: 0
; COMPUTE_PGM_RSRC2:TGID_Z_EN: 0
; COMPUTE_PGM_RSRC2:TIDIG_COMP_CNT: 2
	.section	.text._ZN9rocsolver6v33100L18getri_kernel_smallILi50E19rocblas_complex_numIdEPKPS3_EEvT1_iilPiilS8_bb,"axG",@progbits,_ZN9rocsolver6v33100L18getri_kernel_smallILi50E19rocblas_complex_numIdEPKPS3_EEvT1_iilPiilS8_bb,comdat
	.globl	_ZN9rocsolver6v33100L18getri_kernel_smallILi50E19rocblas_complex_numIdEPKPS3_EEvT1_iilPiilS8_bb ; -- Begin function _ZN9rocsolver6v33100L18getri_kernel_smallILi50E19rocblas_complex_numIdEPKPS3_EEvT1_iilPiilS8_bb
	.p2align	8
	.type	_ZN9rocsolver6v33100L18getri_kernel_smallILi50E19rocblas_complex_numIdEPKPS3_EEvT1_iilPiilS8_bb,@function
_ZN9rocsolver6v33100L18getri_kernel_smallILi50E19rocblas_complex_numIdEPKPS3_EEvT1_iilPiilS8_bb: ; @_ZN9rocsolver6v33100L18getri_kernel_smallILi50E19rocblas_complex_numIdEPKPS3_EEvT1_iilPiilS8_bb
; %bb.0:
	v_and_b32_e32 v1, 0x3ff, v0
	s_mov_b32 s4, exec_lo
	s_delay_alu instid0(VALU_DEP_1)
	v_cmpx_gt_u32_e32 50, v1
	s_cbranch_execz .LBB113_214
; %bb.1:
	s_clause 0x1
	s_load_b32 s16, s[2:3], 0x38
	s_load_b64 s[8:9], s[2:3], 0x0
	s_getreg_b32 s6, hwreg(HW_REG_IB_STS2, 6, 4)
	s_wait_kmcnt 0x0
	s_bitcmp1_b32 s16, 8
	s_cselect_b32 s62, -1, 0
	s_bfe_u32 s4, ttmp6, 0x4000c
	s_and_b32 s5, ttmp6, 15
	s_add_co_i32 s4, s4, 1
	s_delay_alu instid0(SALU_CYCLE_1) | instskip(NEXT) | instid1(SALU_CYCLE_1)
	s_mul_i32 s4, ttmp9, s4
	s_add_co_i32 s5, s5, s4
	s_cmp_eq_u32 s6, 0
	s_cselect_b32 s10, ttmp9, s5
	s_load_b128 s[4:7], s[2:3], 0x28
	s_ashr_i32 s11, s10, 31
	s_delay_alu instid0(SALU_CYCLE_1) | instskip(NEXT) | instid1(SALU_CYCLE_1)
	s_lshl_b64 s[12:13], s[10:11], 3
	s_add_nc_u64 s[8:9], s[8:9], s[12:13]
	s_load_b64 s[14:15], s[8:9], 0x0
	s_wait_xcnt 0x0
	s_bfe_u32 s8, s16, 0x10008
	s_delay_alu instid0(SALU_CYCLE_1)
	s_cmp_eq_u32 s8, 0
                                        ; implicit-def: $sgpr8_sgpr9
	s_cbranch_scc1 .LBB113_3
; %bb.2:
	s_load_b96 s[16:18], s[2:3], 0x18
	s_wait_kmcnt 0x0
	s_mul_u64 s[4:5], s[4:5], s[10:11]
	s_delay_alu instid0(SALU_CYCLE_1) | instskip(SKIP_4) | instid1(SALU_CYCLE_1)
	s_lshl_b64 s[4:5], s[4:5], 2
	s_ashr_i32 s9, s18, 31
	s_mov_b32 s8, s18
	s_add_nc_u64 s[4:5], s[16:17], s[4:5]
	s_lshl_b64 s[8:9], s[8:9], 2
	s_add_nc_u64 s[8:9], s[4:5], s[8:9]
.LBB113_3:
	s_clause 0x1
	s_load_b64 s[12:13], s[2:3], 0x8
	s_load_b32 s63, s[2:3], 0x38
	v_dual_mov_b32 v15, 0 :: v_dual_lshlrev_b32 v14, 4, v1
	s_movk_i32 s64, 0x1d0
	s_movk_i32 s65, 0x1e0
	;; [unrolled: 1-line block ×16, first 2 shown]
	s_wait_kmcnt 0x0
	s_ashr_i32 s3, s12, 31
	s_mov_b32 s2, s12
	v_add3_u32 v28, s13, s13, v1
	s_lshl_b64 s[2:3], s[2:3], 4
	s_movk_i32 s80, 0x2d0
	s_add_nc_u64 s[4:5], s[14:15], s[2:3]
	s_ashr_i32 s3, s13, 31
	flat_load_b128 v[2:5], v1, s[4:5] scale_offset
	v_add_nc_u64_e32 v[24:25], s[4:5], v[14:15]
	s_mov_b32 s2, s13
	v_add_nc_u32_e32 v30, s13, v28
	s_movk_i32 s81, 0x2e0
	s_movk_i32 s82, 0x2f0
	;; [unrolled: 1-line block ×4, first 2 shown]
	v_lshl_add_u64 v[26:27], s[2:3], 4, v[24:25]
	v_add_nc_u32_e32 v32, s13, v30
	s_mov_b32 s18, 16
	s_mov_b32 s16, 32
	;; [unrolled: 1-line block ×4, first 2 shown]
	v_add_nc_u32_e32 v34, s13, v32
	s_movk_i32 s61, 0x50
	s_movk_i32 s60, 0x60
	s_movk_i32 s59, 0x70
	s_movk_i32 s58, 0x80
	v_add_nc_u32_e32 v36, s13, v34
	s_movk_i32 s57, 0x90
	s_movk_i32 s56, 0xa0
	s_movk_i32 s55, 0xb0
	s_movk_i32 s54, 0xc0
	;; [unrolled: 5-line block ×6, first 2 shown]
	v_add_nc_u32_e32 v46, s13, v44
	s_mov_b32 s37, s64
	s_mov_b32 s36, s65
	s_mov_b32 s35, s66
	s_mov_b32 s34, s67
	v_add_nc_u32_e32 v48, s13, v46
	s_mov_b32 s33, s68
	s_mov_b32 s31, s69
	s_mov_b32 s30, s70
	s_mov_b32 s29, s71
	;; [unrolled: 5-line block ×5, first 2 shown]
	v_add_nc_u32_e32 v56, s13, v54
	s_bitcmp0_b32 s63, 0
	s_mov_b32 s3, -1
	s_delay_alu instid0(VALU_DEP_1) | instskip(NEXT) | instid1(VALU_DEP_1)
	v_add_nc_u32_e32 v58, s13, v56
	v_add_nc_u32_e32 v60, s13, v58
	s_delay_alu instid0(VALU_DEP_1) | instskip(NEXT) | instid1(VALU_DEP_1)
	v_add_nc_u32_e32 v64, s13, v60
	v_add_nc_u32_e32 v62, s13, v64
	;; [unrolled: 3-line block ×16, first 2 shown]
	s_delay_alu instid0(VALU_DEP_1)
	v_add_nc_u32_e32 v122, s13, v120
	s_mov_b32 s13, s84
	s_wait_loadcnt_dscnt 0x0
	scratch_store_b128 off, v[2:5], off
	flat_load_b128 v[2:5], v[26:27]
	s_wait_loadcnt_dscnt 0x0
	scratch_store_b128 off, v[2:5], off offset:16
	flat_load_b128 v[2:5], v28, s[4:5] scale_offset
	s_wait_loadcnt_dscnt 0x0
	scratch_store_b128 off, v[2:5], off offset:32
	flat_load_b128 v[2:5], v30, s[4:5] scale_offset
	;; [unrolled: 3-line block ×48, first 2 shown]
	s_wait_loadcnt_dscnt 0x0
	scratch_store_b128 off, v[2:5], off offset:784
	s_cbranch_scc1 .LBB113_212
; %bb.4:
	v_cmp_eq_u32_e64 s2, 0, v1
	s_wait_xcnt 0x0
	s_and_saveexec_b32 s3, s2
; %bb.5:
	v_mov_b32_e32 v2, 0
	ds_store_b32 v2, v2 offset:1600
; %bb.6:
	s_or_b32 exec_lo, exec_lo, s3
	s_wait_storecnt_dscnt 0x0
	s_barrier_signal -1
	s_barrier_wait -1
	scratch_load_b128 v[2:5], v1, off scale_offset
	s_wait_loadcnt 0x0
	v_cmp_eq_f64_e32 vcc_lo, 0, v[2:3]
	v_cmp_eq_f64_e64 s3, 0, v[4:5]
	s_and_b32 s3, vcc_lo, s3
	s_delay_alu instid0(SALU_CYCLE_1)
	s_and_saveexec_b32 s63, s3
	s_cbranch_execz .LBB113_10
; %bb.7:
	v_mov_b32_e32 v2, 0
	s_mov_b32 s64, 0
	ds_load_b32 v3, v2 offset:1600
	s_wait_dscnt 0x0
	v_readfirstlane_b32 s3, v3
	v_add_nc_u32_e32 v3, 1, v1
	s_cmp_eq_u32 s3, 0
	s_delay_alu instid0(VALU_DEP_1) | instskip(SKIP_1) | instid1(SALU_CYCLE_1)
	v_cmp_gt_i32_e32 vcc_lo, s3, v3
	s_cselect_b32 s65, -1, 0
	s_or_b32 s65, s65, vcc_lo
	s_delay_alu instid0(SALU_CYCLE_1)
	s_and_b32 exec_lo, exec_lo, s65
	s_cbranch_execz .LBB113_10
; %bb.8:
	v_mov_b32_e32 v4, s3
.LBB113_9:                              ; =>This Inner Loop Header: Depth=1
	ds_cmpstore_rtn_b32 v4, v2, v3, v4 offset:1600
	s_wait_dscnt 0x0
	v_cmp_ne_u32_e32 vcc_lo, 0, v4
	v_cmp_le_i32_e64 s3, v4, v3
	s_and_b32 s3, vcc_lo, s3
	s_delay_alu instid0(SALU_CYCLE_1) | instskip(NEXT) | instid1(SALU_CYCLE_1)
	s_and_b32 s3, exec_lo, s3
	s_or_b32 s64, s3, s64
	s_delay_alu instid0(SALU_CYCLE_1)
	s_and_not1_b32 exec_lo, exec_lo, s64
	s_cbranch_execnz .LBB113_9
.LBB113_10:
	s_or_b32 exec_lo, exec_lo, s63
	v_mov_b32_e32 v2, 0
	s_barrier_signal -1
	s_barrier_wait -1
	ds_load_b32 v3, v2 offset:1600
	s_and_saveexec_b32 s3, s2
	s_cbranch_execz .LBB113_12
; %bb.11:
	s_lshl_b64 s[64:65], s[10:11], 2
	s_delay_alu instid0(SALU_CYCLE_1)
	s_add_nc_u64 s[64:65], s[6:7], s[64:65]
	s_wait_dscnt 0x0
	global_store_b32 v2, v3, s[64:65]
.LBB113_12:
	s_wait_xcnt 0x0
	s_or_b32 exec_lo, exec_lo, s3
	s_wait_dscnt 0x0
	v_cmp_ne_u32_e32 vcc_lo, 0, v3
	s_mov_b32 s3, 0
	s_cbranch_vccnz .LBB113_212
; %bb.13:
	v_lshl_add_u32 v15, v1, 4, 0
                                        ; implicit-def: $vgpr6_vgpr7
                                        ; implicit-def: $vgpr10_vgpr11
	scratch_load_b128 v[2:5], v15, off
	s_wait_loadcnt 0x0
	v_cmp_ngt_f64_e64 s3, |v[2:3]|, |v[4:5]|
	s_wait_xcnt 0x0
	s_and_saveexec_b32 s63, s3
	s_delay_alu instid0(SALU_CYCLE_1)
	s_xor_b32 s3, exec_lo, s63
	s_cbranch_execz .LBB113_15
; %bb.14:
	v_div_scale_f64 v[6:7], null, v[4:5], v[4:5], v[2:3]
	v_div_scale_f64 v[12:13], vcc_lo, v[2:3], v[4:5], v[2:3]
	s_delay_alu instid0(VALU_DEP_2) | instskip(SKIP_1) | instid1(TRANS32_DEP_1)
	v_rcp_f64_e32 v[8:9], v[6:7]
	v_nop
	v_fma_f64 v[10:11], -v[6:7], v[8:9], 1.0
	s_delay_alu instid0(VALU_DEP_1) | instskip(NEXT) | instid1(VALU_DEP_1)
	v_fmac_f64_e32 v[8:9], v[8:9], v[10:11]
	v_fma_f64 v[10:11], -v[6:7], v[8:9], 1.0
	s_delay_alu instid0(VALU_DEP_1) | instskip(NEXT) | instid1(VALU_DEP_1)
	v_fmac_f64_e32 v[8:9], v[8:9], v[10:11]
	v_mul_f64_e32 v[10:11], v[12:13], v[8:9]
	s_delay_alu instid0(VALU_DEP_1) | instskip(NEXT) | instid1(VALU_DEP_1)
	v_fma_f64 v[6:7], -v[6:7], v[10:11], v[12:13]
	v_div_fmas_f64 v[6:7], v[6:7], v[8:9], v[10:11]
	s_delay_alu instid0(VALU_DEP_1) | instskip(NEXT) | instid1(VALU_DEP_1)
	v_div_fixup_f64 v[6:7], v[6:7], v[4:5], v[2:3]
	v_fmac_f64_e32 v[4:5], v[2:3], v[6:7]
	s_delay_alu instid0(VALU_DEP_1) | instskip(SKIP_1) | instid1(VALU_DEP_2)
	v_div_scale_f64 v[2:3], null, v[4:5], v[4:5], 1.0
	v_div_scale_f64 v[12:13], vcc_lo, 1.0, v[4:5], 1.0
	v_rcp_f64_e32 v[8:9], v[2:3]
	v_nop
	s_delay_alu instid0(TRANS32_DEP_1) | instskip(NEXT) | instid1(VALU_DEP_1)
	v_fma_f64 v[10:11], -v[2:3], v[8:9], 1.0
	v_fmac_f64_e32 v[8:9], v[8:9], v[10:11]
	s_delay_alu instid0(VALU_DEP_1) | instskip(NEXT) | instid1(VALU_DEP_1)
	v_fma_f64 v[10:11], -v[2:3], v[8:9], 1.0
	v_fmac_f64_e32 v[8:9], v[8:9], v[10:11]
	s_delay_alu instid0(VALU_DEP_1) | instskip(NEXT) | instid1(VALU_DEP_1)
	v_mul_f64_e32 v[10:11], v[12:13], v[8:9]
	v_fma_f64 v[2:3], -v[2:3], v[10:11], v[12:13]
	s_delay_alu instid0(VALU_DEP_1) | instskip(NEXT) | instid1(VALU_DEP_1)
	v_div_fmas_f64 v[2:3], v[2:3], v[8:9], v[10:11]
	v_div_fixup_f64 v[8:9], v[2:3], v[4:5], 1.0
                                        ; implicit-def: $vgpr2_vgpr3
	s_delay_alu instid0(VALU_DEP_1) | instskip(SKIP_1) | instid1(VALU_DEP_2)
	v_mul_f64_e32 v[6:7], v[6:7], v[8:9]
	v_xor_b32_e32 v9, 0x80000000, v9
	v_xor_b32_e32 v11, 0x80000000, v7
	s_delay_alu instid0(VALU_DEP_3)
	v_mov_b32_e32 v10, v6
.LBB113_15:
	s_and_not1_saveexec_b32 s3, s3
	s_cbranch_execz .LBB113_17
; %bb.16:
	v_div_scale_f64 v[6:7], null, v[2:3], v[2:3], v[4:5]
	v_div_scale_f64 v[12:13], vcc_lo, v[4:5], v[2:3], v[4:5]
	s_delay_alu instid0(VALU_DEP_2) | instskip(SKIP_1) | instid1(TRANS32_DEP_1)
	v_rcp_f64_e32 v[8:9], v[6:7]
	v_nop
	v_fma_f64 v[10:11], -v[6:7], v[8:9], 1.0
	s_delay_alu instid0(VALU_DEP_1) | instskip(NEXT) | instid1(VALU_DEP_1)
	v_fmac_f64_e32 v[8:9], v[8:9], v[10:11]
	v_fma_f64 v[10:11], -v[6:7], v[8:9], 1.0
	s_delay_alu instid0(VALU_DEP_1) | instskip(NEXT) | instid1(VALU_DEP_1)
	v_fmac_f64_e32 v[8:9], v[8:9], v[10:11]
	v_mul_f64_e32 v[10:11], v[12:13], v[8:9]
	s_delay_alu instid0(VALU_DEP_1) | instskip(NEXT) | instid1(VALU_DEP_1)
	v_fma_f64 v[6:7], -v[6:7], v[10:11], v[12:13]
	v_div_fmas_f64 v[6:7], v[6:7], v[8:9], v[10:11]
	s_delay_alu instid0(VALU_DEP_1) | instskip(NEXT) | instid1(VALU_DEP_1)
	v_div_fixup_f64 v[8:9], v[6:7], v[2:3], v[4:5]
	v_fmac_f64_e32 v[2:3], v[4:5], v[8:9]
	s_delay_alu instid0(VALU_DEP_1) | instskip(NEXT) | instid1(VALU_DEP_1)
	v_div_scale_f64 v[4:5], null, v[2:3], v[2:3], 1.0
	v_rcp_f64_e32 v[6:7], v[4:5]
	v_nop
	s_delay_alu instid0(TRANS32_DEP_1) | instskip(NEXT) | instid1(VALU_DEP_1)
	v_fma_f64 v[10:11], -v[4:5], v[6:7], 1.0
	v_fmac_f64_e32 v[6:7], v[6:7], v[10:11]
	s_delay_alu instid0(VALU_DEP_1) | instskip(NEXT) | instid1(VALU_DEP_1)
	v_fma_f64 v[10:11], -v[4:5], v[6:7], 1.0
	v_fmac_f64_e32 v[6:7], v[6:7], v[10:11]
	v_div_scale_f64 v[10:11], vcc_lo, 1.0, v[2:3], 1.0
	s_delay_alu instid0(VALU_DEP_1) | instskip(NEXT) | instid1(VALU_DEP_1)
	v_mul_f64_e32 v[12:13], v[10:11], v[6:7]
	v_fma_f64 v[4:5], -v[4:5], v[12:13], v[10:11]
	s_delay_alu instid0(VALU_DEP_1) | instskip(NEXT) | instid1(VALU_DEP_1)
	v_div_fmas_f64 v[4:5], v[4:5], v[6:7], v[12:13]
	v_div_fixup_f64 v[6:7], v[4:5], v[2:3], 1.0
	s_delay_alu instid0(VALU_DEP_1)
	v_mul_f64_e64 v[8:9], v[8:9], -v[6:7]
	v_xor_b32_e32 v11, 0x80000000, v7
	v_mov_b32_e32 v10, v6
.LBB113_17:
	s_or_b32 exec_lo, exec_lo, s3
	s_clause 0x1
	scratch_store_b128 v15, v[6:9], off
	scratch_load_b128 v[2:5], off, s18
	v_xor_b32_e32 v13, 0x80000000, v9
	v_mov_b32_e32 v12, v8
	s_wait_xcnt 0x1
	v_add_nc_u32_e32 v6, 0x320, v14
	ds_store_b128 v14, v[10:13]
	s_wait_loadcnt 0x0
	ds_store_b128 v14, v[2:5] offset:800
	s_wait_storecnt_dscnt 0x0
	s_barrier_signal -1
	s_barrier_wait -1
	s_wait_xcnt 0x0
	s_and_saveexec_b32 s3, s2
	s_cbranch_execz .LBB113_19
; %bb.18:
	scratch_load_b128 v[2:5], v15, off
	ds_load_b128 v[8:11], v6
	v_mov_b32_e32 v7, 0
	ds_load_b128 v[16:19], v7 offset:16
	s_wait_loadcnt_dscnt 0x1
	v_mul_f64_e32 v[12:13], v[8:9], v[4:5]
	v_mul_f64_e32 v[4:5], v[10:11], v[4:5]
	s_delay_alu instid0(VALU_DEP_2) | instskip(NEXT) | instid1(VALU_DEP_2)
	v_fmac_f64_e32 v[12:13], v[10:11], v[2:3]
	v_fma_f64 v[2:3], v[8:9], v[2:3], -v[4:5]
	s_delay_alu instid0(VALU_DEP_2) | instskip(NEXT) | instid1(VALU_DEP_2)
	v_add_f64_e32 v[8:9], 0, v[12:13]
	v_add_f64_e32 v[2:3], 0, v[2:3]
	s_wait_dscnt 0x0
	s_delay_alu instid0(VALU_DEP_2) | instskip(NEXT) | instid1(VALU_DEP_2)
	v_mul_f64_e32 v[10:11], v[8:9], v[18:19]
	v_mul_f64_e32 v[4:5], v[2:3], v[18:19]
	s_delay_alu instid0(VALU_DEP_2) | instskip(NEXT) | instid1(VALU_DEP_2)
	v_fma_f64 v[2:3], v[2:3], v[16:17], -v[10:11]
	v_fmac_f64_e32 v[4:5], v[8:9], v[16:17]
	scratch_store_b128 off, v[2:5], off offset:16
.LBB113_19:
	s_wait_xcnt 0x0
	s_or_b32 exec_lo, exec_lo, s3
	s_wait_storecnt 0x0
	s_barrier_signal -1
	s_barrier_wait -1
	scratch_load_b128 v[2:5], off, s16
	s_mov_b32 s3, exec_lo
	s_wait_loadcnt 0x0
	ds_store_b128 v6, v[2:5]
	s_wait_dscnt 0x0
	s_barrier_signal -1
	s_barrier_wait -1
	v_cmpx_gt_u32_e32 2, v1
	s_cbranch_execz .LBB113_23
; %bb.20:
	scratch_load_b128 v[2:5], v15, off
	ds_load_b128 v[8:11], v6
	s_wait_loadcnt_dscnt 0x0
	v_mul_f64_e32 v[12:13], v[10:11], v[4:5]
	v_mul_f64_e32 v[16:17], v[8:9], v[4:5]
	s_delay_alu instid0(VALU_DEP_2) | instskip(NEXT) | instid1(VALU_DEP_2)
	v_fma_f64 v[4:5], v[8:9], v[2:3], -v[12:13]
	v_fmac_f64_e32 v[16:17], v[10:11], v[2:3]
	s_delay_alu instid0(VALU_DEP_2) | instskip(NEXT) | instid1(VALU_DEP_2)
	v_add_f64_e32 v[4:5], 0, v[4:5]
	v_add_f64_e32 v[2:3], 0, v[16:17]
	s_and_saveexec_b32 s63, s2
	s_cbranch_execz .LBB113_22
; %bb.21:
	scratch_load_b128 v[8:11], off, off offset:16
	v_mov_b32_e32 v7, 0
	ds_load_b128 v[16:19], v7 offset:816
	s_wait_loadcnt_dscnt 0x0
	v_mul_f64_e32 v[12:13], v[16:17], v[10:11]
	v_mul_f64_e32 v[10:11], v[18:19], v[10:11]
	s_delay_alu instid0(VALU_DEP_2) | instskip(NEXT) | instid1(VALU_DEP_2)
	v_fmac_f64_e32 v[12:13], v[18:19], v[8:9]
	v_fma_f64 v[8:9], v[16:17], v[8:9], -v[10:11]
	s_delay_alu instid0(VALU_DEP_2) | instskip(NEXT) | instid1(VALU_DEP_2)
	v_add_f64_e32 v[2:3], v[2:3], v[12:13]
	v_add_f64_e32 v[4:5], v[4:5], v[8:9]
.LBB113_22:
	s_or_b32 exec_lo, exec_lo, s63
	v_mov_b32_e32 v7, 0
	ds_load_b128 v[8:11], v7 offset:32
	s_wait_dscnt 0x0
	v_mul_f64_e32 v[16:17], v[2:3], v[10:11]
	v_mul_f64_e32 v[12:13], v[4:5], v[10:11]
	s_delay_alu instid0(VALU_DEP_2) | instskip(NEXT) | instid1(VALU_DEP_2)
	v_fma_f64 v[10:11], v[4:5], v[8:9], -v[16:17]
	v_fmac_f64_e32 v[12:13], v[2:3], v[8:9]
	scratch_store_b128 off, v[10:13], off offset:32
.LBB113_23:
	s_wait_xcnt 0x0
	s_or_b32 exec_lo, exec_lo, s3
	s_wait_storecnt 0x0
	s_barrier_signal -1
	s_barrier_wait -1
	scratch_load_b128 v[2:5], off, s14
	v_add_nc_u32_e32 v7, -1, v1
	s_mov_b32 s2, exec_lo
	s_wait_loadcnt 0x0
	ds_store_b128 v6, v[2:5]
	s_wait_dscnt 0x0
	s_barrier_signal -1
	s_barrier_wait -1
	v_cmpx_gt_u32_e32 3, v1
	s_cbranch_execz .LBB113_27
; %bb.24:
	v_dual_mov_b32 v10, v14 :: v_dual_add_nc_u32 v8, -1, v1
	v_mov_b64_e32 v[2:3], 0
	v_mov_b64_e32 v[4:5], 0
	v_add_nc_u32_e32 v9, 0x320, v14
	s_delay_alu instid0(VALU_DEP_4)
	v_or_b32_e32 v10, 8, v10
	s_mov_b32 s3, 0
.LBB113_25:                             ; =>This Inner Loop Header: Depth=1
	scratch_load_b128 v[16:19], v10, off offset:-8
	ds_load_b128 v[20:23], v9
	v_dual_add_nc_u32 v8, 1, v8 :: v_dual_add_nc_u32 v9, 16, v9
	s_wait_xcnt 0x0
	v_add_nc_u32_e32 v10, 16, v10
	s_delay_alu instid0(VALU_DEP_2) | instskip(SKIP_4) | instid1(VALU_DEP_2)
	v_cmp_lt_u32_e32 vcc_lo, 1, v8
	s_or_b32 s3, vcc_lo, s3
	s_wait_loadcnt_dscnt 0x0
	v_mul_f64_e32 v[12:13], v[22:23], v[18:19]
	v_mul_f64_e32 v[18:19], v[20:21], v[18:19]
	v_fma_f64 v[12:13], v[20:21], v[16:17], -v[12:13]
	s_delay_alu instid0(VALU_DEP_2) | instskip(NEXT) | instid1(VALU_DEP_2)
	v_fmac_f64_e32 v[18:19], v[22:23], v[16:17]
	v_add_f64_e32 v[4:5], v[4:5], v[12:13]
	s_delay_alu instid0(VALU_DEP_2)
	v_add_f64_e32 v[2:3], v[2:3], v[18:19]
	s_and_not1_b32 exec_lo, exec_lo, s3
	s_cbranch_execnz .LBB113_25
; %bb.26:
	s_or_b32 exec_lo, exec_lo, s3
	v_mov_b32_e32 v8, 0
	ds_load_b128 v[8:11], v8 offset:48
	s_wait_dscnt 0x0
	v_mul_f64_e32 v[16:17], v[2:3], v[10:11]
	v_mul_f64_e32 v[12:13], v[4:5], v[10:11]
	s_delay_alu instid0(VALU_DEP_2) | instskip(NEXT) | instid1(VALU_DEP_2)
	v_fma_f64 v[10:11], v[4:5], v[8:9], -v[16:17]
	v_fmac_f64_e32 v[12:13], v[2:3], v[8:9]
	scratch_store_b128 off, v[10:13], off offset:48
.LBB113_27:
	s_wait_xcnt 0x0
	s_or_b32 exec_lo, exec_lo, s2
	s_wait_storecnt 0x0
	s_barrier_signal -1
	s_barrier_wait -1
	scratch_load_b128 v[2:5], off, s12
	s_mov_b32 s2, exec_lo
	s_wait_loadcnt 0x0
	ds_store_b128 v6, v[2:5]
	s_wait_dscnt 0x0
	s_barrier_signal -1
	s_barrier_wait -1
	v_cmpx_gt_u32_e32 4, v1
	s_cbranch_execz .LBB113_31
; %bb.28:
	v_dual_mov_b32 v10, v14 :: v_dual_add_nc_u32 v8, -1, v1
	v_mov_b64_e32 v[2:3], 0
	v_mov_b64_e32 v[4:5], 0
	v_add_nc_u32_e32 v9, 0x320, v14
	s_delay_alu instid0(VALU_DEP_4)
	v_or_b32_e32 v10, 8, v10
	s_mov_b32 s3, 0
.LBB113_29:                             ; =>This Inner Loop Header: Depth=1
	scratch_load_b128 v[16:19], v10, off offset:-8
	ds_load_b128 v[20:23], v9
	v_dual_add_nc_u32 v8, 1, v8 :: v_dual_add_nc_u32 v9, 16, v9
	s_wait_xcnt 0x0
	v_add_nc_u32_e32 v10, 16, v10
	s_delay_alu instid0(VALU_DEP_2) | instskip(SKIP_4) | instid1(VALU_DEP_2)
	v_cmp_lt_u32_e32 vcc_lo, 2, v8
	s_or_b32 s3, vcc_lo, s3
	s_wait_loadcnt_dscnt 0x0
	v_mul_f64_e32 v[12:13], v[22:23], v[18:19]
	v_mul_f64_e32 v[18:19], v[20:21], v[18:19]
	v_fma_f64 v[12:13], v[20:21], v[16:17], -v[12:13]
	s_delay_alu instid0(VALU_DEP_2) | instskip(NEXT) | instid1(VALU_DEP_2)
	v_fmac_f64_e32 v[18:19], v[22:23], v[16:17]
	v_add_f64_e32 v[4:5], v[4:5], v[12:13]
	s_delay_alu instid0(VALU_DEP_2)
	v_add_f64_e32 v[2:3], v[2:3], v[18:19]
	s_and_not1_b32 exec_lo, exec_lo, s3
	s_cbranch_execnz .LBB113_29
; %bb.30:
	s_or_b32 exec_lo, exec_lo, s3
	v_mov_b32_e32 v8, 0
	ds_load_b128 v[8:11], v8 offset:64
	s_wait_dscnt 0x0
	v_mul_f64_e32 v[16:17], v[2:3], v[10:11]
	v_mul_f64_e32 v[12:13], v[4:5], v[10:11]
	s_delay_alu instid0(VALU_DEP_2) | instskip(NEXT) | instid1(VALU_DEP_2)
	v_fma_f64 v[10:11], v[4:5], v[8:9], -v[16:17]
	v_fmac_f64_e32 v[12:13], v[2:3], v[8:9]
	scratch_store_b128 off, v[10:13], off offset:64
.LBB113_31:
	s_wait_xcnt 0x0
	s_or_b32 exec_lo, exec_lo, s2
	s_wait_storecnt 0x0
	s_barrier_signal -1
	s_barrier_wait -1
	scratch_load_b128 v[2:5], off, s61
	;; [unrolled: 54-line block ×19, first 2 shown]
	s_mov_b32 s2, exec_lo
	s_wait_loadcnt 0x0
	ds_store_b128 v6, v[2:5]
	s_wait_dscnt 0x0
	s_barrier_signal -1
	s_barrier_wait -1
	v_cmpx_gt_u32_e32 22, v1
	s_cbranch_execz .LBB113_103
; %bb.100:
	v_dual_mov_b32 v10, v14 :: v_dual_add_nc_u32 v8, -1, v1
	v_mov_b64_e32 v[2:3], 0
	v_mov_b64_e32 v[4:5], 0
	v_add_nc_u32_e32 v9, 0x320, v14
	s_delay_alu instid0(VALU_DEP_4)
	v_or_b32_e32 v10, 8, v10
	s_mov_b32 s3, 0
.LBB113_101:                            ; =>This Inner Loop Header: Depth=1
	scratch_load_b128 v[16:19], v10, off offset:-8
	ds_load_b128 v[20:23], v9
	v_dual_add_nc_u32 v8, 1, v8 :: v_dual_add_nc_u32 v9, 16, v9
	s_wait_xcnt 0x0
	v_add_nc_u32_e32 v10, 16, v10
	s_delay_alu instid0(VALU_DEP_2) | instskip(SKIP_4) | instid1(VALU_DEP_2)
	v_cmp_lt_u32_e32 vcc_lo, 20, v8
	s_or_b32 s3, vcc_lo, s3
	s_wait_loadcnt_dscnt 0x0
	v_mul_f64_e32 v[12:13], v[22:23], v[18:19]
	v_mul_f64_e32 v[18:19], v[20:21], v[18:19]
	v_fma_f64 v[12:13], v[20:21], v[16:17], -v[12:13]
	s_delay_alu instid0(VALU_DEP_2) | instskip(NEXT) | instid1(VALU_DEP_2)
	v_fmac_f64_e32 v[18:19], v[22:23], v[16:17]
	v_add_f64_e32 v[4:5], v[4:5], v[12:13]
	s_delay_alu instid0(VALU_DEP_2)
	v_add_f64_e32 v[2:3], v[2:3], v[18:19]
	s_and_not1_b32 exec_lo, exec_lo, s3
	s_cbranch_execnz .LBB113_101
; %bb.102:
	s_or_b32 exec_lo, exec_lo, s3
	v_mov_b32_e32 v8, 0
	ds_load_b128 v[8:11], v8 offset:352
	s_wait_dscnt 0x0
	v_mul_f64_e32 v[16:17], v[2:3], v[10:11]
	v_mul_f64_e32 v[12:13], v[4:5], v[10:11]
	s_delay_alu instid0(VALU_DEP_2) | instskip(NEXT) | instid1(VALU_DEP_2)
	v_fma_f64 v[10:11], v[4:5], v[8:9], -v[16:17]
	v_fmac_f64_e32 v[12:13], v[2:3], v[8:9]
	scratch_store_b128 off, v[10:13], off offset:352
.LBB113_103:
	s_wait_xcnt 0x0
	s_or_b32 exec_lo, exec_lo, s2
	s_wait_storecnt 0x0
	s_barrier_signal -1
	s_barrier_wait -1
	scratch_load_b128 v[2:5], off, s43
	s_mov_b32 s2, exec_lo
	s_wait_loadcnt 0x0
	ds_store_b128 v6, v[2:5]
	s_wait_dscnt 0x0
	s_barrier_signal -1
	s_barrier_wait -1
	v_cmpx_gt_u32_e32 23, v1
	s_cbranch_execz .LBB113_107
; %bb.104:
	v_dual_mov_b32 v10, v14 :: v_dual_add_nc_u32 v8, -1, v1
	v_mov_b64_e32 v[2:3], 0
	v_mov_b64_e32 v[4:5], 0
	v_add_nc_u32_e32 v9, 0x320, v14
	s_delay_alu instid0(VALU_DEP_4)
	v_or_b32_e32 v10, 8, v10
	s_mov_b32 s3, 0
.LBB113_105:                            ; =>This Inner Loop Header: Depth=1
	scratch_load_b128 v[16:19], v10, off offset:-8
	ds_load_b128 v[20:23], v9
	v_dual_add_nc_u32 v8, 1, v8 :: v_dual_add_nc_u32 v9, 16, v9
	s_wait_xcnt 0x0
	v_add_nc_u32_e32 v10, 16, v10
	s_delay_alu instid0(VALU_DEP_2) | instskip(SKIP_4) | instid1(VALU_DEP_2)
	v_cmp_lt_u32_e32 vcc_lo, 21, v8
	s_or_b32 s3, vcc_lo, s3
	s_wait_loadcnt_dscnt 0x0
	v_mul_f64_e32 v[12:13], v[22:23], v[18:19]
	v_mul_f64_e32 v[18:19], v[20:21], v[18:19]
	v_fma_f64 v[12:13], v[20:21], v[16:17], -v[12:13]
	s_delay_alu instid0(VALU_DEP_2) | instskip(NEXT) | instid1(VALU_DEP_2)
	v_fmac_f64_e32 v[18:19], v[22:23], v[16:17]
	v_add_f64_e32 v[4:5], v[4:5], v[12:13]
	s_delay_alu instid0(VALU_DEP_2)
	v_add_f64_e32 v[2:3], v[2:3], v[18:19]
	s_and_not1_b32 exec_lo, exec_lo, s3
	s_cbranch_execnz .LBB113_105
; %bb.106:
	s_or_b32 exec_lo, exec_lo, s3
	v_mov_b32_e32 v8, 0
	ds_load_b128 v[8:11], v8 offset:368
	s_wait_dscnt 0x0
	v_mul_f64_e32 v[16:17], v[2:3], v[10:11]
	v_mul_f64_e32 v[12:13], v[4:5], v[10:11]
	s_delay_alu instid0(VALU_DEP_2) | instskip(NEXT) | instid1(VALU_DEP_2)
	v_fma_f64 v[10:11], v[4:5], v[8:9], -v[16:17]
	v_fmac_f64_e32 v[12:13], v[2:3], v[8:9]
	scratch_store_b128 off, v[10:13], off offset:368
.LBB113_107:
	s_wait_xcnt 0x0
	s_or_b32 exec_lo, exec_lo, s2
	s_wait_storecnt 0x0
	s_barrier_signal -1
	s_barrier_wait -1
	scratch_load_b128 v[2:5], off, s42
	s_mov_b32 s2, exec_lo
	s_wait_loadcnt 0x0
	ds_store_b128 v6, v[2:5]
	s_wait_dscnt 0x0
	s_barrier_signal -1
	s_barrier_wait -1
	v_cmpx_gt_u32_e32 24, v1
	s_cbranch_execz .LBB113_111
; %bb.108:
	v_dual_mov_b32 v10, v14 :: v_dual_add_nc_u32 v8, -1, v1
	v_mov_b64_e32 v[2:3], 0
	v_mov_b64_e32 v[4:5], 0
	v_add_nc_u32_e32 v9, 0x320, v14
	s_delay_alu instid0(VALU_DEP_4)
	v_or_b32_e32 v10, 8, v10
	s_mov_b32 s3, 0
.LBB113_109:                            ; =>This Inner Loop Header: Depth=1
	scratch_load_b128 v[16:19], v10, off offset:-8
	ds_load_b128 v[20:23], v9
	v_dual_add_nc_u32 v8, 1, v8 :: v_dual_add_nc_u32 v9, 16, v9
	s_wait_xcnt 0x0
	v_add_nc_u32_e32 v10, 16, v10
	s_delay_alu instid0(VALU_DEP_2) | instskip(SKIP_4) | instid1(VALU_DEP_2)
	v_cmp_lt_u32_e32 vcc_lo, 22, v8
	s_or_b32 s3, vcc_lo, s3
	s_wait_loadcnt_dscnt 0x0
	v_mul_f64_e32 v[12:13], v[22:23], v[18:19]
	v_mul_f64_e32 v[18:19], v[20:21], v[18:19]
	v_fma_f64 v[12:13], v[20:21], v[16:17], -v[12:13]
	s_delay_alu instid0(VALU_DEP_2) | instskip(NEXT) | instid1(VALU_DEP_2)
	v_fmac_f64_e32 v[18:19], v[22:23], v[16:17]
	v_add_f64_e32 v[4:5], v[4:5], v[12:13]
	s_delay_alu instid0(VALU_DEP_2)
	v_add_f64_e32 v[2:3], v[2:3], v[18:19]
	s_and_not1_b32 exec_lo, exec_lo, s3
	s_cbranch_execnz .LBB113_109
; %bb.110:
	s_or_b32 exec_lo, exec_lo, s3
	v_mov_b32_e32 v8, 0
	ds_load_b128 v[8:11], v8 offset:384
	s_wait_dscnt 0x0
	v_mul_f64_e32 v[16:17], v[2:3], v[10:11]
	v_mul_f64_e32 v[12:13], v[4:5], v[10:11]
	s_delay_alu instid0(VALU_DEP_2) | instskip(NEXT) | instid1(VALU_DEP_2)
	v_fma_f64 v[10:11], v[4:5], v[8:9], -v[16:17]
	v_fmac_f64_e32 v[12:13], v[2:3], v[8:9]
	scratch_store_b128 off, v[10:13], off offset:384
.LBB113_111:
	s_wait_xcnt 0x0
	s_or_b32 exec_lo, exec_lo, s2
	s_wait_storecnt 0x0
	s_barrier_signal -1
	s_barrier_wait -1
	scratch_load_b128 v[2:5], off, s41
	s_mov_b32 s2, exec_lo
	s_wait_loadcnt 0x0
	ds_store_b128 v6, v[2:5]
	s_wait_dscnt 0x0
	s_barrier_signal -1
	s_barrier_wait -1
	v_cmpx_gt_u32_e32 25, v1
	s_cbranch_execz .LBB113_115
; %bb.112:
	v_dual_mov_b32 v10, v14 :: v_dual_add_nc_u32 v8, -1, v1
	v_mov_b64_e32 v[2:3], 0
	v_mov_b64_e32 v[4:5], 0
	v_add_nc_u32_e32 v9, 0x320, v14
	s_delay_alu instid0(VALU_DEP_4)
	v_or_b32_e32 v10, 8, v10
	s_mov_b32 s3, 0
.LBB113_113:                            ; =>This Inner Loop Header: Depth=1
	scratch_load_b128 v[16:19], v10, off offset:-8
	ds_load_b128 v[20:23], v9
	v_dual_add_nc_u32 v8, 1, v8 :: v_dual_add_nc_u32 v9, 16, v9
	s_wait_xcnt 0x0
	v_add_nc_u32_e32 v10, 16, v10
	s_delay_alu instid0(VALU_DEP_2) | instskip(SKIP_4) | instid1(VALU_DEP_2)
	v_cmp_lt_u32_e32 vcc_lo, 23, v8
	s_or_b32 s3, vcc_lo, s3
	s_wait_loadcnt_dscnt 0x0
	v_mul_f64_e32 v[12:13], v[22:23], v[18:19]
	v_mul_f64_e32 v[18:19], v[20:21], v[18:19]
	v_fma_f64 v[12:13], v[20:21], v[16:17], -v[12:13]
	s_delay_alu instid0(VALU_DEP_2) | instskip(NEXT) | instid1(VALU_DEP_2)
	v_fmac_f64_e32 v[18:19], v[22:23], v[16:17]
	v_add_f64_e32 v[4:5], v[4:5], v[12:13]
	s_delay_alu instid0(VALU_DEP_2)
	v_add_f64_e32 v[2:3], v[2:3], v[18:19]
	s_and_not1_b32 exec_lo, exec_lo, s3
	s_cbranch_execnz .LBB113_113
; %bb.114:
	s_or_b32 exec_lo, exec_lo, s3
	v_mov_b32_e32 v8, 0
	ds_load_b128 v[8:11], v8 offset:400
	s_wait_dscnt 0x0
	v_mul_f64_e32 v[16:17], v[2:3], v[10:11]
	v_mul_f64_e32 v[12:13], v[4:5], v[10:11]
	s_delay_alu instid0(VALU_DEP_2) | instskip(NEXT) | instid1(VALU_DEP_2)
	v_fma_f64 v[10:11], v[4:5], v[8:9], -v[16:17]
	v_fmac_f64_e32 v[12:13], v[2:3], v[8:9]
	scratch_store_b128 off, v[10:13], off offset:400
.LBB113_115:
	s_wait_xcnt 0x0
	s_or_b32 exec_lo, exec_lo, s2
	s_wait_storecnt 0x0
	s_barrier_signal -1
	s_barrier_wait -1
	scratch_load_b128 v[2:5], off, s40
	s_mov_b32 s2, exec_lo
	s_wait_loadcnt 0x0
	ds_store_b128 v6, v[2:5]
	s_wait_dscnt 0x0
	s_barrier_signal -1
	s_barrier_wait -1
	v_cmpx_gt_u32_e32 26, v1
	s_cbranch_execz .LBB113_119
; %bb.116:
	v_dual_mov_b32 v10, v14 :: v_dual_add_nc_u32 v8, -1, v1
	v_mov_b64_e32 v[2:3], 0
	v_mov_b64_e32 v[4:5], 0
	v_add_nc_u32_e32 v9, 0x320, v14
	s_delay_alu instid0(VALU_DEP_4)
	v_or_b32_e32 v10, 8, v10
	s_mov_b32 s3, 0
.LBB113_117:                            ; =>This Inner Loop Header: Depth=1
	scratch_load_b128 v[16:19], v10, off offset:-8
	ds_load_b128 v[20:23], v9
	v_dual_add_nc_u32 v8, 1, v8 :: v_dual_add_nc_u32 v9, 16, v9
	s_wait_xcnt 0x0
	v_add_nc_u32_e32 v10, 16, v10
	s_delay_alu instid0(VALU_DEP_2) | instskip(SKIP_4) | instid1(VALU_DEP_2)
	v_cmp_lt_u32_e32 vcc_lo, 24, v8
	s_or_b32 s3, vcc_lo, s3
	s_wait_loadcnt_dscnt 0x0
	v_mul_f64_e32 v[12:13], v[22:23], v[18:19]
	v_mul_f64_e32 v[18:19], v[20:21], v[18:19]
	v_fma_f64 v[12:13], v[20:21], v[16:17], -v[12:13]
	s_delay_alu instid0(VALU_DEP_2) | instskip(NEXT) | instid1(VALU_DEP_2)
	v_fmac_f64_e32 v[18:19], v[22:23], v[16:17]
	v_add_f64_e32 v[4:5], v[4:5], v[12:13]
	s_delay_alu instid0(VALU_DEP_2)
	v_add_f64_e32 v[2:3], v[2:3], v[18:19]
	s_and_not1_b32 exec_lo, exec_lo, s3
	s_cbranch_execnz .LBB113_117
; %bb.118:
	s_or_b32 exec_lo, exec_lo, s3
	v_mov_b32_e32 v8, 0
	ds_load_b128 v[8:11], v8 offset:416
	s_wait_dscnt 0x0
	v_mul_f64_e32 v[16:17], v[2:3], v[10:11]
	v_mul_f64_e32 v[12:13], v[4:5], v[10:11]
	s_delay_alu instid0(VALU_DEP_2) | instskip(NEXT) | instid1(VALU_DEP_2)
	v_fma_f64 v[10:11], v[4:5], v[8:9], -v[16:17]
	v_fmac_f64_e32 v[12:13], v[2:3], v[8:9]
	scratch_store_b128 off, v[10:13], off offset:416
.LBB113_119:
	s_wait_xcnt 0x0
	s_or_b32 exec_lo, exec_lo, s2
	s_wait_storecnt 0x0
	s_barrier_signal -1
	s_barrier_wait -1
	scratch_load_b128 v[2:5], off, s39
	s_mov_b32 s2, exec_lo
	s_wait_loadcnt 0x0
	ds_store_b128 v6, v[2:5]
	s_wait_dscnt 0x0
	s_barrier_signal -1
	s_barrier_wait -1
	v_cmpx_gt_u32_e32 27, v1
	s_cbranch_execz .LBB113_123
; %bb.120:
	v_dual_mov_b32 v10, v14 :: v_dual_add_nc_u32 v8, -1, v1
	v_mov_b64_e32 v[2:3], 0
	v_mov_b64_e32 v[4:5], 0
	v_add_nc_u32_e32 v9, 0x320, v14
	s_delay_alu instid0(VALU_DEP_4)
	v_or_b32_e32 v10, 8, v10
	s_mov_b32 s3, 0
.LBB113_121:                            ; =>This Inner Loop Header: Depth=1
	scratch_load_b128 v[16:19], v10, off offset:-8
	ds_load_b128 v[20:23], v9
	v_dual_add_nc_u32 v8, 1, v8 :: v_dual_add_nc_u32 v9, 16, v9
	s_wait_xcnt 0x0
	v_add_nc_u32_e32 v10, 16, v10
	s_delay_alu instid0(VALU_DEP_2) | instskip(SKIP_4) | instid1(VALU_DEP_2)
	v_cmp_lt_u32_e32 vcc_lo, 25, v8
	s_or_b32 s3, vcc_lo, s3
	s_wait_loadcnt_dscnt 0x0
	v_mul_f64_e32 v[12:13], v[22:23], v[18:19]
	v_mul_f64_e32 v[18:19], v[20:21], v[18:19]
	v_fma_f64 v[12:13], v[20:21], v[16:17], -v[12:13]
	s_delay_alu instid0(VALU_DEP_2) | instskip(NEXT) | instid1(VALU_DEP_2)
	v_fmac_f64_e32 v[18:19], v[22:23], v[16:17]
	v_add_f64_e32 v[4:5], v[4:5], v[12:13]
	s_delay_alu instid0(VALU_DEP_2)
	v_add_f64_e32 v[2:3], v[2:3], v[18:19]
	s_and_not1_b32 exec_lo, exec_lo, s3
	s_cbranch_execnz .LBB113_121
; %bb.122:
	s_or_b32 exec_lo, exec_lo, s3
	v_mov_b32_e32 v8, 0
	ds_load_b128 v[8:11], v8 offset:432
	s_wait_dscnt 0x0
	v_mul_f64_e32 v[16:17], v[2:3], v[10:11]
	v_mul_f64_e32 v[12:13], v[4:5], v[10:11]
	s_delay_alu instid0(VALU_DEP_2) | instskip(NEXT) | instid1(VALU_DEP_2)
	v_fma_f64 v[10:11], v[4:5], v[8:9], -v[16:17]
	v_fmac_f64_e32 v[12:13], v[2:3], v[8:9]
	scratch_store_b128 off, v[10:13], off offset:432
.LBB113_123:
	s_wait_xcnt 0x0
	s_or_b32 exec_lo, exec_lo, s2
	s_wait_storecnt 0x0
	s_barrier_signal -1
	s_barrier_wait -1
	scratch_load_b128 v[2:5], off, s38
	s_mov_b32 s2, exec_lo
	s_wait_loadcnt 0x0
	ds_store_b128 v6, v[2:5]
	s_wait_dscnt 0x0
	s_barrier_signal -1
	s_barrier_wait -1
	v_cmpx_gt_u32_e32 28, v1
	s_cbranch_execz .LBB113_127
; %bb.124:
	v_dual_mov_b32 v10, v14 :: v_dual_add_nc_u32 v8, -1, v1
	v_mov_b64_e32 v[2:3], 0
	v_mov_b64_e32 v[4:5], 0
	v_add_nc_u32_e32 v9, 0x320, v14
	s_delay_alu instid0(VALU_DEP_4)
	v_or_b32_e32 v10, 8, v10
	s_mov_b32 s3, 0
.LBB113_125:                            ; =>This Inner Loop Header: Depth=1
	scratch_load_b128 v[16:19], v10, off offset:-8
	ds_load_b128 v[20:23], v9
	v_dual_add_nc_u32 v8, 1, v8 :: v_dual_add_nc_u32 v9, 16, v9
	s_wait_xcnt 0x0
	v_add_nc_u32_e32 v10, 16, v10
	s_delay_alu instid0(VALU_DEP_2) | instskip(SKIP_4) | instid1(VALU_DEP_2)
	v_cmp_lt_u32_e32 vcc_lo, 26, v8
	s_or_b32 s3, vcc_lo, s3
	s_wait_loadcnt_dscnt 0x0
	v_mul_f64_e32 v[12:13], v[22:23], v[18:19]
	v_mul_f64_e32 v[18:19], v[20:21], v[18:19]
	v_fma_f64 v[12:13], v[20:21], v[16:17], -v[12:13]
	s_delay_alu instid0(VALU_DEP_2) | instskip(NEXT) | instid1(VALU_DEP_2)
	v_fmac_f64_e32 v[18:19], v[22:23], v[16:17]
	v_add_f64_e32 v[4:5], v[4:5], v[12:13]
	s_delay_alu instid0(VALU_DEP_2)
	v_add_f64_e32 v[2:3], v[2:3], v[18:19]
	s_and_not1_b32 exec_lo, exec_lo, s3
	s_cbranch_execnz .LBB113_125
; %bb.126:
	s_or_b32 exec_lo, exec_lo, s3
	v_mov_b32_e32 v8, 0
	ds_load_b128 v[8:11], v8 offset:448
	s_wait_dscnt 0x0
	v_mul_f64_e32 v[16:17], v[2:3], v[10:11]
	v_mul_f64_e32 v[12:13], v[4:5], v[10:11]
	s_delay_alu instid0(VALU_DEP_2) | instskip(NEXT) | instid1(VALU_DEP_2)
	v_fma_f64 v[10:11], v[4:5], v[8:9], -v[16:17]
	v_fmac_f64_e32 v[12:13], v[2:3], v[8:9]
	scratch_store_b128 off, v[10:13], off offset:448
.LBB113_127:
	s_wait_xcnt 0x0
	s_or_b32 exec_lo, exec_lo, s2
	s_wait_storecnt 0x0
	s_barrier_signal -1
	s_barrier_wait -1
	scratch_load_b128 v[2:5], off, s37
	s_mov_b32 s2, exec_lo
	s_wait_loadcnt 0x0
	ds_store_b128 v6, v[2:5]
	s_wait_dscnt 0x0
	s_barrier_signal -1
	s_barrier_wait -1
	v_cmpx_gt_u32_e32 29, v1
	s_cbranch_execz .LBB113_131
; %bb.128:
	v_dual_mov_b32 v10, v14 :: v_dual_add_nc_u32 v8, -1, v1
	v_mov_b64_e32 v[2:3], 0
	v_mov_b64_e32 v[4:5], 0
	v_add_nc_u32_e32 v9, 0x320, v14
	s_delay_alu instid0(VALU_DEP_4)
	v_or_b32_e32 v10, 8, v10
	s_mov_b32 s3, 0
.LBB113_129:                            ; =>This Inner Loop Header: Depth=1
	scratch_load_b128 v[16:19], v10, off offset:-8
	ds_load_b128 v[20:23], v9
	v_dual_add_nc_u32 v8, 1, v8 :: v_dual_add_nc_u32 v9, 16, v9
	s_wait_xcnt 0x0
	v_add_nc_u32_e32 v10, 16, v10
	s_delay_alu instid0(VALU_DEP_2) | instskip(SKIP_4) | instid1(VALU_DEP_2)
	v_cmp_lt_u32_e32 vcc_lo, 27, v8
	s_or_b32 s3, vcc_lo, s3
	s_wait_loadcnt_dscnt 0x0
	v_mul_f64_e32 v[12:13], v[22:23], v[18:19]
	v_mul_f64_e32 v[18:19], v[20:21], v[18:19]
	v_fma_f64 v[12:13], v[20:21], v[16:17], -v[12:13]
	s_delay_alu instid0(VALU_DEP_2) | instskip(NEXT) | instid1(VALU_DEP_2)
	v_fmac_f64_e32 v[18:19], v[22:23], v[16:17]
	v_add_f64_e32 v[4:5], v[4:5], v[12:13]
	s_delay_alu instid0(VALU_DEP_2)
	v_add_f64_e32 v[2:3], v[2:3], v[18:19]
	s_and_not1_b32 exec_lo, exec_lo, s3
	s_cbranch_execnz .LBB113_129
; %bb.130:
	s_or_b32 exec_lo, exec_lo, s3
	v_mov_b32_e32 v8, 0
	ds_load_b128 v[8:11], v8 offset:464
	s_wait_dscnt 0x0
	v_mul_f64_e32 v[16:17], v[2:3], v[10:11]
	v_mul_f64_e32 v[12:13], v[4:5], v[10:11]
	s_delay_alu instid0(VALU_DEP_2) | instskip(NEXT) | instid1(VALU_DEP_2)
	v_fma_f64 v[10:11], v[4:5], v[8:9], -v[16:17]
	v_fmac_f64_e32 v[12:13], v[2:3], v[8:9]
	scratch_store_b128 off, v[10:13], off offset:464
.LBB113_131:
	s_wait_xcnt 0x0
	s_or_b32 exec_lo, exec_lo, s2
	s_wait_storecnt 0x0
	s_barrier_signal -1
	s_barrier_wait -1
	scratch_load_b128 v[2:5], off, s36
	s_mov_b32 s2, exec_lo
	s_wait_loadcnt 0x0
	ds_store_b128 v6, v[2:5]
	s_wait_dscnt 0x0
	s_barrier_signal -1
	s_barrier_wait -1
	v_cmpx_gt_u32_e32 30, v1
	s_cbranch_execz .LBB113_135
; %bb.132:
	v_dual_mov_b32 v10, v14 :: v_dual_add_nc_u32 v8, -1, v1
	v_mov_b64_e32 v[2:3], 0
	v_mov_b64_e32 v[4:5], 0
	v_add_nc_u32_e32 v9, 0x320, v14
	s_delay_alu instid0(VALU_DEP_4)
	v_or_b32_e32 v10, 8, v10
	s_mov_b32 s3, 0
.LBB113_133:                            ; =>This Inner Loop Header: Depth=1
	scratch_load_b128 v[16:19], v10, off offset:-8
	ds_load_b128 v[20:23], v9
	v_dual_add_nc_u32 v8, 1, v8 :: v_dual_add_nc_u32 v9, 16, v9
	s_wait_xcnt 0x0
	v_add_nc_u32_e32 v10, 16, v10
	s_delay_alu instid0(VALU_DEP_2) | instskip(SKIP_4) | instid1(VALU_DEP_2)
	v_cmp_lt_u32_e32 vcc_lo, 28, v8
	s_or_b32 s3, vcc_lo, s3
	s_wait_loadcnt_dscnt 0x0
	v_mul_f64_e32 v[12:13], v[22:23], v[18:19]
	v_mul_f64_e32 v[18:19], v[20:21], v[18:19]
	v_fma_f64 v[12:13], v[20:21], v[16:17], -v[12:13]
	s_delay_alu instid0(VALU_DEP_2) | instskip(NEXT) | instid1(VALU_DEP_2)
	v_fmac_f64_e32 v[18:19], v[22:23], v[16:17]
	v_add_f64_e32 v[4:5], v[4:5], v[12:13]
	s_delay_alu instid0(VALU_DEP_2)
	v_add_f64_e32 v[2:3], v[2:3], v[18:19]
	s_and_not1_b32 exec_lo, exec_lo, s3
	s_cbranch_execnz .LBB113_133
; %bb.134:
	s_or_b32 exec_lo, exec_lo, s3
	v_mov_b32_e32 v8, 0
	ds_load_b128 v[8:11], v8 offset:480
	s_wait_dscnt 0x0
	v_mul_f64_e32 v[16:17], v[2:3], v[10:11]
	v_mul_f64_e32 v[12:13], v[4:5], v[10:11]
	s_delay_alu instid0(VALU_DEP_2) | instskip(NEXT) | instid1(VALU_DEP_2)
	v_fma_f64 v[10:11], v[4:5], v[8:9], -v[16:17]
	v_fmac_f64_e32 v[12:13], v[2:3], v[8:9]
	scratch_store_b128 off, v[10:13], off offset:480
.LBB113_135:
	s_wait_xcnt 0x0
	s_or_b32 exec_lo, exec_lo, s2
	s_wait_storecnt 0x0
	s_barrier_signal -1
	s_barrier_wait -1
	scratch_load_b128 v[2:5], off, s35
	s_mov_b32 s2, exec_lo
	s_wait_loadcnt 0x0
	ds_store_b128 v6, v[2:5]
	s_wait_dscnt 0x0
	s_barrier_signal -1
	s_barrier_wait -1
	v_cmpx_gt_u32_e32 31, v1
	s_cbranch_execz .LBB113_139
; %bb.136:
	v_dual_mov_b32 v10, v14 :: v_dual_add_nc_u32 v8, -1, v1
	v_mov_b64_e32 v[2:3], 0
	v_mov_b64_e32 v[4:5], 0
	v_add_nc_u32_e32 v9, 0x320, v14
	s_delay_alu instid0(VALU_DEP_4)
	v_or_b32_e32 v10, 8, v10
	s_mov_b32 s3, 0
.LBB113_137:                            ; =>This Inner Loop Header: Depth=1
	scratch_load_b128 v[16:19], v10, off offset:-8
	ds_load_b128 v[20:23], v9
	v_dual_add_nc_u32 v8, 1, v8 :: v_dual_add_nc_u32 v9, 16, v9
	s_wait_xcnt 0x0
	v_add_nc_u32_e32 v10, 16, v10
	s_delay_alu instid0(VALU_DEP_2) | instskip(SKIP_4) | instid1(VALU_DEP_2)
	v_cmp_lt_u32_e32 vcc_lo, 29, v8
	s_or_b32 s3, vcc_lo, s3
	s_wait_loadcnt_dscnt 0x0
	v_mul_f64_e32 v[12:13], v[22:23], v[18:19]
	v_mul_f64_e32 v[18:19], v[20:21], v[18:19]
	v_fma_f64 v[12:13], v[20:21], v[16:17], -v[12:13]
	s_delay_alu instid0(VALU_DEP_2) | instskip(NEXT) | instid1(VALU_DEP_2)
	v_fmac_f64_e32 v[18:19], v[22:23], v[16:17]
	v_add_f64_e32 v[4:5], v[4:5], v[12:13]
	s_delay_alu instid0(VALU_DEP_2)
	v_add_f64_e32 v[2:3], v[2:3], v[18:19]
	s_and_not1_b32 exec_lo, exec_lo, s3
	s_cbranch_execnz .LBB113_137
; %bb.138:
	s_or_b32 exec_lo, exec_lo, s3
	v_mov_b32_e32 v8, 0
	ds_load_b128 v[8:11], v8 offset:496
	s_wait_dscnt 0x0
	v_mul_f64_e32 v[16:17], v[2:3], v[10:11]
	v_mul_f64_e32 v[12:13], v[4:5], v[10:11]
	s_delay_alu instid0(VALU_DEP_2) | instskip(NEXT) | instid1(VALU_DEP_2)
	v_fma_f64 v[10:11], v[4:5], v[8:9], -v[16:17]
	v_fmac_f64_e32 v[12:13], v[2:3], v[8:9]
	scratch_store_b128 off, v[10:13], off offset:496
.LBB113_139:
	s_wait_xcnt 0x0
	s_or_b32 exec_lo, exec_lo, s2
	s_wait_storecnt 0x0
	s_barrier_signal -1
	s_barrier_wait -1
	scratch_load_b128 v[2:5], off, s34
	s_mov_b32 s2, exec_lo
	s_wait_loadcnt 0x0
	ds_store_b128 v6, v[2:5]
	s_wait_dscnt 0x0
	s_barrier_signal -1
	s_barrier_wait -1
	v_cmpx_gt_u32_e32 32, v1
	s_cbranch_execz .LBB113_143
; %bb.140:
	v_dual_mov_b32 v10, v14 :: v_dual_add_nc_u32 v8, -1, v1
	v_mov_b64_e32 v[2:3], 0
	v_mov_b64_e32 v[4:5], 0
	v_add_nc_u32_e32 v9, 0x320, v14
	s_delay_alu instid0(VALU_DEP_4)
	v_or_b32_e32 v10, 8, v10
	s_mov_b32 s3, 0
.LBB113_141:                            ; =>This Inner Loop Header: Depth=1
	scratch_load_b128 v[16:19], v10, off offset:-8
	ds_load_b128 v[20:23], v9
	v_dual_add_nc_u32 v8, 1, v8 :: v_dual_add_nc_u32 v9, 16, v9
	s_wait_xcnt 0x0
	v_add_nc_u32_e32 v10, 16, v10
	s_delay_alu instid0(VALU_DEP_2) | instskip(SKIP_4) | instid1(VALU_DEP_2)
	v_cmp_lt_u32_e32 vcc_lo, 30, v8
	s_or_b32 s3, vcc_lo, s3
	s_wait_loadcnt_dscnt 0x0
	v_mul_f64_e32 v[12:13], v[22:23], v[18:19]
	v_mul_f64_e32 v[18:19], v[20:21], v[18:19]
	v_fma_f64 v[12:13], v[20:21], v[16:17], -v[12:13]
	s_delay_alu instid0(VALU_DEP_2) | instskip(NEXT) | instid1(VALU_DEP_2)
	v_fmac_f64_e32 v[18:19], v[22:23], v[16:17]
	v_add_f64_e32 v[4:5], v[4:5], v[12:13]
	s_delay_alu instid0(VALU_DEP_2)
	v_add_f64_e32 v[2:3], v[2:3], v[18:19]
	s_and_not1_b32 exec_lo, exec_lo, s3
	s_cbranch_execnz .LBB113_141
; %bb.142:
	s_or_b32 exec_lo, exec_lo, s3
	v_mov_b32_e32 v8, 0
	ds_load_b128 v[8:11], v8 offset:512
	s_wait_dscnt 0x0
	v_mul_f64_e32 v[16:17], v[2:3], v[10:11]
	v_mul_f64_e32 v[12:13], v[4:5], v[10:11]
	s_delay_alu instid0(VALU_DEP_2) | instskip(NEXT) | instid1(VALU_DEP_2)
	v_fma_f64 v[10:11], v[4:5], v[8:9], -v[16:17]
	v_fmac_f64_e32 v[12:13], v[2:3], v[8:9]
	scratch_store_b128 off, v[10:13], off offset:512
.LBB113_143:
	s_wait_xcnt 0x0
	s_or_b32 exec_lo, exec_lo, s2
	s_wait_storecnt 0x0
	s_barrier_signal -1
	s_barrier_wait -1
	scratch_load_b128 v[2:5], off, s33
	s_mov_b32 s2, exec_lo
	s_wait_loadcnt 0x0
	ds_store_b128 v6, v[2:5]
	s_wait_dscnt 0x0
	s_barrier_signal -1
	s_barrier_wait -1
	v_cmpx_gt_u32_e32 33, v1
	s_cbranch_execz .LBB113_147
; %bb.144:
	v_dual_mov_b32 v10, v14 :: v_dual_add_nc_u32 v8, -1, v1
	v_mov_b64_e32 v[2:3], 0
	v_mov_b64_e32 v[4:5], 0
	v_add_nc_u32_e32 v9, 0x320, v14
	s_delay_alu instid0(VALU_DEP_4)
	v_or_b32_e32 v10, 8, v10
	s_mov_b32 s3, 0
.LBB113_145:                            ; =>This Inner Loop Header: Depth=1
	scratch_load_b128 v[16:19], v10, off offset:-8
	ds_load_b128 v[20:23], v9
	v_dual_add_nc_u32 v8, 1, v8 :: v_dual_add_nc_u32 v9, 16, v9
	s_wait_xcnt 0x0
	v_add_nc_u32_e32 v10, 16, v10
	s_delay_alu instid0(VALU_DEP_2) | instskip(SKIP_4) | instid1(VALU_DEP_2)
	v_cmp_lt_u32_e32 vcc_lo, 31, v8
	s_or_b32 s3, vcc_lo, s3
	s_wait_loadcnt_dscnt 0x0
	v_mul_f64_e32 v[12:13], v[22:23], v[18:19]
	v_mul_f64_e32 v[18:19], v[20:21], v[18:19]
	v_fma_f64 v[12:13], v[20:21], v[16:17], -v[12:13]
	s_delay_alu instid0(VALU_DEP_2) | instskip(NEXT) | instid1(VALU_DEP_2)
	v_fmac_f64_e32 v[18:19], v[22:23], v[16:17]
	v_add_f64_e32 v[4:5], v[4:5], v[12:13]
	s_delay_alu instid0(VALU_DEP_2)
	v_add_f64_e32 v[2:3], v[2:3], v[18:19]
	s_and_not1_b32 exec_lo, exec_lo, s3
	s_cbranch_execnz .LBB113_145
; %bb.146:
	s_or_b32 exec_lo, exec_lo, s3
	v_mov_b32_e32 v8, 0
	ds_load_b128 v[8:11], v8 offset:528
	s_wait_dscnt 0x0
	v_mul_f64_e32 v[16:17], v[2:3], v[10:11]
	v_mul_f64_e32 v[12:13], v[4:5], v[10:11]
	s_delay_alu instid0(VALU_DEP_2) | instskip(NEXT) | instid1(VALU_DEP_2)
	v_fma_f64 v[10:11], v[4:5], v[8:9], -v[16:17]
	v_fmac_f64_e32 v[12:13], v[2:3], v[8:9]
	scratch_store_b128 off, v[10:13], off offset:528
.LBB113_147:
	s_wait_xcnt 0x0
	s_or_b32 exec_lo, exec_lo, s2
	s_wait_storecnt 0x0
	s_barrier_signal -1
	s_barrier_wait -1
	scratch_load_b128 v[2:5], off, s31
	s_mov_b32 s2, exec_lo
	s_wait_loadcnt 0x0
	ds_store_b128 v6, v[2:5]
	s_wait_dscnt 0x0
	s_barrier_signal -1
	s_barrier_wait -1
	v_cmpx_gt_u32_e32 34, v1
	s_cbranch_execz .LBB113_151
; %bb.148:
	v_dual_mov_b32 v10, v14 :: v_dual_add_nc_u32 v8, -1, v1
	v_mov_b64_e32 v[2:3], 0
	v_mov_b64_e32 v[4:5], 0
	v_add_nc_u32_e32 v9, 0x320, v14
	s_delay_alu instid0(VALU_DEP_4)
	v_or_b32_e32 v10, 8, v10
	s_mov_b32 s3, 0
.LBB113_149:                            ; =>This Inner Loop Header: Depth=1
	scratch_load_b128 v[16:19], v10, off offset:-8
	ds_load_b128 v[20:23], v9
	v_dual_add_nc_u32 v8, 1, v8 :: v_dual_add_nc_u32 v9, 16, v9
	s_wait_xcnt 0x0
	v_add_nc_u32_e32 v10, 16, v10
	s_delay_alu instid0(VALU_DEP_2) | instskip(SKIP_4) | instid1(VALU_DEP_2)
	v_cmp_lt_u32_e32 vcc_lo, 32, v8
	s_or_b32 s3, vcc_lo, s3
	s_wait_loadcnt_dscnt 0x0
	v_mul_f64_e32 v[12:13], v[22:23], v[18:19]
	v_mul_f64_e32 v[18:19], v[20:21], v[18:19]
	v_fma_f64 v[12:13], v[20:21], v[16:17], -v[12:13]
	s_delay_alu instid0(VALU_DEP_2) | instskip(NEXT) | instid1(VALU_DEP_2)
	v_fmac_f64_e32 v[18:19], v[22:23], v[16:17]
	v_add_f64_e32 v[4:5], v[4:5], v[12:13]
	s_delay_alu instid0(VALU_DEP_2)
	v_add_f64_e32 v[2:3], v[2:3], v[18:19]
	s_and_not1_b32 exec_lo, exec_lo, s3
	s_cbranch_execnz .LBB113_149
; %bb.150:
	s_or_b32 exec_lo, exec_lo, s3
	v_mov_b32_e32 v8, 0
	ds_load_b128 v[8:11], v8 offset:544
	s_wait_dscnt 0x0
	v_mul_f64_e32 v[16:17], v[2:3], v[10:11]
	v_mul_f64_e32 v[12:13], v[4:5], v[10:11]
	s_delay_alu instid0(VALU_DEP_2) | instskip(NEXT) | instid1(VALU_DEP_2)
	v_fma_f64 v[10:11], v[4:5], v[8:9], -v[16:17]
	v_fmac_f64_e32 v[12:13], v[2:3], v[8:9]
	scratch_store_b128 off, v[10:13], off offset:544
.LBB113_151:
	s_wait_xcnt 0x0
	s_or_b32 exec_lo, exec_lo, s2
	s_wait_storecnt 0x0
	s_barrier_signal -1
	s_barrier_wait -1
	scratch_load_b128 v[2:5], off, s30
	s_mov_b32 s2, exec_lo
	s_wait_loadcnt 0x0
	ds_store_b128 v6, v[2:5]
	s_wait_dscnt 0x0
	s_barrier_signal -1
	s_barrier_wait -1
	v_cmpx_gt_u32_e32 35, v1
	s_cbranch_execz .LBB113_155
; %bb.152:
	v_dual_mov_b32 v10, v14 :: v_dual_add_nc_u32 v8, -1, v1
	v_mov_b64_e32 v[2:3], 0
	v_mov_b64_e32 v[4:5], 0
	v_add_nc_u32_e32 v9, 0x320, v14
	s_delay_alu instid0(VALU_DEP_4)
	v_or_b32_e32 v10, 8, v10
	s_mov_b32 s3, 0
.LBB113_153:                            ; =>This Inner Loop Header: Depth=1
	scratch_load_b128 v[16:19], v10, off offset:-8
	ds_load_b128 v[20:23], v9
	v_dual_add_nc_u32 v8, 1, v8 :: v_dual_add_nc_u32 v9, 16, v9
	s_wait_xcnt 0x0
	v_add_nc_u32_e32 v10, 16, v10
	s_delay_alu instid0(VALU_DEP_2) | instskip(SKIP_4) | instid1(VALU_DEP_2)
	v_cmp_lt_u32_e32 vcc_lo, 33, v8
	s_or_b32 s3, vcc_lo, s3
	s_wait_loadcnt_dscnt 0x0
	v_mul_f64_e32 v[12:13], v[22:23], v[18:19]
	v_mul_f64_e32 v[18:19], v[20:21], v[18:19]
	v_fma_f64 v[12:13], v[20:21], v[16:17], -v[12:13]
	s_delay_alu instid0(VALU_DEP_2) | instskip(NEXT) | instid1(VALU_DEP_2)
	v_fmac_f64_e32 v[18:19], v[22:23], v[16:17]
	v_add_f64_e32 v[4:5], v[4:5], v[12:13]
	s_delay_alu instid0(VALU_DEP_2)
	v_add_f64_e32 v[2:3], v[2:3], v[18:19]
	s_and_not1_b32 exec_lo, exec_lo, s3
	s_cbranch_execnz .LBB113_153
; %bb.154:
	s_or_b32 exec_lo, exec_lo, s3
	v_mov_b32_e32 v8, 0
	ds_load_b128 v[8:11], v8 offset:560
	s_wait_dscnt 0x0
	v_mul_f64_e32 v[16:17], v[2:3], v[10:11]
	v_mul_f64_e32 v[12:13], v[4:5], v[10:11]
	s_delay_alu instid0(VALU_DEP_2) | instskip(NEXT) | instid1(VALU_DEP_2)
	v_fma_f64 v[10:11], v[4:5], v[8:9], -v[16:17]
	v_fmac_f64_e32 v[12:13], v[2:3], v[8:9]
	scratch_store_b128 off, v[10:13], off offset:560
.LBB113_155:
	s_wait_xcnt 0x0
	s_or_b32 exec_lo, exec_lo, s2
	s_wait_storecnt 0x0
	s_barrier_signal -1
	s_barrier_wait -1
	scratch_load_b128 v[2:5], off, s29
	s_mov_b32 s2, exec_lo
	s_wait_loadcnt 0x0
	ds_store_b128 v6, v[2:5]
	s_wait_dscnt 0x0
	s_barrier_signal -1
	s_barrier_wait -1
	v_cmpx_gt_u32_e32 36, v1
	s_cbranch_execz .LBB113_159
; %bb.156:
	v_dual_mov_b32 v10, v14 :: v_dual_add_nc_u32 v8, -1, v1
	v_mov_b64_e32 v[2:3], 0
	v_mov_b64_e32 v[4:5], 0
	v_add_nc_u32_e32 v9, 0x320, v14
	s_delay_alu instid0(VALU_DEP_4)
	v_or_b32_e32 v10, 8, v10
	s_mov_b32 s3, 0
.LBB113_157:                            ; =>This Inner Loop Header: Depth=1
	scratch_load_b128 v[16:19], v10, off offset:-8
	ds_load_b128 v[20:23], v9
	v_dual_add_nc_u32 v8, 1, v8 :: v_dual_add_nc_u32 v9, 16, v9
	s_wait_xcnt 0x0
	v_add_nc_u32_e32 v10, 16, v10
	s_delay_alu instid0(VALU_DEP_2) | instskip(SKIP_4) | instid1(VALU_DEP_2)
	v_cmp_lt_u32_e32 vcc_lo, 34, v8
	s_or_b32 s3, vcc_lo, s3
	s_wait_loadcnt_dscnt 0x0
	v_mul_f64_e32 v[12:13], v[22:23], v[18:19]
	v_mul_f64_e32 v[18:19], v[20:21], v[18:19]
	v_fma_f64 v[12:13], v[20:21], v[16:17], -v[12:13]
	s_delay_alu instid0(VALU_DEP_2) | instskip(NEXT) | instid1(VALU_DEP_2)
	v_fmac_f64_e32 v[18:19], v[22:23], v[16:17]
	v_add_f64_e32 v[4:5], v[4:5], v[12:13]
	s_delay_alu instid0(VALU_DEP_2)
	v_add_f64_e32 v[2:3], v[2:3], v[18:19]
	s_and_not1_b32 exec_lo, exec_lo, s3
	s_cbranch_execnz .LBB113_157
; %bb.158:
	s_or_b32 exec_lo, exec_lo, s3
	v_mov_b32_e32 v8, 0
	ds_load_b128 v[8:11], v8 offset:576
	s_wait_dscnt 0x0
	v_mul_f64_e32 v[16:17], v[2:3], v[10:11]
	v_mul_f64_e32 v[12:13], v[4:5], v[10:11]
	s_delay_alu instid0(VALU_DEP_2) | instskip(NEXT) | instid1(VALU_DEP_2)
	v_fma_f64 v[10:11], v[4:5], v[8:9], -v[16:17]
	v_fmac_f64_e32 v[12:13], v[2:3], v[8:9]
	scratch_store_b128 off, v[10:13], off offset:576
.LBB113_159:
	s_wait_xcnt 0x0
	s_or_b32 exec_lo, exec_lo, s2
	s_wait_storecnt 0x0
	s_barrier_signal -1
	s_barrier_wait -1
	scratch_load_b128 v[2:5], off, s28
	s_mov_b32 s2, exec_lo
	s_wait_loadcnt 0x0
	ds_store_b128 v6, v[2:5]
	s_wait_dscnt 0x0
	s_barrier_signal -1
	s_barrier_wait -1
	v_cmpx_gt_u32_e32 37, v1
	s_cbranch_execz .LBB113_163
; %bb.160:
	v_dual_mov_b32 v10, v14 :: v_dual_add_nc_u32 v8, -1, v1
	v_mov_b64_e32 v[2:3], 0
	v_mov_b64_e32 v[4:5], 0
	v_add_nc_u32_e32 v9, 0x320, v14
	s_delay_alu instid0(VALU_DEP_4)
	v_or_b32_e32 v10, 8, v10
	s_mov_b32 s3, 0
.LBB113_161:                            ; =>This Inner Loop Header: Depth=1
	scratch_load_b128 v[16:19], v10, off offset:-8
	ds_load_b128 v[20:23], v9
	v_dual_add_nc_u32 v8, 1, v8 :: v_dual_add_nc_u32 v9, 16, v9
	s_wait_xcnt 0x0
	v_add_nc_u32_e32 v10, 16, v10
	s_delay_alu instid0(VALU_DEP_2) | instskip(SKIP_4) | instid1(VALU_DEP_2)
	v_cmp_lt_u32_e32 vcc_lo, 35, v8
	s_or_b32 s3, vcc_lo, s3
	s_wait_loadcnt_dscnt 0x0
	v_mul_f64_e32 v[12:13], v[22:23], v[18:19]
	v_mul_f64_e32 v[18:19], v[20:21], v[18:19]
	v_fma_f64 v[12:13], v[20:21], v[16:17], -v[12:13]
	s_delay_alu instid0(VALU_DEP_2) | instskip(NEXT) | instid1(VALU_DEP_2)
	v_fmac_f64_e32 v[18:19], v[22:23], v[16:17]
	v_add_f64_e32 v[4:5], v[4:5], v[12:13]
	s_delay_alu instid0(VALU_DEP_2)
	v_add_f64_e32 v[2:3], v[2:3], v[18:19]
	s_and_not1_b32 exec_lo, exec_lo, s3
	s_cbranch_execnz .LBB113_161
; %bb.162:
	s_or_b32 exec_lo, exec_lo, s3
	v_mov_b32_e32 v8, 0
	ds_load_b128 v[8:11], v8 offset:592
	s_wait_dscnt 0x0
	v_mul_f64_e32 v[16:17], v[2:3], v[10:11]
	v_mul_f64_e32 v[12:13], v[4:5], v[10:11]
	s_delay_alu instid0(VALU_DEP_2) | instskip(NEXT) | instid1(VALU_DEP_2)
	v_fma_f64 v[10:11], v[4:5], v[8:9], -v[16:17]
	v_fmac_f64_e32 v[12:13], v[2:3], v[8:9]
	scratch_store_b128 off, v[10:13], off offset:592
.LBB113_163:
	s_wait_xcnt 0x0
	s_or_b32 exec_lo, exec_lo, s2
	s_wait_storecnt 0x0
	s_barrier_signal -1
	s_barrier_wait -1
	scratch_load_b128 v[2:5], off, s27
	s_mov_b32 s2, exec_lo
	s_wait_loadcnt 0x0
	ds_store_b128 v6, v[2:5]
	s_wait_dscnt 0x0
	s_barrier_signal -1
	s_barrier_wait -1
	v_cmpx_gt_u32_e32 38, v1
	s_cbranch_execz .LBB113_167
; %bb.164:
	v_dual_mov_b32 v10, v14 :: v_dual_add_nc_u32 v8, -1, v1
	v_mov_b64_e32 v[2:3], 0
	v_mov_b64_e32 v[4:5], 0
	v_add_nc_u32_e32 v9, 0x320, v14
	s_delay_alu instid0(VALU_DEP_4)
	v_or_b32_e32 v10, 8, v10
	s_mov_b32 s3, 0
.LBB113_165:                            ; =>This Inner Loop Header: Depth=1
	scratch_load_b128 v[16:19], v10, off offset:-8
	ds_load_b128 v[20:23], v9
	v_dual_add_nc_u32 v8, 1, v8 :: v_dual_add_nc_u32 v9, 16, v9
	s_wait_xcnt 0x0
	v_add_nc_u32_e32 v10, 16, v10
	s_delay_alu instid0(VALU_DEP_2) | instskip(SKIP_4) | instid1(VALU_DEP_2)
	v_cmp_lt_u32_e32 vcc_lo, 36, v8
	s_or_b32 s3, vcc_lo, s3
	s_wait_loadcnt_dscnt 0x0
	v_mul_f64_e32 v[12:13], v[22:23], v[18:19]
	v_mul_f64_e32 v[18:19], v[20:21], v[18:19]
	v_fma_f64 v[12:13], v[20:21], v[16:17], -v[12:13]
	s_delay_alu instid0(VALU_DEP_2) | instskip(NEXT) | instid1(VALU_DEP_2)
	v_fmac_f64_e32 v[18:19], v[22:23], v[16:17]
	v_add_f64_e32 v[4:5], v[4:5], v[12:13]
	s_delay_alu instid0(VALU_DEP_2)
	v_add_f64_e32 v[2:3], v[2:3], v[18:19]
	s_and_not1_b32 exec_lo, exec_lo, s3
	s_cbranch_execnz .LBB113_165
; %bb.166:
	s_or_b32 exec_lo, exec_lo, s3
	v_mov_b32_e32 v8, 0
	ds_load_b128 v[8:11], v8 offset:608
	s_wait_dscnt 0x0
	v_mul_f64_e32 v[16:17], v[2:3], v[10:11]
	v_mul_f64_e32 v[12:13], v[4:5], v[10:11]
	s_delay_alu instid0(VALU_DEP_2) | instskip(NEXT) | instid1(VALU_DEP_2)
	v_fma_f64 v[10:11], v[4:5], v[8:9], -v[16:17]
	v_fmac_f64_e32 v[12:13], v[2:3], v[8:9]
	scratch_store_b128 off, v[10:13], off offset:608
.LBB113_167:
	s_wait_xcnt 0x0
	s_or_b32 exec_lo, exec_lo, s2
	s_wait_storecnt 0x0
	s_barrier_signal -1
	s_barrier_wait -1
	scratch_load_b128 v[2:5], off, s26
	s_mov_b32 s2, exec_lo
	s_wait_loadcnt 0x0
	ds_store_b128 v6, v[2:5]
	s_wait_dscnt 0x0
	s_barrier_signal -1
	s_barrier_wait -1
	v_cmpx_gt_u32_e32 39, v1
	s_cbranch_execz .LBB113_171
; %bb.168:
	v_dual_mov_b32 v10, v14 :: v_dual_add_nc_u32 v8, -1, v1
	v_mov_b64_e32 v[2:3], 0
	v_mov_b64_e32 v[4:5], 0
	v_add_nc_u32_e32 v9, 0x320, v14
	s_delay_alu instid0(VALU_DEP_4)
	v_or_b32_e32 v10, 8, v10
	s_mov_b32 s3, 0
.LBB113_169:                            ; =>This Inner Loop Header: Depth=1
	scratch_load_b128 v[16:19], v10, off offset:-8
	ds_load_b128 v[20:23], v9
	v_dual_add_nc_u32 v8, 1, v8 :: v_dual_add_nc_u32 v9, 16, v9
	s_wait_xcnt 0x0
	v_add_nc_u32_e32 v10, 16, v10
	s_delay_alu instid0(VALU_DEP_2) | instskip(SKIP_4) | instid1(VALU_DEP_2)
	v_cmp_lt_u32_e32 vcc_lo, 37, v8
	s_or_b32 s3, vcc_lo, s3
	s_wait_loadcnt_dscnt 0x0
	v_mul_f64_e32 v[12:13], v[22:23], v[18:19]
	v_mul_f64_e32 v[18:19], v[20:21], v[18:19]
	v_fma_f64 v[12:13], v[20:21], v[16:17], -v[12:13]
	s_delay_alu instid0(VALU_DEP_2) | instskip(NEXT) | instid1(VALU_DEP_2)
	v_fmac_f64_e32 v[18:19], v[22:23], v[16:17]
	v_add_f64_e32 v[4:5], v[4:5], v[12:13]
	s_delay_alu instid0(VALU_DEP_2)
	v_add_f64_e32 v[2:3], v[2:3], v[18:19]
	s_and_not1_b32 exec_lo, exec_lo, s3
	s_cbranch_execnz .LBB113_169
; %bb.170:
	s_or_b32 exec_lo, exec_lo, s3
	v_mov_b32_e32 v8, 0
	ds_load_b128 v[8:11], v8 offset:624
	s_wait_dscnt 0x0
	v_mul_f64_e32 v[16:17], v[2:3], v[10:11]
	v_mul_f64_e32 v[12:13], v[4:5], v[10:11]
	s_delay_alu instid0(VALU_DEP_2) | instskip(NEXT) | instid1(VALU_DEP_2)
	v_fma_f64 v[10:11], v[4:5], v[8:9], -v[16:17]
	v_fmac_f64_e32 v[12:13], v[2:3], v[8:9]
	scratch_store_b128 off, v[10:13], off offset:624
.LBB113_171:
	s_wait_xcnt 0x0
	s_or_b32 exec_lo, exec_lo, s2
	s_wait_storecnt 0x0
	s_barrier_signal -1
	s_barrier_wait -1
	scratch_load_b128 v[2:5], off, s25
	s_mov_b32 s2, exec_lo
	s_wait_loadcnt 0x0
	ds_store_b128 v6, v[2:5]
	s_wait_dscnt 0x0
	s_barrier_signal -1
	s_barrier_wait -1
	v_cmpx_gt_u32_e32 40, v1
	s_cbranch_execz .LBB113_175
; %bb.172:
	v_dual_mov_b32 v10, v14 :: v_dual_add_nc_u32 v8, -1, v1
	v_mov_b64_e32 v[2:3], 0
	v_mov_b64_e32 v[4:5], 0
	v_add_nc_u32_e32 v9, 0x320, v14
	s_delay_alu instid0(VALU_DEP_4)
	v_or_b32_e32 v10, 8, v10
	s_mov_b32 s3, 0
.LBB113_173:                            ; =>This Inner Loop Header: Depth=1
	scratch_load_b128 v[16:19], v10, off offset:-8
	ds_load_b128 v[20:23], v9
	v_dual_add_nc_u32 v8, 1, v8 :: v_dual_add_nc_u32 v9, 16, v9
	s_wait_xcnt 0x0
	v_add_nc_u32_e32 v10, 16, v10
	s_delay_alu instid0(VALU_DEP_2) | instskip(SKIP_4) | instid1(VALU_DEP_2)
	v_cmp_lt_u32_e32 vcc_lo, 38, v8
	s_or_b32 s3, vcc_lo, s3
	s_wait_loadcnt_dscnt 0x0
	v_mul_f64_e32 v[12:13], v[22:23], v[18:19]
	v_mul_f64_e32 v[18:19], v[20:21], v[18:19]
	v_fma_f64 v[12:13], v[20:21], v[16:17], -v[12:13]
	s_delay_alu instid0(VALU_DEP_2) | instskip(NEXT) | instid1(VALU_DEP_2)
	v_fmac_f64_e32 v[18:19], v[22:23], v[16:17]
	v_add_f64_e32 v[4:5], v[4:5], v[12:13]
	s_delay_alu instid0(VALU_DEP_2)
	v_add_f64_e32 v[2:3], v[2:3], v[18:19]
	s_and_not1_b32 exec_lo, exec_lo, s3
	s_cbranch_execnz .LBB113_173
; %bb.174:
	s_or_b32 exec_lo, exec_lo, s3
	v_mov_b32_e32 v8, 0
	ds_load_b128 v[8:11], v8 offset:640
	s_wait_dscnt 0x0
	v_mul_f64_e32 v[16:17], v[2:3], v[10:11]
	v_mul_f64_e32 v[12:13], v[4:5], v[10:11]
	s_delay_alu instid0(VALU_DEP_2) | instskip(NEXT) | instid1(VALU_DEP_2)
	v_fma_f64 v[10:11], v[4:5], v[8:9], -v[16:17]
	v_fmac_f64_e32 v[12:13], v[2:3], v[8:9]
	scratch_store_b128 off, v[10:13], off offset:640
.LBB113_175:
	s_wait_xcnt 0x0
	s_or_b32 exec_lo, exec_lo, s2
	s_wait_storecnt 0x0
	s_barrier_signal -1
	s_barrier_wait -1
	scratch_load_b128 v[2:5], off, s24
	s_mov_b32 s2, exec_lo
	s_wait_loadcnt 0x0
	ds_store_b128 v6, v[2:5]
	s_wait_dscnt 0x0
	s_barrier_signal -1
	s_barrier_wait -1
	v_cmpx_gt_u32_e32 41, v1
	s_cbranch_execz .LBB113_179
; %bb.176:
	v_dual_mov_b32 v10, v14 :: v_dual_add_nc_u32 v8, -1, v1
	v_mov_b64_e32 v[2:3], 0
	v_mov_b64_e32 v[4:5], 0
	v_add_nc_u32_e32 v9, 0x320, v14
	s_delay_alu instid0(VALU_DEP_4)
	v_or_b32_e32 v10, 8, v10
	s_mov_b32 s3, 0
.LBB113_177:                            ; =>This Inner Loop Header: Depth=1
	scratch_load_b128 v[16:19], v10, off offset:-8
	ds_load_b128 v[20:23], v9
	v_dual_add_nc_u32 v8, 1, v8 :: v_dual_add_nc_u32 v9, 16, v9
	s_wait_xcnt 0x0
	v_add_nc_u32_e32 v10, 16, v10
	s_delay_alu instid0(VALU_DEP_2) | instskip(SKIP_4) | instid1(VALU_DEP_2)
	v_cmp_lt_u32_e32 vcc_lo, 39, v8
	s_or_b32 s3, vcc_lo, s3
	s_wait_loadcnt_dscnt 0x0
	v_mul_f64_e32 v[12:13], v[22:23], v[18:19]
	v_mul_f64_e32 v[18:19], v[20:21], v[18:19]
	v_fma_f64 v[12:13], v[20:21], v[16:17], -v[12:13]
	s_delay_alu instid0(VALU_DEP_2) | instskip(NEXT) | instid1(VALU_DEP_2)
	v_fmac_f64_e32 v[18:19], v[22:23], v[16:17]
	v_add_f64_e32 v[4:5], v[4:5], v[12:13]
	s_delay_alu instid0(VALU_DEP_2)
	v_add_f64_e32 v[2:3], v[2:3], v[18:19]
	s_and_not1_b32 exec_lo, exec_lo, s3
	s_cbranch_execnz .LBB113_177
; %bb.178:
	s_or_b32 exec_lo, exec_lo, s3
	v_mov_b32_e32 v8, 0
	ds_load_b128 v[8:11], v8 offset:656
	s_wait_dscnt 0x0
	v_mul_f64_e32 v[16:17], v[2:3], v[10:11]
	v_mul_f64_e32 v[12:13], v[4:5], v[10:11]
	s_delay_alu instid0(VALU_DEP_2) | instskip(NEXT) | instid1(VALU_DEP_2)
	v_fma_f64 v[10:11], v[4:5], v[8:9], -v[16:17]
	v_fmac_f64_e32 v[12:13], v[2:3], v[8:9]
	scratch_store_b128 off, v[10:13], off offset:656
.LBB113_179:
	s_wait_xcnt 0x0
	s_or_b32 exec_lo, exec_lo, s2
	s_wait_storecnt 0x0
	s_barrier_signal -1
	s_barrier_wait -1
	scratch_load_b128 v[2:5], off, s23
	s_mov_b32 s2, exec_lo
	s_wait_loadcnt 0x0
	ds_store_b128 v6, v[2:5]
	s_wait_dscnt 0x0
	s_barrier_signal -1
	s_barrier_wait -1
	v_cmpx_gt_u32_e32 42, v1
	s_cbranch_execz .LBB113_183
; %bb.180:
	v_dual_mov_b32 v10, v14 :: v_dual_add_nc_u32 v8, -1, v1
	v_mov_b64_e32 v[2:3], 0
	v_mov_b64_e32 v[4:5], 0
	v_add_nc_u32_e32 v9, 0x320, v14
	s_delay_alu instid0(VALU_DEP_4)
	v_or_b32_e32 v10, 8, v10
	s_mov_b32 s3, 0
.LBB113_181:                            ; =>This Inner Loop Header: Depth=1
	scratch_load_b128 v[16:19], v10, off offset:-8
	ds_load_b128 v[20:23], v9
	v_dual_add_nc_u32 v8, 1, v8 :: v_dual_add_nc_u32 v9, 16, v9
	s_wait_xcnt 0x0
	v_add_nc_u32_e32 v10, 16, v10
	s_delay_alu instid0(VALU_DEP_2) | instskip(SKIP_4) | instid1(VALU_DEP_2)
	v_cmp_lt_u32_e32 vcc_lo, 40, v8
	s_or_b32 s3, vcc_lo, s3
	s_wait_loadcnt_dscnt 0x0
	v_mul_f64_e32 v[12:13], v[22:23], v[18:19]
	v_mul_f64_e32 v[18:19], v[20:21], v[18:19]
	v_fma_f64 v[12:13], v[20:21], v[16:17], -v[12:13]
	s_delay_alu instid0(VALU_DEP_2) | instskip(NEXT) | instid1(VALU_DEP_2)
	v_fmac_f64_e32 v[18:19], v[22:23], v[16:17]
	v_add_f64_e32 v[4:5], v[4:5], v[12:13]
	s_delay_alu instid0(VALU_DEP_2)
	v_add_f64_e32 v[2:3], v[2:3], v[18:19]
	s_and_not1_b32 exec_lo, exec_lo, s3
	s_cbranch_execnz .LBB113_181
; %bb.182:
	s_or_b32 exec_lo, exec_lo, s3
	v_mov_b32_e32 v8, 0
	ds_load_b128 v[8:11], v8 offset:672
	s_wait_dscnt 0x0
	v_mul_f64_e32 v[16:17], v[2:3], v[10:11]
	v_mul_f64_e32 v[12:13], v[4:5], v[10:11]
	s_delay_alu instid0(VALU_DEP_2) | instskip(NEXT) | instid1(VALU_DEP_2)
	v_fma_f64 v[10:11], v[4:5], v[8:9], -v[16:17]
	v_fmac_f64_e32 v[12:13], v[2:3], v[8:9]
	scratch_store_b128 off, v[10:13], off offset:672
.LBB113_183:
	s_wait_xcnt 0x0
	s_or_b32 exec_lo, exec_lo, s2
	s_wait_storecnt 0x0
	s_barrier_signal -1
	s_barrier_wait -1
	scratch_load_b128 v[2:5], off, s22
	s_mov_b32 s2, exec_lo
	s_wait_loadcnt 0x0
	ds_store_b128 v6, v[2:5]
	s_wait_dscnt 0x0
	s_barrier_signal -1
	s_barrier_wait -1
	v_cmpx_gt_u32_e32 43, v1
	s_cbranch_execz .LBB113_187
; %bb.184:
	v_dual_mov_b32 v10, v14 :: v_dual_add_nc_u32 v8, -1, v1
	v_mov_b64_e32 v[2:3], 0
	v_mov_b64_e32 v[4:5], 0
	v_add_nc_u32_e32 v9, 0x320, v14
	s_delay_alu instid0(VALU_DEP_4)
	v_or_b32_e32 v10, 8, v10
	s_mov_b32 s3, 0
.LBB113_185:                            ; =>This Inner Loop Header: Depth=1
	scratch_load_b128 v[16:19], v10, off offset:-8
	ds_load_b128 v[20:23], v9
	v_dual_add_nc_u32 v8, 1, v8 :: v_dual_add_nc_u32 v9, 16, v9
	s_wait_xcnt 0x0
	v_add_nc_u32_e32 v10, 16, v10
	s_delay_alu instid0(VALU_DEP_2) | instskip(SKIP_4) | instid1(VALU_DEP_2)
	v_cmp_lt_u32_e32 vcc_lo, 41, v8
	s_or_b32 s3, vcc_lo, s3
	s_wait_loadcnt_dscnt 0x0
	v_mul_f64_e32 v[12:13], v[22:23], v[18:19]
	v_mul_f64_e32 v[18:19], v[20:21], v[18:19]
	v_fma_f64 v[12:13], v[20:21], v[16:17], -v[12:13]
	s_delay_alu instid0(VALU_DEP_2) | instskip(NEXT) | instid1(VALU_DEP_2)
	v_fmac_f64_e32 v[18:19], v[22:23], v[16:17]
	v_add_f64_e32 v[4:5], v[4:5], v[12:13]
	s_delay_alu instid0(VALU_DEP_2)
	v_add_f64_e32 v[2:3], v[2:3], v[18:19]
	s_and_not1_b32 exec_lo, exec_lo, s3
	s_cbranch_execnz .LBB113_185
; %bb.186:
	s_or_b32 exec_lo, exec_lo, s3
	v_mov_b32_e32 v8, 0
	ds_load_b128 v[8:11], v8 offset:688
	s_wait_dscnt 0x0
	v_mul_f64_e32 v[16:17], v[2:3], v[10:11]
	v_mul_f64_e32 v[12:13], v[4:5], v[10:11]
	s_delay_alu instid0(VALU_DEP_2) | instskip(NEXT) | instid1(VALU_DEP_2)
	v_fma_f64 v[10:11], v[4:5], v[8:9], -v[16:17]
	v_fmac_f64_e32 v[12:13], v[2:3], v[8:9]
	scratch_store_b128 off, v[10:13], off offset:688
.LBB113_187:
	s_wait_xcnt 0x0
	s_or_b32 exec_lo, exec_lo, s2
	s_wait_storecnt 0x0
	s_barrier_signal -1
	s_barrier_wait -1
	scratch_load_b128 v[2:5], off, s21
	s_mov_b32 s2, exec_lo
	s_wait_loadcnt 0x0
	ds_store_b128 v6, v[2:5]
	s_wait_dscnt 0x0
	s_barrier_signal -1
	s_barrier_wait -1
	v_cmpx_gt_u32_e32 44, v1
	s_cbranch_execz .LBB113_191
; %bb.188:
	v_dual_mov_b32 v10, v14 :: v_dual_add_nc_u32 v8, -1, v1
	v_mov_b64_e32 v[2:3], 0
	v_mov_b64_e32 v[4:5], 0
	v_add_nc_u32_e32 v9, 0x320, v14
	s_delay_alu instid0(VALU_DEP_4)
	v_or_b32_e32 v10, 8, v10
	s_mov_b32 s3, 0
.LBB113_189:                            ; =>This Inner Loop Header: Depth=1
	scratch_load_b128 v[16:19], v10, off offset:-8
	ds_load_b128 v[20:23], v9
	v_dual_add_nc_u32 v8, 1, v8 :: v_dual_add_nc_u32 v9, 16, v9
	s_wait_xcnt 0x0
	v_add_nc_u32_e32 v10, 16, v10
	s_delay_alu instid0(VALU_DEP_2) | instskip(SKIP_4) | instid1(VALU_DEP_2)
	v_cmp_lt_u32_e32 vcc_lo, 42, v8
	s_or_b32 s3, vcc_lo, s3
	s_wait_loadcnt_dscnt 0x0
	v_mul_f64_e32 v[12:13], v[22:23], v[18:19]
	v_mul_f64_e32 v[18:19], v[20:21], v[18:19]
	v_fma_f64 v[12:13], v[20:21], v[16:17], -v[12:13]
	s_delay_alu instid0(VALU_DEP_2) | instskip(NEXT) | instid1(VALU_DEP_2)
	v_fmac_f64_e32 v[18:19], v[22:23], v[16:17]
	v_add_f64_e32 v[4:5], v[4:5], v[12:13]
	s_delay_alu instid0(VALU_DEP_2)
	v_add_f64_e32 v[2:3], v[2:3], v[18:19]
	s_and_not1_b32 exec_lo, exec_lo, s3
	s_cbranch_execnz .LBB113_189
; %bb.190:
	s_or_b32 exec_lo, exec_lo, s3
	v_mov_b32_e32 v8, 0
	ds_load_b128 v[8:11], v8 offset:704
	s_wait_dscnt 0x0
	v_mul_f64_e32 v[16:17], v[2:3], v[10:11]
	v_mul_f64_e32 v[12:13], v[4:5], v[10:11]
	s_delay_alu instid0(VALU_DEP_2) | instskip(NEXT) | instid1(VALU_DEP_2)
	v_fma_f64 v[10:11], v[4:5], v[8:9], -v[16:17]
	v_fmac_f64_e32 v[12:13], v[2:3], v[8:9]
	scratch_store_b128 off, v[10:13], off offset:704
.LBB113_191:
	s_wait_xcnt 0x0
	s_or_b32 exec_lo, exec_lo, s2
	s_wait_storecnt 0x0
	s_barrier_signal -1
	s_barrier_wait -1
	scratch_load_b128 v[2:5], off, s20
	s_mov_b32 s2, exec_lo
	s_wait_loadcnt 0x0
	ds_store_b128 v6, v[2:5]
	s_wait_dscnt 0x0
	s_barrier_signal -1
	s_barrier_wait -1
	v_cmpx_gt_u32_e32 45, v1
	s_cbranch_execz .LBB113_195
; %bb.192:
	v_dual_mov_b32 v10, v14 :: v_dual_add_nc_u32 v8, -1, v1
	v_mov_b64_e32 v[2:3], 0
	v_mov_b64_e32 v[4:5], 0
	v_add_nc_u32_e32 v9, 0x320, v14
	s_delay_alu instid0(VALU_DEP_4)
	v_or_b32_e32 v10, 8, v10
	s_mov_b32 s3, 0
.LBB113_193:                            ; =>This Inner Loop Header: Depth=1
	scratch_load_b128 v[16:19], v10, off offset:-8
	ds_load_b128 v[20:23], v9
	v_dual_add_nc_u32 v8, 1, v8 :: v_dual_add_nc_u32 v9, 16, v9
	s_wait_xcnt 0x0
	v_add_nc_u32_e32 v10, 16, v10
	s_delay_alu instid0(VALU_DEP_2) | instskip(SKIP_4) | instid1(VALU_DEP_2)
	v_cmp_lt_u32_e32 vcc_lo, 43, v8
	s_or_b32 s3, vcc_lo, s3
	s_wait_loadcnt_dscnt 0x0
	v_mul_f64_e32 v[12:13], v[22:23], v[18:19]
	v_mul_f64_e32 v[18:19], v[20:21], v[18:19]
	v_fma_f64 v[12:13], v[20:21], v[16:17], -v[12:13]
	s_delay_alu instid0(VALU_DEP_2) | instskip(NEXT) | instid1(VALU_DEP_2)
	v_fmac_f64_e32 v[18:19], v[22:23], v[16:17]
	v_add_f64_e32 v[4:5], v[4:5], v[12:13]
	s_delay_alu instid0(VALU_DEP_2)
	v_add_f64_e32 v[2:3], v[2:3], v[18:19]
	s_and_not1_b32 exec_lo, exec_lo, s3
	s_cbranch_execnz .LBB113_193
; %bb.194:
	s_or_b32 exec_lo, exec_lo, s3
	v_mov_b32_e32 v8, 0
	ds_load_b128 v[8:11], v8 offset:720
	s_wait_dscnt 0x0
	v_mul_f64_e32 v[16:17], v[2:3], v[10:11]
	v_mul_f64_e32 v[12:13], v[4:5], v[10:11]
	s_delay_alu instid0(VALU_DEP_2) | instskip(NEXT) | instid1(VALU_DEP_2)
	v_fma_f64 v[10:11], v[4:5], v[8:9], -v[16:17]
	v_fmac_f64_e32 v[12:13], v[2:3], v[8:9]
	scratch_store_b128 off, v[10:13], off offset:720
.LBB113_195:
	s_wait_xcnt 0x0
	s_or_b32 exec_lo, exec_lo, s2
	s_wait_storecnt 0x0
	s_barrier_signal -1
	s_barrier_wait -1
	scratch_load_b128 v[2:5], off, s19
	s_mov_b32 s2, exec_lo
	s_wait_loadcnt 0x0
	ds_store_b128 v6, v[2:5]
	s_wait_dscnt 0x0
	s_barrier_signal -1
	s_barrier_wait -1
	v_cmpx_gt_u32_e32 46, v1
	s_cbranch_execz .LBB113_199
; %bb.196:
	v_dual_mov_b32 v10, v14 :: v_dual_add_nc_u32 v8, -1, v1
	v_mov_b64_e32 v[2:3], 0
	v_mov_b64_e32 v[4:5], 0
	v_add_nc_u32_e32 v9, 0x320, v14
	s_delay_alu instid0(VALU_DEP_4)
	v_or_b32_e32 v10, 8, v10
	s_mov_b32 s3, 0
.LBB113_197:                            ; =>This Inner Loop Header: Depth=1
	scratch_load_b128 v[16:19], v10, off offset:-8
	ds_load_b128 v[20:23], v9
	v_dual_add_nc_u32 v8, 1, v8 :: v_dual_add_nc_u32 v9, 16, v9
	s_wait_xcnt 0x0
	v_add_nc_u32_e32 v10, 16, v10
	s_delay_alu instid0(VALU_DEP_2) | instskip(SKIP_4) | instid1(VALU_DEP_2)
	v_cmp_lt_u32_e32 vcc_lo, 44, v8
	s_or_b32 s3, vcc_lo, s3
	s_wait_loadcnt_dscnt 0x0
	v_mul_f64_e32 v[12:13], v[22:23], v[18:19]
	v_mul_f64_e32 v[18:19], v[20:21], v[18:19]
	v_fma_f64 v[12:13], v[20:21], v[16:17], -v[12:13]
	s_delay_alu instid0(VALU_DEP_2) | instskip(NEXT) | instid1(VALU_DEP_2)
	v_fmac_f64_e32 v[18:19], v[22:23], v[16:17]
	v_add_f64_e32 v[4:5], v[4:5], v[12:13]
	s_delay_alu instid0(VALU_DEP_2)
	v_add_f64_e32 v[2:3], v[2:3], v[18:19]
	s_and_not1_b32 exec_lo, exec_lo, s3
	s_cbranch_execnz .LBB113_197
; %bb.198:
	s_or_b32 exec_lo, exec_lo, s3
	v_mov_b32_e32 v8, 0
	ds_load_b128 v[8:11], v8 offset:736
	s_wait_dscnt 0x0
	v_mul_f64_e32 v[16:17], v[2:3], v[10:11]
	v_mul_f64_e32 v[12:13], v[4:5], v[10:11]
	s_delay_alu instid0(VALU_DEP_2) | instskip(NEXT) | instid1(VALU_DEP_2)
	v_fma_f64 v[10:11], v[4:5], v[8:9], -v[16:17]
	v_fmac_f64_e32 v[12:13], v[2:3], v[8:9]
	scratch_store_b128 off, v[10:13], off offset:736
.LBB113_199:
	s_wait_xcnt 0x0
	s_or_b32 exec_lo, exec_lo, s2
	s_wait_storecnt 0x0
	s_barrier_signal -1
	s_barrier_wait -1
	scratch_load_b128 v[2:5], off, s17
	s_mov_b32 s2, exec_lo
	s_wait_loadcnt 0x0
	ds_store_b128 v6, v[2:5]
	s_wait_dscnt 0x0
	s_barrier_signal -1
	s_barrier_wait -1
	v_cmpx_gt_u32_e32 47, v1
	s_cbranch_execz .LBB113_203
; %bb.200:
	v_dual_mov_b32 v10, v14 :: v_dual_add_nc_u32 v8, -1, v1
	v_mov_b64_e32 v[2:3], 0
	v_mov_b64_e32 v[4:5], 0
	v_add_nc_u32_e32 v9, 0x320, v14
	s_delay_alu instid0(VALU_DEP_4)
	v_or_b32_e32 v10, 8, v10
	s_mov_b32 s3, 0
.LBB113_201:                            ; =>This Inner Loop Header: Depth=1
	scratch_load_b128 v[16:19], v10, off offset:-8
	ds_load_b128 v[20:23], v9
	v_dual_add_nc_u32 v8, 1, v8 :: v_dual_add_nc_u32 v9, 16, v9
	s_wait_xcnt 0x0
	v_add_nc_u32_e32 v10, 16, v10
	s_delay_alu instid0(VALU_DEP_2) | instskip(SKIP_4) | instid1(VALU_DEP_2)
	v_cmp_lt_u32_e32 vcc_lo, 45, v8
	s_or_b32 s3, vcc_lo, s3
	s_wait_loadcnt_dscnt 0x0
	v_mul_f64_e32 v[12:13], v[22:23], v[18:19]
	v_mul_f64_e32 v[18:19], v[20:21], v[18:19]
	v_fma_f64 v[12:13], v[20:21], v[16:17], -v[12:13]
	s_delay_alu instid0(VALU_DEP_2) | instskip(NEXT) | instid1(VALU_DEP_2)
	v_fmac_f64_e32 v[18:19], v[22:23], v[16:17]
	v_add_f64_e32 v[4:5], v[4:5], v[12:13]
	s_delay_alu instid0(VALU_DEP_2)
	v_add_f64_e32 v[2:3], v[2:3], v[18:19]
	s_and_not1_b32 exec_lo, exec_lo, s3
	s_cbranch_execnz .LBB113_201
; %bb.202:
	s_or_b32 exec_lo, exec_lo, s3
	v_mov_b32_e32 v8, 0
	ds_load_b128 v[8:11], v8 offset:752
	s_wait_dscnt 0x0
	v_mul_f64_e32 v[16:17], v[2:3], v[10:11]
	v_mul_f64_e32 v[12:13], v[4:5], v[10:11]
	s_delay_alu instid0(VALU_DEP_2) | instskip(NEXT) | instid1(VALU_DEP_2)
	v_fma_f64 v[10:11], v[4:5], v[8:9], -v[16:17]
	v_fmac_f64_e32 v[12:13], v[2:3], v[8:9]
	scratch_store_b128 off, v[10:13], off offset:752
.LBB113_203:
	s_wait_xcnt 0x0
	s_or_b32 exec_lo, exec_lo, s2
	s_wait_storecnt 0x0
	s_barrier_signal -1
	s_barrier_wait -1
	scratch_load_b128 v[2:5], off, s15
	s_mov_b32 s2, exec_lo
	s_wait_loadcnt 0x0
	ds_store_b128 v6, v[2:5]
	s_wait_dscnt 0x0
	s_barrier_signal -1
	s_barrier_wait -1
	v_cmpx_gt_u32_e32 48, v1
	s_cbranch_execz .LBB113_207
; %bb.204:
	v_dual_mov_b32 v10, v14 :: v_dual_add_nc_u32 v8, -1, v1
	v_mov_b64_e32 v[2:3], 0
	v_mov_b64_e32 v[4:5], 0
	v_add_nc_u32_e32 v9, 0x320, v14
	s_delay_alu instid0(VALU_DEP_4)
	v_or_b32_e32 v10, 8, v10
	s_mov_b32 s3, 0
.LBB113_205:                            ; =>This Inner Loop Header: Depth=1
	scratch_load_b128 v[16:19], v10, off offset:-8
	ds_load_b128 v[20:23], v9
	v_dual_add_nc_u32 v8, 1, v8 :: v_dual_add_nc_u32 v9, 16, v9
	s_wait_xcnt 0x0
	v_add_nc_u32_e32 v10, 16, v10
	s_delay_alu instid0(VALU_DEP_2) | instskip(SKIP_4) | instid1(VALU_DEP_2)
	v_cmp_lt_u32_e32 vcc_lo, 46, v8
	s_or_b32 s3, vcc_lo, s3
	s_wait_loadcnt_dscnt 0x0
	v_mul_f64_e32 v[12:13], v[22:23], v[18:19]
	v_mul_f64_e32 v[18:19], v[20:21], v[18:19]
	v_fma_f64 v[12:13], v[20:21], v[16:17], -v[12:13]
	s_delay_alu instid0(VALU_DEP_2) | instskip(NEXT) | instid1(VALU_DEP_2)
	v_fmac_f64_e32 v[18:19], v[22:23], v[16:17]
	v_add_f64_e32 v[4:5], v[4:5], v[12:13]
	s_delay_alu instid0(VALU_DEP_2)
	v_add_f64_e32 v[2:3], v[2:3], v[18:19]
	s_and_not1_b32 exec_lo, exec_lo, s3
	s_cbranch_execnz .LBB113_205
; %bb.206:
	s_or_b32 exec_lo, exec_lo, s3
	v_mov_b32_e32 v8, 0
	ds_load_b128 v[8:11], v8 offset:768
	s_wait_dscnt 0x0
	v_mul_f64_e32 v[16:17], v[2:3], v[10:11]
	v_mul_f64_e32 v[12:13], v[4:5], v[10:11]
	s_delay_alu instid0(VALU_DEP_2) | instskip(NEXT) | instid1(VALU_DEP_2)
	v_fma_f64 v[10:11], v[4:5], v[8:9], -v[16:17]
	v_fmac_f64_e32 v[12:13], v[2:3], v[8:9]
	scratch_store_b128 off, v[10:13], off offset:768
.LBB113_207:
	s_wait_xcnt 0x0
	s_or_b32 exec_lo, exec_lo, s2
	s_wait_storecnt 0x0
	s_barrier_signal -1
	s_barrier_wait -1
	scratch_load_b128 v[2:5], off, s13
	s_mov_b32 s2, exec_lo
	s_wait_loadcnt 0x0
	ds_store_b128 v6, v[2:5]
	s_wait_dscnt 0x0
	s_barrier_signal -1
	s_barrier_wait -1
	v_cmpx_ne_u32_e32 49, v1
	s_cbranch_execz .LBB113_211
; %bb.208:
	v_mov_b32_e32 v8, v14
	v_mov_b64_e32 v[2:3], 0
	v_mov_b64_e32 v[4:5], 0
	s_mov_b32 s3, 0
	s_delay_alu instid0(VALU_DEP_3)
	v_or_b32_e32 v8, 8, v8
.LBB113_209:                            ; =>This Inner Loop Header: Depth=1
	scratch_load_b128 v[10:13], v8, off offset:-8
	ds_load_b128 v[14:17], v6
	v_dual_add_nc_u32 v7, 1, v7 :: v_dual_add_nc_u32 v6, 16, v6
	s_wait_xcnt 0x0
	v_add_nc_u32_e32 v8, 16, v8
	s_delay_alu instid0(VALU_DEP_2) | instskip(SKIP_4) | instid1(VALU_DEP_2)
	v_cmp_lt_u32_e32 vcc_lo, 47, v7
	s_or_b32 s3, vcc_lo, s3
	s_wait_loadcnt_dscnt 0x0
	v_mul_f64_e32 v[18:19], v[16:17], v[12:13]
	v_mul_f64_e32 v[12:13], v[14:15], v[12:13]
	v_fma_f64 v[14:15], v[14:15], v[10:11], -v[18:19]
	s_delay_alu instid0(VALU_DEP_2) | instskip(NEXT) | instid1(VALU_DEP_2)
	v_fmac_f64_e32 v[12:13], v[16:17], v[10:11]
	v_add_f64_e32 v[4:5], v[4:5], v[14:15]
	s_delay_alu instid0(VALU_DEP_2)
	v_add_f64_e32 v[2:3], v[2:3], v[12:13]
	s_and_not1_b32 exec_lo, exec_lo, s3
	s_cbranch_execnz .LBB113_209
; %bb.210:
	s_or_b32 exec_lo, exec_lo, s3
	v_mov_b32_e32 v6, 0
	ds_load_b128 v[6:9], v6 offset:784
	s_wait_dscnt 0x0
	v_mul_f64_e32 v[12:13], v[2:3], v[8:9]
	v_mul_f64_e32 v[10:11], v[4:5], v[8:9]
	s_delay_alu instid0(VALU_DEP_2) | instskip(NEXT) | instid1(VALU_DEP_2)
	v_fma_f64 v[8:9], v[4:5], v[6:7], -v[12:13]
	v_fmac_f64_e32 v[10:11], v[2:3], v[6:7]
	scratch_store_b128 off, v[8:11], off offset:784
.LBB113_211:
	s_wait_xcnt 0x0
	s_or_b32 exec_lo, exec_lo, s2
	s_mov_b32 s3, -1
	s_wait_storecnt 0x0
	s_barrier_signal -1
	s_barrier_wait -1
.LBB113_212:
	s_and_b32 vcc_lo, exec_lo, s3
	s_cbranch_vccz .LBB113_214
; %bb.213:
	s_wait_xcnt 0x0
	v_mov_b32_e32 v2, 0
	s_lshl_b64 s[2:3], s[10:11], 2
	s_delay_alu instid0(SALU_CYCLE_1)
	s_add_nc_u64 s[2:3], s[6:7], s[2:3]
	global_load_b32 v2, v2, s[2:3]
	s_wait_loadcnt 0x0
	v_cmp_ne_u32_e32 vcc_lo, 0, v2
	s_cbranch_vccz .LBB113_215
.LBB113_214:
	s_sendmsg sendmsg(MSG_DEALLOC_VGPRS)
	s_endpgm
.LBB113_215:
	v_lshl_add_u32 v124, v1, 4, 0x320
	s_wait_xcnt 0x0
	s_mov_b32 s2, exec_lo
	v_cmpx_eq_u32_e32 49, v1
	s_cbranch_execz .LBB113_217
; %bb.216:
	scratch_load_b128 v[2:5], off, s15
	v_mov_b32_e32 v6, 0
	s_delay_alu instid0(VALU_DEP_1)
	v_dual_mov_b32 v7, v6 :: v_dual_mov_b32 v8, v6
	v_mov_b32_e32 v9, v6
	scratch_store_b128 off, v[6:9], off offset:768
	s_wait_loadcnt 0x0
	ds_store_b128 v124, v[2:5]
.LBB113_217:
	s_wait_xcnt 0x0
	s_or_b32 exec_lo, exec_lo, s2
	s_wait_storecnt_dscnt 0x0
	s_barrier_signal -1
	s_barrier_wait -1
	s_clause 0x1
	scratch_load_b128 v[4:7], off, off offset:784
	scratch_load_b128 v[8:11], off, off offset:768
	v_mov_b32_e32 v2, 0
	s_mov_b32 s2, exec_lo
	ds_load_b128 v[12:15], v2 offset:1584
	s_wait_loadcnt_dscnt 0x100
	v_mul_f64_e32 v[16:17], v[14:15], v[6:7]
	v_mul_f64_e32 v[6:7], v[12:13], v[6:7]
	s_delay_alu instid0(VALU_DEP_2) | instskip(NEXT) | instid1(VALU_DEP_2)
	v_fma_f64 v[12:13], v[12:13], v[4:5], -v[16:17]
	v_fmac_f64_e32 v[6:7], v[14:15], v[4:5]
	s_delay_alu instid0(VALU_DEP_2) | instskip(NEXT) | instid1(VALU_DEP_2)
	v_add_f64_e32 v[4:5], 0, v[12:13]
	v_add_f64_e32 v[6:7], 0, v[6:7]
	s_wait_loadcnt 0x0
	s_delay_alu instid0(VALU_DEP_2) | instskip(NEXT) | instid1(VALU_DEP_2)
	v_add_f64_e64 v[4:5], v[8:9], -v[4:5]
	v_add_f64_e64 v[6:7], v[10:11], -v[6:7]
	scratch_store_b128 off, v[4:7], off offset:768
	s_wait_xcnt 0x0
	v_cmpx_lt_u32_e32 47, v1
	s_cbranch_execz .LBB113_219
; %bb.218:
	scratch_load_b128 v[6:9], off, s17
	v_dual_mov_b32 v3, v2 :: v_dual_mov_b32 v4, v2
	v_mov_b32_e32 v5, v2
	scratch_store_b128 off, v[2:5], off offset:752
	s_wait_loadcnt 0x0
	ds_store_b128 v124, v[6:9]
.LBB113_219:
	s_wait_xcnt 0x0
	s_or_b32 exec_lo, exec_lo, s2
	s_wait_storecnt_dscnt 0x0
	s_barrier_signal -1
	s_barrier_wait -1
	s_clause 0x2
	scratch_load_b128 v[4:7], off, off offset:768
	scratch_load_b128 v[8:11], off, off offset:784
	;; [unrolled: 1-line block ×3, first 2 shown]
	ds_load_b128 v[16:19], v2 offset:1568
	ds_load_b128 v[20:23], v2 offset:1584
	s_mov_b32 s2, exec_lo
	s_wait_loadcnt_dscnt 0x201
	v_mul_f64_e32 v[2:3], v[18:19], v[6:7]
	v_mul_f64_e32 v[6:7], v[16:17], v[6:7]
	s_wait_loadcnt_dscnt 0x100
	v_mul_f64_e32 v[126:127], v[20:21], v[10:11]
	v_mul_f64_e32 v[10:11], v[22:23], v[10:11]
	s_delay_alu instid0(VALU_DEP_4) | instskip(NEXT) | instid1(VALU_DEP_4)
	v_fma_f64 v[2:3], v[16:17], v[4:5], -v[2:3]
	v_fmac_f64_e32 v[6:7], v[18:19], v[4:5]
	s_delay_alu instid0(VALU_DEP_4) | instskip(NEXT) | instid1(VALU_DEP_4)
	v_fmac_f64_e32 v[126:127], v[22:23], v[8:9]
	v_fma_f64 v[4:5], v[20:21], v[8:9], -v[10:11]
	s_delay_alu instid0(VALU_DEP_4) | instskip(NEXT) | instid1(VALU_DEP_4)
	v_add_f64_e32 v[2:3], 0, v[2:3]
	v_add_f64_e32 v[6:7], 0, v[6:7]
	s_delay_alu instid0(VALU_DEP_2) | instskip(NEXT) | instid1(VALU_DEP_2)
	v_add_f64_e32 v[2:3], v[2:3], v[4:5]
	v_add_f64_e32 v[4:5], v[6:7], v[126:127]
	s_wait_loadcnt 0x0
	s_delay_alu instid0(VALU_DEP_2) | instskip(NEXT) | instid1(VALU_DEP_2)
	v_add_f64_e64 v[2:3], v[12:13], -v[2:3]
	v_add_f64_e64 v[4:5], v[14:15], -v[4:5]
	scratch_store_b128 off, v[2:5], off offset:752
	s_wait_xcnt 0x0
	v_cmpx_lt_u32_e32 46, v1
	s_cbranch_execz .LBB113_221
; %bb.220:
	scratch_load_b128 v[2:5], off, s19
	v_mov_b32_e32 v6, 0
	s_delay_alu instid0(VALU_DEP_1)
	v_dual_mov_b32 v7, v6 :: v_dual_mov_b32 v8, v6
	v_mov_b32_e32 v9, v6
	scratch_store_b128 off, v[6:9], off offset:736
	s_wait_loadcnt 0x0
	ds_store_b128 v124, v[2:5]
.LBB113_221:
	s_wait_xcnt 0x0
	s_or_b32 exec_lo, exec_lo, s2
	s_wait_storecnt_dscnt 0x0
	s_barrier_signal -1
	s_barrier_wait -1
	s_clause 0x3
	scratch_load_b128 v[4:7], off, off offset:752
	scratch_load_b128 v[8:11], off, off offset:768
	;; [unrolled: 1-line block ×4, first 2 shown]
	v_mov_b32_e32 v2, 0
	ds_load_b128 v[20:23], v2 offset:1552
	ds_load_b128 v[126:129], v2 offset:1568
	s_mov_b32 s2, exec_lo
	s_wait_loadcnt_dscnt 0x301
	v_mul_f64_e32 v[130:131], v[22:23], v[6:7]
	v_mul_f64_e32 v[132:133], v[20:21], v[6:7]
	s_wait_loadcnt_dscnt 0x200
	v_mul_f64_e32 v[134:135], v[126:127], v[10:11]
	v_mul_f64_e32 v[10:11], v[128:129], v[10:11]
	s_delay_alu instid0(VALU_DEP_4) | instskip(NEXT) | instid1(VALU_DEP_4)
	v_fma_f64 v[20:21], v[20:21], v[4:5], -v[130:131]
	v_fmac_f64_e32 v[132:133], v[22:23], v[4:5]
	ds_load_b128 v[4:7], v2 offset:1584
	v_fmac_f64_e32 v[134:135], v[128:129], v[8:9]
	v_fma_f64 v[8:9], v[126:127], v[8:9], -v[10:11]
	s_wait_loadcnt_dscnt 0x100
	v_mul_f64_e32 v[22:23], v[4:5], v[14:15]
	v_mul_f64_e32 v[14:15], v[6:7], v[14:15]
	v_add_f64_e32 v[10:11], 0, v[20:21]
	v_add_f64_e32 v[20:21], 0, v[132:133]
	s_delay_alu instid0(VALU_DEP_4) | instskip(NEXT) | instid1(VALU_DEP_4)
	v_fmac_f64_e32 v[22:23], v[6:7], v[12:13]
	v_fma_f64 v[4:5], v[4:5], v[12:13], -v[14:15]
	s_delay_alu instid0(VALU_DEP_4) | instskip(NEXT) | instid1(VALU_DEP_4)
	v_add_f64_e32 v[6:7], v[10:11], v[8:9]
	v_add_f64_e32 v[8:9], v[20:21], v[134:135]
	s_delay_alu instid0(VALU_DEP_2) | instskip(NEXT) | instid1(VALU_DEP_2)
	v_add_f64_e32 v[4:5], v[6:7], v[4:5]
	v_add_f64_e32 v[6:7], v[8:9], v[22:23]
	s_wait_loadcnt 0x0
	s_delay_alu instid0(VALU_DEP_2) | instskip(NEXT) | instid1(VALU_DEP_2)
	v_add_f64_e64 v[4:5], v[16:17], -v[4:5]
	v_add_f64_e64 v[6:7], v[18:19], -v[6:7]
	scratch_store_b128 off, v[4:7], off offset:736
	s_wait_xcnt 0x0
	v_cmpx_lt_u32_e32 45, v1
	s_cbranch_execz .LBB113_223
; %bb.222:
	scratch_load_b128 v[6:9], off, s20
	v_dual_mov_b32 v3, v2 :: v_dual_mov_b32 v4, v2
	v_mov_b32_e32 v5, v2
	scratch_store_b128 off, v[2:5], off offset:720
	s_wait_loadcnt 0x0
	ds_store_b128 v124, v[6:9]
.LBB113_223:
	s_wait_xcnt 0x0
	s_or_b32 exec_lo, exec_lo, s2
	s_wait_storecnt_dscnt 0x0
	s_barrier_signal -1
	s_barrier_wait -1
	s_clause 0x4
	scratch_load_b128 v[4:7], off, off offset:736
	scratch_load_b128 v[8:11], off, off offset:752
	;; [unrolled: 1-line block ×5, first 2 shown]
	ds_load_b128 v[126:129], v2 offset:1536
	ds_load_b128 v[130:133], v2 offset:1552
	s_mov_b32 s2, exec_lo
	s_wait_loadcnt_dscnt 0x401
	v_mul_f64_e32 v[134:135], v[128:129], v[6:7]
	v_mul_f64_e32 v[136:137], v[126:127], v[6:7]
	s_wait_loadcnt_dscnt 0x300
	v_mul_f64_e32 v[138:139], v[130:131], v[10:11]
	v_mul_f64_e32 v[10:11], v[132:133], v[10:11]
	s_delay_alu instid0(VALU_DEP_4) | instskip(NEXT) | instid1(VALU_DEP_4)
	v_fma_f64 v[134:135], v[126:127], v[4:5], -v[134:135]
	v_fmac_f64_e32 v[136:137], v[128:129], v[4:5]
	ds_load_b128 v[4:7], v2 offset:1568
	ds_load_b128 v[126:129], v2 offset:1584
	v_fmac_f64_e32 v[138:139], v[132:133], v[8:9]
	v_fma_f64 v[8:9], v[130:131], v[8:9], -v[10:11]
	s_wait_loadcnt_dscnt 0x201
	v_mul_f64_e32 v[2:3], v[4:5], v[14:15]
	v_mul_f64_e32 v[14:15], v[6:7], v[14:15]
	s_wait_loadcnt_dscnt 0x100
	v_mul_f64_e32 v[132:133], v[126:127], v[18:19]
	v_mul_f64_e32 v[18:19], v[128:129], v[18:19]
	v_add_f64_e32 v[10:11], 0, v[134:135]
	v_add_f64_e32 v[130:131], 0, v[136:137]
	v_fmac_f64_e32 v[2:3], v[6:7], v[12:13]
	v_fma_f64 v[4:5], v[4:5], v[12:13], -v[14:15]
	v_fmac_f64_e32 v[132:133], v[128:129], v[16:17]
	v_add_f64_e32 v[6:7], v[10:11], v[8:9]
	v_add_f64_e32 v[8:9], v[130:131], v[138:139]
	v_fma_f64 v[10:11], v[126:127], v[16:17], -v[18:19]
	s_delay_alu instid0(VALU_DEP_3) | instskip(NEXT) | instid1(VALU_DEP_3)
	v_add_f64_e32 v[4:5], v[6:7], v[4:5]
	v_add_f64_e32 v[2:3], v[8:9], v[2:3]
	s_delay_alu instid0(VALU_DEP_2) | instskip(NEXT) | instid1(VALU_DEP_2)
	v_add_f64_e32 v[4:5], v[4:5], v[10:11]
	v_add_f64_e32 v[6:7], v[2:3], v[132:133]
	s_wait_loadcnt 0x0
	s_delay_alu instid0(VALU_DEP_2) | instskip(NEXT) | instid1(VALU_DEP_2)
	v_add_f64_e64 v[2:3], v[20:21], -v[4:5]
	v_add_f64_e64 v[4:5], v[22:23], -v[6:7]
	scratch_store_b128 off, v[2:5], off offset:720
	s_wait_xcnt 0x0
	v_cmpx_lt_u32_e32 44, v1
	s_cbranch_execz .LBB113_225
; %bb.224:
	scratch_load_b128 v[2:5], off, s21
	v_mov_b32_e32 v6, 0
	s_delay_alu instid0(VALU_DEP_1)
	v_dual_mov_b32 v7, v6 :: v_dual_mov_b32 v8, v6
	v_mov_b32_e32 v9, v6
	scratch_store_b128 off, v[6:9], off offset:704
	s_wait_loadcnt 0x0
	ds_store_b128 v124, v[2:5]
.LBB113_225:
	s_wait_xcnt 0x0
	s_or_b32 exec_lo, exec_lo, s2
	s_wait_storecnt_dscnt 0x0
	s_barrier_signal -1
	s_barrier_wait -1
	s_clause 0x5
	scratch_load_b128 v[4:7], off, off offset:720
	scratch_load_b128 v[8:11], off, off offset:736
	;; [unrolled: 1-line block ×6, first 2 shown]
	v_mov_b32_e32 v2, 0
	ds_load_b128 v[130:133], v2 offset:1520
	ds_load_b128 v[134:137], v2 offset:1536
	s_mov_b32 s2, exec_lo
	s_wait_loadcnt_dscnt 0x501
	v_mul_f64_e32 v[138:139], v[132:133], v[6:7]
	v_mul_f64_e32 v[140:141], v[130:131], v[6:7]
	s_wait_loadcnt_dscnt 0x400
	v_mul_f64_e32 v[142:143], v[134:135], v[10:11]
	v_mul_f64_e32 v[10:11], v[136:137], v[10:11]
	s_delay_alu instid0(VALU_DEP_4) | instskip(NEXT) | instid1(VALU_DEP_4)
	v_fma_f64 v[138:139], v[130:131], v[4:5], -v[138:139]
	v_fmac_f64_e32 v[140:141], v[132:133], v[4:5]
	ds_load_b128 v[4:7], v2 offset:1552
	ds_load_b128 v[130:133], v2 offset:1568
	v_fmac_f64_e32 v[142:143], v[136:137], v[8:9]
	v_fma_f64 v[8:9], v[134:135], v[8:9], -v[10:11]
	s_wait_loadcnt_dscnt 0x301
	v_mul_f64_e32 v[144:145], v[4:5], v[14:15]
	v_mul_f64_e32 v[14:15], v[6:7], v[14:15]
	s_wait_loadcnt_dscnt 0x200
	v_mul_f64_e32 v[136:137], v[130:131], v[18:19]
	v_mul_f64_e32 v[18:19], v[132:133], v[18:19]
	v_add_f64_e32 v[10:11], 0, v[138:139]
	v_add_f64_e32 v[134:135], 0, v[140:141]
	v_fmac_f64_e32 v[144:145], v[6:7], v[12:13]
	v_fma_f64 v[12:13], v[4:5], v[12:13], -v[14:15]
	ds_load_b128 v[4:7], v2 offset:1584
	v_fmac_f64_e32 v[136:137], v[132:133], v[16:17]
	v_fma_f64 v[16:17], v[130:131], v[16:17], -v[18:19]
	v_add_f64_e32 v[8:9], v[10:11], v[8:9]
	v_add_f64_e32 v[10:11], v[134:135], v[142:143]
	s_wait_loadcnt_dscnt 0x100
	v_mul_f64_e32 v[14:15], v[4:5], v[22:23]
	v_mul_f64_e32 v[22:23], v[6:7], v[22:23]
	s_delay_alu instid0(VALU_DEP_4) | instskip(NEXT) | instid1(VALU_DEP_4)
	v_add_f64_e32 v[8:9], v[8:9], v[12:13]
	v_add_f64_e32 v[10:11], v[10:11], v[144:145]
	s_delay_alu instid0(VALU_DEP_4) | instskip(NEXT) | instid1(VALU_DEP_4)
	v_fmac_f64_e32 v[14:15], v[6:7], v[20:21]
	v_fma_f64 v[4:5], v[4:5], v[20:21], -v[22:23]
	s_delay_alu instid0(VALU_DEP_4) | instskip(NEXT) | instid1(VALU_DEP_4)
	v_add_f64_e32 v[6:7], v[8:9], v[16:17]
	v_add_f64_e32 v[8:9], v[10:11], v[136:137]
	s_delay_alu instid0(VALU_DEP_2) | instskip(NEXT) | instid1(VALU_DEP_2)
	v_add_f64_e32 v[4:5], v[6:7], v[4:5]
	v_add_f64_e32 v[6:7], v[8:9], v[14:15]
	s_wait_loadcnt 0x0
	s_delay_alu instid0(VALU_DEP_2) | instskip(NEXT) | instid1(VALU_DEP_2)
	v_add_f64_e64 v[4:5], v[126:127], -v[4:5]
	v_add_f64_e64 v[6:7], v[128:129], -v[6:7]
	scratch_store_b128 off, v[4:7], off offset:704
	s_wait_xcnt 0x0
	v_cmpx_lt_u32_e32 43, v1
	s_cbranch_execz .LBB113_227
; %bb.226:
	scratch_load_b128 v[6:9], off, s22
	v_dual_mov_b32 v3, v2 :: v_dual_mov_b32 v4, v2
	v_mov_b32_e32 v5, v2
	scratch_store_b128 off, v[2:5], off offset:688
	s_wait_loadcnt 0x0
	ds_store_b128 v124, v[6:9]
.LBB113_227:
	s_wait_xcnt 0x0
	s_or_b32 exec_lo, exec_lo, s2
	s_wait_storecnt_dscnt 0x0
	s_barrier_signal -1
	s_barrier_wait -1
	s_clause 0x6
	scratch_load_b128 v[4:7], off, off offset:704
	scratch_load_b128 v[8:11], off, off offset:720
	;; [unrolled: 1-line block ×7, first 2 shown]
	ds_load_b128 v[134:137], v2 offset:1504
	ds_load_b128 v[138:141], v2 offset:1520
	s_mov_b32 s2, exec_lo
	s_wait_loadcnt_dscnt 0x601
	v_mul_f64_e32 v[142:143], v[136:137], v[6:7]
	v_mul_f64_e32 v[144:145], v[134:135], v[6:7]
	s_wait_loadcnt_dscnt 0x500
	v_mul_f64_e32 v[146:147], v[138:139], v[10:11]
	v_mul_f64_e32 v[10:11], v[140:141], v[10:11]
	s_delay_alu instid0(VALU_DEP_4) | instskip(NEXT) | instid1(VALU_DEP_4)
	v_fma_f64 v[142:143], v[134:135], v[4:5], -v[142:143]
	v_fmac_f64_e32 v[144:145], v[136:137], v[4:5]
	ds_load_b128 v[4:7], v2 offset:1536
	ds_load_b128 v[134:137], v2 offset:1552
	v_fmac_f64_e32 v[146:147], v[140:141], v[8:9]
	v_fma_f64 v[8:9], v[138:139], v[8:9], -v[10:11]
	s_wait_loadcnt_dscnt 0x401
	v_mul_f64_e32 v[148:149], v[4:5], v[14:15]
	v_mul_f64_e32 v[14:15], v[6:7], v[14:15]
	s_wait_loadcnt_dscnt 0x300
	v_mul_f64_e32 v[140:141], v[134:135], v[18:19]
	v_mul_f64_e32 v[18:19], v[136:137], v[18:19]
	v_add_f64_e32 v[10:11], 0, v[142:143]
	v_add_f64_e32 v[138:139], 0, v[144:145]
	v_fmac_f64_e32 v[148:149], v[6:7], v[12:13]
	v_fma_f64 v[12:13], v[4:5], v[12:13], -v[14:15]
	v_fmac_f64_e32 v[140:141], v[136:137], v[16:17]
	v_fma_f64 v[16:17], v[134:135], v[16:17], -v[18:19]
	v_add_f64_e32 v[14:15], v[10:11], v[8:9]
	v_add_f64_e32 v[138:139], v[138:139], v[146:147]
	ds_load_b128 v[4:7], v2 offset:1568
	ds_load_b128 v[8:11], v2 offset:1584
	s_wait_loadcnt_dscnt 0x201
	v_mul_f64_e32 v[2:3], v[4:5], v[22:23]
	v_mul_f64_e32 v[22:23], v[6:7], v[22:23]
	s_wait_loadcnt_dscnt 0x100
	v_mul_f64_e32 v[18:19], v[8:9], v[128:129]
	v_mul_f64_e32 v[128:129], v[10:11], v[128:129]
	v_add_f64_e32 v[12:13], v[14:15], v[12:13]
	v_add_f64_e32 v[14:15], v[138:139], v[148:149]
	v_fmac_f64_e32 v[2:3], v[6:7], v[20:21]
	v_fma_f64 v[4:5], v[4:5], v[20:21], -v[22:23]
	v_fmac_f64_e32 v[18:19], v[10:11], v[126:127]
	v_fma_f64 v[8:9], v[8:9], v[126:127], -v[128:129]
	v_add_f64_e32 v[6:7], v[12:13], v[16:17]
	v_add_f64_e32 v[12:13], v[14:15], v[140:141]
	s_delay_alu instid0(VALU_DEP_2) | instskip(NEXT) | instid1(VALU_DEP_2)
	v_add_f64_e32 v[4:5], v[6:7], v[4:5]
	v_add_f64_e32 v[2:3], v[12:13], v[2:3]
	s_delay_alu instid0(VALU_DEP_2) | instskip(NEXT) | instid1(VALU_DEP_2)
	v_add_f64_e32 v[4:5], v[4:5], v[8:9]
	v_add_f64_e32 v[6:7], v[2:3], v[18:19]
	s_wait_loadcnt 0x0
	s_delay_alu instid0(VALU_DEP_2) | instskip(NEXT) | instid1(VALU_DEP_2)
	v_add_f64_e64 v[2:3], v[130:131], -v[4:5]
	v_add_f64_e64 v[4:5], v[132:133], -v[6:7]
	scratch_store_b128 off, v[2:5], off offset:688
	s_wait_xcnt 0x0
	v_cmpx_lt_u32_e32 42, v1
	s_cbranch_execz .LBB113_229
; %bb.228:
	scratch_load_b128 v[2:5], off, s23
	v_mov_b32_e32 v6, 0
	s_delay_alu instid0(VALU_DEP_1)
	v_dual_mov_b32 v7, v6 :: v_dual_mov_b32 v8, v6
	v_mov_b32_e32 v9, v6
	scratch_store_b128 off, v[6:9], off offset:672
	s_wait_loadcnt 0x0
	ds_store_b128 v124, v[2:5]
.LBB113_229:
	s_wait_xcnt 0x0
	s_or_b32 exec_lo, exec_lo, s2
	s_wait_storecnt_dscnt 0x0
	s_barrier_signal -1
	s_barrier_wait -1
	s_clause 0x7
	scratch_load_b128 v[4:7], off, off offset:688
	scratch_load_b128 v[8:11], off, off offset:704
	;; [unrolled: 1-line block ×8, first 2 shown]
	v_mov_b32_e32 v2, 0
	ds_load_b128 v[138:141], v2 offset:1488
	ds_load_b128 v[142:145], v2 offset:1504
	s_mov_b32 s2, exec_lo
	s_wait_loadcnt_dscnt 0x701
	v_mul_f64_e32 v[146:147], v[140:141], v[6:7]
	v_mul_f64_e32 v[148:149], v[138:139], v[6:7]
	s_wait_loadcnt_dscnt 0x600
	v_mul_f64_e32 v[150:151], v[142:143], v[10:11]
	v_mul_f64_e32 v[10:11], v[144:145], v[10:11]
	s_delay_alu instid0(VALU_DEP_4) | instskip(NEXT) | instid1(VALU_DEP_4)
	v_fma_f64 v[146:147], v[138:139], v[4:5], -v[146:147]
	v_fmac_f64_e32 v[148:149], v[140:141], v[4:5]
	ds_load_b128 v[4:7], v2 offset:1520
	ds_load_b128 v[138:141], v2 offset:1536
	v_fmac_f64_e32 v[150:151], v[144:145], v[8:9]
	v_fma_f64 v[8:9], v[142:143], v[8:9], -v[10:11]
	s_wait_loadcnt_dscnt 0x501
	v_mul_f64_e32 v[152:153], v[4:5], v[14:15]
	v_mul_f64_e32 v[14:15], v[6:7], v[14:15]
	s_wait_loadcnt_dscnt 0x400
	v_mul_f64_e32 v[144:145], v[138:139], v[18:19]
	v_mul_f64_e32 v[18:19], v[140:141], v[18:19]
	v_add_f64_e32 v[10:11], 0, v[146:147]
	v_add_f64_e32 v[142:143], 0, v[148:149]
	v_fmac_f64_e32 v[152:153], v[6:7], v[12:13]
	v_fma_f64 v[12:13], v[4:5], v[12:13], -v[14:15]
	v_fmac_f64_e32 v[144:145], v[140:141], v[16:17]
	v_fma_f64 v[16:17], v[138:139], v[16:17], -v[18:19]
	v_add_f64_e32 v[14:15], v[10:11], v[8:9]
	v_add_f64_e32 v[142:143], v[142:143], v[150:151]
	ds_load_b128 v[4:7], v2 offset:1552
	ds_load_b128 v[8:11], v2 offset:1568
	s_wait_loadcnt_dscnt 0x301
	v_mul_f64_e32 v[146:147], v[4:5], v[22:23]
	v_mul_f64_e32 v[22:23], v[6:7], v[22:23]
	s_wait_loadcnt_dscnt 0x200
	v_mul_f64_e32 v[18:19], v[8:9], v[128:129]
	v_mul_f64_e32 v[128:129], v[10:11], v[128:129]
	v_add_f64_e32 v[12:13], v[14:15], v[12:13]
	v_add_f64_e32 v[14:15], v[142:143], v[152:153]
	v_fmac_f64_e32 v[146:147], v[6:7], v[20:21]
	v_fma_f64 v[20:21], v[4:5], v[20:21], -v[22:23]
	ds_load_b128 v[4:7], v2 offset:1584
	v_fmac_f64_e32 v[18:19], v[10:11], v[126:127]
	v_fma_f64 v[8:9], v[8:9], v[126:127], -v[128:129]
	v_add_f64_e32 v[12:13], v[12:13], v[16:17]
	v_add_f64_e32 v[14:15], v[14:15], v[144:145]
	s_wait_loadcnt_dscnt 0x100
	v_mul_f64_e32 v[16:17], v[4:5], v[132:133]
	v_mul_f64_e32 v[22:23], v[6:7], v[132:133]
	s_delay_alu instid0(VALU_DEP_4) | instskip(NEXT) | instid1(VALU_DEP_4)
	v_add_f64_e32 v[10:11], v[12:13], v[20:21]
	v_add_f64_e32 v[12:13], v[14:15], v[146:147]
	s_delay_alu instid0(VALU_DEP_4) | instskip(NEXT) | instid1(VALU_DEP_4)
	v_fmac_f64_e32 v[16:17], v[6:7], v[130:131]
	v_fma_f64 v[4:5], v[4:5], v[130:131], -v[22:23]
	s_delay_alu instid0(VALU_DEP_4) | instskip(NEXT) | instid1(VALU_DEP_4)
	v_add_f64_e32 v[6:7], v[10:11], v[8:9]
	v_add_f64_e32 v[8:9], v[12:13], v[18:19]
	s_delay_alu instid0(VALU_DEP_2) | instskip(NEXT) | instid1(VALU_DEP_2)
	v_add_f64_e32 v[4:5], v[6:7], v[4:5]
	v_add_f64_e32 v[6:7], v[8:9], v[16:17]
	s_wait_loadcnt 0x0
	s_delay_alu instid0(VALU_DEP_2) | instskip(NEXT) | instid1(VALU_DEP_2)
	v_add_f64_e64 v[4:5], v[134:135], -v[4:5]
	v_add_f64_e64 v[6:7], v[136:137], -v[6:7]
	scratch_store_b128 off, v[4:7], off offset:672
	s_wait_xcnt 0x0
	v_cmpx_lt_u32_e32 41, v1
	s_cbranch_execz .LBB113_231
; %bb.230:
	scratch_load_b128 v[6:9], off, s24
	v_dual_mov_b32 v3, v2 :: v_dual_mov_b32 v4, v2
	v_mov_b32_e32 v5, v2
	scratch_store_b128 off, v[2:5], off offset:656
	s_wait_loadcnt 0x0
	ds_store_b128 v124, v[6:9]
.LBB113_231:
	s_wait_xcnt 0x0
	s_or_b32 exec_lo, exec_lo, s2
	s_wait_storecnt_dscnt 0x0
	s_barrier_signal -1
	s_barrier_wait -1
	s_clause 0x7
	scratch_load_b128 v[4:7], off, off offset:672
	scratch_load_b128 v[8:11], off, off offset:688
	;; [unrolled: 1-line block ×8, first 2 shown]
	ds_load_b128 v[138:141], v2 offset:1472
	ds_load_b128 v[142:145], v2 offset:1488
	scratch_load_b128 v[146:149], off, off offset:656
	s_mov_b32 s2, exec_lo
	s_wait_loadcnt_dscnt 0x801
	v_mul_f64_e32 v[150:151], v[140:141], v[6:7]
	v_mul_f64_e32 v[152:153], v[138:139], v[6:7]
	s_wait_loadcnt_dscnt 0x700
	v_mul_f64_e32 v[154:155], v[142:143], v[10:11]
	v_mul_f64_e32 v[10:11], v[144:145], v[10:11]
	s_delay_alu instid0(VALU_DEP_4) | instskip(NEXT) | instid1(VALU_DEP_4)
	v_fma_f64 v[150:151], v[138:139], v[4:5], -v[150:151]
	v_fmac_f64_e32 v[152:153], v[140:141], v[4:5]
	ds_load_b128 v[4:7], v2 offset:1504
	ds_load_b128 v[138:141], v2 offset:1520
	v_fmac_f64_e32 v[154:155], v[144:145], v[8:9]
	v_fma_f64 v[8:9], v[142:143], v[8:9], -v[10:11]
	s_wait_loadcnt_dscnt 0x601
	v_mul_f64_e32 v[156:157], v[4:5], v[14:15]
	v_mul_f64_e32 v[14:15], v[6:7], v[14:15]
	s_wait_loadcnt_dscnt 0x500
	v_mul_f64_e32 v[144:145], v[138:139], v[18:19]
	v_mul_f64_e32 v[18:19], v[140:141], v[18:19]
	v_add_f64_e32 v[10:11], 0, v[150:151]
	v_add_f64_e32 v[142:143], 0, v[152:153]
	v_fmac_f64_e32 v[156:157], v[6:7], v[12:13]
	v_fma_f64 v[12:13], v[4:5], v[12:13], -v[14:15]
	v_fmac_f64_e32 v[144:145], v[140:141], v[16:17]
	v_fma_f64 v[16:17], v[138:139], v[16:17], -v[18:19]
	v_add_f64_e32 v[14:15], v[10:11], v[8:9]
	v_add_f64_e32 v[142:143], v[142:143], v[154:155]
	ds_load_b128 v[4:7], v2 offset:1536
	ds_load_b128 v[8:11], v2 offset:1552
	s_wait_loadcnt_dscnt 0x401
	v_mul_f64_e32 v[150:151], v[4:5], v[22:23]
	v_mul_f64_e32 v[22:23], v[6:7], v[22:23]
	s_wait_loadcnt_dscnt 0x300
	v_mul_f64_e32 v[18:19], v[8:9], v[128:129]
	v_mul_f64_e32 v[128:129], v[10:11], v[128:129]
	v_add_f64_e32 v[12:13], v[14:15], v[12:13]
	v_add_f64_e32 v[14:15], v[142:143], v[156:157]
	v_fmac_f64_e32 v[150:151], v[6:7], v[20:21]
	v_fma_f64 v[20:21], v[4:5], v[20:21], -v[22:23]
	v_fmac_f64_e32 v[18:19], v[10:11], v[126:127]
	v_fma_f64 v[8:9], v[8:9], v[126:127], -v[128:129]
	v_add_f64_e32 v[16:17], v[12:13], v[16:17]
	v_add_f64_e32 v[22:23], v[14:15], v[144:145]
	ds_load_b128 v[4:7], v2 offset:1568
	ds_load_b128 v[12:15], v2 offset:1584
	s_wait_loadcnt_dscnt 0x201
	v_mul_f64_e32 v[2:3], v[4:5], v[132:133]
	v_mul_f64_e32 v[132:133], v[6:7], v[132:133]
	v_add_f64_e32 v[10:11], v[16:17], v[20:21]
	v_add_f64_e32 v[16:17], v[22:23], v[150:151]
	s_wait_loadcnt_dscnt 0x100
	v_mul_f64_e32 v[20:21], v[12:13], v[136:137]
	v_mul_f64_e32 v[22:23], v[14:15], v[136:137]
	v_fmac_f64_e32 v[2:3], v[6:7], v[130:131]
	v_fma_f64 v[4:5], v[4:5], v[130:131], -v[132:133]
	v_add_f64_e32 v[6:7], v[10:11], v[8:9]
	v_add_f64_e32 v[8:9], v[16:17], v[18:19]
	v_fmac_f64_e32 v[20:21], v[14:15], v[134:135]
	v_fma_f64 v[10:11], v[12:13], v[134:135], -v[22:23]
	s_delay_alu instid0(VALU_DEP_4) | instskip(NEXT) | instid1(VALU_DEP_4)
	v_add_f64_e32 v[4:5], v[6:7], v[4:5]
	v_add_f64_e32 v[2:3], v[8:9], v[2:3]
	s_delay_alu instid0(VALU_DEP_2) | instskip(NEXT) | instid1(VALU_DEP_2)
	v_add_f64_e32 v[4:5], v[4:5], v[10:11]
	v_add_f64_e32 v[6:7], v[2:3], v[20:21]
	s_wait_loadcnt 0x0
	s_delay_alu instid0(VALU_DEP_2) | instskip(NEXT) | instid1(VALU_DEP_2)
	v_add_f64_e64 v[2:3], v[146:147], -v[4:5]
	v_add_f64_e64 v[4:5], v[148:149], -v[6:7]
	scratch_store_b128 off, v[2:5], off offset:656
	s_wait_xcnt 0x0
	v_cmpx_lt_u32_e32 40, v1
	s_cbranch_execz .LBB113_233
; %bb.232:
	scratch_load_b128 v[2:5], off, s25
	v_mov_b32_e32 v6, 0
	s_delay_alu instid0(VALU_DEP_1)
	v_dual_mov_b32 v7, v6 :: v_dual_mov_b32 v8, v6
	v_mov_b32_e32 v9, v6
	scratch_store_b128 off, v[6:9], off offset:640
	s_wait_loadcnt 0x0
	ds_store_b128 v124, v[2:5]
.LBB113_233:
	s_wait_xcnt 0x0
	s_or_b32 exec_lo, exec_lo, s2
	s_wait_storecnt_dscnt 0x0
	s_barrier_signal -1
	s_barrier_wait -1
	s_clause 0x8
	scratch_load_b128 v[4:7], off, off offset:656
	scratch_load_b128 v[8:11], off, off offset:672
	;; [unrolled: 1-line block ×9, first 2 shown]
	v_mov_b32_e32 v2, 0
	scratch_load_b128 v[146:149], off, off offset:640
	s_mov_b32 s2, exec_lo
	ds_load_b128 v[142:145], v2 offset:1456
	ds_load_b128 v[150:153], v2 offset:1472
	s_wait_loadcnt_dscnt 0x901
	v_mul_f64_e32 v[154:155], v[144:145], v[6:7]
	v_mul_f64_e32 v[156:157], v[142:143], v[6:7]
	s_wait_loadcnt_dscnt 0x800
	v_mul_f64_e32 v[158:159], v[150:151], v[10:11]
	v_mul_f64_e32 v[10:11], v[152:153], v[10:11]
	s_delay_alu instid0(VALU_DEP_4) | instskip(NEXT) | instid1(VALU_DEP_4)
	v_fma_f64 v[154:155], v[142:143], v[4:5], -v[154:155]
	v_fmac_f64_e32 v[156:157], v[144:145], v[4:5]
	ds_load_b128 v[4:7], v2 offset:1488
	ds_load_b128 v[142:145], v2 offset:1504
	v_fmac_f64_e32 v[158:159], v[152:153], v[8:9]
	v_fma_f64 v[8:9], v[150:151], v[8:9], -v[10:11]
	s_wait_loadcnt_dscnt 0x701
	v_mul_f64_e32 v[160:161], v[4:5], v[14:15]
	v_mul_f64_e32 v[14:15], v[6:7], v[14:15]
	s_wait_loadcnt_dscnt 0x600
	v_mul_f64_e32 v[152:153], v[142:143], v[18:19]
	v_mul_f64_e32 v[18:19], v[144:145], v[18:19]
	v_add_f64_e32 v[10:11], 0, v[154:155]
	v_add_f64_e32 v[150:151], 0, v[156:157]
	v_fmac_f64_e32 v[160:161], v[6:7], v[12:13]
	v_fma_f64 v[12:13], v[4:5], v[12:13], -v[14:15]
	v_fmac_f64_e32 v[152:153], v[144:145], v[16:17]
	v_fma_f64 v[16:17], v[142:143], v[16:17], -v[18:19]
	v_add_f64_e32 v[14:15], v[10:11], v[8:9]
	v_add_f64_e32 v[150:151], v[150:151], v[158:159]
	ds_load_b128 v[4:7], v2 offset:1520
	ds_load_b128 v[8:11], v2 offset:1536
	s_wait_loadcnt_dscnt 0x501
	v_mul_f64_e32 v[154:155], v[4:5], v[22:23]
	v_mul_f64_e32 v[22:23], v[6:7], v[22:23]
	s_wait_loadcnt_dscnt 0x400
	v_mul_f64_e32 v[18:19], v[8:9], v[128:129]
	v_mul_f64_e32 v[128:129], v[10:11], v[128:129]
	v_add_f64_e32 v[12:13], v[14:15], v[12:13]
	v_add_f64_e32 v[14:15], v[150:151], v[160:161]
	v_fmac_f64_e32 v[154:155], v[6:7], v[20:21]
	v_fma_f64 v[20:21], v[4:5], v[20:21], -v[22:23]
	v_fmac_f64_e32 v[18:19], v[10:11], v[126:127]
	v_fma_f64 v[8:9], v[8:9], v[126:127], -v[128:129]
	v_add_f64_e32 v[16:17], v[12:13], v[16:17]
	v_add_f64_e32 v[22:23], v[14:15], v[152:153]
	ds_load_b128 v[4:7], v2 offset:1552
	ds_load_b128 v[12:15], v2 offset:1568
	s_wait_loadcnt_dscnt 0x301
	v_mul_f64_e32 v[142:143], v[4:5], v[132:133]
	v_mul_f64_e32 v[132:133], v[6:7], v[132:133]
	v_add_f64_e32 v[10:11], v[16:17], v[20:21]
	v_add_f64_e32 v[16:17], v[22:23], v[154:155]
	s_wait_loadcnt_dscnt 0x200
	v_mul_f64_e32 v[20:21], v[12:13], v[136:137]
	v_mul_f64_e32 v[22:23], v[14:15], v[136:137]
	v_fmac_f64_e32 v[142:143], v[6:7], v[130:131]
	v_fma_f64 v[126:127], v[4:5], v[130:131], -v[132:133]
	ds_load_b128 v[4:7], v2 offset:1584
	v_add_f64_e32 v[8:9], v[10:11], v[8:9]
	v_add_f64_e32 v[10:11], v[16:17], v[18:19]
	v_fmac_f64_e32 v[20:21], v[14:15], v[134:135]
	v_fma_f64 v[12:13], v[12:13], v[134:135], -v[22:23]
	s_wait_loadcnt_dscnt 0x100
	v_mul_f64_e32 v[16:17], v[4:5], v[140:141]
	v_mul_f64_e32 v[18:19], v[6:7], v[140:141]
	v_add_f64_e32 v[8:9], v[8:9], v[126:127]
	v_add_f64_e32 v[10:11], v[10:11], v[142:143]
	s_delay_alu instid0(VALU_DEP_4) | instskip(NEXT) | instid1(VALU_DEP_4)
	v_fmac_f64_e32 v[16:17], v[6:7], v[138:139]
	v_fma_f64 v[4:5], v[4:5], v[138:139], -v[18:19]
	s_delay_alu instid0(VALU_DEP_4) | instskip(NEXT) | instid1(VALU_DEP_4)
	v_add_f64_e32 v[6:7], v[8:9], v[12:13]
	v_add_f64_e32 v[8:9], v[10:11], v[20:21]
	s_delay_alu instid0(VALU_DEP_2) | instskip(NEXT) | instid1(VALU_DEP_2)
	v_add_f64_e32 v[4:5], v[6:7], v[4:5]
	v_add_f64_e32 v[6:7], v[8:9], v[16:17]
	s_wait_loadcnt 0x0
	s_delay_alu instid0(VALU_DEP_2) | instskip(NEXT) | instid1(VALU_DEP_2)
	v_add_f64_e64 v[4:5], v[146:147], -v[4:5]
	v_add_f64_e64 v[6:7], v[148:149], -v[6:7]
	scratch_store_b128 off, v[4:7], off offset:640
	s_wait_xcnt 0x0
	v_cmpx_lt_u32_e32 39, v1
	s_cbranch_execz .LBB113_235
; %bb.234:
	scratch_load_b128 v[6:9], off, s26
	v_dual_mov_b32 v3, v2 :: v_dual_mov_b32 v4, v2
	v_mov_b32_e32 v5, v2
	scratch_store_b128 off, v[2:5], off offset:624
	s_wait_loadcnt 0x0
	ds_store_b128 v124, v[6:9]
.LBB113_235:
	s_wait_xcnt 0x0
	s_or_b32 exec_lo, exec_lo, s2
	s_wait_storecnt_dscnt 0x0
	s_barrier_signal -1
	s_barrier_wait -1
	s_clause 0x9
	scratch_load_b128 v[4:7], off, off offset:640
	scratch_load_b128 v[8:11], off, off offset:656
	;; [unrolled: 1-line block ×10, first 2 shown]
	ds_load_b128 v[146:149], v2 offset:1440
	ds_load_b128 v[150:153], v2 offset:1456
	scratch_load_b128 v[154:157], off, off offset:624
	s_mov_b32 s2, exec_lo
	s_wait_loadcnt_dscnt 0xa01
	v_mul_f64_e32 v[158:159], v[148:149], v[6:7]
	v_mul_f64_e32 v[160:161], v[146:147], v[6:7]
	s_wait_loadcnt_dscnt 0x900
	v_mul_f64_e32 v[162:163], v[150:151], v[10:11]
	v_mul_f64_e32 v[10:11], v[152:153], v[10:11]
	s_delay_alu instid0(VALU_DEP_4) | instskip(NEXT) | instid1(VALU_DEP_4)
	v_fma_f64 v[158:159], v[146:147], v[4:5], -v[158:159]
	v_fmac_f64_e32 v[160:161], v[148:149], v[4:5]
	ds_load_b128 v[4:7], v2 offset:1472
	ds_load_b128 v[146:149], v2 offset:1488
	v_fmac_f64_e32 v[162:163], v[152:153], v[8:9]
	v_fma_f64 v[8:9], v[150:151], v[8:9], -v[10:11]
	s_wait_loadcnt_dscnt 0x801
	v_mul_f64_e32 v[164:165], v[4:5], v[14:15]
	v_mul_f64_e32 v[14:15], v[6:7], v[14:15]
	s_wait_loadcnt_dscnt 0x700
	v_mul_f64_e32 v[152:153], v[146:147], v[18:19]
	v_mul_f64_e32 v[18:19], v[148:149], v[18:19]
	v_add_f64_e32 v[10:11], 0, v[158:159]
	v_add_f64_e32 v[150:151], 0, v[160:161]
	v_fmac_f64_e32 v[164:165], v[6:7], v[12:13]
	v_fma_f64 v[12:13], v[4:5], v[12:13], -v[14:15]
	v_fmac_f64_e32 v[152:153], v[148:149], v[16:17]
	v_fma_f64 v[16:17], v[146:147], v[16:17], -v[18:19]
	v_add_f64_e32 v[14:15], v[10:11], v[8:9]
	v_add_f64_e32 v[150:151], v[150:151], v[162:163]
	ds_load_b128 v[4:7], v2 offset:1504
	ds_load_b128 v[8:11], v2 offset:1520
	s_wait_loadcnt_dscnt 0x601
	v_mul_f64_e32 v[158:159], v[4:5], v[22:23]
	v_mul_f64_e32 v[22:23], v[6:7], v[22:23]
	s_wait_loadcnt_dscnt 0x500
	v_mul_f64_e32 v[18:19], v[8:9], v[128:129]
	v_mul_f64_e32 v[128:129], v[10:11], v[128:129]
	v_add_f64_e32 v[12:13], v[14:15], v[12:13]
	v_add_f64_e32 v[14:15], v[150:151], v[164:165]
	v_fmac_f64_e32 v[158:159], v[6:7], v[20:21]
	v_fma_f64 v[20:21], v[4:5], v[20:21], -v[22:23]
	v_fmac_f64_e32 v[18:19], v[10:11], v[126:127]
	v_fma_f64 v[8:9], v[8:9], v[126:127], -v[128:129]
	v_add_f64_e32 v[16:17], v[12:13], v[16:17]
	v_add_f64_e32 v[22:23], v[14:15], v[152:153]
	ds_load_b128 v[4:7], v2 offset:1536
	ds_load_b128 v[12:15], v2 offset:1552
	s_wait_loadcnt_dscnt 0x401
	v_mul_f64_e32 v[146:147], v[4:5], v[132:133]
	v_mul_f64_e32 v[132:133], v[6:7], v[132:133]
	v_add_f64_e32 v[10:11], v[16:17], v[20:21]
	v_add_f64_e32 v[16:17], v[22:23], v[158:159]
	s_wait_loadcnt_dscnt 0x300
	v_mul_f64_e32 v[20:21], v[12:13], v[136:137]
	v_mul_f64_e32 v[22:23], v[14:15], v[136:137]
	v_fmac_f64_e32 v[146:147], v[6:7], v[130:131]
	v_fma_f64 v[126:127], v[4:5], v[130:131], -v[132:133]
	v_add_f64_e32 v[128:129], v[10:11], v[8:9]
	v_add_f64_e32 v[16:17], v[16:17], v[18:19]
	ds_load_b128 v[4:7], v2 offset:1568
	ds_load_b128 v[8:11], v2 offset:1584
	v_fmac_f64_e32 v[20:21], v[14:15], v[134:135]
	v_fma_f64 v[12:13], v[12:13], v[134:135], -v[22:23]
	s_wait_loadcnt_dscnt 0x201
	v_mul_f64_e32 v[2:3], v[4:5], v[140:141]
	v_mul_f64_e32 v[18:19], v[6:7], v[140:141]
	s_wait_loadcnt_dscnt 0x100
	v_mul_f64_e32 v[22:23], v[8:9], v[144:145]
	v_add_f64_e32 v[14:15], v[128:129], v[126:127]
	v_add_f64_e32 v[16:17], v[16:17], v[146:147]
	v_mul_f64_e32 v[126:127], v[10:11], v[144:145]
	v_fmac_f64_e32 v[2:3], v[6:7], v[138:139]
	v_fma_f64 v[4:5], v[4:5], v[138:139], -v[18:19]
	v_fmac_f64_e32 v[22:23], v[10:11], v[142:143]
	v_add_f64_e32 v[6:7], v[14:15], v[12:13]
	v_add_f64_e32 v[12:13], v[16:17], v[20:21]
	v_fma_f64 v[8:9], v[8:9], v[142:143], -v[126:127]
	s_delay_alu instid0(VALU_DEP_3) | instskip(NEXT) | instid1(VALU_DEP_3)
	v_add_f64_e32 v[4:5], v[6:7], v[4:5]
	v_add_f64_e32 v[2:3], v[12:13], v[2:3]
	s_delay_alu instid0(VALU_DEP_2) | instskip(NEXT) | instid1(VALU_DEP_2)
	v_add_f64_e32 v[4:5], v[4:5], v[8:9]
	v_add_f64_e32 v[6:7], v[2:3], v[22:23]
	s_wait_loadcnt 0x0
	s_delay_alu instid0(VALU_DEP_2) | instskip(NEXT) | instid1(VALU_DEP_2)
	v_add_f64_e64 v[2:3], v[154:155], -v[4:5]
	v_add_f64_e64 v[4:5], v[156:157], -v[6:7]
	scratch_store_b128 off, v[2:5], off offset:624
	s_wait_xcnt 0x0
	v_cmpx_lt_u32_e32 38, v1
	s_cbranch_execz .LBB113_237
; %bb.236:
	scratch_load_b128 v[2:5], off, s27
	v_mov_b32_e32 v6, 0
	s_delay_alu instid0(VALU_DEP_1)
	v_dual_mov_b32 v7, v6 :: v_dual_mov_b32 v8, v6
	v_mov_b32_e32 v9, v6
	scratch_store_b128 off, v[6:9], off offset:608
	s_wait_loadcnt 0x0
	ds_store_b128 v124, v[2:5]
.LBB113_237:
	s_wait_xcnt 0x0
	s_or_b32 exec_lo, exec_lo, s2
	s_wait_storecnt_dscnt 0x0
	s_barrier_signal -1
	s_barrier_wait -1
	s_clause 0x9
	scratch_load_b128 v[4:7], off, off offset:624
	scratch_load_b128 v[8:11], off, off offset:640
	;; [unrolled: 1-line block ×10, first 2 shown]
	v_mov_b32_e32 v2, 0
	s_mov_b32 s2, exec_lo
	ds_load_b128 v[146:149], v2 offset:1424
	s_clause 0x1
	scratch_load_b128 v[150:153], off, off offset:784
	scratch_load_b128 v[154:157], off, off offset:608
	s_wait_loadcnt_dscnt 0xb00
	v_mul_f64_e32 v[162:163], v[148:149], v[6:7]
	v_mul_f64_e32 v[164:165], v[146:147], v[6:7]
	ds_load_b128 v[158:161], v2 offset:1440
	s_wait_loadcnt_dscnt 0xa00
	v_mul_f64_e32 v[166:167], v[158:159], v[10:11]
	v_mul_f64_e32 v[10:11], v[160:161], v[10:11]
	v_fma_f64 v[162:163], v[146:147], v[4:5], -v[162:163]
	v_fmac_f64_e32 v[164:165], v[148:149], v[4:5]
	ds_load_b128 v[4:7], v2 offset:1456
	ds_load_b128 v[146:149], v2 offset:1472
	s_wait_loadcnt_dscnt 0x901
	v_mul_f64_e32 v[168:169], v[4:5], v[14:15]
	v_mul_f64_e32 v[14:15], v[6:7], v[14:15]
	v_fmac_f64_e32 v[166:167], v[160:161], v[8:9]
	v_fma_f64 v[8:9], v[158:159], v[8:9], -v[10:11]
	s_wait_loadcnt_dscnt 0x800
	v_mul_f64_e32 v[160:161], v[146:147], v[18:19]
	v_mul_f64_e32 v[18:19], v[148:149], v[18:19]
	v_add_f64_e32 v[10:11], 0, v[162:163]
	v_add_f64_e32 v[158:159], 0, v[164:165]
	v_fmac_f64_e32 v[168:169], v[6:7], v[12:13]
	v_fma_f64 v[12:13], v[4:5], v[12:13], -v[14:15]
	v_fmac_f64_e32 v[160:161], v[148:149], v[16:17]
	v_fma_f64 v[16:17], v[146:147], v[16:17], -v[18:19]
	v_add_f64_e32 v[14:15], v[10:11], v[8:9]
	v_add_f64_e32 v[158:159], v[158:159], v[166:167]
	ds_load_b128 v[4:7], v2 offset:1488
	ds_load_b128 v[8:11], v2 offset:1504
	s_wait_loadcnt_dscnt 0x701
	v_mul_f64_e32 v[162:163], v[4:5], v[22:23]
	v_mul_f64_e32 v[22:23], v[6:7], v[22:23]
	s_wait_loadcnt_dscnt 0x600
	v_mul_f64_e32 v[18:19], v[8:9], v[128:129]
	v_mul_f64_e32 v[128:129], v[10:11], v[128:129]
	v_add_f64_e32 v[12:13], v[14:15], v[12:13]
	v_add_f64_e32 v[14:15], v[158:159], v[168:169]
	v_fmac_f64_e32 v[162:163], v[6:7], v[20:21]
	v_fma_f64 v[20:21], v[4:5], v[20:21], -v[22:23]
	v_fmac_f64_e32 v[18:19], v[10:11], v[126:127]
	v_fma_f64 v[8:9], v[8:9], v[126:127], -v[128:129]
	v_add_f64_e32 v[16:17], v[12:13], v[16:17]
	v_add_f64_e32 v[22:23], v[14:15], v[160:161]
	ds_load_b128 v[4:7], v2 offset:1520
	ds_load_b128 v[12:15], v2 offset:1536
	s_wait_loadcnt_dscnt 0x501
	v_mul_f64_e32 v[146:147], v[4:5], v[132:133]
	v_mul_f64_e32 v[132:133], v[6:7], v[132:133]
	v_add_f64_e32 v[10:11], v[16:17], v[20:21]
	v_add_f64_e32 v[16:17], v[22:23], v[162:163]
	s_wait_loadcnt_dscnt 0x400
	v_mul_f64_e32 v[20:21], v[12:13], v[136:137]
	v_mul_f64_e32 v[22:23], v[14:15], v[136:137]
	v_fmac_f64_e32 v[146:147], v[6:7], v[130:131]
	v_fma_f64 v[126:127], v[4:5], v[130:131], -v[132:133]
	v_add_f64_e32 v[128:129], v[10:11], v[8:9]
	v_add_f64_e32 v[16:17], v[16:17], v[18:19]
	ds_load_b128 v[4:7], v2 offset:1552
	ds_load_b128 v[8:11], v2 offset:1568
	v_fmac_f64_e32 v[20:21], v[14:15], v[134:135]
	v_fma_f64 v[12:13], v[12:13], v[134:135], -v[22:23]
	s_wait_loadcnt_dscnt 0x301
	v_mul_f64_e32 v[18:19], v[4:5], v[140:141]
	v_mul_f64_e32 v[130:131], v[6:7], v[140:141]
	s_wait_loadcnt_dscnt 0x200
	v_mul_f64_e32 v[22:23], v[8:9], v[144:145]
	v_add_f64_e32 v[14:15], v[128:129], v[126:127]
	v_add_f64_e32 v[16:17], v[16:17], v[146:147]
	v_mul_f64_e32 v[126:127], v[10:11], v[144:145]
	v_fmac_f64_e32 v[18:19], v[6:7], v[138:139]
	v_fma_f64 v[128:129], v[4:5], v[138:139], -v[130:131]
	ds_load_b128 v[4:7], v2 offset:1584
	v_fmac_f64_e32 v[22:23], v[10:11], v[142:143]
	v_add_f64_e32 v[12:13], v[14:15], v[12:13]
	v_add_f64_e32 v[14:15], v[16:17], v[20:21]
	v_fma_f64 v[8:9], v[8:9], v[142:143], -v[126:127]
	s_wait_loadcnt_dscnt 0x100
	v_mul_f64_e32 v[16:17], v[4:5], v[152:153]
	v_mul_f64_e32 v[20:21], v[6:7], v[152:153]
	v_add_f64_e32 v[10:11], v[12:13], v[128:129]
	v_add_f64_e32 v[12:13], v[14:15], v[18:19]
	s_delay_alu instid0(VALU_DEP_4) | instskip(NEXT) | instid1(VALU_DEP_4)
	v_fmac_f64_e32 v[16:17], v[6:7], v[150:151]
	v_fma_f64 v[4:5], v[4:5], v[150:151], -v[20:21]
	s_delay_alu instid0(VALU_DEP_4) | instskip(NEXT) | instid1(VALU_DEP_4)
	v_add_f64_e32 v[6:7], v[10:11], v[8:9]
	v_add_f64_e32 v[8:9], v[12:13], v[22:23]
	s_delay_alu instid0(VALU_DEP_2) | instskip(NEXT) | instid1(VALU_DEP_2)
	v_add_f64_e32 v[4:5], v[6:7], v[4:5]
	v_add_f64_e32 v[6:7], v[8:9], v[16:17]
	s_wait_loadcnt 0x0
	s_delay_alu instid0(VALU_DEP_2) | instskip(NEXT) | instid1(VALU_DEP_2)
	v_add_f64_e64 v[4:5], v[154:155], -v[4:5]
	v_add_f64_e64 v[6:7], v[156:157], -v[6:7]
	scratch_store_b128 off, v[4:7], off offset:608
	s_wait_xcnt 0x0
	v_cmpx_lt_u32_e32 37, v1
	s_cbranch_execz .LBB113_239
; %bb.238:
	scratch_load_b128 v[6:9], off, s28
	v_dual_mov_b32 v3, v2 :: v_dual_mov_b32 v4, v2
	v_mov_b32_e32 v5, v2
	scratch_store_b128 off, v[2:5], off offset:592
	s_wait_loadcnt 0x0
	ds_store_b128 v124, v[6:9]
.LBB113_239:
	s_wait_xcnt 0x0
	s_or_b32 exec_lo, exec_lo, s2
	s_wait_storecnt_dscnt 0x0
	s_barrier_signal -1
	s_barrier_wait -1
	s_clause 0x9
	scratch_load_b128 v[4:7], off, off offset:608
	scratch_load_b128 v[8:11], off, off offset:624
	;; [unrolled: 1-line block ×10, first 2 shown]
	ds_load_b128 v[146:149], v2 offset:1408
	ds_load_b128 v[154:157], v2 offset:1424
	s_clause 0x2
	scratch_load_b128 v[150:153], off, off offset:768
	scratch_load_b128 v[158:161], off, off offset:592
	;; [unrolled: 1-line block ×3, first 2 shown]
	s_mov_b32 s2, exec_lo
	s_wait_loadcnt_dscnt 0xc01
	v_mul_f64_e32 v[166:167], v[148:149], v[6:7]
	v_mul_f64_e32 v[168:169], v[146:147], v[6:7]
	s_wait_loadcnt_dscnt 0xb00
	v_mul_f64_e32 v[170:171], v[154:155], v[10:11]
	v_mul_f64_e32 v[10:11], v[156:157], v[10:11]
	s_delay_alu instid0(VALU_DEP_4) | instskip(NEXT) | instid1(VALU_DEP_4)
	v_fma_f64 v[166:167], v[146:147], v[4:5], -v[166:167]
	v_fmac_f64_e32 v[168:169], v[148:149], v[4:5]
	ds_load_b128 v[4:7], v2 offset:1440
	ds_load_b128 v[146:149], v2 offset:1456
	v_fmac_f64_e32 v[170:171], v[156:157], v[8:9]
	v_fma_f64 v[8:9], v[154:155], v[8:9], -v[10:11]
	s_wait_loadcnt_dscnt 0xa01
	v_mul_f64_e32 v[172:173], v[4:5], v[14:15]
	v_mul_f64_e32 v[14:15], v[6:7], v[14:15]
	s_wait_loadcnt_dscnt 0x900
	v_mul_f64_e32 v[156:157], v[146:147], v[18:19]
	v_mul_f64_e32 v[18:19], v[148:149], v[18:19]
	v_add_f64_e32 v[10:11], 0, v[166:167]
	v_add_f64_e32 v[154:155], 0, v[168:169]
	v_fmac_f64_e32 v[172:173], v[6:7], v[12:13]
	v_fma_f64 v[12:13], v[4:5], v[12:13], -v[14:15]
	v_fmac_f64_e32 v[156:157], v[148:149], v[16:17]
	v_fma_f64 v[16:17], v[146:147], v[16:17], -v[18:19]
	v_add_f64_e32 v[14:15], v[10:11], v[8:9]
	v_add_f64_e32 v[154:155], v[154:155], v[170:171]
	ds_load_b128 v[4:7], v2 offset:1472
	ds_load_b128 v[8:11], v2 offset:1488
	s_wait_loadcnt_dscnt 0x801
	v_mul_f64_e32 v[166:167], v[4:5], v[22:23]
	v_mul_f64_e32 v[22:23], v[6:7], v[22:23]
	s_wait_loadcnt_dscnt 0x700
	v_mul_f64_e32 v[18:19], v[8:9], v[128:129]
	v_mul_f64_e32 v[128:129], v[10:11], v[128:129]
	v_add_f64_e32 v[12:13], v[14:15], v[12:13]
	v_add_f64_e32 v[14:15], v[154:155], v[172:173]
	v_fmac_f64_e32 v[166:167], v[6:7], v[20:21]
	v_fma_f64 v[20:21], v[4:5], v[20:21], -v[22:23]
	v_fmac_f64_e32 v[18:19], v[10:11], v[126:127]
	v_fma_f64 v[8:9], v[8:9], v[126:127], -v[128:129]
	v_add_f64_e32 v[16:17], v[12:13], v[16:17]
	v_add_f64_e32 v[22:23], v[14:15], v[156:157]
	ds_load_b128 v[4:7], v2 offset:1504
	ds_load_b128 v[12:15], v2 offset:1520
	s_wait_loadcnt_dscnt 0x601
	v_mul_f64_e32 v[146:147], v[4:5], v[132:133]
	v_mul_f64_e32 v[132:133], v[6:7], v[132:133]
	v_add_f64_e32 v[10:11], v[16:17], v[20:21]
	v_add_f64_e32 v[16:17], v[22:23], v[166:167]
	s_wait_loadcnt_dscnt 0x500
	v_mul_f64_e32 v[20:21], v[12:13], v[136:137]
	v_mul_f64_e32 v[22:23], v[14:15], v[136:137]
	v_fmac_f64_e32 v[146:147], v[6:7], v[130:131]
	v_fma_f64 v[126:127], v[4:5], v[130:131], -v[132:133]
	v_add_f64_e32 v[128:129], v[10:11], v[8:9]
	v_add_f64_e32 v[16:17], v[16:17], v[18:19]
	ds_load_b128 v[4:7], v2 offset:1536
	ds_load_b128 v[8:11], v2 offset:1552
	v_fmac_f64_e32 v[20:21], v[14:15], v[134:135]
	v_fma_f64 v[12:13], v[12:13], v[134:135], -v[22:23]
	s_wait_loadcnt_dscnt 0x401
	v_mul_f64_e32 v[18:19], v[4:5], v[140:141]
	v_mul_f64_e32 v[130:131], v[6:7], v[140:141]
	s_wait_loadcnt_dscnt 0x300
	v_mul_f64_e32 v[22:23], v[8:9], v[144:145]
	v_add_f64_e32 v[14:15], v[128:129], v[126:127]
	v_add_f64_e32 v[16:17], v[16:17], v[146:147]
	v_mul_f64_e32 v[126:127], v[10:11], v[144:145]
	v_fmac_f64_e32 v[18:19], v[6:7], v[138:139]
	v_fma_f64 v[128:129], v[4:5], v[138:139], -v[130:131]
	v_fmac_f64_e32 v[22:23], v[10:11], v[142:143]
	v_add_f64_e32 v[130:131], v[14:15], v[12:13]
	v_add_f64_e32 v[16:17], v[16:17], v[20:21]
	ds_load_b128 v[4:7], v2 offset:1568
	ds_load_b128 v[12:15], v2 offset:1584
	v_fma_f64 v[8:9], v[8:9], v[142:143], -v[126:127]
	s_wait_loadcnt_dscnt 0x201
	v_mul_f64_e32 v[2:3], v[4:5], v[152:153]
	v_mul_f64_e32 v[20:21], v[6:7], v[152:153]
	s_wait_loadcnt_dscnt 0x0
	v_mul_f64_e32 v[126:127], v[14:15], v[164:165]
	v_add_f64_e32 v[10:11], v[130:131], v[128:129]
	v_add_f64_e32 v[16:17], v[16:17], v[18:19]
	v_mul_f64_e32 v[18:19], v[12:13], v[164:165]
	v_fmac_f64_e32 v[2:3], v[6:7], v[150:151]
	v_fma_f64 v[4:5], v[4:5], v[150:151], -v[20:21]
	v_add_f64_e32 v[6:7], v[10:11], v[8:9]
	v_add_f64_e32 v[8:9], v[16:17], v[22:23]
	v_fmac_f64_e32 v[18:19], v[14:15], v[162:163]
	v_fma_f64 v[10:11], v[12:13], v[162:163], -v[126:127]
	s_delay_alu instid0(VALU_DEP_4) | instskip(NEXT) | instid1(VALU_DEP_4)
	v_add_f64_e32 v[4:5], v[6:7], v[4:5]
	v_add_f64_e32 v[2:3], v[8:9], v[2:3]
	s_delay_alu instid0(VALU_DEP_2) | instskip(NEXT) | instid1(VALU_DEP_2)
	v_add_f64_e32 v[4:5], v[4:5], v[10:11]
	v_add_f64_e32 v[6:7], v[2:3], v[18:19]
	s_delay_alu instid0(VALU_DEP_2) | instskip(NEXT) | instid1(VALU_DEP_2)
	v_add_f64_e64 v[2:3], v[158:159], -v[4:5]
	v_add_f64_e64 v[4:5], v[160:161], -v[6:7]
	scratch_store_b128 off, v[2:5], off offset:592
	s_wait_xcnt 0x0
	v_cmpx_lt_u32_e32 36, v1
	s_cbranch_execz .LBB113_241
; %bb.240:
	scratch_load_b128 v[2:5], off, s29
	v_mov_b32_e32 v6, 0
	s_delay_alu instid0(VALU_DEP_1)
	v_dual_mov_b32 v7, v6 :: v_dual_mov_b32 v8, v6
	v_mov_b32_e32 v9, v6
	scratch_store_b128 off, v[6:9], off offset:576
	s_wait_loadcnt 0x0
	ds_store_b128 v124, v[2:5]
.LBB113_241:
	s_wait_xcnt 0x0
	s_or_b32 exec_lo, exec_lo, s2
	s_wait_storecnt_dscnt 0x0
	s_barrier_signal -1
	s_barrier_wait -1
	s_clause 0x9
	scratch_load_b128 v[4:7], off, off offset:592
	scratch_load_b128 v[8:11], off, off offset:608
	;; [unrolled: 1-line block ×10, first 2 shown]
	v_mov_b32_e32 v2, 0
	s_mov_b32 s2, exec_lo
	ds_load_b128 v[146:149], v2 offset:1392
	s_clause 0x2
	scratch_load_b128 v[150:153], off, off offset:752
	scratch_load_b128 v[154:157], off, off offset:576
	;; [unrolled: 1-line block ×3, first 2 shown]
	s_wait_loadcnt_dscnt 0xc00
	v_mul_f64_e32 v[166:167], v[148:149], v[6:7]
	v_mul_f64_e32 v[170:171], v[146:147], v[6:7]
	ds_load_b128 v[158:161], v2 offset:1408
	v_fma_f64 v[174:175], v[146:147], v[4:5], -v[166:167]
	v_fmac_f64_e32 v[170:171], v[148:149], v[4:5]
	ds_load_b128 v[4:7], v2 offset:1424
	s_wait_loadcnt_dscnt 0xb01
	v_mul_f64_e32 v[172:173], v[158:159], v[10:11]
	v_mul_f64_e32 v[10:11], v[160:161], v[10:11]
	scratch_load_b128 v[146:149], off, off offset:784
	ds_load_b128 v[166:169], v2 offset:1440
	s_wait_loadcnt_dscnt 0xb01
	v_mul_f64_e32 v[176:177], v[4:5], v[14:15]
	v_mul_f64_e32 v[14:15], v[6:7], v[14:15]
	v_fmac_f64_e32 v[172:173], v[160:161], v[8:9]
	v_fma_f64 v[8:9], v[158:159], v[8:9], -v[10:11]
	v_add_f64_e32 v[10:11], 0, v[174:175]
	v_add_f64_e32 v[158:159], 0, v[170:171]
	s_wait_loadcnt_dscnt 0xa00
	v_mul_f64_e32 v[160:161], v[166:167], v[18:19]
	v_mul_f64_e32 v[18:19], v[168:169], v[18:19]
	v_fmac_f64_e32 v[176:177], v[6:7], v[12:13]
	v_fma_f64 v[12:13], v[4:5], v[12:13], -v[14:15]
	v_add_f64_e32 v[14:15], v[10:11], v[8:9]
	v_add_f64_e32 v[158:159], v[158:159], v[172:173]
	ds_load_b128 v[4:7], v2 offset:1456
	ds_load_b128 v[8:11], v2 offset:1472
	v_fmac_f64_e32 v[160:161], v[168:169], v[16:17]
	v_fma_f64 v[16:17], v[166:167], v[16:17], -v[18:19]
	s_wait_loadcnt_dscnt 0x901
	v_mul_f64_e32 v[170:171], v[4:5], v[22:23]
	v_mul_f64_e32 v[22:23], v[6:7], v[22:23]
	s_wait_loadcnt_dscnt 0x800
	v_mul_f64_e32 v[18:19], v[8:9], v[128:129]
	v_mul_f64_e32 v[128:129], v[10:11], v[128:129]
	v_add_f64_e32 v[12:13], v[14:15], v[12:13]
	v_add_f64_e32 v[14:15], v[158:159], v[176:177]
	v_fmac_f64_e32 v[170:171], v[6:7], v[20:21]
	v_fma_f64 v[20:21], v[4:5], v[20:21], -v[22:23]
	v_fmac_f64_e32 v[18:19], v[10:11], v[126:127]
	v_fma_f64 v[8:9], v[8:9], v[126:127], -v[128:129]
	v_add_f64_e32 v[16:17], v[12:13], v[16:17]
	v_add_f64_e32 v[22:23], v[14:15], v[160:161]
	ds_load_b128 v[4:7], v2 offset:1488
	ds_load_b128 v[12:15], v2 offset:1504
	s_wait_loadcnt_dscnt 0x701
	v_mul_f64_e32 v[158:159], v[4:5], v[132:133]
	v_mul_f64_e32 v[132:133], v[6:7], v[132:133]
	v_add_f64_e32 v[10:11], v[16:17], v[20:21]
	v_add_f64_e32 v[16:17], v[22:23], v[170:171]
	s_wait_loadcnt_dscnt 0x600
	v_mul_f64_e32 v[20:21], v[12:13], v[136:137]
	v_mul_f64_e32 v[22:23], v[14:15], v[136:137]
	v_fmac_f64_e32 v[158:159], v[6:7], v[130:131]
	v_fma_f64 v[126:127], v[4:5], v[130:131], -v[132:133]
	v_add_f64_e32 v[128:129], v[10:11], v[8:9]
	v_add_f64_e32 v[16:17], v[16:17], v[18:19]
	ds_load_b128 v[4:7], v2 offset:1520
	ds_load_b128 v[8:11], v2 offset:1536
	v_fmac_f64_e32 v[20:21], v[14:15], v[134:135]
	v_fma_f64 v[12:13], v[12:13], v[134:135], -v[22:23]
	s_wait_loadcnt_dscnt 0x501
	v_mul_f64_e32 v[18:19], v[4:5], v[140:141]
	v_mul_f64_e32 v[130:131], v[6:7], v[140:141]
	s_wait_loadcnt_dscnt 0x400
	v_mul_f64_e32 v[22:23], v[8:9], v[144:145]
	v_add_f64_e32 v[14:15], v[128:129], v[126:127]
	v_add_f64_e32 v[16:17], v[16:17], v[158:159]
	v_mul_f64_e32 v[126:127], v[10:11], v[144:145]
	v_fmac_f64_e32 v[18:19], v[6:7], v[138:139]
	v_fma_f64 v[128:129], v[4:5], v[138:139], -v[130:131]
	v_fmac_f64_e32 v[22:23], v[10:11], v[142:143]
	v_add_f64_e32 v[130:131], v[14:15], v[12:13]
	v_add_f64_e32 v[16:17], v[16:17], v[20:21]
	ds_load_b128 v[4:7], v2 offset:1552
	ds_load_b128 v[12:15], v2 offset:1568
	v_fma_f64 v[8:9], v[8:9], v[142:143], -v[126:127]
	s_wait_loadcnt_dscnt 0x301
	v_mul_f64_e32 v[20:21], v[4:5], v[152:153]
	v_mul_f64_e32 v[132:133], v[6:7], v[152:153]
	s_wait_loadcnt_dscnt 0x100
	v_mul_f64_e32 v[126:127], v[14:15], v[164:165]
	v_add_f64_e32 v[10:11], v[130:131], v[128:129]
	v_add_f64_e32 v[16:17], v[16:17], v[18:19]
	v_mul_f64_e32 v[18:19], v[12:13], v[164:165]
	v_fmac_f64_e32 v[20:21], v[6:7], v[150:151]
	v_fma_f64 v[128:129], v[4:5], v[150:151], -v[132:133]
	ds_load_b128 v[4:7], v2 offset:1584
	v_fma_f64 v[12:13], v[12:13], v[162:163], -v[126:127]
	v_add_f64_e32 v[8:9], v[10:11], v[8:9]
	v_add_f64_e32 v[10:11], v[16:17], v[22:23]
	v_fmac_f64_e32 v[18:19], v[14:15], v[162:163]
	s_wait_loadcnt_dscnt 0x0
	v_mul_f64_e32 v[16:17], v[4:5], v[148:149]
	v_mul_f64_e32 v[22:23], v[6:7], v[148:149]
	v_add_f64_e32 v[8:9], v[8:9], v[128:129]
	v_add_f64_e32 v[10:11], v[10:11], v[20:21]
	s_delay_alu instid0(VALU_DEP_4) | instskip(NEXT) | instid1(VALU_DEP_4)
	v_fmac_f64_e32 v[16:17], v[6:7], v[146:147]
	v_fma_f64 v[4:5], v[4:5], v[146:147], -v[22:23]
	s_delay_alu instid0(VALU_DEP_4) | instskip(NEXT) | instid1(VALU_DEP_4)
	v_add_f64_e32 v[6:7], v[8:9], v[12:13]
	v_add_f64_e32 v[8:9], v[10:11], v[18:19]
	s_delay_alu instid0(VALU_DEP_2) | instskip(NEXT) | instid1(VALU_DEP_2)
	v_add_f64_e32 v[4:5], v[6:7], v[4:5]
	v_add_f64_e32 v[6:7], v[8:9], v[16:17]
	s_delay_alu instid0(VALU_DEP_2) | instskip(NEXT) | instid1(VALU_DEP_2)
	v_add_f64_e64 v[4:5], v[154:155], -v[4:5]
	v_add_f64_e64 v[6:7], v[156:157], -v[6:7]
	scratch_store_b128 off, v[4:7], off offset:576
	s_wait_xcnt 0x0
	v_cmpx_lt_u32_e32 35, v1
	s_cbranch_execz .LBB113_243
; %bb.242:
	scratch_load_b128 v[6:9], off, s30
	v_dual_mov_b32 v3, v2 :: v_dual_mov_b32 v4, v2
	v_mov_b32_e32 v5, v2
	scratch_store_b128 off, v[2:5], off offset:560
	s_wait_loadcnt 0x0
	ds_store_b128 v124, v[6:9]
.LBB113_243:
	s_wait_xcnt 0x0
	s_or_b32 exec_lo, exec_lo, s2
	s_wait_storecnt_dscnt 0x0
	s_barrier_signal -1
	s_barrier_wait -1
	s_clause 0x9
	scratch_load_b128 v[4:7], off, off offset:576
	scratch_load_b128 v[8:11], off, off offset:592
	;; [unrolled: 1-line block ×10, first 2 shown]
	ds_load_b128 v[146:149], v2 offset:1376
	ds_load_b128 v[154:157], v2 offset:1392
	s_clause 0x2
	scratch_load_b128 v[150:153], off, off offset:736
	scratch_load_b128 v[158:161], off, off offset:560
	scratch_load_b128 v[162:165], off, off offset:752
	s_mov_b32 s2, exec_lo
	s_wait_loadcnt_dscnt 0xc01
	v_mul_f64_e32 v[166:167], v[148:149], v[6:7]
	v_mul_f64_e32 v[170:171], v[146:147], v[6:7]
	s_wait_loadcnt_dscnt 0xb00
	v_mul_f64_e32 v[172:173], v[154:155], v[10:11]
	v_mul_f64_e32 v[10:11], v[156:157], v[10:11]
	s_delay_alu instid0(VALU_DEP_4) | instskip(NEXT) | instid1(VALU_DEP_4)
	v_fma_f64 v[174:175], v[146:147], v[4:5], -v[166:167]
	v_fmac_f64_e32 v[170:171], v[148:149], v[4:5]
	ds_load_b128 v[4:7], v2 offset:1408
	ds_load_b128 v[146:149], v2 offset:1424
	scratch_load_b128 v[166:169], off, off offset:768
	v_fmac_f64_e32 v[172:173], v[156:157], v[8:9]
	v_fma_f64 v[154:155], v[154:155], v[8:9], -v[10:11]
	scratch_load_b128 v[8:11], off, off offset:784
	s_wait_loadcnt_dscnt 0xc01
	v_mul_f64_e32 v[176:177], v[4:5], v[14:15]
	v_mul_f64_e32 v[14:15], v[6:7], v[14:15]
	v_add_f64_e32 v[156:157], 0, v[174:175]
	v_add_f64_e32 v[170:171], 0, v[170:171]
	s_wait_loadcnt_dscnt 0xb00
	v_mul_f64_e32 v[174:175], v[146:147], v[18:19]
	v_mul_f64_e32 v[18:19], v[148:149], v[18:19]
	v_fmac_f64_e32 v[176:177], v[6:7], v[12:13]
	v_fma_f64 v[178:179], v[4:5], v[12:13], -v[14:15]
	ds_load_b128 v[4:7], v2 offset:1440
	ds_load_b128 v[12:15], v2 offset:1456
	v_add_f64_e32 v[154:155], v[156:157], v[154:155]
	v_add_f64_e32 v[156:157], v[170:171], v[172:173]
	v_fmac_f64_e32 v[174:175], v[148:149], v[16:17]
	v_fma_f64 v[16:17], v[146:147], v[16:17], -v[18:19]
	s_wait_loadcnt_dscnt 0xa01
	v_mul_f64_e32 v[170:171], v[4:5], v[22:23]
	v_mul_f64_e32 v[22:23], v[6:7], v[22:23]
	s_wait_loadcnt_dscnt 0x900
	v_mul_f64_e32 v[148:149], v[12:13], v[128:129]
	v_mul_f64_e32 v[128:129], v[14:15], v[128:129]
	v_add_f64_e32 v[18:19], v[154:155], v[178:179]
	v_add_f64_e32 v[146:147], v[156:157], v[176:177]
	v_fmac_f64_e32 v[170:171], v[6:7], v[20:21]
	v_fma_f64 v[20:21], v[4:5], v[20:21], -v[22:23]
	v_fmac_f64_e32 v[148:149], v[14:15], v[126:127]
	v_fma_f64 v[12:13], v[12:13], v[126:127], -v[128:129]
	v_add_f64_e32 v[22:23], v[18:19], v[16:17]
	v_add_f64_e32 v[146:147], v[146:147], v[174:175]
	ds_load_b128 v[4:7], v2 offset:1472
	ds_load_b128 v[16:19], v2 offset:1488
	s_wait_loadcnt_dscnt 0x801
	v_mul_f64_e32 v[154:155], v[4:5], v[132:133]
	v_mul_f64_e32 v[132:133], v[6:7], v[132:133]
	s_wait_loadcnt_dscnt 0x700
	v_mul_f64_e32 v[126:127], v[18:19], v[136:137]
	v_add_f64_e32 v[14:15], v[22:23], v[20:21]
	v_add_f64_e32 v[20:21], v[146:147], v[170:171]
	v_mul_f64_e32 v[22:23], v[16:17], v[136:137]
	v_fmac_f64_e32 v[154:155], v[6:7], v[130:131]
	v_fma_f64 v[128:129], v[4:5], v[130:131], -v[132:133]
	v_fma_f64 v[16:17], v[16:17], v[134:135], -v[126:127]
	v_add_f64_e32 v[130:131], v[14:15], v[12:13]
	v_add_f64_e32 v[20:21], v[20:21], v[148:149]
	ds_load_b128 v[4:7], v2 offset:1504
	ds_load_b128 v[12:15], v2 offset:1520
	v_fmac_f64_e32 v[22:23], v[18:19], v[134:135]
	s_wait_loadcnt_dscnt 0x601
	v_mul_f64_e32 v[132:133], v[4:5], v[140:141]
	v_mul_f64_e32 v[136:137], v[6:7], v[140:141]
	s_wait_loadcnt_dscnt 0x500
	v_mul_f64_e32 v[126:127], v[12:13], v[144:145]
	v_add_f64_e32 v[18:19], v[130:131], v[128:129]
	v_add_f64_e32 v[20:21], v[20:21], v[154:155]
	v_mul_f64_e32 v[128:129], v[14:15], v[144:145]
	v_fmac_f64_e32 v[132:133], v[6:7], v[138:139]
	v_fma_f64 v[130:131], v[4:5], v[138:139], -v[136:137]
	v_fmac_f64_e32 v[126:127], v[14:15], v[142:143]
	v_add_f64_e32 v[134:135], v[18:19], v[16:17]
	v_add_f64_e32 v[20:21], v[20:21], v[22:23]
	ds_load_b128 v[4:7], v2 offset:1536
	ds_load_b128 v[16:19], v2 offset:1552
	v_fma_f64 v[12:13], v[12:13], v[142:143], -v[128:129]
	s_wait_loadcnt_dscnt 0x401
	v_mul_f64_e32 v[22:23], v[4:5], v[152:153]
	v_mul_f64_e32 v[136:137], v[6:7], v[152:153]
	s_wait_loadcnt_dscnt 0x200
	v_mul_f64_e32 v[128:129], v[16:17], v[164:165]
	v_add_f64_e32 v[14:15], v[134:135], v[130:131]
	v_add_f64_e32 v[20:21], v[20:21], v[132:133]
	v_mul_f64_e32 v[130:131], v[18:19], v[164:165]
	v_fmac_f64_e32 v[22:23], v[6:7], v[150:151]
	v_fma_f64 v[132:133], v[4:5], v[150:151], -v[136:137]
	v_fmac_f64_e32 v[128:129], v[18:19], v[162:163]
	v_add_f64_e32 v[134:135], v[14:15], v[12:13]
	v_add_f64_e32 v[20:21], v[20:21], v[126:127]
	ds_load_b128 v[4:7], v2 offset:1568
	ds_load_b128 v[12:15], v2 offset:1584
	v_fma_f64 v[16:17], v[16:17], v[162:163], -v[130:131]
	s_wait_loadcnt_dscnt 0x101
	v_mul_f64_e32 v[2:3], v[4:5], v[168:169]
	v_mul_f64_e32 v[126:127], v[6:7], v[168:169]
	v_add_f64_e32 v[18:19], v[134:135], v[132:133]
	v_add_f64_e32 v[20:21], v[20:21], v[22:23]
	s_wait_loadcnt_dscnt 0x0
	v_mul_f64_e32 v[22:23], v[12:13], v[10:11]
	v_mul_f64_e32 v[10:11], v[14:15], v[10:11]
	v_fmac_f64_e32 v[2:3], v[6:7], v[166:167]
	v_fma_f64 v[4:5], v[4:5], v[166:167], -v[126:127]
	v_add_f64_e32 v[6:7], v[18:19], v[16:17]
	v_add_f64_e32 v[16:17], v[20:21], v[128:129]
	v_fmac_f64_e32 v[22:23], v[14:15], v[8:9]
	v_fma_f64 v[8:9], v[12:13], v[8:9], -v[10:11]
	s_delay_alu instid0(VALU_DEP_4) | instskip(NEXT) | instid1(VALU_DEP_4)
	v_add_f64_e32 v[4:5], v[6:7], v[4:5]
	v_add_f64_e32 v[2:3], v[16:17], v[2:3]
	s_delay_alu instid0(VALU_DEP_2) | instskip(NEXT) | instid1(VALU_DEP_2)
	v_add_f64_e32 v[4:5], v[4:5], v[8:9]
	v_add_f64_e32 v[6:7], v[2:3], v[22:23]
	s_delay_alu instid0(VALU_DEP_2) | instskip(NEXT) | instid1(VALU_DEP_2)
	v_add_f64_e64 v[2:3], v[158:159], -v[4:5]
	v_add_f64_e64 v[4:5], v[160:161], -v[6:7]
	scratch_store_b128 off, v[2:5], off offset:560
	s_wait_xcnt 0x0
	v_cmpx_lt_u32_e32 34, v1
	s_cbranch_execz .LBB113_245
; %bb.244:
	scratch_load_b128 v[2:5], off, s31
	v_mov_b32_e32 v6, 0
	s_delay_alu instid0(VALU_DEP_1)
	v_dual_mov_b32 v7, v6 :: v_dual_mov_b32 v8, v6
	v_mov_b32_e32 v9, v6
	scratch_store_b128 off, v[6:9], off offset:544
	s_wait_loadcnt 0x0
	ds_store_b128 v124, v[2:5]
.LBB113_245:
	s_wait_xcnt 0x0
	s_or_b32 exec_lo, exec_lo, s2
	s_wait_storecnt_dscnt 0x0
	s_barrier_signal -1
	s_barrier_wait -1
	s_clause 0x9
	scratch_load_b128 v[4:7], off, off offset:560
	scratch_load_b128 v[8:11], off, off offset:576
	scratch_load_b128 v[12:15], off, off offset:592
	scratch_load_b128 v[16:19], off, off offset:608
	scratch_load_b128 v[20:23], off, off offset:624
	scratch_load_b128 v[126:129], off, off offset:640
	scratch_load_b128 v[130:133], off, off offset:656
	scratch_load_b128 v[134:137], off, off offset:672
	scratch_load_b128 v[138:141], off, off offset:688
	scratch_load_b128 v[142:145], off, off offset:704
	v_mov_b32_e32 v2, 0
	s_mov_b32 s2, exec_lo
	ds_load_b128 v[146:149], v2 offset:1360
	s_clause 0x2
	scratch_load_b128 v[150:153], off, off offset:720
	scratch_load_b128 v[154:157], off, off offset:544
	;; [unrolled: 1-line block ×3, first 2 shown]
	s_wait_loadcnt_dscnt 0xc00
	v_mul_f64_e32 v[166:167], v[148:149], v[6:7]
	v_mul_f64_e32 v[170:171], v[146:147], v[6:7]
	ds_load_b128 v[158:161], v2 offset:1376
	v_fma_f64 v[174:175], v[146:147], v[4:5], -v[166:167]
	v_fmac_f64_e32 v[170:171], v[148:149], v[4:5]
	ds_load_b128 v[4:7], v2 offset:1392
	s_wait_loadcnt_dscnt 0xb01
	v_mul_f64_e32 v[172:173], v[158:159], v[10:11]
	v_mul_f64_e32 v[10:11], v[160:161], v[10:11]
	scratch_load_b128 v[146:149], off, off offset:752
	ds_load_b128 v[166:169], v2 offset:1408
	s_wait_loadcnt_dscnt 0xb01
	v_mul_f64_e32 v[176:177], v[4:5], v[14:15]
	v_mul_f64_e32 v[14:15], v[6:7], v[14:15]
	v_add_f64_e32 v[170:171], 0, v[170:171]
	v_fmac_f64_e32 v[172:173], v[160:161], v[8:9]
	v_fma_f64 v[158:159], v[158:159], v[8:9], -v[10:11]
	v_add_f64_e32 v[160:161], 0, v[174:175]
	scratch_load_b128 v[8:11], off, off offset:768
	v_fmac_f64_e32 v[176:177], v[6:7], v[12:13]
	v_fma_f64 v[178:179], v[4:5], v[12:13], -v[14:15]
	ds_load_b128 v[4:7], v2 offset:1424
	s_wait_loadcnt_dscnt 0xb01
	v_mul_f64_e32 v[174:175], v[166:167], v[18:19]
	v_mul_f64_e32 v[18:19], v[168:169], v[18:19]
	scratch_load_b128 v[12:15], off, off offset:784
	v_add_f64_e32 v[170:171], v[170:171], v[172:173]
	v_add_f64_e32 v[180:181], v[160:161], v[158:159]
	ds_load_b128 v[158:161], v2 offset:1440
	s_wait_loadcnt_dscnt 0xb01
	v_mul_f64_e32 v[172:173], v[4:5], v[22:23]
	v_mul_f64_e32 v[22:23], v[6:7], v[22:23]
	v_fmac_f64_e32 v[174:175], v[168:169], v[16:17]
	v_fma_f64 v[16:17], v[166:167], v[16:17], -v[18:19]
	s_wait_loadcnt_dscnt 0xa00
	v_mul_f64_e32 v[168:169], v[158:159], v[128:129]
	v_mul_f64_e32 v[128:129], v[160:161], v[128:129]
	v_add_f64_e32 v[166:167], v[170:171], v[176:177]
	v_add_f64_e32 v[18:19], v[180:181], v[178:179]
	v_fmac_f64_e32 v[172:173], v[6:7], v[20:21]
	v_fma_f64 v[20:21], v[4:5], v[20:21], -v[22:23]
	v_fmac_f64_e32 v[168:169], v[160:161], v[126:127]
	v_fma_f64 v[126:127], v[158:159], v[126:127], -v[128:129]
	v_add_f64_e32 v[166:167], v[166:167], v[174:175]
	v_add_f64_e32 v[22:23], v[18:19], v[16:17]
	ds_load_b128 v[4:7], v2 offset:1456
	ds_load_b128 v[16:19], v2 offset:1472
	s_wait_loadcnt_dscnt 0x901
	v_mul_f64_e32 v[170:171], v[4:5], v[132:133]
	v_mul_f64_e32 v[132:133], v[6:7], v[132:133]
	s_wait_loadcnt_dscnt 0x800
	v_mul_f64_e32 v[128:129], v[16:17], v[136:137]
	v_mul_f64_e32 v[136:137], v[18:19], v[136:137]
	v_add_f64_e32 v[20:21], v[22:23], v[20:21]
	v_add_f64_e32 v[22:23], v[166:167], v[172:173]
	v_fmac_f64_e32 v[170:171], v[6:7], v[130:131]
	v_fma_f64 v[130:131], v[4:5], v[130:131], -v[132:133]
	v_fmac_f64_e32 v[128:129], v[18:19], v[134:135]
	v_fma_f64 v[16:17], v[16:17], v[134:135], -v[136:137]
	v_add_f64_e32 v[126:127], v[20:21], v[126:127]
	v_add_f64_e32 v[132:133], v[22:23], v[168:169]
	ds_load_b128 v[4:7], v2 offset:1488
	ds_load_b128 v[20:23], v2 offset:1504
	s_wait_loadcnt_dscnt 0x701
	v_mul_f64_e32 v[158:159], v[4:5], v[140:141]
	v_mul_f64_e32 v[140:141], v[6:7], v[140:141]
	v_add_f64_e32 v[18:19], v[126:127], v[130:131]
	v_add_f64_e32 v[126:127], v[132:133], v[170:171]
	s_wait_loadcnt_dscnt 0x600
	v_mul_f64_e32 v[130:131], v[20:21], v[144:145]
	v_mul_f64_e32 v[132:133], v[22:23], v[144:145]
	v_fmac_f64_e32 v[158:159], v[6:7], v[138:139]
	v_fma_f64 v[134:135], v[4:5], v[138:139], -v[140:141]
	v_add_f64_e32 v[136:137], v[18:19], v[16:17]
	v_add_f64_e32 v[126:127], v[126:127], v[128:129]
	ds_load_b128 v[4:7], v2 offset:1520
	ds_load_b128 v[16:19], v2 offset:1536
	v_fmac_f64_e32 v[130:131], v[22:23], v[142:143]
	v_fma_f64 v[20:21], v[20:21], v[142:143], -v[132:133]
	s_wait_loadcnt_dscnt 0x501
	v_mul_f64_e32 v[128:129], v[4:5], v[152:153]
	v_mul_f64_e32 v[138:139], v[6:7], v[152:153]
	s_wait_loadcnt_dscnt 0x300
	v_mul_f64_e32 v[132:133], v[16:17], v[164:165]
	v_add_f64_e32 v[22:23], v[136:137], v[134:135]
	v_add_f64_e32 v[126:127], v[126:127], v[158:159]
	v_mul_f64_e32 v[134:135], v[18:19], v[164:165]
	v_fmac_f64_e32 v[128:129], v[6:7], v[150:151]
	v_fma_f64 v[136:137], v[4:5], v[150:151], -v[138:139]
	v_fmac_f64_e32 v[132:133], v[18:19], v[162:163]
	v_add_f64_e32 v[138:139], v[22:23], v[20:21]
	v_add_f64_e32 v[126:127], v[126:127], v[130:131]
	ds_load_b128 v[4:7], v2 offset:1552
	ds_load_b128 v[20:23], v2 offset:1568
	v_fma_f64 v[16:17], v[16:17], v[162:163], -v[134:135]
	s_wait_loadcnt_dscnt 0x201
	v_mul_f64_e32 v[130:131], v[4:5], v[148:149]
	v_mul_f64_e32 v[140:141], v[6:7], v[148:149]
	v_add_f64_e32 v[18:19], v[138:139], v[136:137]
	v_add_f64_e32 v[126:127], v[126:127], v[128:129]
	s_wait_loadcnt_dscnt 0x100
	v_mul_f64_e32 v[128:129], v[20:21], v[10:11]
	v_mul_f64_e32 v[10:11], v[22:23], v[10:11]
	v_fmac_f64_e32 v[130:131], v[6:7], v[146:147]
	v_fma_f64 v[134:135], v[4:5], v[146:147], -v[140:141]
	ds_load_b128 v[4:7], v2 offset:1584
	v_add_f64_e32 v[16:17], v[18:19], v[16:17]
	v_add_f64_e32 v[18:19], v[126:127], v[132:133]
	v_fmac_f64_e32 v[128:129], v[22:23], v[8:9]
	v_fma_f64 v[8:9], v[20:21], v[8:9], -v[10:11]
	s_wait_loadcnt_dscnt 0x0
	v_mul_f64_e32 v[126:127], v[4:5], v[14:15]
	v_mul_f64_e32 v[14:15], v[6:7], v[14:15]
	v_add_f64_e32 v[10:11], v[16:17], v[134:135]
	v_add_f64_e32 v[16:17], v[18:19], v[130:131]
	s_delay_alu instid0(VALU_DEP_4) | instskip(NEXT) | instid1(VALU_DEP_4)
	v_fmac_f64_e32 v[126:127], v[6:7], v[12:13]
	v_fma_f64 v[4:5], v[4:5], v[12:13], -v[14:15]
	s_delay_alu instid0(VALU_DEP_4) | instskip(NEXT) | instid1(VALU_DEP_4)
	v_add_f64_e32 v[6:7], v[10:11], v[8:9]
	v_add_f64_e32 v[8:9], v[16:17], v[128:129]
	s_delay_alu instid0(VALU_DEP_2) | instskip(NEXT) | instid1(VALU_DEP_2)
	v_add_f64_e32 v[4:5], v[6:7], v[4:5]
	v_add_f64_e32 v[6:7], v[8:9], v[126:127]
	s_delay_alu instid0(VALU_DEP_2) | instskip(NEXT) | instid1(VALU_DEP_2)
	v_add_f64_e64 v[4:5], v[154:155], -v[4:5]
	v_add_f64_e64 v[6:7], v[156:157], -v[6:7]
	scratch_store_b128 off, v[4:7], off offset:544
	s_wait_xcnt 0x0
	v_cmpx_lt_u32_e32 33, v1
	s_cbranch_execz .LBB113_247
; %bb.246:
	scratch_load_b128 v[6:9], off, s33
	v_dual_mov_b32 v3, v2 :: v_dual_mov_b32 v4, v2
	v_mov_b32_e32 v5, v2
	scratch_store_b128 off, v[2:5], off offset:528
	s_wait_loadcnt 0x0
	ds_store_b128 v124, v[6:9]
.LBB113_247:
	s_wait_xcnt 0x0
	s_or_b32 exec_lo, exec_lo, s2
	s_wait_storecnt_dscnt 0x0
	s_barrier_signal -1
	s_barrier_wait -1
	s_clause 0x9
	scratch_load_b128 v[4:7], off, off offset:544
	scratch_load_b128 v[8:11], off, off offset:560
	;; [unrolled: 1-line block ×10, first 2 shown]
	ds_load_b128 v[146:149], v2 offset:1344
	ds_load_b128 v[154:157], v2 offset:1360
	s_clause 0x2
	scratch_load_b128 v[150:153], off, off offset:704
	scratch_load_b128 v[158:161], off, off offset:528
	;; [unrolled: 1-line block ×3, first 2 shown]
	s_mov_b32 s2, exec_lo
	s_wait_loadcnt_dscnt 0xc01
	v_mul_f64_e32 v[166:167], v[148:149], v[6:7]
	v_mul_f64_e32 v[170:171], v[146:147], v[6:7]
	s_wait_loadcnt_dscnt 0xb00
	v_mul_f64_e32 v[172:173], v[154:155], v[10:11]
	v_mul_f64_e32 v[10:11], v[156:157], v[10:11]
	s_delay_alu instid0(VALU_DEP_4) | instskip(NEXT) | instid1(VALU_DEP_4)
	v_fma_f64 v[174:175], v[146:147], v[4:5], -v[166:167]
	v_fmac_f64_e32 v[170:171], v[148:149], v[4:5]
	ds_load_b128 v[4:7], v2 offset:1376
	ds_load_b128 v[146:149], v2 offset:1392
	scratch_load_b128 v[166:169], off, off offset:736
	v_fmac_f64_e32 v[172:173], v[156:157], v[8:9]
	v_fma_f64 v[154:155], v[154:155], v[8:9], -v[10:11]
	scratch_load_b128 v[8:11], off, off offset:752
	s_wait_loadcnt_dscnt 0xc01
	v_mul_f64_e32 v[176:177], v[4:5], v[14:15]
	v_mul_f64_e32 v[14:15], v[6:7], v[14:15]
	v_add_f64_e32 v[156:157], 0, v[174:175]
	v_add_f64_e32 v[170:171], 0, v[170:171]
	s_wait_loadcnt_dscnt 0xb00
	v_mul_f64_e32 v[174:175], v[146:147], v[18:19]
	v_mul_f64_e32 v[18:19], v[148:149], v[18:19]
	v_fmac_f64_e32 v[176:177], v[6:7], v[12:13]
	v_fma_f64 v[178:179], v[4:5], v[12:13], -v[14:15]
	ds_load_b128 v[4:7], v2 offset:1408
	ds_load_b128 v[12:15], v2 offset:1424
	v_add_f64_e32 v[180:181], v[156:157], v[154:155]
	v_add_f64_e32 v[170:171], v[170:171], v[172:173]
	scratch_load_b128 v[154:157], off, off offset:768
	v_fmac_f64_e32 v[174:175], v[148:149], v[16:17]
	v_fma_f64 v[146:147], v[146:147], v[16:17], -v[18:19]
	scratch_load_b128 v[16:19], off, off offset:784
	s_wait_loadcnt_dscnt 0xc01
	v_mul_f64_e32 v[172:173], v[4:5], v[22:23]
	v_mul_f64_e32 v[22:23], v[6:7], v[22:23]
	v_add_f64_e32 v[148:149], v[180:181], v[178:179]
	v_add_f64_e32 v[170:171], v[170:171], v[176:177]
	s_wait_loadcnt_dscnt 0xb00
	v_mul_f64_e32 v[176:177], v[12:13], v[128:129]
	v_mul_f64_e32 v[128:129], v[14:15], v[128:129]
	v_fmac_f64_e32 v[172:173], v[6:7], v[20:21]
	v_fma_f64 v[178:179], v[4:5], v[20:21], -v[22:23]
	ds_load_b128 v[4:7], v2 offset:1440
	ds_load_b128 v[20:23], v2 offset:1456
	v_add_f64_e32 v[146:147], v[148:149], v[146:147]
	v_add_f64_e32 v[148:149], v[170:171], v[174:175]
	s_wait_loadcnt_dscnt 0xa01
	v_mul_f64_e32 v[170:171], v[4:5], v[132:133]
	v_mul_f64_e32 v[132:133], v[6:7], v[132:133]
	v_fmac_f64_e32 v[176:177], v[14:15], v[126:127]
	v_fma_f64 v[12:13], v[12:13], v[126:127], -v[128:129]
	s_wait_loadcnt_dscnt 0x900
	v_mul_f64_e32 v[128:129], v[20:21], v[136:137]
	v_mul_f64_e32 v[136:137], v[22:23], v[136:137]
	v_add_f64_e32 v[14:15], v[146:147], v[178:179]
	v_add_f64_e32 v[126:127], v[148:149], v[172:173]
	v_fmac_f64_e32 v[170:171], v[6:7], v[130:131]
	v_fma_f64 v[130:131], v[4:5], v[130:131], -v[132:133]
	v_fmac_f64_e32 v[128:129], v[22:23], v[134:135]
	v_fma_f64 v[20:21], v[20:21], v[134:135], -v[136:137]
	v_add_f64_e32 v[132:133], v[14:15], v[12:13]
	v_add_f64_e32 v[126:127], v[126:127], v[176:177]
	ds_load_b128 v[4:7], v2 offset:1472
	ds_load_b128 v[12:15], v2 offset:1488
	s_wait_loadcnt_dscnt 0x801
	v_mul_f64_e32 v[146:147], v[4:5], v[140:141]
	v_mul_f64_e32 v[140:141], v[6:7], v[140:141]
	v_add_f64_e32 v[22:23], v[132:133], v[130:131]
	v_add_f64_e32 v[126:127], v[126:127], v[170:171]
	s_wait_loadcnt_dscnt 0x700
	v_mul_f64_e32 v[130:131], v[12:13], v[144:145]
	v_mul_f64_e32 v[132:133], v[14:15], v[144:145]
	v_fmac_f64_e32 v[146:147], v[6:7], v[138:139]
	v_fma_f64 v[134:135], v[4:5], v[138:139], -v[140:141]
	v_add_f64_e32 v[136:137], v[22:23], v[20:21]
	v_add_f64_e32 v[126:127], v[126:127], v[128:129]
	ds_load_b128 v[4:7], v2 offset:1504
	ds_load_b128 v[20:23], v2 offset:1520
	v_fmac_f64_e32 v[130:131], v[14:15], v[142:143]
	v_fma_f64 v[12:13], v[12:13], v[142:143], -v[132:133]
	s_wait_loadcnt_dscnt 0x601
	v_mul_f64_e32 v[128:129], v[4:5], v[152:153]
	v_mul_f64_e32 v[138:139], v[6:7], v[152:153]
	s_wait_loadcnt_dscnt 0x400
	v_mul_f64_e32 v[132:133], v[20:21], v[164:165]
	v_add_f64_e32 v[14:15], v[136:137], v[134:135]
	v_add_f64_e32 v[126:127], v[126:127], v[146:147]
	v_mul_f64_e32 v[134:135], v[22:23], v[164:165]
	v_fmac_f64_e32 v[128:129], v[6:7], v[150:151]
	v_fma_f64 v[136:137], v[4:5], v[150:151], -v[138:139]
	v_fmac_f64_e32 v[132:133], v[22:23], v[162:163]
	v_add_f64_e32 v[138:139], v[14:15], v[12:13]
	v_add_f64_e32 v[126:127], v[126:127], v[130:131]
	ds_load_b128 v[4:7], v2 offset:1536
	ds_load_b128 v[12:15], v2 offset:1552
	v_fma_f64 v[20:21], v[20:21], v[162:163], -v[134:135]
	s_wait_loadcnt_dscnt 0x301
	v_mul_f64_e32 v[130:131], v[4:5], v[168:169]
	v_mul_f64_e32 v[140:141], v[6:7], v[168:169]
	v_add_f64_e32 v[22:23], v[138:139], v[136:137]
	v_add_f64_e32 v[126:127], v[126:127], v[128:129]
	s_wait_loadcnt_dscnt 0x200
	v_mul_f64_e32 v[128:129], v[12:13], v[10:11]
	v_mul_f64_e32 v[10:11], v[14:15], v[10:11]
	v_fmac_f64_e32 v[130:131], v[6:7], v[166:167]
	v_fma_f64 v[134:135], v[4:5], v[166:167], -v[140:141]
	v_add_f64_e32 v[136:137], v[22:23], v[20:21]
	v_add_f64_e32 v[126:127], v[126:127], v[132:133]
	ds_load_b128 v[4:7], v2 offset:1568
	ds_load_b128 v[20:23], v2 offset:1584
	v_fmac_f64_e32 v[128:129], v[14:15], v[8:9]
	v_fma_f64 v[8:9], v[12:13], v[8:9], -v[10:11]
	s_wait_loadcnt_dscnt 0x101
	v_mul_f64_e32 v[2:3], v[4:5], v[156:157]
	v_mul_f64_e32 v[132:133], v[6:7], v[156:157]
	s_wait_loadcnt_dscnt 0x0
	v_mul_f64_e32 v[14:15], v[20:21], v[18:19]
	v_mul_f64_e32 v[18:19], v[22:23], v[18:19]
	v_add_f64_e32 v[10:11], v[136:137], v[134:135]
	v_add_f64_e32 v[12:13], v[126:127], v[130:131]
	v_fmac_f64_e32 v[2:3], v[6:7], v[154:155]
	v_fma_f64 v[4:5], v[4:5], v[154:155], -v[132:133]
	v_fmac_f64_e32 v[14:15], v[22:23], v[16:17]
	v_add_f64_e32 v[6:7], v[10:11], v[8:9]
	v_add_f64_e32 v[8:9], v[12:13], v[128:129]
	v_fma_f64 v[10:11], v[20:21], v[16:17], -v[18:19]
	s_delay_alu instid0(VALU_DEP_3) | instskip(NEXT) | instid1(VALU_DEP_3)
	v_add_f64_e32 v[4:5], v[6:7], v[4:5]
	v_add_f64_e32 v[2:3], v[8:9], v[2:3]
	s_delay_alu instid0(VALU_DEP_2) | instskip(NEXT) | instid1(VALU_DEP_2)
	v_add_f64_e32 v[4:5], v[4:5], v[10:11]
	v_add_f64_e32 v[6:7], v[2:3], v[14:15]
	s_delay_alu instid0(VALU_DEP_2) | instskip(NEXT) | instid1(VALU_DEP_2)
	v_add_f64_e64 v[2:3], v[158:159], -v[4:5]
	v_add_f64_e64 v[4:5], v[160:161], -v[6:7]
	scratch_store_b128 off, v[2:5], off offset:528
	s_wait_xcnt 0x0
	v_cmpx_lt_u32_e32 32, v1
	s_cbranch_execz .LBB113_249
; %bb.248:
	scratch_load_b128 v[2:5], off, s34
	v_mov_b32_e32 v6, 0
	s_delay_alu instid0(VALU_DEP_1)
	v_dual_mov_b32 v7, v6 :: v_dual_mov_b32 v8, v6
	v_mov_b32_e32 v9, v6
	scratch_store_b128 off, v[6:9], off offset:512
	s_wait_loadcnt 0x0
	ds_store_b128 v124, v[2:5]
.LBB113_249:
	s_wait_xcnt 0x0
	s_or_b32 exec_lo, exec_lo, s2
	s_wait_storecnt_dscnt 0x0
	s_barrier_signal -1
	s_barrier_wait -1
	s_clause 0x9
	scratch_load_b128 v[4:7], off, off offset:528
	scratch_load_b128 v[8:11], off, off offset:544
	;; [unrolled: 1-line block ×10, first 2 shown]
	v_mov_b32_e32 v2, 0
	s_mov_b32 s2, exec_lo
	ds_load_b128 v[146:149], v2 offset:1328
	s_clause 0x2
	scratch_load_b128 v[150:153], off, off offset:688
	scratch_load_b128 v[154:157], off, off offset:512
	;; [unrolled: 1-line block ×3, first 2 shown]
	s_wait_loadcnt_dscnt 0xc00
	v_mul_f64_e32 v[166:167], v[148:149], v[6:7]
	v_mul_f64_e32 v[170:171], v[146:147], v[6:7]
	ds_load_b128 v[158:161], v2 offset:1344
	v_fma_f64 v[174:175], v[146:147], v[4:5], -v[166:167]
	v_fmac_f64_e32 v[170:171], v[148:149], v[4:5]
	ds_load_b128 v[4:7], v2 offset:1360
	s_wait_loadcnt_dscnt 0xb01
	v_mul_f64_e32 v[172:173], v[158:159], v[10:11]
	v_mul_f64_e32 v[10:11], v[160:161], v[10:11]
	scratch_load_b128 v[146:149], off, off offset:720
	ds_load_b128 v[166:169], v2 offset:1376
	s_wait_loadcnt_dscnt 0xb01
	v_mul_f64_e32 v[176:177], v[4:5], v[14:15]
	v_mul_f64_e32 v[14:15], v[6:7], v[14:15]
	v_add_f64_e32 v[170:171], 0, v[170:171]
	v_fmac_f64_e32 v[172:173], v[160:161], v[8:9]
	v_fma_f64 v[158:159], v[158:159], v[8:9], -v[10:11]
	v_add_f64_e32 v[160:161], 0, v[174:175]
	scratch_load_b128 v[8:11], off, off offset:736
	v_fmac_f64_e32 v[176:177], v[6:7], v[12:13]
	v_fma_f64 v[178:179], v[4:5], v[12:13], -v[14:15]
	ds_load_b128 v[4:7], v2 offset:1392
	s_wait_loadcnt_dscnt 0xb01
	v_mul_f64_e32 v[174:175], v[166:167], v[18:19]
	v_mul_f64_e32 v[18:19], v[168:169], v[18:19]
	scratch_load_b128 v[12:15], off, off offset:752
	v_add_f64_e32 v[170:171], v[170:171], v[172:173]
	v_add_f64_e32 v[180:181], v[160:161], v[158:159]
	ds_load_b128 v[158:161], v2 offset:1408
	s_wait_loadcnt_dscnt 0xb01
	v_mul_f64_e32 v[172:173], v[4:5], v[22:23]
	v_mul_f64_e32 v[22:23], v[6:7], v[22:23]
	v_fmac_f64_e32 v[174:175], v[168:169], v[16:17]
	v_fma_f64 v[166:167], v[166:167], v[16:17], -v[18:19]
	scratch_load_b128 v[16:19], off, off offset:768
	v_add_f64_e32 v[170:171], v[170:171], v[176:177]
	v_add_f64_e32 v[168:169], v[180:181], v[178:179]
	v_fmac_f64_e32 v[172:173], v[6:7], v[20:21]
	v_fma_f64 v[178:179], v[4:5], v[20:21], -v[22:23]
	ds_load_b128 v[4:7], v2 offset:1424
	s_wait_loadcnt_dscnt 0xb01
	v_mul_f64_e32 v[176:177], v[158:159], v[128:129]
	v_mul_f64_e32 v[128:129], v[160:161], v[128:129]
	scratch_load_b128 v[20:23], off, off offset:784
	v_add_f64_e32 v[170:171], v[170:171], v[174:175]
	s_wait_loadcnt_dscnt 0xb00
	v_mul_f64_e32 v[174:175], v[4:5], v[132:133]
	v_add_f64_e32 v[180:181], v[168:169], v[166:167]
	v_mul_f64_e32 v[132:133], v[6:7], v[132:133]
	ds_load_b128 v[166:169], v2 offset:1440
	v_fmac_f64_e32 v[176:177], v[160:161], v[126:127]
	v_fma_f64 v[126:127], v[158:159], v[126:127], -v[128:129]
	s_wait_loadcnt_dscnt 0xa00
	v_mul_f64_e32 v[160:161], v[166:167], v[136:137]
	v_mul_f64_e32 v[136:137], v[168:169], v[136:137]
	v_add_f64_e32 v[158:159], v[170:171], v[172:173]
	v_fmac_f64_e32 v[174:175], v[6:7], v[130:131]
	v_add_f64_e32 v[128:129], v[180:181], v[178:179]
	v_fma_f64 v[130:131], v[4:5], v[130:131], -v[132:133]
	v_fmac_f64_e32 v[160:161], v[168:169], v[134:135]
	v_fma_f64 v[134:135], v[166:167], v[134:135], -v[136:137]
	v_add_f64_e32 v[158:159], v[158:159], v[176:177]
	v_add_f64_e32 v[132:133], v[128:129], v[126:127]
	ds_load_b128 v[4:7], v2 offset:1456
	ds_load_b128 v[126:129], v2 offset:1472
	s_wait_loadcnt_dscnt 0x901
	v_mul_f64_e32 v[170:171], v[4:5], v[140:141]
	v_mul_f64_e32 v[140:141], v[6:7], v[140:141]
	s_wait_loadcnt_dscnt 0x800
	v_mul_f64_e32 v[136:137], v[126:127], v[144:145]
	v_mul_f64_e32 v[144:145], v[128:129], v[144:145]
	v_add_f64_e32 v[130:131], v[132:133], v[130:131]
	v_add_f64_e32 v[132:133], v[158:159], v[174:175]
	v_fmac_f64_e32 v[170:171], v[6:7], v[138:139]
	v_fma_f64 v[138:139], v[4:5], v[138:139], -v[140:141]
	v_fmac_f64_e32 v[136:137], v[128:129], v[142:143]
	v_fma_f64 v[126:127], v[126:127], v[142:143], -v[144:145]
	v_add_f64_e32 v[134:135], v[130:131], v[134:135]
	v_add_f64_e32 v[140:141], v[132:133], v[160:161]
	ds_load_b128 v[4:7], v2 offset:1488
	ds_load_b128 v[130:133], v2 offset:1504
	s_wait_loadcnt_dscnt 0x701
	v_mul_f64_e32 v[158:159], v[4:5], v[152:153]
	v_mul_f64_e32 v[152:153], v[6:7], v[152:153]
	v_add_f64_e32 v[128:129], v[134:135], v[138:139]
	v_add_f64_e32 v[134:135], v[140:141], v[170:171]
	s_wait_loadcnt_dscnt 0x500
	v_mul_f64_e32 v[138:139], v[130:131], v[164:165]
	v_mul_f64_e32 v[140:141], v[132:133], v[164:165]
	v_fmac_f64_e32 v[158:159], v[6:7], v[150:151]
	v_fma_f64 v[142:143], v[4:5], v[150:151], -v[152:153]
	v_add_f64_e32 v[144:145], v[128:129], v[126:127]
	v_add_f64_e32 v[134:135], v[134:135], v[136:137]
	ds_load_b128 v[4:7], v2 offset:1520
	ds_load_b128 v[126:129], v2 offset:1536
	v_fmac_f64_e32 v[138:139], v[132:133], v[162:163]
	v_fma_f64 v[130:131], v[130:131], v[162:163], -v[140:141]
	s_wait_loadcnt_dscnt 0x401
	v_mul_f64_e32 v[136:137], v[4:5], v[148:149]
	v_mul_f64_e32 v[148:149], v[6:7], v[148:149]
	v_add_f64_e32 v[132:133], v[144:145], v[142:143]
	v_add_f64_e32 v[134:135], v[134:135], v[158:159]
	s_wait_loadcnt_dscnt 0x300
	v_mul_f64_e32 v[140:141], v[126:127], v[10:11]
	v_mul_f64_e32 v[10:11], v[128:129], v[10:11]
	v_fmac_f64_e32 v[136:137], v[6:7], v[146:147]
	v_fma_f64 v[142:143], v[4:5], v[146:147], -v[148:149]
	v_add_f64_e32 v[144:145], v[132:133], v[130:131]
	v_add_f64_e32 v[134:135], v[134:135], v[138:139]
	ds_load_b128 v[4:7], v2 offset:1552
	ds_load_b128 v[130:133], v2 offset:1568
	v_fmac_f64_e32 v[140:141], v[128:129], v[8:9]
	v_fma_f64 v[8:9], v[126:127], v[8:9], -v[10:11]
	s_wait_loadcnt_dscnt 0x201
	v_mul_f64_e32 v[138:139], v[4:5], v[14:15]
	v_mul_f64_e32 v[14:15], v[6:7], v[14:15]
	s_wait_loadcnt_dscnt 0x100
	v_mul_f64_e32 v[128:129], v[130:131], v[18:19]
	v_mul_f64_e32 v[18:19], v[132:133], v[18:19]
	v_add_f64_e32 v[10:11], v[144:145], v[142:143]
	v_add_f64_e32 v[126:127], v[134:135], v[136:137]
	v_fmac_f64_e32 v[138:139], v[6:7], v[12:13]
	v_fma_f64 v[12:13], v[4:5], v[12:13], -v[14:15]
	ds_load_b128 v[4:7], v2 offset:1584
	v_fmac_f64_e32 v[128:129], v[132:133], v[16:17]
	v_fma_f64 v[16:17], v[130:131], v[16:17], -v[18:19]
	v_add_f64_e32 v[8:9], v[10:11], v[8:9]
	v_add_f64_e32 v[10:11], v[126:127], v[140:141]
	s_wait_loadcnt_dscnt 0x0
	v_mul_f64_e32 v[14:15], v[4:5], v[22:23]
	v_mul_f64_e32 v[22:23], v[6:7], v[22:23]
	s_delay_alu instid0(VALU_DEP_4) | instskip(NEXT) | instid1(VALU_DEP_4)
	v_add_f64_e32 v[8:9], v[8:9], v[12:13]
	v_add_f64_e32 v[10:11], v[10:11], v[138:139]
	s_delay_alu instid0(VALU_DEP_4) | instskip(NEXT) | instid1(VALU_DEP_4)
	v_fmac_f64_e32 v[14:15], v[6:7], v[20:21]
	v_fma_f64 v[4:5], v[4:5], v[20:21], -v[22:23]
	s_delay_alu instid0(VALU_DEP_4) | instskip(NEXT) | instid1(VALU_DEP_4)
	v_add_f64_e32 v[6:7], v[8:9], v[16:17]
	v_add_f64_e32 v[8:9], v[10:11], v[128:129]
	s_delay_alu instid0(VALU_DEP_2) | instskip(NEXT) | instid1(VALU_DEP_2)
	v_add_f64_e32 v[4:5], v[6:7], v[4:5]
	v_add_f64_e32 v[6:7], v[8:9], v[14:15]
	s_delay_alu instid0(VALU_DEP_2) | instskip(NEXT) | instid1(VALU_DEP_2)
	v_add_f64_e64 v[4:5], v[154:155], -v[4:5]
	v_add_f64_e64 v[6:7], v[156:157], -v[6:7]
	scratch_store_b128 off, v[4:7], off offset:512
	s_wait_xcnt 0x0
	v_cmpx_lt_u32_e32 31, v1
	s_cbranch_execz .LBB113_251
; %bb.250:
	scratch_load_b128 v[6:9], off, s35
	v_dual_mov_b32 v3, v2 :: v_dual_mov_b32 v4, v2
	v_mov_b32_e32 v5, v2
	scratch_store_b128 off, v[2:5], off offset:496
	s_wait_loadcnt 0x0
	ds_store_b128 v124, v[6:9]
.LBB113_251:
	s_wait_xcnt 0x0
	s_or_b32 exec_lo, exec_lo, s2
	s_wait_storecnt_dscnt 0x0
	s_barrier_signal -1
	s_barrier_wait -1
	s_clause 0x9
	scratch_load_b128 v[4:7], off, off offset:512
	scratch_load_b128 v[8:11], off, off offset:528
	;; [unrolled: 1-line block ×10, first 2 shown]
	ds_load_b128 v[146:149], v2 offset:1312
	ds_load_b128 v[154:157], v2 offset:1328
	s_clause 0x2
	scratch_load_b128 v[150:153], off, off offset:672
	scratch_load_b128 v[158:161], off, off offset:496
	;; [unrolled: 1-line block ×3, first 2 shown]
	s_mov_b32 s2, exec_lo
	s_wait_loadcnt_dscnt 0xc01
	v_mul_f64_e32 v[166:167], v[148:149], v[6:7]
	v_mul_f64_e32 v[170:171], v[146:147], v[6:7]
	s_wait_loadcnt_dscnt 0xb00
	v_mul_f64_e32 v[172:173], v[154:155], v[10:11]
	v_mul_f64_e32 v[10:11], v[156:157], v[10:11]
	s_delay_alu instid0(VALU_DEP_4) | instskip(NEXT) | instid1(VALU_DEP_4)
	v_fma_f64 v[174:175], v[146:147], v[4:5], -v[166:167]
	v_fmac_f64_e32 v[170:171], v[148:149], v[4:5]
	ds_load_b128 v[4:7], v2 offset:1344
	ds_load_b128 v[146:149], v2 offset:1360
	scratch_load_b128 v[166:169], off, off offset:704
	v_fmac_f64_e32 v[172:173], v[156:157], v[8:9]
	v_fma_f64 v[154:155], v[154:155], v[8:9], -v[10:11]
	scratch_load_b128 v[8:11], off, off offset:720
	s_wait_loadcnt_dscnt 0xc01
	v_mul_f64_e32 v[176:177], v[4:5], v[14:15]
	v_mul_f64_e32 v[14:15], v[6:7], v[14:15]
	v_add_f64_e32 v[156:157], 0, v[174:175]
	v_add_f64_e32 v[170:171], 0, v[170:171]
	s_wait_loadcnt_dscnt 0xb00
	v_mul_f64_e32 v[174:175], v[146:147], v[18:19]
	v_mul_f64_e32 v[18:19], v[148:149], v[18:19]
	v_fmac_f64_e32 v[176:177], v[6:7], v[12:13]
	v_fma_f64 v[178:179], v[4:5], v[12:13], -v[14:15]
	ds_load_b128 v[4:7], v2 offset:1376
	ds_load_b128 v[12:15], v2 offset:1392
	v_add_f64_e32 v[180:181], v[156:157], v[154:155]
	v_add_f64_e32 v[170:171], v[170:171], v[172:173]
	scratch_load_b128 v[154:157], off, off offset:736
	v_fmac_f64_e32 v[174:175], v[148:149], v[16:17]
	v_fma_f64 v[146:147], v[146:147], v[16:17], -v[18:19]
	scratch_load_b128 v[16:19], off, off offset:752
	s_wait_loadcnt_dscnt 0xc01
	v_mul_f64_e32 v[172:173], v[4:5], v[22:23]
	v_mul_f64_e32 v[22:23], v[6:7], v[22:23]
	v_add_f64_e32 v[148:149], v[180:181], v[178:179]
	v_add_f64_e32 v[170:171], v[170:171], v[176:177]
	s_wait_loadcnt_dscnt 0xb00
	v_mul_f64_e32 v[176:177], v[12:13], v[128:129]
	v_mul_f64_e32 v[128:129], v[14:15], v[128:129]
	v_fmac_f64_e32 v[172:173], v[6:7], v[20:21]
	v_fma_f64 v[178:179], v[4:5], v[20:21], -v[22:23]
	ds_load_b128 v[4:7], v2 offset:1408
	ds_load_b128 v[20:23], v2 offset:1424
	v_add_f64_e32 v[180:181], v[148:149], v[146:147]
	v_add_f64_e32 v[170:171], v[170:171], v[174:175]
	scratch_load_b128 v[146:149], off, off offset:768
	s_wait_loadcnt_dscnt 0xb01
	v_mul_f64_e32 v[174:175], v[4:5], v[132:133]
	v_mul_f64_e32 v[132:133], v[6:7], v[132:133]
	v_fmac_f64_e32 v[176:177], v[14:15], v[126:127]
	v_fma_f64 v[126:127], v[12:13], v[126:127], -v[128:129]
	scratch_load_b128 v[12:15], off, off offset:784
	v_add_f64_e32 v[128:129], v[180:181], v[178:179]
	v_add_f64_e32 v[170:171], v[170:171], v[172:173]
	s_wait_loadcnt_dscnt 0xb00
	v_mul_f64_e32 v[172:173], v[20:21], v[136:137]
	v_mul_f64_e32 v[136:137], v[22:23], v[136:137]
	v_fmac_f64_e32 v[174:175], v[6:7], v[130:131]
	v_fma_f64 v[130:131], v[4:5], v[130:131], -v[132:133]
	v_add_f64_e32 v[132:133], v[128:129], v[126:127]
	v_add_f64_e32 v[170:171], v[170:171], v[176:177]
	ds_load_b128 v[4:7], v2 offset:1440
	ds_load_b128 v[126:129], v2 offset:1456
	v_fmac_f64_e32 v[172:173], v[22:23], v[134:135]
	v_fma_f64 v[20:21], v[20:21], v[134:135], -v[136:137]
	s_wait_loadcnt_dscnt 0xa01
	v_mul_f64_e32 v[176:177], v[4:5], v[140:141]
	v_mul_f64_e32 v[140:141], v[6:7], v[140:141]
	s_wait_loadcnt_dscnt 0x900
	v_mul_f64_e32 v[134:135], v[128:129], v[144:145]
	v_add_f64_e32 v[22:23], v[132:133], v[130:131]
	v_add_f64_e32 v[130:131], v[170:171], v[174:175]
	v_mul_f64_e32 v[132:133], v[126:127], v[144:145]
	v_fmac_f64_e32 v[176:177], v[6:7], v[138:139]
	v_fma_f64 v[136:137], v[4:5], v[138:139], -v[140:141]
	v_fma_f64 v[126:127], v[126:127], v[142:143], -v[134:135]
	v_add_f64_e32 v[138:139], v[22:23], v[20:21]
	v_add_f64_e32 v[130:131], v[130:131], v[172:173]
	ds_load_b128 v[4:7], v2 offset:1472
	ds_load_b128 v[20:23], v2 offset:1488
	v_fmac_f64_e32 v[132:133], v[128:129], v[142:143]
	s_wait_loadcnt_dscnt 0x801
	v_mul_f64_e32 v[140:141], v[4:5], v[152:153]
	v_mul_f64_e32 v[144:145], v[6:7], v[152:153]
	s_wait_loadcnt_dscnt 0x600
	v_mul_f64_e32 v[134:135], v[20:21], v[164:165]
	v_add_f64_e32 v[128:129], v[138:139], v[136:137]
	v_add_f64_e32 v[130:131], v[130:131], v[176:177]
	v_mul_f64_e32 v[136:137], v[22:23], v[164:165]
	v_fmac_f64_e32 v[140:141], v[6:7], v[150:151]
	v_fma_f64 v[138:139], v[4:5], v[150:151], -v[144:145]
	v_fmac_f64_e32 v[134:135], v[22:23], v[162:163]
	v_add_f64_e32 v[142:143], v[128:129], v[126:127]
	v_add_f64_e32 v[130:131], v[130:131], v[132:133]
	ds_load_b128 v[4:7], v2 offset:1504
	ds_load_b128 v[126:129], v2 offset:1520
	v_fma_f64 v[20:21], v[20:21], v[162:163], -v[136:137]
	s_wait_loadcnt_dscnt 0x501
	v_mul_f64_e32 v[132:133], v[4:5], v[168:169]
	v_mul_f64_e32 v[144:145], v[6:7], v[168:169]
	s_wait_loadcnt_dscnt 0x400
	v_mul_f64_e32 v[136:137], v[126:127], v[10:11]
	v_mul_f64_e32 v[10:11], v[128:129], v[10:11]
	v_add_f64_e32 v[22:23], v[142:143], v[138:139]
	v_add_f64_e32 v[130:131], v[130:131], v[140:141]
	v_fmac_f64_e32 v[132:133], v[6:7], v[166:167]
	v_fma_f64 v[138:139], v[4:5], v[166:167], -v[144:145]
	v_fmac_f64_e32 v[136:137], v[128:129], v[8:9]
	v_fma_f64 v[8:9], v[126:127], v[8:9], -v[10:11]
	v_add_f64_e32 v[140:141], v[22:23], v[20:21]
	v_add_f64_e32 v[130:131], v[130:131], v[134:135]
	ds_load_b128 v[4:7], v2 offset:1536
	ds_load_b128 v[20:23], v2 offset:1552
	s_wait_loadcnt_dscnt 0x301
	v_mul_f64_e32 v[134:135], v[4:5], v[156:157]
	v_mul_f64_e32 v[142:143], v[6:7], v[156:157]
	s_wait_loadcnt_dscnt 0x200
	v_mul_f64_e32 v[128:129], v[20:21], v[18:19]
	v_mul_f64_e32 v[18:19], v[22:23], v[18:19]
	v_add_f64_e32 v[10:11], v[140:141], v[138:139]
	v_add_f64_e32 v[126:127], v[130:131], v[132:133]
	v_fmac_f64_e32 v[134:135], v[6:7], v[154:155]
	v_fma_f64 v[130:131], v[4:5], v[154:155], -v[142:143]
	v_fmac_f64_e32 v[128:129], v[22:23], v[16:17]
	v_fma_f64 v[16:17], v[20:21], v[16:17], -v[18:19]
	v_add_f64_e32 v[132:133], v[10:11], v[8:9]
	v_add_f64_e32 v[126:127], v[126:127], v[136:137]
	ds_load_b128 v[4:7], v2 offset:1568
	ds_load_b128 v[8:11], v2 offset:1584
	s_wait_loadcnt_dscnt 0x101
	v_mul_f64_e32 v[2:3], v[4:5], v[148:149]
	v_mul_f64_e32 v[136:137], v[6:7], v[148:149]
	s_wait_loadcnt_dscnt 0x0
	v_mul_f64_e32 v[22:23], v[8:9], v[14:15]
	v_mul_f64_e32 v[14:15], v[10:11], v[14:15]
	v_add_f64_e32 v[18:19], v[132:133], v[130:131]
	v_add_f64_e32 v[20:21], v[126:127], v[134:135]
	v_fmac_f64_e32 v[2:3], v[6:7], v[146:147]
	v_fma_f64 v[4:5], v[4:5], v[146:147], -v[136:137]
	v_fmac_f64_e32 v[22:23], v[10:11], v[12:13]
	v_fma_f64 v[8:9], v[8:9], v[12:13], -v[14:15]
	v_add_f64_e32 v[6:7], v[18:19], v[16:17]
	v_add_f64_e32 v[16:17], v[20:21], v[128:129]
	s_delay_alu instid0(VALU_DEP_2) | instskip(NEXT) | instid1(VALU_DEP_2)
	v_add_f64_e32 v[4:5], v[6:7], v[4:5]
	v_add_f64_e32 v[2:3], v[16:17], v[2:3]
	s_delay_alu instid0(VALU_DEP_2) | instskip(NEXT) | instid1(VALU_DEP_2)
	v_add_f64_e32 v[4:5], v[4:5], v[8:9]
	v_add_f64_e32 v[6:7], v[2:3], v[22:23]
	s_delay_alu instid0(VALU_DEP_2) | instskip(NEXT) | instid1(VALU_DEP_2)
	v_add_f64_e64 v[2:3], v[158:159], -v[4:5]
	v_add_f64_e64 v[4:5], v[160:161], -v[6:7]
	scratch_store_b128 off, v[2:5], off offset:496
	s_wait_xcnt 0x0
	v_cmpx_lt_u32_e32 30, v1
	s_cbranch_execz .LBB113_253
; %bb.252:
	scratch_load_b128 v[2:5], off, s36
	v_mov_b32_e32 v6, 0
	s_delay_alu instid0(VALU_DEP_1)
	v_dual_mov_b32 v7, v6 :: v_dual_mov_b32 v8, v6
	v_mov_b32_e32 v9, v6
	scratch_store_b128 off, v[6:9], off offset:480
	s_wait_loadcnt 0x0
	ds_store_b128 v124, v[2:5]
.LBB113_253:
	s_wait_xcnt 0x0
	s_or_b32 exec_lo, exec_lo, s2
	s_wait_storecnt_dscnt 0x0
	s_barrier_signal -1
	s_barrier_wait -1
	s_clause 0x9
	scratch_load_b128 v[4:7], off, off offset:496
	scratch_load_b128 v[8:11], off, off offset:512
	;; [unrolled: 1-line block ×10, first 2 shown]
	v_mov_b32_e32 v2, 0
	s_mov_b32 s2, exec_lo
	ds_load_b128 v[146:149], v2 offset:1296
	s_clause 0x2
	scratch_load_b128 v[150:153], off, off offset:656
	scratch_load_b128 v[154:157], off, off offset:480
	;; [unrolled: 1-line block ×3, first 2 shown]
	s_wait_loadcnt_dscnt 0xc00
	v_mul_f64_e32 v[166:167], v[148:149], v[6:7]
	v_mul_f64_e32 v[170:171], v[146:147], v[6:7]
	ds_load_b128 v[158:161], v2 offset:1312
	v_fma_f64 v[174:175], v[146:147], v[4:5], -v[166:167]
	v_fmac_f64_e32 v[170:171], v[148:149], v[4:5]
	ds_load_b128 v[4:7], v2 offset:1328
	s_wait_loadcnt_dscnt 0xb01
	v_mul_f64_e32 v[172:173], v[158:159], v[10:11]
	v_mul_f64_e32 v[10:11], v[160:161], v[10:11]
	scratch_load_b128 v[146:149], off, off offset:688
	ds_load_b128 v[166:169], v2 offset:1344
	s_wait_loadcnt_dscnt 0xb01
	v_mul_f64_e32 v[176:177], v[4:5], v[14:15]
	v_mul_f64_e32 v[14:15], v[6:7], v[14:15]
	v_add_f64_e32 v[170:171], 0, v[170:171]
	v_fmac_f64_e32 v[172:173], v[160:161], v[8:9]
	v_fma_f64 v[158:159], v[158:159], v[8:9], -v[10:11]
	v_add_f64_e32 v[160:161], 0, v[174:175]
	scratch_load_b128 v[8:11], off, off offset:704
	v_fmac_f64_e32 v[176:177], v[6:7], v[12:13]
	v_fma_f64 v[178:179], v[4:5], v[12:13], -v[14:15]
	ds_load_b128 v[4:7], v2 offset:1360
	s_wait_loadcnt_dscnt 0xb01
	v_mul_f64_e32 v[174:175], v[166:167], v[18:19]
	v_mul_f64_e32 v[18:19], v[168:169], v[18:19]
	scratch_load_b128 v[12:15], off, off offset:720
	v_add_f64_e32 v[170:171], v[170:171], v[172:173]
	v_add_f64_e32 v[180:181], v[160:161], v[158:159]
	ds_load_b128 v[158:161], v2 offset:1376
	s_wait_loadcnt_dscnt 0xb01
	v_mul_f64_e32 v[172:173], v[4:5], v[22:23]
	v_mul_f64_e32 v[22:23], v[6:7], v[22:23]
	v_fmac_f64_e32 v[174:175], v[168:169], v[16:17]
	v_fma_f64 v[166:167], v[166:167], v[16:17], -v[18:19]
	scratch_load_b128 v[16:19], off, off offset:736
	v_add_f64_e32 v[170:171], v[170:171], v[176:177]
	v_add_f64_e32 v[168:169], v[180:181], v[178:179]
	v_fmac_f64_e32 v[172:173], v[6:7], v[20:21]
	v_fma_f64 v[178:179], v[4:5], v[20:21], -v[22:23]
	ds_load_b128 v[4:7], v2 offset:1392
	s_wait_loadcnt_dscnt 0xb01
	v_mul_f64_e32 v[176:177], v[158:159], v[128:129]
	v_mul_f64_e32 v[128:129], v[160:161], v[128:129]
	scratch_load_b128 v[20:23], off, off offset:752
	v_add_f64_e32 v[170:171], v[170:171], v[174:175]
	s_wait_loadcnt_dscnt 0xb00
	v_mul_f64_e32 v[174:175], v[4:5], v[132:133]
	v_add_f64_e32 v[180:181], v[168:169], v[166:167]
	v_mul_f64_e32 v[132:133], v[6:7], v[132:133]
	ds_load_b128 v[166:169], v2 offset:1408
	v_fmac_f64_e32 v[176:177], v[160:161], v[126:127]
	v_fma_f64 v[158:159], v[158:159], v[126:127], -v[128:129]
	scratch_load_b128 v[126:129], off, off offset:768
	v_add_f64_e32 v[170:171], v[170:171], v[172:173]
	v_fmac_f64_e32 v[174:175], v[6:7], v[130:131]
	v_add_f64_e32 v[160:161], v[180:181], v[178:179]
	v_fma_f64 v[178:179], v[4:5], v[130:131], -v[132:133]
	ds_load_b128 v[4:7], v2 offset:1424
	s_wait_loadcnt_dscnt 0xb01
	v_mul_f64_e32 v[172:173], v[166:167], v[136:137]
	v_mul_f64_e32 v[136:137], v[168:169], v[136:137]
	scratch_load_b128 v[130:133], off, off offset:784
	v_add_f64_e32 v[170:171], v[170:171], v[176:177]
	s_wait_loadcnt_dscnt 0xb00
	v_mul_f64_e32 v[176:177], v[4:5], v[140:141]
	v_add_f64_e32 v[180:181], v[160:161], v[158:159]
	v_mul_f64_e32 v[140:141], v[6:7], v[140:141]
	ds_load_b128 v[158:161], v2 offset:1440
	v_fmac_f64_e32 v[172:173], v[168:169], v[134:135]
	v_fma_f64 v[134:135], v[166:167], v[134:135], -v[136:137]
	s_wait_loadcnt_dscnt 0xa00
	v_mul_f64_e32 v[168:169], v[158:159], v[144:145]
	v_mul_f64_e32 v[144:145], v[160:161], v[144:145]
	v_add_f64_e32 v[166:167], v[170:171], v[174:175]
	v_fmac_f64_e32 v[176:177], v[6:7], v[138:139]
	v_add_f64_e32 v[136:137], v[180:181], v[178:179]
	v_fma_f64 v[138:139], v[4:5], v[138:139], -v[140:141]
	v_fmac_f64_e32 v[168:169], v[160:161], v[142:143]
	v_fma_f64 v[142:143], v[158:159], v[142:143], -v[144:145]
	v_add_f64_e32 v[166:167], v[166:167], v[172:173]
	v_add_f64_e32 v[140:141], v[136:137], v[134:135]
	ds_load_b128 v[4:7], v2 offset:1456
	ds_load_b128 v[134:137], v2 offset:1472
	s_wait_loadcnt_dscnt 0x901
	v_mul_f64_e32 v[170:171], v[4:5], v[152:153]
	v_mul_f64_e32 v[152:153], v[6:7], v[152:153]
	s_wait_loadcnt_dscnt 0x700
	v_mul_f64_e32 v[144:145], v[134:135], v[164:165]
	v_mul_f64_e32 v[158:159], v[136:137], v[164:165]
	v_add_f64_e32 v[138:139], v[140:141], v[138:139]
	v_add_f64_e32 v[140:141], v[166:167], v[176:177]
	v_fmac_f64_e32 v[170:171], v[6:7], v[150:151]
	v_fma_f64 v[150:151], v[4:5], v[150:151], -v[152:153]
	v_fmac_f64_e32 v[144:145], v[136:137], v[162:163]
	v_fma_f64 v[134:135], v[134:135], v[162:163], -v[158:159]
	v_add_f64_e32 v[142:143], v[138:139], v[142:143]
	v_add_f64_e32 v[152:153], v[140:141], v[168:169]
	ds_load_b128 v[4:7], v2 offset:1488
	ds_load_b128 v[138:141], v2 offset:1504
	s_wait_loadcnt_dscnt 0x601
	v_mul_f64_e32 v[160:161], v[4:5], v[148:149]
	v_mul_f64_e32 v[148:149], v[6:7], v[148:149]
	v_add_f64_e32 v[136:137], v[142:143], v[150:151]
	v_add_f64_e32 v[142:143], v[152:153], v[170:171]
	s_wait_loadcnt_dscnt 0x500
	v_mul_f64_e32 v[150:151], v[138:139], v[10:11]
	v_mul_f64_e32 v[10:11], v[140:141], v[10:11]
	v_fmac_f64_e32 v[160:161], v[6:7], v[146:147]
	v_fma_f64 v[146:147], v[4:5], v[146:147], -v[148:149]
	v_add_f64_e32 v[148:149], v[136:137], v[134:135]
	v_add_f64_e32 v[142:143], v[142:143], v[144:145]
	ds_load_b128 v[4:7], v2 offset:1520
	ds_load_b128 v[134:137], v2 offset:1536
	v_fmac_f64_e32 v[150:151], v[140:141], v[8:9]
	v_fma_f64 v[8:9], v[138:139], v[8:9], -v[10:11]
	s_wait_loadcnt_dscnt 0x401
	v_mul_f64_e32 v[144:145], v[4:5], v[14:15]
	v_mul_f64_e32 v[14:15], v[6:7], v[14:15]
	s_wait_loadcnt_dscnt 0x300
	v_mul_f64_e32 v[140:141], v[134:135], v[18:19]
	v_mul_f64_e32 v[18:19], v[136:137], v[18:19]
	v_add_f64_e32 v[10:11], v[148:149], v[146:147]
	v_add_f64_e32 v[138:139], v[142:143], v[160:161]
	v_fmac_f64_e32 v[144:145], v[6:7], v[12:13]
	v_fma_f64 v[12:13], v[4:5], v[12:13], -v[14:15]
	v_fmac_f64_e32 v[140:141], v[136:137], v[16:17]
	v_fma_f64 v[16:17], v[134:135], v[16:17], -v[18:19]
	v_add_f64_e32 v[14:15], v[10:11], v[8:9]
	v_add_f64_e32 v[138:139], v[138:139], v[150:151]
	ds_load_b128 v[4:7], v2 offset:1552
	ds_load_b128 v[8:11], v2 offset:1568
	s_wait_loadcnt_dscnt 0x201
	v_mul_f64_e32 v[142:143], v[4:5], v[22:23]
	v_mul_f64_e32 v[22:23], v[6:7], v[22:23]
	s_wait_loadcnt_dscnt 0x100
	v_mul_f64_e32 v[18:19], v[8:9], v[128:129]
	v_mul_f64_e32 v[128:129], v[10:11], v[128:129]
	v_add_f64_e32 v[12:13], v[14:15], v[12:13]
	v_add_f64_e32 v[14:15], v[138:139], v[144:145]
	v_fmac_f64_e32 v[142:143], v[6:7], v[20:21]
	v_fma_f64 v[20:21], v[4:5], v[20:21], -v[22:23]
	ds_load_b128 v[4:7], v2 offset:1584
	v_fmac_f64_e32 v[18:19], v[10:11], v[126:127]
	v_fma_f64 v[8:9], v[8:9], v[126:127], -v[128:129]
	v_add_f64_e32 v[12:13], v[12:13], v[16:17]
	v_add_f64_e32 v[14:15], v[14:15], v[140:141]
	s_wait_loadcnt_dscnt 0x0
	v_mul_f64_e32 v[16:17], v[4:5], v[132:133]
	v_mul_f64_e32 v[22:23], v[6:7], v[132:133]
	s_delay_alu instid0(VALU_DEP_4) | instskip(NEXT) | instid1(VALU_DEP_4)
	v_add_f64_e32 v[10:11], v[12:13], v[20:21]
	v_add_f64_e32 v[12:13], v[14:15], v[142:143]
	s_delay_alu instid0(VALU_DEP_4) | instskip(NEXT) | instid1(VALU_DEP_4)
	v_fmac_f64_e32 v[16:17], v[6:7], v[130:131]
	v_fma_f64 v[4:5], v[4:5], v[130:131], -v[22:23]
	s_delay_alu instid0(VALU_DEP_4) | instskip(NEXT) | instid1(VALU_DEP_4)
	v_add_f64_e32 v[6:7], v[10:11], v[8:9]
	v_add_f64_e32 v[8:9], v[12:13], v[18:19]
	s_delay_alu instid0(VALU_DEP_2) | instskip(NEXT) | instid1(VALU_DEP_2)
	v_add_f64_e32 v[4:5], v[6:7], v[4:5]
	v_add_f64_e32 v[6:7], v[8:9], v[16:17]
	s_delay_alu instid0(VALU_DEP_2) | instskip(NEXT) | instid1(VALU_DEP_2)
	v_add_f64_e64 v[4:5], v[154:155], -v[4:5]
	v_add_f64_e64 v[6:7], v[156:157], -v[6:7]
	scratch_store_b128 off, v[4:7], off offset:480
	s_wait_xcnt 0x0
	v_cmpx_lt_u32_e32 29, v1
	s_cbranch_execz .LBB113_255
; %bb.254:
	scratch_load_b128 v[6:9], off, s37
	v_dual_mov_b32 v3, v2 :: v_dual_mov_b32 v4, v2
	v_mov_b32_e32 v5, v2
	scratch_store_b128 off, v[2:5], off offset:464
	s_wait_loadcnt 0x0
	ds_store_b128 v124, v[6:9]
.LBB113_255:
	s_wait_xcnt 0x0
	s_or_b32 exec_lo, exec_lo, s2
	s_wait_storecnt_dscnt 0x0
	s_barrier_signal -1
	s_barrier_wait -1
	s_clause 0x9
	scratch_load_b128 v[4:7], off, off offset:480
	scratch_load_b128 v[8:11], off, off offset:496
	;; [unrolled: 1-line block ×10, first 2 shown]
	ds_load_b128 v[146:149], v2 offset:1280
	ds_load_b128 v[154:157], v2 offset:1296
	s_clause 0x2
	scratch_load_b128 v[150:153], off, off offset:640
	scratch_load_b128 v[158:161], off, off offset:464
	;; [unrolled: 1-line block ×3, first 2 shown]
	s_mov_b32 s2, exec_lo
	s_wait_loadcnt_dscnt 0xc01
	v_mul_f64_e32 v[166:167], v[148:149], v[6:7]
	v_mul_f64_e32 v[170:171], v[146:147], v[6:7]
	s_wait_loadcnt_dscnt 0xb00
	v_mul_f64_e32 v[172:173], v[154:155], v[10:11]
	v_mul_f64_e32 v[10:11], v[156:157], v[10:11]
	s_delay_alu instid0(VALU_DEP_4) | instskip(NEXT) | instid1(VALU_DEP_4)
	v_fma_f64 v[174:175], v[146:147], v[4:5], -v[166:167]
	v_fmac_f64_e32 v[170:171], v[148:149], v[4:5]
	ds_load_b128 v[4:7], v2 offset:1312
	ds_load_b128 v[146:149], v2 offset:1328
	scratch_load_b128 v[166:169], off, off offset:672
	v_fmac_f64_e32 v[172:173], v[156:157], v[8:9]
	v_fma_f64 v[154:155], v[154:155], v[8:9], -v[10:11]
	scratch_load_b128 v[8:11], off, off offset:688
	s_wait_loadcnt_dscnt 0xc01
	v_mul_f64_e32 v[176:177], v[4:5], v[14:15]
	v_mul_f64_e32 v[14:15], v[6:7], v[14:15]
	v_add_f64_e32 v[156:157], 0, v[174:175]
	v_add_f64_e32 v[170:171], 0, v[170:171]
	s_wait_loadcnt_dscnt 0xb00
	v_mul_f64_e32 v[174:175], v[146:147], v[18:19]
	v_mul_f64_e32 v[18:19], v[148:149], v[18:19]
	v_fmac_f64_e32 v[176:177], v[6:7], v[12:13]
	v_fma_f64 v[178:179], v[4:5], v[12:13], -v[14:15]
	ds_load_b128 v[4:7], v2 offset:1344
	ds_load_b128 v[12:15], v2 offset:1360
	v_add_f64_e32 v[180:181], v[156:157], v[154:155]
	v_add_f64_e32 v[170:171], v[170:171], v[172:173]
	scratch_load_b128 v[154:157], off, off offset:704
	v_fmac_f64_e32 v[174:175], v[148:149], v[16:17]
	v_fma_f64 v[146:147], v[146:147], v[16:17], -v[18:19]
	scratch_load_b128 v[16:19], off, off offset:720
	s_wait_loadcnt_dscnt 0xc01
	v_mul_f64_e32 v[172:173], v[4:5], v[22:23]
	v_mul_f64_e32 v[22:23], v[6:7], v[22:23]
	v_add_f64_e32 v[148:149], v[180:181], v[178:179]
	v_add_f64_e32 v[170:171], v[170:171], v[176:177]
	s_wait_loadcnt_dscnt 0xb00
	v_mul_f64_e32 v[176:177], v[12:13], v[128:129]
	v_mul_f64_e32 v[128:129], v[14:15], v[128:129]
	v_fmac_f64_e32 v[172:173], v[6:7], v[20:21]
	v_fma_f64 v[178:179], v[4:5], v[20:21], -v[22:23]
	ds_load_b128 v[4:7], v2 offset:1376
	ds_load_b128 v[20:23], v2 offset:1392
	v_add_f64_e32 v[180:181], v[148:149], v[146:147]
	v_add_f64_e32 v[170:171], v[170:171], v[174:175]
	scratch_load_b128 v[146:149], off, off offset:736
	s_wait_loadcnt_dscnt 0xb01
	v_mul_f64_e32 v[174:175], v[4:5], v[132:133]
	v_mul_f64_e32 v[132:133], v[6:7], v[132:133]
	v_fmac_f64_e32 v[176:177], v[14:15], v[126:127]
	v_fma_f64 v[126:127], v[12:13], v[126:127], -v[128:129]
	scratch_load_b128 v[12:15], off, off offset:752
	v_add_f64_e32 v[128:129], v[180:181], v[178:179]
	v_add_f64_e32 v[170:171], v[170:171], v[172:173]
	s_wait_loadcnt_dscnt 0xb00
	v_mul_f64_e32 v[172:173], v[20:21], v[136:137]
	v_mul_f64_e32 v[136:137], v[22:23], v[136:137]
	v_fmac_f64_e32 v[174:175], v[6:7], v[130:131]
	v_fma_f64 v[178:179], v[4:5], v[130:131], -v[132:133]
	v_add_f64_e32 v[180:181], v[128:129], v[126:127]
	v_add_f64_e32 v[170:171], v[170:171], v[176:177]
	ds_load_b128 v[4:7], v2 offset:1408
	ds_load_b128 v[126:129], v2 offset:1424
	scratch_load_b128 v[130:133], off, off offset:768
	v_fmac_f64_e32 v[172:173], v[22:23], v[134:135]
	v_fma_f64 v[134:135], v[20:21], v[134:135], -v[136:137]
	scratch_load_b128 v[20:23], off, off offset:784
	s_wait_loadcnt_dscnt 0xc01
	v_mul_f64_e32 v[176:177], v[4:5], v[140:141]
	v_mul_f64_e32 v[140:141], v[6:7], v[140:141]
	v_add_f64_e32 v[136:137], v[180:181], v[178:179]
	v_add_f64_e32 v[170:171], v[170:171], v[174:175]
	s_wait_loadcnt_dscnt 0xb00
	v_mul_f64_e32 v[174:175], v[126:127], v[144:145]
	v_mul_f64_e32 v[144:145], v[128:129], v[144:145]
	v_fmac_f64_e32 v[176:177], v[6:7], v[138:139]
	v_fma_f64 v[138:139], v[4:5], v[138:139], -v[140:141]
	v_add_f64_e32 v[140:141], v[136:137], v[134:135]
	v_add_f64_e32 v[170:171], v[170:171], v[172:173]
	ds_load_b128 v[4:7], v2 offset:1440
	ds_load_b128 v[134:137], v2 offset:1456
	v_fmac_f64_e32 v[174:175], v[128:129], v[142:143]
	v_fma_f64 v[126:127], v[126:127], v[142:143], -v[144:145]
	s_wait_loadcnt_dscnt 0xa01
	v_mul_f64_e32 v[172:173], v[4:5], v[152:153]
	v_mul_f64_e32 v[152:153], v[6:7], v[152:153]
	s_wait_loadcnt_dscnt 0x800
	v_mul_f64_e32 v[142:143], v[136:137], v[164:165]
	v_add_f64_e32 v[128:129], v[140:141], v[138:139]
	v_add_f64_e32 v[138:139], v[170:171], v[176:177]
	v_mul_f64_e32 v[140:141], v[134:135], v[164:165]
	v_fmac_f64_e32 v[172:173], v[6:7], v[150:151]
	v_fma_f64 v[144:145], v[4:5], v[150:151], -v[152:153]
	v_fma_f64 v[134:135], v[134:135], v[162:163], -v[142:143]
	v_add_f64_e32 v[150:151], v[128:129], v[126:127]
	v_add_f64_e32 v[138:139], v[138:139], v[174:175]
	ds_load_b128 v[4:7], v2 offset:1472
	ds_load_b128 v[126:129], v2 offset:1488
	v_fmac_f64_e32 v[140:141], v[136:137], v[162:163]
	s_wait_loadcnt_dscnt 0x701
	v_mul_f64_e32 v[152:153], v[4:5], v[168:169]
	v_mul_f64_e32 v[164:165], v[6:7], v[168:169]
	s_wait_loadcnt_dscnt 0x600
	v_mul_f64_e32 v[142:143], v[126:127], v[10:11]
	v_mul_f64_e32 v[10:11], v[128:129], v[10:11]
	v_add_f64_e32 v[136:137], v[150:151], v[144:145]
	v_add_f64_e32 v[138:139], v[138:139], v[172:173]
	v_fmac_f64_e32 v[152:153], v[6:7], v[166:167]
	v_fma_f64 v[144:145], v[4:5], v[166:167], -v[164:165]
	v_fmac_f64_e32 v[142:143], v[128:129], v[8:9]
	v_fma_f64 v[8:9], v[126:127], v[8:9], -v[10:11]
	v_add_f64_e32 v[150:151], v[136:137], v[134:135]
	v_add_f64_e32 v[138:139], v[138:139], v[140:141]
	ds_load_b128 v[4:7], v2 offset:1504
	ds_load_b128 v[134:137], v2 offset:1520
	s_wait_loadcnt_dscnt 0x501
	v_mul_f64_e32 v[140:141], v[4:5], v[156:157]
	v_mul_f64_e32 v[156:157], v[6:7], v[156:157]
	s_wait_loadcnt_dscnt 0x400
	v_mul_f64_e32 v[128:129], v[134:135], v[18:19]
	v_mul_f64_e32 v[18:19], v[136:137], v[18:19]
	v_add_f64_e32 v[10:11], v[150:151], v[144:145]
	v_add_f64_e32 v[126:127], v[138:139], v[152:153]
	v_fmac_f64_e32 v[140:141], v[6:7], v[154:155]
	v_fma_f64 v[138:139], v[4:5], v[154:155], -v[156:157]
	v_fmac_f64_e32 v[128:129], v[136:137], v[16:17]
	v_fma_f64 v[16:17], v[134:135], v[16:17], -v[18:19]
	v_add_f64_e32 v[144:145], v[10:11], v[8:9]
	v_add_f64_e32 v[126:127], v[126:127], v[142:143]
	ds_load_b128 v[4:7], v2 offset:1536
	ds_load_b128 v[8:11], v2 offset:1552
	;; [unrolled: 16-line block ×3, first 2 shown]
	s_wait_loadcnt_dscnt 0x101
	v_mul_f64_e32 v[2:3], v[4:5], v[132:133]
	v_mul_f64_e32 v[128:129], v[6:7], v[132:133]
	v_add_f64_e32 v[10:11], v[18:19], v[138:139]
	v_add_f64_e32 v[12:13], v[126:127], v[142:143]
	s_wait_loadcnt_dscnt 0x0
	v_mul_f64_e32 v[18:19], v[14:15], v[22:23]
	v_mul_f64_e32 v[22:23], v[16:17], v[22:23]
	v_fmac_f64_e32 v[2:3], v[6:7], v[130:131]
	v_fma_f64 v[4:5], v[4:5], v[130:131], -v[128:129]
	v_add_f64_e32 v[6:7], v[10:11], v[8:9]
	v_add_f64_e32 v[8:9], v[12:13], v[134:135]
	v_fmac_f64_e32 v[18:19], v[16:17], v[20:21]
	v_fma_f64 v[10:11], v[14:15], v[20:21], -v[22:23]
	s_delay_alu instid0(VALU_DEP_4) | instskip(NEXT) | instid1(VALU_DEP_4)
	v_add_f64_e32 v[4:5], v[6:7], v[4:5]
	v_add_f64_e32 v[2:3], v[8:9], v[2:3]
	s_delay_alu instid0(VALU_DEP_2) | instskip(NEXT) | instid1(VALU_DEP_2)
	v_add_f64_e32 v[4:5], v[4:5], v[10:11]
	v_add_f64_e32 v[6:7], v[2:3], v[18:19]
	s_delay_alu instid0(VALU_DEP_2) | instskip(NEXT) | instid1(VALU_DEP_2)
	v_add_f64_e64 v[2:3], v[158:159], -v[4:5]
	v_add_f64_e64 v[4:5], v[160:161], -v[6:7]
	scratch_store_b128 off, v[2:5], off offset:464
	s_wait_xcnt 0x0
	v_cmpx_lt_u32_e32 28, v1
	s_cbranch_execz .LBB113_257
; %bb.256:
	scratch_load_b128 v[2:5], off, s38
	v_mov_b32_e32 v6, 0
	s_delay_alu instid0(VALU_DEP_1)
	v_dual_mov_b32 v7, v6 :: v_dual_mov_b32 v8, v6
	v_mov_b32_e32 v9, v6
	scratch_store_b128 off, v[6:9], off offset:448
	s_wait_loadcnt 0x0
	ds_store_b128 v124, v[2:5]
.LBB113_257:
	s_wait_xcnt 0x0
	s_or_b32 exec_lo, exec_lo, s2
	s_wait_storecnt_dscnt 0x0
	s_barrier_signal -1
	s_barrier_wait -1
	s_clause 0x9
	scratch_load_b128 v[4:7], off, off offset:464
	scratch_load_b128 v[8:11], off, off offset:480
	;; [unrolled: 1-line block ×10, first 2 shown]
	v_mov_b32_e32 v2, 0
	s_mov_b32 s2, exec_lo
	ds_load_b128 v[146:149], v2 offset:1264
	s_clause 0x2
	scratch_load_b128 v[150:153], off, off offset:624
	scratch_load_b128 v[154:157], off, off offset:448
	;; [unrolled: 1-line block ×3, first 2 shown]
	s_wait_loadcnt_dscnt 0xc00
	v_mul_f64_e32 v[166:167], v[148:149], v[6:7]
	v_mul_f64_e32 v[170:171], v[146:147], v[6:7]
	ds_load_b128 v[158:161], v2 offset:1280
	v_fma_f64 v[174:175], v[146:147], v[4:5], -v[166:167]
	v_fmac_f64_e32 v[170:171], v[148:149], v[4:5]
	ds_load_b128 v[4:7], v2 offset:1296
	s_wait_loadcnt_dscnt 0xb01
	v_mul_f64_e32 v[172:173], v[158:159], v[10:11]
	v_mul_f64_e32 v[10:11], v[160:161], v[10:11]
	scratch_load_b128 v[146:149], off, off offset:656
	ds_load_b128 v[166:169], v2 offset:1312
	s_wait_loadcnt_dscnt 0xb01
	v_mul_f64_e32 v[176:177], v[4:5], v[14:15]
	v_mul_f64_e32 v[14:15], v[6:7], v[14:15]
	v_add_f64_e32 v[170:171], 0, v[170:171]
	v_fmac_f64_e32 v[172:173], v[160:161], v[8:9]
	v_fma_f64 v[158:159], v[158:159], v[8:9], -v[10:11]
	v_add_f64_e32 v[160:161], 0, v[174:175]
	scratch_load_b128 v[8:11], off, off offset:672
	v_fmac_f64_e32 v[176:177], v[6:7], v[12:13]
	v_fma_f64 v[178:179], v[4:5], v[12:13], -v[14:15]
	ds_load_b128 v[4:7], v2 offset:1328
	s_wait_loadcnt_dscnt 0xb01
	v_mul_f64_e32 v[174:175], v[166:167], v[18:19]
	v_mul_f64_e32 v[18:19], v[168:169], v[18:19]
	scratch_load_b128 v[12:15], off, off offset:688
	v_add_f64_e32 v[170:171], v[170:171], v[172:173]
	v_add_f64_e32 v[180:181], v[160:161], v[158:159]
	ds_load_b128 v[158:161], v2 offset:1344
	s_wait_loadcnt_dscnt 0xb01
	v_mul_f64_e32 v[172:173], v[4:5], v[22:23]
	v_mul_f64_e32 v[22:23], v[6:7], v[22:23]
	v_fmac_f64_e32 v[174:175], v[168:169], v[16:17]
	v_fma_f64 v[166:167], v[166:167], v[16:17], -v[18:19]
	scratch_load_b128 v[16:19], off, off offset:704
	v_add_f64_e32 v[170:171], v[170:171], v[176:177]
	v_add_f64_e32 v[168:169], v[180:181], v[178:179]
	v_fmac_f64_e32 v[172:173], v[6:7], v[20:21]
	v_fma_f64 v[178:179], v[4:5], v[20:21], -v[22:23]
	ds_load_b128 v[4:7], v2 offset:1360
	s_wait_loadcnt_dscnt 0xb01
	v_mul_f64_e32 v[176:177], v[158:159], v[128:129]
	v_mul_f64_e32 v[128:129], v[160:161], v[128:129]
	scratch_load_b128 v[20:23], off, off offset:720
	v_add_f64_e32 v[170:171], v[170:171], v[174:175]
	s_wait_loadcnt_dscnt 0xb00
	v_mul_f64_e32 v[174:175], v[4:5], v[132:133]
	v_add_f64_e32 v[180:181], v[168:169], v[166:167]
	v_mul_f64_e32 v[132:133], v[6:7], v[132:133]
	ds_load_b128 v[166:169], v2 offset:1376
	v_fmac_f64_e32 v[176:177], v[160:161], v[126:127]
	v_fma_f64 v[158:159], v[158:159], v[126:127], -v[128:129]
	scratch_load_b128 v[126:129], off, off offset:736
	v_add_f64_e32 v[170:171], v[170:171], v[172:173]
	v_fmac_f64_e32 v[174:175], v[6:7], v[130:131]
	v_add_f64_e32 v[160:161], v[180:181], v[178:179]
	v_fma_f64 v[178:179], v[4:5], v[130:131], -v[132:133]
	ds_load_b128 v[4:7], v2 offset:1392
	s_wait_loadcnt_dscnt 0xb01
	v_mul_f64_e32 v[172:173], v[166:167], v[136:137]
	v_mul_f64_e32 v[136:137], v[168:169], v[136:137]
	scratch_load_b128 v[130:133], off, off offset:752
	v_add_f64_e32 v[170:171], v[170:171], v[176:177]
	s_wait_loadcnt_dscnt 0xb00
	v_mul_f64_e32 v[176:177], v[4:5], v[140:141]
	v_add_f64_e32 v[180:181], v[160:161], v[158:159]
	v_mul_f64_e32 v[140:141], v[6:7], v[140:141]
	ds_load_b128 v[158:161], v2 offset:1408
	v_fmac_f64_e32 v[172:173], v[168:169], v[134:135]
	v_fma_f64 v[166:167], v[166:167], v[134:135], -v[136:137]
	scratch_load_b128 v[134:137], off, off offset:768
	v_add_f64_e32 v[170:171], v[170:171], v[174:175]
	v_fmac_f64_e32 v[176:177], v[6:7], v[138:139]
	v_add_f64_e32 v[168:169], v[180:181], v[178:179]
	v_fma_f64 v[178:179], v[4:5], v[138:139], -v[140:141]
	ds_load_b128 v[4:7], v2 offset:1424
	s_wait_loadcnt_dscnt 0xb01
	v_mul_f64_e32 v[174:175], v[158:159], v[144:145]
	v_mul_f64_e32 v[144:145], v[160:161], v[144:145]
	scratch_load_b128 v[138:141], off, off offset:784
	v_add_f64_e32 v[170:171], v[170:171], v[172:173]
	s_wait_loadcnt_dscnt 0xb00
	v_mul_f64_e32 v[172:173], v[4:5], v[152:153]
	v_add_f64_e32 v[180:181], v[168:169], v[166:167]
	v_mul_f64_e32 v[152:153], v[6:7], v[152:153]
	ds_load_b128 v[166:169], v2 offset:1440
	v_fmac_f64_e32 v[174:175], v[160:161], v[142:143]
	v_fma_f64 v[142:143], v[158:159], v[142:143], -v[144:145]
	s_wait_loadcnt_dscnt 0x900
	v_mul_f64_e32 v[160:161], v[166:167], v[164:165]
	v_mul_f64_e32 v[164:165], v[168:169], v[164:165]
	v_add_f64_e32 v[158:159], v[170:171], v[176:177]
	v_fmac_f64_e32 v[172:173], v[6:7], v[150:151]
	v_add_f64_e32 v[144:145], v[180:181], v[178:179]
	v_fma_f64 v[150:151], v[4:5], v[150:151], -v[152:153]
	v_fmac_f64_e32 v[160:161], v[168:169], v[162:163]
	v_fma_f64 v[162:163], v[166:167], v[162:163], -v[164:165]
	v_add_f64_e32 v[158:159], v[158:159], v[174:175]
	v_add_f64_e32 v[152:153], v[144:145], v[142:143]
	ds_load_b128 v[4:7], v2 offset:1456
	ds_load_b128 v[142:145], v2 offset:1472
	s_wait_loadcnt_dscnt 0x801
	v_mul_f64_e32 v[170:171], v[4:5], v[148:149]
	v_mul_f64_e32 v[148:149], v[6:7], v[148:149]
	v_add_f64_e32 v[150:151], v[152:153], v[150:151]
	v_add_f64_e32 v[152:153], v[158:159], v[172:173]
	s_wait_loadcnt_dscnt 0x700
	v_mul_f64_e32 v[158:159], v[142:143], v[10:11]
	v_mul_f64_e32 v[10:11], v[144:145], v[10:11]
	v_fmac_f64_e32 v[170:171], v[6:7], v[146:147]
	v_fma_f64 v[164:165], v[4:5], v[146:147], -v[148:149]
	ds_load_b128 v[4:7], v2 offset:1488
	ds_load_b128 v[146:149], v2 offset:1504
	v_add_f64_e32 v[150:151], v[150:151], v[162:163]
	v_add_f64_e32 v[152:153], v[152:153], v[160:161]
	v_fmac_f64_e32 v[158:159], v[144:145], v[8:9]
	v_fma_f64 v[8:9], v[142:143], v[8:9], -v[10:11]
	s_wait_loadcnt_dscnt 0x601
	v_mul_f64_e32 v[160:161], v[4:5], v[14:15]
	v_mul_f64_e32 v[14:15], v[6:7], v[14:15]
	s_wait_loadcnt_dscnt 0x500
	v_mul_f64_e32 v[144:145], v[146:147], v[18:19]
	v_mul_f64_e32 v[18:19], v[148:149], v[18:19]
	v_add_f64_e32 v[10:11], v[150:151], v[164:165]
	v_add_f64_e32 v[142:143], v[152:153], v[170:171]
	v_fmac_f64_e32 v[160:161], v[6:7], v[12:13]
	v_fma_f64 v[12:13], v[4:5], v[12:13], -v[14:15]
	v_fmac_f64_e32 v[144:145], v[148:149], v[16:17]
	v_fma_f64 v[16:17], v[146:147], v[16:17], -v[18:19]
	v_add_f64_e32 v[14:15], v[10:11], v[8:9]
	v_add_f64_e32 v[142:143], v[142:143], v[158:159]
	ds_load_b128 v[4:7], v2 offset:1520
	ds_load_b128 v[8:11], v2 offset:1536
	s_wait_loadcnt_dscnt 0x401
	v_mul_f64_e32 v[150:151], v[4:5], v[22:23]
	v_mul_f64_e32 v[22:23], v[6:7], v[22:23]
	s_wait_loadcnt_dscnt 0x300
	v_mul_f64_e32 v[18:19], v[8:9], v[128:129]
	v_mul_f64_e32 v[128:129], v[10:11], v[128:129]
	v_add_f64_e32 v[12:13], v[14:15], v[12:13]
	v_add_f64_e32 v[14:15], v[142:143], v[160:161]
	v_fmac_f64_e32 v[150:151], v[6:7], v[20:21]
	v_fma_f64 v[20:21], v[4:5], v[20:21], -v[22:23]
	v_fmac_f64_e32 v[18:19], v[10:11], v[126:127]
	v_fma_f64 v[8:9], v[8:9], v[126:127], -v[128:129]
	v_add_f64_e32 v[16:17], v[12:13], v[16:17]
	v_add_f64_e32 v[22:23], v[14:15], v[144:145]
	ds_load_b128 v[4:7], v2 offset:1552
	ds_load_b128 v[12:15], v2 offset:1568
	s_wait_loadcnt_dscnt 0x201
	v_mul_f64_e32 v[142:143], v[4:5], v[132:133]
	v_mul_f64_e32 v[132:133], v[6:7], v[132:133]
	v_add_f64_e32 v[10:11], v[16:17], v[20:21]
	v_add_f64_e32 v[16:17], v[22:23], v[150:151]
	s_wait_loadcnt_dscnt 0x100
	v_mul_f64_e32 v[20:21], v[12:13], v[136:137]
	v_mul_f64_e32 v[22:23], v[14:15], v[136:137]
	v_fmac_f64_e32 v[142:143], v[6:7], v[130:131]
	v_fma_f64 v[126:127], v[4:5], v[130:131], -v[132:133]
	ds_load_b128 v[4:7], v2 offset:1584
	v_add_f64_e32 v[8:9], v[10:11], v[8:9]
	v_add_f64_e32 v[10:11], v[16:17], v[18:19]
	v_fmac_f64_e32 v[20:21], v[14:15], v[134:135]
	v_fma_f64 v[12:13], v[12:13], v[134:135], -v[22:23]
	s_wait_loadcnt_dscnt 0x0
	v_mul_f64_e32 v[16:17], v[4:5], v[140:141]
	v_mul_f64_e32 v[18:19], v[6:7], v[140:141]
	v_add_f64_e32 v[8:9], v[8:9], v[126:127]
	v_add_f64_e32 v[10:11], v[10:11], v[142:143]
	s_delay_alu instid0(VALU_DEP_4) | instskip(NEXT) | instid1(VALU_DEP_4)
	v_fmac_f64_e32 v[16:17], v[6:7], v[138:139]
	v_fma_f64 v[4:5], v[4:5], v[138:139], -v[18:19]
	s_delay_alu instid0(VALU_DEP_4) | instskip(NEXT) | instid1(VALU_DEP_4)
	v_add_f64_e32 v[6:7], v[8:9], v[12:13]
	v_add_f64_e32 v[8:9], v[10:11], v[20:21]
	s_delay_alu instid0(VALU_DEP_2) | instskip(NEXT) | instid1(VALU_DEP_2)
	v_add_f64_e32 v[4:5], v[6:7], v[4:5]
	v_add_f64_e32 v[6:7], v[8:9], v[16:17]
	s_delay_alu instid0(VALU_DEP_2) | instskip(NEXT) | instid1(VALU_DEP_2)
	v_add_f64_e64 v[4:5], v[154:155], -v[4:5]
	v_add_f64_e64 v[6:7], v[156:157], -v[6:7]
	scratch_store_b128 off, v[4:7], off offset:448
	s_wait_xcnt 0x0
	v_cmpx_lt_u32_e32 27, v1
	s_cbranch_execz .LBB113_259
; %bb.258:
	scratch_load_b128 v[6:9], off, s39
	v_dual_mov_b32 v3, v2 :: v_dual_mov_b32 v4, v2
	v_mov_b32_e32 v5, v2
	scratch_store_b128 off, v[2:5], off offset:432
	s_wait_loadcnt 0x0
	ds_store_b128 v124, v[6:9]
.LBB113_259:
	s_wait_xcnt 0x0
	s_or_b32 exec_lo, exec_lo, s2
	s_wait_storecnt_dscnt 0x0
	s_barrier_signal -1
	s_barrier_wait -1
	s_clause 0x9
	scratch_load_b128 v[4:7], off, off offset:448
	scratch_load_b128 v[8:11], off, off offset:464
	;; [unrolled: 1-line block ×10, first 2 shown]
	ds_load_b128 v[146:149], v2 offset:1248
	ds_load_b128 v[154:157], v2 offset:1264
	s_clause 0x2
	scratch_load_b128 v[150:153], off, off offset:608
	scratch_load_b128 v[158:161], off, off offset:432
	;; [unrolled: 1-line block ×3, first 2 shown]
	s_mov_b32 s2, exec_lo
	s_wait_loadcnt_dscnt 0xc01
	v_mul_f64_e32 v[166:167], v[148:149], v[6:7]
	v_mul_f64_e32 v[170:171], v[146:147], v[6:7]
	s_wait_loadcnt_dscnt 0xb00
	v_mul_f64_e32 v[172:173], v[154:155], v[10:11]
	v_mul_f64_e32 v[10:11], v[156:157], v[10:11]
	s_delay_alu instid0(VALU_DEP_4) | instskip(NEXT) | instid1(VALU_DEP_4)
	v_fma_f64 v[174:175], v[146:147], v[4:5], -v[166:167]
	v_fmac_f64_e32 v[170:171], v[148:149], v[4:5]
	ds_load_b128 v[4:7], v2 offset:1280
	ds_load_b128 v[146:149], v2 offset:1296
	scratch_load_b128 v[166:169], off, off offset:640
	v_fmac_f64_e32 v[172:173], v[156:157], v[8:9]
	v_fma_f64 v[154:155], v[154:155], v[8:9], -v[10:11]
	scratch_load_b128 v[8:11], off, off offset:656
	s_wait_loadcnt_dscnt 0xc01
	v_mul_f64_e32 v[176:177], v[4:5], v[14:15]
	v_mul_f64_e32 v[14:15], v[6:7], v[14:15]
	v_add_f64_e32 v[156:157], 0, v[174:175]
	v_add_f64_e32 v[170:171], 0, v[170:171]
	s_wait_loadcnt_dscnt 0xb00
	v_mul_f64_e32 v[174:175], v[146:147], v[18:19]
	v_mul_f64_e32 v[18:19], v[148:149], v[18:19]
	v_fmac_f64_e32 v[176:177], v[6:7], v[12:13]
	v_fma_f64 v[178:179], v[4:5], v[12:13], -v[14:15]
	ds_load_b128 v[4:7], v2 offset:1312
	ds_load_b128 v[12:15], v2 offset:1328
	v_add_f64_e32 v[180:181], v[156:157], v[154:155]
	v_add_f64_e32 v[170:171], v[170:171], v[172:173]
	scratch_load_b128 v[154:157], off, off offset:672
	v_fmac_f64_e32 v[174:175], v[148:149], v[16:17]
	v_fma_f64 v[146:147], v[146:147], v[16:17], -v[18:19]
	scratch_load_b128 v[16:19], off, off offset:688
	s_wait_loadcnt_dscnt 0xc01
	v_mul_f64_e32 v[172:173], v[4:5], v[22:23]
	v_mul_f64_e32 v[22:23], v[6:7], v[22:23]
	v_add_f64_e32 v[148:149], v[180:181], v[178:179]
	v_add_f64_e32 v[170:171], v[170:171], v[176:177]
	s_wait_loadcnt_dscnt 0xb00
	v_mul_f64_e32 v[176:177], v[12:13], v[128:129]
	v_mul_f64_e32 v[128:129], v[14:15], v[128:129]
	v_fmac_f64_e32 v[172:173], v[6:7], v[20:21]
	v_fma_f64 v[178:179], v[4:5], v[20:21], -v[22:23]
	ds_load_b128 v[4:7], v2 offset:1344
	ds_load_b128 v[20:23], v2 offset:1360
	v_add_f64_e32 v[180:181], v[148:149], v[146:147]
	v_add_f64_e32 v[170:171], v[170:171], v[174:175]
	scratch_load_b128 v[146:149], off, off offset:704
	s_wait_loadcnt_dscnt 0xb01
	v_mul_f64_e32 v[174:175], v[4:5], v[132:133]
	v_mul_f64_e32 v[132:133], v[6:7], v[132:133]
	v_fmac_f64_e32 v[176:177], v[14:15], v[126:127]
	v_fma_f64 v[126:127], v[12:13], v[126:127], -v[128:129]
	scratch_load_b128 v[12:15], off, off offset:720
	v_add_f64_e32 v[128:129], v[180:181], v[178:179]
	v_add_f64_e32 v[170:171], v[170:171], v[172:173]
	s_wait_loadcnt_dscnt 0xb00
	v_mul_f64_e32 v[172:173], v[20:21], v[136:137]
	v_mul_f64_e32 v[136:137], v[22:23], v[136:137]
	v_fmac_f64_e32 v[174:175], v[6:7], v[130:131]
	v_fma_f64 v[178:179], v[4:5], v[130:131], -v[132:133]
	v_add_f64_e32 v[180:181], v[128:129], v[126:127]
	v_add_f64_e32 v[170:171], v[170:171], v[176:177]
	ds_load_b128 v[4:7], v2 offset:1376
	ds_load_b128 v[126:129], v2 offset:1392
	scratch_load_b128 v[130:133], off, off offset:736
	v_fmac_f64_e32 v[172:173], v[22:23], v[134:135]
	v_fma_f64 v[134:135], v[20:21], v[134:135], -v[136:137]
	scratch_load_b128 v[20:23], off, off offset:752
	s_wait_loadcnt_dscnt 0xc01
	v_mul_f64_e32 v[176:177], v[4:5], v[140:141]
	v_mul_f64_e32 v[140:141], v[6:7], v[140:141]
	v_add_f64_e32 v[136:137], v[180:181], v[178:179]
	v_add_f64_e32 v[170:171], v[170:171], v[174:175]
	s_wait_loadcnt_dscnt 0xb00
	v_mul_f64_e32 v[174:175], v[126:127], v[144:145]
	v_mul_f64_e32 v[144:145], v[128:129], v[144:145]
	v_fmac_f64_e32 v[176:177], v[6:7], v[138:139]
	v_fma_f64 v[178:179], v[4:5], v[138:139], -v[140:141]
	v_add_f64_e32 v[180:181], v[136:137], v[134:135]
	v_add_f64_e32 v[170:171], v[170:171], v[172:173]
	ds_load_b128 v[4:7], v2 offset:1408
	ds_load_b128 v[134:137], v2 offset:1424
	scratch_load_b128 v[138:141], off, off offset:768
	v_fmac_f64_e32 v[174:175], v[128:129], v[142:143]
	v_fma_f64 v[142:143], v[126:127], v[142:143], -v[144:145]
	scratch_load_b128 v[126:129], off, off offset:784
	s_wait_loadcnt_dscnt 0xc01
	v_mul_f64_e32 v[172:173], v[4:5], v[152:153]
	v_mul_f64_e32 v[152:153], v[6:7], v[152:153]
	v_add_f64_e32 v[144:145], v[180:181], v[178:179]
	v_add_f64_e32 v[170:171], v[170:171], v[176:177]
	s_wait_loadcnt_dscnt 0xa00
	v_mul_f64_e32 v[176:177], v[134:135], v[164:165]
	v_mul_f64_e32 v[164:165], v[136:137], v[164:165]
	v_fmac_f64_e32 v[172:173], v[6:7], v[150:151]
	v_fma_f64 v[150:151], v[4:5], v[150:151], -v[152:153]
	v_add_f64_e32 v[152:153], v[144:145], v[142:143]
	v_add_f64_e32 v[170:171], v[170:171], v[174:175]
	ds_load_b128 v[4:7], v2 offset:1440
	ds_load_b128 v[142:145], v2 offset:1456
	v_fmac_f64_e32 v[176:177], v[136:137], v[162:163]
	v_fma_f64 v[134:135], v[134:135], v[162:163], -v[164:165]
	s_wait_loadcnt_dscnt 0x901
	v_mul_f64_e32 v[174:175], v[4:5], v[168:169]
	v_mul_f64_e32 v[168:169], v[6:7], v[168:169]
	v_add_f64_e32 v[136:137], v[152:153], v[150:151]
	v_add_f64_e32 v[150:151], v[170:171], v[172:173]
	s_wait_loadcnt_dscnt 0x800
	v_mul_f64_e32 v[152:153], v[142:143], v[10:11]
	v_mul_f64_e32 v[10:11], v[144:145], v[10:11]
	v_fmac_f64_e32 v[174:175], v[6:7], v[166:167]
	v_fma_f64 v[162:163], v[4:5], v[166:167], -v[168:169]
	v_add_f64_e32 v[164:165], v[136:137], v[134:135]
	v_add_f64_e32 v[150:151], v[150:151], v[176:177]
	ds_load_b128 v[4:7], v2 offset:1472
	ds_load_b128 v[134:137], v2 offset:1488
	v_fmac_f64_e32 v[152:153], v[144:145], v[8:9]
	v_fma_f64 v[8:9], v[142:143], v[8:9], -v[10:11]
	s_wait_loadcnt_dscnt 0x701
	v_mul_f64_e32 v[166:167], v[4:5], v[156:157]
	v_mul_f64_e32 v[156:157], v[6:7], v[156:157]
	s_wait_loadcnt_dscnt 0x600
	v_mul_f64_e32 v[144:145], v[134:135], v[18:19]
	v_mul_f64_e32 v[18:19], v[136:137], v[18:19]
	v_add_f64_e32 v[10:11], v[164:165], v[162:163]
	v_add_f64_e32 v[142:143], v[150:151], v[174:175]
	v_fmac_f64_e32 v[166:167], v[6:7], v[154:155]
	v_fma_f64 v[150:151], v[4:5], v[154:155], -v[156:157]
	v_fmac_f64_e32 v[144:145], v[136:137], v[16:17]
	v_fma_f64 v[16:17], v[134:135], v[16:17], -v[18:19]
	v_add_f64_e32 v[154:155], v[10:11], v[8:9]
	v_add_f64_e32 v[142:143], v[142:143], v[152:153]
	ds_load_b128 v[4:7], v2 offset:1504
	ds_load_b128 v[8:11], v2 offset:1520
	s_wait_loadcnt_dscnt 0x501
	v_mul_f64_e32 v[152:153], v[4:5], v[148:149]
	v_mul_f64_e32 v[148:149], v[6:7], v[148:149]
	s_wait_loadcnt_dscnt 0x400
	v_mul_f64_e32 v[136:137], v[8:9], v[14:15]
	v_add_f64_e32 v[18:19], v[154:155], v[150:151]
	v_add_f64_e32 v[134:135], v[142:143], v[166:167]
	v_mul_f64_e32 v[142:143], v[10:11], v[14:15]
	v_fmac_f64_e32 v[152:153], v[6:7], v[146:147]
	v_fma_f64 v[146:147], v[4:5], v[146:147], -v[148:149]
	v_fmac_f64_e32 v[136:137], v[10:11], v[12:13]
	v_add_f64_e32 v[18:19], v[18:19], v[16:17]
	v_add_f64_e32 v[134:135], v[134:135], v[144:145]
	ds_load_b128 v[4:7], v2 offset:1536
	ds_load_b128 v[14:17], v2 offset:1552
	v_fma_f64 v[8:9], v[8:9], v[12:13], -v[142:143]
	s_wait_loadcnt_dscnt 0x301
	v_mul_f64_e32 v[144:145], v[4:5], v[132:133]
	v_mul_f64_e32 v[132:133], v[6:7], v[132:133]
	v_add_f64_e32 v[10:11], v[18:19], v[146:147]
	v_add_f64_e32 v[12:13], v[134:135], v[152:153]
	s_wait_loadcnt_dscnt 0x200
	v_mul_f64_e32 v[18:19], v[14:15], v[22:23]
	v_mul_f64_e32 v[22:23], v[16:17], v[22:23]
	v_fmac_f64_e32 v[144:145], v[6:7], v[130:131]
	v_fma_f64 v[130:131], v[4:5], v[130:131], -v[132:133]
	v_add_f64_e32 v[132:133], v[10:11], v[8:9]
	v_add_f64_e32 v[12:13], v[12:13], v[136:137]
	ds_load_b128 v[4:7], v2 offset:1568
	ds_load_b128 v[8:11], v2 offset:1584
	v_fmac_f64_e32 v[18:19], v[16:17], v[20:21]
	v_fma_f64 v[14:15], v[14:15], v[20:21], -v[22:23]
	s_wait_loadcnt_dscnt 0x101
	v_mul_f64_e32 v[2:3], v[4:5], v[140:141]
	v_mul_f64_e32 v[134:135], v[6:7], v[140:141]
	s_wait_loadcnt_dscnt 0x0
	v_mul_f64_e32 v[20:21], v[8:9], v[128:129]
	v_mul_f64_e32 v[22:23], v[10:11], v[128:129]
	v_add_f64_e32 v[16:17], v[132:133], v[130:131]
	v_add_f64_e32 v[12:13], v[12:13], v[144:145]
	v_fmac_f64_e32 v[2:3], v[6:7], v[138:139]
	v_fma_f64 v[4:5], v[4:5], v[138:139], -v[134:135]
	v_fmac_f64_e32 v[20:21], v[10:11], v[126:127]
	v_fma_f64 v[8:9], v[8:9], v[126:127], -v[22:23]
	v_add_f64_e32 v[6:7], v[16:17], v[14:15]
	v_add_f64_e32 v[12:13], v[12:13], v[18:19]
	s_delay_alu instid0(VALU_DEP_2) | instskip(NEXT) | instid1(VALU_DEP_2)
	v_add_f64_e32 v[4:5], v[6:7], v[4:5]
	v_add_f64_e32 v[2:3], v[12:13], v[2:3]
	s_delay_alu instid0(VALU_DEP_2) | instskip(NEXT) | instid1(VALU_DEP_2)
	;; [unrolled: 3-line block ×3, first 2 shown]
	v_add_f64_e64 v[2:3], v[158:159], -v[4:5]
	v_add_f64_e64 v[4:5], v[160:161], -v[6:7]
	scratch_store_b128 off, v[2:5], off offset:432
	s_wait_xcnt 0x0
	v_cmpx_lt_u32_e32 26, v1
	s_cbranch_execz .LBB113_261
; %bb.260:
	scratch_load_b128 v[2:5], off, s40
	v_mov_b32_e32 v6, 0
	s_delay_alu instid0(VALU_DEP_1)
	v_dual_mov_b32 v7, v6 :: v_dual_mov_b32 v8, v6
	v_mov_b32_e32 v9, v6
	scratch_store_b128 off, v[6:9], off offset:416
	s_wait_loadcnt 0x0
	ds_store_b128 v124, v[2:5]
.LBB113_261:
	s_wait_xcnt 0x0
	s_or_b32 exec_lo, exec_lo, s2
	s_wait_storecnt_dscnt 0x0
	s_barrier_signal -1
	s_barrier_wait -1
	s_clause 0x9
	scratch_load_b128 v[4:7], off, off offset:432
	scratch_load_b128 v[8:11], off, off offset:448
	;; [unrolled: 1-line block ×10, first 2 shown]
	v_mov_b32_e32 v2, 0
	s_mov_b32 s2, exec_lo
	ds_load_b128 v[146:149], v2 offset:1232
	s_clause 0x2
	scratch_load_b128 v[150:153], off, off offset:592
	scratch_load_b128 v[154:157], off, off offset:416
	;; [unrolled: 1-line block ×3, first 2 shown]
	s_wait_loadcnt_dscnt 0xc00
	v_mul_f64_e32 v[166:167], v[148:149], v[6:7]
	v_mul_f64_e32 v[170:171], v[146:147], v[6:7]
	ds_load_b128 v[158:161], v2 offset:1248
	v_fma_f64 v[174:175], v[146:147], v[4:5], -v[166:167]
	v_fmac_f64_e32 v[170:171], v[148:149], v[4:5]
	ds_load_b128 v[4:7], v2 offset:1264
	s_wait_loadcnt_dscnt 0xb01
	v_mul_f64_e32 v[172:173], v[158:159], v[10:11]
	v_mul_f64_e32 v[10:11], v[160:161], v[10:11]
	scratch_load_b128 v[146:149], off, off offset:624
	ds_load_b128 v[166:169], v2 offset:1280
	s_wait_loadcnt_dscnt 0xb01
	v_mul_f64_e32 v[176:177], v[4:5], v[14:15]
	v_mul_f64_e32 v[14:15], v[6:7], v[14:15]
	v_add_f64_e32 v[170:171], 0, v[170:171]
	v_fmac_f64_e32 v[172:173], v[160:161], v[8:9]
	v_fma_f64 v[158:159], v[158:159], v[8:9], -v[10:11]
	v_add_f64_e32 v[160:161], 0, v[174:175]
	scratch_load_b128 v[8:11], off, off offset:640
	v_fmac_f64_e32 v[176:177], v[6:7], v[12:13]
	v_fma_f64 v[178:179], v[4:5], v[12:13], -v[14:15]
	ds_load_b128 v[4:7], v2 offset:1296
	s_wait_loadcnt_dscnt 0xb01
	v_mul_f64_e32 v[174:175], v[166:167], v[18:19]
	v_mul_f64_e32 v[18:19], v[168:169], v[18:19]
	scratch_load_b128 v[12:15], off, off offset:656
	v_add_f64_e32 v[170:171], v[170:171], v[172:173]
	v_add_f64_e32 v[180:181], v[160:161], v[158:159]
	ds_load_b128 v[158:161], v2 offset:1312
	s_wait_loadcnt_dscnt 0xb01
	v_mul_f64_e32 v[172:173], v[4:5], v[22:23]
	v_mul_f64_e32 v[22:23], v[6:7], v[22:23]
	v_fmac_f64_e32 v[174:175], v[168:169], v[16:17]
	v_fma_f64 v[166:167], v[166:167], v[16:17], -v[18:19]
	scratch_load_b128 v[16:19], off, off offset:672
	v_add_f64_e32 v[170:171], v[170:171], v[176:177]
	v_add_f64_e32 v[168:169], v[180:181], v[178:179]
	v_fmac_f64_e32 v[172:173], v[6:7], v[20:21]
	v_fma_f64 v[178:179], v[4:5], v[20:21], -v[22:23]
	ds_load_b128 v[4:7], v2 offset:1328
	s_wait_loadcnt_dscnt 0xb01
	v_mul_f64_e32 v[176:177], v[158:159], v[128:129]
	v_mul_f64_e32 v[128:129], v[160:161], v[128:129]
	scratch_load_b128 v[20:23], off, off offset:688
	v_add_f64_e32 v[170:171], v[170:171], v[174:175]
	s_wait_loadcnt_dscnt 0xb00
	v_mul_f64_e32 v[174:175], v[4:5], v[132:133]
	v_add_f64_e32 v[180:181], v[168:169], v[166:167]
	v_mul_f64_e32 v[132:133], v[6:7], v[132:133]
	ds_load_b128 v[166:169], v2 offset:1344
	v_fmac_f64_e32 v[176:177], v[160:161], v[126:127]
	v_fma_f64 v[158:159], v[158:159], v[126:127], -v[128:129]
	scratch_load_b128 v[126:129], off, off offset:704
	v_add_f64_e32 v[170:171], v[170:171], v[172:173]
	v_fmac_f64_e32 v[174:175], v[6:7], v[130:131]
	v_add_f64_e32 v[160:161], v[180:181], v[178:179]
	v_fma_f64 v[178:179], v[4:5], v[130:131], -v[132:133]
	ds_load_b128 v[4:7], v2 offset:1360
	s_wait_loadcnt_dscnt 0xb01
	v_mul_f64_e32 v[172:173], v[166:167], v[136:137]
	v_mul_f64_e32 v[136:137], v[168:169], v[136:137]
	scratch_load_b128 v[130:133], off, off offset:720
	v_add_f64_e32 v[170:171], v[170:171], v[176:177]
	s_wait_loadcnt_dscnt 0xb00
	v_mul_f64_e32 v[176:177], v[4:5], v[140:141]
	v_add_f64_e32 v[180:181], v[160:161], v[158:159]
	v_mul_f64_e32 v[140:141], v[6:7], v[140:141]
	ds_load_b128 v[158:161], v2 offset:1376
	v_fmac_f64_e32 v[172:173], v[168:169], v[134:135]
	v_fma_f64 v[166:167], v[166:167], v[134:135], -v[136:137]
	scratch_load_b128 v[134:137], off, off offset:736
	v_add_f64_e32 v[170:171], v[170:171], v[174:175]
	v_fmac_f64_e32 v[176:177], v[6:7], v[138:139]
	v_add_f64_e32 v[168:169], v[180:181], v[178:179]
	;; [unrolled: 18-line block ×3, first 2 shown]
	v_fma_f64 v[178:179], v[4:5], v[150:151], -v[152:153]
	ds_load_b128 v[4:7], v2 offset:1424
	s_wait_loadcnt_dscnt 0xa01
	v_mul_f64_e32 v[176:177], v[166:167], v[164:165]
	v_mul_f64_e32 v[164:165], v[168:169], v[164:165]
	scratch_load_b128 v[150:153], off, off offset:784
	v_add_f64_e32 v[170:171], v[170:171], v[174:175]
	v_add_f64_e32 v[180:181], v[160:161], v[158:159]
	s_wait_loadcnt_dscnt 0xa00
	v_mul_f64_e32 v[174:175], v[4:5], v[148:149]
	v_mul_f64_e32 v[148:149], v[6:7], v[148:149]
	v_fmac_f64_e32 v[176:177], v[168:169], v[162:163]
	v_fma_f64 v[162:163], v[166:167], v[162:163], -v[164:165]
	ds_load_b128 v[158:161], v2 offset:1440
	v_add_f64_e32 v[166:167], v[170:171], v[172:173]
	v_add_f64_e32 v[164:165], v[180:181], v[178:179]
	s_wait_loadcnt_dscnt 0x900
	v_mul_f64_e32 v[168:169], v[158:159], v[10:11]
	v_mul_f64_e32 v[10:11], v[160:161], v[10:11]
	v_fmac_f64_e32 v[174:175], v[6:7], v[146:147]
	v_fma_f64 v[170:171], v[4:5], v[146:147], -v[148:149]
	ds_load_b128 v[4:7], v2 offset:1456
	ds_load_b128 v[146:149], v2 offset:1472
	v_add_f64_e32 v[162:163], v[164:165], v[162:163]
	v_add_f64_e32 v[164:165], v[166:167], v[176:177]
	s_wait_loadcnt_dscnt 0x801
	v_mul_f64_e32 v[166:167], v[4:5], v[14:15]
	v_mul_f64_e32 v[14:15], v[6:7], v[14:15]
	v_fmac_f64_e32 v[168:169], v[160:161], v[8:9]
	v_fma_f64 v[8:9], v[158:159], v[8:9], -v[10:11]
	s_wait_loadcnt_dscnt 0x700
	v_mul_f64_e32 v[160:161], v[146:147], v[18:19]
	v_mul_f64_e32 v[18:19], v[148:149], v[18:19]
	v_add_f64_e32 v[10:11], v[162:163], v[170:171]
	v_add_f64_e32 v[158:159], v[164:165], v[174:175]
	v_fmac_f64_e32 v[166:167], v[6:7], v[12:13]
	v_fma_f64 v[12:13], v[4:5], v[12:13], -v[14:15]
	v_fmac_f64_e32 v[160:161], v[148:149], v[16:17]
	v_fma_f64 v[16:17], v[146:147], v[16:17], -v[18:19]
	v_add_f64_e32 v[14:15], v[10:11], v[8:9]
	v_add_f64_e32 v[158:159], v[158:159], v[168:169]
	ds_load_b128 v[4:7], v2 offset:1488
	ds_load_b128 v[8:11], v2 offset:1504
	s_wait_loadcnt_dscnt 0x601
	v_mul_f64_e32 v[162:163], v[4:5], v[22:23]
	v_mul_f64_e32 v[22:23], v[6:7], v[22:23]
	s_wait_loadcnt_dscnt 0x500
	v_mul_f64_e32 v[18:19], v[8:9], v[128:129]
	v_mul_f64_e32 v[128:129], v[10:11], v[128:129]
	v_add_f64_e32 v[12:13], v[14:15], v[12:13]
	v_add_f64_e32 v[14:15], v[158:159], v[166:167]
	v_fmac_f64_e32 v[162:163], v[6:7], v[20:21]
	v_fma_f64 v[20:21], v[4:5], v[20:21], -v[22:23]
	v_fmac_f64_e32 v[18:19], v[10:11], v[126:127]
	v_fma_f64 v[8:9], v[8:9], v[126:127], -v[128:129]
	v_add_f64_e32 v[16:17], v[12:13], v[16:17]
	v_add_f64_e32 v[22:23], v[14:15], v[160:161]
	ds_load_b128 v[4:7], v2 offset:1520
	ds_load_b128 v[12:15], v2 offset:1536
	s_wait_loadcnt_dscnt 0x401
	v_mul_f64_e32 v[146:147], v[4:5], v[132:133]
	v_mul_f64_e32 v[132:133], v[6:7], v[132:133]
	v_add_f64_e32 v[10:11], v[16:17], v[20:21]
	v_add_f64_e32 v[16:17], v[22:23], v[162:163]
	s_wait_loadcnt_dscnt 0x300
	v_mul_f64_e32 v[20:21], v[12:13], v[136:137]
	v_mul_f64_e32 v[22:23], v[14:15], v[136:137]
	v_fmac_f64_e32 v[146:147], v[6:7], v[130:131]
	v_fma_f64 v[126:127], v[4:5], v[130:131], -v[132:133]
	v_add_f64_e32 v[128:129], v[10:11], v[8:9]
	v_add_f64_e32 v[16:17], v[16:17], v[18:19]
	ds_load_b128 v[4:7], v2 offset:1552
	ds_load_b128 v[8:11], v2 offset:1568
	v_fmac_f64_e32 v[20:21], v[14:15], v[134:135]
	v_fma_f64 v[12:13], v[12:13], v[134:135], -v[22:23]
	s_wait_loadcnt_dscnt 0x201
	v_mul_f64_e32 v[18:19], v[4:5], v[140:141]
	v_mul_f64_e32 v[130:131], v[6:7], v[140:141]
	s_wait_loadcnt_dscnt 0x100
	v_mul_f64_e32 v[22:23], v[8:9], v[144:145]
	v_add_f64_e32 v[14:15], v[128:129], v[126:127]
	v_add_f64_e32 v[16:17], v[16:17], v[146:147]
	v_mul_f64_e32 v[126:127], v[10:11], v[144:145]
	v_fmac_f64_e32 v[18:19], v[6:7], v[138:139]
	v_fma_f64 v[128:129], v[4:5], v[138:139], -v[130:131]
	ds_load_b128 v[4:7], v2 offset:1584
	v_fmac_f64_e32 v[22:23], v[10:11], v[142:143]
	v_add_f64_e32 v[12:13], v[14:15], v[12:13]
	v_add_f64_e32 v[14:15], v[16:17], v[20:21]
	v_fma_f64 v[8:9], v[8:9], v[142:143], -v[126:127]
	s_wait_loadcnt_dscnt 0x0
	v_mul_f64_e32 v[16:17], v[4:5], v[152:153]
	v_mul_f64_e32 v[20:21], v[6:7], v[152:153]
	v_add_f64_e32 v[10:11], v[12:13], v[128:129]
	v_add_f64_e32 v[12:13], v[14:15], v[18:19]
	s_delay_alu instid0(VALU_DEP_4) | instskip(NEXT) | instid1(VALU_DEP_4)
	v_fmac_f64_e32 v[16:17], v[6:7], v[150:151]
	v_fma_f64 v[4:5], v[4:5], v[150:151], -v[20:21]
	s_delay_alu instid0(VALU_DEP_4) | instskip(NEXT) | instid1(VALU_DEP_4)
	v_add_f64_e32 v[6:7], v[10:11], v[8:9]
	v_add_f64_e32 v[8:9], v[12:13], v[22:23]
	s_delay_alu instid0(VALU_DEP_2) | instskip(NEXT) | instid1(VALU_DEP_2)
	v_add_f64_e32 v[4:5], v[6:7], v[4:5]
	v_add_f64_e32 v[6:7], v[8:9], v[16:17]
	s_delay_alu instid0(VALU_DEP_2) | instskip(NEXT) | instid1(VALU_DEP_2)
	v_add_f64_e64 v[4:5], v[154:155], -v[4:5]
	v_add_f64_e64 v[6:7], v[156:157], -v[6:7]
	scratch_store_b128 off, v[4:7], off offset:416
	s_wait_xcnt 0x0
	v_cmpx_lt_u32_e32 25, v1
	s_cbranch_execz .LBB113_263
; %bb.262:
	scratch_load_b128 v[6:9], off, s41
	v_dual_mov_b32 v3, v2 :: v_dual_mov_b32 v4, v2
	v_mov_b32_e32 v5, v2
	scratch_store_b128 off, v[2:5], off offset:400
	s_wait_loadcnt 0x0
	ds_store_b128 v124, v[6:9]
.LBB113_263:
	s_wait_xcnt 0x0
	s_or_b32 exec_lo, exec_lo, s2
	s_wait_storecnt_dscnt 0x0
	s_barrier_signal -1
	s_barrier_wait -1
	s_clause 0x9
	scratch_load_b128 v[4:7], off, off offset:416
	scratch_load_b128 v[8:11], off, off offset:432
	scratch_load_b128 v[12:15], off, off offset:448
	scratch_load_b128 v[16:19], off, off offset:464
	scratch_load_b128 v[20:23], off, off offset:480
	scratch_load_b128 v[126:129], off, off offset:496
	scratch_load_b128 v[130:133], off, off offset:512
	scratch_load_b128 v[134:137], off, off offset:528
	scratch_load_b128 v[138:141], off, off offset:544
	scratch_load_b128 v[142:145], off, off offset:560
	ds_load_b128 v[146:149], v2 offset:1216
	ds_load_b128 v[154:157], v2 offset:1232
	s_clause 0x2
	scratch_load_b128 v[150:153], off, off offset:576
	scratch_load_b128 v[158:161], off, off offset:400
	;; [unrolled: 1-line block ×3, first 2 shown]
	s_mov_b32 s2, exec_lo
	s_wait_loadcnt_dscnt 0xc01
	v_mul_f64_e32 v[166:167], v[148:149], v[6:7]
	v_mul_f64_e32 v[170:171], v[146:147], v[6:7]
	s_wait_loadcnt_dscnt 0xb00
	v_mul_f64_e32 v[172:173], v[154:155], v[10:11]
	v_mul_f64_e32 v[10:11], v[156:157], v[10:11]
	s_delay_alu instid0(VALU_DEP_4) | instskip(NEXT) | instid1(VALU_DEP_4)
	v_fma_f64 v[174:175], v[146:147], v[4:5], -v[166:167]
	v_fmac_f64_e32 v[170:171], v[148:149], v[4:5]
	ds_load_b128 v[4:7], v2 offset:1248
	ds_load_b128 v[146:149], v2 offset:1264
	scratch_load_b128 v[166:169], off, off offset:608
	v_fmac_f64_e32 v[172:173], v[156:157], v[8:9]
	v_fma_f64 v[154:155], v[154:155], v[8:9], -v[10:11]
	scratch_load_b128 v[8:11], off, off offset:624
	s_wait_loadcnt_dscnt 0xc01
	v_mul_f64_e32 v[176:177], v[4:5], v[14:15]
	v_mul_f64_e32 v[14:15], v[6:7], v[14:15]
	v_add_f64_e32 v[156:157], 0, v[174:175]
	v_add_f64_e32 v[170:171], 0, v[170:171]
	s_wait_loadcnt_dscnt 0xb00
	v_mul_f64_e32 v[174:175], v[146:147], v[18:19]
	v_mul_f64_e32 v[18:19], v[148:149], v[18:19]
	v_fmac_f64_e32 v[176:177], v[6:7], v[12:13]
	v_fma_f64 v[178:179], v[4:5], v[12:13], -v[14:15]
	ds_load_b128 v[4:7], v2 offset:1280
	ds_load_b128 v[12:15], v2 offset:1296
	v_add_f64_e32 v[180:181], v[156:157], v[154:155]
	v_add_f64_e32 v[170:171], v[170:171], v[172:173]
	scratch_load_b128 v[154:157], off, off offset:640
	v_fmac_f64_e32 v[174:175], v[148:149], v[16:17]
	v_fma_f64 v[146:147], v[146:147], v[16:17], -v[18:19]
	scratch_load_b128 v[16:19], off, off offset:656
	s_wait_loadcnt_dscnt 0xc01
	v_mul_f64_e32 v[172:173], v[4:5], v[22:23]
	v_mul_f64_e32 v[22:23], v[6:7], v[22:23]
	v_add_f64_e32 v[148:149], v[180:181], v[178:179]
	v_add_f64_e32 v[170:171], v[170:171], v[176:177]
	s_wait_loadcnt_dscnt 0xb00
	v_mul_f64_e32 v[176:177], v[12:13], v[128:129]
	v_mul_f64_e32 v[128:129], v[14:15], v[128:129]
	v_fmac_f64_e32 v[172:173], v[6:7], v[20:21]
	v_fma_f64 v[178:179], v[4:5], v[20:21], -v[22:23]
	ds_load_b128 v[4:7], v2 offset:1312
	ds_load_b128 v[20:23], v2 offset:1328
	v_add_f64_e32 v[180:181], v[148:149], v[146:147]
	v_add_f64_e32 v[170:171], v[170:171], v[174:175]
	scratch_load_b128 v[146:149], off, off offset:672
	s_wait_loadcnt_dscnt 0xb01
	v_mul_f64_e32 v[174:175], v[4:5], v[132:133]
	v_mul_f64_e32 v[132:133], v[6:7], v[132:133]
	v_fmac_f64_e32 v[176:177], v[14:15], v[126:127]
	v_fma_f64 v[126:127], v[12:13], v[126:127], -v[128:129]
	scratch_load_b128 v[12:15], off, off offset:688
	v_add_f64_e32 v[128:129], v[180:181], v[178:179]
	v_add_f64_e32 v[170:171], v[170:171], v[172:173]
	s_wait_loadcnt_dscnt 0xb00
	v_mul_f64_e32 v[172:173], v[20:21], v[136:137]
	v_mul_f64_e32 v[136:137], v[22:23], v[136:137]
	v_fmac_f64_e32 v[174:175], v[6:7], v[130:131]
	v_fma_f64 v[178:179], v[4:5], v[130:131], -v[132:133]
	v_add_f64_e32 v[180:181], v[128:129], v[126:127]
	v_add_f64_e32 v[170:171], v[170:171], v[176:177]
	ds_load_b128 v[4:7], v2 offset:1344
	ds_load_b128 v[126:129], v2 offset:1360
	scratch_load_b128 v[130:133], off, off offset:704
	v_fmac_f64_e32 v[172:173], v[22:23], v[134:135]
	v_fma_f64 v[134:135], v[20:21], v[134:135], -v[136:137]
	scratch_load_b128 v[20:23], off, off offset:720
	s_wait_loadcnt_dscnt 0xc01
	v_mul_f64_e32 v[176:177], v[4:5], v[140:141]
	v_mul_f64_e32 v[140:141], v[6:7], v[140:141]
	v_add_f64_e32 v[136:137], v[180:181], v[178:179]
	v_add_f64_e32 v[170:171], v[170:171], v[174:175]
	s_wait_loadcnt_dscnt 0xb00
	v_mul_f64_e32 v[174:175], v[126:127], v[144:145]
	v_mul_f64_e32 v[144:145], v[128:129], v[144:145]
	v_fmac_f64_e32 v[176:177], v[6:7], v[138:139]
	v_fma_f64 v[178:179], v[4:5], v[138:139], -v[140:141]
	v_add_f64_e32 v[180:181], v[136:137], v[134:135]
	v_add_f64_e32 v[170:171], v[170:171], v[172:173]
	ds_load_b128 v[4:7], v2 offset:1376
	ds_load_b128 v[134:137], v2 offset:1392
	scratch_load_b128 v[138:141], off, off offset:736
	v_fmac_f64_e32 v[174:175], v[128:129], v[142:143]
	v_fma_f64 v[142:143], v[126:127], v[142:143], -v[144:145]
	scratch_load_b128 v[126:129], off, off offset:752
	s_wait_loadcnt_dscnt 0xc01
	v_mul_f64_e32 v[172:173], v[4:5], v[152:153]
	v_mul_f64_e32 v[152:153], v[6:7], v[152:153]
	;; [unrolled: 18-line block ×3, first 2 shown]
	v_add_f64_e32 v[164:165], v[180:181], v[178:179]
	v_add_f64_e32 v[170:171], v[170:171], v[172:173]
	s_wait_loadcnt_dscnt 0xa00
	v_mul_f64_e32 v[172:173], v[142:143], v[10:11]
	v_mul_f64_e32 v[10:11], v[144:145], v[10:11]
	v_fmac_f64_e32 v[174:175], v[6:7], v[166:167]
	v_fma_f64 v[166:167], v[4:5], v[166:167], -v[168:169]
	v_add_f64_e32 v[168:169], v[164:165], v[162:163]
	v_add_f64_e32 v[170:171], v[170:171], v[176:177]
	ds_load_b128 v[4:7], v2 offset:1440
	ds_load_b128 v[162:165], v2 offset:1456
	v_fmac_f64_e32 v[172:173], v[144:145], v[8:9]
	v_fma_f64 v[8:9], v[142:143], v[8:9], -v[10:11]
	s_wait_loadcnt_dscnt 0x901
	v_mul_f64_e32 v[176:177], v[4:5], v[156:157]
	v_mul_f64_e32 v[156:157], v[6:7], v[156:157]
	s_wait_loadcnt_dscnt 0x800
	v_mul_f64_e32 v[144:145], v[162:163], v[18:19]
	v_mul_f64_e32 v[18:19], v[164:165], v[18:19]
	v_add_f64_e32 v[10:11], v[168:169], v[166:167]
	v_add_f64_e32 v[142:143], v[170:171], v[174:175]
	v_fmac_f64_e32 v[176:177], v[6:7], v[154:155]
	v_fma_f64 v[154:155], v[4:5], v[154:155], -v[156:157]
	v_fmac_f64_e32 v[144:145], v[164:165], v[16:17]
	v_fma_f64 v[16:17], v[162:163], v[16:17], -v[18:19]
	v_add_f64_e32 v[156:157], v[10:11], v[8:9]
	v_add_f64_e32 v[142:143], v[142:143], v[172:173]
	ds_load_b128 v[4:7], v2 offset:1472
	ds_load_b128 v[8:11], v2 offset:1488
	s_wait_loadcnt_dscnt 0x701
	v_mul_f64_e32 v[166:167], v[4:5], v[148:149]
	v_mul_f64_e32 v[148:149], v[6:7], v[148:149]
	v_add_f64_e32 v[18:19], v[156:157], v[154:155]
	v_add_f64_e32 v[142:143], v[142:143], v[176:177]
	s_wait_loadcnt_dscnt 0x600
	v_mul_f64_e32 v[154:155], v[8:9], v[14:15]
	v_mul_f64_e32 v[156:157], v[10:11], v[14:15]
	v_fmac_f64_e32 v[166:167], v[6:7], v[146:147]
	v_fma_f64 v[146:147], v[4:5], v[146:147], -v[148:149]
	v_add_f64_e32 v[18:19], v[18:19], v[16:17]
	v_add_f64_e32 v[142:143], v[142:143], v[144:145]
	ds_load_b128 v[4:7], v2 offset:1504
	ds_load_b128 v[14:17], v2 offset:1520
	v_fmac_f64_e32 v[154:155], v[10:11], v[12:13]
	v_fma_f64 v[8:9], v[8:9], v[12:13], -v[156:157]
	s_wait_loadcnt_dscnt 0x501
	v_mul_f64_e32 v[144:145], v[4:5], v[132:133]
	v_mul_f64_e32 v[132:133], v[6:7], v[132:133]
	v_add_f64_e32 v[10:11], v[18:19], v[146:147]
	v_add_f64_e32 v[12:13], v[142:143], v[166:167]
	s_wait_loadcnt_dscnt 0x400
	v_mul_f64_e32 v[18:19], v[14:15], v[22:23]
	v_mul_f64_e32 v[22:23], v[16:17], v[22:23]
	v_fmac_f64_e32 v[144:145], v[6:7], v[130:131]
	v_fma_f64 v[130:131], v[4:5], v[130:131], -v[132:133]
	v_add_f64_e32 v[132:133], v[10:11], v[8:9]
	v_add_f64_e32 v[12:13], v[12:13], v[154:155]
	ds_load_b128 v[4:7], v2 offset:1536
	ds_load_b128 v[8:11], v2 offset:1552
	v_fmac_f64_e32 v[18:19], v[16:17], v[20:21]
	v_fma_f64 v[14:15], v[14:15], v[20:21], -v[22:23]
	s_wait_loadcnt_dscnt 0x301
	v_mul_f64_e32 v[142:143], v[4:5], v[140:141]
	v_mul_f64_e32 v[140:141], v[6:7], v[140:141]
	s_wait_loadcnt_dscnt 0x200
	v_mul_f64_e32 v[20:21], v[8:9], v[128:129]
	v_mul_f64_e32 v[22:23], v[10:11], v[128:129]
	v_add_f64_e32 v[16:17], v[132:133], v[130:131]
	v_add_f64_e32 v[12:13], v[12:13], v[144:145]
	v_fmac_f64_e32 v[142:143], v[6:7], v[138:139]
	v_fma_f64 v[128:129], v[4:5], v[138:139], -v[140:141]
	v_fmac_f64_e32 v[20:21], v[10:11], v[126:127]
	v_fma_f64 v[8:9], v[8:9], v[126:127], -v[22:23]
	v_add_f64_e32 v[16:17], v[16:17], v[14:15]
	v_add_f64_e32 v[18:19], v[12:13], v[18:19]
	ds_load_b128 v[4:7], v2 offset:1568
	ds_load_b128 v[12:15], v2 offset:1584
	s_wait_loadcnt_dscnt 0x101
	v_mul_f64_e32 v[2:3], v[4:5], v[152:153]
	v_mul_f64_e32 v[130:131], v[6:7], v[152:153]
	s_wait_loadcnt_dscnt 0x0
	v_mul_f64_e32 v[22:23], v[14:15], v[136:137]
	v_add_f64_e32 v[10:11], v[16:17], v[128:129]
	v_add_f64_e32 v[16:17], v[18:19], v[142:143]
	v_mul_f64_e32 v[18:19], v[12:13], v[136:137]
	v_fmac_f64_e32 v[2:3], v[6:7], v[150:151]
	v_fma_f64 v[4:5], v[4:5], v[150:151], -v[130:131]
	v_add_f64_e32 v[6:7], v[10:11], v[8:9]
	v_add_f64_e32 v[8:9], v[16:17], v[20:21]
	v_fmac_f64_e32 v[18:19], v[14:15], v[134:135]
	v_fma_f64 v[10:11], v[12:13], v[134:135], -v[22:23]
	s_delay_alu instid0(VALU_DEP_4) | instskip(NEXT) | instid1(VALU_DEP_4)
	v_add_f64_e32 v[4:5], v[6:7], v[4:5]
	v_add_f64_e32 v[2:3], v[8:9], v[2:3]
	s_delay_alu instid0(VALU_DEP_2) | instskip(NEXT) | instid1(VALU_DEP_2)
	v_add_f64_e32 v[4:5], v[4:5], v[10:11]
	v_add_f64_e32 v[6:7], v[2:3], v[18:19]
	s_delay_alu instid0(VALU_DEP_2) | instskip(NEXT) | instid1(VALU_DEP_2)
	v_add_f64_e64 v[2:3], v[158:159], -v[4:5]
	v_add_f64_e64 v[4:5], v[160:161], -v[6:7]
	scratch_store_b128 off, v[2:5], off offset:400
	s_wait_xcnt 0x0
	v_cmpx_lt_u32_e32 24, v1
	s_cbranch_execz .LBB113_265
; %bb.264:
	scratch_load_b128 v[2:5], off, s42
	v_mov_b32_e32 v6, 0
	s_delay_alu instid0(VALU_DEP_1)
	v_dual_mov_b32 v7, v6 :: v_dual_mov_b32 v8, v6
	v_mov_b32_e32 v9, v6
	scratch_store_b128 off, v[6:9], off offset:384
	s_wait_loadcnt 0x0
	ds_store_b128 v124, v[2:5]
.LBB113_265:
	s_wait_xcnt 0x0
	s_or_b32 exec_lo, exec_lo, s2
	s_wait_storecnt_dscnt 0x0
	s_barrier_signal -1
	s_barrier_wait -1
	s_clause 0x9
	scratch_load_b128 v[4:7], off, off offset:400
	scratch_load_b128 v[8:11], off, off offset:416
	;; [unrolled: 1-line block ×10, first 2 shown]
	v_mov_b32_e32 v2, 0
	s_mov_b32 s2, exec_lo
	ds_load_b128 v[146:149], v2 offset:1200
	s_clause 0x2
	scratch_load_b128 v[150:153], off, off offset:560
	scratch_load_b128 v[154:157], off, off offset:384
	;; [unrolled: 1-line block ×3, first 2 shown]
	s_wait_loadcnt_dscnt 0xc00
	v_mul_f64_e32 v[166:167], v[148:149], v[6:7]
	v_mul_f64_e32 v[170:171], v[146:147], v[6:7]
	ds_load_b128 v[158:161], v2 offset:1216
	v_fma_f64 v[174:175], v[146:147], v[4:5], -v[166:167]
	v_fmac_f64_e32 v[170:171], v[148:149], v[4:5]
	ds_load_b128 v[4:7], v2 offset:1232
	s_wait_loadcnt_dscnt 0xb01
	v_mul_f64_e32 v[172:173], v[158:159], v[10:11]
	v_mul_f64_e32 v[10:11], v[160:161], v[10:11]
	scratch_load_b128 v[146:149], off, off offset:592
	ds_load_b128 v[166:169], v2 offset:1248
	s_wait_loadcnt_dscnt 0xb01
	v_mul_f64_e32 v[176:177], v[4:5], v[14:15]
	v_mul_f64_e32 v[14:15], v[6:7], v[14:15]
	v_add_f64_e32 v[170:171], 0, v[170:171]
	v_fmac_f64_e32 v[172:173], v[160:161], v[8:9]
	v_fma_f64 v[158:159], v[158:159], v[8:9], -v[10:11]
	v_add_f64_e32 v[160:161], 0, v[174:175]
	scratch_load_b128 v[8:11], off, off offset:608
	v_fmac_f64_e32 v[176:177], v[6:7], v[12:13]
	v_fma_f64 v[178:179], v[4:5], v[12:13], -v[14:15]
	ds_load_b128 v[4:7], v2 offset:1264
	s_wait_loadcnt_dscnt 0xb01
	v_mul_f64_e32 v[174:175], v[166:167], v[18:19]
	v_mul_f64_e32 v[18:19], v[168:169], v[18:19]
	scratch_load_b128 v[12:15], off, off offset:624
	v_add_f64_e32 v[170:171], v[170:171], v[172:173]
	v_add_f64_e32 v[180:181], v[160:161], v[158:159]
	ds_load_b128 v[158:161], v2 offset:1280
	s_wait_loadcnt_dscnt 0xb01
	v_mul_f64_e32 v[172:173], v[4:5], v[22:23]
	v_mul_f64_e32 v[22:23], v[6:7], v[22:23]
	v_fmac_f64_e32 v[174:175], v[168:169], v[16:17]
	v_fma_f64 v[166:167], v[166:167], v[16:17], -v[18:19]
	scratch_load_b128 v[16:19], off, off offset:640
	v_add_f64_e32 v[170:171], v[170:171], v[176:177]
	v_add_f64_e32 v[168:169], v[180:181], v[178:179]
	v_fmac_f64_e32 v[172:173], v[6:7], v[20:21]
	v_fma_f64 v[178:179], v[4:5], v[20:21], -v[22:23]
	ds_load_b128 v[4:7], v2 offset:1296
	s_wait_loadcnt_dscnt 0xb01
	v_mul_f64_e32 v[176:177], v[158:159], v[128:129]
	v_mul_f64_e32 v[128:129], v[160:161], v[128:129]
	scratch_load_b128 v[20:23], off, off offset:656
	v_add_f64_e32 v[170:171], v[170:171], v[174:175]
	s_wait_loadcnt_dscnt 0xb00
	v_mul_f64_e32 v[174:175], v[4:5], v[132:133]
	v_add_f64_e32 v[180:181], v[168:169], v[166:167]
	v_mul_f64_e32 v[132:133], v[6:7], v[132:133]
	ds_load_b128 v[166:169], v2 offset:1312
	v_fmac_f64_e32 v[176:177], v[160:161], v[126:127]
	v_fma_f64 v[158:159], v[158:159], v[126:127], -v[128:129]
	scratch_load_b128 v[126:129], off, off offset:672
	v_add_f64_e32 v[170:171], v[170:171], v[172:173]
	v_fmac_f64_e32 v[174:175], v[6:7], v[130:131]
	v_add_f64_e32 v[160:161], v[180:181], v[178:179]
	v_fma_f64 v[178:179], v[4:5], v[130:131], -v[132:133]
	ds_load_b128 v[4:7], v2 offset:1328
	s_wait_loadcnt_dscnt 0xb01
	v_mul_f64_e32 v[172:173], v[166:167], v[136:137]
	v_mul_f64_e32 v[136:137], v[168:169], v[136:137]
	scratch_load_b128 v[130:133], off, off offset:688
	v_add_f64_e32 v[170:171], v[170:171], v[176:177]
	s_wait_loadcnt_dscnt 0xb00
	v_mul_f64_e32 v[176:177], v[4:5], v[140:141]
	v_add_f64_e32 v[180:181], v[160:161], v[158:159]
	v_mul_f64_e32 v[140:141], v[6:7], v[140:141]
	ds_load_b128 v[158:161], v2 offset:1344
	v_fmac_f64_e32 v[172:173], v[168:169], v[134:135]
	v_fma_f64 v[166:167], v[166:167], v[134:135], -v[136:137]
	scratch_load_b128 v[134:137], off, off offset:704
	v_add_f64_e32 v[170:171], v[170:171], v[174:175]
	v_fmac_f64_e32 v[176:177], v[6:7], v[138:139]
	v_add_f64_e32 v[168:169], v[180:181], v[178:179]
	;; [unrolled: 18-line block ×3, first 2 shown]
	v_fma_f64 v[178:179], v[4:5], v[150:151], -v[152:153]
	ds_load_b128 v[4:7], v2 offset:1392
	s_wait_loadcnt_dscnt 0xa01
	v_mul_f64_e32 v[176:177], v[166:167], v[164:165]
	v_mul_f64_e32 v[164:165], v[168:169], v[164:165]
	scratch_load_b128 v[150:153], off, off offset:752
	v_add_f64_e32 v[170:171], v[170:171], v[174:175]
	v_add_f64_e32 v[180:181], v[160:161], v[158:159]
	s_wait_loadcnt_dscnt 0xa00
	v_mul_f64_e32 v[174:175], v[4:5], v[148:149]
	v_mul_f64_e32 v[148:149], v[6:7], v[148:149]
	v_fmac_f64_e32 v[176:177], v[168:169], v[162:163]
	v_fma_f64 v[166:167], v[166:167], v[162:163], -v[164:165]
	ds_load_b128 v[158:161], v2 offset:1408
	scratch_load_b128 v[162:165], off, off offset:768
	v_add_f64_e32 v[170:171], v[170:171], v[172:173]
	v_add_f64_e32 v[168:169], v[180:181], v[178:179]
	v_fmac_f64_e32 v[174:175], v[6:7], v[146:147]
	v_fma_f64 v[178:179], v[4:5], v[146:147], -v[148:149]
	ds_load_b128 v[4:7], v2 offset:1424
	s_wait_loadcnt_dscnt 0xa01
	v_mul_f64_e32 v[172:173], v[158:159], v[10:11]
	v_mul_f64_e32 v[10:11], v[160:161], v[10:11]
	scratch_load_b128 v[146:149], off, off offset:784
	v_add_f64_e32 v[170:171], v[170:171], v[176:177]
	s_wait_loadcnt_dscnt 0xa00
	v_mul_f64_e32 v[176:177], v[4:5], v[14:15]
	v_add_f64_e32 v[180:181], v[168:169], v[166:167]
	v_mul_f64_e32 v[14:15], v[6:7], v[14:15]
	ds_load_b128 v[166:169], v2 offset:1440
	v_fmac_f64_e32 v[172:173], v[160:161], v[8:9]
	v_fma_f64 v[8:9], v[158:159], v[8:9], -v[10:11]
	s_wait_loadcnt_dscnt 0x900
	v_mul_f64_e32 v[160:161], v[166:167], v[18:19]
	v_mul_f64_e32 v[18:19], v[168:169], v[18:19]
	v_add_f64_e32 v[158:159], v[170:171], v[174:175]
	v_fmac_f64_e32 v[176:177], v[6:7], v[12:13]
	v_add_f64_e32 v[10:11], v[180:181], v[178:179]
	v_fma_f64 v[12:13], v[4:5], v[12:13], -v[14:15]
	v_fmac_f64_e32 v[160:161], v[168:169], v[16:17]
	v_fma_f64 v[16:17], v[166:167], v[16:17], -v[18:19]
	v_add_f64_e32 v[158:159], v[158:159], v[172:173]
	v_add_f64_e32 v[14:15], v[10:11], v[8:9]
	ds_load_b128 v[4:7], v2 offset:1456
	ds_load_b128 v[8:11], v2 offset:1472
	s_wait_loadcnt_dscnt 0x801
	v_mul_f64_e32 v[170:171], v[4:5], v[22:23]
	v_mul_f64_e32 v[22:23], v[6:7], v[22:23]
	s_wait_loadcnt_dscnt 0x700
	v_mul_f64_e32 v[18:19], v[8:9], v[128:129]
	v_mul_f64_e32 v[128:129], v[10:11], v[128:129]
	v_add_f64_e32 v[12:13], v[14:15], v[12:13]
	v_add_f64_e32 v[14:15], v[158:159], v[176:177]
	v_fmac_f64_e32 v[170:171], v[6:7], v[20:21]
	v_fma_f64 v[20:21], v[4:5], v[20:21], -v[22:23]
	v_fmac_f64_e32 v[18:19], v[10:11], v[126:127]
	v_fma_f64 v[8:9], v[8:9], v[126:127], -v[128:129]
	v_add_f64_e32 v[16:17], v[12:13], v[16:17]
	v_add_f64_e32 v[22:23], v[14:15], v[160:161]
	ds_load_b128 v[4:7], v2 offset:1488
	ds_load_b128 v[12:15], v2 offset:1504
	s_wait_loadcnt_dscnt 0x601
	v_mul_f64_e32 v[158:159], v[4:5], v[132:133]
	v_mul_f64_e32 v[132:133], v[6:7], v[132:133]
	v_add_f64_e32 v[10:11], v[16:17], v[20:21]
	v_add_f64_e32 v[16:17], v[22:23], v[170:171]
	s_wait_loadcnt_dscnt 0x500
	v_mul_f64_e32 v[20:21], v[12:13], v[136:137]
	v_mul_f64_e32 v[22:23], v[14:15], v[136:137]
	v_fmac_f64_e32 v[158:159], v[6:7], v[130:131]
	v_fma_f64 v[126:127], v[4:5], v[130:131], -v[132:133]
	v_add_f64_e32 v[128:129], v[10:11], v[8:9]
	v_add_f64_e32 v[16:17], v[16:17], v[18:19]
	ds_load_b128 v[4:7], v2 offset:1520
	ds_load_b128 v[8:11], v2 offset:1536
	v_fmac_f64_e32 v[20:21], v[14:15], v[134:135]
	v_fma_f64 v[12:13], v[12:13], v[134:135], -v[22:23]
	s_wait_loadcnt_dscnt 0x401
	v_mul_f64_e32 v[18:19], v[4:5], v[140:141]
	v_mul_f64_e32 v[130:131], v[6:7], v[140:141]
	s_wait_loadcnt_dscnt 0x300
	v_mul_f64_e32 v[22:23], v[8:9], v[144:145]
	v_add_f64_e32 v[14:15], v[128:129], v[126:127]
	v_add_f64_e32 v[16:17], v[16:17], v[158:159]
	v_mul_f64_e32 v[126:127], v[10:11], v[144:145]
	v_fmac_f64_e32 v[18:19], v[6:7], v[138:139]
	v_fma_f64 v[128:129], v[4:5], v[138:139], -v[130:131]
	v_fmac_f64_e32 v[22:23], v[10:11], v[142:143]
	v_add_f64_e32 v[130:131], v[14:15], v[12:13]
	v_add_f64_e32 v[16:17], v[16:17], v[20:21]
	ds_load_b128 v[4:7], v2 offset:1552
	ds_load_b128 v[12:15], v2 offset:1568
	v_fma_f64 v[8:9], v[8:9], v[142:143], -v[126:127]
	s_wait_loadcnt_dscnt 0x201
	v_mul_f64_e32 v[20:21], v[4:5], v[152:153]
	v_mul_f64_e32 v[132:133], v[6:7], v[152:153]
	s_wait_loadcnt_dscnt 0x100
	v_mul_f64_e32 v[126:127], v[14:15], v[164:165]
	v_add_f64_e32 v[10:11], v[130:131], v[128:129]
	v_add_f64_e32 v[16:17], v[16:17], v[18:19]
	v_mul_f64_e32 v[18:19], v[12:13], v[164:165]
	v_fmac_f64_e32 v[20:21], v[6:7], v[150:151]
	v_fma_f64 v[128:129], v[4:5], v[150:151], -v[132:133]
	ds_load_b128 v[4:7], v2 offset:1584
	v_fma_f64 v[12:13], v[12:13], v[162:163], -v[126:127]
	v_add_f64_e32 v[8:9], v[10:11], v[8:9]
	v_add_f64_e32 v[10:11], v[16:17], v[22:23]
	v_fmac_f64_e32 v[18:19], v[14:15], v[162:163]
	s_wait_loadcnt_dscnt 0x0
	v_mul_f64_e32 v[16:17], v[4:5], v[148:149]
	v_mul_f64_e32 v[22:23], v[6:7], v[148:149]
	v_add_f64_e32 v[8:9], v[8:9], v[128:129]
	v_add_f64_e32 v[10:11], v[10:11], v[20:21]
	s_delay_alu instid0(VALU_DEP_4) | instskip(NEXT) | instid1(VALU_DEP_4)
	v_fmac_f64_e32 v[16:17], v[6:7], v[146:147]
	v_fma_f64 v[4:5], v[4:5], v[146:147], -v[22:23]
	s_delay_alu instid0(VALU_DEP_4) | instskip(NEXT) | instid1(VALU_DEP_4)
	v_add_f64_e32 v[6:7], v[8:9], v[12:13]
	v_add_f64_e32 v[8:9], v[10:11], v[18:19]
	s_delay_alu instid0(VALU_DEP_2) | instskip(NEXT) | instid1(VALU_DEP_2)
	v_add_f64_e32 v[4:5], v[6:7], v[4:5]
	v_add_f64_e32 v[6:7], v[8:9], v[16:17]
	s_delay_alu instid0(VALU_DEP_2) | instskip(NEXT) | instid1(VALU_DEP_2)
	v_add_f64_e64 v[4:5], v[154:155], -v[4:5]
	v_add_f64_e64 v[6:7], v[156:157], -v[6:7]
	scratch_store_b128 off, v[4:7], off offset:384
	s_wait_xcnt 0x0
	v_cmpx_lt_u32_e32 23, v1
	s_cbranch_execz .LBB113_267
; %bb.266:
	scratch_load_b128 v[6:9], off, s43
	v_dual_mov_b32 v3, v2 :: v_dual_mov_b32 v4, v2
	v_mov_b32_e32 v5, v2
	scratch_store_b128 off, v[2:5], off offset:368
	s_wait_loadcnt 0x0
	ds_store_b128 v124, v[6:9]
.LBB113_267:
	s_wait_xcnt 0x0
	s_or_b32 exec_lo, exec_lo, s2
	s_wait_storecnt_dscnt 0x0
	s_barrier_signal -1
	s_barrier_wait -1
	s_clause 0x9
	scratch_load_b128 v[4:7], off, off offset:384
	scratch_load_b128 v[8:11], off, off offset:400
	;; [unrolled: 1-line block ×10, first 2 shown]
	ds_load_b128 v[146:149], v2 offset:1184
	ds_load_b128 v[154:157], v2 offset:1200
	s_clause 0x2
	scratch_load_b128 v[150:153], off, off offset:544
	scratch_load_b128 v[158:161], off, off offset:368
	;; [unrolled: 1-line block ×3, first 2 shown]
	s_mov_b32 s2, exec_lo
	s_wait_loadcnt_dscnt 0xc01
	v_mul_f64_e32 v[166:167], v[148:149], v[6:7]
	v_mul_f64_e32 v[170:171], v[146:147], v[6:7]
	s_wait_loadcnt_dscnt 0xb00
	v_mul_f64_e32 v[172:173], v[154:155], v[10:11]
	v_mul_f64_e32 v[10:11], v[156:157], v[10:11]
	s_delay_alu instid0(VALU_DEP_4) | instskip(NEXT) | instid1(VALU_DEP_4)
	v_fma_f64 v[174:175], v[146:147], v[4:5], -v[166:167]
	v_fmac_f64_e32 v[170:171], v[148:149], v[4:5]
	ds_load_b128 v[4:7], v2 offset:1216
	ds_load_b128 v[146:149], v2 offset:1232
	scratch_load_b128 v[166:169], off, off offset:576
	v_fmac_f64_e32 v[172:173], v[156:157], v[8:9]
	v_fma_f64 v[154:155], v[154:155], v[8:9], -v[10:11]
	scratch_load_b128 v[8:11], off, off offset:592
	s_wait_loadcnt_dscnt 0xc01
	v_mul_f64_e32 v[176:177], v[4:5], v[14:15]
	v_mul_f64_e32 v[14:15], v[6:7], v[14:15]
	v_add_f64_e32 v[156:157], 0, v[174:175]
	v_add_f64_e32 v[170:171], 0, v[170:171]
	s_wait_loadcnt_dscnt 0xb00
	v_mul_f64_e32 v[174:175], v[146:147], v[18:19]
	v_mul_f64_e32 v[18:19], v[148:149], v[18:19]
	v_fmac_f64_e32 v[176:177], v[6:7], v[12:13]
	v_fma_f64 v[178:179], v[4:5], v[12:13], -v[14:15]
	ds_load_b128 v[4:7], v2 offset:1248
	ds_load_b128 v[12:15], v2 offset:1264
	v_add_f64_e32 v[180:181], v[156:157], v[154:155]
	v_add_f64_e32 v[170:171], v[170:171], v[172:173]
	scratch_load_b128 v[154:157], off, off offset:608
	v_fmac_f64_e32 v[174:175], v[148:149], v[16:17]
	v_fma_f64 v[146:147], v[146:147], v[16:17], -v[18:19]
	scratch_load_b128 v[16:19], off, off offset:624
	s_wait_loadcnt_dscnt 0xc01
	v_mul_f64_e32 v[172:173], v[4:5], v[22:23]
	v_mul_f64_e32 v[22:23], v[6:7], v[22:23]
	v_add_f64_e32 v[148:149], v[180:181], v[178:179]
	v_add_f64_e32 v[170:171], v[170:171], v[176:177]
	s_wait_loadcnt_dscnt 0xb00
	v_mul_f64_e32 v[176:177], v[12:13], v[128:129]
	v_mul_f64_e32 v[128:129], v[14:15], v[128:129]
	v_fmac_f64_e32 v[172:173], v[6:7], v[20:21]
	v_fma_f64 v[178:179], v[4:5], v[20:21], -v[22:23]
	ds_load_b128 v[4:7], v2 offset:1280
	ds_load_b128 v[20:23], v2 offset:1296
	v_add_f64_e32 v[180:181], v[148:149], v[146:147]
	v_add_f64_e32 v[170:171], v[170:171], v[174:175]
	scratch_load_b128 v[146:149], off, off offset:640
	s_wait_loadcnt_dscnt 0xb01
	v_mul_f64_e32 v[174:175], v[4:5], v[132:133]
	v_mul_f64_e32 v[132:133], v[6:7], v[132:133]
	v_fmac_f64_e32 v[176:177], v[14:15], v[126:127]
	v_fma_f64 v[126:127], v[12:13], v[126:127], -v[128:129]
	scratch_load_b128 v[12:15], off, off offset:656
	v_add_f64_e32 v[128:129], v[180:181], v[178:179]
	v_add_f64_e32 v[170:171], v[170:171], v[172:173]
	s_wait_loadcnt_dscnt 0xb00
	v_mul_f64_e32 v[172:173], v[20:21], v[136:137]
	v_mul_f64_e32 v[136:137], v[22:23], v[136:137]
	v_fmac_f64_e32 v[174:175], v[6:7], v[130:131]
	v_fma_f64 v[178:179], v[4:5], v[130:131], -v[132:133]
	v_add_f64_e32 v[180:181], v[128:129], v[126:127]
	v_add_f64_e32 v[170:171], v[170:171], v[176:177]
	ds_load_b128 v[4:7], v2 offset:1312
	ds_load_b128 v[126:129], v2 offset:1328
	scratch_load_b128 v[130:133], off, off offset:672
	v_fmac_f64_e32 v[172:173], v[22:23], v[134:135]
	v_fma_f64 v[134:135], v[20:21], v[134:135], -v[136:137]
	scratch_load_b128 v[20:23], off, off offset:688
	s_wait_loadcnt_dscnt 0xc01
	v_mul_f64_e32 v[176:177], v[4:5], v[140:141]
	v_mul_f64_e32 v[140:141], v[6:7], v[140:141]
	v_add_f64_e32 v[136:137], v[180:181], v[178:179]
	v_add_f64_e32 v[170:171], v[170:171], v[174:175]
	s_wait_loadcnt_dscnt 0xb00
	v_mul_f64_e32 v[174:175], v[126:127], v[144:145]
	v_mul_f64_e32 v[144:145], v[128:129], v[144:145]
	v_fmac_f64_e32 v[176:177], v[6:7], v[138:139]
	v_fma_f64 v[178:179], v[4:5], v[138:139], -v[140:141]
	v_add_f64_e32 v[180:181], v[136:137], v[134:135]
	v_add_f64_e32 v[170:171], v[170:171], v[172:173]
	ds_load_b128 v[4:7], v2 offset:1344
	ds_load_b128 v[134:137], v2 offset:1360
	scratch_load_b128 v[138:141], off, off offset:704
	v_fmac_f64_e32 v[174:175], v[128:129], v[142:143]
	v_fma_f64 v[142:143], v[126:127], v[142:143], -v[144:145]
	scratch_load_b128 v[126:129], off, off offset:720
	s_wait_loadcnt_dscnt 0xc01
	v_mul_f64_e32 v[172:173], v[4:5], v[152:153]
	v_mul_f64_e32 v[152:153], v[6:7], v[152:153]
	;; [unrolled: 18-line block ×4, first 2 shown]
	v_add_f64_e32 v[144:145], v[180:181], v[178:179]
	v_add_f64_e32 v[170:171], v[170:171], v[174:175]
	s_wait_loadcnt_dscnt 0xa00
	v_mul_f64_e32 v[174:175], v[162:163], v[18:19]
	v_mul_f64_e32 v[18:19], v[164:165], v[18:19]
	v_fmac_f64_e32 v[176:177], v[6:7], v[154:155]
	v_fma_f64 v[154:155], v[4:5], v[154:155], -v[156:157]
	v_add_f64_e32 v[156:157], v[144:145], v[142:143]
	v_add_f64_e32 v[170:171], v[170:171], v[172:173]
	ds_load_b128 v[4:7], v2 offset:1440
	ds_load_b128 v[142:145], v2 offset:1456
	v_fmac_f64_e32 v[174:175], v[164:165], v[16:17]
	v_fma_f64 v[16:17], v[162:163], v[16:17], -v[18:19]
	s_wait_loadcnt_dscnt 0x901
	v_mul_f64_e32 v[172:173], v[4:5], v[148:149]
	v_mul_f64_e32 v[148:149], v[6:7], v[148:149]
	s_wait_loadcnt_dscnt 0x800
	v_mul_f64_e32 v[162:163], v[144:145], v[14:15]
	v_add_f64_e32 v[18:19], v[156:157], v[154:155]
	v_add_f64_e32 v[154:155], v[170:171], v[176:177]
	v_mul_f64_e32 v[156:157], v[142:143], v[14:15]
	v_fmac_f64_e32 v[172:173], v[6:7], v[146:147]
	v_fma_f64 v[146:147], v[4:5], v[146:147], -v[148:149]
	v_add_f64_e32 v[18:19], v[18:19], v[16:17]
	v_add_f64_e32 v[148:149], v[154:155], v[174:175]
	ds_load_b128 v[4:7], v2 offset:1472
	ds_load_b128 v[14:17], v2 offset:1488
	v_fmac_f64_e32 v[156:157], v[144:145], v[12:13]
	v_fma_f64 v[12:13], v[142:143], v[12:13], -v[162:163]
	s_wait_loadcnt_dscnt 0x701
	v_mul_f64_e32 v[154:155], v[4:5], v[132:133]
	v_mul_f64_e32 v[132:133], v[6:7], v[132:133]
	s_wait_loadcnt_dscnt 0x600
	v_mul_f64_e32 v[144:145], v[14:15], v[22:23]
	v_mul_f64_e32 v[22:23], v[16:17], v[22:23]
	v_add_f64_e32 v[18:19], v[18:19], v[146:147]
	v_add_f64_e32 v[142:143], v[148:149], v[172:173]
	v_fmac_f64_e32 v[154:155], v[6:7], v[130:131]
	v_fma_f64 v[146:147], v[4:5], v[130:131], -v[132:133]
	ds_load_b128 v[4:7], v2 offset:1504
	ds_load_b128 v[130:133], v2 offset:1520
	v_fmac_f64_e32 v[144:145], v[16:17], v[20:21]
	v_fma_f64 v[14:15], v[14:15], v[20:21], -v[22:23]
	v_add_f64_e32 v[12:13], v[18:19], v[12:13]
	v_add_f64_e32 v[18:19], v[142:143], v[156:157]
	s_wait_loadcnt_dscnt 0x501
	v_mul_f64_e32 v[142:143], v[4:5], v[140:141]
	v_mul_f64_e32 v[140:141], v[6:7], v[140:141]
	s_wait_loadcnt_dscnt 0x400
	v_mul_f64_e32 v[20:21], v[132:133], v[128:129]
	v_add_f64_e32 v[12:13], v[12:13], v[146:147]
	v_add_f64_e32 v[16:17], v[18:19], v[154:155]
	v_mul_f64_e32 v[18:19], v[130:131], v[128:129]
	v_fmac_f64_e32 v[142:143], v[6:7], v[138:139]
	v_fma_f64 v[22:23], v[4:5], v[138:139], -v[140:141]
	v_fma_f64 v[20:21], v[130:131], v[126:127], -v[20:21]
	v_add_f64_e32 v[128:129], v[12:13], v[14:15]
	v_add_f64_e32 v[16:17], v[16:17], v[144:145]
	ds_load_b128 v[4:7], v2 offset:1536
	ds_load_b128 v[12:15], v2 offset:1552
	v_fmac_f64_e32 v[18:19], v[132:133], v[126:127]
	s_wait_loadcnt_dscnt 0x301
	v_mul_f64_e32 v[138:139], v[4:5], v[152:153]
	v_mul_f64_e32 v[140:141], v[6:7], v[152:153]
	s_wait_loadcnt_dscnt 0x200
	v_mul_f64_e32 v[126:127], v[12:13], v[136:137]
	v_add_f64_e32 v[22:23], v[128:129], v[22:23]
	v_add_f64_e32 v[16:17], v[16:17], v[142:143]
	v_mul_f64_e32 v[128:129], v[14:15], v[136:137]
	v_fmac_f64_e32 v[138:139], v[6:7], v[150:151]
	v_fma_f64 v[130:131], v[4:5], v[150:151], -v[140:141]
	v_fmac_f64_e32 v[126:127], v[14:15], v[134:135]
	v_add_f64_e32 v[20:21], v[22:23], v[20:21]
	v_add_f64_e32 v[22:23], v[16:17], v[18:19]
	ds_load_b128 v[4:7], v2 offset:1568
	ds_load_b128 v[16:19], v2 offset:1584
	v_fma_f64 v[12:13], v[12:13], v[134:135], -v[128:129]
	s_wait_loadcnt_dscnt 0x101
	v_mul_f64_e32 v[2:3], v[4:5], v[168:169]
	v_mul_f64_e32 v[132:133], v[6:7], v[168:169]
	v_add_f64_e32 v[14:15], v[20:21], v[130:131]
	v_add_f64_e32 v[20:21], v[22:23], v[138:139]
	s_wait_loadcnt_dscnt 0x0
	v_mul_f64_e32 v[22:23], v[16:17], v[10:11]
	v_mul_f64_e32 v[10:11], v[18:19], v[10:11]
	v_fmac_f64_e32 v[2:3], v[6:7], v[166:167]
	v_fma_f64 v[4:5], v[4:5], v[166:167], -v[132:133]
	v_add_f64_e32 v[6:7], v[14:15], v[12:13]
	v_add_f64_e32 v[12:13], v[20:21], v[126:127]
	v_fmac_f64_e32 v[22:23], v[18:19], v[8:9]
	v_fma_f64 v[8:9], v[16:17], v[8:9], -v[10:11]
	s_delay_alu instid0(VALU_DEP_4) | instskip(NEXT) | instid1(VALU_DEP_4)
	v_add_f64_e32 v[4:5], v[6:7], v[4:5]
	v_add_f64_e32 v[2:3], v[12:13], v[2:3]
	s_delay_alu instid0(VALU_DEP_2) | instskip(NEXT) | instid1(VALU_DEP_2)
	v_add_f64_e32 v[4:5], v[4:5], v[8:9]
	v_add_f64_e32 v[6:7], v[2:3], v[22:23]
	s_delay_alu instid0(VALU_DEP_2) | instskip(NEXT) | instid1(VALU_DEP_2)
	v_add_f64_e64 v[2:3], v[158:159], -v[4:5]
	v_add_f64_e64 v[4:5], v[160:161], -v[6:7]
	scratch_store_b128 off, v[2:5], off offset:368
	s_wait_xcnt 0x0
	v_cmpx_lt_u32_e32 22, v1
	s_cbranch_execz .LBB113_269
; %bb.268:
	scratch_load_b128 v[2:5], off, s44
	v_mov_b32_e32 v6, 0
	s_delay_alu instid0(VALU_DEP_1)
	v_dual_mov_b32 v7, v6 :: v_dual_mov_b32 v8, v6
	v_mov_b32_e32 v9, v6
	scratch_store_b128 off, v[6:9], off offset:352
	s_wait_loadcnt 0x0
	ds_store_b128 v124, v[2:5]
.LBB113_269:
	s_wait_xcnt 0x0
	s_or_b32 exec_lo, exec_lo, s2
	s_wait_storecnt_dscnt 0x0
	s_barrier_signal -1
	s_barrier_wait -1
	s_clause 0x9
	scratch_load_b128 v[4:7], off, off offset:368
	scratch_load_b128 v[8:11], off, off offset:384
	;; [unrolled: 1-line block ×10, first 2 shown]
	v_mov_b32_e32 v2, 0
	s_mov_b32 s2, exec_lo
	ds_load_b128 v[146:149], v2 offset:1168
	s_clause 0x2
	scratch_load_b128 v[150:153], off, off offset:528
	scratch_load_b128 v[154:157], off, off offset:352
	;; [unrolled: 1-line block ×3, first 2 shown]
	s_wait_loadcnt_dscnt 0xc00
	v_mul_f64_e32 v[166:167], v[148:149], v[6:7]
	v_mul_f64_e32 v[170:171], v[146:147], v[6:7]
	ds_load_b128 v[158:161], v2 offset:1184
	v_fma_f64 v[174:175], v[146:147], v[4:5], -v[166:167]
	v_fmac_f64_e32 v[170:171], v[148:149], v[4:5]
	ds_load_b128 v[4:7], v2 offset:1200
	s_wait_loadcnt_dscnt 0xb01
	v_mul_f64_e32 v[172:173], v[158:159], v[10:11]
	v_mul_f64_e32 v[10:11], v[160:161], v[10:11]
	scratch_load_b128 v[146:149], off, off offset:560
	ds_load_b128 v[166:169], v2 offset:1216
	s_wait_loadcnt_dscnt 0xb01
	v_mul_f64_e32 v[176:177], v[4:5], v[14:15]
	v_mul_f64_e32 v[14:15], v[6:7], v[14:15]
	v_add_f64_e32 v[170:171], 0, v[170:171]
	v_fmac_f64_e32 v[172:173], v[160:161], v[8:9]
	v_fma_f64 v[158:159], v[158:159], v[8:9], -v[10:11]
	v_add_f64_e32 v[160:161], 0, v[174:175]
	scratch_load_b128 v[8:11], off, off offset:576
	v_fmac_f64_e32 v[176:177], v[6:7], v[12:13]
	v_fma_f64 v[178:179], v[4:5], v[12:13], -v[14:15]
	ds_load_b128 v[4:7], v2 offset:1232
	s_wait_loadcnt_dscnt 0xb01
	v_mul_f64_e32 v[174:175], v[166:167], v[18:19]
	v_mul_f64_e32 v[18:19], v[168:169], v[18:19]
	scratch_load_b128 v[12:15], off, off offset:592
	v_add_f64_e32 v[170:171], v[170:171], v[172:173]
	v_add_f64_e32 v[180:181], v[160:161], v[158:159]
	ds_load_b128 v[158:161], v2 offset:1248
	s_wait_loadcnt_dscnt 0xb01
	v_mul_f64_e32 v[172:173], v[4:5], v[22:23]
	v_mul_f64_e32 v[22:23], v[6:7], v[22:23]
	v_fmac_f64_e32 v[174:175], v[168:169], v[16:17]
	v_fma_f64 v[166:167], v[166:167], v[16:17], -v[18:19]
	scratch_load_b128 v[16:19], off, off offset:608
	v_add_f64_e32 v[170:171], v[170:171], v[176:177]
	v_add_f64_e32 v[168:169], v[180:181], v[178:179]
	v_fmac_f64_e32 v[172:173], v[6:7], v[20:21]
	v_fma_f64 v[178:179], v[4:5], v[20:21], -v[22:23]
	ds_load_b128 v[4:7], v2 offset:1264
	s_wait_loadcnt_dscnt 0xb01
	v_mul_f64_e32 v[176:177], v[158:159], v[128:129]
	v_mul_f64_e32 v[128:129], v[160:161], v[128:129]
	scratch_load_b128 v[20:23], off, off offset:624
	v_add_f64_e32 v[170:171], v[170:171], v[174:175]
	s_wait_loadcnt_dscnt 0xb00
	v_mul_f64_e32 v[174:175], v[4:5], v[132:133]
	v_add_f64_e32 v[180:181], v[168:169], v[166:167]
	v_mul_f64_e32 v[132:133], v[6:7], v[132:133]
	ds_load_b128 v[166:169], v2 offset:1280
	v_fmac_f64_e32 v[176:177], v[160:161], v[126:127]
	v_fma_f64 v[158:159], v[158:159], v[126:127], -v[128:129]
	scratch_load_b128 v[126:129], off, off offset:640
	v_add_f64_e32 v[170:171], v[170:171], v[172:173]
	v_fmac_f64_e32 v[174:175], v[6:7], v[130:131]
	v_add_f64_e32 v[160:161], v[180:181], v[178:179]
	v_fma_f64 v[178:179], v[4:5], v[130:131], -v[132:133]
	ds_load_b128 v[4:7], v2 offset:1296
	s_wait_loadcnt_dscnt 0xb01
	v_mul_f64_e32 v[172:173], v[166:167], v[136:137]
	v_mul_f64_e32 v[136:137], v[168:169], v[136:137]
	scratch_load_b128 v[130:133], off, off offset:656
	v_add_f64_e32 v[170:171], v[170:171], v[176:177]
	s_wait_loadcnt_dscnt 0xb00
	v_mul_f64_e32 v[176:177], v[4:5], v[140:141]
	v_add_f64_e32 v[180:181], v[160:161], v[158:159]
	v_mul_f64_e32 v[140:141], v[6:7], v[140:141]
	ds_load_b128 v[158:161], v2 offset:1312
	v_fmac_f64_e32 v[172:173], v[168:169], v[134:135]
	v_fma_f64 v[166:167], v[166:167], v[134:135], -v[136:137]
	scratch_load_b128 v[134:137], off, off offset:672
	v_add_f64_e32 v[170:171], v[170:171], v[174:175]
	v_fmac_f64_e32 v[176:177], v[6:7], v[138:139]
	v_add_f64_e32 v[168:169], v[180:181], v[178:179]
	;; [unrolled: 18-line block ×3, first 2 shown]
	v_fma_f64 v[178:179], v[4:5], v[150:151], -v[152:153]
	ds_load_b128 v[4:7], v2 offset:1360
	s_wait_loadcnt_dscnt 0xa01
	v_mul_f64_e32 v[176:177], v[166:167], v[164:165]
	v_mul_f64_e32 v[164:165], v[168:169], v[164:165]
	scratch_load_b128 v[150:153], off, off offset:720
	v_add_f64_e32 v[170:171], v[170:171], v[174:175]
	v_add_f64_e32 v[180:181], v[160:161], v[158:159]
	s_wait_loadcnt_dscnt 0xa00
	v_mul_f64_e32 v[174:175], v[4:5], v[148:149]
	v_mul_f64_e32 v[148:149], v[6:7], v[148:149]
	v_fmac_f64_e32 v[176:177], v[168:169], v[162:163]
	v_fma_f64 v[166:167], v[166:167], v[162:163], -v[164:165]
	ds_load_b128 v[158:161], v2 offset:1376
	scratch_load_b128 v[162:165], off, off offset:736
	v_add_f64_e32 v[170:171], v[170:171], v[172:173]
	v_add_f64_e32 v[168:169], v[180:181], v[178:179]
	v_fmac_f64_e32 v[174:175], v[6:7], v[146:147]
	v_fma_f64 v[178:179], v[4:5], v[146:147], -v[148:149]
	ds_load_b128 v[4:7], v2 offset:1392
	s_wait_loadcnt_dscnt 0xa01
	v_mul_f64_e32 v[172:173], v[158:159], v[10:11]
	v_mul_f64_e32 v[10:11], v[160:161], v[10:11]
	scratch_load_b128 v[146:149], off, off offset:752
	v_add_f64_e32 v[170:171], v[170:171], v[176:177]
	s_wait_loadcnt_dscnt 0xa00
	v_mul_f64_e32 v[176:177], v[4:5], v[14:15]
	v_add_f64_e32 v[180:181], v[168:169], v[166:167]
	v_mul_f64_e32 v[14:15], v[6:7], v[14:15]
	ds_load_b128 v[166:169], v2 offset:1408
	v_fmac_f64_e32 v[172:173], v[160:161], v[8:9]
	v_fma_f64 v[158:159], v[158:159], v[8:9], -v[10:11]
	scratch_load_b128 v[8:11], off, off offset:768
	v_add_f64_e32 v[170:171], v[170:171], v[174:175]
	v_fmac_f64_e32 v[176:177], v[6:7], v[12:13]
	v_add_f64_e32 v[160:161], v[180:181], v[178:179]
	v_fma_f64 v[178:179], v[4:5], v[12:13], -v[14:15]
	ds_load_b128 v[4:7], v2 offset:1424
	s_wait_loadcnt_dscnt 0xa01
	v_mul_f64_e32 v[174:175], v[166:167], v[18:19]
	v_mul_f64_e32 v[18:19], v[168:169], v[18:19]
	scratch_load_b128 v[12:15], off, off offset:784
	v_add_f64_e32 v[170:171], v[170:171], v[172:173]
	s_wait_loadcnt_dscnt 0xa00
	v_mul_f64_e32 v[172:173], v[4:5], v[22:23]
	v_add_f64_e32 v[180:181], v[160:161], v[158:159]
	v_mul_f64_e32 v[22:23], v[6:7], v[22:23]
	ds_load_b128 v[158:161], v2 offset:1440
	v_fmac_f64_e32 v[174:175], v[168:169], v[16:17]
	v_fma_f64 v[16:17], v[166:167], v[16:17], -v[18:19]
	s_wait_loadcnt_dscnt 0x900
	v_mul_f64_e32 v[168:169], v[158:159], v[128:129]
	v_mul_f64_e32 v[128:129], v[160:161], v[128:129]
	v_add_f64_e32 v[166:167], v[170:171], v[176:177]
	v_fmac_f64_e32 v[172:173], v[6:7], v[20:21]
	v_add_f64_e32 v[18:19], v[180:181], v[178:179]
	v_fma_f64 v[20:21], v[4:5], v[20:21], -v[22:23]
	v_fmac_f64_e32 v[168:169], v[160:161], v[126:127]
	v_fma_f64 v[126:127], v[158:159], v[126:127], -v[128:129]
	v_add_f64_e32 v[166:167], v[166:167], v[174:175]
	v_add_f64_e32 v[22:23], v[18:19], v[16:17]
	ds_load_b128 v[4:7], v2 offset:1456
	ds_load_b128 v[16:19], v2 offset:1472
	s_wait_loadcnt_dscnt 0x801
	v_mul_f64_e32 v[170:171], v[4:5], v[132:133]
	v_mul_f64_e32 v[132:133], v[6:7], v[132:133]
	s_wait_loadcnt_dscnt 0x700
	v_mul_f64_e32 v[128:129], v[16:17], v[136:137]
	v_mul_f64_e32 v[136:137], v[18:19], v[136:137]
	v_add_f64_e32 v[20:21], v[22:23], v[20:21]
	v_add_f64_e32 v[22:23], v[166:167], v[172:173]
	v_fmac_f64_e32 v[170:171], v[6:7], v[130:131]
	v_fma_f64 v[130:131], v[4:5], v[130:131], -v[132:133]
	v_fmac_f64_e32 v[128:129], v[18:19], v[134:135]
	v_fma_f64 v[16:17], v[16:17], v[134:135], -v[136:137]
	v_add_f64_e32 v[126:127], v[20:21], v[126:127]
	v_add_f64_e32 v[132:133], v[22:23], v[168:169]
	ds_load_b128 v[4:7], v2 offset:1488
	ds_load_b128 v[20:23], v2 offset:1504
	s_wait_loadcnt_dscnt 0x601
	v_mul_f64_e32 v[158:159], v[4:5], v[140:141]
	v_mul_f64_e32 v[140:141], v[6:7], v[140:141]
	v_add_f64_e32 v[18:19], v[126:127], v[130:131]
	v_add_f64_e32 v[126:127], v[132:133], v[170:171]
	s_wait_loadcnt_dscnt 0x500
	v_mul_f64_e32 v[130:131], v[20:21], v[144:145]
	v_mul_f64_e32 v[132:133], v[22:23], v[144:145]
	v_fmac_f64_e32 v[158:159], v[6:7], v[138:139]
	v_fma_f64 v[134:135], v[4:5], v[138:139], -v[140:141]
	v_add_f64_e32 v[136:137], v[18:19], v[16:17]
	v_add_f64_e32 v[126:127], v[126:127], v[128:129]
	ds_load_b128 v[4:7], v2 offset:1520
	ds_load_b128 v[16:19], v2 offset:1536
	v_fmac_f64_e32 v[130:131], v[22:23], v[142:143]
	v_fma_f64 v[20:21], v[20:21], v[142:143], -v[132:133]
	s_wait_loadcnt_dscnt 0x401
	v_mul_f64_e32 v[128:129], v[4:5], v[152:153]
	v_mul_f64_e32 v[138:139], v[6:7], v[152:153]
	s_wait_loadcnt_dscnt 0x300
	v_mul_f64_e32 v[132:133], v[16:17], v[164:165]
	v_add_f64_e32 v[22:23], v[136:137], v[134:135]
	v_add_f64_e32 v[126:127], v[126:127], v[158:159]
	v_mul_f64_e32 v[134:135], v[18:19], v[164:165]
	v_fmac_f64_e32 v[128:129], v[6:7], v[150:151]
	v_fma_f64 v[136:137], v[4:5], v[150:151], -v[138:139]
	v_fmac_f64_e32 v[132:133], v[18:19], v[162:163]
	v_add_f64_e32 v[138:139], v[22:23], v[20:21]
	v_add_f64_e32 v[126:127], v[126:127], v[130:131]
	ds_load_b128 v[4:7], v2 offset:1552
	ds_load_b128 v[20:23], v2 offset:1568
	v_fma_f64 v[16:17], v[16:17], v[162:163], -v[134:135]
	s_wait_loadcnt_dscnt 0x201
	v_mul_f64_e32 v[130:131], v[4:5], v[148:149]
	v_mul_f64_e32 v[140:141], v[6:7], v[148:149]
	v_add_f64_e32 v[18:19], v[138:139], v[136:137]
	v_add_f64_e32 v[126:127], v[126:127], v[128:129]
	s_wait_loadcnt_dscnt 0x100
	v_mul_f64_e32 v[128:129], v[20:21], v[10:11]
	v_mul_f64_e32 v[10:11], v[22:23], v[10:11]
	v_fmac_f64_e32 v[130:131], v[6:7], v[146:147]
	v_fma_f64 v[134:135], v[4:5], v[146:147], -v[140:141]
	ds_load_b128 v[4:7], v2 offset:1584
	v_add_f64_e32 v[16:17], v[18:19], v[16:17]
	v_add_f64_e32 v[18:19], v[126:127], v[132:133]
	v_fmac_f64_e32 v[128:129], v[22:23], v[8:9]
	v_fma_f64 v[8:9], v[20:21], v[8:9], -v[10:11]
	s_wait_loadcnt_dscnt 0x0
	v_mul_f64_e32 v[126:127], v[4:5], v[14:15]
	v_mul_f64_e32 v[14:15], v[6:7], v[14:15]
	v_add_f64_e32 v[10:11], v[16:17], v[134:135]
	v_add_f64_e32 v[16:17], v[18:19], v[130:131]
	s_delay_alu instid0(VALU_DEP_4) | instskip(NEXT) | instid1(VALU_DEP_4)
	v_fmac_f64_e32 v[126:127], v[6:7], v[12:13]
	v_fma_f64 v[4:5], v[4:5], v[12:13], -v[14:15]
	s_delay_alu instid0(VALU_DEP_4) | instskip(NEXT) | instid1(VALU_DEP_4)
	v_add_f64_e32 v[6:7], v[10:11], v[8:9]
	v_add_f64_e32 v[8:9], v[16:17], v[128:129]
	s_delay_alu instid0(VALU_DEP_2) | instskip(NEXT) | instid1(VALU_DEP_2)
	v_add_f64_e32 v[4:5], v[6:7], v[4:5]
	v_add_f64_e32 v[6:7], v[8:9], v[126:127]
	s_delay_alu instid0(VALU_DEP_2) | instskip(NEXT) | instid1(VALU_DEP_2)
	v_add_f64_e64 v[4:5], v[154:155], -v[4:5]
	v_add_f64_e64 v[6:7], v[156:157], -v[6:7]
	scratch_store_b128 off, v[4:7], off offset:352
	s_wait_xcnt 0x0
	v_cmpx_lt_u32_e32 21, v1
	s_cbranch_execz .LBB113_271
; %bb.270:
	scratch_load_b128 v[6:9], off, s45
	v_dual_mov_b32 v3, v2 :: v_dual_mov_b32 v4, v2
	v_mov_b32_e32 v5, v2
	scratch_store_b128 off, v[2:5], off offset:336
	s_wait_loadcnt 0x0
	ds_store_b128 v124, v[6:9]
.LBB113_271:
	s_wait_xcnt 0x0
	s_or_b32 exec_lo, exec_lo, s2
	s_wait_storecnt_dscnt 0x0
	s_barrier_signal -1
	s_barrier_wait -1
	s_clause 0x9
	scratch_load_b128 v[4:7], off, off offset:352
	scratch_load_b128 v[8:11], off, off offset:368
	;; [unrolled: 1-line block ×10, first 2 shown]
	ds_load_b128 v[146:149], v2 offset:1152
	ds_load_b128 v[154:157], v2 offset:1168
	s_clause 0x2
	scratch_load_b128 v[150:153], off, off offset:512
	scratch_load_b128 v[158:161], off, off offset:336
	scratch_load_b128 v[162:165], off, off offset:528
	s_mov_b32 s2, exec_lo
	s_wait_loadcnt_dscnt 0xc01
	v_mul_f64_e32 v[166:167], v[148:149], v[6:7]
	v_mul_f64_e32 v[170:171], v[146:147], v[6:7]
	s_wait_loadcnt_dscnt 0xb00
	v_mul_f64_e32 v[172:173], v[154:155], v[10:11]
	v_mul_f64_e32 v[10:11], v[156:157], v[10:11]
	s_delay_alu instid0(VALU_DEP_4) | instskip(NEXT) | instid1(VALU_DEP_4)
	v_fma_f64 v[174:175], v[146:147], v[4:5], -v[166:167]
	v_fmac_f64_e32 v[170:171], v[148:149], v[4:5]
	ds_load_b128 v[4:7], v2 offset:1184
	ds_load_b128 v[146:149], v2 offset:1200
	scratch_load_b128 v[166:169], off, off offset:544
	v_fmac_f64_e32 v[172:173], v[156:157], v[8:9]
	v_fma_f64 v[154:155], v[154:155], v[8:9], -v[10:11]
	scratch_load_b128 v[8:11], off, off offset:560
	s_wait_loadcnt_dscnt 0xc01
	v_mul_f64_e32 v[176:177], v[4:5], v[14:15]
	v_mul_f64_e32 v[14:15], v[6:7], v[14:15]
	v_add_f64_e32 v[156:157], 0, v[174:175]
	v_add_f64_e32 v[170:171], 0, v[170:171]
	s_wait_loadcnt_dscnt 0xb00
	v_mul_f64_e32 v[174:175], v[146:147], v[18:19]
	v_mul_f64_e32 v[18:19], v[148:149], v[18:19]
	v_fmac_f64_e32 v[176:177], v[6:7], v[12:13]
	v_fma_f64 v[178:179], v[4:5], v[12:13], -v[14:15]
	ds_load_b128 v[4:7], v2 offset:1216
	ds_load_b128 v[12:15], v2 offset:1232
	v_add_f64_e32 v[180:181], v[156:157], v[154:155]
	v_add_f64_e32 v[170:171], v[170:171], v[172:173]
	scratch_load_b128 v[154:157], off, off offset:576
	v_fmac_f64_e32 v[174:175], v[148:149], v[16:17]
	v_fma_f64 v[146:147], v[146:147], v[16:17], -v[18:19]
	scratch_load_b128 v[16:19], off, off offset:592
	s_wait_loadcnt_dscnt 0xc01
	v_mul_f64_e32 v[172:173], v[4:5], v[22:23]
	v_mul_f64_e32 v[22:23], v[6:7], v[22:23]
	v_add_f64_e32 v[148:149], v[180:181], v[178:179]
	v_add_f64_e32 v[170:171], v[170:171], v[176:177]
	s_wait_loadcnt_dscnt 0xb00
	v_mul_f64_e32 v[176:177], v[12:13], v[128:129]
	v_mul_f64_e32 v[128:129], v[14:15], v[128:129]
	v_fmac_f64_e32 v[172:173], v[6:7], v[20:21]
	v_fma_f64 v[178:179], v[4:5], v[20:21], -v[22:23]
	ds_load_b128 v[4:7], v2 offset:1248
	ds_load_b128 v[20:23], v2 offset:1264
	v_add_f64_e32 v[180:181], v[148:149], v[146:147]
	v_add_f64_e32 v[170:171], v[170:171], v[174:175]
	scratch_load_b128 v[146:149], off, off offset:608
	s_wait_loadcnt_dscnt 0xb01
	v_mul_f64_e32 v[174:175], v[4:5], v[132:133]
	v_mul_f64_e32 v[132:133], v[6:7], v[132:133]
	v_fmac_f64_e32 v[176:177], v[14:15], v[126:127]
	v_fma_f64 v[126:127], v[12:13], v[126:127], -v[128:129]
	scratch_load_b128 v[12:15], off, off offset:624
	v_add_f64_e32 v[128:129], v[180:181], v[178:179]
	v_add_f64_e32 v[170:171], v[170:171], v[172:173]
	s_wait_loadcnt_dscnt 0xb00
	v_mul_f64_e32 v[172:173], v[20:21], v[136:137]
	v_mul_f64_e32 v[136:137], v[22:23], v[136:137]
	v_fmac_f64_e32 v[174:175], v[6:7], v[130:131]
	v_fma_f64 v[178:179], v[4:5], v[130:131], -v[132:133]
	v_add_f64_e32 v[180:181], v[128:129], v[126:127]
	v_add_f64_e32 v[170:171], v[170:171], v[176:177]
	ds_load_b128 v[4:7], v2 offset:1280
	ds_load_b128 v[126:129], v2 offset:1296
	scratch_load_b128 v[130:133], off, off offset:640
	v_fmac_f64_e32 v[172:173], v[22:23], v[134:135]
	v_fma_f64 v[134:135], v[20:21], v[134:135], -v[136:137]
	scratch_load_b128 v[20:23], off, off offset:656
	s_wait_loadcnt_dscnt 0xc01
	v_mul_f64_e32 v[176:177], v[4:5], v[140:141]
	v_mul_f64_e32 v[140:141], v[6:7], v[140:141]
	v_add_f64_e32 v[136:137], v[180:181], v[178:179]
	v_add_f64_e32 v[170:171], v[170:171], v[174:175]
	s_wait_loadcnt_dscnt 0xb00
	v_mul_f64_e32 v[174:175], v[126:127], v[144:145]
	v_mul_f64_e32 v[144:145], v[128:129], v[144:145]
	v_fmac_f64_e32 v[176:177], v[6:7], v[138:139]
	v_fma_f64 v[178:179], v[4:5], v[138:139], -v[140:141]
	v_add_f64_e32 v[180:181], v[136:137], v[134:135]
	v_add_f64_e32 v[170:171], v[170:171], v[172:173]
	ds_load_b128 v[4:7], v2 offset:1312
	ds_load_b128 v[134:137], v2 offset:1328
	scratch_load_b128 v[138:141], off, off offset:672
	v_fmac_f64_e32 v[174:175], v[128:129], v[142:143]
	v_fma_f64 v[142:143], v[126:127], v[142:143], -v[144:145]
	scratch_load_b128 v[126:129], off, off offset:688
	s_wait_loadcnt_dscnt 0xc01
	v_mul_f64_e32 v[172:173], v[4:5], v[152:153]
	v_mul_f64_e32 v[152:153], v[6:7], v[152:153]
	v_add_f64_e32 v[144:145], v[180:181], v[178:179]
	v_add_f64_e32 v[170:171], v[170:171], v[176:177]
	s_wait_loadcnt_dscnt 0xa00
	v_mul_f64_e32 v[176:177], v[134:135], v[164:165]
	v_mul_f64_e32 v[164:165], v[136:137], v[164:165]
	v_fmac_f64_e32 v[172:173], v[6:7], v[150:151]
	v_fma_f64 v[178:179], v[4:5], v[150:151], -v[152:153]
	v_add_f64_e32 v[180:181], v[144:145], v[142:143]
	v_add_f64_e32 v[170:171], v[170:171], v[174:175]
	ds_load_b128 v[4:7], v2 offset:1344
	ds_load_b128 v[142:145], v2 offset:1360
	scratch_load_b128 v[150:153], off, off offset:704
	v_fmac_f64_e32 v[176:177], v[136:137], v[162:163]
	v_fma_f64 v[162:163], v[134:135], v[162:163], -v[164:165]
	scratch_load_b128 v[134:137], off, off offset:720
	s_wait_loadcnt_dscnt 0xb01
	v_mul_f64_e32 v[174:175], v[4:5], v[168:169]
	v_mul_f64_e32 v[168:169], v[6:7], v[168:169]
	v_add_f64_e32 v[164:165], v[180:181], v[178:179]
	v_add_f64_e32 v[170:171], v[170:171], v[172:173]
	s_wait_loadcnt_dscnt 0xa00
	v_mul_f64_e32 v[172:173], v[142:143], v[10:11]
	v_mul_f64_e32 v[10:11], v[144:145], v[10:11]
	v_fmac_f64_e32 v[174:175], v[6:7], v[166:167]
	v_fma_f64 v[178:179], v[4:5], v[166:167], -v[168:169]
	v_add_f64_e32 v[180:181], v[164:165], v[162:163]
	v_add_f64_e32 v[170:171], v[170:171], v[176:177]
	ds_load_b128 v[4:7], v2 offset:1376
	ds_load_b128 v[162:165], v2 offset:1392
	scratch_load_b128 v[166:169], off, off offset:736
	v_fmac_f64_e32 v[172:173], v[144:145], v[8:9]
	v_fma_f64 v[142:143], v[142:143], v[8:9], -v[10:11]
	scratch_load_b128 v[8:11], off, off offset:752
	s_wait_loadcnt_dscnt 0xb01
	v_mul_f64_e32 v[176:177], v[4:5], v[156:157]
	v_mul_f64_e32 v[156:157], v[6:7], v[156:157]
	v_add_f64_e32 v[144:145], v[180:181], v[178:179]
	v_add_f64_e32 v[170:171], v[170:171], v[174:175]
	s_wait_loadcnt_dscnt 0xa00
	v_mul_f64_e32 v[174:175], v[162:163], v[18:19]
	v_mul_f64_e32 v[18:19], v[164:165], v[18:19]
	v_fmac_f64_e32 v[176:177], v[6:7], v[154:155]
	v_fma_f64 v[178:179], v[4:5], v[154:155], -v[156:157]
	v_add_f64_e32 v[180:181], v[144:145], v[142:143]
	v_add_f64_e32 v[170:171], v[170:171], v[172:173]
	ds_load_b128 v[4:7], v2 offset:1408
	ds_load_b128 v[142:145], v2 offset:1424
	scratch_load_b128 v[154:157], off, off offset:768
	v_fmac_f64_e32 v[174:175], v[164:165], v[16:17]
	v_fma_f64 v[162:163], v[162:163], v[16:17], -v[18:19]
	scratch_load_b128 v[16:19], off, off offset:784
	s_wait_loadcnt_dscnt 0xb01
	v_mul_f64_e32 v[172:173], v[4:5], v[148:149]
	v_mul_f64_e32 v[148:149], v[6:7], v[148:149]
	v_add_f64_e32 v[164:165], v[180:181], v[178:179]
	v_add_f64_e32 v[170:171], v[170:171], v[176:177]
	s_wait_loadcnt_dscnt 0xa00
	v_mul_f64_e32 v[176:177], v[142:143], v[14:15]
	v_mul_f64_e32 v[14:15], v[144:145], v[14:15]
	v_fmac_f64_e32 v[172:173], v[6:7], v[146:147]
	v_fma_f64 v[178:179], v[4:5], v[146:147], -v[148:149]
	ds_load_b128 v[4:7], v2 offset:1440
	ds_load_b128 v[146:149], v2 offset:1456
	v_add_f64_e32 v[162:163], v[164:165], v[162:163]
	v_add_f64_e32 v[164:165], v[170:171], v[174:175]
	v_fmac_f64_e32 v[176:177], v[144:145], v[12:13]
	v_fma_f64 v[12:13], v[142:143], v[12:13], -v[14:15]
	s_wait_loadcnt_dscnt 0x901
	v_mul_f64_e32 v[170:171], v[4:5], v[132:133]
	v_mul_f64_e32 v[132:133], v[6:7], v[132:133]
	s_wait_loadcnt_dscnt 0x800
	v_mul_f64_e32 v[144:145], v[146:147], v[22:23]
	v_mul_f64_e32 v[22:23], v[148:149], v[22:23]
	v_add_f64_e32 v[14:15], v[162:163], v[178:179]
	v_add_f64_e32 v[142:143], v[164:165], v[172:173]
	v_fmac_f64_e32 v[170:171], v[6:7], v[130:131]
	v_fma_f64 v[130:131], v[4:5], v[130:131], -v[132:133]
	v_fmac_f64_e32 v[144:145], v[148:149], v[20:21]
	v_fma_f64 v[20:21], v[146:147], v[20:21], -v[22:23]
	v_add_f64_e32 v[132:133], v[14:15], v[12:13]
	v_add_f64_e32 v[142:143], v[142:143], v[176:177]
	ds_load_b128 v[4:7], v2 offset:1472
	ds_load_b128 v[12:15], v2 offset:1488
	s_wait_loadcnt_dscnt 0x701
	v_mul_f64_e32 v[162:163], v[4:5], v[140:141]
	v_mul_f64_e32 v[140:141], v[6:7], v[140:141]
	v_add_f64_e32 v[22:23], v[132:133], v[130:131]
	v_add_f64_e32 v[130:131], v[142:143], v[170:171]
	s_wait_loadcnt_dscnt 0x600
	v_mul_f64_e32 v[132:133], v[12:13], v[128:129]
	v_mul_f64_e32 v[128:129], v[14:15], v[128:129]
	v_fmac_f64_e32 v[162:163], v[6:7], v[138:139]
	v_fma_f64 v[138:139], v[4:5], v[138:139], -v[140:141]
	v_add_f64_e32 v[140:141], v[22:23], v[20:21]
	v_add_f64_e32 v[130:131], v[130:131], v[144:145]
	ds_load_b128 v[4:7], v2 offset:1504
	ds_load_b128 v[20:23], v2 offset:1520
	v_fmac_f64_e32 v[132:133], v[14:15], v[126:127]
	v_fma_f64 v[12:13], v[12:13], v[126:127], -v[128:129]
	s_wait_loadcnt_dscnt 0x501
	v_mul_f64_e32 v[142:143], v[4:5], v[152:153]
	v_mul_f64_e32 v[144:145], v[6:7], v[152:153]
	s_wait_loadcnt_dscnt 0x400
	v_mul_f64_e32 v[128:129], v[20:21], v[136:137]
	v_add_f64_e32 v[14:15], v[140:141], v[138:139]
	v_add_f64_e32 v[126:127], v[130:131], v[162:163]
	v_mul_f64_e32 v[130:131], v[22:23], v[136:137]
	v_fmac_f64_e32 v[142:143], v[6:7], v[150:151]
	v_fma_f64 v[136:137], v[4:5], v[150:151], -v[144:145]
	v_fmac_f64_e32 v[128:129], v[22:23], v[134:135]
	v_add_f64_e32 v[138:139], v[14:15], v[12:13]
	v_add_f64_e32 v[126:127], v[126:127], v[132:133]
	ds_load_b128 v[4:7], v2 offset:1536
	ds_load_b128 v[12:15], v2 offset:1552
	v_fma_f64 v[20:21], v[20:21], v[134:135], -v[130:131]
	s_wait_loadcnt_dscnt 0x301
	v_mul_f64_e32 v[132:133], v[4:5], v[168:169]
	v_mul_f64_e32 v[140:141], v[6:7], v[168:169]
	s_wait_loadcnt_dscnt 0x200
	v_mul_f64_e32 v[130:131], v[12:13], v[10:11]
	v_mul_f64_e32 v[10:11], v[14:15], v[10:11]
	v_add_f64_e32 v[22:23], v[138:139], v[136:137]
	v_add_f64_e32 v[126:127], v[126:127], v[142:143]
	v_fmac_f64_e32 v[132:133], v[6:7], v[166:167]
	v_fma_f64 v[134:135], v[4:5], v[166:167], -v[140:141]
	v_fmac_f64_e32 v[130:131], v[14:15], v[8:9]
	v_fma_f64 v[8:9], v[12:13], v[8:9], -v[10:11]
	v_add_f64_e32 v[136:137], v[22:23], v[20:21]
	v_add_f64_e32 v[126:127], v[126:127], v[128:129]
	ds_load_b128 v[4:7], v2 offset:1568
	ds_load_b128 v[20:23], v2 offset:1584
	s_wait_loadcnt_dscnt 0x101
	v_mul_f64_e32 v[2:3], v[4:5], v[156:157]
	v_mul_f64_e32 v[128:129], v[6:7], v[156:157]
	s_wait_loadcnt_dscnt 0x0
	v_mul_f64_e32 v[14:15], v[20:21], v[18:19]
	v_mul_f64_e32 v[18:19], v[22:23], v[18:19]
	v_add_f64_e32 v[10:11], v[136:137], v[134:135]
	v_add_f64_e32 v[12:13], v[126:127], v[132:133]
	v_fmac_f64_e32 v[2:3], v[6:7], v[154:155]
	v_fma_f64 v[4:5], v[4:5], v[154:155], -v[128:129]
	v_fmac_f64_e32 v[14:15], v[22:23], v[16:17]
	v_add_f64_e32 v[6:7], v[10:11], v[8:9]
	v_add_f64_e32 v[8:9], v[12:13], v[130:131]
	v_fma_f64 v[10:11], v[20:21], v[16:17], -v[18:19]
	s_delay_alu instid0(VALU_DEP_3) | instskip(NEXT) | instid1(VALU_DEP_3)
	v_add_f64_e32 v[4:5], v[6:7], v[4:5]
	v_add_f64_e32 v[2:3], v[8:9], v[2:3]
	s_delay_alu instid0(VALU_DEP_2) | instskip(NEXT) | instid1(VALU_DEP_2)
	v_add_f64_e32 v[4:5], v[4:5], v[10:11]
	v_add_f64_e32 v[6:7], v[2:3], v[14:15]
	s_delay_alu instid0(VALU_DEP_2) | instskip(NEXT) | instid1(VALU_DEP_2)
	v_add_f64_e64 v[2:3], v[158:159], -v[4:5]
	v_add_f64_e64 v[4:5], v[160:161], -v[6:7]
	scratch_store_b128 off, v[2:5], off offset:336
	s_wait_xcnt 0x0
	v_cmpx_lt_u32_e32 20, v1
	s_cbranch_execz .LBB113_273
; %bb.272:
	scratch_load_b128 v[2:5], off, s46
	v_mov_b32_e32 v6, 0
	s_delay_alu instid0(VALU_DEP_1)
	v_dual_mov_b32 v7, v6 :: v_dual_mov_b32 v8, v6
	v_mov_b32_e32 v9, v6
	scratch_store_b128 off, v[6:9], off offset:320
	s_wait_loadcnt 0x0
	ds_store_b128 v124, v[2:5]
.LBB113_273:
	s_wait_xcnt 0x0
	s_or_b32 exec_lo, exec_lo, s2
	s_wait_storecnt_dscnt 0x0
	s_barrier_signal -1
	s_barrier_wait -1
	s_clause 0x9
	scratch_load_b128 v[4:7], off, off offset:336
	scratch_load_b128 v[8:11], off, off offset:352
	;; [unrolled: 1-line block ×10, first 2 shown]
	v_mov_b32_e32 v2, 0
	s_mov_b32 s2, exec_lo
	ds_load_b128 v[146:149], v2 offset:1136
	s_clause 0x2
	scratch_load_b128 v[150:153], off, off offset:496
	scratch_load_b128 v[154:157], off, off offset:320
	;; [unrolled: 1-line block ×3, first 2 shown]
	s_wait_loadcnt_dscnt 0xc00
	v_mul_f64_e32 v[166:167], v[148:149], v[6:7]
	v_mul_f64_e32 v[170:171], v[146:147], v[6:7]
	ds_load_b128 v[158:161], v2 offset:1152
	v_fma_f64 v[174:175], v[146:147], v[4:5], -v[166:167]
	v_fmac_f64_e32 v[170:171], v[148:149], v[4:5]
	ds_load_b128 v[4:7], v2 offset:1168
	s_wait_loadcnt_dscnt 0xb01
	v_mul_f64_e32 v[172:173], v[158:159], v[10:11]
	v_mul_f64_e32 v[10:11], v[160:161], v[10:11]
	scratch_load_b128 v[146:149], off, off offset:528
	ds_load_b128 v[166:169], v2 offset:1184
	s_wait_loadcnt_dscnt 0xb01
	v_mul_f64_e32 v[176:177], v[4:5], v[14:15]
	v_mul_f64_e32 v[14:15], v[6:7], v[14:15]
	v_add_f64_e32 v[170:171], 0, v[170:171]
	v_fmac_f64_e32 v[172:173], v[160:161], v[8:9]
	v_fma_f64 v[158:159], v[158:159], v[8:9], -v[10:11]
	v_add_f64_e32 v[160:161], 0, v[174:175]
	scratch_load_b128 v[8:11], off, off offset:544
	v_fmac_f64_e32 v[176:177], v[6:7], v[12:13]
	v_fma_f64 v[178:179], v[4:5], v[12:13], -v[14:15]
	ds_load_b128 v[4:7], v2 offset:1200
	s_wait_loadcnt_dscnt 0xb01
	v_mul_f64_e32 v[174:175], v[166:167], v[18:19]
	v_mul_f64_e32 v[18:19], v[168:169], v[18:19]
	scratch_load_b128 v[12:15], off, off offset:560
	v_add_f64_e32 v[170:171], v[170:171], v[172:173]
	v_add_f64_e32 v[180:181], v[160:161], v[158:159]
	ds_load_b128 v[158:161], v2 offset:1216
	s_wait_loadcnt_dscnt 0xb01
	v_mul_f64_e32 v[172:173], v[4:5], v[22:23]
	v_mul_f64_e32 v[22:23], v[6:7], v[22:23]
	v_fmac_f64_e32 v[174:175], v[168:169], v[16:17]
	v_fma_f64 v[166:167], v[166:167], v[16:17], -v[18:19]
	scratch_load_b128 v[16:19], off, off offset:576
	v_add_f64_e32 v[170:171], v[170:171], v[176:177]
	v_add_f64_e32 v[168:169], v[180:181], v[178:179]
	v_fmac_f64_e32 v[172:173], v[6:7], v[20:21]
	v_fma_f64 v[178:179], v[4:5], v[20:21], -v[22:23]
	ds_load_b128 v[4:7], v2 offset:1232
	s_wait_loadcnt_dscnt 0xb01
	v_mul_f64_e32 v[176:177], v[158:159], v[128:129]
	v_mul_f64_e32 v[128:129], v[160:161], v[128:129]
	scratch_load_b128 v[20:23], off, off offset:592
	v_add_f64_e32 v[170:171], v[170:171], v[174:175]
	s_wait_loadcnt_dscnt 0xb00
	v_mul_f64_e32 v[174:175], v[4:5], v[132:133]
	v_add_f64_e32 v[180:181], v[168:169], v[166:167]
	v_mul_f64_e32 v[132:133], v[6:7], v[132:133]
	ds_load_b128 v[166:169], v2 offset:1248
	v_fmac_f64_e32 v[176:177], v[160:161], v[126:127]
	v_fma_f64 v[158:159], v[158:159], v[126:127], -v[128:129]
	scratch_load_b128 v[126:129], off, off offset:608
	v_add_f64_e32 v[170:171], v[170:171], v[172:173]
	v_fmac_f64_e32 v[174:175], v[6:7], v[130:131]
	v_add_f64_e32 v[160:161], v[180:181], v[178:179]
	v_fma_f64 v[178:179], v[4:5], v[130:131], -v[132:133]
	ds_load_b128 v[4:7], v2 offset:1264
	s_wait_loadcnt_dscnt 0xb01
	v_mul_f64_e32 v[172:173], v[166:167], v[136:137]
	v_mul_f64_e32 v[136:137], v[168:169], v[136:137]
	scratch_load_b128 v[130:133], off, off offset:624
	v_add_f64_e32 v[170:171], v[170:171], v[176:177]
	s_wait_loadcnt_dscnt 0xb00
	v_mul_f64_e32 v[176:177], v[4:5], v[140:141]
	v_add_f64_e32 v[180:181], v[160:161], v[158:159]
	v_mul_f64_e32 v[140:141], v[6:7], v[140:141]
	ds_load_b128 v[158:161], v2 offset:1280
	v_fmac_f64_e32 v[172:173], v[168:169], v[134:135]
	v_fma_f64 v[166:167], v[166:167], v[134:135], -v[136:137]
	scratch_load_b128 v[134:137], off, off offset:640
	v_add_f64_e32 v[170:171], v[170:171], v[174:175]
	v_fmac_f64_e32 v[176:177], v[6:7], v[138:139]
	v_add_f64_e32 v[168:169], v[180:181], v[178:179]
	;; [unrolled: 18-line block ×3, first 2 shown]
	v_fma_f64 v[178:179], v[4:5], v[150:151], -v[152:153]
	ds_load_b128 v[4:7], v2 offset:1328
	s_wait_loadcnt_dscnt 0xa01
	v_mul_f64_e32 v[176:177], v[166:167], v[164:165]
	v_mul_f64_e32 v[164:165], v[168:169], v[164:165]
	scratch_load_b128 v[150:153], off, off offset:688
	v_add_f64_e32 v[170:171], v[170:171], v[174:175]
	v_add_f64_e32 v[180:181], v[160:161], v[158:159]
	s_wait_loadcnt_dscnt 0xa00
	v_mul_f64_e32 v[174:175], v[4:5], v[148:149]
	v_mul_f64_e32 v[148:149], v[6:7], v[148:149]
	v_fmac_f64_e32 v[176:177], v[168:169], v[162:163]
	v_fma_f64 v[166:167], v[166:167], v[162:163], -v[164:165]
	ds_load_b128 v[158:161], v2 offset:1344
	scratch_load_b128 v[162:165], off, off offset:704
	v_add_f64_e32 v[170:171], v[170:171], v[172:173]
	v_add_f64_e32 v[168:169], v[180:181], v[178:179]
	v_fmac_f64_e32 v[174:175], v[6:7], v[146:147]
	v_fma_f64 v[178:179], v[4:5], v[146:147], -v[148:149]
	ds_load_b128 v[4:7], v2 offset:1360
	s_wait_loadcnt_dscnt 0xa01
	v_mul_f64_e32 v[172:173], v[158:159], v[10:11]
	v_mul_f64_e32 v[10:11], v[160:161], v[10:11]
	scratch_load_b128 v[146:149], off, off offset:720
	v_add_f64_e32 v[170:171], v[170:171], v[176:177]
	s_wait_loadcnt_dscnt 0xa00
	v_mul_f64_e32 v[176:177], v[4:5], v[14:15]
	v_add_f64_e32 v[180:181], v[168:169], v[166:167]
	v_mul_f64_e32 v[14:15], v[6:7], v[14:15]
	ds_load_b128 v[166:169], v2 offset:1376
	v_fmac_f64_e32 v[172:173], v[160:161], v[8:9]
	v_fma_f64 v[158:159], v[158:159], v[8:9], -v[10:11]
	scratch_load_b128 v[8:11], off, off offset:736
	v_add_f64_e32 v[170:171], v[170:171], v[174:175]
	v_fmac_f64_e32 v[176:177], v[6:7], v[12:13]
	v_add_f64_e32 v[160:161], v[180:181], v[178:179]
	v_fma_f64 v[178:179], v[4:5], v[12:13], -v[14:15]
	ds_load_b128 v[4:7], v2 offset:1392
	s_wait_loadcnt_dscnt 0xa01
	v_mul_f64_e32 v[174:175], v[166:167], v[18:19]
	v_mul_f64_e32 v[18:19], v[168:169], v[18:19]
	scratch_load_b128 v[12:15], off, off offset:752
	v_add_f64_e32 v[170:171], v[170:171], v[172:173]
	s_wait_loadcnt_dscnt 0xa00
	v_mul_f64_e32 v[172:173], v[4:5], v[22:23]
	v_add_f64_e32 v[180:181], v[160:161], v[158:159]
	v_mul_f64_e32 v[22:23], v[6:7], v[22:23]
	ds_load_b128 v[158:161], v2 offset:1408
	v_fmac_f64_e32 v[174:175], v[168:169], v[16:17]
	v_fma_f64 v[166:167], v[166:167], v[16:17], -v[18:19]
	scratch_load_b128 v[16:19], off, off offset:768
	v_add_f64_e32 v[170:171], v[170:171], v[176:177]
	v_fmac_f64_e32 v[172:173], v[6:7], v[20:21]
	v_add_f64_e32 v[168:169], v[180:181], v[178:179]
	v_fma_f64 v[178:179], v[4:5], v[20:21], -v[22:23]
	ds_load_b128 v[4:7], v2 offset:1424
	s_wait_loadcnt_dscnt 0xa01
	v_mul_f64_e32 v[176:177], v[158:159], v[128:129]
	v_mul_f64_e32 v[128:129], v[160:161], v[128:129]
	scratch_load_b128 v[20:23], off, off offset:784
	v_add_f64_e32 v[170:171], v[170:171], v[174:175]
	s_wait_loadcnt_dscnt 0xa00
	v_mul_f64_e32 v[174:175], v[4:5], v[132:133]
	v_add_f64_e32 v[180:181], v[168:169], v[166:167]
	v_mul_f64_e32 v[132:133], v[6:7], v[132:133]
	ds_load_b128 v[166:169], v2 offset:1440
	v_fmac_f64_e32 v[176:177], v[160:161], v[126:127]
	v_fma_f64 v[126:127], v[158:159], v[126:127], -v[128:129]
	s_wait_loadcnt_dscnt 0x900
	v_mul_f64_e32 v[160:161], v[166:167], v[136:137]
	v_mul_f64_e32 v[136:137], v[168:169], v[136:137]
	v_add_f64_e32 v[158:159], v[170:171], v[172:173]
	v_fmac_f64_e32 v[174:175], v[6:7], v[130:131]
	v_add_f64_e32 v[128:129], v[180:181], v[178:179]
	v_fma_f64 v[130:131], v[4:5], v[130:131], -v[132:133]
	v_fmac_f64_e32 v[160:161], v[168:169], v[134:135]
	v_fma_f64 v[134:135], v[166:167], v[134:135], -v[136:137]
	v_add_f64_e32 v[158:159], v[158:159], v[176:177]
	v_add_f64_e32 v[132:133], v[128:129], v[126:127]
	ds_load_b128 v[4:7], v2 offset:1456
	ds_load_b128 v[126:129], v2 offset:1472
	s_wait_loadcnt_dscnt 0x801
	v_mul_f64_e32 v[170:171], v[4:5], v[140:141]
	v_mul_f64_e32 v[140:141], v[6:7], v[140:141]
	s_wait_loadcnt_dscnt 0x700
	v_mul_f64_e32 v[136:137], v[126:127], v[144:145]
	v_mul_f64_e32 v[144:145], v[128:129], v[144:145]
	v_add_f64_e32 v[130:131], v[132:133], v[130:131]
	v_add_f64_e32 v[132:133], v[158:159], v[174:175]
	v_fmac_f64_e32 v[170:171], v[6:7], v[138:139]
	v_fma_f64 v[138:139], v[4:5], v[138:139], -v[140:141]
	v_fmac_f64_e32 v[136:137], v[128:129], v[142:143]
	v_fma_f64 v[126:127], v[126:127], v[142:143], -v[144:145]
	v_add_f64_e32 v[134:135], v[130:131], v[134:135]
	v_add_f64_e32 v[140:141], v[132:133], v[160:161]
	ds_load_b128 v[4:7], v2 offset:1488
	ds_load_b128 v[130:133], v2 offset:1504
	s_wait_loadcnt_dscnt 0x601
	v_mul_f64_e32 v[158:159], v[4:5], v[152:153]
	v_mul_f64_e32 v[152:153], v[6:7], v[152:153]
	v_add_f64_e32 v[128:129], v[134:135], v[138:139]
	v_add_f64_e32 v[134:135], v[140:141], v[170:171]
	s_wait_loadcnt_dscnt 0x500
	v_mul_f64_e32 v[138:139], v[130:131], v[164:165]
	v_mul_f64_e32 v[140:141], v[132:133], v[164:165]
	v_fmac_f64_e32 v[158:159], v[6:7], v[150:151]
	v_fma_f64 v[142:143], v[4:5], v[150:151], -v[152:153]
	v_add_f64_e32 v[144:145], v[128:129], v[126:127]
	v_add_f64_e32 v[134:135], v[134:135], v[136:137]
	ds_load_b128 v[4:7], v2 offset:1520
	ds_load_b128 v[126:129], v2 offset:1536
	v_fmac_f64_e32 v[138:139], v[132:133], v[162:163]
	v_fma_f64 v[130:131], v[130:131], v[162:163], -v[140:141]
	s_wait_loadcnt_dscnt 0x401
	v_mul_f64_e32 v[136:137], v[4:5], v[148:149]
	v_mul_f64_e32 v[148:149], v[6:7], v[148:149]
	s_wait_loadcnt_dscnt 0x300
	v_mul_f64_e32 v[140:141], v[126:127], v[10:11]
	v_mul_f64_e32 v[10:11], v[128:129], v[10:11]
	v_add_f64_e32 v[132:133], v[144:145], v[142:143]
	v_add_f64_e32 v[134:135], v[134:135], v[158:159]
	v_fmac_f64_e32 v[136:137], v[6:7], v[146:147]
	v_fma_f64 v[142:143], v[4:5], v[146:147], -v[148:149]
	v_fmac_f64_e32 v[140:141], v[128:129], v[8:9]
	v_fma_f64 v[8:9], v[126:127], v[8:9], -v[10:11]
	v_add_f64_e32 v[144:145], v[132:133], v[130:131]
	v_add_f64_e32 v[134:135], v[134:135], v[138:139]
	ds_load_b128 v[4:7], v2 offset:1552
	ds_load_b128 v[130:133], v2 offset:1568
	s_wait_loadcnt_dscnt 0x201
	v_mul_f64_e32 v[138:139], v[4:5], v[14:15]
	v_mul_f64_e32 v[14:15], v[6:7], v[14:15]
	s_wait_loadcnt_dscnt 0x100
	v_mul_f64_e32 v[128:129], v[130:131], v[18:19]
	v_mul_f64_e32 v[18:19], v[132:133], v[18:19]
	v_add_f64_e32 v[10:11], v[144:145], v[142:143]
	v_add_f64_e32 v[126:127], v[134:135], v[136:137]
	v_fmac_f64_e32 v[138:139], v[6:7], v[12:13]
	v_fma_f64 v[12:13], v[4:5], v[12:13], -v[14:15]
	ds_load_b128 v[4:7], v2 offset:1584
	v_fmac_f64_e32 v[128:129], v[132:133], v[16:17]
	v_fma_f64 v[16:17], v[130:131], v[16:17], -v[18:19]
	v_add_f64_e32 v[8:9], v[10:11], v[8:9]
	v_add_f64_e32 v[10:11], v[126:127], v[140:141]
	s_wait_loadcnt_dscnt 0x0
	v_mul_f64_e32 v[14:15], v[4:5], v[22:23]
	v_mul_f64_e32 v[22:23], v[6:7], v[22:23]
	s_delay_alu instid0(VALU_DEP_4) | instskip(NEXT) | instid1(VALU_DEP_4)
	v_add_f64_e32 v[8:9], v[8:9], v[12:13]
	v_add_f64_e32 v[10:11], v[10:11], v[138:139]
	s_delay_alu instid0(VALU_DEP_4) | instskip(NEXT) | instid1(VALU_DEP_4)
	v_fmac_f64_e32 v[14:15], v[6:7], v[20:21]
	v_fma_f64 v[4:5], v[4:5], v[20:21], -v[22:23]
	s_delay_alu instid0(VALU_DEP_4) | instskip(NEXT) | instid1(VALU_DEP_4)
	v_add_f64_e32 v[6:7], v[8:9], v[16:17]
	v_add_f64_e32 v[8:9], v[10:11], v[128:129]
	s_delay_alu instid0(VALU_DEP_2) | instskip(NEXT) | instid1(VALU_DEP_2)
	v_add_f64_e32 v[4:5], v[6:7], v[4:5]
	v_add_f64_e32 v[6:7], v[8:9], v[14:15]
	s_delay_alu instid0(VALU_DEP_2) | instskip(NEXT) | instid1(VALU_DEP_2)
	v_add_f64_e64 v[4:5], v[154:155], -v[4:5]
	v_add_f64_e64 v[6:7], v[156:157], -v[6:7]
	scratch_store_b128 off, v[4:7], off offset:320
	s_wait_xcnt 0x0
	v_cmpx_lt_u32_e32 19, v1
	s_cbranch_execz .LBB113_275
; %bb.274:
	scratch_load_b128 v[6:9], off, s47
	v_dual_mov_b32 v3, v2 :: v_dual_mov_b32 v4, v2
	v_mov_b32_e32 v5, v2
	scratch_store_b128 off, v[2:5], off offset:304
	s_wait_loadcnt 0x0
	ds_store_b128 v124, v[6:9]
.LBB113_275:
	s_wait_xcnt 0x0
	s_or_b32 exec_lo, exec_lo, s2
	s_wait_storecnt_dscnt 0x0
	s_barrier_signal -1
	s_barrier_wait -1
	s_clause 0x9
	scratch_load_b128 v[4:7], off, off offset:320
	scratch_load_b128 v[8:11], off, off offset:336
	;; [unrolled: 1-line block ×10, first 2 shown]
	ds_load_b128 v[146:149], v2 offset:1120
	ds_load_b128 v[154:157], v2 offset:1136
	s_clause 0x2
	scratch_load_b128 v[150:153], off, off offset:480
	scratch_load_b128 v[158:161], off, off offset:304
	;; [unrolled: 1-line block ×3, first 2 shown]
	s_mov_b32 s2, exec_lo
	s_wait_loadcnt_dscnt 0xc01
	v_mul_f64_e32 v[166:167], v[148:149], v[6:7]
	v_mul_f64_e32 v[170:171], v[146:147], v[6:7]
	s_wait_loadcnt_dscnt 0xb00
	v_mul_f64_e32 v[172:173], v[154:155], v[10:11]
	v_mul_f64_e32 v[10:11], v[156:157], v[10:11]
	s_delay_alu instid0(VALU_DEP_4) | instskip(NEXT) | instid1(VALU_DEP_4)
	v_fma_f64 v[174:175], v[146:147], v[4:5], -v[166:167]
	v_fmac_f64_e32 v[170:171], v[148:149], v[4:5]
	ds_load_b128 v[4:7], v2 offset:1152
	ds_load_b128 v[146:149], v2 offset:1168
	scratch_load_b128 v[166:169], off, off offset:512
	v_fmac_f64_e32 v[172:173], v[156:157], v[8:9]
	v_fma_f64 v[154:155], v[154:155], v[8:9], -v[10:11]
	scratch_load_b128 v[8:11], off, off offset:528
	s_wait_loadcnt_dscnt 0xc01
	v_mul_f64_e32 v[176:177], v[4:5], v[14:15]
	v_mul_f64_e32 v[14:15], v[6:7], v[14:15]
	v_add_f64_e32 v[156:157], 0, v[174:175]
	v_add_f64_e32 v[170:171], 0, v[170:171]
	s_wait_loadcnt_dscnt 0xb00
	v_mul_f64_e32 v[174:175], v[146:147], v[18:19]
	v_mul_f64_e32 v[18:19], v[148:149], v[18:19]
	v_fmac_f64_e32 v[176:177], v[6:7], v[12:13]
	v_fma_f64 v[178:179], v[4:5], v[12:13], -v[14:15]
	ds_load_b128 v[4:7], v2 offset:1184
	ds_load_b128 v[12:15], v2 offset:1200
	v_add_f64_e32 v[180:181], v[156:157], v[154:155]
	v_add_f64_e32 v[170:171], v[170:171], v[172:173]
	scratch_load_b128 v[154:157], off, off offset:544
	v_fmac_f64_e32 v[174:175], v[148:149], v[16:17]
	v_fma_f64 v[146:147], v[146:147], v[16:17], -v[18:19]
	scratch_load_b128 v[16:19], off, off offset:560
	s_wait_loadcnt_dscnt 0xc01
	v_mul_f64_e32 v[172:173], v[4:5], v[22:23]
	v_mul_f64_e32 v[22:23], v[6:7], v[22:23]
	v_add_f64_e32 v[148:149], v[180:181], v[178:179]
	v_add_f64_e32 v[170:171], v[170:171], v[176:177]
	s_wait_loadcnt_dscnt 0xb00
	v_mul_f64_e32 v[176:177], v[12:13], v[128:129]
	v_mul_f64_e32 v[128:129], v[14:15], v[128:129]
	v_fmac_f64_e32 v[172:173], v[6:7], v[20:21]
	v_fma_f64 v[178:179], v[4:5], v[20:21], -v[22:23]
	ds_load_b128 v[4:7], v2 offset:1216
	ds_load_b128 v[20:23], v2 offset:1232
	v_add_f64_e32 v[180:181], v[148:149], v[146:147]
	v_add_f64_e32 v[170:171], v[170:171], v[174:175]
	scratch_load_b128 v[146:149], off, off offset:576
	s_wait_loadcnt_dscnt 0xb01
	v_mul_f64_e32 v[174:175], v[4:5], v[132:133]
	v_mul_f64_e32 v[132:133], v[6:7], v[132:133]
	v_fmac_f64_e32 v[176:177], v[14:15], v[126:127]
	v_fma_f64 v[126:127], v[12:13], v[126:127], -v[128:129]
	scratch_load_b128 v[12:15], off, off offset:592
	v_add_f64_e32 v[128:129], v[180:181], v[178:179]
	v_add_f64_e32 v[170:171], v[170:171], v[172:173]
	s_wait_loadcnt_dscnt 0xb00
	v_mul_f64_e32 v[172:173], v[20:21], v[136:137]
	v_mul_f64_e32 v[136:137], v[22:23], v[136:137]
	v_fmac_f64_e32 v[174:175], v[6:7], v[130:131]
	v_fma_f64 v[178:179], v[4:5], v[130:131], -v[132:133]
	v_add_f64_e32 v[180:181], v[128:129], v[126:127]
	v_add_f64_e32 v[170:171], v[170:171], v[176:177]
	ds_load_b128 v[4:7], v2 offset:1248
	ds_load_b128 v[126:129], v2 offset:1264
	scratch_load_b128 v[130:133], off, off offset:608
	v_fmac_f64_e32 v[172:173], v[22:23], v[134:135]
	v_fma_f64 v[134:135], v[20:21], v[134:135], -v[136:137]
	scratch_load_b128 v[20:23], off, off offset:624
	s_wait_loadcnt_dscnt 0xc01
	v_mul_f64_e32 v[176:177], v[4:5], v[140:141]
	v_mul_f64_e32 v[140:141], v[6:7], v[140:141]
	v_add_f64_e32 v[136:137], v[180:181], v[178:179]
	v_add_f64_e32 v[170:171], v[170:171], v[174:175]
	s_wait_loadcnt_dscnt 0xb00
	v_mul_f64_e32 v[174:175], v[126:127], v[144:145]
	v_mul_f64_e32 v[144:145], v[128:129], v[144:145]
	v_fmac_f64_e32 v[176:177], v[6:7], v[138:139]
	v_fma_f64 v[178:179], v[4:5], v[138:139], -v[140:141]
	v_add_f64_e32 v[180:181], v[136:137], v[134:135]
	v_add_f64_e32 v[170:171], v[170:171], v[172:173]
	ds_load_b128 v[4:7], v2 offset:1280
	ds_load_b128 v[134:137], v2 offset:1296
	scratch_load_b128 v[138:141], off, off offset:640
	v_fmac_f64_e32 v[174:175], v[128:129], v[142:143]
	v_fma_f64 v[142:143], v[126:127], v[142:143], -v[144:145]
	scratch_load_b128 v[126:129], off, off offset:656
	s_wait_loadcnt_dscnt 0xc01
	v_mul_f64_e32 v[172:173], v[4:5], v[152:153]
	v_mul_f64_e32 v[152:153], v[6:7], v[152:153]
	;; [unrolled: 18-line block ×5, first 2 shown]
	v_add_f64_e32 v[164:165], v[180:181], v[178:179]
	v_add_f64_e32 v[170:171], v[170:171], v[176:177]
	s_wait_loadcnt_dscnt 0xa00
	v_mul_f64_e32 v[176:177], v[142:143], v[14:15]
	v_mul_f64_e32 v[14:15], v[144:145], v[14:15]
	v_fmac_f64_e32 v[172:173], v[6:7], v[146:147]
	v_fma_f64 v[178:179], v[4:5], v[146:147], -v[148:149]
	ds_load_b128 v[4:7], v2 offset:1408
	ds_load_b128 v[146:149], v2 offset:1424
	v_add_f64_e32 v[180:181], v[164:165], v[162:163]
	v_add_f64_e32 v[170:171], v[170:171], v[174:175]
	scratch_load_b128 v[162:165], off, off offset:768
	v_fmac_f64_e32 v[176:177], v[144:145], v[12:13]
	v_fma_f64 v[142:143], v[142:143], v[12:13], -v[14:15]
	scratch_load_b128 v[12:15], off, off offset:784
	s_wait_loadcnt_dscnt 0xb01
	v_mul_f64_e32 v[174:175], v[4:5], v[132:133]
	v_mul_f64_e32 v[132:133], v[6:7], v[132:133]
	v_add_f64_e32 v[144:145], v[180:181], v[178:179]
	v_add_f64_e32 v[170:171], v[170:171], v[172:173]
	s_wait_loadcnt_dscnt 0xa00
	v_mul_f64_e32 v[172:173], v[146:147], v[22:23]
	v_mul_f64_e32 v[22:23], v[148:149], v[22:23]
	v_fmac_f64_e32 v[174:175], v[6:7], v[130:131]
	v_fma_f64 v[178:179], v[4:5], v[130:131], -v[132:133]
	ds_load_b128 v[4:7], v2 offset:1440
	ds_load_b128 v[130:133], v2 offset:1456
	v_add_f64_e32 v[142:143], v[144:145], v[142:143]
	v_add_f64_e32 v[144:145], v[170:171], v[176:177]
	v_fmac_f64_e32 v[172:173], v[148:149], v[20:21]
	s_wait_loadcnt_dscnt 0x901
	v_mul_f64_e32 v[170:171], v[4:5], v[140:141]
	v_mul_f64_e32 v[140:141], v[6:7], v[140:141]
	v_fma_f64 v[20:21], v[146:147], v[20:21], -v[22:23]
	v_add_f64_e32 v[22:23], v[142:143], v[178:179]
	v_add_f64_e32 v[142:143], v[144:145], v[174:175]
	s_wait_loadcnt_dscnt 0x800
	v_mul_f64_e32 v[144:145], v[130:131], v[128:129]
	v_mul_f64_e32 v[128:129], v[132:133], v[128:129]
	v_fmac_f64_e32 v[170:171], v[6:7], v[138:139]
	v_fma_f64 v[138:139], v[4:5], v[138:139], -v[140:141]
	v_add_f64_e32 v[140:141], v[22:23], v[20:21]
	v_add_f64_e32 v[142:143], v[142:143], v[172:173]
	ds_load_b128 v[4:7], v2 offset:1472
	ds_load_b128 v[20:23], v2 offset:1488
	v_fmac_f64_e32 v[144:145], v[132:133], v[126:127]
	v_fma_f64 v[126:127], v[130:131], v[126:127], -v[128:129]
	s_wait_loadcnt_dscnt 0x701
	v_mul_f64_e32 v[146:147], v[4:5], v[152:153]
	v_mul_f64_e32 v[148:149], v[6:7], v[152:153]
	s_wait_loadcnt_dscnt 0x600
	v_mul_f64_e32 v[132:133], v[20:21], v[136:137]
	v_mul_f64_e32 v[136:137], v[22:23], v[136:137]
	v_add_f64_e32 v[128:129], v[140:141], v[138:139]
	v_add_f64_e32 v[130:131], v[142:143], v[170:171]
	v_fmac_f64_e32 v[146:147], v[6:7], v[150:151]
	v_fma_f64 v[138:139], v[4:5], v[150:151], -v[148:149]
	v_fmac_f64_e32 v[132:133], v[22:23], v[134:135]
	v_fma_f64 v[20:21], v[20:21], v[134:135], -v[136:137]
	v_add_f64_e32 v[140:141], v[128:129], v[126:127]
	v_add_f64_e32 v[130:131], v[130:131], v[144:145]
	ds_load_b128 v[4:7], v2 offset:1504
	ds_load_b128 v[126:129], v2 offset:1520
	s_wait_loadcnt_dscnt 0x501
	v_mul_f64_e32 v[142:143], v[4:5], v[168:169]
	v_mul_f64_e32 v[144:145], v[6:7], v[168:169]
	s_wait_loadcnt_dscnt 0x400
	v_mul_f64_e32 v[134:135], v[126:127], v[10:11]
	v_mul_f64_e32 v[10:11], v[128:129], v[10:11]
	v_add_f64_e32 v[22:23], v[140:141], v[138:139]
	v_add_f64_e32 v[130:131], v[130:131], v[146:147]
	v_fmac_f64_e32 v[142:143], v[6:7], v[166:167]
	v_fma_f64 v[136:137], v[4:5], v[166:167], -v[144:145]
	v_fmac_f64_e32 v[134:135], v[128:129], v[8:9]
	v_fma_f64 v[8:9], v[126:127], v[8:9], -v[10:11]
	v_add_f64_e32 v[138:139], v[22:23], v[20:21]
	v_add_f64_e32 v[130:131], v[130:131], v[132:133]
	ds_load_b128 v[4:7], v2 offset:1536
	ds_load_b128 v[20:23], v2 offset:1552
	;; [unrolled: 16-line block ×3, first 2 shown]
	s_wait_loadcnt_dscnt 0x101
	v_mul_f64_e32 v[2:3], v[4:5], v[164:165]
	v_mul_f64_e32 v[134:135], v[6:7], v[164:165]
	s_wait_loadcnt_dscnt 0x0
	v_mul_f64_e32 v[22:23], v[8:9], v[14:15]
	v_mul_f64_e32 v[14:15], v[10:11], v[14:15]
	v_add_f64_e32 v[18:19], v[136:137], v[130:131]
	v_add_f64_e32 v[20:21], v[126:127], v[132:133]
	v_fmac_f64_e32 v[2:3], v[6:7], v[162:163]
	v_fma_f64 v[4:5], v[4:5], v[162:163], -v[134:135]
	v_fmac_f64_e32 v[22:23], v[10:11], v[12:13]
	v_fma_f64 v[8:9], v[8:9], v[12:13], -v[14:15]
	v_add_f64_e32 v[6:7], v[18:19], v[16:17]
	v_add_f64_e32 v[16:17], v[20:21], v[128:129]
	s_delay_alu instid0(VALU_DEP_2) | instskip(NEXT) | instid1(VALU_DEP_2)
	v_add_f64_e32 v[4:5], v[6:7], v[4:5]
	v_add_f64_e32 v[2:3], v[16:17], v[2:3]
	s_delay_alu instid0(VALU_DEP_2) | instskip(NEXT) | instid1(VALU_DEP_2)
	;; [unrolled: 3-line block ×3, first 2 shown]
	v_add_f64_e64 v[2:3], v[158:159], -v[4:5]
	v_add_f64_e64 v[4:5], v[160:161], -v[6:7]
	scratch_store_b128 off, v[2:5], off offset:304
	s_wait_xcnt 0x0
	v_cmpx_lt_u32_e32 18, v1
	s_cbranch_execz .LBB113_277
; %bb.276:
	scratch_load_b128 v[2:5], off, s48
	v_mov_b32_e32 v6, 0
	s_delay_alu instid0(VALU_DEP_1)
	v_dual_mov_b32 v7, v6 :: v_dual_mov_b32 v8, v6
	v_mov_b32_e32 v9, v6
	scratch_store_b128 off, v[6:9], off offset:288
	s_wait_loadcnt 0x0
	ds_store_b128 v124, v[2:5]
.LBB113_277:
	s_wait_xcnt 0x0
	s_or_b32 exec_lo, exec_lo, s2
	s_wait_storecnt_dscnt 0x0
	s_barrier_signal -1
	s_barrier_wait -1
	s_clause 0x9
	scratch_load_b128 v[4:7], off, off offset:304
	scratch_load_b128 v[8:11], off, off offset:320
	;; [unrolled: 1-line block ×10, first 2 shown]
	v_mov_b32_e32 v2, 0
	s_mov_b32 s2, exec_lo
	ds_load_b128 v[146:149], v2 offset:1104
	s_clause 0x2
	scratch_load_b128 v[150:153], off, off offset:464
	scratch_load_b128 v[154:157], off, off offset:288
	;; [unrolled: 1-line block ×3, first 2 shown]
	s_wait_loadcnt_dscnt 0xc00
	v_mul_f64_e32 v[166:167], v[148:149], v[6:7]
	v_mul_f64_e32 v[170:171], v[146:147], v[6:7]
	ds_load_b128 v[158:161], v2 offset:1120
	v_fma_f64 v[174:175], v[146:147], v[4:5], -v[166:167]
	v_fmac_f64_e32 v[170:171], v[148:149], v[4:5]
	ds_load_b128 v[4:7], v2 offset:1136
	s_wait_loadcnt_dscnt 0xb01
	v_mul_f64_e32 v[172:173], v[158:159], v[10:11]
	v_mul_f64_e32 v[10:11], v[160:161], v[10:11]
	scratch_load_b128 v[146:149], off, off offset:496
	ds_load_b128 v[166:169], v2 offset:1152
	s_wait_loadcnt_dscnt 0xb01
	v_mul_f64_e32 v[176:177], v[4:5], v[14:15]
	v_mul_f64_e32 v[14:15], v[6:7], v[14:15]
	v_add_f64_e32 v[170:171], 0, v[170:171]
	v_fmac_f64_e32 v[172:173], v[160:161], v[8:9]
	v_fma_f64 v[158:159], v[158:159], v[8:9], -v[10:11]
	v_add_f64_e32 v[160:161], 0, v[174:175]
	scratch_load_b128 v[8:11], off, off offset:512
	v_fmac_f64_e32 v[176:177], v[6:7], v[12:13]
	v_fma_f64 v[178:179], v[4:5], v[12:13], -v[14:15]
	ds_load_b128 v[4:7], v2 offset:1168
	s_wait_loadcnt_dscnt 0xb01
	v_mul_f64_e32 v[174:175], v[166:167], v[18:19]
	v_mul_f64_e32 v[18:19], v[168:169], v[18:19]
	scratch_load_b128 v[12:15], off, off offset:528
	v_add_f64_e32 v[170:171], v[170:171], v[172:173]
	v_add_f64_e32 v[180:181], v[160:161], v[158:159]
	ds_load_b128 v[158:161], v2 offset:1184
	s_wait_loadcnt_dscnt 0xb01
	v_mul_f64_e32 v[172:173], v[4:5], v[22:23]
	v_mul_f64_e32 v[22:23], v[6:7], v[22:23]
	v_fmac_f64_e32 v[174:175], v[168:169], v[16:17]
	v_fma_f64 v[166:167], v[166:167], v[16:17], -v[18:19]
	scratch_load_b128 v[16:19], off, off offset:544
	v_add_f64_e32 v[170:171], v[170:171], v[176:177]
	v_add_f64_e32 v[168:169], v[180:181], v[178:179]
	v_fmac_f64_e32 v[172:173], v[6:7], v[20:21]
	v_fma_f64 v[178:179], v[4:5], v[20:21], -v[22:23]
	ds_load_b128 v[4:7], v2 offset:1200
	s_wait_loadcnt_dscnt 0xb01
	v_mul_f64_e32 v[176:177], v[158:159], v[128:129]
	v_mul_f64_e32 v[128:129], v[160:161], v[128:129]
	scratch_load_b128 v[20:23], off, off offset:560
	v_add_f64_e32 v[170:171], v[170:171], v[174:175]
	s_wait_loadcnt_dscnt 0xb00
	v_mul_f64_e32 v[174:175], v[4:5], v[132:133]
	v_add_f64_e32 v[180:181], v[168:169], v[166:167]
	v_mul_f64_e32 v[132:133], v[6:7], v[132:133]
	ds_load_b128 v[166:169], v2 offset:1216
	v_fmac_f64_e32 v[176:177], v[160:161], v[126:127]
	v_fma_f64 v[158:159], v[158:159], v[126:127], -v[128:129]
	scratch_load_b128 v[126:129], off, off offset:576
	v_add_f64_e32 v[170:171], v[170:171], v[172:173]
	v_fmac_f64_e32 v[174:175], v[6:7], v[130:131]
	v_add_f64_e32 v[160:161], v[180:181], v[178:179]
	v_fma_f64 v[178:179], v[4:5], v[130:131], -v[132:133]
	ds_load_b128 v[4:7], v2 offset:1232
	s_wait_loadcnt_dscnt 0xb01
	v_mul_f64_e32 v[172:173], v[166:167], v[136:137]
	v_mul_f64_e32 v[136:137], v[168:169], v[136:137]
	scratch_load_b128 v[130:133], off, off offset:592
	v_add_f64_e32 v[170:171], v[170:171], v[176:177]
	s_wait_loadcnt_dscnt 0xb00
	v_mul_f64_e32 v[176:177], v[4:5], v[140:141]
	v_add_f64_e32 v[180:181], v[160:161], v[158:159]
	v_mul_f64_e32 v[140:141], v[6:7], v[140:141]
	ds_load_b128 v[158:161], v2 offset:1248
	v_fmac_f64_e32 v[172:173], v[168:169], v[134:135]
	v_fma_f64 v[166:167], v[166:167], v[134:135], -v[136:137]
	scratch_load_b128 v[134:137], off, off offset:608
	v_add_f64_e32 v[170:171], v[170:171], v[174:175]
	v_fmac_f64_e32 v[176:177], v[6:7], v[138:139]
	v_add_f64_e32 v[168:169], v[180:181], v[178:179]
	;; [unrolled: 18-line block ×3, first 2 shown]
	v_fma_f64 v[178:179], v[4:5], v[150:151], -v[152:153]
	ds_load_b128 v[4:7], v2 offset:1296
	s_wait_loadcnt_dscnt 0xa01
	v_mul_f64_e32 v[176:177], v[166:167], v[164:165]
	v_mul_f64_e32 v[164:165], v[168:169], v[164:165]
	scratch_load_b128 v[150:153], off, off offset:656
	v_add_f64_e32 v[170:171], v[170:171], v[174:175]
	v_add_f64_e32 v[180:181], v[160:161], v[158:159]
	s_wait_loadcnt_dscnt 0xa00
	v_mul_f64_e32 v[174:175], v[4:5], v[148:149]
	v_mul_f64_e32 v[148:149], v[6:7], v[148:149]
	v_fmac_f64_e32 v[176:177], v[168:169], v[162:163]
	v_fma_f64 v[166:167], v[166:167], v[162:163], -v[164:165]
	ds_load_b128 v[158:161], v2 offset:1312
	scratch_load_b128 v[162:165], off, off offset:672
	v_add_f64_e32 v[170:171], v[170:171], v[172:173]
	v_add_f64_e32 v[168:169], v[180:181], v[178:179]
	v_fmac_f64_e32 v[174:175], v[6:7], v[146:147]
	v_fma_f64 v[178:179], v[4:5], v[146:147], -v[148:149]
	ds_load_b128 v[4:7], v2 offset:1328
	s_wait_loadcnt_dscnt 0xa01
	v_mul_f64_e32 v[172:173], v[158:159], v[10:11]
	v_mul_f64_e32 v[10:11], v[160:161], v[10:11]
	scratch_load_b128 v[146:149], off, off offset:688
	v_add_f64_e32 v[170:171], v[170:171], v[176:177]
	s_wait_loadcnt_dscnt 0xa00
	v_mul_f64_e32 v[176:177], v[4:5], v[14:15]
	v_add_f64_e32 v[180:181], v[168:169], v[166:167]
	v_mul_f64_e32 v[14:15], v[6:7], v[14:15]
	ds_load_b128 v[166:169], v2 offset:1344
	v_fmac_f64_e32 v[172:173], v[160:161], v[8:9]
	v_fma_f64 v[158:159], v[158:159], v[8:9], -v[10:11]
	scratch_load_b128 v[8:11], off, off offset:704
	v_add_f64_e32 v[170:171], v[170:171], v[174:175]
	v_fmac_f64_e32 v[176:177], v[6:7], v[12:13]
	v_add_f64_e32 v[160:161], v[180:181], v[178:179]
	v_fma_f64 v[178:179], v[4:5], v[12:13], -v[14:15]
	ds_load_b128 v[4:7], v2 offset:1360
	s_wait_loadcnt_dscnt 0xa01
	v_mul_f64_e32 v[174:175], v[166:167], v[18:19]
	v_mul_f64_e32 v[18:19], v[168:169], v[18:19]
	scratch_load_b128 v[12:15], off, off offset:720
	v_add_f64_e32 v[170:171], v[170:171], v[172:173]
	s_wait_loadcnt_dscnt 0xa00
	v_mul_f64_e32 v[172:173], v[4:5], v[22:23]
	v_add_f64_e32 v[180:181], v[160:161], v[158:159]
	v_mul_f64_e32 v[22:23], v[6:7], v[22:23]
	ds_load_b128 v[158:161], v2 offset:1376
	v_fmac_f64_e32 v[174:175], v[168:169], v[16:17]
	v_fma_f64 v[166:167], v[166:167], v[16:17], -v[18:19]
	scratch_load_b128 v[16:19], off, off offset:736
	v_add_f64_e32 v[170:171], v[170:171], v[176:177]
	v_fmac_f64_e32 v[172:173], v[6:7], v[20:21]
	v_add_f64_e32 v[168:169], v[180:181], v[178:179]
	;; [unrolled: 18-line block ×3, first 2 shown]
	v_fma_f64 v[178:179], v[4:5], v[130:131], -v[132:133]
	ds_load_b128 v[4:7], v2 offset:1424
	s_wait_loadcnt_dscnt 0xa01
	v_mul_f64_e32 v[172:173], v[166:167], v[136:137]
	v_mul_f64_e32 v[136:137], v[168:169], v[136:137]
	scratch_load_b128 v[130:133], off, off offset:784
	v_add_f64_e32 v[170:171], v[170:171], v[176:177]
	s_wait_loadcnt_dscnt 0xa00
	v_mul_f64_e32 v[176:177], v[4:5], v[140:141]
	v_add_f64_e32 v[180:181], v[160:161], v[158:159]
	v_mul_f64_e32 v[140:141], v[6:7], v[140:141]
	ds_load_b128 v[158:161], v2 offset:1440
	v_fmac_f64_e32 v[172:173], v[168:169], v[134:135]
	v_fma_f64 v[134:135], v[166:167], v[134:135], -v[136:137]
	s_wait_loadcnt_dscnt 0x900
	v_mul_f64_e32 v[168:169], v[158:159], v[144:145]
	v_mul_f64_e32 v[144:145], v[160:161], v[144:145]
	v_add_f64_e32 v[166:167], v[170:171], v[174:175]
	v_fmac_f64_e32 v[176:177], v[6:7], v[138:139]
	v_add_f64_e32 v[136:137], v[180:181], v[178:179]
	v_fma_f64 v[138:139], v[4:5], v[138:139], -v[140:141]
	v_fmac_f64_e32 v[168:169], v[160:161], v[142:143]
	v_fma_f64 v[142:143], v[158:159], v[142:143], -v[144:145]
	v_add_f64_e32 v[166:167], v[166:167], v[172:173]
	v_add_f64_e32 v[140:141], v[136:137], v[134:135]
	ds_load_b128 v[4:7], v2 offset:1456
	ds_load_b128 v[134:137], v2 offset:1472
	s_wait_loadcnt_dscnt 0x801
	v_mul_f64_e32 v[170:171], v[4:5], v[152:153]
	v_mul_f64_e32 v[152:153], v[6:7], v[152:153]
	s_wait_loadcnt_dscnt 0x700
	v_mul_f64_e32 v[144:145], v[134:135], v[164:165]
	v_mul_f64_e32 v[158:159], v[136:137], v[164:165]
	v_add_f64_e32 v[138:139], v[140:141], v[138:139]
	v_add_f64_e32 v[140:141], v[166:167], v[176:177]
	v_fmac_f64_e32 v[170:171], v[6:7], v[150:151]
	v_fma_f64 v[150:151], v[4:5], v[150:151], -v[152:153]
	v_fmac_f64_e32 v[144:145], v[136:137], v[162:163]
	v_fma_f64 v[134:135], v[134:135], v[162:163], -v[158:159]
	v_add_f64_e32 v[142:143], v[138:139], v[142:143]
	v_add_f64_e32 v[152:153], v[140:141], v[168:169]
	ds_load_b128 v[4:7], v2 offset:1488
	ds_load_b128 v[138:141], v2 offset:1504
	s_wait_loadcnt_dscnt 0x601
	v_mul_f64_e32 v[160:161], v[4:5], v[148:149]
	v_mul_f64_e32 v[148:149], v[6:7], v[148:149]
	v_add_f64_e32 v[136:137], v[142:143], v[150:151]
	v_add_f64_e32 v[142:143], v[152:153], v[170:171]
	s_wait_loadcnt_dscnt 0x500
	v_mul_f64_e32 v[150:151], v[138:139], v[10:11]
	v_mul_f64_e32 v[10:11], v[140:141], v[10:11]
	v_fmac_f64_e32 v[160:161], v[6:7], v[146:147]
	v_fma_f64 v[146:147], v[4:5], v[146:147], -v[148:149]
	v_add_f64_e32 v[148:149], v[136:137], v[134:135]
	v_add_f64_e32 v[142:143], v[142:143], v[144:145]
	ds_load_b128 v[4:7], v2 offset:1520
	ds_load_b128 v[134:137], v2 offset:1536
	v_fmac_f64_e32 v[150:151], v[140:141], v[8:9]
	v_fma_f64 v[8:9], v[138:139], v[8:9], -v[10:11]
	s_wait_loadcnt_dscnt 0x401
	v_mul_f64_e32 v[144:145], v[4:5], v[14:15]
	v_mul_f64_e32 v[14:15], v[6:7], v[14:15]
	s_wait_loadcnt_dscnt 0x300
	v_mul_f64_e32 v[140:141], v[134:135], v[18:19]
	v_mul_f64_e32 v[18:19], v[136:137], v[18:19]
	v_add_f64_e32 v[10:11], v[148:149], v[146:147]
	v_add_f64_e32 v[138:139], v[142:143], v[160:161]
	v_fmac_f64_e32 v[144:145], v[6:7], v[12:13]
	v_fma_f64 v[12:13], v[4:5], v[12:13], -v[14:15]
	v_fmac_f64_e32 v[140:141], v[136:137], v[16:17]
	v_fma_f64 v[16:17], v[134:135], v[16:17], -v[18:19]
	v_add_f64_e32 v[14:15], v[10:11], v[8:9]
	v_add_f64_e32 v[138:139], v[138:139], v[150:151]
	ds_load_b128 v[4:7], v2 offset:1552
	ds_load_b128 v[8:11], v2 offset:1568
	s_wait_loadcnt_dscnt 0x201
	v_mul_f64_e32 v[142:143], v[4:5], v[22:23]
	v_mul_f64_e32 v[22:23], v[6:7], v[22:23]
	s_wait_loadcnt_dscnt 0x100
	v_mul_f64_e32 v[18:19], v[8:9], v[128:129]
	v_mul_f64_e32 v[128:129], v[10:11], v[128:129]
	v_add_f64_e32 v[12:13], v[14:15], v[12:13]
	v_add_f64_e32 v[14:15], v[138:139], v[144:145]
	v_fmac_f64_e32 v[142:143], v[6:7], v[20:21]
	v_fma_f64 v[20:21], v[4:5], v[20:21], -v[22:23]
	ds_load_b128 v[4:7], v2 offset:1584
	v_fmac_f64_e32 v[18:19], v[10:11], v[126:127]
	v_fma_f64 v[8:9], v[8:9], v[126:127], -v[128:129]
	v_add_f64_e32 v[12:13], v[12:13], v[16:17]
	v_add_f64_e32 v[14:15], v[14:15], v[140:141]
	s_wait_loadcnt_dscnt 0x0
	v_mul_f64_e32 v[16:17], v[4:5], v[132:133]
	v_mul_f64_e32 v[22:23], v[6:7], v[132:133]
	s_delay_alu instid0(VALU_DEP_4) | instskip(NEXT) | instid1(VALU_DEP_4)
	v_add_f64_e32 v[10:11], v[12:13], v[20:21]
	v_add_f64_e32 v[12:13], v[14:15], v[142:143]
	s_delay_alu instid0(VALU_DEP_4) | instskip(NEXT) | instid1(VALU_DEP_4)
	v_fmac_f64_e32 v[16:17], v[6:7], v[130:131]
	v_fma_f64 v[4:5], v[4:5], v[130:131], -v[22:23]
	s_delay_alu instid0(VALU_DEP_4) | instskip(NEXT) | instid1(VALU_DEP_4)
	v_add_f64_e32 v[6:7], v[10:11], v[8:9]
	v_add_f64_e32 v[8:9], v[12:13], v[18:19]
	s_delay_alu instid0(VALU_DEP_2) | instskip(NEXT) | instid1(VALU_DEP_2)
	v_add_f64_e32 v[4:5], v[6:7], v[4:5]
	v_add_f64_e32 v[6:7], v[8:9], v[16:17]
	s_delay_alu instid0(VALU_DEP_2) | instskip(NEXT) | instid1(VALU_DEP_2)
	v_add_f64_e64 v[4:5], v[154:155], -v[4:5]
	v_add_f64_e64 v[6:7], v[156:157], -v[6:7]
	scratch_store_b128 off, v[4:7], off offset:288
	s_wait_xcnt 0x0
	v_cmpx_lt_u32_e32 17, v1
	s_cbranch_execz .LBB113_279
; %bb.278:
	scratch_load_b128 v[6:9], off, s49
	v_dual_mov_b32 v3, v2 :: v_dual_mov_b32 v4, v2
	v_mov_b32_e32 v5, v2
	scratch_store_b128 off, v[2:5], off offset:272
	s_wait_loadcnt 0x0
	ds_store_b128 v124, v[6:9]
.LBB113_279:
	s_wait_xcnt 0x0
	s_or_b32 exec_lo, exec_lo, s2
	s_wait_storecnt_dscnt 0x0
	s_barrier_signal -1
	s_barrier_wait -1
	s_clause 0x9
	scratch_load_b128 v[4:7], off, off offset:288
	scratch_load_b128 v[8:11], off, off offset:304
	;; [unrolled: 1-line block ×10, first 2 shown]
	ds_load_b128 v[146:149], v2 offset:1088
	ds_load_b128 v[154:157], v2 offset:1104
	s_clause 0x2
	scratch_load_b128 v[150:153], off, off offset:448
	scratch_load_b128 v[158:161], off, off offset:272
	;; [unrolled: 1-line block ×3, first 2 shown]
	s_mov_b32 s2, exec_lo
	s_wait_loadcnt_dscnt 0xc01
	v_mul_f64_e32 v[166:167], v[148:149], v[6:7]
	v_mul_f64_e32 v[170:171], v[146:147], v[6:7]
	s_wait_loadcnt_dscnt 0xb00
	v_mul_f64_e32 v[172:173], v[154:155], v[10:11]
	v_mul_f64_e32 v[10:11], v[156:157], v[10:11]
	s_delay_alu instid0(VALU_DEP_4) | instskip(NEXT) | instid1(VALU_DEP_4)
	v_fma_f64 v[174:175], v[146:147], v[4:5], -v[166:167]
	v_fmac_f64_e32 v[170:171], v[148:149], v[4:5]
	ds_load_b128 v[4:7], v2 offset:1120
	ds_load_b128 v[146:149], v2 offset:1136
	scratch_load_b128 v[166:169], off, off offset:480
	v_fmac_f64_e32 v[172:173], v[156:157], v[8:9]
	v_fma_f64 v[154:155], v[154:155], v[8:9], -v[10:11]
	scratch_load_b128 v[8:11], off, off offset:496
	s_wait_loadcnt_dscnt 0xc01
	v_mul_f64_e32 v[176:177], v[4:5], v[14:15]
	v_mul_f64_e32 v[14:15], v[6:7], v[14:15]
	v_add_f64_e32 v[156:157], 0, v[174:175]
	v_add_f64_e32 v[170:171], 0, v[170:171]
	s_wait_loadcnt_dscnt 0xb00
	v_mul_f64_e32 v[174:175], v[146:147], v[18:19]
	v_mul_f64_e32 v[18:19], v[148:149], v[18:19]
	v_fmac_f64_e32 v[176:177], v[6:7], v[12:13]
	v_fma_f64 v[178:179], v[4:5], v[12:13], -v[14:15]
	ds_load_b128 v[4:7], v2 offset:1152
	ds_load_b128 v[12:15], v2 offset:1168
	v_add_f64_e32 v[180:181], v[156:157], v[154:155]
	v_add_f64_e32 v[170:171], v[170:171], v[172:173]
	scratch_load_b128 v[154:157], off, off offset:512
	v_fmac_f64_e32 v[174:175], v[148:149], v[16:17]
	v_fma_f64 v[146:147], v[146:147], v[16:17], -v[18:19]
	scratch_load_b128 v[16:19], off, off offset:528
	s_wait_loadcnt_dscnt 0xc01
	v_mul_f64_e32 v[172:173], v[4:5], v[22:23]
	v_mul_f64_e32 v[22:23], v[6:7], v[22:23]
	v_add_f64_e32 v[148:149], v[180:181], v[178:179]
	v_add_f64_e32 v[170:171], v[170:171], v[176:177]
	s_wait_loadcnt_dscnt 0xb00
	v_mul_f64_e32 v[176:177], v[12:13], v[128:129]
	v_mul_f64_e32 v[128:129], v[14:15], v[128:129]
	v_fmac_f64_e32 v[172:173], v[6:7], v[20:21]
	v_fma_f64 v[178:179], v[4:5], v[20:21], -v[22:23]
	ds_load_b128 v[4:7], v2 offset:1184
	ds_load_b128 v[20:23], v2 offset:1200
	v_add_f64_e32 v[180:181], v[148:149], v[146:147]
	v_add_f64_e32 v[170:171], v[170:171], v[174:175]
	scratch_load_b128 v[146:149], off, off offset:544
	s_wait_loadcnt_dscnt 0xb01
	v_mul_f64_e32 v[174:175], v[4:5], v[132:133]
	v_mul_f64_e32 v[132:133], v[6:7], v[132:133]
	v_fmac_f64_e32 v[176:177], v[14:15], v[126:127]
	v_fma_f64 v[126:127], v[12:13], v[126:127], -v[128:129]
	scratch_load_b128 v[12:15], off, off offset:560
	v_add_f64_e32 v[128:129], v[180:181], v[178:179]
	v_add_f64_e32 v[170:171], v[170:171], v[172:173]
	s_wait_loadcnt_dscnt 0xb00
	v_mul_f64_e32 v[172:173], v[20:21], v[136:137]
	v_mul_f64_e32 v[136:137], v[22:23], v[136:137]
	v_fmac_f64_e32 v[174:175], v[6:7], v[130:131]
	v_fma_f64 v[178:179], v[4:5], v[130:131], -v[132:133]
	v_add_f64_e32 v[180:181], v[128:129], v[126:127]
	v_add_f64_e32 v[170:171], v[170:171], v[176:177]
	ds_load_b128 v[4:7], v2 offset:1216
	ds_load_b128 v[126:129], v2 offset:1232
	scratch_load_b128 v[130:133], off, off offset:576
	v_fmac_f64_e32 v[172:173], v[22:23], v[134:135]
	v_fma_f64 v[134:135], v[20:21], v[134:135], -v[136:137]
	scratch_load_b128 v[20:23], off, off offset:592
	s_wait_loadcnt_dscnt 0xc01
	v_mul_f64_e32 v[176:177], v[4:5], v[140:141]
	v_mul_f64_e32 v[140:141], v[6:7], v[140:141]
	v_add_f64_e32 v[136:137], v[180:181], v[178:179]
	v_add_f64_e32 v[170:171], v[170:171], v[174:175]
	s_wait_loadcnt_dscnt 0xb00
	v_mul_f64_e32 v[174:175], v[126:127], v[144:145]
	v_mul_f64_e32 v[144:145], v[128:129], v[144:145]
	v_fmac_f64_e32 v[176:177], v[6:7], v[138:139]
	v_fma_f64 v[178:179], v[4:5], v[138:139], -v[140:141]
	v_add_f64_e32 v[180:181], v[136:137], v[134:135]
	v_add_f64_e32 v[170:171], v[170:171], v[172:173]
	ds_load_b128 v[4:7], v2 offset:1248
	ds_load_b128 v[134:137], v2 offset:1264
	scratch_load_b128 v[138:141], off, off offset:608
	v_fmac_f64_e32 v[174:175], v[128:129], v[142:143]
	v_fma_f64 v[142:143], v[126:127], v[142:143], -v[144:145]
	scratch_load_b128 v[126:129], off, off offset:624
	s_wait_loadcnt_dscnt 0xc01
	v_mul_f64_e32 v[172:173], v[4:5], v[152:153]
	v_mul_f64_e32 v[152:153], v[6:7], v[152:153]
	;; [unrolled: 18-line block ×5, first 2 shown]
	v_add_f64_e32 v[164:165], v[180:181], v[178:179]
	v_add_f64_e32 v[170:171], v[170:171], v[176:177]
	s_wait_loadcnt_dscnt 0xa00
	v_mul_f64_e32 v[176:177], v[142:143], v[14:15]
	v_mul_f64_e32 v[14:15], v[144:145], v[14:15]
	v_fmac_f64_e32 v[172:173], v[6:7], v[146:147]
	v_fma_f64 v[178:179], v[4:5], v[146:147], -v[148:149]
	ds_load_b128 v[4:7], v2 offset:1376
	ds_load_b128 v[146:149], v2 offset:1392
	v_add_f64_e32 v[180:181], v[164:165], v[162:163]
	v_add_f64_e32 v[170:171], v[170:171], v[174:175]
	scratch_load_b128 v[162:165], off, off offset:736
	v_fmac_f64_e32 v[176:177], v[144:145], v[12:13]
	v_fma_f64 v[142:143], v[142:143], v[12:13], -v[14:15]
	scratch_load_b128 v[12:15], off, off offset:752
	s_wait_loadcnt_dscnt 0xb01
	v_mul_f64_e32 v[174:175], v[4:5], v[132:133]
	v_mul_f64_e32 v[132:133], v[6:7], v[132:133]
	v_add_f64_e32 v[144:145], v[180:181], v[178:179]
	v_add_f64_e32 v[170:171], v[170:171], v[172:173]
	s_wait_loadcnt_dscnt 0xa00
	v_mul_f64_e32 v[172:173], v[146:147], v[22:23]
	v_mul_f64_e32 v[22:23], v[148:149], v[22:23]
	v_fmac_f64_e32 v[174:175], v[6:7], v[130:131]
	v_fma_f64 v[178:179], v[4:5], v[130:131], -v[132:133]
	ds_load_b128 v[4:7], v2 offset:1408
	ds_load_b128 v[130:133], v2 offset:1424
	v_add_f64_e32 v[180:181], v[144:145], v[142:143]
	v_add_f64_e32 v[170:171], v[170:171], v[176:177]
	scratch_load_b128 v[142:145], off, off offset:768
	s_wait_loadcnt_dscnt 0xa01
	v_mul_f64_e32 v[176:177], v[4:5], v[140:141]
	v_mul_f64_e32 v[140:141], v[6:7], v[140:141]
	v_fmac_f64_e32 v[172:173], v[148:149], v[20:21]
	v_fma_f64 v[146:147], v[146:147], v[20:21], -v[22:23]
	scratch_load_b128 v[20:23], off, off offset:784
	v_add_f64_e32 v[148:149], v[180:181], v[178:179]
	v_add_f64_e32 v[170:171], v[170:171], v[174:175]
	s_wait_loadcnt_dscnt 0xa00
	v_mul_f64_e32 v[174:175], v[130:131], v[128:129]
	v_mul_f64_e32 v[128:129], v[132:133], v[128:129]
	v_fmac_f64_e32 v[176:177], v[6:7], v[138:139]
	v_fma_f64 v[178:179], v[4:5], v[138:139], -v[140:141]
	ds_load_b128 v[4:7], v2 offset:1440
	ds_load_b128 v[138:141], v2 offset:1456
	v_add_f64_e32 v[146:147], v[148:149], v[146:147]
	v_add_f64_e32 v[148:149], v[170:171], v[172:173]
	v_fmac_f64_e32 v[174:175], v[132:133], v[126:127]
	s_wait_loadcnt_dscnt 0x901
	v_mul_f64_e32 v[170:171], v[4:5], v[152:153]
	v_mul_f64_e32 v[152:153], v[6:7], v[152:153]
	v_fma_f64 v[126:127], v[130:131], v[126:127], -v[128:129]
	s_wait_loadcnt_dscnt 0x800
	v_mul_f64_e32 v[132:133], v[138:139], v[136:137]
	v_mul_f64_e32 v[136:137], v[140:141], v[136:137]
	v_add_f64_e32 v[128:129], v[146:147], v[178:179]
	v_add_f64_e32 v[130:131], v[148:149], v[176:177]
	v_fmac_f64_e32 v[170:171], v[6:7], v[150:151]
	v_fma_f64 v[146:147], v[4:5], v[150:151], -v[152:153]
	v_fmac_f64_e32 v[132:133], v[140:141], v[134:135]
	v_fma_f64 v[134:135], v[138:139], v[134:135], -v[136:137]
	v_add_f64_e32 v[148:149], v[128:129], v[126:127]
	v_add_f64_e32 v[130:131], v[130:131], v[174:175]
	ds_load_b128 v[4:7], v2 offset:1472
	ds_load_b128 v[126:129], v2 offset:1488
	s_wait_loadcnt_dscnt 0x701
	v_mul_f64_e32 v[150:151], v[4:5], v[168:169]
	v_mul_f64_e32 v[152:153], v[6:7], v[168:169]
	s_wait_loadcnt_dscnt 0x600
	v_mul_f64_e32 v[138:139], v[126:127], v[10:11]
	v_mul_f64_e32 v[10:11], v[128:129], v[10:11]
	v_add_f64_e32 v[136:137], v[148:149], v[146:147]
	v_add_f64_e32 v[130:131], v[130:131], v[170:171]
	v_fmac_f64_e32 v[150:151], v[6:7], v[166:167]
	v_fma_f64 v[140:141], v[4:5], v[166:167], -v[152:153]
	v_fmac_f64_e32 v[138:139], v[128:129], v[8:9]
	v_fma_f64 v[8:9], v[126:127], v[8:9], -v[10:11]
	v_add_f64_e32 v[134:135], v[136:137], v[134:135]
	v_add_f64_e32 v[136:137], v[130:131], v[132:133]
	ds_load_b128 v[4:7], v2 offset:1504
	ds_load_b128 v[130:133], v2 offset:1520
	s_wait_loadcnt_dscnt 0x501
	v_mul_f64_e32 v[146:147], v[4:5], v[156:157]
	v_mul_f64_e32 v[148:149], v[6:7], v[156:157]
	;; [unrolled: 16-line block ×4, first 2 shown]
	v_add_f64_e32 v[10:11], v[18:19], v[134:135]
	v_add_f64_e32 v[12:13], v[126:127], v[138:139]
	s_wait_loadcnt_dscnt 0x0
	v_mul_f64_e32 v[18:19], v[14:15], v[22:23]
	v_mul_f64_e32 v[22:23], v[16:17], v[22:23]
	v_fmac_f64_e32 v[2:3], v[6:7], v[142:143]
	v_fma_f64 v[4:5], v[4:5], v[142:143], -v[128:129]
	v_add_f64_e32 v[6:7], v[10:11], v[8:9]
	v_add_f64_e32 v[8:9], v[12:13], v[130:131]
	v_fmac_f64_e32 v[18:19], v[16:17], v[20:21]
	v_fma_f64 v[10:11], v[14:15], v[20:21], -v[22:23]
	s_delay_alu instid0(VALU_DEP_4) | instskip(NEXT) | instid1(VALU_DEP_4)
	v_add_f64_e32 v[4:5], v[6:7], v[4:5]
	v_add_f64_e32 v[2:3], v[8:9], v[2:3]
	s_delay_alu instid0(VALU_DEP_2) | instskip(NEXT) | instid1(VALU_DEP_2)
	v_add_f64_e32 v[4:5], v[4:5], v[10:11]
	v_add_f64_e32 v[6:7], v[2:3], v[18:19]
	s_delay_alu instid0(VALU_DEP_2) | instskip(NEXT) | instid1(VALU_DEP_2)
	v_add_f64_e64 v[2:3], v[158:159], -v[4:5]
	v_add_f64_e64 v[4:5], v[160:161], -v[6:7]
	scratch_store_b128 off, v[2:5], off offset:272
	s_wait_xcnt 0x0
	v_cmpx_lt_u32_e32 16, v1
	s_cbranch_execz .LBB113_281
; %bb.280:
	scratch_load_b128 v[2:5], off, s50
	v_mov_b32_e32 v6, 0
	s_delay_alu instid0(VALU_DEP_1)
	v_dual_mov_b32 v7, v6 :: v_dual_mov_b32 v8, v6
	v_mov_b32_e32 v9, v6
	scratch_store_b128 off, v[6:9], off offset:256
	s_wait_loadcnt 0x0
	ds_store_b128 v124, v[2:5]
.LBB113_281:
	s_wait_xcnt 0x0
	s_or_b32 exec_lo, exec_lo, s2
	s_wait_storecnt_dscnt 0x0
	s_barrier_signal -1
	s_barrier_wait -1
	s_clause 0x9
	scratch_load_b128 v[4:7], off, off offset:272
	scratch_load_b128 v[8:11], off, off offset:288
	;; [unrolled: 1-line block ×10, first 2 shown]
	v_mov_b32_e32 v2, 0
	s_mov_b32 s2, exec_lo
	ds_load_b128 v[146:149], v2 offset:1072
	s_clause 0x2
	scratch_load_b128 v[150:153], off, off offset:432
	scratch_load_b128 v[154:157], off, off offset:256
	;; [unrolled: 1-line block ×3, first 2 shown]
	s_wait_loadcnt_dscnt 0xc00
	v_mul_f64_e32 v[166:167], v[148:149], v[6:7]
	v_mul_f64_e32 v[170:171], v[146:147], v[6:7]
	ds_load_b128 v[158:161], v2 offset:1088
	v_fma_f64 v[174:175], v[146:147], v[4:5], -v[166:167]
	v_fmac_f64_e32 v[170:171], v[148:149], v[4:5]
	ds_load_b128 v[4:7], v2 offset:1104
	s_wait_loadcnt_dscnt 0xb01
	v_mul_f64_e32 v[172:173], v[158:159], v[10:11]
	v_mul_f64_e32 v[10:11], v[160:161], v[10:11]
	scratch_load_b128 v[146:149], off, off offset:464
	ds_load_b128 v[166:169], v2 offset:1120
	s_wait_loadcnt_dscnt 0xb01
	v_mul_f64_e32 v[176:177], v[4:5], v[14:15]
	v_mul_f64_e32 v[14:15], v[6:7], v[14:15]
	v_add_f64_e32 v[170:171], 0, v[170:171]
	v_fmac_f64_e32 v[172:173], v[160:161], v[8:9]
	v_fma_f64 v[158:159], v[158:159], v[8:9], -v[10:11]
	v_add_f64_e32 v[160:161], 0, v[174:175]
	scratch_load_b128 v[8:11], off, off offset:480
	v_fmac_f64_e32 v[176:177], v[6:7], v[12:13]
	v_fma_f64 v[178:179], v[4:5], v[12:13], -v[14:15]
	ds_load_b128 v[4:7], v2 offset:1136
	s_wait_loadcnt_dscnt 0xb01
	v_mul_f64_e32 v[174:175], v[166:167], v[18:19]
	v_mul_f64_e32 v[18:19], v[168:169], v[18:19]
	scratch_load_b128 v[12:15], off, off offset:496
	v_add_f64_e32 v[170:171], v[170:171], v[172:173]
	v_add_f64_e32 v[180:181], v[160:161], v[158:159]
	ds_load_b128 v[158:161], v2 offset:1152
	s_wait_loadcnt_dscnt 0xb01
	v_mul_f64_e32 v[172:173], v[4:5], v[22:23]
	v_mul_f64_e32 v[22:23], v[6:7], v[22:23]
	v_fmac_f64_e32 v[174:175], v[168:169], v[16:17]
	v_fma_f64 v[166:167], v[166:167], v[16:17], -v[18:19]
	scratch_load_b128 v[16:19], off, off offset:512
	v_add_f64_e32 v[170:171], v[170:171], v[176:177]
	v_add_f64_e32 v[168:169], v[180:181], v[178:179]
	v_fmac_f64_e32 v[172:173], v[6:7], v[20:21]
	v_fma_f64 v[178:179], v[4:5], v[20:21], -v[22:23]
	ds_load_b128 v[4:7], v2 offset:1168
	s_wait_loadcnt_dscnt 0xb01
	v_mul_f64_e32 v[176:177], v[158:159], v[128:129]
	v_mul_f64_e32 v[128:129], v[160:161], v[128:129]
	scratch_load_b128 v[20:23], off, off offset:528
	v_add_f64_e32 v[170:171], v[170:171], v[174:175]
	s_wait_loadcnt_dscnt 0xb00
	v_mul_f64_e32 v[174:175], v[4:5], v[132:133]
	v_add_f64_e32 v[180:181], v[168:169], v[166:167]
	v_mul_f64_e32 v[132:133], v[6:7], v[132:133]
	ds_load_b128 v[166:169], v2 offset:1184
	v_fmac_f64_e32 v[176:177], v[160:161], v[126:127]
	v_fma_f64 v[158:159], v[158:159], v[126:127], -v[128:129]
	scratch_load_b128 v[126:129], off, off offset:544
	v_add_f64_e32 v[170:171], v[170:171], v[172:173]
	v_fmac_f64_e32 v[174:175], v[6:7], v[130:131]
	v_add_f64_e32 v[160:161], v[180:181], v[178:179]
	v_fma_f64 v[178:179], v[4:5], v[130:131], -v[132:133]
	ds_load_b128 v[4:7], v2 offset:1200
	s_wait_loadcnt_dscnt 0xb01
	v_mul_f64_e32 v[172:173], v[166:167], v[136:137]
	v_mul_f64_e32 v[136:137], v[168:169], v[136:137]
	scratch_load_b128 v[130:133], off, off offset:560
	v_add_f64_e32 v[170:171], v[170:171], v[176:177]
	s_wait_loadcnt_dscnt 0xb00
	v_mul_f64_e32 v[176:177], v[4:5], v[140:141]
	v_add_f64_e32 v[180:181], v[160:161], v[158:159]
	v_mul_f64_e32 v[140:141], v[6:7], v[140:141]
	ds_load_b128 v[158:161], v2 offset:1216
	v_fmac_f64_e32 v[172:173], v[168:169], v[134:135]
	v_fma_f64 v[166:167], v[166:167], v[134:135], -v[136:137]
	scratch_load_b128 v[134:137], off, off offset:576
	v_add_f64_e32 v[170:171], v[170:171], v[174:175]
	v_fmac_f64_e32 v[176:177], v[6:7], v[138:139]
	v_add_f64_e32 v[168:169], v[180:181], v[178:179]
	;; [unrolled: 18-line block ×3, first 2 shown]
	v_fma_f64 v[178:179], v[4:5], v[150:151], -v[152:153]
	ds_load_b128 v[4:7], v2 offset:1264
	s_wait_loadcnt_dscnt 0xa01
	v_mul_f64_e32 v[176:177], v[166:167], v[164:165]
	v_mul_f64_e32 v[164:165], v[168:169], v[164:165]
	scratch_load_b128 v[150:153], off, off offset:624
	v_add_f64_e32 v[170:171], v[170:171], v[174:175]
	v_add_f64_e32 v[180:181], v[160:161], v[158:159]
	s_wait_loadcnt_dscnt 0xa00
	v_mul_f64_e32 v[174:175], v[4:5], v[148:149]
	v_mul_f64_e32 v[148:149], v[6:7], v[148:149]
	v_fmac_f64_e32 v[176:177], v[168:169], v[162:163]
	v_fma_f64 v[166:167], v[166:167], v[162:163], -v[164:165]
	ds_load_b128 v[158:161], v2 offset:1280
	scratch_load_b128 v[162:165], off, off offset:640
	v_add_f64_e32 v[170:171], v[170:171], v[172:173]
	v_add_f64_e32 v[168:169], v[180:181], v[178:179]
	v_fmac_f64_e32 v[174:175], v[6:7], v[146:147]
	v_fma_f64 v[178:179], v[4:5], v[146:147], -v[148:149]
	ds_load_b128 v[4:7], v2 offset:1296
	s_wait_loadcnt_dscnt 0xa01
	v_mul_f64_e32 v[172:173], v[158:159], v[10:11]
	v_mul_f64_e32 v[10:11], v[160:161], v[10:11]
	scratch_load_b128 v[146:149], off, off offset:656
	v_add_f64_e32 v[170:171], v[170:171], v[176:177]
	s_wait_loadcnt_dscnt 0xa00
	v_mul_f64_e32 v[176:177], v[4:5], v[14:15]
	v_add_f64_e32 v[180:181], v[168:169], v[166:167]
	v_mul_f64_e32 v[14:15], v[6:7], v[14:15]
	ds_load_b128 v[166:169], v2 offset:1312
	v_fmac_f64_e32 v[172:173], v[160:161], v[8:9]
	v_fma_f64 v[158:159], v[158:159], v[8:9], -v[10:11]
	scratch_load_b128 v[8:11], off, off offset:672
	v_add_f64_e32 v[170:171], v[170:171], v[174:175]
	v_fmac_f64_e32 v[176:177], v[6:7], v[12:13]
	v_add_f64_e32 v[160:161], v[180:181], v[178:179]
	v_fma_f64 v[178:179], v[4:5], v[12:13], -v[14:15]
	ds_load_b128 v[4:7], v2 offset:1328
	s_wait_loadcnt_dscnt 0xa01
	v_mul_f64_e32 v[174:175], v[166:167], v[18:19]
	v_mul_f64_e32 v[18:19], v[168:169], v[18:19]
	scratch_load_b128 v[12:15], off, off offset:688
	v_add_f64_e32 v[170:171], v[170:171], v[172:173]
	s_wait_loadcnt_dscnt 0xa00
	v_mul_f64_e32 v[172:173], v[4:5], v[22:23]
	v_add_f64_e32 v[180:181], v[160:161], v[158:159]
	v_mul_f64_e32 v[22:23], v[6:7], v[22:23]
	ds_load_b128 v[158:161], v2 offset:1344
	v_fmac_f64_e32 v[174:175], v[168:169], v[16:17]
	v_fma_f64 v[166:167], v[166:167], v[16:17], -v[18:19]
	scratch_load_b128 v[16:19], off, off offset:704
	v_add_f64_e32 v[170:171], v[170:171], v[176:177]
	v_fmac_f64_e32 v[172:173], v[6:7], v[20:21]
	v_add_f64_e32 v[168:169], v[180:181], v[178:179]
	;; [unrolled: 18-line block ×4, first 2 shown]
	v_fma_f64 v[178:179], v[4:5], v[138:139], -v[140:141]
	ds_load_b128 v[4:7], v2 offset:1424
	s_wait_loadcnt_dscnt 0xa01
	v_mul_f64_e32 v[174:175], v[158:159], v[144:145]
	v_mul_f64_e32 v[144:145], v[160:161], v[144:145]
	scratch_load_b128 v[138:141], off, off offset:784
	v_add_f64_e32 v[170:171], v[170:171], v[172:173]
	s_wait_loadcnt_dscnt 0xa00
	v_mul_f64_e32 v[172:173], v[4:5], v[152:153]
	v_add_f64_e32 v[180:181], v[168:169], v[166:167]
	v_mul_f64_e32 v[152:153], v[6:7], v[152:153]
	ds_load_b128 v[166:169], v2 offset:1440
	v_fmac_f64_e32 v[174:175], v[160:161], v[142:143]
	v_fma_f64 v[142:143], v[158:159], v[142:143], -v[144:145]
	s_wait_loadcnt_dscnt 0x900
	v_mul_f64_e32 v[160:161], v[166:167], v[164:165]
	v_mul_f64_e32 v[164:165], v[168:169], v[164:165]
	v_add_f64_e32 v[158:159], v[170:171], v[176:177]
	v_fmac_f64_e32 v[172:173], v[6:7], v[150:151]
	v_add_f64_e32 v[144:145], v[180:181], v[178:179]
	v_fma_f64 v[150:151], v[4:5], v[150:151], -v[152:153]
	v_fmac_f64_e32 v[160:161], v[168:169], v[162:163]
	v_fma_f64 v[162:163], v[166:167], v[162:163], -v[164:165]
	v_add_f64_e32 v[158:159], v[158:159], v[174:175]
	v_add_f64_e32 v[152:153], v[144:145], v[142:143]
	ds_load_b128 v[4:7], v2 offset:1456
	ds_load_b128 v[142:145], v2 offset:1472
	s_wait_loadcnt_dscnt 0x801
	v_mul_f64_e32 v[170:171], v[4:5], v[148:149]
	v_mul_f64_e32 v[148:149], v[6:7], v[148:149]
	v_add_f64_e32 v[150:151], v[152:153], v[150:151]
	v_add_f64_e32 v[152:153], v[158:159], v[172:173]
	s_wait_loadcnt_dscnt 0x700
	v_mul_f64_e32 v[158:159], v[142:143], v[10:11]
	v_mul_f64_e32 v[10:11], v[144:145], v[10:11]
	v_fmac_f64_e32 v[170:171], v[6:7], v[146:147]
	v_fma_f64 v[164:165], v[4:5], v[146:147], -v[148:149]
	ds_load_b128 v[4:7], v2 offset:1488
	ds_load_b128 v[146:149], v2 offset:1504
	v_add_f64_e32 v[150:151], v[150:151], v[162:163]
	v_add_f64_e32 v[152:153], v[152:153], v[160:161]
	v_fmac_f64_e32 v[158:159], v[144:145], v[8:9]
	v_fma_f64 v[8:9], v[142:143], v[8:9], -v[10:11]
	s_wait_loadcnt_dscnt 0x601
	v_mul_f64_e32 v[160:161], v[4:5], v[14:15]
	v_mul_f64_e32 v[14:15], v[6:7], v[14:15]
	s_wait_loadcnt_dscnt 0x500
	v_mul_f64_e32 v[144:145], v[146:147], v[18:19]
	v_mul_f64_e32 v[18:19], v[148:149], v[18:19]
	v_add_f64_e32 v[10:11], v[150:151], v[164:165]
	v_add_f64_e32 v[142:143], v[152:153], v[170:171]
	v_fmac_f64_e32 v[160:161], v[6:7], v[12:13]
	v_fma_f64 v[12:13], v[4:5], v[12:13], -v[14:15]
	v_fmac_f64_e32 v[144:145], v[148:149], v[16:17]
	v_fma_f64 v[16:17], v[146:147], v[16:17], -v[18:19]
	v_add_f64_e32 v[14:15], v[10:11], v[8:9]
	v_add_f64_e32 v[142:143], v[142:143], v[158:159]
	ds_load_b128 v[4:7], v2 offset:1520
	ds_load_b128 v[8:11], v2 offset:1536
	s_wait_loadcnt_dscnt 0x401
	v_mul_f64_e32 v[150:151], v[4:5], v[22:23]
	v_mul_f64_e32 v[22:23], v[6:7], v[22:23]
	s_wait_loadcnt_dscnt 0x300
	v_mul_f64_e32 v[18:19], v[8:9], v[128:129]
	v_mul_f64_e32 v[128:129], v[10:11], v[128:129]
	v_add_f64_e32 v[12:13], v[14:15], v[12:13]
	v_add_f64_e32 v[14:15], v[142:143], v[160:161]
	v_fmac_f64_e32 v[150:151], v[6:7], v[20:21]
	v_fma_f64 v[20:21], v[4:5], v[20:21], -v[22:23]
	v_fmac_f64_e32 v[18:19], v[10:11], v[126:127]
	v_fma_f64 v[8:9], v[8:9], v[126:127], -v[128:129]
	v_add_f64_e32 v[16:17], v[12:13], v[16:17]
	v_add_f64_e32 v[22:23], v[14:15], v[144:145]
	ds_load_b128 v[4:7], v2 offset:1552
	ds_load_b128 v[12:15], v2 offset:1568
	s_wait_loadcnt_dscnt 0x201
	v_mul_f64_e32 v[142:143], v[4:5], v[132:133]
	v_mul_f64_e32 v[132:133], v[6:7], v[132:133]
	v_add_f64_e32 v[10:11], v[16:17], v[20:21]
	v_add_f64_e32 v[16:17], v[22:23], v[150:151]
	s_wait_loadcnt_dscnt 0x100
	v_mul_f64_e32 v[20:21], v[12:13], v[136:137]
	v_mul_f64_e32 v[22:23], v[14:15], v[136:137]
	v_fmac_f64_e32 v[142:143], v[6:7], v[130:131]
	v_fma_f64 v[126:127], v[4:5], v[130:131], -v[132:133]
	ds_load_b128 v[4:7], v2 offset:1584
	v_add_f64_e32 v[8:9], v[10:11], v[8:9]
	v_add_f64_e32 v[10:11], v[16:17], v[18:19]
	v_fmac_f64_e32 v[20:21], v[14:15], v[134:135]
	v_fma_f64 v[12:13], v[12:13], v[134:135], -v[22:23]
	s_wait_loadcnt_dscnt 0x0
	v_mul_f64_e32 v[16:17], v[4:5], v[140:141]
	v_mul_f64_e32 v[18:19], v[6:7], v[140:141]
	v_add_f64_e32 v[8:9], v[8:9], v[126:127]
	v_add_f64_e32 v[10:11], v[10:11], v[142:143]
	s_delay_alu instid0(VALU_DEP_4) | instskip(NEXT) | instid1(VALU_DEP_4)
	v_fmac_f64_e32 v[16:17], v[6:7], v[138:139]
	v_fma_f64 v[4:5], v[4:5], v[138:139], -v[18:19]
	s_delay_alu instid0(VALU_DEP_4) | instskip(NEXT) | instid1(VALU_DEP_4)
	v_add_f64_e32 v[6:7], v[8:9], v[12:13]
	v_add_f64_e32 v[8:9], v[10:11], v[20:21]
	s_delay_alu instid0(VALU_DEP_2) | instskip(NEXT) | instid1(VALU_DEP_2)
	v_add_f64_e32 v[4:5], v[6:7], v[4:5]
	v_add_f64_e32 v[6:7], v[8:9], v[16:17]
	s_delay_alu instid0(VALU_DEP_2) | instskip(NEXT) | instid1(VALU_DEP_2)
	v_add_f64_e64 v[4:5], v[154:155], -v[4:5]
	v_add_f64_e64 v[6:7], v[156:157], -v[6:7]
	scratch_store_b128 off, v[4:7], off offset:256
	s_wait_xcnt 0x0
	v_cmpx_lt_u32_e32 15, v1
	s_cbranch_execz .LBB113_283
; %bb.282:
	scratch_load_b128 v[6:9], off, s51
	v_dual_mov_b32 v3, v2 :: v_dual_mov_b32 v4, v2
	v_mov_b32_e32 v5, v2
	scratch_store_b128 off, v[2:5], off offset:240
	s_wait_loadcnt 0x0
	ds_store_b128 v124, v[6:9]
.LBB113_283:
	s_wait_xcnt 0x0
	s_or_b32 exec_lo, exec_lo, s2
	s_wait_storecnt_dscnt 0x0
	s_barrier_signal -1
	s_barrier_wait -1
	s_clause 0x9
	scratch_load_b128 v[4:7], off, off offset:256
	scratch_load_b128 v[8:11], off, off offset:272
	;; [unrolled: 1-line block ×10, first 2 shown]
	ds_load_b128 v[146:149], v2 offset:1056
	ds_load_b128 v[154:157], v2 offset:1072
	s_clause 0x2
	scratch_load_b128 v[150:153], off, off offset:416
	scratch_load_b128 v[158:161], off, off offset:240
	;; [unrolled: 1-line block ×3, first 2 shown]
	s_mov_b32 s2, exec_lo
	s_wait_loadcnt_dscnt 0xc01
	v_mul_f64_e32 v[166:167], v[148:149], v[6:7]
	v_mul_f64_e32 v[170:171], v[146:147], v[6:7]
	s_wait_loadcnt_dscnt 0xb00
	v_mul_f64_e32 v[172:173], v[154:155], v[10:11]
	v_mul_f64_e32 v[10:11], v[156:157], v[10:11]
	s_delay_alu instid0(VALU_DEP_4) | instskip(NEXT) | instid1(VALU_DEP_4)
	v_fma_f64 v[174:175], v[146:147], v[4:5], -v[166:167]
	v_fmac_f64_e32 v[170:171], v[148:149], v[4:5]
	ds_load_b128 v[4:7], v2 offset:1088
	ds_load_b128 v[146:149], v2 offset:1104
	scratch_load_b128 v[166:169], off, off offset:448
	v_fmac_f64_e32 v[172:173], v[156:157], v[8:9]
	v_fma_f64 v[154:155], v[154:155], v[8:9], -v[10:11]
	scratch_load_b128 v[8:11], off, off offset:464
	s_wait_loadcnt_dscnt 0xc01
	v_mul_f64_e32 v[176:177], v[4:5], v[14:15]
	v_mul_f64_e32 v[14:15], v[6:7], v[14:15]
	v_add_f64_e32 v[156:157], 0, v[174:175]
	v_add_f64_e32 v[170:171], 0, v[170:171]
	s_wait_loadcnt_dscnt 0xb00
	v_mul_f64_e32 v[174:175], v[146:147], v[18:19]
	v_mul_f64_e32 v[18:19], v[148:149], v[18:19]
	v_fmac_f64_e32 v[176:177], v[6:7], v[12:13]
	v_fma_f64 v[178:179], v[4:5], v[12:13], -v[14:15]
	ds_load_b128 v[4:7], v2 offset:1120
	ds_load_b128 v[12:15], v2 offset:1136
	v_add_f64_e32 v[180:181], v[156:157], v[154:155]
	v_add_f64_e32 v[170:171], v[170:171], v[172:173]
	scratch_load_b128 v[154:157], off, off offset:480
	v_fmac_f64_e32 v[174:175], v[148:149], v[16:17]
	v_fma_f64 v[146:147], v[146:147], v[16:17], -v[18:19]
	scratch_load_b128 v[16:19], off, off offset:496
	s_wait_loadcnt_dscnt 0xc01
	v_mul_f64_e32 v[172:173], v[4:5], v[22:23]
	v_mul_f64_e32 v[22:23], v[6:7], v[22:23]
	v_add_f64_e32 v[148:149], v[180:181], v[178:179]
	v_add_f64_e32 v[170:171], v[170:171], v[176:177]
	s_wait_loadcnt_dscnt 0xb00
	v_mul_f64_e32 v[176:177], v[12:13], v[128:129]
	v_mul_f64_e32 v[128:129], v[14:15], v[128:129]
	v_fmac_f64_e32 v[172:173], v[6:7], v[20:21]
	v_fma_f64 v[178:179], v[4:5], v[20:21], -v[22:23]
	ds_load_b128 v[4:7], v2 offset:1152
	ds_load_b128 v[20:23], v2 offset:1168
	v_add_f64_e32 v[180:181], v[148:149], v[146:147]
	v_add_f64_e32 v[170:171], v[170:171], v[174:175]
	scratch_load_b128 v[146:149], off, off offset:512
	s_wait_loadcnt_dscnt 0xb01
	v_mul_f64_e32 v[174:175], v[4:5], v[132:133]
	v_mul_f64_e32 v[132:133], v[6:7], v[132:133]
	v_fmac_f64_e32 v[176:177], v[14:15], v[126:127]
	v_fma_f64 v[126:127], v[12:13], v[126:127], -v[128:129]
	scratch_load_b128 v[12:15], off, off offset:528
	v_add_f64_e32 v[128:129], v[180:181], v[178:179]
	v_add_f64_e32 v[170:171], v[170:171], v[172:173]
	s_wait_loadcnt_dscnt 0xb00
	v_mul_f64_e32 v[172:173], v[20:21], v[136:137]
	v_mul_f64_e32 v[136:137], v[22:23], v[136:137]
	v_fmac_f64_e32 v[174:175], v[6:7], v[130:131]
	v_fma_f64 v[178:179], v[4:5], v[130:131], -v[132:133]
	v_add_f64_e32 v[180:181], v[128:129], v[126:127]
	v_add_f64_e32 v[170:171], v[170:171], v[176:177]
	ds_load_b128 v[4:7], v2 offset:1184
	ds_load_b128 v[126:129], v2 offset:1200
	scratch_load_b128 v[130:133], off, off offset:544
	v_fmac_f64_e32 v[172:173], v[22:23], v[134:135]
	v_fma_f64 v[134:135], v[20:21], v[134:135], -v[136:137]
	scratch_load_b128 v[20:23], off, off offset:560
	s_wait_loadcnt_dscnt 0xc01
	v_mul_f64_e32 v[176:177], v[4:5], v[140:141]
	v_mul_f64_e32 v[140:141], v[6:7], v[140:141]
	v_add_f64_e32 v[136:137], v[180:181], v[178:179]
	v_add_f64_e32 v[170:171], v[170:171], v[174:175]
	s_wait_loadcnt_dscnt 0xb00
	v_mul_f64_e32 v[174:175], v[126:127], v[144:145]
	v_mul_f64_e32 v[144:145], v[128:129], v[144:145]
	v_fmac_f64_e32 v[176:177], v[6:7], v[138:139]
	v_fma_f64 v[178:179], v[4:5], v[138:139], -v[140:141]
	v_add_f64_e32 v[180:181], v[136:137], v[134:135]
	v_add_f64_e32 v[170:171], v[170:171], v[172:173]
	ds_load_b128 v[4:7], v2 offset:1216
	ds_load_b128 v[134:137], v2 offset:1232
	scratch_load_b128 v[138:141], off, off offset:576
	v_fmac_f64_e32 v[174:175], v[128:129], v[142:143]
	v_fma_f64 v[142:143], v[126:127], v[142:143], -v[144:145]
	scratch_load_b128 v[126:129], off, off offset:592
	s_wait_loadcnt_dscnt 0xc01
	v_mul_f64_e32 v[172:173], v[4:5], v[152:153]
	v_mul_f64_e32 v[152:153], v[6:7], v[152:153]
	;; [unrolled: 18-line block ×5, first 2 shown]
	v_add_f64_e32 v[164:165], v[180:181], v[178:179]
	v_add_f64_e32 v[170:171], v[170:171], v[176:177]
	s_wait_loadcnt_dscnt 0xa00
	v_mul_f64_e32 v[176:177], v[142:143], v[14:15]
	v_mul_f64_e32 v[14:15], v[144:145], v[14:15]
	v_fmac_f64_e32 v[172:173], v[6:7], v[146:147]
	v_fma_f64 v[178:179], v[4:5], v[146:147], -v[148:149]
	ds_load_b128 v[4:7], v2 offset:1344
	ds_load_b128 v[146:149], v2 offset:1360
	v_add_f64_e32 v[180:181], v[164:165], v[162:163]
	v_add_f64_e32 v[170:171], v[170:171], v[174:175]
	scratch_load_b128 v[162:165], off, off offset:704
	v_fmac_f64_e32 v[176:177], v[144:145], v[12:13]
	v_fma_f64 v[142:143], v[142:143], v[12:13], -v[14:15]
	scratch_load_b128 v[12:15], off, off offset:720
	s_wait_loadcnt_dscnt 0xb01
	v_mul_f64_e32 v[174:175], v[4:5], v[132:133]
	v_mul_f64_e32 v[132:133], v[6:7], v[132:133]
	v_add_f64_e32 v[144:145], v[180:181], v[178:179]
	v_add_f64_e32 v[170:171], v[170:171], v[172:173]
	s_wait_loadcnt_dscnt 0xa00
	v_mul_f64_e32 v[172:173], v[146:147], v[22:23]
	v_mul_f64_e32 v[22:23], v[148:149], v[22:23]
	v_fmac_f64_e32 v[174:175], v[6:7], v[130:131]
	v_fma_f64 v[178:179], v[4:5], v[130:131], -v[132:133]
	ds_load_b128 v[4:7], v2 offset:1376
	ds_load_b128 v[130:133], v2 offset:1392
	v_add_f64_e32 v[180:181], v[144:145], v[142:143]
	v_add_f64_e32 v[170:171], v[170:171], v[176:177]
	scratch_load_b128 v[142:145], off, off offset:736
	s_wait_loadcnt_dscnt 0xa01
	v_mul_f64_e32 v[176:177], v[4:5], v[140:141]
	v_mul_f64_e32 v[140:141], v[6:7], v[140:141]
	v_fmac_f64_e32 v[172:173], v[148:149], v[20:21]
	v_fma_f64 v[146:147], v[146:147], v[20:21], -v[22:23]
	scratch_load_b128 v[20:23], off, off offset:752
	v_add_f64_e32 v[148:149], v[180:181], v[178:179]
	v_add_f64_e32 v[170:171], v[170:171], v[174:175]
	s_wait_loadcnt_dscnt 0xa00
	v_mul_f64_e32 v[174:175], v[130:131], v[128:129]
	v_mul_f64_e32 v[128:129], v[132:133], v[128:129]
	v_fmac_f64_e32 v[176:177], v[6:7], v[138:139]
	v_fma_f64 v[178:179], v[4:5], v[138:139], -v[140:141]
	ds_load_b128 v[4:7], v2 offset:1408
	ds_load_b128 v[138:141], v2 offset:1424
	v_add_f64_e32 v[180:181], v[148:149], v[146:147]
	v_add_f64_e32 v[170:171], v[170:171], v[172:173]
	scratch_load_b128 v[146:149], off, off offset:768
	s_wait_loadcnt_dscnt 0xa01
	v_mul_f64_e32 v[172:173], v[4:5], v[152:153]
	v_mul_f64_e32 v[152:153], v[6:7], v[152:153]
	v_fmac_f64_e32 v[174:175], v[132:133], v[126:127]
	v_fma_f64 v[130:131], v[130:131], v[126:127], -v[128:129]
	scratch_load_b128 v[126:129], off, off offset:784
	v_add_f64_e32 v[132:133], v[180:181], v[178:179]
	v_add_f64_e32 v[170:171], v[170:171], v[176:177]
	s_wait_loadcnt_dscnt 0xa00
	v_mul_f64_e32 v[176:177], v[138:139], v[136:137]
	v_mul_f64_e32 v[136:137], v[140:141], v[136:137]
	v_fmac_f64_e32 v[172:173], v[6:7], v[150:151]
	v_fma_f64 v[150:151], v[4:5], v[150:151], -v[152:153]
	v_add_f64_e32 v[152:153], v[132:133], v[130:131]
	v_add_f64_e32 v[170:171], v[170:171], v[174:175]
	ds_load_b128 v[4:7], v2 offset:1440
	ds_load_b128 v[130:133], v2 offset:1456
	v_fmac_f64_e32 v[176:177], v[140:141], v[134:135]
	v_fma_f64 v[134:135], v[138:139], v[134:135], -v[136:137]
	s_wait_loadcnt_dscnt 0x901
	v_mul_f64_e32 v[174:175], v[4:5], v[168:169]
	v_mul_f64_e32 v[168:169], v[6:7], v[168:169]
	s_wait_loadcnt_dscnt 0x800
	v_mul_f64_e32 v[140:141], v[130:131], v[10:11]
	v_mul_f64_e32 v[10:11], v[132:133], v[10:11]
	v_add_f64_e32 v[136:137], v[152:153], v[150:151]
	v_add_f64_e32 v[138:139], v[170:171], v[172:173]
	v_fmac_f64_e32 v[174:175], v[6:7], v[166:167]
	v_fma_f64 v[150:151], v[4:5], v[166:167], -v[168:169]
	v_fmac_f64_e32 v[140:141], v[132:133], v[8:9]
	v_fma_f64 v[8:9], v[130:131], v[8:9], -v[10:11]
	v_add_f64_e32 v[152:153], v[136:137], v[134:135]
	v_add_f64_e32 v[138:139], v[138:139], v[176:177]
	ds_load_b128 v[4:7], v2 offset:1472
	ds_load_b128 v[134:137], v2 offset:1488
	s_wait_loadcnt_dscnt 0x701
	v_mul_f64_e32 v[166:167], v[4:5], v[156:157]
	v_mul_f64_e32 v[156:157], v[6:7], v[156:157]
	s_wait_loadcnt_dscnt 0x600
	v_mul_f64_e32 v[132:133], v[134:135], v[18:19]
	v_mul_f64_e32 v[18:19], v[136:137], v[18:19]
	v_add_f64_e32 v[10:11], v[152:153], v[150:151]
	v_add_f64_e32 v[130:131], v[138:139], v[174:175]
	v_fmac_f64_e32 v[166:167], v[6:7], v[154:155]
	v_fma_f64 v[138:139], v[4:5], v[154:155], -v[156:157]
	v_fmac_f64_e32 v[132:133], v[136:137], v[16:17]
	v_fma_f64 v[16:17], v[134:135], v[16:17], -v[18:19]
	v_add_f64_e32 v[150:151], v[10:11], v[8:9]
	v_add_f64_e32 v[130:131], v[130:131], v[140:141]
	ds_load_b128 v[4:7], v2 offset:1504
	ds_load_b128 v[8:11], v2 offset:1520
	;; [unrolled: 16-line block ×3, first 2 shown]
	s_wait_loadcnt_dscnt 0x301
	v_mul_f64_e32 v[132:133], v[4:5], v[144:145]
	v_mul_f64_e32 v[144:145], v[6:7], v[144:145]
	v_add_f64_e32 v[10:11], v[18:19], v[138:139]
	v_add_f64_e32 v[12:13], v[130:131], v[140:141]
	s_wait_loadcnt_dscnt 0x200
	v_mul_f64_e32 v[18:19], v[14:15], v[22:23]
	v_mul_f64_e32 v[22:23], v[16:17], v[22:23]
	v_fmac_f64_e32 v[132:133], v[6:7], v[142:143]
	v_fma_f64 v[130:131], v[4:5], v[142:143], -v[144:145]
	v_add_f64_e32 v[136:137], v[10:11], v[8:9]
	v_add_f64_e32 v[12:13], v[12:13], v[134:135]
	ds_load_b128 v[4:7], v2 offset:1568
	ds_load_b128 v[8:11], v2 offset:1584
	v_fmac_f64_e32 v[18:19], v[16:17], v[20:21]
	v_fma_f64 v[14:15], v[14:15], v[20:21], -v[22:23]
	s_wait_loadcnt_dscnt 0x101
	v_mul_f64_e32 v[2:3], v[4:5], v[148:149]
	v_mul_f64_e32 v[134:135], v[6:7], v[148:149]
	s_wait_loadcnt_dscnt 0x0
	v_mul_f64_e32 v[20:21], v[8:9], v[128:129]
	v_mul_f64_e32 v[22:23], v[10:11], v[128:129]
	v_add_f64_e32 v[16:17], v[136:137], v[130:131]
	v_add_f64_e32 v[12:13], v[12:13], v[132:133]
	v_fmac_f64_e32 v[2:3], v[6:7], v[146:147]
	v_fma_f64 v[4:5], v[4:5], v[146:147], -v[134:135]
	v_fmac_f64_e32 v[20:21], v[10:11], v[126:127]
	v_fma_f64 v[8:9], v[8:9], v[126:127], -v[22:23]
	v_add_f64_e32 v[6:7], v[16:17], v[14:15]
	v_add_f64_e32 v[12:13], v[12:13], v[18:19]
	s_delay_alu instid0(VALU_DEP_2) | instskip(NEXT) | instid1(VALU_DEP_2)
	v_add_f64_e32 v[4:5], v[6:7], v[4:5]
	v_add_f64_e32 v[2:3], v[12:13], v[2:3]
	s_delay_alu instid0(VALU_DEP_2) | instskip(NEXT) | instid1(VALU_DEP_2)
	;; [unrolled: 3-line block ×3, first 2 shown]
	v_add_f64_e64 v[2:3], v[158:159], -v[4:5]
	v_add_f64_e64 v[4:5], v[160:161], -v[6:7]
	scratch_store_b128 off, v[2:5], off offset:240
	s_wait_xcnt 0x0
	v_cmpx_lt_u32_e32 14, v1
	s_cbranch_execz .LBB113_285
; %bb.284:
	scratch_load_b128 v[2:5], off, s52
	v_mov_b32_e32 v6, 0
	s_delay_alu instid0(VALU_DEP_1)
	v_dual_mov_b32 v7, v6 :: v_dual_mov_b32 v8, v6
	v_mov_b32_e32 v9, v6
	scratch_store_b128 off, v[6:9], off offset:224
	s_wait_loadcnt 0x0
	ds_store_b128 v124, v[2:5]
.LBB113_285:
	s_wait_xcnt 0x0
	s_or_b32 exec_lo, exec_lo, s2
	s_wait_storecnt_dscnt 0x0
	s_barrier_signal -1
	s_barrier_wait -1
	s_clause 0x9
	scratch_load_b128 v[4:7], off, off offset:240
	scratch_load_b128 v[8:11], off, off offset:256
	;; [unrolled: 1-line block ×10, first 2 shown]
	v_mov_b32_e32 v2, 0
	s_mov_b32 s2, exec_lo
	ds_load_b128 v[146:149], v2 offset:1040
	s_clause 0x2
	scratch_load_b128 v[150:153], off, off offset:400
	scratch_load_b128 v[154:157], off, off offset:224
	;; [unrolled: 1-line block ×3, first 2 shown]
	s_wait_loadcnt_dscnt 0xc00
	v_mul_f64_e32 v[166:167], v[148:149], v[6:7]
	v_mul_f64_e32 v[170:171], v[146:147], v[6:7]
	ds_load_b128 v[158:161], v2 offset:1056
	v_fma_f64 v[174:175], v[146:147], v[4:5], -v[166:167]
	v_fmac_f64_e32 v[170:171], v[148:149], v[4:5]
	ds_load_b128 v[4:7], v2 offset:1072
	s_wait_loadcnt_dscnt 0xb01
	v_mul_f64_e32 v[172:173], v[158:159], v[10:11]
	v_mul_f64_e32 v[10:11], v[160:161], v[10:11]
	scratch_load_b128 v[146:149], off, off offset:432
	ds_load_b128 v[166:169], v2 offset:1088
	s_wait_loadcnt_dscnt 0xb01
	v_mul_f64_e32 v[176:177], v[4:5], v[14:15]
	v_mul_f64_e32 v[14:15], v[6:7], v[14:15]
	v_add_f64_e32 v[170:171], 0, v[170:171]
	v_fmac_f64_e32 v[172:173], v[160:161], v[8:9]
	v_fma_f64 v[158:159], v[158:159], v[8:9], -v[10:11]
	v_add_f64_e32 v[160:161], 0, v[174:175]
	scratch_load_b128 v[8:11], off, off offset:448
	v_fmac_f64_e32 v[176:177], v[6:7], v[12:13]
	v_fma_f64 v[178:179], v[4:5], v[12:13], -v[14:15]
	ds_load_b128 v[4:7], v2 offset:1104
	s_wait_loadcnt_dscnt 0xb01
	v_mul_f64_e32 v[174:175], v[166:167], v[18:19]
	v_mul_f64_e32 v[18:19], v[168:169], v[18:19]
	scratch_load_b128 v[12:15], off, off offset:464
	v_add_f64_e32 v[170:171], v[170:171], v[172:173]
	v_add_f64_e32 v[180:181], v[160:161], v[158:159]
	ds_load_b128 v[158:161], v2 offset:1120
	s_wait_loadcnt_dscnt 0xb01
	v_mul_f64_e32 v[172:173], v[4:5], v[22:23]
	v_mul_f64_e32 v[22:23], v[6:7], v[22:23]
	v_fmac_f64_e32 v[174:175], v[168:169], v[16:17]
	v_fma_f64 v[166:167], v[166:167], v[16:17], -v[18:19]
	scratch_load_b128 v[16:19], off, off offset:480
	v_add_f64_e32 v[170:171], v[170:171], v[176:177]
	v_add_f64_e32 v[168:169], v[180:181], v[178:179]
	v_fmac_f64_e32 v[172:173], v[6:7], v[20:21]
	v_fma_f64 v[178:179], v[4:5], v[20:21], -v[22:23]
	ds_load_b128 v[4:7], v2 offset:1136
	s_wait_loadcnt_dscnt 0xb01
	v_mul_f64_e32 v[176:177], v[158:159], v[128:129]
	v_mul_f64_e32 v[128:129], v[160:161], v[128:129]
	scratch_load_b128 v[20:23], off, off offset:496
	v_add_f64_e32 v[170:171], v[170:171], v[174:175]
	s_wait_loadcnt_dscnt 0xb00
	v_mul_f64_e32 v[174:175], v[4:5], v[132:133]
	v_add_f64_e32 v[180:181], v[168:169], v[166:167]
	v_mul_f64_e32 v[132:133], v[6:7], v[132:133]
	ds_load_b128 v[166:169], v2 offset:1152
	v_fmac_f64_e32 v[176:177], v[160:161], v[126:127]
	v_fma_f64 v[158:159], v[158:159], v[126:127], -v[128:129]
	scratch_load_b128 v[126:129], off, off offset:512
	v_add_f64_e32 v[170:171], v[170:171], v[172:173]
	v_fmac_f64_e32 v[174:175], v[6:7], v[130:131]
	v_add_f64_e32 v[160:161], v[180:181], v[178:179]
	v_fma_f64 v[178:179], v[4:5], v[130:131], -v[132:133]
	ds_load_b128 v[4:7], v2 offset:1168
	s_wait_loadcnt_dscnt 0xb01
	v_mul_f64_e32 v[172:173], v[166:167], v[136:137]
	v_mul_f64_e32 v[136:137], v[168:169], v[136:137]
	scratch_load_b128 v[130:133], off, off offset:528
	v_add_f64_e32 v[170:171], v[170:171], v[176:177]
	s_wait_loadcnt_dscnt 0xb00
	v_mul_f64_e32 v[176:177], v[4:5], v[140:141]
	v_add_f64_e32 v[180:181], v[160:161], v[158:159]
	v_mul_f64_e32 v[140:141], v[6:7], v[140:141]
	ds_load_b128 v[158:161], v2 offset:1184
	v_fmac_f64_e32 v[172:173], v[168:169], v[134:135]
	v_fma_f64 v[166:167], v[166:167], v[134:135], -v[136:137]
	scratch_load_b128 v[134:137], off, off offset:544
	v_add_f64_e32 v[170:171], v[170:171], v[174:175]
	v_fmac_f64_e32 v[176:177], v[6:7], v[138:139]
	v_add_f64_e32 v[168:169], v[180:181], v[178:179]
	;; [unrolled: 18-line block ×3, first 2 shown]
	v_fma_f64 v[178:179], v[4:5], v[150:151], -v[152:153]
	ds_load_b128 v[4:7], v2 offset:1232
	s_wait_loadcnt_dscnt 0xa01
	v_mul_f64_e32 v[176:177], v[166:167], v[164:165]
	v_mul_f64_e32 v[164:165], v[168:169], v[164:165]
	scratch_load_b128 v[150:153], off, off offset:592
	v_add_f64_e32 v[170:171], v[170:171], v[174:175]
	v_add_f64_e32 v[180:181], v[160:161], v[158:159]
	s_wait_loadcnt_dscnt 0xa00
	v_mul_f64_e32 v[174:175], v[4:5], v[148:149]
	v_mul_f64_e32 v[148:149], v[6:7], v[148:149]
	v_fmac_f64_e32 v[176:177], v[168:169], v[162:163]
	v_fma_f64 v[166:167], v[166:167], v[162:163], -v[164:165]
	ds_load_b128 v[158:161], v2 offset:1248
	scratch_load_b128 v[162:165], off, off offset:608
	v_add_f64_e32 v[170:171], v[170:171], v[172:173]
	v_add_f64_e32 v[168:169], v[180:181], v[178:179]
	v_fmac_f64_e32 v[174:175], v[6:7], v[146:147]
	v_fma_f64 v[178:179], v[4:5], v[146:147], -v[148:149]
	ds_load_b128 v[4:7], v2 offset:1264
	s_wait_loadcnt_dscnt 0xa01
	v_mul_f64_e32 v[172:173], v[158:159], v[10:11]
	v_mul_f64_e32 v[10:11], v[160:161], v[10:11]
	scratch_load_b128 v[146:149], off, off offset:624
	v_add_f64_e32 v[170:171], v[170:171], v[176:177]
	s_wait_loadcnt_dscnt 0xa00
	v_mul_f64_e32 v[176:177], v[4:5], v[14:15]
	v_add_f64_e32 v[180:181], v[168:169], v[166:167]
	v_mul_f64_e32 v[14:15], v[6:7], v[14:15]
	ds_load_b128 v[166:169], v2 offset:1280
	v_fmac_f64_e32 v[172:173], v[160:161], v[8:9]
	v_fma_f64 v[158:159], v[158:159], v[8:9], -v[10:11]
	scratch_load_b128 v[8:11], off, off offset:640
	v_add_f64_e32 v[170:171], v[170:171], v[174:175]
	v_fmac_f64_e32 v[176:177], v[6:7], v[12:13]
	v_add_f64_e32 v[160:161], v[180:181], v[178:179]
	v_fma_f64 v[178:179], v[4:5], v[12:13], -v[14:15]
	ds_load_b128 v[4:7], v2 offset:1296
	s_wait_loadcnt_dscnt 0xa01
	v_mul_f64_e32 v[174:175], v[166:167], v[18:19]
	v_mul_f64_e32 v[18:19], v[168:169], v[18:19]
	scratch_load_b128 v[12:15], off, off offset:656
	v_add_f64_e32 v[170:171], v[170:171], v[172:173]
	s_wait_loadcnt_dscnt 0xa00
	v_mul_f64_e32 v[172:173], v[4:5], v[22:23]
	v_add_f64_e32 v[180:181], v[160:161], v[158:159]
	v_mul_f64_e32 v[22:23], v[6:7], v[22:23]
	ds_load_b128 v[158:161], v2 offset:1312
	v_fmac_f64_e32 v[174:175], v[168:169], v[16:17]
	v_fma_f64 v[166:167], v[166:167], v[16:17], -v[18:19]
	scratch_load_b128 v[16:19], off, off offset:672
	v_add_f64_e32 v[170:171], v[170:171], v[176:177]
	v_fmac_f64_e32 v[172:173], v[6:7], v[20:21]
	v_add_f64_e32 v[168:169], v[180:181], v[178:179]
	v_fma_f64 v[178:179], v[4:5], v[20:21], -v[22:23]
	ds_load_b128 v[4:7], v2 offset:1328
	s_wait_loadcnt_dscnt 0xa01
	v_mul_f64_e32 v[176:177], v[158:159], v[128:129]
	v_mul_f64_e32 v[128:129], v[160:161], v[128:129]
	scratch_load_b128 v[20:23], off, off offset:688
	v_add_f64_e32 v[170:171], v[170:171], v[174:175]
	s_wait_loadcnt_dscnt 0xa00
	v_mul_f64_e32 v[174:175], v[4:5], v[132:133]
	v_add_f64_e32 v[180:181], v[168:169], v[166:167]
	v_mul_f64_e32 v[132:133], v[6:7], v[132:133]
	ds_load_b128 v[166:169], v2 offset:1344
	v_fmac_f64_e32 v[176:177], v[160:161], v[126:127]
	v_fma_f64 v[158:159], v[158:159], v[126:127], -v[128:129]
	scratch_load_b128 v[126:129], off, off offset:704
	v_add_f64_e32 v[170:171], v[170:171], v[172:173]
	v_fmac_f64_e32 v[174:175], v[6:7], v[130:131]
	v_add_f64_e32 v[160:161], v[180:181], v[178:179]
	v_fma_f64 v[178:179], v[4:5], v[130:131], -v[132:133]
	ds_load_b128 v[4:7], v2 offset:1360
	s_wait_loadcnt_dscnt 0xa01
	v_mul_f64_e32 v[172:173], v[166:167], v[136:137]
	v_mul_f64_e32 v[136:137], v[168:169], v[136:137]
	scratch_load_b128 v[130:133], off, off offset:720
	v_add_f64_e32 v[170:171], v[170:171], v[176:177]
	s_wait_loadcnt_dscnt 0xa00
	v_mul_f64_e32 v[176:177], v[4:5], v[140:141]
	v_add_f64_e32 v[180:181], v[160:161], v[158:159]
	v_mul_f64_e32 v[140:141], v[6:7], v[140:141]
	ds_load_b128 v[158:161], v2 offset:1376
	v_fmac_f64_e32 v[172:173], v[168:169], v[134:135]
	v_fma_f64 v[166:167], v[166:167], v[134:135], -v[136:137]
	scratch_load_b128 v[134:137], off, off offset:736
	v_add_f64_e32 v[170:171], v[170:171], v[174:175]
	v_fmac_f64_e32 v[176:177], v[6:7], v[138:139]
	v_add_f64_e32 v[168:169], v[180:181], v[178:179]
	v_fma_f64 v[178:179], v[4:5], v[138:139], -v[140:141]
	ds_load_b128 v[4:7], v2 offset:1392
	s_wait_loadcnt_dscnt 0xa01
	v_mul_f64_e32 v[174:175], v[158:159], v[144:145]
	v_mul_f64_e32 v[144:145], v[160:161], v[144:145]
	scratch_load_b128 v[138:141], off, off offset:752
	v_add_f64_e32 v[170:171], v[170:171], v[172:173]
	s_wait_loadcnt_dscnt 0xa00
	v_mul_f64_e32 v[172:173], v[4:5], v[152:153]
	v_add_f64_e32 v[180:181], v[168:169], v[166:167]
	v_mul_f64_e32 v[152:153], v[6:7], v[152:153]
	ds_load_b128 v[166:169], v2 offset:1408
	v_fmac_f64_e32 v[174:175], v[160:161], v[142:143]
	v_fma_f64 v[158:159], v[158:159], v[142:143], -v[144:145]
	scratch_load_b128 v[142:145], off, off offset:768
	v_add_f64_e32 v[170:171], v[170:171], v[176:177]
	v_fmac_f64_e32 v[172:173], v[6:7], v[150:151]
	v_add_f64_e32 v[160:161], v[180:181], v[178:179]
	v_fma_f64 v[178:179], v[4:5], v[150:151], -v[152:153]
	ds_load_b128 v[4:7], v2 offset:1424
	s_wait_loadcnt_dscnt 0xa01
	v_mul_f64_e32 v[176:177], v[166:167], v[164:165]
	v_mul_f64_e32 v[164:165], v[168:169], v[164:165]
	scratch_load_b128 v[150:153], off, off offset:784
	v_add_f64_e32 v[170:171], v[170:171], v[174:175]
	s_wait_loadcnt_dscnt 0xa00
	v_mul_f64_e32 v[174:175], v[4:5], v[148:149]
	v_add_f64_e32 v[180:181], v[160:161], v[158:159]
	v_mul_f64_e32 v[148:149], v[6:7], v[148:149]
	ds_load_b128 v[158:161], v2 offset:1440
	v_fmac_f64_e32 v[176:177], v[168:169], v[162:163]
	v_fma_f64 v[162:163], v[166:167], v[162:163], -v[164:165]
	s_wait_loadcnt_dscnt 0x900
	v_mul_f64_e32 v[168:169], v[158:159], v[10:11]
	v_mul_f64_e32 v[10:11], v[160:161], v[10:11]
	v_add_f64_e32 v[166:167], v[170:171], v[172:173]
	v_fmac_f64_e32 v[174:175], v[6:7], v[146:147]
	v_add_f64_e32 v[164:165], v[180:181], v[178:179]
	v_fma_f64 v[170:171], v[4:5], v[146:147], -v[148:149]
	ds_load_b128 v[4:7], v2 offset:1456
	ds_load_b128 v[146:149], v2 offset:1472
	v_fmac_f64_e32 v[168:169], v[160:161], v[8:9]
	v_fma_f64 v[8:9], v[158:159], v[8:9], -v[10:11]
	v_add_f64_e32 v[162:163], v[164:165], v[162:163]
	v_add_f64_e32 v[164:165], v[166:167], v[176:177]
	s_wait_loadcnt_dscnt 0x801
	v_mul_f64_e32 v[166:167], v[4:5], v[14:15]
	v_mul_f64_e32 v[14:15], v[6:7], v[14:15]
	s_wait_loadcnt_dscnt 0x700
	v_mul_f64_e32 v[160:161], v[146:147], v[18:19]
	v_mul_f64_e32 v[18:19], v[148:149], v[18:19]
	v_add_f64_e32 v[10:11], v[162:163], v[170:171]
	v_add_f64_e32 v[158:159], v[164:165], v[174:175]
	v_fmac_f64_e32 v[166:167], v[6:7], v[12:13]
	v_fma_f64 v[12:13], v[4:5], v[12:13], -v[14:15]
	v_fmac_f64_e32 v[160:161], v[148:149], v[16:17]
	v_fma_f64 v[16:17], v[146:147], v[16:17], -v[18:19]
	v_add_f64_e32 v[14:15], v[10:11], v[8:9]
	v_add_f64_e32 v[158:159], v[158:159], v[168:169]
	ds_load_b128 v[4:7], v2 offset:1488
	ds_load_b128 v[8:11], v2 offset:1504
	s_wait_loadcnt_dscnt 0x601
	v_mul_f64_e32 v[162:163], v[4:5], v[22:23]
	v_mul_f64_e32 v[22:23], v[6:7], v[22:23]
	s_wait_loadcnt_dscnt 0x500
	v_mul_f64_e32 v[18:19], v[8:9], v[128:129]
	v_mul_f64_e32 v[128:129], v[10:11], v[128:129]
	v_add_f64_e32 v[12:13], v[14:15], v[12:13]
	v_add_f64_e32 v[14:15], v[158:159], v[166:167]
	v_fmac_f64_e32 v[162:163], v[6:7], v[20:21]
	v_fma_f64 v[20:21], v[4:5], v[20:21], -v[22:23]
	v_fmac_f64_e32 v[18:19], v[10:11], v[126:127]
	v_fma_f64 v[8:9], v[8:9], v[126:127], -v[128:129]
	v_add_f64_e32 v[16:17], v[12:13], v[16:17]
	v_add_f64_e32 v[22:23], v[14:15], v[160:161]
	ds_load_b128 v[4:7], v2 offset:1520
	ds_load_b128 v[12:15], v2 offset:1536
	s_wait_loadcnt_dscnt 0x401
	v_mul_f64_e32 v[146:147], v[4:5], v[132:133]
	v_mul_f64_e32 v[132:133], v[6:7], v[132:133]
	v_add_f64_e32 v[10:11], v[16:17], v[20:21]
	v_add_f64_e32 v[16:17], v[22:23], v[162:163]
	s_wait_loadcnt_dscnt 0x300
	v_mul_f64_e32 v[20:21], v[12:13], v[136:137]
	v_mul_f64_e32 v[22:23], v[14:15], v[136:137]
	v_fmac_f64_e32 v[146:147], v[6:7], v[130:131]
	v_fma_f64 v[126:127], v[4:5], v[130:131], -v[132:133]
	v_add_f64_e32 v[128:129], v[10:11], v[8:9]
	v_add_f64_e32 v[16:17], v[16:17], v[18:19]
	ds_load_b128 v[4:7], v2 offset:1552
	ds_load_b128 v[8:11], v2 offset:1568
	v_fmac_f64_e32 v[20:21], v[14:15], v[134:135]
	v_fma_f64 v[12:13], v[12:13], v[134:135], -v[22:23]
	s_wait_loadcnt_dscnt 0x201
	v_mul_f64_e32 v[18:19], v[4:5], v[140:141]
	v_mul_f64_e32 v[130:131], v[6:7], v[140:141]
	s_wait_loadcnt_dscnt 0x100
	v_mul_f64_e32 v[22:23], v[8:9], v[144:145]
	v_add_f64_e32 v[14:15], v[128:129], v[126:127]
	v_add_f64_e32 v[16:17], v[16:17], v[146:147]
	v_mul_f64_e32 v[126:127], v[10:11], v[144:145]
	v_fmac_f64_e32 v[18:19], v[6:7], v[138:139]
	v_fma_f64 v[128:129], v[4:5], v[138:139], -v[130:131]
	ds_load_b128 v[4:7], v2 offset:1584
	v_fmac_f64_e32 v[22:23], v[10:11], v[142:143]
	v_add_f64_e32 v[12:13], v[14:15], v[12:13]
	v_add_f64_e32 v[14:15], v[16:17], v[20:21]
	v_fma_f64 v[8:9], v[8:9], v[142:143], -v[126:127]
	s_wait_loadcnt_dscnt 0x0
	v_mul_f64_e32 v[16:17], v[4:5], v[152:153]
	v_mul_f64_e32 v[20:21], v[6:7], v[152:153]
	v_add_f64_e32 v[10:11], v[12:13], v[128:129]
	v_add_f64_e32 v[12:13], v[14:15], v[18:19]
	s_delay_alu instid0(VALU_DEP_4) | instskip(NEXT) | instid1(VALU_DEP_4)
	v_fmac_f64_e32 v[16:17], v[6:7], v[150:151]
	v_fma_f64 v[4:5], v[4:5], v[150:151], -v[20:21]
	s_delay_alu instid0(VALU_DEP_4) | instskip(NEXT) | instid1(VALU_DEP_4)
	v_add_f64_e32 v[6:7], v[10:11], v[8:9]
	v_add_f64_e32 v[8:9], v[12:13], v[22:23]
	s_delay_alu instid0(VALU_DEP_2) | instskip(NEXT) | instid1(VALU_DEP_2)
	v_add_f64_e32 v[4:5], v[6:7], v[4:5]
	v_add_f64_e32 v[6:7], v[8:9], v[16:17]
	s_delay_alu instid0(VALU_DEP_2) | instskip(NEXT) | instid1(VALU_DEP_2)
	v_add_f64_e64 v[4:5], v[154:155], -v[4:5]
	v_add_f64_e64 v[6:7], v[156:157], -v[6:7]
	scratch_store_b128 off, v[4:7], off offset:224
	s_wait_xcnt 0x0
	v_cmpx_lt_u32_e32 13, v1
	s_cbranch_execz .LBB113_287
; %bb.286:
	scratch_load_b128 v[6:9], off, s53
	v_dual_mov_b32 v3, v2 :: v_dual_mov_b32 v4, v2
	v_mov_b32_e32 v5, v2
	scratch_store_b128 off, v[2:5], off offset:208
	s_wait_loadcnt 0x0
	ds_store_b128 v124, v[6:9]
.LBB113_287:
	s_wait_xcnt 0x0
	s_or_b32 exec_lo, exec_lo, s2
	s_wait_storecnt_dscnt 0x0
	s_barrier_signal -1
	s_barrier_wait -1
	s_clause 0x9
	scratch_load_b128 v[4:7], off, off offset:224
	scratch_load_b128 v[8:11], off, off offset:240
	;; [unrolled: 1-line block ×10, first 2 shown]
	ds_load_b128 v[146:149], v2 offset:1024
	ds_load_b128 v[154:157], v2 offset:1040
	s_clause 0x2
	scratch_load_b128 v[150:153], off, off offset:384
	scratch_load_b128 v[158:161], off, off offset:208
	;; [unrolled: 1-line block ×3, first 2 shown]
	s_mov_b32 s2, exec_lo
	s_wait_loadcnt_dscnt 0xc01
	v_mul_f64_e32 v[166:167], v[148:149], v[6:7]
	v_mul_f64_e32 v[170:171], v[146:147], v[6:7]
	s_wait_loadcnt_dscnt 0xb00
	v_mul_f64_e32 v[172:173], v[154:155], v[10:11]
	v_mul_f64_e32 v[10:11], v[156:157], v[10:11]
	s_delay_alu instid0(VALU_DEP_4) | instskip(NEXT) | instid1(VALU_DEP_4)
	v_fma_f64 v[174:175], v[146:147], v[4:5], -v[166:167]
	v_fmac_f64_e32 v[170:171], v[148:149], v[4:5]
	ds_load_b128 v[4:7], v2 offset:1056
	ds_load_b128 v[146:149], v2 offset:1072
	scratch_load_b128 v[166:169], off, off offset:416
	v_fmac_f64_e32 v[172:173], v[156:157], v[8:9]
	v_fma_f64 v[154:155], v[154:155], v[8:9], -v[10:11]
	scratch_load_b128 v[8:11], off, off offset:432
	s_wait_loadcnt_dscnt 0xc01
	v_mul_f64_e32 v[176:177], v[4:5], v[14:15]
	v_mul_f64_e32 v[14:15], v[6:7], v[14:15]
	v_add_f64_e32 v[156:157], 0, v[174:175]
	v_add_f64_e32 v[170:171], 0, v[170:171]
	s_wait_loadcnt_dscnt 0xb00
	v_mul_f64_e32 v[174:175], v[146:147], v[18:19]
	v_mul_f64_e32 v[18:19], v[148:149], v[18:19]
	v_fmac_f64_e32 v[176:177], v[6:7], v[12:13]
	v_fma_f64 v[178:179], v[4:5], v[12:13], -v[14:15]
	ds_load_b128 v[4:7], v2 offset:1088
	ds_load_b128 v[12:15], v2 offset:1104
	v_add_f64_e32 v[180:181], v[156:157], v[154:155]
	v_add_f64_e32 v[170:171], v[170:171], v[172:173]
	scratch_load_b128 v[154:157], off, off offset:448
	v_fmac_f64_e32 v[174:175], v[148:149], v[16:17]
	v_fma_f64 v[146:147], v[146:147], v[16:17], -v[18:19]
	scratch_load_b128 v[16:19], off, off offset:464
	s_wait_loadcnt_dscnt 0xc01
	v_mul_f64_e32 v[172:173], v[4:5], v[22:23]
	v_mul_f64_e32 v[22:23], v[6:7], v[22:23]
	v_add_f64_e32 v[148:149], v[180:181], v[178:179]
	v_add_f64_e32 v[170:171], v[170:171], v[176:177]
	s_wait_loadcnt_dscnt 0xb00
	v_mul_f64_e32 v[176:177], v[12:13], v[128:129]
	v_mul_f64_e32 v[128:129], v[14:15], v[128:129]
	v_fmac_f64_e32 v[172:173], v[6:7], v[20:21]
	v_fma_f64 v[178:179], v[4:5], v[20:21], -v[22:23]
	ds_load_b128 v[4:7], v2 offset:1120
	ds_load_b128 v[20:23], v2 offset:1136
	v_add_f64_e32 v[180:181], v[148:149], v[146:147]
	v_add_f64_e32 v[170:171], v[170:171], v[174:175]
	scratch_load_b128 v[146:149], off, off offset:480
	s_wait_loadcnt_dscnt 0xb01
	v_mul_f64_e32 v[174:175], v[4:5], v[132:133]
	v_mul_f64_e32 v[132:133], v[6:7], v[132:133]
	v_fmac_f64_e32 v[176:177], v[14:15], v[126:127]
	v_fma_f64 v[126:127], v[12:13], v[126:127], -v[128:129]
	scratch_load_b128 v[12:15], off, off offset:496
	v_add_f64_e32 v[128:129], v[180:181], v[178:179]
	v_add_f64_e32 v[170:171], v[170:171], v[172:173]
	s_wait_loadcnt_dscnt 0xb00
	v_mul_f64_e32 v[172:173], v[20:21], v[136:137]
	v_mul_f64_e32 v[136:137], v[22:23], v[136:137]
	v_fmac_f64_e32 v[174:175], v[6:7], v[130:131]
	v_fma_f64 v[178:179], v[4:5], v[130:131], -v[132:133]
	v_add_f64_e32 v[180:181], v[128:129], v[126:127]
	v_add_f64_e32 v[170:171], v[170:171], v[176:177]
	ds_load_b128 v[4:7], v2 offset:1152
	ds_load_b128 v[126:129], v2 offset:1168
	scratch_load_b128 v[130:133], off, off offset:512
	v_fmac_f64_e32 v[172:173], v[22:23], v[134:135]
	v_fma_f64 v[134:135], v[20:21], v[134:135], -v[136:137]
	scratch_load_b128 v[20:23], off, off offset:528
	s_wait_loadcnt_dscnt 0xc01
	v_mul_f64_e32 v[176:177], v[4:5], v[140:141]
	v_mul_f64_e32 v[140:141], v[6:7], v[140:141]
	v_add_f64_e32 v[136:137], v[180:181], v[178:179]
	v_add_f64_e32 v[170:171], v[170:171], v[174:175]
	s_wait_loadcnt_dscnt 0xb00
	v_mul_f64_e32 v[174:175], v[126:127], v[144:145]
	v_mul_f64_e32 v[144:145], v[128:129], v[144:145]
	v_fmac_f64_e32 v[176:177], v[6:7], v[138:139]
	v_fma_f64 v[178:179], v[4:5], v[138:139], -v[140:141]
	v_add_f64_e32 v[180:181], v[136:137], v[134:135]
	v_add_f64_e32 v[170:171], v[170:171], v[172:173]
	ds_load_b128 v[4:7], v2 offset:1184
	ds_load_b128 v[134:137], v2 offset:1200
	scratch_load_b128 v[138:141], off, off offset:544
	v_fmac_f64_e32 v[174:175], v[128:129], v[142:143]
	v_fma_f64 v[142:143], v[126:127], v[142:143], -v[144:145]
	scratch_load_b128 v[126:129], off, off offset:560
	s_wait_loadcnt_dscnt 0xc01
	v_mul_f64_e32 v[172:173], v[4:5], v[152:153]
	v_mul_f64_e32 v[152:153], v[6:7], v[152:153]
	v_add_f64_e32 v[144:145], v[180:181], v[178:179]
	v_add_f64_e32 v[170:171], v[170:171], v[176:177]
	s_wait_loadcnt_dscnt 0xa00
	v_mul_f64_e32 v[176:177], v[134:135], v[164:165]
	v_mul_f64_e32 v[164:165], v[136:137], v[164:165]
	v_fmac_f64_e32 v[172:173], v[6:7], v[150:151]
	v_fma_f64 v[178:179], v[4:5], v[150:151], -v[152:153]
	v_add_f64_e32 v[180:181], v[144:145], v[142:143]
	v_add_f64_e32 v[170:171], v[170:171], v[174:175]
	ds_load_b128 v[4:7], v2 offset:1216
	ds_load_b128 v[142:145], v2 offset:1232
	scratch_load_b128 v[150:153], off, off offset:576
	v_fmac_f64_e32 v[176:177], v[136:137], v[162:163]
	v_fma_f64 v[162:163], v[134:135], v[162:163], -v[164:165]
	scratch_load_b128 v[134:137], off, off offset:592
	s_wait_loadcnt_dscnt 0xb01
	v_mul_f64_e32 v[174:175], v[4:5], v[168:169]
	v_mul_f64_e32 v[168:169], v[6:7], v[168:169]
	v_add_f64_e32 v[164:165], v[180:181], v[178:179]
	v_add_f64_e32 v[170:171], v[170:171], v[172:173]
	s_wait_loadcnt_dscnt 0xa00
	v_mul_f64_e32 v[172:173], v[142:143], v[10:11]
	v_mul_f64_e32 v[10:11], v[144:145], v[10:11]
	v_fmac_f64_e32 v[174:175], v[6:7], v[166:167]
	v_fma_f64 v[178:179], v[4:5], v[166:167], -v[168:169]
	v_add_f64_e32 v[180:181], v[164:165], v[162:163]
	v_add_f64_e32 v[170:171], v[170:171], v[176:177]
	ds_load_b128 v[4:7], v2 offset:1248
	ds_load_b128 v[162:165], v2 offset:1264
	scratch_load_b128 v[166:169], off, off offset:608
	v_fmac_f64_e32 v[172:173], v[144:145], v[8:9]
	v_fma_f64 v[142:143], v[142:143], v[8:9], -v[10:11]
	scratch_load_b128 v[8:11], off, off offset:624
	s_wait_loadcnt_dscnt 0xb01
	v_mul_f64_e32 v[176:177], v[4:5], v[156:157]
	v_mul_f64_e32 v[156:157], v[6:7], v[156:157]
	v_add_f64_e32 v[144:145], v[180:181], v[178:179]
	v_add_f64_e32 v[170:171], v[170:171], v[174:175]
	s_wait_loadcnt_dscnt 0xa00
	v_mul_f64_e32 v[174:175], v[162:163], v[18:19]
	v_mul_f64_e32 v[18:19], v[164:165], v[18:19]
	v_fmac_f64_e32 v[176:177], v[6:7], v[154:155]
	v_fma_f64 v[178:179], v[4:5], v[154:155], -v[156:157]
	v_add_f64_e32 v[180:181], v[144:145], v[142:143]
	v_add_f64_e32 v[170:171], v[170:171], v[172:173]
	ds_load_b128 v[4:7], v2 offset:1280
	ds_load_b128 v[142:145], v2 offset:1296
	scratch_load_b128 v[154:157], off, off offset:640
	v_fmac_f64_e32 v[174:175], v[164:165], v[16:17]
	v_fma_f64 v[162:163], v[162:163], v[16:17], -v[18:19]
	scratch_load_b128 v[16:19], off, off offset:656
	s_wait_loadcnt_dscnt 0xb01
	v_mul_f64_e32 v[172:173], v[4:5], v[148:149]
	v_mul_f64_e32 v[148:149], v[6:7], v[148:149]
	v_add_f64_e32 v[164:165], v[180:181], v[178:179]
	v_add_f64_e32 v[170:171], v[170:171], v[176:177]
	s_wait_loadcnt_dscnt 0xa00
	v_mul_f64_e32 v[176:177], v[142:143], v[14:15]
	v_mul_f64_e32 v[14:15], v[144:145], v[14:15]
	v_fmac_f64_e32 v[172:173], v[6:7], v[146:147]
	v_fma_f64 v[178:179], v[4:5], v[146:147], -v[148:149]
	ds_load_b128 v[4:7], v2 offset:1312
	ds_load_b128 v[146:149], v2 offset:1328
	v_add_f64_e32 v[180:181], v[164:165], v[162:163]
	v_add_f64_e32 v[170:171], v[170:171], v[174:175]
	scratch_load_b128 v[162:165], off, off offset:672
	v_fmac_f64_e32 v[176:177], v[144:145], v[12:13]
	v_fma_f64 v[142:143], v[142:143], v[12:13], -v[14:15]
	scratch_load_b128 v[12:15], off, off offset:688
	s_wait_loadcnt_dscnt 0xb01
	v_mul_f64_e32 v[174:175], v[4:5], v[132:133]
	v_mul_f64_e32 v[132:133], v[6:7], v[132:133]
	v_add_f64_e32 v[144:145], v[180:181], v[178:179]
	v_add_f64_e32 v[170:171], v[170:171], v[172:173]
	s_wait_loadcnt_dscnt 0xa00
	v_mul_f64_e32 v[172:173], v[146:147], v[22:23]
	v_mul_f64_e32 v[22:23], v[148:149], v[22:23]
	v_fmac_f64_e32 v[174:175], v[6:7], v[130:131]
	v_fma_f64 v[178:179], v[4:5], v[130:131], -v[132:133]
	ds_load_b128 v[4:7], v2 offset:1344
	ds_load_b128 v[130:133], v2 offset:1360
	v_add_f64_e32 v[180:181], v[144:145], v[142:143]
	v_add_f64_e32 v[170:171], v[170:171], v[176:177]
	scratch_load_b128 v[142:145], off, off offset:704
	s_wait_loadcnt_dscnt 0xa01
	v_mul_f64_e32 v[176:177], v[4:5], v[140:141]
	v_mul_f64_e32 v[140:141], v[6:7], v[140:141]
	v_fmac_f64_e32 v[172:173], v[148:149], v[20:21]
	v_fma_f64 v[146:147], v[146:147], v[20:21], -v[22:23]
	scratch_load_b128 v[20:23], off, off offset:720
	v_add_f64_e32 v[148:149], v[180:181], v[178:179]
	v_add_f64_e32 v[170:171], v[170:171], v[174:175]
	s_wait_loadcnt_dscnt 0xa00
	v_mul_f64_e32 v[174:175], v[130:131], v[128:129]
	v_mul_f64_e32 v[128:129], v[132:133], v[128:129]
	v_fmac_f64_e32 v[176:177], v[6:7], v[138:139]
	v_fma_f64 v[178:179], v[4:5], v[138:139], -v[140:141]
	ds_load_b128 v[4:7], v2 offset:1376
	ds_load_b128 v[138:141], v2 offset:1392
	v_add_f64_e32 v[180:181], v[148:149], v[146:147]
	v_add_f64_e32 v[170:171], v[170:171], v[172:173]
	scratch_load_b128 v[146:149], off, off offset:736
	s_wait_loadcnt_dscnt 0xa01
	v_mul_f64_e32 v[172:173], v[4:5], v[152:153]
	v_mul_f64_e32 v[152:153], v[6:7], v[152:153]
	v_fmac_f64_e32 v[174:175], v[132:133], v[126:127]
	v_fma_f64 v[130:131], v[130:131], v[126:127], -v[128:129]
	scratch_load_b128 v[126:129], off, off offset:752
	v_add_f64_e32 v[132:133], v[180:181], v[178:179]
	v_add_f64_e32 v[170:171], v[170:171], v[176:177]
	s_wait_loadcnt_dscnt 0xa00
	v_mul_f64_e32 v[176:177], v[138:139], v[136:137]
	v_mul_f64_e32 v[136:137], v[140:141], v[136:137]
	v_fmac_f64_e32 v[172:173], v[6:7], v[150:151]
	v_fma_f64 v[178:179], v[4:5], v[150:151], -v[152:153]
	v_add_f64_e32 v[180:181], v[132:133], v[130:131]
	v_add_f64_e32 v[170:171], v[170:171], v[174:175]
	ds_load_b128 v[4:7], v2 offset:1408
	ds_load_b128 v[130:133], v2 offset:1424
	scratch_load_b128 v[150:153], off, off offset:768
	v_fmac_f64_e32 v[176:177], v[140:141], v[134:135]
	v_fma_f64 v[138:139], v[138:139], v[134:135], -v[136:137]
	scratch_load_b128 v[134:137], off, off offset:784
	s_wait_loadcnt_dscnt 0xb01
	v_mul_f64_e32 v[174:175], v[4:5], v[168:169]
	v_mul_f64_e32 v[168:169], v[6:7], v[168:169]
	v_add_f64_e32 v[140:141], v[180:181], v[178:179]
	v_add_f64_e32 v[170:171], v[170:171], v[172:173]
	s_wait_loadcnt_dscnt 0xa00
	v_mul_f64_e32 v[172:173], v[130:131], v[10:11]
	v_mul_f64_e32 v[10:11], v[132:133], v[10:11]
	v_fmac_f64_e32 v[174:175], v[6:7], v[166:167]
	v_fma_f64 v[166:167], v[4:5], v[166:167], -v[168:169]
	v_add_f64_e32 v[168:169], v[140:141], v[138:139]
	v_add_f64_e32 v[170:171], v[170:171], v[176:177]
	ds_load_b128 v[4:7], v2 offset:1440
	ds_load_b128 v[138:141], v2 offset:1456
	v_fmac_f64_e32 v[172:173], v[132:133], v[8:9]
	v_fma_f64 v[8:9], v[130:131], v[8:9], -v[10:11]
	s_wait_loadcnt_dscnt 0x901
	v_mul_f64_e32 v[176:177], v[4:5], v[156:157]
	v_mul_f64_e32 v[156:157], v[6:7], v[156:157]
	s_wait_loadcnt_dscnt 0x800
	v_mul_f64_e32 v[132:133], v[138:139], v[18:19]
	v_mul_f64_e32 v[18:19], v[140:141], v[18:19]
	v_add_f64_e32 v[10:11], v[168:169], v[166:167]
	v_add_f64_e32 v[130:131], v[170:171], v[174:175]
	v_fmac_f64_e32 v[176:177], v[6:7], v[154:155]
	v_fma_f64 v[154:155], v[4:5], v[154:155], -v[156:157]
	v_fmac_f64_e32 v[132:133], v[140:141], v[16:17]
	v_fma_f64 v[16:17], v[138:139], v[16:17], -v[18:19]
	v_add_f64_e32 v[156:157], v[10:11], v[8:9]
	v_add_f64_e32 v[130:131], v[130:131], v[172:173]
	ds_load_b128 v[4:7], v2 offset:1472
	ds_load_b128 v[8:11], v2 offset:1488
	s_wait_loadcnt_dscnt 0x701
	v_mul_f64_e32 v[166:167], v[4:5], v[164:165]
	v_mul_f64_e32 v[164:165], v[6:7], v[164:165]
	s_wait_loadcnt_dscnt 0x600
	v_mul_f64_e32 v[138:139], v[8:9], v[14:15]
	v_mul_f64_e32 v[140:141], v[10:11], v[14:15]
	v_add_f64_e32 v[18:19], v[156:157], v[154:155]
	v_add_f64_e32 v[130:131], v[130:131], v[176:177]
	v_fmac_f64_e32 v[166:167], v[6:7], v[162:163]
	v_fma_f64 v[154:155], v[4:5], v[162:163], -v[164:165]
	v_fmac_f64_e32 v[138:139], v[10:11], v[12:13]
	v_fma_f64 v[8:9], v[8:9], v[12:13], -v[140:141]
	v_add_f64_e32 v[18:19], v[18:19], v[16:17]
	v_add_f64_e32 v[130:131], v[130:131], v[132:133]
	ds_load_b128 v[4:7], v2 offset:1504
	ds_load_b128 v[14:17], v2 offset:1520
	s_wait_loadcnt_dscnt 0x501
	v_mul_f64_e32 v[132:133], v[4:5], v[144:145]
	v_mul_f64_e32 v[144:145], v[6:7], v[144:145]
	v_add_f64_e32 v[10:11], v[18:19], v[154:155]
	v_add_f64_e32 v[12:13], v[130:131], v[166:167]
	s_wait_loadcnt_dscnt 0x400
	v_mul_f64_e32 v[18:19], v[14:15], v[22:23]
	v_mul_f64_e32 v[22:23], v[16:17], v[22:23]
	v_fmac_f64_e32 v[132:133], v[6:7], v[142:143]
	v_fma_f64 v[130:131], v[4:5], v[142:143], -v[144:145]
	v_add_f64_e32 v[140:141], v[10:11], v[8:9]
	v_add_f64_e32 v[12:13], v[12:13], v[138:139]
	ds_load_b128 v[4:7], v2 offset:1536
	ds_load_b128 v[8:11], v2 offset:1552
	v_fmac_f64_e32 v[18:19], v[16:17], v[20:21]
	v_fma_f64 v[14:15], v[14:15], v[20:21], -v[22:23]
	s_wait_loadcnt_dscnt 0x301
	v_mul_f64_e32 v[138:139], v[4:5], v[148:149]
	v_mul_f64_e32 v[142:143], v[6:7], v[148:149]
	s_wait_loadcnt_dscnt 0x200
	v_mul_f64_e32 v[20:21], v[8:9], v[128:129]
	v_mul_f64_e32 v[22:23], v[10:11], v[128:129]
	v_add_f64_e32 v[16:17], v[140:141], v[130:131]
	v_add_f64_e32 v[12:13], v[12:13], v[132:133]
	v_fmac_f64_e32 v[138:139], v[6:7], v[146:147]
	v_fma_f64 v[128:129], v[4:5], v[146:147], -v[142:143]
	v_fmac_f64_e32 v[20:21], v[10:11], v[126:127]
	v_fma_f64 v[8:9], v[8:9], v[126:127], -v[22:23]
	v_add_f64_e32 v[16:17], v[16:17], v[14:15]
	v_add_f64_e32 v[18:19], v[12:13], v[18:19]
	ds_load_b128 v[4:7], v2 offset:1568
	ds_load_b128 v[12:15], v2 offset:1584
	s_wait_loadcnt_dscnt 0x101
	v_mul_f64_e32 v[2:3], v[4:5], v[152:153]
	v_mul_f64_e32 v[130:131], v[6:7], v[152:153]
	s_wait_loadcnt_dscnt 0x0
	v_mul_f64_e32 v[22:23], v[14:15], v[136:137]
	v_add_f64_e32 v[10:11], v[16:17], v[128:129]
	v_add_f64_e32 v[16:17], v[18:19], v[138:139]
	v_mul_f64_e32 v[18:19], v[12:13], v[136:137]
	v_fmac_f64_e32 v[2:3], v[6:7], v[150:151]
	v_fma_f64 v[4:5], v[4:5], v[150:151], -v[130:131]
	v_add_f64_e32 v[6:7], v[10:11], v[8:9]
	v_add_f64_e32 v[8:9], v[16:17], v[20:21]
	v_fmac_f64_e32 v[18:19], v[14:15], v[134:135]
	v_fma_f64 v[10:11], v[12:13], v[134:135], -v[22:23]
	s_delay_alu instid0(VALU_DEP_4) | instskip(NEXT) | instid1(VALU_DEP_4)
	v_add_f64_e32 v[4:5], v[6:7], v[4:5]
	v_add_f64_e32 v[2:3], v[8:9], v[2:3]
	s_delay_alu instid0(VALU_DEP_2) | instskip(NEXT) | instid1(VALU_DEP_2)
	v_add_f64_e32 v[4:5], v[4:5], v[10:11]
	v_add_f64_e32 v[6:7], v[2:3], v[18:19]
	s_delay_alu instid0(VALU_DEP_2) | instskip(NEXT) | instid1(VALU_DEP_2)
	v_add_f64_e64 v[2:3], v[158:159], -v[4:5]
	v_add_f64_e64 v[4:5], v[160:161], -v[6:7]
	scratch_store_b128 off, v[2:5], off offset:208
	s_wait_xcnt 0x0
	v_cmpx_lt_u32_e32 12, v1
	s_cbranch_execz .LBB113_289
; %bb.288:
	scratch_load_b128 v[2:5], off, s54
	v_mov_b32_e32 v6, 0
	s_delay_alu instid0(VALU_DEP_1)
	v_dual_mov_b32 v7, v6 :: v_dual_mov_b32 v8, v6
	v_mov_b32_e32 v9, v6
	scratch_store_b128 off, v[6:9], off offset:192
	s_wait_loadcnt 0x0
	ds_store_b128 v124, v[2:5]
.LBB113_289:
	s_wait_xcnt 0x0
	s_or_b32 exec_lo, exec_lo, s2
	s_wait_storecnt_dscnt 0x0
	s_barrier_signal -1
	s_barrier_wait -1
	s_clause 0x9
	scratch_load_b128 v[4:7], off, off offset:208
	scratch_load_b128 v[8:11], off, off offset:224
	;; [unrolled: 1-line block ×10, first 2 shown]
	v_mov_b32_e32 v2, 0
	s_mov_b32 s2, exec_lo
	ds_load_b128 v[146:149], v2 offset:1008
	s_clause 0x2
	scratch_load_b128 v[150:153], off, off offset:368
	scratch_load_b128 v[154:157], off, off offset:192
	;; [unrolled: 1-line block ×3, first 2 shown]
	s_wait_loadcnt_dscnt 0xc00
	v_mul_f64_e32 v[166:167], v[148:149], v[6:7]
	v_mul_f64_e32 v[170:171], v[146:147], v[6:7]
	ds_load_b128 v[158:161], v2 offset:1024
	v_fma_f64 v[174:175], v[146:147], v[4:5], -v[166:167]
	v_fmac_f64_e32 v[170:171], v[148:149], v[4:5]
	ds_load_b128 v[4:7], v2 offset:1040
	s_wait_loadcnt_dscnt 0xb01
	v_mul_f64_e32 v[172:173], v[158:159], v[10:11]
	v_mul_f64_e32 v[10:11], v[160:161], v[10:11]
	scratch_load_b128 v[146:149], off, off offset:400
	ds_load_b128 v[166:169], v2 offset:1056
	s_wait_loadcnt_dscnt 0xb01
	v_mul_f64_e32 v[176:177], v[4:5], v[14:15]
	v_mul_f64_e32 v[14:15], v[6:7], v[14:15]
	v_add_f64_e32 v[170:171], 0, v[170:171]
	v_fmac_f64_e32 v[172:173], v[160:161], v[8:9]
	v_fma_f64 v[158:159], v[158:159], v[8:9], -v[10:11]
	v_add_f64_e32 v[160:161], 0, v[174:175]
	scratch_load_b128 v[8:11], off, off offset:416
	v_fmac_f64_e32 v[176:177], v[6:7], v[12:13]
	v_fma_f64 v[178:179], v[4:5], v[12:13], -v[14:15]
	ds_load_b128 v[4:7], v2 offset:1072
	s_wait_loadcnt_dscnt 0xb01
	v_mul_f64_e32 v[174:175], v[166:167], v[18:19]
	v_mul_f64_e32 v[18:19], v[168:169], v[18:19]
	scratch_load_b128 v[12:15], off, off offset:432
	v_add_f64_e32 v[170:171], v[170:171], v[172:173]
	v_add_f64_e32 v[180:181], v[160:161], v[158:159]
	ds_load_b128 v[158:161], v2 offset:1088
	s_wait_loadcnt_dscnt 0xb01
	v_mul_f64_e32 v[172:173], v[4:5], v[22:23]
	v_mul_f64_e32 v[22:23], v[6:7], v[22:23]
	v_fmac_f64_e32 v[174:175], v[168:169], v[16:17]
	v_fma_f64 v[166:167], v[166:167], v[16:17], -v[18:19]
	scratch_load_b128 v[16:19], off, off offset:448
	v_add_f64_e32 v[170:171], v[170:171], v[176:177]
	v_add_f64_e32 v[168:169], v[180:181], v[178:179]
	v_fmac_f64_e32 v[172:173], v[6:7], v[20:21]
	v_fma_f64 v[178:179], v[4:5], v[20:21], -v[22:23]
	ds_load_b128 v[4:7], v2 offset:1104
	s_wait_loadcnt_dscnt 0xb01
	v_mul_f64_e32 v[176:177], v[158:159], v[128:129]
	v_mul_f64_e32 v[128:129], v[160:161], v[128:129]
	scratch_load_b128 v[20:23], off, off offset:464
	v_add_f64_e32 v[170:171], v[170:171], v[174:175]
	s_wait_loadcnt_dscnt 0xb00
	v_mul_f64_e32 v[174:175], v[4:5], v[132:133]
	v_add_f64_e32 v[180:181], v[168:169], v[166:167]
	v_mul_f64_e32 v[132:133], v[6:7], v[132:133]
	ds_load_b128 v[166:169], v2 offset:1120
	v_fmac_f64_e32 v[176:177], v[160:161], v[126:127]
	v_fma_f64 v[158:159], v[158:159], v[126:127], -v[128:129]
	scratch_load_b128 v[126:129], off, off offset:480
	v_add_f64_e32 v[170:171], v[170:171], v[172:173]
	v_fmac_f64_e32 v[174:175], v[6:7], v[130:131]
	v_add_f64_e32 v[160:161], v[180:181], v[178:179]
	v_fma_f64 v[178:179], v[4:5], v[130:131], -v[132:133]
	ds_load_b128 v[4:7], v2 offset:1136
	s_wait_loadcnt_dscnt 0xb01
	v_mul_f64_e32 v[172:173], v[166:167], v[136:137]
	v_mul_f64_e32 v[136:137], v[168:169], v[136:137]
	scratch_load_b128 v[130:133], off, off offset:496
	v_add_f64_e32 v[170:171], v[170:171], v[176:177]
	s_wait_loadcnt_dscnt 0xb00
	v_mul_f64_e32 v[176:177], v[4:5], v[140:141]
	v_add_f64_e32 v[180:181], v[160:161], v[158:159]
	v_mul_f64_e32 v[140:141], v[6:7], v[140:141]
	ds_load_b128 v[158:161], v2 offset:1152
	v_fmac_f64_e32 v[172:173], v[168:169], v[134:135]
	v_fma_f64 v[166:167], v[166:167], v[134:135], -v[136:137]
	scratch_load_b128 v[134:137], off, off offset:512
	v_add_f64_e32 v[170:171], v[170:171], v[174:175]
	v_fmac_f64_e32 v[176:177], v[6:7], v[138:139]
	v_add_f64_e32 v[168:169], v[180:181], v[178:179]
	v_fma_f64 v[178:179], v[4:5], v[138:139], -v[140:141]
	ds_load_b128 v[4:7], v2 offset:1168
	s_wait_loadcnt_dscnt 0xb01
	v_mul_f64_e32 v[174:175], v[158:159], v[144:145]
	v_mul_f64_e32 v[144:145], v[160:161], v[144:145]
	scratch_load_b128 v[138:141], off, off offset:528
	v_add_f64_e32 v[170:171], v[170:171], v[172:173]
	s_wait_loadcnt_dscnt 0xb00
	v_mul_f64_e32 v[172:173], v[4:5], v[152:153]
	v_add_f64_e32 v[180:181], v[168:169], v[166:167]
	v_mul_f64_e32 v[152:153], v[6:7], v[152:153]
	ds_load_b128 v[166:169], v2 offset:1184
	v_fmac_f64_e32 v[174:175], v[160:161], v[142:143]
	v_fma_f64 v[158:159], v[158:159], v[142:143], -v[144:145]
	scratch_load_b128 v[142:145], off, off offset:544
	v_add_f64_e32 v[170:171], v[170:171], v[176:177]
	v_fmac_f64_e32 v[172:173], v[6:7], v[150:151]
	v_add_f64_e32 v[160:161], v[180:181], v[178:179]
	v_fma_f64 v[178:179], v[4:5], v[150:151], -v[152:153]
	ds_load_b128 v[4:7], v2 offset:1200
	s_wait_loadcnt_dscnt 0xa01
	v_mul_f64_e32 v[176:177], v[166:167], v[164:165]
	v_mul_f64_e32 v[164:165], v[168:169], v[164:165]
	scratch_load_b128 v[150:153], off, off offset:560
	v_add_f64_e32 v[170:171], v[170:171], v[174:175]
	v_add_f64_e32 v[180:181], v[160:161], v[158:159]
	s_wait_loadcnt_dscnt 0xa00
	v_mul_f64_e32 v[174:175], v[4:5], v[148:149]
	v_mul_f64_e32 v[148:149], v[6:7], v[148:149]
	v_fmac_f64_e32 v[176:177], v[168:169], v[162:163]
	v_fma_f64 v[166:167], v[166:167], v[162:163], -v[164:165]
	ds_load_b128 v[158:161], v2 offset:1216
	scratch_load_b128 v[162:165], off, off offset:576
	v_add_f64_e32 v[170:171], v[170:171], v[172:173]
	v_add_f64_e32 v[168:169], v[180:181], v[178:179]
	v_fmac_f64_e32 v[174:175], v[6:7], v[146:147]
	v_fma_f64 v[178:179], v[4:5], v[146:147], -v[148:149]
	ds_load_b128 v[4:7], v2 offset:1232
	s_wait_loadcnt_dscnt 0xa01
	v_mul_f64_e32 v[172:173], v[158:159], v[10:11]
	v_mul_f64_e32 v[10:11], v[160:161], v[10:11]
	scratch_load_b128 v[146:149], off, off offset:592
	v_add_f64_e32 v[170:171], v[170:171], v[176:177]
	s_wait_loadcnt_dscnt 0xa00
	v_mul_f64_e32 v[176:177], v[4:5], v[14:15]
	v_add_f64_e32 v[180:181], v[168:169], v[166:167]
	v_mul_f64_e32 v[14:15], v[6:7], v[14:15]
	ds_load_b128 v[166:169], v2 offset:1248
	v_fmac_f64_e32 v[172:173], v[160:161], v[8:9]
	v_fma_f64 v[158:159], v[158:159], v[8:9], -v[10:11]
	scratch_load_b128 v[8:11], off, off offset:608
	v_add_f64_e32 v[170:171], v[170:171], v[174:175]
	v_fmac_f64_e32 v[176:177], v[6:7], v[12:13]
	v_add_f64_e32 v[160:161], v[180:181], v[178:179]
	v_fma_f64 v[178:179], v[4:5], v[12:13], -v[14:15]
	ds_load_b128 v[4:7], v2 offset:1264
	s_wait_loadcnt_dscnt 0xa01
	v_mul_f64_e32 v[174:175], v[166:167], v[18:19]
	v_mul_f64_e32 v[18:19], v[168:169], v[18:19]
	scratch_load_b128 v[12:15], off, off offset:624
	v_add_f64_e32 v[170:171], v[170:171], v[172:173]
	s_wait_loadcnt_dscnt 0xa00
	v_mul_f64_e32 v[172:173], v[4:5], v[22:23]
	v_add_f64_e32 v[180:181], v[160:161], v[158:159]
	v_mul_f64_e32 v[22:23], v[6:7], v[22:23]
	ds_load_b128 v[158:161], v2 offset:1280
	v_fmac_f64_e32 v[174:175], v[168:169], v[16:17]
	v_fma_f64 v[166:167], v[166:167], v[16:17], -v[18:19]
	scratch_load_b128 v[16:19], off, off offset:640
	v_add_f64_e32 v[170:171], v[170:171], v[176:177]
	v_fmac_f64_e32 v[172:173], v[6:7], v[20:21]
	v_add_f64_e32 v[168:169], v[180:181], v[178:179]
	;; [unrolled: 18-line block ×6, first 2 shown]
	v_fma_f64 v[178:179], v[4:5], v[146:147], -v[148:149]
	ds_load_b128 v[4:7], v2 offset:1424
	s_wait_loadcnt_dscnt 0xa01
	v_mul_f64_e32 v[172:173], v[158:159], v[10:11]
	v_mul_f64_e32 v[10:11], v[160:161], v[10:11]
	scratch_load_b128 v[146:149], off, off offset:784
	v_add_f64_e32 v[170:171], v[170:171], v[176:177]
	s_wait_loadcnt_dscnt 0xa00
	v_mul_f64_e32 v[176:177], v[4:5], v[14:15]
	v_add_f64_e32 v[180:181], v[168:169], v[166:167]
	v_mul_f64_e32 v[14:15], v[6:7], v[14:15]
	ds_load_b128 v[166:169], v2 offset:1440
	v_fmac_f64_e32 v[172:173], v[160:161], v[8:9]
	v_fma_f64 v[8:9], v[158:159], v[8:9], -v[10:11]
	s_wait_loadcnt_dscnt 0x900
	v_mul_f64_e32 v[160:161], v[166:167], v[18:19]
	v_mul_f64_e32 v[18:19], v[168:169], v[18:19]
	v_add_f64_e32 v[158:159], v[170:171], v[174:175]
	v_fmac_f64_e32 v[176:177], v[6:7], v[12:13]
	v_add_f64_e32 v[10:11], v[180:181], v[178:179]
	v_fma_f64 v[12:13], v[4:5], v[12:13], -v[14:15]
	v_fmac_f64_e32 v[160:161], v[168:169], v[16:17]
	v_fma_f64 v[16:17], v[166:167], v[16:17], -v[18:19]
	v_add_f64_e32 v[158:159], v[158:159], v[172:173]
	v_add_f64_e32 v[14:15], v[10:11], v[8:9]
	ds_load_b128 v[4:7], v2 offset:1456
	ds_load_b128 v[8:11], v2 offset:1472
	s_wait_loadcnt_dscnt 0x801
	v_mul_f64_e32 v[170:171], v[4:5], v[22:23]
	v_mul_f64_e32 v[22:23], v[6:7], v[22:23]
	s_wait_loadcnt_dscnt 0x700
	v_mul_f64_e32 v[18:19], v[8:9], v[128:129]
	v_mul_f64_e32 v[128:129], v[10:11], v[128:129]
	v_add_f64_e32 v[12:13], v[14:15], v[12:13]
	v_add_f64_e32 v[14:15], v[158:159], v[176:177]
	v_fmac_f64_e32 v[170:171], v[6:7], v[20:21]
	v_fma_f64 v[20:21], v[4:5], v[20:21], -v[22:23]
	v_fmac_f64_e32 v[18:19], v[10:11], v[126:127]
	v_fma_f64 v[8:9], v[8:9], v[126:127], -v[128:129]
	v_add_f64_e32 v[16:17], v[12:13], v[16:17]
	v_add_f64_e32 v[22:23], v[14:15], v[160:161]
	ds_load_b128 v[4:7], v2 offset:1488
	ds_load_b128 v[12:15], v2 offset:1504
	s_wait_loadcnt_dscnt 0x601
	v_mul_f64_e32 v[158:159], v[4:5], v[132:133]
	v_mul_f64_e32 v[132:133], v[6:7], v[132:133]
	v_add_f64_e32 v[10:11], v[16:17], v[20:21]
	v_add_f64_e32 v[16:17], v[22:23], v[170:171]
	s_wait_loadcnt_dscnt 0x500
	v_mul_f64_e32 v[20:21], v[12:13], v[136:137]
	v_mul_f64_e32 v[22:23], v[14:15], v[136:137]
	v_fmac_f64_e32 v[158:159], v[6:7], v[130:131]
	v_fma_f64 v[126:127], v[4:5], v[130:131], -v[132:133]
	v_add_f64_e32 v[128:129], v[10:11], v[8:9]
	v_add_f64_e32 v[16:17], v[16:17], v[18:19]
	ds_load_b128 v[4:7], v2 offset:1520
	ds_load_b128 v[8:11], v2 offset:1536
	v_fmac_f64_e32 v[20:21], v[14:15], v[134:135]
	v_fma_f64 v[12:13], v[12:13], v[134:135], -v[22:23]
	s_wait_loadcnt_dscnt 0x401
	v_mul_f64_e32 v[18:19], v[4:5], v[140:141]
	v_mul_f64_e32 v[130:131], v[6:7], v[140:141]
	s_wait_loadcnt_dscnt 0x300
	v_mul_f64_e32 v[22:23], v[8:9], v[144:145]
	v_add_f64_e32 v[14:15], v[128:129], v[126:127]
	v_add_f64_e32 v[16:17], v[16:17], v[158:159]
	v_mul_f64_e32 v[126:127], v[10:11], v[144:145]
	v_fmac_f64_e32 v[18:19], v[6:7], v[138:139]
	v_fma_f64 v[128:129], v[4:5], v[138:139], -v[130:131]
	v_fmac_f64_e32 v[22:23], v[10:11], v[142:143]
	v_add_f64_e32 v[130:131], v[14:15], v[12:13]
	v_add_f64_e32 v[16:17], v[16:17], v[20:21]
	ds_load_b128 v[4:7], v2 offset:1552
	ds_load_b128 v[12:15], v2 offset:1568
	v_fma_f64 v[8:9], v[8:9], v[142:143], -v[126:127]
	s_wait_loadcnt_dscnt 0x201
	v_mul_f64_e32 v[20:21], v[4:5], v[152:153]
	v_mul_f64_e32 v[132:133], v[6:7], v[152:153]
	s_wait_loadcnt_dscnt 0x100
	v_mul_f64_e32 v[126:127], v[14:15], v[164:165]
	v_add_f64_e32 v[10:11], v[130:131], v[128:129]
	v_add_f64_e32 v[16:17], v[16:17], v[18:19]
	v_mul_f64_e32 v[18:19], v[12:13], v[164:165]
	v_fmac_f64_e32 v[20:21], v[6:7], v[150:151]
	v_fma_f64 v[128:129], v[4:5], v[150:151], -v[132:133]
	ds_load_b128 v[4:7], v2 offset:1584
	v_fma_f64 v[12:13], v[12:13], v[162:163], -v[126:127]
	v_add_f64_e32 v[8:9], v[10:11], v[8:9]
	v_add_f64_e32 v[10:11], v[16:17], v[22:23]
	v_fmac_f64_e32 v[18:19], v[14:15], v[162:163]
	s_wait_loadcnt_dscnt 0x0
	v_mul_f64_e32 v[16:17], v[4:5], v[148:149]
	v_mul_f64_e32 v[22:23], v[6:7], v[148:149]
	v_add_f64_e32 v[8:9], v[8:9], v[128:129]
	v_add_f64_e32 v[10:11], v[10:11], v[20:21]
	s_delay_alu instid0(VALU_DEP_4) | instskip(NEXT) | instid1(VALU_DEP_4)
	v_fmac_f64_e32 v[16:17], v[6:7], v[146:147]
	v_fma_f64 v[4:5], v[4:5], v[146:147], -v[22:23]
	s_delay_alu instid0(VALU_DEP_4) | instskip(NEXT) | instid1(VALU_DEP_4)
	v_add_f64_e32 v[6:7], v[8:9], v[12:13]
	v_add_f64_e32 v[8:9], v[10:11], v[18:19]
	s_delay_alu instid0(VALU_DEP_2) | instskip(NEXT) | instid1(VALU_DEP_2)
	v_add_f64_e32 v[4:5], v[6:7], v[4:5]
	v_add_f64_e32 v[6:7], v[8:9], v[16:17]
	s_delay_alu instid0(VALU_DEP_2) | instskip(NEXT) | instid1(VALU_DEP_2)
	v_add_f64_e64 v[4:5], v[154:155], -v[4:5]
	v_add_f64_e64 v[6:7], v[156:157], -v[6:7]
	scratch_store_b128 off, v[4:7], off offset:192
	s_wait_xcnt 0x0
	v_cmpx_lt_u32_e32 11, v1
	s_cbranch_execz .LBB113_291
; %bb.290:
	scratch_load_b128 v[6:9], off, s55
	v_dual_mov_b32 v3, v2 :: v_dual_mov_b32 v4, v2
	v_mov_b32_e32 v5, v2
	scratch_store_b128 off, v[2:5], off offset:176
	s_wait_loadcnt 0x0
	ds_store_b128 v124, v[6:9]
.LBB113_291:
	s_wait_xcnt 0x0
	s_or_b32 exec_lo, exec_lo, s2
	s_wait_storecnt_dscnt 0x0
	s_barrier_signal -1
	s_barrier_wait -1
	s_clause 0x9
	scratch_load_b128 v[4:7], off, off offset:192
	scratch_load_b128 v[8:11], off, off offset:208
	;; [unrolled: 1-line block ×10, first 2 shown]
	ds_load_b128 v[146:149], v2 offset:992
	ds_load_b128 v[154:157], v2 offset:1008
	s_clause 0x2
	scratch_load_b128 v[150:153], off, off offset:352
	scratch_load_b128 v[158:161], off, off offset:176
	;; [unrolled: 1-line block ×3, first 2 shown]
	s_mov_b32 s2, exec_lo
	s_wait_loadcnt_dscnt 0xc01
	v_mul_f64_e32 v[166:167], v[148:149], v[6:7]
	v_mul_f64_e32 v[170:171], v[146:147], v[6:7]
	s_wait_loadcnt_dscnt 0xb00
	v_mul_f64_e32 v[172:173], v[154:155], v[10:11]
	v_mul_f64_e32 v[10:11], v[156:157], v[10:11]
	s_delay_alu instid0(VALU_DEP_4) | instskip(NEXT) | instid1(VALU_DEP_4)
	v_fma_f64 v[174:175], v[146:147], v[4:5], -v[166:167]
	v_fmac_f64_e32 v[170:171], v[148:149], v[4:5]
	ds_load_b128 v[4:7], v2 offset:1024
	ds_load_b128 v[146:149], v2 offset:1040
	scratch_load_b128 v[166:169], off, off offset:384
	v_fmac_f64_e32 v[172:173], v[156:157], v[8:9]
	v_fma_f64 v[154:155], v[154:155], v[8:9], -v[10:11]
	scratch_load_b128 v[8:11], off, off offset:400
	s_wait_loadcnt_dscnt 0xc01
	v_mul_f64_e32 v[176:177], v[4:5], v[14:15]
	v_mul_f64_e32 v[14:15], v[6:7], v[14:15]
	v_add_f64_e32 v[156:157], 0, v[174:175]
	v_add_f64_e32 v[170:171], 0, v[170:171]
	s_wait_loadcnt_dscnt 0xb00
	v_mul_f64_e32 v[174:175], v[146:147], v[18:19]
	v_mul_f64_e32 v[18:19], v[148:149], v[18:19]
	v_fmac_f64_e32 v[176:177], v[6:7], v[12:13]
	v_fma_f64 v[178:179], v[4:5], v[12:13], -v[14:15]
	ds_load_b128 v[4:7], v2 offset:1056
	ds_load_b128 v[12:15], v2 offset:1072
	v_add_f64_e32 v[180:181], v[156:157], v[154:155]
	v_add_f64_e32 v[170:171], v[170:171], v[172:173]
	scratch_load_b128 v[154:157], off, off offset:416
	v_fmac_f64_e32 v[174:175], v[148:149], v[16:17]
	v_fma_f64 v[146:147], v[146:147], v[16:17], -v[18:19]
	scratch_load_b128 v[16:19], off, off offset:432
	s_wait_loadcnt_dscnt 0xc01
	v_mul_f64_e32 v[172:173], v[4:5], v[22:23]
	v_mul_f64_e32 v[22:23], v[6:7], v[22:23]
	v_add_f64_e32 v[148:149], v[180:181], v[178:179]
	v_add_f64_e32 v[170:171], v[170:171], v[176:177]
	s_wait_loadcnt_dscnt 0xb00
	v_mul_f64_e32 v[176:177], v[12:13], v[128:129]
	v_mul_f64_e32 v[128:129], v[14:15], v[128:129]
	v_fmac_f64_e32 v[172:173], v[6:7], v[20:21]
	v_fma_f64 v[178:179], v[4:5], v[20:21], -v[22:23]
	ds_load_b128 v[4:7], v2 offset:1088
	ds_load_b128 v[20:23], v2 offset:1104
	v_add_f64_e32 v[180:181], v[148:149], v[146:147]
	v_add_f64_e32 v[170:171], v[170:171], v[174:175]
	scratch_load_b128 v[146:149], off, off offset:448
	s_wait_loadcnt_dscnt 0xb01
	v_mul_f64_e32 v[174:175], v[4:5], v[132:133]
	v_mul_f64_e32 v[132:133], v[6:7], v[132:133]
	v_fmac_f64_e32 v[176:177], v[14:15], v[126:127]
	v_fma_f64 v[126:127], v[12:13], v[126:127], -v[128:129]
	scratch_load_b128 v[12:15], off, off offset:464
	v_add_f64_e32 v[128:129], v[180:181], v[178:179]
	v_add_f64_e32 v[170:171], v[170:171], v[172:173]
	s_wait_loadcnt_dscnt 0xb00
	v_mul_f64_e32 v[172:173], v[20:21], v[136:137]
	v_mul_f64_e32 v[136:137], v[22:23], v[136:137]
	v_fmac_f64_e32 v[174:175], v[6:7], v[130:131]
	v_fma_f64 v[178:179], v[4:5], v[130:131], -v[132:133]
	v_add_f64_e32 v[180:181], v[128:129], v[126:127]
	v_add_f64_e32 v[170:171], v[170:171], v[176:177]
	ds_load_b128 v[4:7], v2 offset:1120
	ds_load_b128 v[126:129], v2 offset:1136
	scratch_load_b128 v[130:133], off, off offset:480
	v_fmac_f64_e32 v[172:173], v[22:23], v[134:135]
	v_fma_f64 v[134:135], v[20:21], v[134:135], -v[136:137]
	scratch_load_b128 v[20:23], off, off offset:496
	s_wait_loadcnt_dscnt 0xc01
	v_mul_f64_e32 v[176:177], v[4:5], v[140:141]
	v_mul_f64_e32 v[140:141], v[6:7], v[140:141]
	v_add_f64_e32 v[136:137], v[180:181], v[178:179]
	v_add_f64_e32 v[170:171], v[170:171], v[174:175]
	s_wait_loadcnt_dscnt 0xb00
	v_mul_f64_e32 v[174:175], v[126:127], v[144:145]
	v_mul_f64_e32 v[144:145], v[128:129], v[144:145]
	v_fmac_f64_e32 v[176:177], v[6:7], v[138:139]
	v_fma_f64 v[178:179], v[4:5], v[138:139], -v[140:141]
	v_add_f64_e32 v[180:181], v[136:137], v[134:135]
	v_add_f64_e32 v[170:171], v[170:171], v[172:173]
	ds_load_b128 v[4:7], v2 offset:1152
	ds_load_b128 v[134:137], v2 offset:1168
	scratch_load_b128 v[138:141], off, off offset:512
	v_fmac_f64_e32 v[174:175], v[128:129], v[142:143]
	v_fma_f64 v[142:143], v[126:127], v[142:143], -v[144:145]
	scratch_load_b128 v[126:129], off, off offset:528
	s_wait_loadcnt_dscnt 0xc01
	v_mul_f64_e32 v[172:173], v[4:5], v[152:153]
	v_mul_f64_e32 v[152:153], v[6:7], v[152:153]
	;; [unrolled: 18-line block ×5, first 2 shown]
	v_add_f64_e32 v[164:165], v[180:181], v[178:179]
	v_add_f64_e32 v[170:171], v[170:171], v[176:177]
	s_wait_loadcnt_dscnt 0xa00
	v_mul_f64_e32 v[176:177], v[142:143], v[14:15]
	v_mul_f64_e32 v[14:15], v[144:145], v[14:15]
	v_fmac_f64_e32 v[172:173], v[6:7], v[146:147]
	v_fma_f64 v[178:179], v[4:5], v[146:147], -v[148:149]
	ds_load_b128 v[4:7], v2 offset:1280
	ds_load_b128 v[146:149], v2 offset:1296
	v_add_f64_e32 v[180:181], v[164:165], v[162:163]
	v_add_f64_e32 v[170:171], v[170:171], v[174:175]
	scratch_load_b128 v[162:165], off, off offset:640
	v_fmac_f64_e32 v[176:177], v[144:145], v[12:13]
	v_fma_f64 v[142:143], v[142:143], v[12:13], -v[14:15]
	scratch_load_b128 v[12:15], off, off offset:656
	s_wait_loadcnt_dscnt 0xb01
	v_mul_f64_e32 v[174:175], v[4:5], v[132:133]
	v_mul_f64_e32 v[132:133], v[6:7], v[132:133]
	v_add_f64_e32 v[144:145], v[180:181], v[178:179]
	v_add_f64_e32 v[170:171], v[170:171], v[172:173]
	s_wait_loadcnt_dscnt 0xa00
	v_mul_f64_e32 v[172:173], v[146:147], v[22:23]
	v_mul_f64_e32 v[22:23], v[148:149], v[22:23]
	v_fmac_f64_e32 v[174:175], v[6:7], v[130:131]
	v_fma_f64 v[178:179], v[4:5], v[130:131], -v[132:133]
	ds_load_b128 v[4:7], v2 offset:1312
	ds_load_b128 v[130:133], v2 offset:1328
	v_add_f64_e32 v[180:181], v[144:145], v[142:143]
	v_add_f64_e32 v[170:171], v[170:171], v[176:177]
	scratch_load_b128 v[142:145], off, off offset:672
	s_wait_loadcnt_dscnt 0xa01
	v_mul_f64_e32 v[176:177], v[4:5], v[140:141]
	v_mul_f64_e32 v[140:141], v[6:7], v[140:141]
	v_fmac_f64_e32 v[172:173], v[148:149], v[20:21]
	v_fma_f64 v[146:147], v[146:147], v[20:21], -v[22:23]
	scratch_load_b128 v[20:23], off, off offset:688
	v_add_f64_e32 v[148:149], v[180:181], v[178:179]
	v_add_f64_e32 v[170:171], v[170:171], v[174:175]
	s_wait_loadcnt_dscnt 0xa00
	v_mul_f64_e32 v[174:175], v[130:131], v[128:129]
	v_mul_f64_e32 v[128:129], v[132:133], v[128:129]
	v_fmac_f64_e32 v[176:177], v[6:7], v[138:139]
	v_fma_f64 v[178:179], v[4:5], v[138:139], -v[140:141]
	ds_load_b128 v[4:7], v2 offset:1344
	ds_load_b128 v[138:141], v2 offset:1360
	v_add_f64_e32 v[180:181], v[148:149], v[146:147]
	v_add_f64_e32 v[170:171], v[170:171], v[172:173]
	scratch_load_b128 v[146:149], off, off offset:704
	s_wait_loadcnt_dscnt 0xa01
	v_mul_f64_e32 v[172:173], v[4:5], v[152:153]
	v_mul_f64_e32 v[152:153], v[6:7], v[152:153]
	v_fmac_f64_e32 v[174:175], v[132:133], v[126:127]
	v_fma_f64 v[130:131], v[130:131], v[126:127], -v[128:129]
	scratch_load_b128 v[126:129], off, off offset:720
	v_add_f64_e32 v[132:133], v[180:181], v[178:179]
	v_add_f64_e32 v[170:171], v[170:171], v[176:177]
	s_wait_loadcnt_dscnt 0xa00
	v_mul_f64_e32 v[176:177], v[138:139], v[136:137]
	v_mul_f64_e32 v[136:137], v[140:141], v[136:137]
	v_fmac_f64_e32 v[172:173], v[6:7], v[150:151]
	v_fma_f64 v[178:179], v[4:5], v[150:151], -v[152:153]
	v_add_f64_e32 v[180:181], v[132:133], v[130:131]
	v_add_f64_e32 v[170:171], v[170:171], v[174:175]
	ds_load_b128 v[4:7], v2 offset:1376
	ds_load_b128 v[130:133], v2 offset:1392
	scratch_load_b128 v[150:153], off, off offset:736
	v_fmac_f64_e32 v[176:177], v[140:141], v[134:135]
	v_fma_f64 v[138:139], v[138:139], v[134:135], -v[136:137]
	scratch_load_b128 v[134:137], off, off offset:752
	s_wait_loadcnt_dscnt 0xb01
	v_mul_f64_e32 v[174:175], v[4:5], v[168:169]
	v_mul_f64_e32 v[168:169], v[6:7], v[168:169]
	v_add_f64_e32 v[140:141], v[180:181], v[178:179]
	v_add_f64_e32 v[170:171], v[170:171], v[172:173]
	s_wait_loadcnt_dscnt 0xa00
	v_mul_f64_e32 v[172:173], v[130:131], v[10:11]
	v_mul_f64_e32 v[10:11], v[132:133], v[10:11]
	v_fmac_f64_e32 v[174:175], v[6:7], v[166:167]
	v_fma_f64 v[178:179], v[4:5], v[166:167], -v[168:169]
	v_add_f64_e32 v[180:181], v[140:141], v[138:139]
	v_add_f64_e32 v[170:171], v[170:171], v[176:177]
	ds_load_b128 v[4:7], v2 offset:1408
	ds_load_b128 v[138:141], v2 offset:1424
	scratch_load_b128 v[166:169], off, off offset:768
	v_fmac_f64_e32 v[172:173], v[132:133], v[8:9]
	v_fma_f64 v[130:131], v[130:131], v[8:9], -v[10:11]
	scratch_load_b128 v[8:11], off, off offset:784
	s_wait_loadcnt_dscnt 0xb01
	v_mul_f64_e32 v[176:177], v[4:5], v[156:157]
	v_mul_f64_e32 v[156:157], v[6:7], v[156:157]
	v_add_f64_e32 v[132:133], v[180:181], v[178:179]
	v_add_f64_e32 v[170:171], v[170:171], v[174:175]
	s_wait_loadcnt_dscnt 0xa00
	v_mul_f64_e32 v[174:175], v[138:139], v[18:19]
	v_mul_f64_e32 v[18:19], v[140:141], v[18:19]
	v_fmac_f64_e32 v[176:177], v[6:7], v[154:155]
	v_fma_f64 v[154:155], v[4:5], v[154:155], -v[156:157]
	v_add_f64_e32 v[156:157], v[132:133], v[130:131]
	v_add_f64_e32 v[170:171], v[170:171], v[172:173]
	ds_load_b128 v[4:7], v2 offset:1440
	ds_load_b128 v[130:133], v2 offset:1456
	v_fmac_f64_e32 v[174:175], v[140:141], v[16:17]
	v_fma_f64 v[16:17], v[138:139], v[16:17], -v[18:19]
	s_wait_loadcnt_dscnt 0x901
	v_mul_f64_e32 v[172:173], v[4:5], v[164:165]
	v_mul_f64_e32 v[164:165], v[6:7], v[164:165]
	s_wait_loadcnt_dscnt 0x800
	v_mul_f64_e32 v[140:141], v[130:131], v[14:15]
	v_add_f64_e32 v[18:19], v[156:157], v[154:155]
	v_add_f64_e32 v[138:139], v[170:171], v[176:177]
	v_mul_f64_e32 v[154:155], v[132:133], v[14:15]
	v_fmac_f64_e32 v[172:173], v[6:7], v[162:163]
	v_fma_f64 v[156:157], v[4:5], v[162:163], -v[164:165]
	v_fmac_f64_e32 v[140:141], v[132:133], v[12:13]
	v_add_f64_e32 v[18:19], v[18:19], v[16:17]
	v_add_f64_e32 v[138:139], v[138:139], v[174:175]
	ds_load_b128 v[4:7], v2 offset:1472
	ds_load_b128 v[14:17], v2 offset:1488
	v_fma_f64 v[12:13], v[130:131], v[12:13], -v[154:155]
	s_wait_loadcnt_dscnt 0x701
	v_mul_f64_e32 v[162:163], v[4:5], v[144:145]
	v_mul_f64_e32 v[144:145], v[6:7], v[144:145]
	v_add_f64_e32 v[18:19], v[18:19], v[156:157]
	v_add_f64_e32 v[130:131], v[138:139], v[172:173]
	s_wait_loadcnt_dscnt 0x600
	v_mul_f64_e32 v[138:139], v[14:15], v[22:23]
	v_mul_f64_e32 v[22:23], v[16:17], v[22:23]
	v_fmac_f64_e32 v[162:163], v[6:7], v[142:143]
	v_fma_f64 v[142:143], v[4:5], v[142:143], -v[144:145]
	v_add_f64_e32 v[12:13], v[18:19], v[12:13]
	v_add_f64_e32 v[18:19], v[130:131], v[140:141]
	ds_load_b128 v[4:7], v2 offset:1504
	ds_load_b128 v[130:133], v2 offset:1520
	v_fmac_f64_e32 v[138:139], v[16:17], v[20:21]
	v_fma_f64 v[14:15], v[14:15], v[20:21], -v[22:23]
	s_wait_loadcnt_dscnt 0x501
	v_mul_f64_e32 v[140:141], v[4:5], v[148:149]
	v_mul_f64_e32 v[144:145], v[6:7], v[148:149]
	s_wait_loadcnt_dscnt 0x400
	v_mul_f64_e32 v[20:21], v[132:133], v[128:129]
	v_add_f64_e32 v[12:13], v[12:13], v[142:143]
	v_add_f64_e32 v[16:17], v[18:19], v[162:163]
	v_mul_f64_e32 v[18:19], v[130:131], v[128:129]
	v_fmac_f64_e32 v[140:141], v[6:7], v[146:147]
	v_fma_f64 v[22:23], v[4:5], v[146:147], -v[144:145]
	v_fma_f64 v[20:21], v[130:131], v[126:127], -v[20:21]
	v_add_f64_e32 v[128:129], v[12:13], v[14:15]
	v_add_f64_e32 v[16:17], v[16:17], v[138:139]
	ds_load_b128 v[4:7], v2 offset:1536
	ds_load_b128 v[12:15], v2 offset:1552
	v_fmac_f64_e32 v[18:19], v[132:133], v[126:127]
	s_wait_loadcnt_dscnt 0x301
	v_mul_f64_e32 v[138:139], v[4:5], v[152:153]
	v_mul_f64_e32 v[142:143], v[6:7], v[152:153]
	s_wait_loadcnt_dscnt 0x200
	v_mul_f64_e32 v[126:127], v[12:13], v[136:137]
	v_add_f64_e32 v[22:23], v[128:129], v[22:23]
	v_add_f64_e32 v[16:17], v[16:17], v[140:141]
	v_mul_f64_e32 v[128:129], v[14:15], v[136:137]
	v_fmac_f64_e32 v[138:139], v[6:7], v[150:151]
	v_fma_f64 v[130:131], v[4:5], v[150:151], -v[142:143]
	v_fmac_f64_e32 v[126:127], v[14:15], v[134:135]
	v_add_f64_e32 v[20:21], v[22:23], v[20:21]
	v_add_f64_e32 v[22:23], v[16:17], v[18:19]
	ds_load_b128 v[4:7], v2 offset:1568
	ds_load_b128 v[16:19], v2 offset:1584
	v_fma_f64 v[12:13], v[12:13], v[134:135], -v[128:129]
	s_wait_loadcnt_dscnt 0x101
	v_mul_f64_e32 v[2:3], v[4:5], v[168:169]
	v_mul_f64_e32 v[132:133], v[6:7], v[168:169]
	v_add_f64_e32 v[14:15], v[20:21], v[130:131]
	v_add_f64_e32 v[20:21], v[22:23], v[138:139]
	s_wait_loadcnt_dscnt 0x0
	v_mul_f64_e32 v[22:23], v[16:17], v[10:11]
	v_mul_f64_e32 v[10:11], v[18:19], v[10:11]
	v_fmac_f64_e32 v[2:3], v[6:7], v[166:167]
	v_fma_f64 v[4:5], v[4:5], v[166:167], -v[132:133]
	v_add_f64_e32 v[6:7], v[14:15], v[12:13]
	v_add_f64_e32 v[12:13], v[20:21], v[126:127]
	v_fmac_f64_e32 v[22:23], v[18:19], v[8:9]
	v_fma_f64 v[8:9], v[16:17], v[8:9], -v[10:11]
	s_delay_alu instid0(VALU_DEP_4) | instskip(NEXT) | instid1(VALU_DEP_4)
	v_add_f64_e32 v[4:5], v[6:7], v[4:5]
	v_add_f64_e32 v[2:3], v[12:13], v[2:3]
	s_delay_alu instid0(VALU_DEP_2) | instskip(NEXT) | instid1(VALU_DEP_2)
	v_add_f64_e32 v[4:5], v[4:5], v[8:9]
	v_add_f64_e32 v[6:7], v[2:3], v[22:23]
	s_delay_alu instid0(VALU_DEP_2) | instskip(NEXT) | instid1(VALU_DEP_2)
	v_add_f64_e64 v[2:3], v[158:159], -v[4:5]
	v_add_f64_e64 v[4:5], v[160:161], -v[6:7]
	scratch_store_b128 off, v[2:5], off offset:176
	s_wait_xcnt 0x0
	v_cmpx_lt_u32_e32 10, v1
	s_cbranch_execz .LBB113_293
; %bb.292:
	scratch_load_b128 v[2:5], off, s56
	v_mov_b32_e32 v6, 0
	s_delay_alu instid0(VALU_DEP_1)
	v_dual_mov_b32 v7, v6 :: v_dual_mov_b32 v8, v6
	v_mov_b32_e32 v9, v6
	scratch_store_b128 off, v[6:9], off offset:160
	s_wait_loadcnt 0x0
	ds_store_b128 v124, v[2:5]
.LBB113_293:
	s_wait_xcnt 0x0
	s_or_b32 exec_lo, exec_lo, s2
	s_wait_storecnt_dscnt 0x0
	s_barrier_signal -1
	s_barrier_wait -1
	s_clause 0x9
	scratch_load_b128 v[4:7], off, off offset:176
	scratch_load_b128 v[8:11], off, off offset:192
	;; [unrolled: 1-line block ×10, first 2 shown]
	v_mov_b32_e32 v2, 0
	s_mov_b32 s2, exec_lo
	ds_load_b128 v[146:149], v2 offset:976
	s_clause 0x2
	scratch_load_b128 v[150:153], off, off offset:336
	scratch_load_b128 v[154:157], off, off offset:160
	;; [unrolled: 1-line block ×3, first 2 shown]
	s_wait_loadcnt_dscnt 0xc00
	v_mul_f64_e32 v[166:167], v[148:149], v[6:7]
	v_mul_f64_e32 v[170:171], v[146:147], v[6:7]
	ds_load_b128 v[158:161], v2 offset:992
	v_fma_f64 v[174:175], v[146:147], v[4:5], -v[166:167]
	v_fmac_f64_e32 v[170:171], v[148:149], v[4:5]
	ds_load_b128 v[4:7], v2 offset:1008
	s_wait_loadcnt_dscnt 0xb01
	v_mul_f64_e32 v[172:173], v[158:159], v[10:11]
	v_mul_f64_e32 v[10:11], v[160:161], v[10:11]
	scratch_load_b128 v[146:149], off, off offset:368
	ds_load_b128 v[166:169], v2 offset:1024
	s_wait_loadcnt_dscnt 0xb01
	v_mul_f64_e32 v[176:177], v[4:5], v[14:15]
	v_mul_f64_e32 v[14:15], v[6:7], v[14:15]
	v_add_f64_e32 v[170:171], 0, v[170:171]
	v_fmac_f64_e32 v[172:173], v[160:161], v[8:9]
	v_fma_f64 v[158:159], v[158:159], v[8:9], -v[10:11]
	v_add_f64_e32 v[160:161], 0, v[174:175]
	scratch_load_b128 v[8:11], off, off offset:384
	v_fmac_f64_e32 v[176:177], v[6:7], v[12:13]
	v_fma_f64 v[178:179], v[4:5], v[12:13], -v[14:15]
	ds_load_b128 v[4:7], v2 offset:1040
	s_wait_loadcnt_dscnt 0xb01
	v_mul_f64_e32 v[174:175], v[166:167], v[18:19]
	v_mul_f64_e32 v[18:19], v[168:169], v[18:19]
	scratch_load_b128 v[12:15], off, off offset:400
	v_add_f64_e32 v[170:171], v[170:171], v[172:173]
	v_add_f64_e32 v[180:181], v[160:161], v[158:159]
	ds_load_b128 v[158:161], v2 offset:1056
	s_wait_loadcnt_dscnt 0xb01
	v_mul_f64_e32 v[172:173], v[4:5], v[22:23]
	v_mul_f64_e32 v[22:23], v[6:7], v[22:23]
	v_fmac_f64_e32 v[174:175], v[168:169], v[16:17]
	v_fma_f64 v[166:167], v[166:167], v[16:17], -v[18:19]
	scratch_load_b128 v[16:19], off, off offset:416
	v_add_f64_e32 v[170:171], v[170:171], v[176:177]
	v_add_f64_e32 v[168:169], v[180:181], v[178:179]
	v_fmac_f64_e32 v[172:173], v[6:7], v[20:21]
	v_fma_f64 v[178:179], v[4:5], v[20:21], -v[22:23]
	ds_load_b128 v[4:7], v2 offset:1072
	s_wait_loadcnt_dscnt 0xb01
	v_mul_f64_e32 v[176:177], v[158:159], v[128:129]
	v_mul_f64_e32 v[128:129], v[160:161], v[128:129]
	scratch_load_b128 v[20:23], off, off offset:432
	v_add_f64_e32 v[170:171], v[170:171], v[174:175]
	s_wait_loadcnt_dscnt 0xb00
	v_mul_f64_e32 v[174:175], v[4:5], v[132:133]
	v_add_f64_e32 v[180:181], v[168:169], v[166:167]
	v_mul_f64_e32 v[132:133], v[6:7], v[132:133]
	ds_load_b128 v[166:169], v2 offset:1088
	v_fmac_f64_e32 v[176:177], v[160:161], v[126:127]
	v_fma_f64 v[158:159], v[158:159], v[126:127], -v[128:129]
	scratch_load_b128 v[126:129], off, off offset:448
	v_add_f64_e32 v[170:171], v[170:171], v[172:173]
	v_fmac_f64_e32 v[174:175], v[6:7], v[130:131]
	v_add_f64_e32 v[160:161], v[180:181], v[178:179]
	v_fma_f64 v[178:179], v[4:5], v[130:131], -v[132:133]
	ds_load_b128 v[4:7], v2 offset:1104
	s_wait_loadcnt_dscnt 0xb01
	v_mul_f64_e32 v[172:173], v[166:167], v[136:137]
	v_mul_f64_e32 v[136:137], v[168:169], v[136:137]
	scratch_load_b128 v[130:133], off, off offset:464
	v_add_f64_e32 v[170:171], v[170:171], v[176:177]
	s_wait_loadcnt_dscnt 0xb00
	v_mul_f64_e32 v[176:177], v[4:5], v[140:141]
	v_add_f64_e32 v[180:181], v[160:161], v[158:159]
	v_mul_f64_e32 v[140:141], v[6:7], v[140:141]
	ds_load_b128 v[158:161], v2 offset:1120
	v_fmac_f64_e32 v[172:173], v[168:169], v[134:135]
	v_fma_f64 v[166:167], v[166:167], v[134:135], -v[136:137]
	scratch_load_b128 v[134:137], off, off offset:480
	v_add_f64_e32 v[170:171], v[170:171], v[174:175]
	v_fmac_f64_e32 v[176:177], v[6:7], v[138:139]
	v_add_f64_e32 v[168:169], v[180:181], v[178:179]
	;; [unrolled: 18-line block ×3, first 2 shown]
	v_fma_f64 v[178:179], v[4:5], v[150:151], -v[152:153]
	ds_load_b128 v[4:7], v2 offset:1168
	s_wait_loadcnt_dscnt 0xa01
	v_mul_f64_e32 v[176:177], v[166:167], v[164:165]
	v_mul_f64_e32 v[164:165], v[168:169], v[164:165]
	scratch_load_b128 v[150:153], off, off offset:528
	v_add_f64_e32 v[170:171], v[170:171], v[174:175]
	v_add_f64_e32 v[180:181], v[160:161], v[158:159]
	s_wait_loadcnt_dscnt 0xa00
	v_mul_f64_e32 v[174:175], v[4:5], v[148:149]
	v_mul_f64_e32 v[148:149], v[6:7], v[148:149]
	v_fmac_f64_e32 v[176:177], v[168:169], v[162:163]
	v_fma_f64 v[166:167], v[166:167], v[162:163], -v[164:165]
	ds_load_b128 v[158:161], v2 offset:1184
	scratch_load_b128 v[162:165], off, off offset:544
	v_add_f64_e32 v[170:171], v[170:171], v[172:173]
	v_add_f64_e32 v[168:169], v[180:181], v[178:179]
	v_fmac_f64_e32 v[174:175], v[6:7], v[146:147]
	v_fma_f64 v[178:179], v[4:5], v[146:147], -v[148:149]
	ds_load_b128 v[4:7], v2 offset:1200
	s_wait_loadcnt_dscnt 0xa01
	v_mul_f64_e32 v[172:173], v[158:159], v[10:11]
	v_mul_f64_e32 v[10:11], v[160:161], v[10:11]
	scratch_load_b128 v[146:149], off, off offset:560
	v_add_f64_e32 v[170:171], v[170:171], v[176:177]
	s_wait_loadcnt_dscnt 0xa00
	v_mul_f64_e32 v[176:177], v[4:5], v[14:15]
	v_add_f64_e32 v[180:181], v[168:169], v[166:167]
	v_mul_f64_e32 v[14:15], v[6:7], v[14:15]
	ds_load_b128 v[166:169], v2 offset:1216
	v_fmac_f64_e32 v[172:173], v[160:161], v[8:9]
	v_fma_f64 v[158:159], v[158:159], v[8:9], -v[10:11]
	scratch_load_b128 v[8:11], off, off offset:576
	v_add_f64_e32 v[170:171], v[170:171], v[174:175]
	v_fmac_f64_e32 v[176:177], v[6:7], v[12:13]
	v_add_f64_e32 v[160:161], v[180:181], v[178:179]
	v_fma_f64 v[178:179], v[4:5], v[12:13], -v[14:15]
	ds_load_b128 v[4:7], v2 offset:1232
	s_wait_loadcnt_dscnt 0xa01
	v_mul_f64_e32 v[174:175], v[166:167], v[18:19]
	v_mul_f64_e32 v[18:19], v[168:169], v[18:19]
	scratch_load_b128 v[12:15], off, off offset:592
	v_add_f64_e32 v[170:171], v[170:171], v[172:173]
	s_wait_loadcnt_dscnt 0xa00
	v_mul_f64_e32 v[172:173], v[4:5], v[22:23]
	v_add_f64_e32 v[180:181], v[160:161], v[158:159]
	v_mul_f64_e32 v[22:23], v[6:7], v[22:23]
	ds_load_b128 v[158:161], v2 offset:1248
	v_fmac_f64_e32 v[174:175], v[168:169], v[16:17]
	v_fma_f64 v[166:167], v[166:167], v[16:17], -v[18:19]
	scratch_load_b128 v[16:19], off, off offset:608
	v_add_f64_e32 v[170:171], v[170:171], v[176:177]
	v_fmac_f64_e32 v[172:173], v[6:7], v[20:21]
	v_add_f64_e32 v[168:169], v[180:181], v[178:179]
	;; [unrolled: 18-line block ×7, first 2 shown]
	v_fma_f64 v[178:179], v[4:5], v[12:13], -v[14:15]
	ds_load_b128 v[4:7], v2 offset:1424
	s_wait_loadcnt_dscnt 0xa01
	v_mul_f64_e32 v[174:175], v[166:167], v[18:19]
	v_mul_f64_e32 v[18:19], v[168:169], v[18:19]
	scratch_load_b128 v[12:15], off, off offset:784
	v_add_f64_e32 v[170:171], v[170:171], v[172:173]
	s_wait_loadcnt_dscnt 0xa00
	v_mul_f64_e32 v[172:173], v[4:5], v[22:23]
	v_add_f64_e32 v[180:181], v[160:161], v[158:159]
	v_mul_f64_e32 v[22:23], v[6:7], v[22:23]
	ds_load_b128 v[158:161], v2 offset:1440
	v_fmac_f64_e32 v[174:175], v[168:169], v[16:17]
	v_fma_f64 v[16:17], v[166:167], v[16:17], -v[18:19]
	s_wait_loadcnt_dscnt 0x900
	v_mul_f64_e32 v[168:169], v[158:159], v[128:129]
	v_mul_f64_e32 v[128:129], v[160:161], v[128:129]
	v_add_f64_e32 v[166:167], v[170:171], v[176:177]
	v_fmac_f64_e32 v[172:173], v[6:7], v[20:21]
	v_add_f64_e32 v[18:19], v[180:181], v[178:179]
	v_fma_f64 v[20:21], v[4:5], v[20:21], -v[22:23]
	v_fmac_f64_e32 v[168:169], v[160:161], v[126:127]
	v_fma_f64 v[126:127], v[158:159], v[126:127], -v[128:129]
	v_add_f64_e32 v[166:167], v[166:167], v[174:175]
	v_add_f64_e32 v[22:23], v[18:19], v[16:17]
	ds_load_b128 v[4:7], v2 offset:1456
	ds_load_b128 v[16:19], v2 offset:1472
	s_wait_loadcnt_dscnt 0x801
	v_mul_f64_e32 v[170:171], v[4:5], v[132:133]
	v_mul_f64_e32 v[132:133], v[6:7], v[132:133]
	s_wait_loadcnt_dscnt 0x700
	v_mul_f64_e32 v[128:129], v[16:17], v[136:137]
	v_mul_f64_e32 v[136:137], v[18:19], v[136:137]
	v_add_f64_e32 v[20:21], v[22:23], v[20:21]
	v_add_f64_e32 v[22:23], v[166:167], v[172:173]
	v_fmac_f64_e32 v[170:171], v[6:7], v[130:131]
	v_fma_f64 v[130:131], v[4:5], v[130:131], -v[132:133]
	v_fmac_f64_e32 v[128:129], v[18:19], v[134:135]
	v_fma_f64 v[16:17], v[16:17], v[134:135], -v[136:137]
	v_add_f64_e32 v[126:127], v[20:21], v[126:127]
	v_add_f64_e32 v[132:133], v[22:23], v[168:169]
	ds_load_b128 v[4:7], v2 offset:1488
	ds_load_b128 v[20:23], v2 offset:1504
	s_wait_loadcnt_dscnt 0x601
	v_mul_f64_e32 v[158:159], v[4:5], v[140:141]
	v_mul_f64_e32 v[140:141], v[6:7], v[140:141]
	v_add_f64_e32 v[18:19], v[126:127], v[130:131]
	v_add_f64_e32 v[126:127], v[132:133], v[170:171]
	s_wait_loadcnt_dscnt 0x500
	v_mul_f64_e32 v[130:131], v[20:21], v[144:145]
	v_mul_f64_e32 v[132:133], v[22:23], v[144:145]
	v_fmac_f64_e32 v[158:159], v[6:7], v[138:139]
	v_fma_f64 v[134:135], v[4:5], v[138:139], -v[140:141]
	v_add_f64_e32 v[136:137], v[18:19], v[16:17]
	v_add_f64_e32 v[126:127], v[126:127], v[128:129]
	ds_load_b128 v[4:7], v2 offset:1520
	ds_load_b128 v[16:19], v2 offset:1536
	v_fmac_f64_e32 v[130:131], v[22:23], v[142:143]
	v_fma_f64 v[20:21], v[20:21], v[142:143], -v[132:133]
	s_wait_loadcnt_dscnt 0x401
	v_mul_f64_e32 v[128:129], v[4:5], v[152:153]
	v_mul_f64_e32 v[138:139], v[6:7], v[152:153]
	s_wait_loadcnt_dscnt 0x300
	v_mul_f64_e32 v[132:133], v[16:17], v[164:165]
	v_add_f64_e32 v[22:23], v[136:137], v[134:135]
	v_add_f64_e32 v[126:127], v[126:127], v[158:159]
	v_mul_f64_e32 v[134:135], v[18:19], v[164:165]
	v_fmac_f64_e32 v[128:129], v[6:7], v[150:151]
	v_fma_f64 v[136:137], v[4:5], v[150:151], -v[138:139]
	v_fmac_f64_e32 v[132:133], v[18:19], v[162:163]
	v_add_f64_e32 v[138:139], v[22:23], v[20:21]
	v_add_f64_e32 v[126:127], v[126:127], v[130:131]
	ds_load_b128 v[4:7], v2 offset:1552
	ds_load_b128 v[20:23], v2 offset:1568
	v_fma_f64 v[16:17], v[16:17], v[162:163], -v[134:135]
	s_wait_loadcnt_dscnt 0x201
	v_mul_f64_e32 v[130:131], v[4:5], v[148:149]
	v_mul_f64_e32 v[140:141], v[6:7], v[148:149]
	v_add_f64_e32 v[18:19], v[138:139], v[136:137]
	v_add_f64_e32 v[126:127], v[126:127], v[128:129]
	s_wait_loadcnt_dscnt 0x100
	v_mul_f64_e32 v[128:129], v[20:21], v[10:11]
	v_mul_f64_e32 v[10:11], v[22:23], v[10:11]
	v_fmac_f64_e32 v[130:131], v[6:7], v[146:147]
	v_fma_f64 v[134:135], v[4:5], v[146:147], -v[140:141]
	ds_load_b128 v[4:7], v2 offset:1584
	v_add_f64_e32 v[16:17], v[18:19], v[16:17]
	v_add_f64_e32 v[18:19], v[126:127], v[132:133]
	v_fmac_f64_e32 v[128:129], v[22:23], v[8:9]
	v_fma_f64 v[8:9], v[20:21], v[8:9], -v[10:11]
	s_wait_loadcnt_dscnt 0x0
	v_mul_f64_e32 v[126:127], v[4:5], v[14:15]
	v_mul_f64_e32 v[14:15], v[6:7], v[14:15]
	v_add_f64_e32 v[10:11], v[16:17], v[134:135]
	v_add_f64_e32 v[16:17], v[18:19], v[130:131]
	s_delay_alu instid0(VALU_DEP_4) | instskip(NEXT) | instid1(VALU_DEP_4)
	v_fmac_f64_e32 v[126:127], v[6:7], v[12:13]
	v_fma_f64 v[4:5], v[4:5], v[12:13], -v[14:15]
	s_delay_alu instid0(VALU_DEP_4) | instskip(NEXT) | instid1(VALU_DEP_4)
	v_add_f64_e32 v[6:7], v[10:11], v[8:9]
	v_add_f64_e32 v[8:9], v[16:17], v[128:129]
	s_delay_alu instid0(VALU_DEP_2) | instskip(NEXT) | instid1(VALU_DEP_2)
	v_add_f64_e32 v[4:5], v[6:7], v[4:5]
	v_add_f64_e32 v[6:7], v[8:9], v[126:127]
	s_delay_alu instid0(VALU_DEP_2) | instskip(NEXT) | instid1(VALU_DEP_2)
	v_add_f64_e64 v[4:5], v[154:155], -v[4:5]
	v_add_f64_e64 v[6:7], v[156:157], -v[6:7]
	scratch_store_b128 off, v[4:7], off offset:160
	s_wait_xcnt 0x0
	v_cmpx_lt_u32_e32 9, v1
	s_cbranch_execz .LBB113_295
; %bb.294:
	scratch_load_b128 v[6:9], off, s57
	v_dual_mov_b32 v3, v2 :: v_dual_mov_b32 v4, v2
	v_mov_b32_e32 v5, v2
	scratch_store_b128 off, v[2:5], off offset:144
	s_wait_loadcnt 0x0
	ds_store_b128 v124, v[6:9]
.LBB113_295:
	s_wait_xcnt 0x0
	s_or_b32 exec_lo, exec_lo, s2
	s_wait_storecnt_dscnt 0x0
	s_barrier_signal -1
	s_barrier_wait -1
	s_clause 0x9
	scratch_load_b128 v[4:7], off, off offset:160
	scratch_load_b128 v[8:11], off, off offset:176
	;; [unrolled: 1-line block ×10, first 2 shown]
	ds_load_b128 v[146:149], v2 offset:960
	ds_load_b128 v[154:157], v2 offset:976
	s_clause 0x2
	scratch_load_b128 v[150:153], off, off offset:320
	scratch_load_b128 v[158:161], off, off offset:144
	;; [unrolled: 1-line block ×3, first 2 shown]
	s_mov_b32 s2, exec_lo
	s_wait_loadcnt_dscnt 0xc01
	v_mul_f64_e32 v[166:167], v[148:149], v[6:7]
	v_mul_f64_e32 v[170:171], v[146:147], v[6:7]
	s_wait_loadcnt_dscnt 0xb00
	v_mul_f64_e32 v[172:173], v[154:155], v[10:11]
	v_mul_f64_e32 v[10:11], v[156:157], v[10:11]
	s_delay_alu instid0(VALU_DEP_4) | instskip(NEXT) | instid1(VALU_DEP_4)
	v_fma_f64 v[174:175], v[146:147], v[4:5], -v[166:167]
	v_fmac_f64_e32 v[170:171], v[148:149], v[4:5]
	ds_load_b128 v[4:7], v2 offset:992
	ds_load_b128 v[146:149], v2 offset:1008
	scratch_load_b128 v[166:169], off, off offset:352
	v_fmac_f64_e32 v[172:173], v[156:157], v[8:9]
	v_fma_f64 v[154:155], v[154:155], v[8:9], -v[10:11]
	scratch_load_b128 v[8:11], off, off offset:368
	s_wait_loadcnt_dscnt 0xc01
	v_mul_f64_e32 v[176:177], v[4:5], v[14:15]
	v_mul_f64_e32 v[14:15], v[6:7], v[14:15]
	v_add_f64_e32 v[156:157], 0, v[174:175]
	v_add_f64_e32 v[170:171], 0, v[170:171]
	s_wait_loadcnt_dscnt 0xb00
	v_mul_f64_e32 v[174:175], v[146:147], v[18:19]
	v_mul_f64_e32 v[18:19], v[148:149], v[18:19]
	v_fmac_f64_e32 v[176:177], v[6:7], v[12:13]
	v_fma_f64 v[178:179], v[4:5], v[12:13], -v[14:15]
	ds_load_b128 v[4:7], v2 offset:1024
	ds_load_b128 v[12:15], v2 offset:1040
	v_add_f64_e32 v[180:181], v[156:157], v[154:155]
	v_add_f64_e32 v[170:171], v[170:171], v[172:173]
	scratch_load_b128 v[154:157], off, off offset:384
	v_fmac_f64_e32 v[174:175], v[148:149], v[16:17]
	v_fma_f64 v[146:147], v[146:147], v[16:17], -v[18:19]
	scratch_load_b128 v[16:19], off, off offset:400
	s_wait_loadcnt_dscnt 0xc01
	v_mul_f64_e32 v[172:173], v[4:5], v[22:23]
	v_mul_f64_e32 v[22:23], v[6:7], v[22:23]
	v_add_f64_e32 v[148:149], v[180:181], v[178:179]
	v_add_f64_e32 v[170:171], v[170:171], v[176:177]
	s_wait_loadcnt_dscnt 0xb00
	v_mul_f64_e32 v[176:177], v[12:13], v[128:129]
	v_mul_f64_e32 v[128:129], v[14:15], v[128:129]
	v_fmac_f64_e32 v[172:173], v[6:7], v[20:21]
	v_fma_f64 v[178:179], v[4:5], v[20:21], -v[22:23]
	ds_load_b128 v[4:7], v2 offset:1056
	ds_load_b128 v[20:23], v2 offset:1072
	v_add_f64_e32 v[180:181], v[148:149], v[146:147]
	v_add_f64_e32 v[170:171], v[170:171], v[174:175]
	scratch_load_b128 v[146:149], off, off offset:416
	s_wait_loadcnt_dscnt 0xb01
	v_mul_f64_e32 v[174:175], v[4:5], v[132:133]
	v_mul_f64_e32 v[132:133], v[6:7], v[132:133]
	v_fmac_f64_e32 v[176:177], v[14:15], v[126:127]
	v_fma_f64 v[126:127], v[12:13], v[126:127], -v[128:129]
	scratch_load_b128 v[12:15], off, off offset:432
	v_add_f64_e32 v[128:129], v[180:181], v[178:179]
	v_add_f64_e32 v[170:171], v[170:171], v[172:173]
	s_wait_loadcnt_dscnt 0xb00
	v_mul_f64_e32 v[172:173], v[20:21], v[136:137]
	v_mul_f64_e32 v[136:137], v[22:23], v[136:137]
	v_fmac_f64_e32 v[174:175], v[6:7], v[130:131]
	v_fma_f64 v[178:179], v[4:5], v[130:131], -v[132:133]
	v_add_f64_e32 v[180:181], v[128:129], v[126:127]
	v_add_f64_e32 v[170:171], v[170:171], v[176:177]
	ds_load_b128 v[4:7], v2 offset:1088
	ds_load_b128 v[126:129], v2 offset:1104
	scratch_load_b128 v[130:133], off, off offset:448
	v_fmac_f64_e32 v[172:173], v[22:23], v[134:135]
	v_fma_f64 v[134:135], v[20:21], v[134:135], -v[136:137]
	scratch_load_b128 v[20:23], off, off offset:464
	s_wait_loadcnt_dscnt 0xc01
	v_mul_f64_e32 v[176:177], v[4:5], v[140:141]
	v_mul_f64_e32 v[140:141], v[6:7], v[140:141]
	v_add_f64_e32 v[136:137], v[180:181], v[178:179]
	v_add_f64_e32 v[170:171], v[170:171], v[174:175]
	s_wait_loadcnt_dscnt 0xb00
	v_mul_f64_e32 v[174:175], v[126:127], v[144:145]
	v_mul_f64_e32 v[144:145], v[128:129], v[144:145]
	v_fmac_f64_e32 v[176:177], v[6:7], v[138:139]
	v_fma_f64 v[178:179], v[4:5], v[138:139], -v[140:141]
	v_add_f64_e32 v[180:181], v[136:137], v[134:135]
	v_add_f64_e32 v[170:171], v[170:171], v[172:173]
	ds_load_b128 v[4:7], v2 offset:1120
	ds_load_b128 v[134:137], v2 offset:1136
	scratch_load_b128 v[138:141], off, off offset:480
	v_fmac_f64_e32 v[174:175], v[128:129], v[142:143]
	v_fma_f64 v[142:143], v[126:127], v[142:143], -v[144:145]
	scratch_load_b128 v[126:129], off, off offset:496
	s_wait_loadcnt_dscnt 0xc01
	v_mul_f64_e32 v[172:173], v[4:5], v[152:153]
	v_mul_f64_e32 v[152:153], v[6:7], v[152:153]
	;; [unrolled: 18-line block ×5, first 2 shown]
	v_add_f64_e32 v[164:165], v[180:181], v[178:179]
	v_add_f64_e32 v[170:171], v[170:171], v[176:177]
	s_wait_loadcnt_dscnt 0xa00
	v_mul_f64_e32 v[176:177], v[142:143], v[14:15]
	v_mul_f64_e32 v[14:15], v[144:145], v[14:15]
	v_fmac_f64_e32 v[172:173], v[6:7], v[146:147]
	v_fma_f64 v[178:179], v[4:5], v[146:147], -v[148:149]
	ds_load_b128 v[4:7], v2 offset:1248
	ds_load_b128 v[146:149], v2 offset:1264
	v_add_f64_e32 v[180:181], v[164:165], v[162:163]
	v_add_f64_e32 v[170:171], v[170:171], v[174:175]
	scratch_load_b128 v[162:165], off, off offset:608
	v_fmac_f64_e32 v[176:177], v[144:145], v[12:13]
	v_fma_f64 v[142:143], v[142:143], v[12:13], -v[14:15]
	scratch_load_b128 v[12:15], off, off offset:624
	s_wait_loadcnt_dscnt 0xb01
	v_mul_f64_e32 v[174:175], v[4:5], v[132:133]
	v_mul_f64_e32 v[132:133], v[6:7], v[132:133]
	v_add_f64_e32 v[144:145], v[180:181], v[178:179]
	v_add_f64_e32 v[170:171], v[170:171], v[172:173]
	s_wait_loadcnt_dscnt 0xa00
	v_mul_f64_e32 v[172:173], v[146:147], v[22:23]
	v_mul_f64_e32 v[22:23], v[148:149], v[22:23]
	v_fmac_f64_e32 v[174:175], v[6:7], v[130:131]
	v_fma_f64 v[178:179], v[4:5], v[130:131], -v[132:133]
	ds_load_b128 v[4:7], v2 offset:1280
	ds_load_b128 v[130:133], v2 offset:1296
	v_add_f64_e32 v[180:181], v[144:145], v[142:143]
	v_add_f64_e32 v[170:171], v[170:171], v[176:177]
	scratch_load_b128 v[142:145], off, off offset:640
	s_wait_loadcnt_dscnt 0xa01
	v_mul_f64_e32 v[176:177], v[4:5], v[140:141]
	v_mul_f64_e32 v[140:141], v[6:7], v[140:141]
	v_fmac_f64_e32 v[172:173], v[148:149], v[20:21]
	v_fma_f64 v[146:147], v[146:147], v[20:21], -v[22:23]
	scratch_load_b128 v[20:23], off, off offset:656
	v_add_f64_e32 v[148:149], v[180:181], v[178:179]
	v_add_f64_e32 v[170:171], v[170:171], v[174:175]
	s_wait_loadcnt_dscnt 0xa00
	v_mul_f64_e32 v[174:175], v[130:131], v[128:129]
	v_mul_f64_e32 v[128:129], v[132:133], v[128:129]
	v_fmac_f64_e32 v[176:177], v[6:7], v[138:139]
	v_fma_f64 v[178:179], v[4:5], v[138:139], -v[140:141]
	ds_load_b128 v[4:7], v2 offset:1312
	ds_load_b128 v[138:141], v2 offset:1328
	v_add_f64_e32 v[180:181], v[148:149], v[146:147]
	v_add_f64_e32 v[170:171], v[170:171], v[172:173]
	scratch_load_b128 v[146:149], off, off offset:672
	s_wait_loadcnt_dscnt 0xa01
	v_mul_f64_e32 v[172:173], v[4:5], v[152:153]
	v_mul_f64_e32 v[152:153], v[6:7], v[152:153]
	v_fmac_f64_e32 v[174:175], v[132:133], v[126:127]
	v_fma_f64 v[130:131], v[130:131], v[126:127], -v[128:129]
	scratch_load_b128 v[126:129], off, off offset:688
	v_add_f64_e32 v[132:133], v[180:181], v[178:179]
	v_add_f64_e32 v[170:171], v[170:171], v[176:177]
	s_wait_loadcnt_dscnt 0xa00
	v_mul_f64_e32 v[176:177], v[138:139], v[136:137]
	v_mul_f64_e32 v[136:137], v[140:141], v[136:137]
	v_fmac_f64_e32 v[172:173], v[6:7], v[150:151]
	v_fma_f64 v[178:179], v[4:5], v[150:151], -v[152:153]
	v_add_f64_e32 v[180:181], v[132:133], v[130:131]
	v_add_f64_e32 v[170:171], v[170:171], v[174:175]
	ds_load_b128 v[4:7], v2 offset:1344
	ds_load_b128 v[130:133], v2 offset:1360
	scratch_load_b128 v[150:153], off, off offset:704
	v_fmac_f64_e32 v[176:177], v[140:141], v[134:135]
	v_fma_f64 v[138:139], v[138:139], v[134:135], -v[136:137]
	scratch_load_b128 v[134:137], off, off offset:720
	s_wait_loadcnt_dscnt 0xb01
	v_mul_f64_e32 v[174:175], v[4:5], v[168:169]
	v_mul_f64_e32 v[168:169], v[6:7], v[168:169]
	v_add_f64_e32 v[140:141], v[180:181], v[178:179]
	v_add_f64_e32 v[170:171], v[170:171], v[172:173]
	s_wait_loadcnt_dscnt 0xa00
	v_mul_f64_e32 v[172:173], v[130:131], v[10:11]
	v_mul_f64_e32 v[10:11], v[132:133], v[10:11]
	v_fmac_f64_e32 v[174:175], v[6:7], v[166:167]
	v_fma_f64 v[178:179], v[4:5], v[166:167], -v[168:169]
	v_add_f64_e32 v[180:181], v[140:141], v[138:139]
	v_add_f64_e32 v[170:171], v[170:171], v[176:177]
	ds_load_b128 v[4:7], v2 offset:1376
	ds_load_b128 v[138:141], v2 offset:1392
	scratch_load_b128 v[166:169], off, off offset:736
	v_fmac_f64_e32 v[172:173], v[132:133], v[8:9]
	v_fma_f64 v[130:131], v[130:131], v[8:9], -v[10:11]
	scratch_load_b128 v[8:11], off, off offset:752
	s_wait_loadcnt_dscnt 0xb01
	v_mul_f64_e32 v[176:177], v[4:5], v[156:157]
	v_mul_f64_e32 v[156:157], v[6:7], v[156:157]
	;; [unrolled: 18-line block ×3, first 2 shown]
	v_add_f64_e32 v[140:141], v[180:181], v[178:179]
	v_add_f64_e32 v[170:171], v[170:171], v[176:177]
	s_wait_loadcnt_dscnt 0xa00
	v_mul_f64_e32 v[176:177], v[130:131], v[14:15]
	v_mul_f64_e32 v[14:15], v[132:133], v[14:15]
	v_fmac_f64_e32 v[172:173], v[6:7], v[162:163]
	v_fma_f64 v[162:163], v[4:5], v[162:163], -v[164:165]
	v_add_f64_e32 v[164:165], v[140:141], v[138:139]
	v_add_f64_e32 v[170:171], v[170:171], v[174:175]
	ds_load_b128 v[4:7], v2 offset:1440
	ds_load_b128 v[138:141], v2 offset:1456
	v_fmac_f64_e32 v[176:177], v[132:133], v[12:13]
	v_fma_f64 v[12:13], v[130:131], v[12:13], -v[14:15]
	s_wait_loadcnt_dscnt 0x901
	v_mul_f64_e32 v[174:175], v[4:5], v[144:145]
	v_mul_f64_e32 v[144:145], v[6:7], v[144:145]
	s_wait_loadcnt_dscnt 0x800
	v_mul_f64_e32 v[132:133], v[138:139], v[22:23]
	v_mul_f64_e32 v[22:23], v[140:141], v[22:23]
	v_add_f64_e32 v[14:15], v[164:165], v[162:163]
	v_add_f64_e32 v[130:131], v[170:171], v[172:173]
	v_fmac_f64_e32 v[174:175], v[6:7], v[142:143]
	v_fma_f64 v[142:143], v[4:5], v[142:143], -v[144:145]
	v_fmac_f64_e32 v[132:133], v[140:141], v[20:21]
	v_fma_f64 v[20:21], v[138:139], v[20:21], -v[22:23]
	v_add_f64_e32 v[144:145], v[14:15], v[12:13]
	v_add_f64_e32 v[130:131], v[130:131], v[176:177]
	ds_load_b128 v[4:7], v2 offset:1472
	ds_load_b128 v[12:15], v2 offset:1488
	s_wait_loadcnt_dscnt 0x701
	v_mul_f64_e32 v[162:163], v[4:5], v[148:149]
	v_mul_f64_e32 v[148:149], v[6:7], v[148:149]
	s_wait_loadcnt_dscnt 0x600
	v_mul_f64_e32 v[138:139], v[12:13], v[128:129]
	v_mul_f64_e32 v[128:129], v[14:15], v[128:129]
	v_add_f64_e32 v[22:23], v[144:145], v[142:143]
	v_add_f64_e32 v[130:131], v[130:131], v[174:175]
	v_fmac_f64_e32 v[162:163], v[6:7], v[146:147]
	v_fma_f64 v[140:141], v[4:5], v[146:147], -v[148:149]
	v_fmac_f64_e32 v[138:139], v[14:15], v[126:127]
	v_fma_f64 v[12:13], v[12:13], v[126:127], -v[128:129]
	v_add_f64_e32 v[142:143], v[22:23], v[20:21]
	v_add_f64_e32 v[130:131], v[130:131], v[132:133]
	ds_load_b128 v[4:7], v2 offset:1504
	ds_load_b128 v[20:23], v2 offset:1520
	s_wait_loadcnt_dscnt 0x501
	v_mul_f64_e32 v[132:133], v[4:5], v[152:153]
	v_mul_f64_e32 v[144:145], v[6:7], v[152:153]
	s_wait_loadcnt_dscnt 0x400
	v_mul_f64_e32 v[128:129], v[20:21], v[136:137]
	v_add_f64_e32 v[14:15], v[142:143], v[140:141]
	v_add_f64_e32 v[126:127], v[130:131], v[162:163]
	v_mul_f64_e32 v[130:131], v[22:23], v[136:137]
	v_fmac_f64_e32 v[132:133], v[6:7], v[150:151]
	v_fma_f64 v[136:137], v[4:5], v[150:151], -v[144:145]
	v_fmac_f64_e32 v[128:129], v[22:23], v[134:135]
	v_add_f64_e32 v[140:141], v[14:15], v[12:13]
	v_add_f64_e32 v[126:127], v[126:127], v[138:139]
	ds_load_b128 v[4:7], v2 offset:1536
	ds_load_b128 v[12:15], v2 offset:1552
	v_fma_f64 v[20:21], v[20:21], v[134:135], -v[130:131]
	s_wait_loadcnt_dscnt 0x301
	v_mul_f64_e32 v[138:139], v[4:5], v[168:169]
	v_mul_f64_e32 v[142:143], v[6:7], v[168:169]
	s_wait_loadcnt_dscnt 0x200
	v_mul_f64_e32 v[130:131], v[12:13], v[10:11]
	v_mul_f64_e32 v[10:11], v[14:15], v[10:11]
	v_add_f64_e32 v[22:23], v[140:141], v[136:137]
	v_add_f64_e32 v[126:127], v[126:127], v[132:133]
	v_fmac_f64_e32 v[138:139], v[6:7], v[166:167]
	v_fma_f64 v[132:133], v[4:5], v[166:167], -v[142:143]
	v_fmac_f64_e32 v[130:131], v[14:15], v[8:9]
	v_fma_f64 v[8:9], v[12:13], v[8:9], -v[10:11]
	v_add_f64_e32 v[134:135], v[22:23], v[20:21]
	v_add_f64_e32 v[126:127], v[126:127], v[128:129]
	ds_load_b128 v[4:7], v2 offset:1568
	ds_load_b128 v[20:23], v2 offset:1584
	s_wait_loadcnt_dscnt 0x101
	v_mul_f64_e32 v[2:3], v[4:5], v[156:157]
	v_mul_f64_e32 v[128:129], v[6:7], v[156:157]
	s_wait_loadcnt_dscnt 0x0
	v_mul_f64_e32 v[14:15], v[20:21], v[18:19]
	v_mul_f64_e32 v[18:19], v[22:23], v[18:19]
	v_add_f64_e32 v[10:11], v[134:135], v[132:133]
	v_add_f64_e32 v[12:13], v[126:127], v[138:139]
	v_fmac_f64_e32 v[2:3], v[6:7], v[154:155]
	v_fma_f64 v[4:5], v[4:5], v[154:155], -v[128:129]
	v_fmac_f64_e32 v[14:15], v[22:23], v[16:17]
	v_add_f64_e32 v[6:7], v[10:11], v[8:9]
	v_add_f64_e32 v[8:9], v[12:13], v[130:131]
	v_fma_f64 v[10:11], v[20:21], v[16:17], -v[18:19]
	s_delay_alu instid0(VALU_DEP_3) | instskip(NEXT) | instid1(VALU_DEP_3)
	v_add_f64_e32 v[4:5], v[6:7], v[4:5]
	v_add_f64_e32 v[2:3], v[8:9], v[2:3]
	s_delay_alu instid0(VALU_DEP_2) | instskip(NEXT) | instid1(VALU_DEP_2)
	v_add_f64_e32 v[4:5], v[4:5], v[10:11]
	v_add_f64_e32 v[6:7], v[2:3], v[14:15]
	s_delay_alu instid0(VALU_DEP_2) | instskip(NEXT) | instid1(VALU_DEP_2)
	v_add_f64_e64 v[2:3], v[158:159], -v[4:5]
	v_add_f64_e64 v[4:5], v[160:161], -v[6:7]
	scratch_store_b128 off, v[2:5], off offset:144
	s_wait_xcnt 0x0
	v_cmpx_lt_u32_e32 8, v1
	s_cbranch_execz .LBB113_297
; %bb.296:
	scratch_load_b128 v[2:5], off, s58
	v_mov_b32_e32 v6, 0
	s_delay_alu instid0(VALU_DEP_1)
	v_dual_mov_b32 v7, v6 :: v_dual_mov_b32 v8, v6
	v_mov_b32_e32 v9, v6
	scratch_store_b128 off, v[6:9], off offset:128
	s_wait_loadcnt 0x0
	ds_store_b128 v124, v[2:5]
.LBB113_297:
	s_wait_xcnt 0x0
	s_or_b32 exec_lo, exec_lo, s2
	s_wait_storecnt_dscnt 0x0
	s_barrier_signal -1
	s_barrier_wait -1
	s_clause 0x9
	scratch_load_b128 v[4:7], off, off offset:144
	scratch_load_b128 v[8:11], off, off offset:160
	;; [unrolled: 1-line block ×10, first 2 shown]
	v_mov_b32_e32 v2, 0
	s_mov_b32 s2, exec_lo
	ds_load_b128 v[146:149], v2 offset:944
	s_clause 0x2
	scratch_load_b128 v[150:153], off, off offset:304
	scratch_load_b128 v[154:157], off, off offset:128
	;; [unrolled: 1-line block ×3, first 2 shown]
	s_wait_loadcnt_dscnt 0xc00
	v_mul_f64_e32 v[166:167], v[148:149], v[6:7]
	v_mul_f64_e32 v[170:171], v[146:147], v[6:7]
	ds_load_b128 v[158:161], v2 offset:960
	v_fma_f64 v[174:175], v[146:147], v[4:5], -v[166:167]
	v_fmac_f64_e32 v[170:171], v[148:149], v[4:5]
	ds_load_b128 v[4:7], v2 offset:976
	s_wait_loadcnt_dscnt 0xb01
	v_mul_f64_e32 v[172:173], v[158:159], v[10:11]
	v_mul_f64_e32 v[10:11], v[160:161], v[10:11]
	scratch_load_b128 v[146:149], off, off offset:336
	ds_load_b128 v[166:169], v2 offset:992
	s_wait_loadcnt_dscnt 0xb01
	v_mul_f64_e32 v[176:177], v[4:5], v[14:15]
	v_mul_f64_e32 v[14:15], v[6:7], v[14:15]
	v_add_f64_e32 v[170:171], 0, v[170:171]
	v_fmac_f64_e32 v[172:173], v[160:161], v[8:9]
	v_fma_f64 v[158:159], v[158:159], v[8:9], -v[10:11]
	v_add_f64_e32 v[160:161], 0, v[174:175]
	scratch_load_b128 v[8:11], off, off offset:352
	v_fmac_f64_e32 v[176:177], v[6:7], v[12:13]
	v_fma_f64 v[178:179], v[4:5], v[12:13], -v[14:15]
	ds_load_b128 v[4:7], v2 offset:1008
	s_wait_loadcnt_dscnt 0xb01
	v_mul_f64_e32 v[174:175], v[166:167], v[18:19]
	v_mul_f64_e32 v[18:19], v[168:169], v[18:19]
	scratch_load_b128 v[12:15], off, off offset:368
	v_add_f64_e32 v[170:171], v[170:171], v[172:173]
	v_add_f64_e32 v[180:181], v[160:161], v[158:159]
	ds_load_b128 v[158:161], v2 offset:1024
	s_wait_loadcnt_dscnt 0xb01
	v_mul_f64_e32 v[172:173], v[4:5], v[22:23]
	v_mul_f64_e32 v[22:23], v[6:7], v[22:23]
	v_fmac_f64_e32 v[174:175], v[168:169], v[16:17]
	v_fma_f64 v[166:167], v[166:167], v[16:17], -v[18:19]
	scratch_load_b128 v[16:19], off, off offset:384
	v_add_f64_e32 v[170:171], v[170:171], v[176:177]
	v_add_f64_e32 v[168:169], v[180:181], v[178:179]
	v_fmac_f64_e32 v[172:173], v[6:7], v[20:21]
	v_fma_f64 v[178:179], v[4:5], v[20:21], -v[22:23]
	ds_load_b128 v[4:7], v2 offset:1040
	s_wait_loadcnt_dscnt 0xb01
	v_mul_f64_e32 v[176:177], v[158:159], v[128:129]
	v_mul_f64_e32 v[128:129], v[160:161], v[128:129]
	scratch_load_b128 v[20:23], off, off offset:400
	v_add_f64_e32 v[170:171], v[170:171], v[174:175]
	s_wait_loadcnt_dscnt 0xb00
	v_mul_f64_e32 v[174:175], v[4:5], v[132:133]
	v_add_f64_e32 v[180:181], v[168:169], v[166:167]
	v_mul_f64_e32 v[132:133], v[6:7], v[132:133]
	ds_load_b128 v[166:169], v2 offset:1056
	v_fmac_f64_e32 v[176:177], v[160:161], v[126:127]
	v_fma_f64 v[158:159], v[158:159], v[126:127], -v[128:129]
	scratch_load_b128 v[126:129], off, off offset:416
	v_add_f64_e32 v[170:171], v[170:171], v[172:173]
	v_fmac_f64_e32 v[174:175], v[6:7], v[130:131]
	v_add_f64_e32 v[160:161], v[180:181], v[178:179]
	v_fma_f64 v[178:179], v[4:5], v[130:131], -v[132:133]
	ds_load_b128 v[4:7], v2 offset:1072
	s_wait_loadcnt_dscnt 0xb01
	v_mul_f64_e32 v[172:173], v[166:167], v[136:137]
	v_mul_f64_e32 v[136:137], v[168:169], v[136:137]
	scratch_load_b128 v[130:133], off, off offset:432
	v_add_f64_e32 v[170:171], v[170:171], v[176:177]
	s_wait_loadcnt_dscnt 0xb00
	v_mul_f64_e32 v[176:177], v[4:5], v[140:141]
	v_add_f64_e32 v[180:181], v[160:161], v[158:159]
	v_mul_f64_e32 v[140:141], v[6:7], v[140:141]
	ds_load_b128 v[158:161], v2 offset:1088
	v_fmac_f64_e32 v[172:173], v[168:169], v[134:135]
	v_fma_f64 v[166:167], v[166:167], v[134:135], -v[136:137]
	scratch_load_b128 v[134:137], off, off offset:448
	v_add_f64_e32 v[170:171], v[170:171], v[174:175]
	v_fmac_f64_e32 v[176:177], v[6:7], v[138:139]
	v_add_f64_e32 v[168:169], v[180:181], v[178:179]
	;; [unrolled: 18-line block ×3, first 2 shown]
	v_fma_f64 v[178:179], v[4:5], v[150:151], -v[152:153]
	ds_load_b128 v[4:7], v2 offset:1136
	s_wait_loadcnt_dscnt 0xa01
	v_mul_f64_e32 v[176:177], v[166:167], v[164:165]
	v_mul_f64_e32 v[164:165], v[168:169], v[164:165]
	scratch_load_b128 v[150:153], off, off offset:496
	v_add_f64_e32 v[170:171], v[170:171], v[174:175]
	v_add_f64_e32 v[180:181], v[160:161], v[158:159]
	s_wait_loadcnt_dscnt 0xa00
	v_mul_f64_e32 v[174:175], v[4:5], v[148:149]
	v_mul_f64_e32 v[148:149], v[6:7], v[148:149]
	v_fmac_f64_e32 v[176:177], v[168:169], v[162:163]
	v_fma_f64 v[166:167], v[166:167], v[162:163], -v[164:165]
	ds_load_b128 v[158:161], v2 offset:1152
	scratch_load_b128 v[162:165], off, off offset:512
	v_add_f64_e32 v[170:171], v[170:171], v[172:173]
	v_add_f64_e32 v[168:169], v[180:181], v[178:179]
	v_fmac_f64_e32 v[174:175], v[6:7], v[146:147]
	v_fma_f64 v[178:179], v[4:5], v[146:147], -v[148:149]
	ds_load_b128 v[4:7], v2 offset:1168
	s_wait_loadcnt_dscnt 0xa01
	v_mul_f64_e32 v[172:173], v[158:159], v[10:11]
	v_mul_f64_e32 v[10:11], v[160:161], v[10:11]
	scratch_load_b128 v[146:149], off, off offset:528
	v_add_f64_e32 v[170:171], v[170:171], v[176:177]
	s_wait_loadcnt_dscnt 0xa00
	v_mul_f64_e32 v[176:177], v[4:5], v[14:15]
	v_add_f64_e32 v[180:181], v[168:169], v[166:167]
	v_mul_f64_e32 v[14:15], v[6:7], v[14:15]
	ds_load_b128 v[166:169], v2 offset:1184
	v_fmac_f64_e32 v[172:173], v[160:161], v[8:9]
	v_fma_f64 v[158:159], v[158:159], v[8:9], -v[10:11]
	scratch_load_b128 v[8:11], off, off offset:544
	v_add_f64_e32 v[170:171], v[170:171], v[174:175]
	v_fmac_f64_e32 v[176:177], v[6:7], v[12:13]
	v_add_f64_e32 v[160:161], v[180:181], v[178:179]
	v_fma_f64 v[178:179], v[4:5], v[12:13], -v[14:15]
	ds_load_b128 v[4:7], v2 offset:1200
	s_wait_loadcnt_dscnt 0xa01
	v_mul_f64_e32 v[174:175], v[166:167], v[18:19]
	v_mul_f64_e32 v[18:19], v[168:169], v[18:19]
	scratch_load_b128 v[12:15], off, off offset:560
	v_add_f64_e32 v[170:171], v[170:171], v[172:173]
	s_wait_loadcnt_dscnt 0xa00
	v_mul_f64_e32 v[172:173], v[4:5], v[22:23]
	v_add_f64_e32 v[180:181], v[160:161], v[158:159]
	v_mul_f64_e32 v[22:23], v[6:7], v[22:23]
	ds_load_b128 v[158:161], v2 offset:1216
	v_fmac_f64_e32 v[174:175], v[168:169], v[16:17]
	v_fma_f64 v[166:167], v[166:167], v[16:17], -v[18:19]
	scratch_load_b128 v[16:19], off, off offset:576
	v_add_f64_e32 v[170:171], v[170:171], v[176:177]
	v_fmac_f64_e32 v[172:173], v[6:7], v[20:21]
	v_add_f64_e32 v[168:169], v[180:181], v[178:179]
	;; [unrolled: 18-line block ×8, first 2 shown]
	v_fma_f64 v[178:179], v[4:5], v[20:21], -v[22:23]
	ds_load_b128 v[4:7], v2 offset:1424
	s_wait_loadcnt_dscnt 0xa01
	v_mul_f64_e32 v[176:177], v[158:159], v[128:129]
	v_mul_f64_e32 v[128:129], v[160:161], v[128:129]
	scratch_load_b128 v[20:23], off, off offset:784
	v_add_f64_e32 v[170:171], v[170:171], v[174:175]
	s_wait_loadcnt_dscnt 0xa00
	v_mul_f64_e32 v[174:175], v[4:5], v[132:133]
	v_add_f64_e32 v[180:181], v[168:169], v[166:167]
	v_mul_f64_e32 v[132:133], v[6:7], v[132:133]
	ds_load_b128 v[166:169], v2 offset:1440
	v_fmac_f64_e32 v[176:177], v[160:161], v[126:127]
	v_fma_f64 v[126:127], v[158:159], v[126:127], -v[128:129]
	s_wait_loadcnt_dscnt 0x900
	v_mul_f64_e32 v[160:161], v[166:167], v[136:137]
	v_mul_f64_e32 v[136:137], v[168:169], v[136:137]
	v_add_f64_e32 v[158:159], v[170:171], v[172:173]
	v_fmac_f64_e32 v[174:175], v[6:7], v[130:131]
	v_add_f64_e32 v[128:129], v[180:181], v[178:179]
	v_fma_f64 v[130:131], v[4:5], v[130:131], -v[132:133]
	v_fmac_f64_e32 v[160:161], v[168:169], v[134:135]
	v_fma_f64 v[134:135], v[166:167], v[134:135], -v[136:137]
	v_add_f64_e32 v[158:159], v[158:159], v[176:177]
	v_add_f64_e32 v[132:133], v[128:129], v[126:127]
	ds_load_b128 v[4:7], v2 offset:1456
	ds_load_b128 v[126:129], v2 offset:1472
	s_wait_loadcnt_dscnt 0x801
	v_mul_f64_e32 v[170:171], v[4:5], v[140:141]
	v_mul_f64_e32 v[140:141], v[6:7], v[140:141]
	s_wait_loadcnt_dscnt 0x700
	v_mul_f64_e32 v[136:137], v[126:127], v[144:145]
	v_mul_f64_e32 v[144:145], v[128:129], v[144:145]
	v_add_f64_e32 v[130:131], v[132:133], v[130:131]
	v_add_f64_e32 v[132:133], v[158:159], v[174:175]
	v_fmac_f64_e32 v[170:171], v[6:7], v[138:139]
	v_fma_f64 v[138:139], v[4:5], v[138:139], -v[140:141]
	v_fmac_f64_e32 v[136:137], v[128:129], v[142:143]
	v_fma_f64 v[126:127], v[126:127], v[142:143], -v[144:145]
	v_add_f64_e32 v[134:135], v[130:131], v[134:135]
	v_add_f64_e32 v[140:141], v[132:133], v[160:161]
	ds_load_b128 v[4:7], v2 offset:1488
	ds_load_b128 v[130:133], v2 offset:1504
	s_wait_loadcnt_dscnt 0x601
	v_mul_f64_e32 v[158:159], v[4:5], v[152:153]
	v_mul_f64_e32 v[152:153], v[6:7], v[152:153]
	v_add_f64_e32 v[128:129], v[134:135], v[138:139]
	v_add_f64_e32 v[134:135], v[140:141], v[170:171]
	s_wait_loadcnt_dscnt 0x500
	v_mul_f64_e32 v[138:139], v[130:131], v[164:165]
	v_mul_f64_e32 v[140:141], v[132:133], v[164:165]
	v_fmac_f64_e32 v[158:159], v[6:7], v[150:151]
	v_fma_f64 v[142:143], v[4:5], v[150:151], -v[152:153]
	v_add_f64_e32 v[144:145], v[128:129], v[126:127]
	v_add_f64_e32 v[134:135], v[134:135], v[136:137]
	ds_load_b128 v[4:7], v2 offset:1520
	ds_load_b128 v[126:129], v2 offset:1536
	v_fmac_f64_e32 v[138:139], v[132:133], v[162:163]
	v_fma_f64 v[130:131], v[130:131], v[162:163], -v[140:141]
	s_wait_loadcnt_dscnt 0x401
	v_mul_f64_e32 v[136:137], v[4:5], v[148:149]
	v_mul_f64_e32 v[148:149], v[6:7], v[148:149]
	s_wait_loadcnt_dscnt 0x300
	v_mul_f64_e32 v[140:141], v[126:127], v[10:11]
	v_mul_f64_e32 v[10:11], v[128:129], v[10:11]
	v_add_f64_e32 v[132:133], v[144:145], v[142:143]
	v_add_f64_e32 v[134:135], v[134:135], v[158:159]
	v_fmac_f64_e32 v[136:137], v[6:7], v[146:147]
	v_fma_f64 v[142:143], v[4:5], v[146:147], -v[148:149]
	v_fmac_f64_e32 v[140:141], v[128:129], v[8:9]
	v_fma_f64 v[8:9], v[126:127], v[8:9], -v[10:11]
	v_add_f64_e32 v[144:145], v[132:133], v[130:131]
	v_add_f64_e32 v[134:135], v[134:135], v[138:139]
	ds_load_b128 v[4:7], v2 offset:1552
	ds_load_b128 v[130:133], v2 offset:1568
	s_wait_loadcnt_dscnt 0x201
	v_mul_f64_e32 v[138:139], v[4:5], v[14:15]
	v_mul_f64_e32 v[14:15], v[6:7], v[14:15]
	s_wait_loadcnt_dscnt 0x100
	v_mul_f64_e32 v[128:129], v[130:131], v[18:19]
	v_mul_f64_e32 v[18:19], v[132:133], v[18:19]
	v_add_f64_e32 v[10:11], v[144:145], v[142:143]
	v_add_f64_e32 v[126:127], v[134:135], v[136:137]
	v_fmac_f64_e32 v[138:139], v[6:7], v[12:13]
	v_fma_f64 v[12:13], v[4:5], v[12:13], -v[14:15]
	ds_load_b128 v[4:7], v2 offset:1584
	v_fmac_f64_e32 v[128:129], v[132:133], v[16:17]
	v_fma_f64 v[16:17], v[130:131], v[16:17], -v[18:19]
	v_add_f64_e32 v[8:9], v[10:11], v[8:9]
	v_add_f64_e32 v[10:11], v[126:127], v[140:141]
	s_wait_loadcnt_dscnt 0x0
	v_mul_f64_e32 v[14:15], v[4:5], v[22:23]
	v_mul_f64_e32 v[22:23], v[6:7], v[22:23]
	s_delay_alu instid0(VALU_DEP_4) | instskip(NEXT) | instid1(VALU_DEP_4)
	v_add_f64_e32 v[8:9], v[8:9], v[12:13]
	v_add_f64_e32 v[10:11], v[10:11], v[138:139]
	s_delay_alu instid0(VALU_DEP_4) | instskip(NEXT) | instid1(VALU_DEP_4)
	v_fmac_f64_e32 v[14:15], v[6:7], v[20:21]
	v_fma_f64 v[4:5], v[4:5], v[20:21], -v[22:23]
	s_delay_alu instid0(VALU_DEP_4) | instskip(NEXT) | instid1(VALU_DEP_4)
	v_add_f64_e32 v[6:7], v[8:9], v[16:17]
	v_add_f64_e32 v[8:9], v[10:11], v[128:129]
	s_delay_alu instid0(VALU_DEP_2) | instskip(NEXT) | instid1(VALU_DEP_2)
	v_add_f64_e32 v[4:5], v[6:7], v[4:5]
	v_add_f64_e32 v[6:7], v[8:9], v[14:15]
	s_delay_alu instid0(VALU_DEP_2) | instskip(NEXT) | instid1(VALU_DEP_2)
	v_add_f64_e64 v[4:5], v[154:155], -v[4:5]
	v_add_f64_e64 v[6:7], v[156:157], -v[6:7]
	scratch_store_b128 off, v[4:7], off offset:128
	s_wait_xcnt 0x0
	v_cmpx_lt_u32_e32 7, v1
	s_cbranch_execz .LBB113_299
; %bb.298:
	scratch_load_b128 v[6:9], off, s59
	v_dual_mov_b32 v3, v2 :: v_dual_mov_b32 v4, v2
	v_mov_b32_e32 v5, v2
	scratch_store_b128 off, v[2:5], off offset:112
	s_wait_loadcnt 0x0
	ds_store_b128 v124, v[6:9]
.LBB113_299:
	s_wait_xcnt 0x0
	s_or_b32 exec_lo, exec_lo, s2
	s_wait_storecnt_dscnt 0x0
	s_barrier_signal -1
	s_barrier_wait -1
	s_clause 0x9
	scratch_load_b128 v[4:7], off, off offset:128
	scratch_load_b128 v[8:11], off, off offset:144
	;; [unrolled: 1-line block ×10, first 2 shown]
	ds_load_b128 v[146:149], v2 offset:928
	ds_load_b128 v[154:157], v2 offset:944
	s_clause 0x2
	scratch_load_b128 v[150:153], off, off offset:288
	scratch_load_b128 v[158:161], off, off offset:112
	;; [unrolled: 1-line block ×3, first 2 shown]
	s_mov_b32 s2, exec_lo
	s_wait_loadcnt_dscnt 0xc01
	v_mul_f64_e32 v[166:167], v[148:149], v[6:7]
	v_mul_f64_e32 v[170:171], v[146:147], v[6:7]
	s_wait_loadcnt_dscnt 0xb00
	v_mul_f64_e32 v[172:173], v[154:155], v[10:11]
	v_mul_f64_e32 v[10:11], v[156:157], v[10:11]
	s_delay_alu instid0(VALU_DEP_4) | instskip(NEXT) | instid1(VALU_DEP_4)
	v_fma_f64 v[174:175], v[146:147], v[4:5], -v[166:167]
	v_fmac_f64_e32 v[170:171], v[148:149], v[4:5]
	ds_load_b128 v[4:7], v2 offset:960
	ds_load_b128 v[146:149], v2 offset:976
	scratch_load_b128 v[166:169], off, off offset:320
	v_fmac_f64_e32 v[172:173], v[156:157], v[8:9]
	v_fma_f64 v[154:155], v[154:155], v[8:9], -v[10:11]
	scratch_load_b128 v[8:11], off, off offset:336
	s_wait_loadcnt_dscnt 0xc01
	v_mul_f64_e32 v[176:177], v[4:5], v[14:15]
	v_mul_f64_e32 v[14:15], v[6:7], v[14:15]
	v_add_f64_e32 v[156:157], 0, v[174:175]
	v_add_f64_e32 v[170:171], 0, v[170:171]
	s_wait_loadcnt_dscnt 0xb00
	v_mul_f64_e32 v[174:175], v[146:147], v[18:19]
	v_mul_f64_e32 v[18:19], v[148:149], v[18:19]
	v_fmac_f64_e32 v[176:177], v[6:7], v[12:13]
	v_fma_f64 v[178:179], v[4:5], v[12:13], -v[14:15]
	ds_load_b128 v[4:7], v2 offset:992
	ds_load_b128 v[12:15], v2 offset:1008
	v_add_f64_e32 v[180:181], v[156:157], v[154:155]
	v_add_f64_e32 v[170:171], v[170:171], v[172:173]
	scratch_load_b128 v[154:157], off, off offset:352
	v_fmac_f64_e32 v[174:175], v[148:149], v[16:17]
	v_fma_f64 v[146:147], v[146:147], v[16:17], -v[18:19]
	scratch_load_b128 v[16:19], off, off offset:368
	s_wait_loadcnt_dscnt 0xc01
	v_mul_f64_e32 v[172:173], v[4:5], v[22:23]
	v_mul_f64_e32 v[22:23], v[6:7], v[22:23]
	v_add_f64_e32 v[148:149], v[180:181], v[178:179]
	v_add_f64_e32 v[170:171], v[170:171], v[176:177]
	s_wait_loadcnt_dscnt 0xb00
	v_mul_f64_e32 v[176:177], v[12:13], v[128:129]
	v_mul_f64_e32 v[128:129], v[14:15], v[128:129]
	v_fmac_f64_e32 v[172:173], v[6:7], v[20:21]
	v_fma_f64 v[178:179], v[4:5], v[20:21], -v[22:23]
	ds_load_b128 v[4:7], v2 offset:1024
	ds_load_b128 v[20:23], v2 offset:1040
	v_add_f64_e32 v[180:181], v[148:149], v[146:147]
	v_add_f64_e32 v[170:171], v[170:171], v[174:175]
	scratch_load_b128 v[146:149], off, off offset:384
	s_wait_loadcnt_dscnt 0xb01
	v_mul_f64_e32 v[174:175], v[4:5], v[132:133]
	v_mul_f64_e32 v[132:133], v[6:7], v[132:133]
	v_fmac_f64_e32 v[176:177], v[14:15], v[126:127]
	v_fma_f64 v[126:127], v[12:13], v[126:127], -v[128:129]
	scratch_load_b128 v[12:15], off, off offset:400
	v_add_f64_e32 v[128:129], v[180:181], v[178:179]
	v_add_f64_e32 v[170:171], v[170:171], v[172:173]
	s_wait_loadcnt_dscnt 0xb00
	v_mul_f64_e32 v[172:173], v[20:21], v[136:137]
	v_mul_f64_e32 v[136:137], v[22:23], v[136:137]
	v_fmac_f64_e32 v[174:175], v[6:7], v[130:131]
	v_fma_f64 v[178:179], v[4:5], v[130:131], -v[132:133]
	v_add_f64_e32 v[180:181], v[128:129], v[126:127]
	v_add_f64_e32 v[170:171], v[170:171], v[176:177]
	ds_load_b128 v[4:7], v2 offset:1056
	ds_load_b128 v[126:129], v2 offset:1072
	scratch_load_b128 v[130:133], off, off offset:416
	v_fmac_f64_e32 v[172:173], v[22:23], v[134:135]
	v_fma_f64 v[134:135], v[20:21], v[134:135], -v[136:137]
	scratch_load_b128 v[20:23], off, off offset:432
	s_wait_loadcnt_dscnt 0xc01
	v_mul_f64_e32 v[176:177], v[4:5], v[140:141]
	v_mul_f64_e32 v[140:141], v[6:7], v[140:141]
	v_add_f64_e32 v[136:137], v[180:181], v[178:179]
	v_add_f64_e32 v[170:171], v[170:171], v[174:175]
	s_wait_loadcnt_dscnt 0xb00
	v_mul_f64_e32 v[174:175], v[126:127], v[144:145]
	v_mul_f64_e32 v[144:145], v[128:129], v[144:145]
	v_fmac_f64_e32 v[176:177], v[6:7], v[138:139]
	v_fma_f64 v[178:179], v[4:5], v[138:139], -v[140:141]
	v_add_f64_e32 v[180:181], v[136:137], v[134:135]
	v_add_f64_e32 v[170:171], v[170:171], v[172:173]
	ds_load_b128 v[4:7], v2 offset:1088
	ds_load_b128 v[134:137], v2 offset:1104
	scratch_load_b128 v[138:141], off, off offset:448
	v_fmac_f64_e32 v[174:175], v[128:129], v[142:143]
	v_fma_f64 v[142:143], v[126:127], v[142:143], -v[144:145]
	scratch_load_b128 v[126:129], off, off offset:464
	s_wait_loadcnt_dscnt 0xc01
	v_mul_f64_e32 v[172:173], v[4:5], v[152:153]
	v_mul_f64_e32 v[152:153], v[6:7], v[152:153]
	;; [unrolled: 18-line block ×5, first 2 shown]
	v_add_f64_e32 v[164:165], v[180:181], v[178:179]
	v_add_f64_e32 v[170:171], v[170:171], v[176:177]
	s_wait_loadcnt_dscnt 0xa00
	v_mul_f64_e32 v[176:177], v[142:143], v[14:15]
	v_mul_f64_e32 v[14:15], v[144:145], v[14:15]
	v_fmac_f64_e32 v[172:173], v[6:7], v[146:147]
	v_fma_f64 v[178:179], v[4:5], v[146:147], -v[148:149]
	ds_load_b128 v[4:7], v2 offset:1216
	ds_load_b128 v[146:149], v2 offset:1232
	v_add_f64_e32 v[180:181], v[164:165], v[162:163]
	v_add_f64_e32 v[170:171], v[170:171], v[174:175]
	scratch_load_b128 v[162:165], off, off offset:576
	v_fmac_f64_e32 v[176:177], v[144:145], v[12:13]
	v_fma_f64 v[142:143], v[142:143], v[12:13], -v[14:15]
	scratch_load_b128 v[12:15], off, off offset:592
	s_wait_loadcnt_dscnt 0xb01
	v_mul_f64_e32 v[174:175], v[4:5], v[132:133]
	v_mul_f64_e32 v[132:133], v[6:7], v[132:133]
	v_add_f64_e32 v[144:145], v[180:181], v[178:179]
	v_add_f64_e32 v[170:171], v[170:171], v[172:173]
	s_wait_loadcnt_dscnt 0xa00
	v_mul_f64_e32 v[172:173], v[146:147], v[22:23]
	v_mul_f64_e32 v[22:23], v[148:149], v[22:23]
	v_fmac_f64_e32 v[174:175], v[6:7], v[130:131]
	v_fma_f64 v[178:179], v[4:5], v[130:131], -v[132:133]
	ds_load_b128 v[4:7], v2 offset:1248
	ds_load_b128 v[130:133], v2 offset:1264
	v_add_f64_e32 v[180:181], v[144:145], v[142:143]
	v_add_f64_e32 v[170:171], v[170:171], v[176:177]
	scratch_load_b128 v[142:145], off, off offset:608
	s_wait_loadcnt_dscnt 0xa01
	v_mul_f64_e32 v[176:177], v[4:5], v[140:141]
	v_mul_f64_e32 v[140:141], v[6:7], v[140:141]
	v_fmac_f64_e32 v[172:173], v[148:149], v[20:21]
	v_fma_f64 v[146:147], v[146:147], v[20:21], -v[22:23]
	scratch_load_b128 v[20:23], off, off offset:624
	v_add_f64_e32 v[148:149], v[180:181], v[178:179]
	v_add_f64_e32 v[170:171], v[170:171], v[174:175]
	s_wait_loadcnt_dscnt 0xa00
	v_mul_f64_e32 v[174:175], v[130:131], v[128:129]
	v_mul_f64_e32 v[128:129], v[132:133], v[128:129]
	v_fmac_f64_e32 v[176:177], v[6:7], v[138:139]
	v_fma_f64 v[178:179], v[4:5], v[138:139], -v[140:141]
	ds_load_b128 v[4:7], v2 offset:1280
	ds_load_b128 v[138:141], v2 offset:1296
	v_add_f64_e32 v[180:181], v[148:149], v[146:147]
	v_add_f64_e32 v[170:171], v[170:171], v[172:173]
	scratch_load_b128 v[146:149], off, off offset:640
	s_wait_loadcnt_dscnt 0xa01
	v_mul_f64_e32 v[172:173], v[4:5], v[152:153]
	v_mul_f64_e32 v[152:153], v[6:7], v[152:153]
	v_fmac_f64_e32 v[174:175], v[132:133], v[126:127]
	v_fma_f64 v[130:131], v[130:131], v[126:127], -v[128:129]
	scratch_load_b128 v[126:129], off, off offset:656
	v_add_f64_e32 v[132:133], v[180:181], v[178:179]
	v_add_f64_e32 v[170:171], v[170:171], v[176:177]
	s_wait_loadcnt_dscnt 0xa00
	v_mul_f64_e32 v[176:177], v[138:139], v[136:137]
	v_mul_f64_e32 v[136:137], v[140:141], v[136:137]
	v_fmac_f64_e32 v[172:173], v[6:7], v[150:151]
	v_fma_f64 v[178:179], v[4:5], v[150:151], -v[152:153]
	v_add_f64_e32 v[180:181], v[132:133], v[130:131]
	v_add_f64_e32 v[170:171], v[170:171], v[174:175]
	ds_load_b128 v[4:7], v2 offset:1312
	ds_load_b128 v[130:133], v2 offset:1328
	scratch_load_b128 v[150:153], off, off offset:672
	v_fmac_f64_e32 v[176:177], v[140:141], v[134:135]
	v_fma_f64 v[138:139], v[138:139], v[134:135], -v[136:137]
	scratch_load_b128 v[134:137], off, off offset:688
	s_wait_loadcnt_dscnt 0xb01
	v_mul_f64_e32 v[174:175], v[4:5], v[168:169]
	v_mul_f64_e32 v[168:169], v[6:7], v[168:169]
	v_add_f64_e32 v[140:141], v[180:181], v[178:179]
	v_add_f64_e32 v[170:171], v[170:171], v[172:173]
	s_wait_loadcnt_dscnt 0xa00
	v_mul_f64_e32 v[172:173], v[130:131], v[10:11]
	v_mul_f64_e32 v[10:11], v[132:133], v[10:11]
	v_fmac_f64_e32 v[174:175], v[6:7], v[166:167]
	v_fma_f64 v[178:179], v[4:5], v[166:167], -v[168:169]
	v_add_f64_e32 v[180:181], v[140:141], v[138:139]
	v_add_f64_e32 v[170:171], v[170:171], v[176:177]
	ds_load_b128 v[4:7], v2 offset:1344
	ds_load_b128 v[138:141], v2 offset:1360
	scratch_load_b128 v[166:169], off, off offset:704
	v_fmac_f64_e32 v[172:173], v[132:133], v[8:9]
	v_fma_f64 v[130:131], v[130:131], v[8:9], -v[10:11]
	scratch_load_b128 v[8:11], off, off offset:720
	s_wait_loadcnt_dscnt 0xb01
	v_mul_f64_e32 v[176:177], v[4:5], v[156:157]
	v_mul_f64_e32 v[156:157], v[6:7], v[156:157]
	;; [unrolled: 18-line block ×4, first 2 shown]
	v_add_f64_e32 v[132:133], v[180:181], v[178:179]
	v_add_f64_e32 v[170:171], v[170:171], v[172:173]
	s_wait_loadcnt_dscnt 0xa00
	v_mul_f64_e32 v[172:173], v[138:139], v[22:23]
	v_mul_f64_e32 v[22:23], v[140:141], v[22:23]
	v_fmac_f64_e32 v[174:175], v[6:7], v[142:143]
	v_fma_f64 v[142:143], v[4:5], v[142:143], -v[144:145]
	v_add_f64_e32 v[144:145], v[132:133], v[130:131]
	v_add_f64_e32 v[170:171], v[170:171], v[176:177]
	ds_load_b128 v[4:7], v2 offset:1440
	ds_load_b128 v[130:133], v2 offset:1456
	v_fmac_f64_e32 v[172:173], v[140:141], v[20:21]
	v_fma_f64 v[20:21], v[138:139], v[20:21], -v[22:23]
	s_wait_loadcnt_dscnt 0x901
	v_mul_f64_e32 v[176:177], v[4:5], v[148:149]
	v_mul_f64_e32 v[148:149], v[6:7], v[148:149]
	s_wait_loadcnt_dscnt 0x800
	v_mul_f64_e32 v[140:141], v[130:131], v[128:129]
	v_mul_f64_e32 v[128:129], v[132:133], v[128:129]
	v_add_f64_e32 v[22:23], v[144:145], v[142:143]
	v_add_f64_e32 v[138:139], v[170:171], v[174:175]
	v_fmac_f64_e32 v[176:177], v[6:7], v[146:147]
	v_fma_f64 v[142:143], v[4:5], v[146:147], -v[148:149]
	v_fmac_f64_e32 v[140:141], v[132:133], v[126:127]
	v_fma_f64 v[126:127], v[130:131], v[126:127], -v[128:129]
	v_add_f64_e32 v[144:145], v[22:23], v[20:21]
	v_add_f64_e32 v[138:139], v[138:139], v[172:173]
	ds_load_b128 v[4:7], v2 offset:1472
	ds_load_b128 v[20:23], v2 offset:1488
	s_wait_loadcnt_dscnt 0x701
	v_mul_f64_e32 v[146:147], v[4:5], v[152:153]
	v_mul_f64_e32 v[148:149], v[6:7], v[152:153]
	s_wait_loadcnt_dscnt 0x600
	v_mul_f64_e32 v[132:133], v[20:21], v[136:137]
	v_mul_f64_e32 v[136:137], v[22:23], v[136:137]
	v_add_f64_e32 v[128:129], v[144:145], v[142:143]
	v_add_f64_e32 v[130:131], v[138:139], v[176:177]
	v_fmac_f64_e32 v[146:147], v[6:7], v[150:151]
	v_fma_f64 v[138:139], v[4:5], v[150:151], -v[148:149]
	v_fmac_f64_e32 v[132:133], v[22:23], v[134:135]
	v_fma_f64 v[20:21], v[20:21], v[134:135], -v[136:137]
	v_add_f64_e32 v[142:143], v[128:129], v[126:127]
	v_add_f64_e32 v[130:131], v[130:131], v[140:141]
	ds_load_b128 v[4:7], v2 offset:1504
	ds_load_b128 v[126:129], v2 offset:1520
	;; [unrolled: 16-line block ×4, first 2 shown]
	s_wait_loadcnt_dscnt 0x101
	v_mul_f64_e32 v[2:3], v[4:5], v[164:165]
	v_mul_f64_e32 v[134:135], v[6:7], v[164:165]
	s_wait_loadcnt_dscnt 0x0
	v_mul_f64_e32 v[22:23], v[8:9], v[14:15]
	v_mul_f64_e32 v[14:15], v[10:11], v[14:15]
	v_add_f64_e32 v[18:19], v[136:137], v[130:131]
	v_add_f64_e32 v[20:21], v[126:127], v[132:133]
	v_fmac_f64_e32 v[2:3], v[6:7], v[162:163]
	v_fma_f64 v[4:5], v[4:5], v[162:163], -v[134:135]
	v_fmac_f64_e32 v[22:23], v[10:11], v[12:13]
	v_fma_f64 v[8:9], v[8:9], v[12:13], -v[14:15]
	v_add_f64_e32 v[6:7], v[18:19], v[16:17]
	v_add_f64_e32 v[16:17], v[20:21], v[128:129]
	s_delay_alu instid0(VALU_DEP_2) | instskip(NEXT) | instid1(VALU_DEP_2)
	v_add_f64_e32 v[4:5], v[6:7], v[4:5]
	v_add_f64_e32 v[2:3], v[16:17], v[2:3]
	s_delay_alu instid0(VALU_DEP_2) | instskip(NEXT) | instid1(VALU_DEP_2)
	;; [unrolled: 3-line block ×3, first 2 shown]
	v_add_f64_e64 v[2:3], v[158:159], -v[4:5]
	v_add_f64_e64 v[4:5], v[160:161], -v[6:7]
	scratch_store_b128 off, v[2:5], off offset:112
	s_wait_xcnt 0x0
	v_cmpx_lt_u32_e32 6, v1
	s_cbranch_execz .LBB113_301
; %bb.300:
	scratch_load_b128 v[2:5], off, s60
	v_mov_b32_e32 v6, 0
	s_delay_alu instid0(VALU_DEP_1)
	v_dual_mov_b32 v7, v6 :: v_dual_mov_b32 v8, v6
	v_mov_b32_e32 v9, v6
	scratch_store_b128 off, v[6:9], off offset:96
	s_wait_loadcnt 0x0
	ds_store_b128 v124, v[2:5]
.LBB113_301:
	s_wait_xcnt 0x0
	s_or_b32 exec_lo, exec_lo, s2
	s_wait_storecnt_dscnt 0x0
	s_barrier_signal -1
	s_barrier_wait -1
	s_clause 0x9
	scratch_load_b128 v[4:7], off, off offset:112
	scratch_load_b128 v[8:11], off, off offset:128
	;; [unrolled: 1-line block ×10, first 2 shown]
	v_mov_b32_e32 v2, 0
	s_mov_b32 s2, exec_lo
	ds_load_b128 v[146:149], v2 offset:912
	s_clause 0x2
	scratch_load_b128 v[150:153], off, off offset:272
	scratch_load_b128 v[154:157], off, off offset:96
	;; [unrolled: 1-line block ×3, first 2 shown]
	s_wait_loadcnt_dscnt 0xc00
	v_mul_f64_e32 v[166:167], v[148:149], v[6:7]
	v_mul_f64_e32 v[170:171], v[146:147], v[6:7]
	ds_load_b128 v[158:161], v2 offset:928
	v_fma_f64 v[174:175], v[146:147], v[4:5], -v[166:167]
	v_fmac_f64_e32 v[170:171], v[148:149], v[4:5]
	ds_load_b128 v[4:7], v2 offset:944
	s_wait_loadcnt_dscnt 0xb01
	v_mul_f64_e32 v[172:173], v[158:159], v[10:11]
	v_mul_f64_e32 v[10:11], v[160:161], v[10:11]
	scratch_load_b128 v[146:149], off, off offset:304
	ds_load_b128 v[166:169], v2 offset:960
	s_wait_loadcnt_dscnt 0xb01
	v_mul_f64_e32 v[176:177], v[4:5], v[14:15]
	v_mul_f64_e32 v[14:15], v[6:7], v[14:15]
	v_add_f64_e32 v[170:171], 0, v[170:171]
	v_fmac_f64_e32 v[172:173], v[160:161], v[8:9]
	v_fma_f64 v[158:159], v[158:159], v[8:9], -v[10:11]
	v_add_f64_e32 v[160:161], 0, v[174:175]
	scratch_load_b128 v[8:11], off, off offset:320
	v_fmac_f64_e32 v[176:177], v[6:7], v[12:13]
	v_fma_f64 v[178:179], v[4:5], v[12:13], -v[14:15]
	ds_load_b128 v[4:7], v2 offset:976
	s_wait_loadcnt_dscnt 0xb01
	v_mul_f64_e32 v[174:175], v[166:167], v[18:19]
	v_mul_f64_e32 v[18:19], v[168:169], v[18:19]
	scratch_load_b128 v[12:15], off, off offset:336
	v_add_f64_e32 v[170:171], v[170:171], v[172:173]
	v_add_f64_e32 v[180:181], v[160:161], v[158:159]
	ds_load_b128 v[158:161], v2 offset:992
	s_wait_loadcnt_dscnt 0xb01
	v_mul_f64_e32 v[172:173], v[4:5], v[22:23]
	v_mul_f64_e32 v[22:23], v[6:7], v[22:23]
	v_fmac_f64_e32 v[174:175], v[168:169], v[16:17]
	v_fma_f64 v[166:167], v[166:167], v[16:17], -v[18:19]
	scratch_load_b128 v[16:19], off, off offset:352
	v_add_f64_e32 v[170:171], v[170:171], v[176:177]
	v_add_f64_e32 v[168:169], v[180:181], v[178:179]
	v_fmac_f64_e32 v[172:173], v[6:7], v[20:21]
	v_fma_f64 v[178:179], v[4:5], v[20:21], -v[22:23]
	ds_load_b128 v[4:7], v2 offset:1008
	s_wait_loadcnt_dscnt 0xb01
	v_mul_f64_e32 v[176:177], v[158:159], v[128:129]
	v_mul_f64_e32 v[128:129], v[160:161], v[128:129]
	scratch_load_b128 v[20:23], off, off offset:368
	v_add_f64_e32 v[170:171], v[170:171], v[174:175]
	s_wait_loadcnt_dscnt 0xb00
	v_mul_f64_e32 v[174:175], v[4:5], v[132:133]
	v_add_f64_e32 v[180:181], v[168:169], v[166:167]
	v_mul_f64_e32 v[132:133], v[6:7], v[132:133]
	ds_load_b128 v[166:169], v2 offset:1024
	v_fmac_f64_e32 v[176:177], v[160:161], v[126:127]
	v_fma_f64 v[158:159], v[158:159], v[126:127], -v[128:129]
	scratch_load_b128 v[126:129], off, off offset:384
	v_add_f64_e32 v[170:171], v[170:171], v[172:173]
	v_fmac_f64_e32 v[174:175], v[6:7], v[130:131]
	v_add_f64_e32 v[160:161], v[180:181], v[178:179]
	v_fma_f64 v[178:179], v[4:5], v[130:131], -v[132:133]
	ds_load_b128 v[4:7], v2 offset:1040
	s_wait_loadcnt_dscnt 0xb01
	v_mul_f64_e32 v[172:173], v[166:167], v[136:137]
	v_mul_f64_e32 v[136:137], v[168:169], v[136:137]
	scratch_load_b128 v[130:133], off, off offset:400
	v_add_f64_e32 v[170:171], v[170:171], v[176:177]
	s_wait_loadcnt_dscnt 0xb00
	v_mul_f64_e32 v[176:177], v[4:5], v[140:141]
	v_add_f64_e32 v[180:181], v[160:161], v[158:159]
	v_mul_f64_e32 v[140:141], v[6:7], v[140:141]
	ds_load_b128 v[158:161], v2 offset:1056
	v_fmac_f64_e32 v[172:173], v[168:169], v[134:135]
	v_fma_f64 v[166:167], v[166:167], v[134:135], -v[136:137]
	scratch_load_b128 v[134:137], off, off offset:416
	v_add_f64_e32 v[170:171], v[170:171], v[174:175]
	v_fmac_f64_e32 v[176:177], v[6:7], v[138:139]
	v_add_f64_e32 v[168:169], v[180:181], v[178:179]
	v_fma_f64 v[178:179], v[4:5], v[138:139], -v[140:141]
	ds_load_b128 v[4:7], v2 offset:1072
	s_wait_loadcnt_dscnt 0xb01
	v_mul_f64_e32 v[174:175], v[158:159], v[144:145]
	v_mul_f64_e32 v[144:145], v[160:161], v[144:145]
	scratch_load_b128 v[138:141], off, off offset:432
	v_add_f64_e32 v[170:171], v[170:171], v[172:173]
	s_wait_loadcnt_dscnt 0xb00
	v_mul_f64_e32 v[172:173], v[4:5], v[152:153]
	v_add_f64_e32 v[180:181], v[168:169], v[166:167]
	v_mul_f64_e32 v[152:153], v[6:7], v[152:153]
	ds_load_b128 v[166:169], v2 offset:1088
	v_fmac_f64_e32 v[174:175], v[160:161], v[142:143]
	v_fma_f64 v[158:159], v[158:159], v[142:143], -v[144:145]
	scratch_load_b128 v[142:145], off, off offset:448
	v_add_f64_e32 v[170:171], v[170:171], v[176:177]
	v_fmac_f64_e32 v[172:173], v[6:7], v[150:151]
	v_add_f64_e32 v[160:161], v[180:181], v[178:179]
	v_fma_f64 v[178:179], v[4:5], v[150:151], -v[152:153]
	ds_load_b128 v[4:7], v2 offset:1104
	s_wait_loadcnt_dscnt 0xa01
	v_mul_f64_e32 v[176:177], v[166:167], v[164:165]
	v_mul_f64_e32 v[164:165], v[168:169], v[164:165]
	scratch_load_b128 v[150:153], off, off offset:464
	v_add_f64_e32 v[170:171], v[170:171], v[174:175]
	v_add_f64_e32 v[180:181], v[160:161], v[158:159]
	s_wait_loadcnt_dscnt 0xa00
	v_mul_f64_e32 v[174:175], v[4:5], v[148:149]
	v_mul_f64_e32 v[148:149], v[6:7], v[148:149]
	v_fmac_f64_e32 v[176:177], v[168:169], v[162:163]
	v_fma_f64 v[166:167], v[166:167], v[162:163], -v[164:165]
	ds_load_b128 v[158:161], v2 offset:1120
	scratch_load_b128 v[162:165], off, off offset:480
	v_add_f64_e32 v[170:171], v[170:171], v[172:173]
	v_add_f64_e32 v[168:169], v[180:181], v[178:179]
	v_fmac_f64_e32 v[174:175], v[6:7], v[146:147]
	v_fma_f64 v[178:179], v[4:5], v[146:147], -v[148:149]
	ds_load_b128 v[4:7], v2 offset:1136
	s_wait_loadcnt_dscnt 0xa01
	v_mul_f64_e32 v[172:173], v[158:159], v[10:11]
	v_mul_f64_e32 v[10:11], v[160:161], v[10:11]
	scratch_load_b128 v[146:149], off, off offset:496
	v_add_f64_e32 v[170:171], v[170:171], v[176:177]
	s_wait_loadcnt_dscnt 0xa00
	v_mul_f64_e32 v[176:177], v[4:5], v[14:15]
	v_add_f64_e32 v[180:181], v[168:169], v[166:167]
	v_mul_f64_e32 v[14:15], v[6:7], v[14:15]
	ds_load_b128 v[166:169], v2 offset:1152
	v_fmac_f64_e32 v[172:173], v[160:161], v[8:9]
	v_fma_f64 v[158:159], v[158:159], v[8:9], -v[10:11]
	scratch_load_b128 v[8:11], off, off offset:512
	v_add_f64_e32 v[170:171], v[170:171], v[174:175]
	v_fmac_f64_e32 v[176:177], v[6:7], v[12:13]
	v_add_f64_e32 v[160:161], v[180:181], v[178:179]
	v_fma_f64 v[178:179], v[4:5], v[12:13], -v[14:15]
	ds_load_b128 v[4:7], v2 offset:1168
	s_wait_loadcnt_dscnt 0xa01
	v_mul_f64_e32 v[174:175], v[166:167], v[18:19]
	v_mul_f64_e32 v[18:19], v[168:169], v[18:19]
	scratch_load_b128 v[12:15], off, off offset:528
	v_add_f64_e32 v[170:171], v[170:171], v[172:173]
	s_wait_loadcnt_dscnt 0xa00
	v_mul_f64_e32 v[172:173], v[4:5], v[22:23]
	v_add_f64_e32 v[180:181], v[160:161], v[158:159]
	v_mul_f64_e32 v[22:23], v[6:7], v[22:23]
	ds_load_b128 v[158:161], v2 offset:1184
	v_fmac_f64_e32 v[174:175], v[168:169], v[16:17]
	v_fma_f64 v[166:167], v[166:167], v[16:17], -v[18:19]
	scratch_load_b128 v[16:19], off, off offset:544
	v_add_f64_e32 v[170:171], v[170:171], v[176:177]
	v_fmac_f64_e32 v[172:173], v[6:7], v[20:21]
	v_add_f64_e32 v[168:169], v[180:181], v[178:179]
	v_fma_f64 v[178:179], v[4:5], v[20:21], -v[22:23]
	ds_load_b128 v[4:7], v2 offset:1200
	s_wait_loadcnt_dscnt 0xa01
	v_mul_f64_e32 v[176:177], v[158:159], v[128:129]
	v_mul_f64_e32 v[128:129], v[160:161], v[128:129]
	scratch_load_b128 v[20:23], off, off offset:560
	v_add_f64_e32 v[170:171], v[170:171], v[174:175]
	s_wait_loadcnt_dscnt 0xa00
	v_mul_f64_e32 v[174:175], v[4:5], v[132:133]
	v_add_f64_e32 v[180:181], v[168:169], v[166:167]
	v_mul_f64_e32 v[132:133], v[6:7], v[132:133]
	ds_load_b128 v[166:169], v2 offset:1216
	v_fmac_f64_e32 v[176:177], v[160:161], v[126:127]
	v_fma_f64 v[158:159], v[158:159], v[126:127], -v[128:129]
	scratch_load_b128 v[126:129], off, off offset:576
	v_add_f64_e32 v[170:171], v[170:171], v[172:173]
	v_fmac_f64_e32 v[174:175], v[6:7], v[130:131]
	v_add_f64_e32 v[160:161], v[180:181], v[178:179]
	v_fma_f64 v[178:179], v[4:5], v[130:131], -v[132:133]
	ds_load_b128 v[4:7], v2 offset:1232
	s_wait_loadcnt_dscnt 0xa01
	v_mul_f64_e32 v[172:173], v[166:167], v[136:137]
	v_mul_f64_e32 v[136:137], v[168:169], v[136:137]
	scratch_load_b128 v[130:133], off, off offset:592
	v_add_f64_e32 v[170:171], v[170:171], v[176:177]
	s_wait_loadcnt_dscnt 0xa00
	v_mul_f64_e32 v[176:177], v[4:5], v[140:141]
	v_add_f64_e32 v[180:181], v[160:161], v[158:159]
	v_mul_f64_e32 v[140:141], v[6:7], v[140:141]
	ds_load_b128 v[158:161], v2 offset:1248
	v_fmac_f64_e32 v[172:173], v[168:169], v[134:135]
	v_fma_f64 v[166:167], v[166:167], v[134:135], -v[136:137]
	scratch_load_b128 v[134:137], off, off offset:608
	v_add_f64_e32 v[170:171], v[170:171], v[174:175]
	v_fmac_f64_e32 v[176:177], v[6:7], v[138:139]
	v_add_f64_e32 v[168:169], v[180:181], v[178:179]
	v_fma_f64 v[178:179], v[4:5], v[138:139], -v[140:141]
	ds_load_b128 v[4:7], v2 offset:1264
	s_wait_loadcnt_dscnt 0xa01
	v_mul_f64_e32 v[174:175], v[158:159], v[144:145]
	v_mul_f64_e32 v[144:145], v[160:161], v[144:145]
	scratch_load_b128 v[138:141], off, off offset:624
	v_add_f64_e32 v[170:171], v[170:171], v[172:173]
	s_wait_loadcnt_dscnt 0xa00
	v_mul_f64_e32 v[172:173], v[4:5], v[152:153]
	v_add_f64_e32 v[180:181], v[168:169], v[166:167]
	v_mul_f64_e32 v[152:153], v[6:7], v[152:153]
	ds_load_b128 v[166:169], v2 offset:1280
	v_fmac_f64_e32 v[174:175], v[160:161], v[142:143]
	v_fma_f64 v[158:159], v[158:159], v[142:143], -v[144:145]
	scratch_load_b128 v[142:145], off, off offset:640
	v_add_f64_e32 v[170:171], v[170:171], v[176:177]
	v_fmac_f64_e32 v[172:173], v[6:7], v[150:151]
	v_add_f64_e32 v[160:161], v[180:181], v[178:179]
	v_fma_f64 v[178:179], v[4:5], v[150:151], -v[152:153]
	ds_load_b128 v[4:7], v2 offset:1296
	s_wait_loadcnt_dscnt 0xa01
	v_mul_f64_e32 v[176:177], v[166:167], v[164:165]
	v_mul_f64_e32 v[164:165], v[168:169], v[164:165]
	scratch_load_b128 v[150:153], off, off offset:656
	v_add_f64_e32 v[170:171], v[170:171], v[174:175]
	s_wait_loadcnt_dscnt 0xa00
	v_mul_f64_e32 v[174:175], v[4:5], v[148:149]
	v_add_f64_e32 v[180:181], v[160:161], v[158:159]
	v_mul_f64_e32 v[148:149], v[6:7], v[148:149]
	ds_load_b128 v[158:161], v2 offset:1312
	v_fmac_f64_e32 v[176:177], v[168:169], v[162:163]
	v_fma_f64 v[166:167], v[166:167], v[162:163], -v[164:165]
	scratch_load_b128 v[162:165], off, off offset:672
	v_add_f64_e32 v[170:171], v[170:171], v[172:173]
	v_fmac_f64_e32 v[174:175], v[6:7], v[146:147]
	v_add_f64_e32 v[168:169], v[180:181], v[178:179]
	v_fma_f64 v[178:179], v[4:5], v[146:147], -v[148:149]
	ds_load_b128 v[4:7], v2 offset:1328
	s_wait_loadcnt_dscnt 0xa01
	v_mul_f64_e32 v[172:173], v[158:159], v[10:11]
	v_mul_f64_e32 v[10:11], v[160:161], v[10:11]
	scratch_load_b128 v[146:149], off, off offset:688
	v_add_f64_e32 v[170:171], v[170:171], v[176:177]
	s_wait_loadcnt_dscnt 0xa00
	v_mul_f64_e32 v[176:177], v[4:5], v[14:15]
	v_add_f64_e32 v[180:181], v[168:169], v[166:167]
	v_mul_f64_e32 v[14:15], v[6:7], v[14:15]
	ds_load_b128 v[166:169], v2 offset:1344
	v_fmac_f64_e32 v[172:173], v[160:161], v[8:9]
	v_fma_f64 v[158:159], v[158:159], v[8:9], -v[10:11]
	scratch_load_b128 v[8:11], off, off offset:704
	v_add_f64_e32 v[170:171], v[170:171], v[174:175]
	v_fmac_f64_e32 v[176:177], v[6:7], v[12:13]
	v_add_f64_e32 v[160:161], v[180:181], v[178:179]
	v_fma_f64 v[178:179], v[4:5], v[12:13], -v[14:15]
	ds_load_b128 v[4:7], v2 offset:1360
	s_wait_loadcnt_dscnt 0xa01
	v_mul_f64_e32 v[174:175], v[166:167], v[18:19]
	v_mul_f64_e32 v[18:19], v[168:169], v[18:19]
	scratch_load_b128 v[12:15], off, off offset:720
	v_add_f64_e32 v[170:171], v[170:171], v[172:173]
	s_wait_loadcnt_dscnt 0xa00
	v_mul_f64_e32 v[172:173], v[4:5], v[22:23]
	v_add_f64_e32 v[180:181], v[160:161], v[158:159]
	v_mul_f64_e32 v[22:23], v[6:7], v[22:23]
	ds_load_b128 v[158:161], v2 offset:1376
	v_fmac_f64_e32 v[174:175], v[168:169], v[16:17]
	v_fma_f64 v[166:167], v[166:167], v[16:17], -v[18:19]
	scratch_load_b128 v[16:19], off, off offset:736
	v_add_f64_e32 v[170:171], v[170:171], v[176:177]
	v_fmac_f64_e32 v[172:173], v[6:7], v[20:21]
	v_add_f64_e32 v[168:169], v[180:181], v[178:179]
	v_fma_f64 v[178:179], v[4:5], v[20:21], -v[22:23]
	ds_load_b128 v[4:7], v2 offset:1392
	s_wait_loadcnt_dscnt 0xa01
	v_mul_f64_e32 v[176:177], v[158:159], v[128:129]
	v_mul_f64_e32 v[128:129], v[160:161], v[128:129]
	scratch_load_b128 v[20:23], off, off offset:752
	v_add_f64_e32 v[170:171], v[170:171], v[174:175]
	s_wait_loadcnt_dscnt 0xa00
	v_mul_f64_e32 v[174:175], v[4:5], v[132:133]
	v_add_f64_e32 v[180:181], v[168:169], v[166:167]
	v_mul_f64_e32 v[132:133], v[6:7], v[132:133]
	ds_load_b128 v[166:169], v2 offset:1408
	v_fmac_f64_e32 v[176:177], v[160:161], v[126:127]
	v_fma_f64 v[158:159], v[158:159], v[126:127], -v[128:129]
	scratch_load_b128 v[126:129], off, off offset:768
	v_add_f64_e32 v[170:171], v[170:171], v[172:173]
	v_fmac_f64_e32 v[174:175], v[6:7], v[130:131]
	v_add_f64_e32 v[160:161], v[180:181], v[178:179]
	v_fma_f64 v[178:179], v[4:5], v[130:131], -v[132:133]
	ds_load_b128 v[4:7], v2 offset:1424
	s_wait_loadcnt_dscnt 0xa01
	v_mul_f64_e32 v[172:173], v[166:167], v[136:137]
	v_mul_f64_e32 v[136:137], v[168:169], v[136:137]
	scratch_load_b128 v[130:133], off, off offset:784
	v_add_f64_e32 v[170:171], v[170:171], v[176:177]
	s_wait_loadcnt_dscnt 0xa00
	v_mul_f64_e32 v[176:177], v[4:5], v[140:141]
	v_add_f64_e32 v[180:181], v[160:161], v[158:159]
	v_mul_f64_e32 v[140:141], v[6:7], v[140:141]
	ds_load_b128 v[158:161], v2 offset:1440
	v_fmac_f64_e32 v[172:173], v[168:169], v[134:135]
	v_fma_f64 v[134:135], v[166:167], v[134:135], -v[136:137]
	s_wait_loadcnt_dscnt 0x900
	v_mul_f64_e32 v[168:169], v[158:159], v[144:145]
	v_mul_f64_e32 v[144:145], v[160:161], v[144:145]
	v_add_f64_e32 v[166:167], v[170:171], v[174:175]
	v_fmac_f64_e32 v[176:177], v[6:7], v[138:139]
	v_add_f64_e32 v[136:137], v[180:181], v[178:179]
	v_fma_f64 v[138:139], v[4:5], v[138:139], -v[140:141]
	v_fmac_f64_e32 v[168:169], v[160:161], v[142:143]
	v_fma_f64 v[142:143], v[158:159], v[142:143], -v[144:145]
	v_add_f64_e32 v[166:167], v[166:167], v[172:173]
	v_add_f64_e32 v[140:141], v[136:137], v[134:135]
	ds_load_b128 v[4:7], v2 offset:1456
	ds_load_b128 v[134:137], v2 offset:1472
	s_wait_loadcnt_dscnt 0x801
	v_mul_f64_e32 v[170:171], v[4:5], v[152:153]
	v_mul_f64_e32 v[152:153], v[6:7], v[152:153]
	s_wait_loadcnt_dscnt 0x700
	v_mul_f64_e32 v[144:145], v[134:135], v[164:165]
	v_mul_f64_e32 v[158:159], v[136:137], v[164:165]
	v_add_f64_e32 v[138:139], v[140:141], v[138:139]
	v_add_f64_e32 v[140:141], v[166:167], v[176:177]
	v_fmac_f64_e32 v[170:171], v[6:7], v[150:151]
	v_fma_f64 v[150:151], v[4:5], v[150:151], -v[152:153]
	v_fmac_f64_e32 v[144:145], v[136:137], v[162:163]
	v_fma_f64 v[134:135], v[134:135], v[162:163], -v[158:159]
	v_add_f64_e32 v[142:143], v[138:139], v[142:143]
	v_add_f64_e32 v[152:153], v[140:141], v[168:169]
	ds_load_b128 v[4:7], v2 offset:1488
	ds_load_b128 v[138:141], v2 offset:1504
	s_wait_loadcnt_dscnt 0x601
	v_mul_f64_e32 v[160:161], v[4:5], v[148:149]
	v_mul_f64_e32 v[148:149], v[6:7], v[148:149]
	v_add_f64_e32 v[136:137], v[142:143], v[150:151]
	v_add_f64_e32 v[142:143], v[152:153], v[170:171]
	s_wait_loadcnt_dscnt 0x500
	v_mul_f64_e32 v[150:151], v[138:139], v[10:11]
	v_mul_f64_e32 v[10:11], v[140:141], v[10:11]
	v_fmac_f64_e32 v[160:161], v[6:7], v[146:147]
	v_fma_f64 v[146:147], v[4:5], v[146:147], -v[148:149]
	v_add_f64_e32 v[148:149], v[136:137], v[134:135]
	v_add_f64_e32 v[142:143], v[142:143], v[144:145]
	ds_load_b128 v[4:7], v2 offset:1520
	ds_load_b128 v[134:137], v2 offset:1536
	v_fmac_f64_e32 v[150:151], v[140:141], v[8:9]
	v_fma_f64 v[8:9], v[138:139], v[8:9], -v[10:11]
	s_wait_loadcnt_dscnt 0x401
	v_mul_f64_e32 v[144:145], v[4:5], v[14:15]
	v_mul_f64_e32 v[14:15], v[6:7], v[14:15]
	s_wait_loadcnt_dscnt 0x300
	v_mul_f64_e32 v[140:141], v[134:135], v[18:19]
	v_mul_f64_e32 v[18:19], v[136:137], v[18:19]
	v_add_f64_e32 v[10:11], v[148:149], v[146:147]
	v_add_f64_e32 v[138:139], v[142:143], v[160:161]
	v_fmac_f64_e32 v[144:145], v[6:7], v[12:13]
	v_fma_f64 v[12:13], v[4:5], v[12:13], -v[14:15]
	v_fmac_f64_e32 v[140:141], v[136:137], v[16:17]
	v_fma_f64 v[16:17], v[134:135], v[16:17], -v[18:19]
	v_add_f64_e32 v[14:15], v[10:11], v[8:9]
	v_add_f64_e32 v[138:139], v[138:139], v[150:151]
	ds_load_b128 v[4:7], v2 offset:1552
	ds_load_b128 v[8:11], v2 offset:1568
	s_wait_loadcnt_dscnt 0x201
	v_mul_f64_e32 v[142:143], v[4:5], v[22:23]
	v_mul_f64_e32 v[22:23], v[6:7], v[22:23]
	s_wait_loadcnt_dscnt 0x100
	v_mul_f64_e32 v[18:19], v[8:9], v[128:129]
	v_mul_f64_e32 v[128:129], v[10:11], v[128:129]
	v_add_f64_e32 v[12:13], v[14:15], v[12:13]
	v_add_f64_e32 v[14:15], v[138:139], v[144:145]
	v_fmac_f64_e32 v[142:143], v[6:7], v[20:21]
	v_fma_f64 v[20:21], v[4:5], v[20:21], -v[22:23]
	ds_load_b128 v[4:7], v2 offset:1584
	v_fmac_f64_e32 v[18:19], v[10:11], v[126:127]
	v_fma_f64 v[8:9], v[8:9], v[126:127], -v[128:129]
	v_add_f64_e32 v[12:13], v[12:13], v[16:17]
	v_add_f64_e32 v[14:15], v[14:15], v[140:141]
	s_wait_loadcnt_dscnt 0x0
	v_mul_f64_e32 v[16:17], v[4:5], v[132:133]
	v_mul_f64_e32 v[22:23], v[6:7], v[132:133]
	s_delay_alu instid0(VALU_DEP_4) | instskip(NEXT) | instid1(VALU_DEP_4)
	v_add_f64_e32 v[10:11], v[12:13], v[20:21]
	v_add_f64_e32 v[12:13], v[14:15], v[142:143]
	s_delay_alu instid0(VALU_DEP_4) | instskip(NEXT) | instid1(VALU_DEP_4)
	v_fmac_f64_e32 v[16:17], v[6:7], v[130:131]
	v_fma_f64 v[4:5], v[4:5], v[130:131], -v[22:23]
	s_delay_alu instid0(VALU_DEP_4) | instskip(NEXT) | instid1(VALU_DEP_4)
	v_add_f64_e32 v[6:7], v[10:11], v[8:9]
	v_add_f64_e32 v[8:9], v[12:13], v[18:19]
	s_delay_alu instid0(VALU_DEP_2) | instskip(NEXT) | instid1(VALU_DEP_2)
	v_add_f64_e32 v[4:5], v[6:7], v[4:5]
	v_add_f64_e32 v[6:7], v[8:9], v[16:17]
	s_delay_alu instid0(VALU_DEP_2) | instskip(NEXT) | instid1(VALU_DEP_2)
	v_add_f64_e64 v[4:5], v[154:155], -v[4:5]
	v_add_f64_e64 v[6:7], v[156:157], -v[6:7]
	scratch_store_b128 off, v[4:7], off offset:96
	s_wait_xcnt 0x0
	v_cmpx_lt_u32_e32 5, v1
	s_cbranch_execz .LBB113_303
; %bb.302:
	scratch_load_b128 v[6:9], off, s61
	v_dual_mov_b32 v3, v2 :: v_dual_mov_b32 v4, v2
	v_mov_b32_e32 v5, v2
	scratch_store_b128 off, v[2:5], off offset:80
	s_wait_loadcnt 0x0
	ds_store_b128 v124, v[6:9]
.LBB113_303:
	s_wait_xcnt 0x0
	s_or_b32 exec_lo, exec_lo, s2
	s_wait_storecnt_dscnt 0x0
	s_barrier_signal -1
	s_barrier_wait -1
	s_clause 0x9
	scratch_load_b128 v[4:7], off, off offset:96
	scratch_load_b128 v[8:11], off, off offset:112
	;; [unrolled: 1-line block ×10, first 2 shown]
	ds_load_b128 v[146:149], v2 offset:896
	ds_load_b128 v[154:157], v2 offset:912
	s_clause 0x2
	scratch_load_b128 v[150:153], off, off offset:256
	scratch_load_b128 v[158:161], off, off offset:80
	;; [unrolled: 1-line block ×3, first 2 shown]
	s_mov_b32 s2, exec_lo
	s_wait_loadcnt_dscnt 0xc01
	v_mul_f64_e32 v[166:167], v[148:149], v[6:7]
	v_mul_f64_e32 v[170:171], v[146:147], v[6:7]
	s_wait_loadcnt_dscnt 0xb00
	v_mul_f64_e32 v[172:173], v[154:155], v[10:11]
	v_mul_f64_e32 v[10:11], v[156:157], v[10:11]
	s_delay_alu instid0(VALU_DEP_4) | instskip(NEXT) | instid1(VALU_DEP_4)
	v_fma_f64 v[174:175], v[146:147], v[4:5], -v[166:167]
	v_fmac_f64_e32 v[170:171], v[148:149], v[4:5]
	ds_load_b128 v[4:7], v2 offset:928
	ds_load_b128 v[146:149], v2 offset:944
	scratch_load_b128 v[166:169], off, off offset:288
	v_fmac_f64_e32 v[172:173], v[156:157], v[8:9]
	v_fma_f64 v[154:155], v[154:155], v[8:9], -v[10:11]
	scratch_load_b128 v[8:11], off, off offset:304
	s_wait_loadcnt_dscnt 0xc01
	v_mul_f64_e32 v[176:177], v[4:5], v[14:15]
	v_mul_f64_e32 v[14:15], v[6:7], v[14:15]
	v_add_f64_e32 v[156:157], 0, v[174:175]
	v_add_f64_e32 v[170:171], 0, v[170:171]
	s_wait_loadcnt_dscnt 0xb00
	v_mul_f64_e32 v[174:175], v[146:147], v[18:19]
	v_mul_f64_e32 v[18:19], v[148:149], v[18:19]
	v_fmac_f64_e32 v[176:177], v[6:7], v[12:13]
	v_fma_f64 v[178:179], v[4:5], v[12:13], -v[14:15]
	ds_load_b128 v[4:7], v2 offset:960
	ds_load_b128 v[12:15], v2 offset:976
	v_add_f64_e32 v[180:181], v[156:157], v[154:155]
	v_add_f64_e32 v[170:171], v[170:171], v[172:173]
	scratch_load_b128 v[154:157], off, off offset:320
	v_fmac_f64_e32 v[174:175], v[148:149], v[16:17]
	v_fma_f64 v[146:147], v[146:147], v[16:17], -v[18:19]
	scratch_load_b128 v[16:19], off, off offset:336
	s_wait_loadcnt_dscnt 0xc01
	v_mul_f64_e32 v[172:173], v[4:5], v[22:23]
	v_mul_f64_e32 v[22:23], v[6:7], v[22:23]
	v_add_f64_e32 v[148:149], v[180:181], v[178:179]
	v_add_f64_e32 v[170:171], v[170:171], v[176:177]
	s_wait_loadcnt_dscnt 0xb00
	v_mul_f64_e32 v[176:177], v[12:13], v[128:129]
	v_mul_f64_e32 v[128:129], v[14:15], v[128:129]
	v_fmac_f64_e32 v[172:173], v[6:7], v[20:21]
	v_fma_f64 v[178:179], v[4:5], v[20:21], -v[22:23]
	ds_load_b128 v[4:7], v2 offset:992
	ds_load_b128 v[20:23], v2 offset:1008
	v_add_f64_e32 v[180:181], v[148:149], v[146:147]
	v_add_f64_e32 v[170:171], v[170:171], v[174:175]
	scratch_load_b128 v[146:149], off, off offset:352
	s_wait_loadcnt_dscnt 0xb01
	v_mul_f64_e32 v[174:175], v[4:5], v[132:133]
	v_mul_f64_e32 v[132:133], v[6:7], v[132:133]
	v_fmac_f64_e32 v[176:177], v[14:15], v[126:127]
	v_fma_f64 v[126:127], v[12:13], v[126:127], -v[128:129]
	scratch_load_b128 v[12:15], off, off offset:368
	v_add_f64_e32 v[128:129], v[180:181], v[178:179]
	v_add_f64_e32 v[170:171], v[170:171], v[172:173]
	s_wait_loadcnt_dscnt 0xb00
	v_mul_f64_e32 v[172:173], v[20:21], v[136:137]
	v_mul_f64_e32 v[136:137], v[22:23], v[136:137]
	v_fmac_f64_e32 v[174:175], v[6:7], v[130:131]
	v_fma_f64 v[178:179], v[4:5], v[130:131], -v[132:133]
	v_add_f64_e32 v[180:181], v[128:129], v[126:127]
	v_add_f64_e32 v[170:171], v[170:171], v[176:177]
	ds_load_b128 v[4:7], v2 offset:1024
	ds_load_b128 v[126:129], v2 offset:1040
	scratch_load_b128 v[130:133], off, off offset:384
	v_fmac_f64_e32 v[172:173], v[22:23], v[134:135]
	v_fma_f64 v[134:135], v[20:21], v[134:135], -v[136:137]
	scratch_load_b128 v[20:23], off, off offset:400
	s_wait_loadcnt_dscnt 0xc01
	v_mul_f64_e32 v[176:177], v[4:5], v[140:141]
	v_mul_f64_e32 v[140:141], v[6:7], v[140:141]
	v_add_f64_e32 v[136:137], v[180:181], v[178:179]
	v_add_f64_e32 v[170:171], v[170:171], v[174:175]
	s_wait_loadcnt_dscnt 0xb00
	v_mul_f64_e32 v[174:175], v[126:127], v[144:145]
	v_mul_f64_e32 v[144:145], v[128:129], v[144:145]
	v_fmac_f64_e32 v[176:177], v[6:7], v[138:139]
	v_fma_f64 v[178:179], v[4:5], v[138:139], -v[140:141]
	v_add_f64_e32 v[180:181], v[136:137], v[134:135]
	v_add_f64_e32 v[170:171], v[170:171], v[172:173]
	ds_load_b128 v[4:7], v2 offset:1056
	ds_load_b128 v[134:137], v2 offset:1072
	scratch_load_b128 v[138:141], off, off offset:416
	v_fmac_f64_e32 v[174:175], v[128:129], v[142:143]
	v_fma_f64 v[142:143], v[126:127], v[142:143], -v[144:145]
	scratch_load_b128 v[126:129], off, off offset:432
	s_wait_loadcnt_dscnt 0xc01
	v_mul_f64_e32 v[172:173], v[4:5], v[152:153]
	v_mul_f64_e32 v[152:153], v[6:7], v[152:153]
	v_add_f64_e32 v[144:145], v[180:181], v[178:179]
	v_add_f64_e32 v[170:171], v[170:171], v[176:177]
	s_wait_loadcnt_dscnt 0xa00
	v_mul_f64_e32 v[176:177], v[134:135], v[164:165]
	v_mul_f64_e32 v[164:165], v[136:137], v[164:165]
	v_fmac_f64_e32 v[172:173], v[6:7], v[150:151]
	v_fma_f64 v[178:179], v[4:5], v[150:151], -v[152:153]
	v_add_f64_e32 v[180:181], v[144:145], v[142:143]
	v_add_f64_e32 v[170:171], v[170:171], v[174:175]
	ds_load_b128 v[4:7], v2 offset:1088
	ds_load_b128 v[142:145], v2 offset:1104
	scratch_load_b128 v[150:153], off, off offset:448
	v_fmac_f64_e32 v[176:177], v[136:137], v[162:163]
	v_fma_f64 v[162:163], v[134:135], v[162:163], -v[164:165]
	scratch_load_b128 v[134:137], off, off offset:464
	s_wait_loadcnt_dscnt 0xb01
	v_mul_f64_e32 v[174:175], v[4:5], v[168:169]
	v_mul_f64_e32 v[168:169], v[6:7], v[168:169]
	v_add_f64_e32 v[164:165], v[180:181], v[178:179]
	v_add_f64_e32 v[170:171], v[170:171], v[172:173]
	s_wait_loadcnt_dscnt 0xa00
	v_mul_f64_e32 v[172:173], v[142:143], v[10:11]
	v_mul_f64_e32 v[10:11], v[144:145], v[10:11]
	v_fmac_f64_e32 v[174:175], v[6:7], v[166:167]
	v_fma_f64 v[178:179], v[4:5], v[166:167], -v[168:169]
	v_add_f64_e32 v[180:181], v[164:165], v[162:163]
	v_add_f64_e32 v[170:171], v[170:171], v[176:177]
	ds_load_b128 v[4:7], v2 offset:1120
	ds_load_b128 v[162:165], v2 offset:1136
	scratch_load_b128 v[166:169], off, off offset:480
	v_fmac_f64_e32 v[172:173], v[144:145], v[8:9]
	v_fma_f64 v[142:143], v[142:143], v[8:9], -v[10:11]
	scratch_load_b128 v[8:11], off, off offset:496
	s_wait_loadcnt_dscnt 0xb01
	v_mul_f64_e32 v[176:177], v[4:5], v[156:157]
	v_mul_f64_e32 v[156:157], v[6:7], v[156:157]
	v_add_f64_e32 v[144:145], v[180:181], v[178:179]
	v_add_f64_e32 v[170:171], v[170:171], v[174:175]
	s_wait_loadcnt_dscnt 0xa00
	v_mul_f64_e32 v[174:175], v[162:163], v[18:19]
	v_mul_f64_e32 v[18:19], v[164:165], v[18:19]
	v_fmac_f64_e32 v[176:177], v[6:7], v[154:155]
	v_fma_f64 v[178:179], v[4:5], v[154:155], -v[156:157]
	v_add_f64_e32 v[180:181], v[144:145], v[142:143]
	v_add_f64_e32 v[170:171], v[170:171], v[172:173]
	ds_load_b128 v[4:7], v2 offset:1152
	ds_load_b128 v[142:145], v2 offset:1168
	scratch_load_b128 v[154:157], off, off offset:512
	v_fmac_f64_e32 v[174:175], v[164:165], v[16:17]
	v_fma_f64 v[162:163], v[162:163], v[16:17], -v[18:19]
	scratch_load_b128 v[16:19], off, off offset:528
	s_wait_loadcnt_dscnt 0xb01
	v_mul_f64_e32 v[172:173], v[4:5], v[148:149]
	v_mul_f64_e32 v[148:149], v[6:7], v[148:149]
	v_add_f64_e32 v[164:165], v[180:181], v[178:179]
	v_add_f64_e32 v[170:171], v[170:171], v[176:177]
	s_wait_loadcnt_dscnt 0xa00
	v_mul_f64_e32 v[176:177], v[142:143], v[14:15]
	v_mul_f64_e32 v[14:15], v[144:145], v[14:15]
	v_fmac_f64_e32 v[172:173], v[6:7], v[146:147]
	v_fma_f64 v[178:179], v[4:5], v[146:147], -v[148:149]
	ds_load_b128 v[4:7], v2 offset:1184
	ds_load_b128 v[146:149], v2 offset:1200
	v_add_f64_e32 v[180:181], v[164:165], v[162:163]
	v_add_f64_e32 v[170:171], v[170:171], v[174:175]
	scratch_load_b128 v[162:165], off, off offset:544
	v_fmac_f64_e32 v[176:177], v[144:145], v[12:13]
	v_fma_f64 v[142:143], v[142:143], v[12:13], -v[14:15]
	scratch_load_b128 v[12:15], off, off offset:560
	s_wait_loadcnt_dscnt 0xb01
	v_mul_f64_e32 v[174:175], v[4:5], v[132:133]
	v_mul_f64_e32 v[132:133], v[6:7], v[132:133]
	v_add_f64_e32 v[144:145], v[180:181], v[178:179]
	v_add_f64_e32 v[170:171], v[170:171], v[172:173]
	s_wait_loadcnt_dscnt 0xa00
	v_mul_f64_e32 v[172:173], v[146:147], v[22:23]
	v_mul_f64_e32 v[22:23], v[148:149], v[22:23]
	v_fmac_f64_e32 v[174:175], v[6:7], v[130:131]
	v_fma_f64 v[178:179], v[4:5], v[130:131], -v[132:133]
	ds_load_b128 v[4:7], v2 offset:1216
	ds_load_b128 v[130:133], v2 offset:1232
	v_add_f64_e32 v[180:181], v[144:145], v[142:143]
	v_add_f64_e32 v[170:171], v[170:171], v[176:177]
	scratch_load_b128 v[142:145], off, off offset:576
	s_wait_loadcnt_dscnt 0xa01
	v_mul_f64_e32 v[176:177], v[4:5], v[140:141]
	v_mul_f64_e32 v[140:141], v[6:7], v[140:141]
	v_fmac_f64_e32 v[172:173], v[148:149], v[20:21]
	v_fma_f64 v[146:147], v[146:147], v[20:21], -v[22:23]
	scratch_load_b128 v[20:23], off, off offset:592
	v_add_f64_e32 v[148:149], v[180:181], v[178:179]
	v_add_f64_e32 v[170:171], v[170:171], v[174:175]
	s_wait_loadcnt_dscnt 0xa00
	v_mul_f64_e32 v[174:175], v[130:131], v[128:129]
	v_mul_f64_e32 v[128:129], v[132:133], v[128:129]
	v_fmac_f64_e32 v[176:177], v[6:7], v[138:139]
	v_fma_f64 v[178:179], v[4:5], v[138:139], -v[140:141]
	ds_load_b128 v[4:7], v2 offset:1248
	ds_load_b128 v[138:141], v2 offset:1264
	v_add_f64_e32 v[180:181], v[148:149], v[146:147]
	v_add_f64_e32 v[170:171], v[170:171], v[172:173]
	scratch_load_b128 v[146:149], off, off offset:608
	s_wait_loadcnt_dscnt 0xa01
	v_mul_f64_e32 v[172:173], v[4:5], v[152:153]
	v_mul_f64_e32 v[152:153], v[6:7], v[152:153]
	v_fmac_f64_e32 v[174:175], v[132:133], v[126:127]
	v_fma_f64 v[130:131], v[130:131], v[126:127], -v[128:129]
	scratch_load_b128 v[126:129], off, off offset:624
	v_add_f64_e32 v[132:133], v[180:181], v[178:179]
	v_add_f64_e32 v[170:171], v[170:171], v[176:177]
	s_wait_loadcnt_dscnt 0xa00
	v_mul_f64_e32 v[176:177], v[138:139], v[136:137]
	v_mul_f64_e32 v[136:137], v[140:141], v[136:137]
	v_fmac_f64_e32 v[172:173], v[6:7], v[150:151]
	v_fma_f64 v[178:179], v[4:5], v[150:151], -v[152:153]
	v_add_f64_e32 v[180:181], v[132:133], v[130:131]
	v_add_f64_e32 v[170:171], v[170:171], v[174:175]
	ds_load_b128 v[4:7], v2 offset:1280
	ds_load_b128 v[130:133], v2 offset:1296
	scratch_load_b128 v[150:153], off, off offset:640
	v_fmac_f64_e32 v[176:177], v[140:141], v[134:135]
	v_fma_f64 v[138:139], v[138:139], v[134:135], -v[136:137]
	scratch_load_b128 v[134:137], off, off offset:656
	s_wait_loadcnt_dscnt 0xb01
	v_mul_f64_e32 v[174:175], v[4:5], v[168:169]
	v_mul_f64_e32 v[168:169], v[6:7], v[168:169]
	v_add_f64_e32 v[140:141], v[180:181], v[178:179]
	v_add_f64_e32 v[170:171], v[170:171], v[172:173]
	s_wait_loadcnt_dscnt 0xa00
	v_mul_f64_e32 v[172:173], v[130:131], v[10:11]
	v_mul_f64_e32 v[10:11], v[132:133], v[10:11]
	v_fmac_f64_e32 v[174:175], v[6:7], v[166:167]
	v_fma_f64 v[178:179], v[4:5], v[166:167], -v[168:169]
	v_add_f64_e32 v[180:181], v[140:141], v[138:139]
	v_add_f64_e32 v[170:171], v[170:171], v[176:177]
	ds_load_b128 v[4:7], v2 offset:1312
	ds_load_b128 v[138:141], v2 offset:1328
	scratch_load_b128 v[166:169], off, off offset:672
	v_fmac_f64_e32 v[172:173], v[132:133], v[8:9]
	v_fma_f64 v[130:131], v[130:131], v[8:9], -v[10:11]
	scratch_load_b128 v[8:11], off, off offset:688
	s_wait_loadcnt_dscnt 0xb01
	v_mul_f64_e32 v[176:177], v[4:5], v[156:157]
	v_mul_f64_e32 v[156:157], v[6:7], v[156:157]
	;; [unrolled: 18-line block ×5, first 2 shown]
	v_add_f64_e32 v[140:141], v[180:181], v[178:179]
	v_add_f64_e32 v[170:171], v[170:171], v[174:175]
	s_wait_loadcnt_dscnt 0xa00
	v_mul_f64_e32 v[174:175], v[130:131], v[128:129]
	v_mul_f64_e32 v[128:129], v[132:133], v[128:129]
	v_fmac_f64_e32 v[176:177], v[6:7], v[146:147]
	v_fma_f64 v[146:147], v[4:5], v[146:147], -v[148:149]
	v_add_f64_e32 v[148:149], v[140:141], v[138:139]
	v_add_f64_e32 v[170:171], v[170:171], v[172:173]
	ds_load_b128 v[4:7], v2 offset:1440
	ds_load_b128 v[138:141], v2 offset:1456
	v_fmac_f64_e32 v[174:175], v[132:133], v[126:127]
	v_fma_f64 v[126:127], v[130:131], v[126:127], -v[128:129]
	s_wait_loadcnt_dscnt 0x901
	v_mul_f64_e32 v[172:173], v[4:5], v[152:153]
	v_mul_f64_e32 v[152:153], v[6:7], v[152:153]
	s_wait_loadcnt_dscnt 0x800
	v_mul_f64_e32 v[132:133], v[138:139], v[136:137]
	v_mul_f64_e32 v[136:137], v[140:141], v[136:137]
	v_add_f64_e32 v[128:129], v[148:149], v[146:147]
	v_add_f64_e32 v[130:131], v[170:171], v[176:177]
	v_fmac_f64_e32 v[172:173], v[6:7], v[150:151]
	v_fma_f64 v[146:147], v[4:5], v[150:151], -v[152:153]
	v_fmac_f64_e32 v[132:133], v[140:141], v[134:135]
	v_fma_f64 v[134:135], v[138:139], v[134:135], -v[136:137]
	v_add_f64_e32 v[148:149], v[128:129], v[126:127]
	v_add_f64_e32 v[130:131], v[130:131], v[174:175]
	ds_load_b128 v[4:7], v2 offset:1472
	ds_load_b128 v[126:129], v2 offset:1488
	s_wait_loadcnt_dscnt 0x701
	v_mul_f64_e32 v[150:151], v[4:5], v[168:169]
	v_mul_f64_e32 v[152:153], v[6:7], v[168:169]
	s_wait_loadcnt_dscnt 0x600
	v_mul_f64_e32 v[138:139], v[126:127], v[10:11]
	v_mul_f64_e32 v[10:11], v[128:129], v[10:11]
	v_add_f64_e32 v[136:137], v[148:149], v[146:147]
	v_add_f64_e32 v[130:131], v[130:131], v[172:173]
	v_fmac_f64_e32 v[150:151], v[6:7], v[166:167]
	v_fma_f64 v[140:141], v[4:5], v[166:167], -v[152:153]
	v_fmac_f64_e32 v[138:139], v[128:129], v[8:9]
	v_fma_f64 v[8:9], v[126:127], v[8:9], -v[10:11]
	v_add_f64_e32 v[134:135], v[136:137], v[134:135]
	v_add_f64_e32 v[136:137], v[130:131], v[132:133]
	ds_load_b128 v[4:7], v2 offset:1504
	ds_load_b128 v[130:133], v2 offset:1520
	;; [unrolled: 16-line block ×4, first 2 shown]
	s_wait_loadcnt_dscnt 0x101
	v_mul_f64_e32 v[2:3], v[4:5], v[144:145]
	v_mul_f64_e32 v[128:129], v[6:7], v[144:145]
	v_add_f64_e32 v[10:11], v[18:19], v[134:135]
	v_add_f64_e32 v[12:13], v[126:127], v[138:139]
	s_wait_loadcnt_dscnt 0x0
	v_mul_f64_e32 v[18:19], v[14:15], v[22:23]
	v_mul_f64_e32 v[22:23], v[16:17], v[22:23]
	v_fmac_f64_e32 v[2:3], v[6:7], v[142:143]
	v_fma_f64 v[4:5], v[4:5], v[142:143], -v[128:129]
	v_add_f64_e32 v[6:7], v[10:11], v[8:9]
	v_add_f64_e32 v[8:9], v[12:13], v[130:131]
	v_fmac_f64_e32 v[18:19], v[16:17], v[20:21]
	v_fma_f64 v[10:11], v[14:15], v[20:21], -v[22:23]
	s_delay_alu instid0(VALU_DEP_4) | instskip(NEXT) | instid1(VALU_DEP_4)
	v_add_f64_e32 v[4:5], v[6:7], v[4:5]
	v_add_f64_e32 v[2:3], v[8:9], v[2:3]
	s_delay_alu instid0(VALU_DEP_2) | instskip(NEXT) | instid1(VALU_DEP_2)
	v_add_f64_e32 v[4:5], v[4:5], v[10:11]
	v_add_f64_e32 v[6:7], v[2:3], v[18:19]
	s_delay_alu instid0(VALU_DEP_2) | instskip(NEXT) | instid1(VALU_DEP_2)
	v_add_f64_e64 v[2:3], v[158:159], -v[4:5]
	v_add_f64_e64 v[4:5], v[160:161], -v[6:7]
	scratch_store_b128 off, v[2:5], off offset:80
	s_wait_xcnt 0x0
	v_cmpx_lt_u32_e32 4, v1
	s_cbranch_execz .LBB113_305
; %bb.304:
	scratch_load_b128 v[2:5], off, s12
	v_mov_b32_e32 v6, 0
	s_delay_alu instid0(VALU_DEP_1)
	v_dual_mov_b32 v7, v6 :: v_dual_mov_b32 v8, v6
	v_mov_b32_e32 v9, v6
	scratch_store_b128 off, v[6:9], off offset:64
	s_wait_loadcnt 0x0
	ds_store_b128 v124, v[2:5]
.LBB113_305:
	s_wait_xcnt 0x0
	s_or_b32 exec_lo, exec_lo, s2
	s_wait_storecnt_dscnt 0x0
	s_barrier_signal -1
	s_barrier_wait -1
	s_clause 0x9
	scratch_load_b128 v[4:7], off, off offset:80
	scratch_load_b128 v[8:11], off, off offset:96
	;; [unrolled: 1-line block ×10, first 2 shown]
	v_mov_b32_e32 v2, 0
	s_mov_b32 s2, exec_lo
	ds_load_b128 v[146:149], v2 offset:880
	s_clause 0x2
	scratch_load_b128 v[150:153], off, off offset:240
	scratch_load_b128 v[154:157], off, off offset:64
	;; [unrolled: 1-line block ×3, first 2 shown]
	s_wait_loadcnt_dscnt 0xc00
	v_mul_f64_e32 v[166:167], v[148:149], v[6:7]
	v_mul_f64_e32 v[170:171], v[146:147], v[6:7]
	ds_load_b128 v[158:161], v2 offset:896
	v_fma_f64 v[174:175], v[146:147], v[4:5], -v[166:167]
	v_fmac_f64_e32 v[170:171], v[148:149], v[4:5]
	ds_load_b128 v[4:7], v2 offset:912
	s_wait_loadcnt_dscnt 0xb01
	v_mul_f64_e32 v[172:173], v[158:159], v[10:11]
	v_mul_f64_e32 v[10:11], v[160:161], v[10:11]
	scratch_load_b128 v[146:149], off, off offset:272
	ds_load_b128 v[166:169], v2 offset:928
	s_wait_loadcnt_dscnt 0xb01
	v_mul_f64_e32 v[176:177], v[4:5], v[14:15]
	v_mul_f64_e32 v[14:15], v[6:7], v[14:15]
	v_add_f64_e32 v[170:171], 0, v[170:171]
	v_fmac_f64_e32 v[172:173], v[160:161], v[8:9]
	v_fma_f64 v[158:159], v[158:159], v[8:9], -v[10:11]
	v_add_f64_e32 v[160:161], 0, v[174:175]
	scratch_load_b128 v[8:11], off, off offset:288
	v_fmac_f64_e32 v[176:177], v[6:7], v[12:13]
	v_fma_f64 v[178:179], v[4:5], v[12:13], -v[14:15]
	ds_load_b128 v[4:7], v2 offset:944
	s_wait_loadcnt_dscnt 0xb01
	v_mul_f64_e32 v[174:175], v[166:167], v[18:19]
	v_mul_f64_e32 v[18:19], v[168:169], v[18:19]
	scratch_load_b128 v[12:15], off, off offset:304
	v_add_f64_e32 v[170:171], v[170:171], v[172:173]
	v_add_f64_e32 v[180:181], v[160:161], v[158:159]
	ds_load_b128 v[158:161], v2 offset:960
	s_wait_loadcnt_dscnt 0xb01
	v_mul_f64_e32 v[172:173], v[4:5], v[22:23]
	v_mul_f64_e32 v[22:23], v[6:7], v[22:23]
	v_fmac_f64_e32 v[174:175], v[168:169], v[16:17]
	v_fma_f64 v[166:167], v[166:167], v[16:17], -v[18:19]
	scratch_load_b128 v[16:19], off, off offset:320
	v_add_f64_e32 v[170:171], v[170:171], v[176:177]
	v_add_f64_e32 v[168:169], v[180:181], v[178:179]
	v_fmac_f64_e32 v[172:173], v[6:7], v[20:21]
	v_fma_f64 v[178:179], v[4:5], v[20:21], -v[22:23]
	ds_load_b128 v[4:7], v2 offset:976
	s_wait_loadcnt_dscnt 0xb01
	v_mul_f64_e32 v[176:177], v[158:159], v[128:129]
	v_mul_f64_e32 v[128:129], v[160:161], v[128:129]
	scratch_load_b128 v[20:23], off, off offset:336
	v_add_f64_e32 v[170:171], v[170:171], v[174:175]
	s_wait_loadcnt_dscnt 0xb00
	v_mul_f64_e32 v[174:175], v[4:5], v[132:133]
	v_add_f64_e32 v[180:181], v[168:169], v[166:167]
	v_mul_f64_e32 v[132:133], v[6:7], v[132:133]
	ds_load_b128 v[166:169], v2 offset:992
	v_fmac_f64_e32 v[176:177], v[160:161], v[126:127]
	v_fma_f64 v[158:159], v[158:159], v[126:127], -v[128:129]
	scratch_load_b128 v[126:129], off, off offset:352
	v_add_f64_e32 v[170:171], v[170:171], v[172:173]
	v_fmac_f64_e32 v[174:175], v[6:7], v[130:131]
	v_add_f64_e32 v[160:161], v[180:181], v[178:179]
	v_fma_f64 v[178:179], v[4:5], v[130:131], -v[132:133]
	ds_load_b128 v[4:7], v2 offset:1008
	s_wait_loadcnt_dscnt 0xb01
	v_mul_f64_e32 v[172:173], v[166:167], v[136:137]
	v_mul_f64_e32 v[136:137], v[168:169], v[136:137]
	scratch_load_b128 v[130:133], off, off offset:368
	v_add_f64_e32 v[170:171], v[170:171], v[176:177]
	s_wait_loadcnt_dscnt 0xb00
	v_mul_f64_e32 v[176:177], v[4:5], v[140:141]
	v_add_f64_e32 v[180:181], v[160:161], v[158:159]
	v_mul_f64_e32 v[140:141], v[6:7], v[140:141]
	ds_load_b128 v[158:161], v2 offset:1024
	v_fmac_f64_e32 v[172:173], v[168:169], v[134:135]
	v_fma_f64 v[166:167], v[166:167], v[134:135], -v[136:137]
	scratch_load_b128 v[134:137], off, off offset:384
	v_add_f64_e32 v[170:171], v[170:171], v[174:175]
	v_fmac_f64_e32 v[176:177], v[6:7], v[138:139]
	v_add_f64_e32 v[168:169], v[180:181], v[178:179]
	;; [unrolled: 18-line block ×3, first 2 shown]
	v_fma_f64 v[178:179], v[4:5], v[150:151], -v[152:153]
	ds_load_b128 v[4:7], v2 offset:1072
	s_wait_loadcnt_dscnt 0xa01
	v_mul_f64_e32 v[176:177], v[166:167], v[164:165]
	v_mul_f64_e32 v[164:165], v[168:169], v[164:165]
	scratch_load_b128 v[150:153], off, off offset:432
	v_add_f64_e32 v[170:171], v[170:171], v[174:175]
	v_add_f64_e32 v[180:181], v[160:161], v[158:159]
	s_wait_loadcnt_dscnt 0xa00
	v_mul_f64_e32 v[174:175], v[4:5], v[148:149]
	v_mul_f64_e32 v[148:149], v[6:7], v[148:149]
	v_fmac_f64_e32 v[176:177], v[168:169], v[162:163]
	v_fma_f64 v[166:167], v[166:167], v[162:163], -v[164:165]
	ds_load_b128 v[158:161], v2 offset:1088
	scratch_load_b128 v[162:165], off, off offset:448
	v_add_f64_e32 v[170:171], v[170:171], v[172:173]
	v_add_f64_e32 v[168:169], v[180:181], v[178:179]
	v_fmac_f64_e32 v[174:175], v[6:7], v[146:147]
	v_fma_f64 v[178:179], v[4:5], v[146:147], -v[148:149]
	ds_load_b128 v[4:7], v2 offset:1104
	s_wait_loadcnt_dscnt 0xa01
	v_mul_f64_e32 v[172:173], v[158:159], v[10:11]
	v_mul_f64_e32 v[10:11], v[160:161], v[10:11]
	scratch_load_b128 v[146:149], off, off offset:464
	v_add_f64_e32 v[170:171], v[170:171], v[176:177]
	s_wait_loadcnt_dscnt 0xa00
	v_mul_f64_e32 v[176:177], v[4:5], v[14:15]
	v_add_f64_e32 v[180:181], v[168:169], v[166:167]
	v_mul_f64_e32 v[14:15], v[6:7], v[14:15]
	ds_load_b128 v[166:169], v2 offset:1120
	v_fmac_f64_e32 v[172:173], v[160:161], v[8:9]
	v_fma_f64 v[158:159], v[158:159], v[8:9], -v[10:11]
	scratch_load_b128 v[8:11], off, off offset:480
	v_add_f64_e32 v[170:171], v[170:171], v[174:175]
	v_fmac_f64_e32 v[176:177], v[6:7], v[12:13]
	v_add_f64_e32 v[160:161], v[180:181], v[178:179]
	v_fma_f64 v[178:179], v[4:5], v[12:13], -v[14:15]
	ds_load_b128 v[4:7], v2 offset:1136
	s_wait_loadcnt_dscnt 0xa01
	v_mul_f64_e32 v[174:175], v[166:167], v[18:19]
	v_mul_f64_e32 v[18:19], v[168:169], v[18:19]
	scratch_load_b128 v[12:15], off, off offset:496
	v_add_f64_e32 v[170:171], v[170:171], v[172:173]
	s_wait_loadcnt_dscnt 0xa00
	v_mul_f64_e32 v[172:173], v[4:5], v[22:23]
	v_add_f64_e32 v[180:181], v[160:161], v[158:159]
	v_mul_f64_e32 v[22:23], v[6:7], v[22:23]
	ds_load_b128 v[158:161], v2 offset:1152
	v_fmac_f64_e32 v[174:175], v[168:169], v[16:17]
	v_fma_f64 v[166:167], v[166:167], v[16:17], -v[18:19]
	scratch_load_b128 v[16:19], off, off offset:512
	v_add_f64_e32 v[170:171], v[170:171], v[176:177]
	v_fmac_f64_e32 v[172:173], v[6:7], v[20:21]
	v_add_f64_e32 v[168:169], v[180:181], v[178:179]
	;; [unrolled: 18-line block ×10, first 2 shown]
	v_fma_f64 v[178:179], v[4:5], v[138:139], -v[140:141]
	ds_load_b128 v[4:7], v2 offset:1424
	s_wait_loadcnt_dscnt 0xa01
	v_mul_f64_e32 v[174:175], v[158:159], v[144:145]
	v_mul_f64_e32 v[144:145], v[160:161], v[144:145]
	scratch_load_b128 v[138:141], off, off offset:784
	v_add_f64_e32 v[170:171], v[170:171], v[172:173]
	s_wait_loadcnt_dscnt 0xa00
	v_mul_f64_e32 v[172:173], v[4:5], v[152:153]
	v_add_f64_e32 v[180:181], v[168:169], v[166:167]
	v_mul_f64_e32 v[152:153], v[6:7], v[152:153]
	ds_load_b128 v[166:169], v2 offset:1440
	v_fmac_f64_e32 v[174:175], v[160:161], v[142:143]
	v_fma_f64 v[142:143], v[158:159], v[142:143], -v[144:145]
	s_wait_loadcnt_dscnt 0x900
	v_mul_f64_e32 v[160:161], v[166:167], v[164:165]
	v_mul_f64_e32 v[164:165], v[168:169], v[164:165]
	v_add_f64_e32 v[158:159], v[170:171], v[176:177]
	v_fmac_f64_e32 v[172:173], v[6:7], v[150:151]
	v_add_f64_e32 v[144:145], v[180:181], v[178:179]
	v_fma_f64 v[150:151], v[4:5], v[150:151], -v[152:153]
	v_fmac_f64_e32 v[160:161], v[168:169], v[162:163]
	v_fma_f64 v[162:163], v[166:167], v[162:163], -v[164:165]
	v_add_f64_e32 v[158:159], v[158:159], v[174:175]
	v_add_f64_e32 v[152:153], v[144:145], v[142:143]
	ds_load_b128 v[4:7], v2 offset:1456
	ds_load_b128 v[142:145], v2 offset:1472
	s_wait_loadcnt_dscnt 0x801
	v_mul_f64_e32 v[170:171], v[4:5], v[148:149]
	v_mul_f64_e32 v[148:149], v[6:7], v[148:149]
	v_add_f64_e32 v[150:151], v[152:153], v[150:151]
	v_add_f64_e32 v[152:153], v[158:159], v[172:173]
	s_wait_loadcnt_dscnt 0x700
	v_mul_f64_e32 v[158:159], v[142:143], v[10:11]
	v_mul_f64_e32 v[10:11], v[144:145], v[10:11]
	v_fmac_f64_e32 v[170:171], v[6:7], v[146:147]
	v_fma_f64 v[164:165], v[4:5], v[146:147], -v[148:149]
	ds_load_b128 v[4:7], v2 offset:1488
	ds_load_b128 v[146:149], v2 offset:1504
	v_add_f64_e32 v[150:151], v[150:151], v[162:163]
	v_add_f64_e32 v[152:153], v[152:153], v[160:161]
	v_fmac_f64_e32 v[158:159], v[144:145], v[8:9]
	v_fma_f64 v[8:9], v[142:143], v[8:9], -v[10:11]
	s_wait_loadcnt_dscnt 0x601
	v_mul_f64_e32 v[160:161], v[4:5], v[14:15]
	v_mul_f64_e32 v[14:15], v[6:7], v[14:15]
	s_wait_loadcnt_dscnt 0x500
	v_mul_f64_e32 v[144:145], v[146:147], v[18:19]
	v_mul_f64_e32 v[18:19], v[148:149], v[18:19]
	v_add_f64_e32 v[10:11], v[150:151], v[164:165]
	v_add_f64_e32 v[142:143], v[152:153], v[170:171]
	v_fmac_f64_e32 v[160:161], v[6:7], v[12:13]
	v_fma_f64 v[12:13], v[4:5], v[12:13], -v[14:15]
	v_fmac_f64_e32 v[144:145], v[148:149], v[16:17]
	v_fma_f64 v[16:17], v[146:147], v[16:17], -v[18:19]
	v_add_f64_e32 v[14:15], v[10:11], v[8:9]
	v_add_f64_e32 v[142:143], v[142:143], v[158:159]
	ds_load_b128 v[4:7], v2 offset:1520
	ds_load_b128 v[8:11], v2 offset:1536
	s_wait_loadcnt_dscnt 0x401
	v_mul_f64_e32 v[150:151], v[4:5], v[22:23]
	v_mul_f64_e32 v[22:23], v[6:7], v[22:23]
	s_wait_loadcnt_dscnt 0x300
	v_mul_f64_e32 v[18:19], v[8:9], v[128:129]
	v_mul_f64_e32 v[128:129], v[10:11], v[128:129]
	v_add_f64_e32 v[12:13], v[14:15], v[12:13]
	v_add_f64_e32 v[14:15], v[142:143], v[160:161]
	v_fmac_f64_e32 v[150:151], v[6:7], v[20:21]
	v_fma_f64 v[20:21], v[4:5], v[20:21], -v[22:23]
	v_fmac_f64_e32 v[18:19], v[10:11], v[126:127]
	v_fma_f64 v[8:9], v[8:9], v[126:127], -v[128:129]
	v_add_f64_e32 v[16:17], v[12:13], v[16:17]
	v_add_f64_e32 v[22:23], v[14:15], v[144:145]
	ds_load_b128 v[4:7], v2 offset:1552
	ds_load_b128 v[12:15], v2 offset:1568
	s_wait_loadcnt_dscnt 0x201
	v_mul_f64_e32 v[142:143], v[4:5], v[132:133]
	v_mul_f64_e32 v[132:133], v[6:7], v[132:133]
	v_add_f64_e32 v[10:11], v[16:17], v[20:21]
	v_add_f64_e32 v[16:17], v[22:23], v[150:151]
	s_wait_loadcnt_dscnt 0x100
	v_mul_f64_e32 v[20:21], v[12:13], v[136:137]
	v_mul_f64_e32 v[22:23], v[14:15], v[136:137]
	v_fmac_f64_e32 v[142:143], v[6:7], v[130:131]
	v_fma_f64 v[126:127], v[4:5], v[130:131], -v[132:133]
	ds_load_b128 v[4:7], v2 offset:1584
	v_add_f64_e32 v[8:9], v[10:11], v[8:9]
	v_add_f64_e32 v[10:11], v[16:17], v[18:19]
	v_fmac_f64_e32 v[20:21], v[14:15], v[134:135]
	v_fma_f64 v[12:13], v[12:13], v[134:135], -v[22:23]
	s_wait_loadcnt_dscnt 0x0
	v_mul_f64_e32 v[16:17], v[4:5], v[140:141]
	v_mul_f64_e32 v[18:19], v[6:7], v[140:141]
	v_add_f64_e32 v[8:9], v[8:9], v[126:127]
	v_add_f64_e32 v[10:11], v[10:11], v[142:143]
	s_delay_alu instid0(VALU_DEP_4) | instskip(NEXT) | instid1(VALU_DEP_4)
	v_fmac_f64_e32 v[16:17], v[6:7], v[138:139]
	v_fma_f64 v[4:5], v[4:5], v[138:139], -v[18:19]
	s_delay_alu instid0(VALU_DEP_4) | instskip(NEXT) | instid1(VALU_DEP_4)
	v_add_f64_e32 v[6:7], v[8:9], v[12:13]
	v_add_f64_e32 v[8:9], v[10:11], v[20:21]
	s_delay_alu instid0(VALU_DEP_2) | instskip(NEXT) | instid1(VALU_DEP_2)
	v_add_f64_e32 v[4:5], v[6:7], v[4:5]
	v_add_f64_e32 v[6:7], v[8:9], v[16:17]
	s_delay_alu instid0(VALU_DEP_2) | instskip(NEXT) | instid1(VALU_DEP_2)
	v_add_f64_e64 v[4:5], v[154:155], -v[4:5]
	v_add_f64_e64 v[6:7], v[156:157], -v[6:7]
	scratch_store_b128 off, v[4:7], off offset:64
	s_wait_xcnt 0x0
	v_cmpx_lt_u32_e32 3, v1
	s_cbranch_execz .LBB113_307
; %bb.306:
	scratch_load_b128 v[6:9], off, s14
	v_dual_mov_b32 v3, v2 :: v_dual_mov_b32 v4, v2
	v_mov_b32_e32 v5, v2
	scratch_store_b128 off, v[2:5], off offset:48
	s_wait_loadcnt 0x0
	ds_store_b128 v124, v[6:9]
.LBB113_307:
	s_wait_xcnt 0x0
	s_or_b32 exec_lo, exec_lo, s2
	s_wait_storecnt_dscnt 0x0
	s_barrier_signal -1
	s_barrier_wait -1
	s_clause 0x9
	scratch_load_b128 v[4:7], off, off offset:64
	scratch_load_b128 v[8:11], off, off offset:80
	;; [unrolled: 1-line block ×10, first 2 shown]
	ds_load_b128 v[146:149], v2 offset:864
	ds_load_b128 v[154:157], v2 offset:880
	s_clause 0x2
	scratch_load_b128 v[150:153], off, off offset:224
	scratch_load_b128 v[158:161], off, off offset:48
	;; [unrolled: 1-line block ×3, first 2 shown]
	s_mov_b32 s2, exec_lo
	s_wait_loadcnt_dscnt 0xc01
	v_mul_f64_e32 v[166:167], v[148:149], v[6:7]
	v_mul_f64_e32 v[170:171], v[146:147], v[6:7]
	s_wait_loadcnt_dscnt 0xb00
	v_mul_f64_e32 v[172:173], v[154:155], v[10:11]
	v_mul_f64_e32 v[10:11], v[156:157], v[10:11]
	s_delay_alu instid0(VALU_DEP_4) | instskip(NEXT) | instid1(VALU_DEP_4)
	v_fma_f64 v[174:175], v[146:147], v[4:5], -v[166:167]
	v_fmac_f64_e32 v[170:171], v[148:149], v[4:5]
	ds_load_b128 v[4:7], v2 offset:896
	ds_load_b128 v[146:149], v2 offset:912
	scratch_load_b128 v[166:169], off, off offset:256
	v_fmac_f64_e32 v[172:173], v[156:157], v[8:9]
	v_fma_f64 v[154:155], v[154:155], v[8:9], -v[10:11]
	scratch_load_b128 v[8:11], off, off offset:272
	s_wait_loadcnt_dscnt 0xc01
	v_mul_f64_e32 v[176:177], v[4:5], v[14:15]
	v_mul_f64_e32 v[14:15], v[6:7], v[14:15]
	v_add_f64_e32 v[156:157], 0, v[174:175]
	v_add_f64_e32 v[170:171], 0, v[170:171]
	s_wait_loadcnt_dscnt 0xb00
	v_mul_f64_e32 v[174:175], v[146:147], v[18:19]
	v_mul_f64_e32 v[18:19], v[148:149], v[18:19]
	v_fmac_f64_e32 v[176:177], v[6:7], v[12:13]
	v_fma_f64 v[178:179], v[4:5], v[12:13], -v[14:15]
	ds_load_b128 v[4:7], v2 offset:928
	ds_load_b128 v[12:15], v2 offset:944
	v_add_f64_e32 v[180:181], v[156:157], v[154:155]
	v_add_f64_e32 v[170:171], v[170:171], v[172:173]
	scratch_load_b128 v[154:157], off, off offset:288
	v_fmac_f64_e32 v[174:175], v[148:149], v[16:17]
	v_fma_f64 v[146:147], v[146:147], v[16:17], -v[18:19]
	scratch_load_b128 v[16:19], off, off offset:304
	s_wait_loadcnt_dscnt 0xc01
	v_mul_f64_e32 v[172:173], v[4:5], v[22:23]
	v_mul_f64_e32 v[22:23], v[6:7], v[22:23]
	v_add_f64_e32 v[148:149], v[180:181], v[178:179]
	v_add_f64_e32 v[170:171], v[170:171], v[176:177]
	s_wait_loadcnt_dscnt 0xb00
	v_mul_f64_e32 v[176:177], v[12:13], v[128:129]
	v_mul_f64_e32 v[128:129], v[14:15], v[128:129]
	v_fmac_f64_e32 v[172:173], v[6:7], v[20:21]
	v_fma_f64 v[178:179], v[4:5], v[20:21], -v[22:23]
	ds_load_b128 v[4:7], v2 offset:960
	ds_load_b128 v[20:23], v2 offset:976
	v_add_f64_e32 v[180:181], v[148:149], v[146:147]
	v_add_f64_e32 v[170:171], v[170:171], v[174:175]
	scratch_load_b128 v[146:149], off, off offset:320
	s_wait_loadcnt_dscnt 0xb01
	v_mul_f64_e32 v[174:175], v[4:5], v[132:133]
	v_mul_f64_e32 v[132:133], v[6:7], v[132:133]
	v_fmac_f64_e32 v[176:177], v[14:15], v[126:127]
	v_fma_f64 v[126:127], v[12:13], v[126:127], -v[128:129]
	scratch_load_b128 v[12:15], off, off offset:336
	v_add_f64_e32 v[128:129], v[180:181], v[178:179]
	v_add_f64_e32 v[170:171], v[170:171], v[172:173]
	s_wait_loadcnt_dscnt 0xb00
	v_mul_f64_e32 v[172:173], v[20:21], v[136:137]
	v_mul_f64_e32 v[136:137], v[22:23], v[136:137]
	v_fmac_f64_e32 v[174:175], v[6:7], v[130:131]
	v_fma_f64 v[178:179], v[4:5], v[130:131], -v[132:133]
	v_add_f64_e32 v[180:181], v[128:129], v[126:127]
	v_add_f64_e32 v[170:171], v[170:171], v[176:177]
	ds_load_b128 v[4:7], v2 offset:992
	ds_load_b128 v[126:129], v2 offset:1008
	scratch_load_b128 v[130:133], off, off offset:352
	v_fmac_f64_e32 v[172:173], v[22:23], v[134:135]
	v_fma_f64 v[134:135], v[20:21], v[134:135], -v[136:137]
	scratch_load_b128 v[20:23], off, off offset:368
	s_wait_loadcnt_dscnt 0xc01
	v_mul_f64_e32 v[176:177], v[4:5], v[140:141]
	v_mul_f64_e32 v[140:141], v[6:7], v[140:141]
	v_add_f64_e32 v[136:137], v[180:181], v[178:179]
	v_add_f64_e32 v[170:171], v[170:171], v[174:175]
	s_wait_loadcnt_dscnt 0xb00
	v_mul_f64_e32 v[174:175], v[126:127], v[144:145]
	v_mul_f64_e32 v[144:145], v[128:129], v[144:145]
	v_fmac_f64_e32 v[176:177], v[6:7], v[138:139]
	v_fma_f64 v[178:179], v[4:5], v[138:139], -v[140:141]
	v_add_f64_e32 v[180:181], v[136:137], v[134:135]
	v_add_f64_e32 v[170:171], v[170:171], v[172:173]
	ds_load_b128 v[4:7], v2 offset:1024
	ds_load_b128 v[134:137], v2 offset:1040
	scratch_load_b128 v[138:141], off, off offset:384
	v_fmac_f64_e32 v[174:175], v[128:129], v[142:143]
	v_fma_f64 v[142:143], v[126:127], v[142:143], -v[144:145]
	scratch_load_b128 v[126:129], off, off offset:400
	s_wait_loadcnt_dscnt 0xc01
	v_mul_f64_e32 v[172:173], v[4:5], v[152:153]
	v_mul_f64_e32 v[152:153], v[6:7], v[152:153]
	;; [unrolled: 18-line block ×5, first 2 shown]
	v_add_f64_e32 v[164:165], v[180:181], v[178:179]
	v_add_f64_e32 v[170:171], v[170:171], v[176:177]
	s_wait_loadcnt_dscnt 0xa00
	v_mul_f64_e32 v[176:177], v[142:143], v[14:15]
	v_mul_f64_e32 v[14:15], v[144:145], v[14:15]
	v_fmac_f64_e32 v[172:173], v[6:7], v[146:147]
	v_fma_f64 v[178:179], v[4:5], v[146:147], -v[148:149]
	ds_load_b128 v[4:7], v2 offset:1152
	ds_load_b128 v[146:149], v2 offset:1168
	v_add_f64_e32 v[180:181], v[164:165], v[162:163]
	v_add_f64_e32 v[170:171], v[170:171], v[174:175]
	scratch_load_b128 v[162:165], off, off offset:512
	v_fmac_f64_e32 v[176:177], v[144:145], v[12:13]
	v_fma_f64 v[142:143], v[142:143], v[12:13], -v[14:15]
	scratch_load_b128 v[12:15], off, off offset:528
	s_wait_loadcnt_dscnt 0xb01
	v_mul_f64_e32 v[174:175], v[4:5], v[132:133]
	v_mul_f64_e32 v[132:133], v[6:7], v[132:133]
	v_add_f64_e32 v[144:145], v[180:181], v[178:179]
	v_add_f64_e32 v[170:171], v[170:171], v[172:173]
	s_wait_loadcnt_dscnt 0xa00
	v_mul_f64_e32 v[172:173], v[146:147], v[22:23]
	v_mul_f64_e32 v[22:23], v[148:149], v[22:23]
	v_fmac_f64_e32 v[174:175], v[6:7], v[130:131]
	v_fma_f64 v[178:179], v[4:5], v[130:131], -v[132:133]
	ds_load_b128 v[4:7], v2 offset:1184
	ds_load_b128 v[130:133], v2 offset:1200
	v_add_f64_e32 v[180:181], v[144:145], v[142:143]
	v_add_f64_e32 v[170:171], v[170:171], v[176:177]
	scratch_load_b128 v[142:145], off, off offset:544
	s_wait_loadcnt_dscnt 0xa01
	v_mul_f64_e32 v[176:177], v[4:5], v[140:141]
	v_mul_f64_e32 v[140:141], v[6:7], v[140:141]
	v_fmac_f64_e32 v[172:173], v[148:149], v[20:21]
	v_fma_f64 v[146:147], v[146:147], v[20:21], -v[22:23]
	scratch_load_b128 v[20:23], off, off offset:560
	v_add_f64_e32 v[148:149], v[180:181], v[178:179]
	v_add_f64_e32 v[170:171], v[170:171], v[174:175]
	s_wait_loadcnt_dscnt 0xa00
	v_mul_f64_e32 v[174:175], v[130:131], v[128:129]
	v_mul_f64_e32 v[128:129], v[132:133], v[128:129]
	v_fmac_f64_e32 v[176:177], v[6:7], v[138:139]
	v_fma_f64 v[178:179], v[4:5], v[138:139], -v[140:141]
	ds_load_b128 v[4:7], v2 offset:1216
	ds_load_b128 v[138:141], v2 offset:1232
	v_add_f64_e32 v[180:181], v[148:149], v[146:147]
	v_add_f64_e32 v[170:171], v[170:171], v[172:173]
	scratch_load_b128 v[146:149], off, off offset:576
	s_wait_loadcnt_dscnt 0xa01
	v_mul_f64_e32 v[172:173], v[4:5], v[152:153]
	v_mul_f64_e32 v[152:153], v[6:7], v[152:153]
	v_fmac_f64_e32 v[174:175], v[132:133], v[126:127]
	v_fma_f64 v[130:131], v[130:131], v[126:127], -v[128:129]
	scratch_load_b128 v[126:129], off, off offset:592
	v_add_f64_e32 v[132:133], v[180:181], v[178:179]
	v_add_f64_e32 v[170:171], v[170:171], v[176:177]
	s_wait_loadcnt_dscnt 0xa00
	v_mul_f64_e32 v[176:177], v[138:139], v[136:137]
	v_mul_f64_e32 v[136:137], v[140:141], v[136:137]
	v_fmac_f64_e32 v[172:173], v[6:7], v[150:151]
	v_fma_f64 v[178:179], v[4:5], v[150:151], -v[152:153]
	v_add_f64_e32 v[180:181], v[132:133], v[130:131]
	v_add_f64_e32 v[170:171], v[170:171], v[174:175]
	ds_load_b128 v[4:7], v2 offset:1248
	ds_load_b128 v[130:133], v2 offset:1264
	scratch_load_b128 v[150:153], off, off offset:608
	v_fmac_f64_e32 v[176:177], v[140:141], v[134:135]
	v_fma_f64 v[138:139], v[138:139], v[134:135], -v[136:137]
	scratch_load_b128 v[134:137], off, off offset:624
	s_wait_loadcnt_dscnt 0xb01
	v_mul_f64_e32 v[174:175], v[4:5], v[168:169]
	v_mul_f64_e32 v[168:169], v[6:7], v[168:169]
	v_add_f64_e32 v[140:141], v[180:181], v[178:179]
	v_add_f64_e32 v[170:171], v[170:171], v[172:173]
	s_wait_loadcnt_dscnt 0xa00
	v_mul_f64_e32 v[172:173], v[130:131], v[10:11]
	v_mul_f64_e32 v[10:11], v[132:133], v[10:11]
	v_fmac_f64_e32 v[174:175], v[6:7], v[166:167]
	v_fma_f64 v[178:179], v[4:5], v[166:167], -v[168:169]
	v_add_f64_e32 v[180:181], v[140:141], v[138:139]
	v_add_f64_e32 v[170:171], v[170:171], v[176:177]
	ds_load_b128 v[4:7], v2 offset:1280
	ds_load_b128 v[138:141], v2 offset:1296
	scratch_load_b128 v[166:169], off, off offset:640
	v_fmac_f64_e32 v[172:173], v[132:133], v[8:9]
	v_fma_f64 v[130:131], v[130:131], v[8:9], -v[10:11]
	scratch_load_b128 v[8:11], off, off offset:656
	s_wait_loadcnt_dscnt 0xb01
	v_mul_f64_e32 v[176:177], v[4:5], v[156:157]
	v_mul_f64_e32 v[156:157], v[6:7], v[156:157]
	;; [unrolled: 18-line block ×6, first 2 shown]
	v_add_f64_e32 v[132:133], v[180:181], v[178:179]
	v_add_f64_e32 v[170:171], v[170:171], v[176:177]
	s_wait_loadcnt_dscnt 0xa00
	v_mul_f64_e32 v[176:177], v[138:139], v[136:137]
	v_mul_f64_e32 v[136:137], v[140:141], v[136:137]
	v_fmac_f64_e32 v[172:173], v[6:7], v[150:151]
	v_fma_f64 v[150:151], v[4:5], v[150:151], -v[152:153]
	v_add_f64_e32 v[152:153], v[132:133], v[130:131]
	v_add_f64_e32 v[170:171], v[170:171], v[174:175]
	ds_load_b128 v[4:7], v2 offset:1440
	ds_load_b128 v[130:133], v2 offset:1456
	v_fmac_f64_e32 v[176:177], v[140:141], v[134:135]
	v_fma_f64 v[134:135], v[138:139], v[134:135], -v[136:137]
	s_wait_loadcnt_dscnt 0x901
	v_mul_f64_e32 v[174:175], v[4:5], v[168:169]
	v_mul_f64_e32 v[168:169], v[6:7], v[168:169]
	s_wait_loadcnt_dscnt 0x800
	v_mul_f64_e32 v[140:141], v[130:131], v[10:11]
	v_mul_f64_e32 v[10:11], v[132:133], v[10:11]
	v_add_f64_e32 v[136:137], v[152:153], v[150:151]
	v_add_f64_e32 v[138:139], v[170:171], v[172:173]
	v_fmac_f64_e32 v[174:175], v[6:7], v[166:167]
	v_fma_f64 v[150:151], v[4:5], v[166:167], -v[168:169]
	v_fmac_f64_e32 v[140:141], v[132:133], v[8:9]
	v_fma_f64 v[8:9], v[130:131], v[8:9], -v[10:11]
	v_add_f64_e32 v[152:153], v[136:137], v[134:135]
	v_add_f64_e32 v[138:139], v[138:139], v[176:177]
	ds_load_b128 v[4:7], v2 offset:1472
	ds_load_b128 v[134:137], v2 offset:1488
	s_wait_loadcnt_dscnt 0x701
	v_mul_f64_e32 v[166:167], v[4:5], v[156:157]
	v_mul_f64_e32 v[156:157], v[6:7], v[156:157]
	s_wait_loadcnt_dscnt 0x600
	v_mul_f64_e32 v[132:133], v[134:135], v[18:19]
	v_mul_f64_e32 v[18:19], v[136:137], v[18:19]
	v_add_f64_e32 v[10:11], v[152:153], v[150:151]
	v_add_f64_e32 v[130:131], v[138:139], v[174:175]
	v_fmac_f64_e32 v[166:167], v[6:7], v[154:155]
	v_fma_f64 v[138:139], v[4:5], v[154:155], -v[156:157]
	v_fmac_f64_e32 v[132:133], v[136:137], v[16:17]
	v_fma_f64 v[16:17], v[134:135], v[16:17], -v[18:19]
	v_add_f64_e32 v[150:151], v[10:11], v[8:9]
	v_add_f64_e32 v[130:131], v[130:131], v[140:141]
	ds_load_b128 v[4:7], v2 offset:1504
	ds_load_b128 v[8:11], v2 offset:1520
	;; [unrolled: 16-line block ×3, first 2 shown]
	s_wait_loadcnt_dscnt 0x301
	v_mul_f64_e32 v[132:133], v[4:5], v[144:145]
	v_mul_f64_e32 v[144:145], v[6:7], v[144:145]
	v_add_f64_e32 v[10:11], v[18:19], v[138:139]
	v_add_f64_e32 v[12:13], v[130:131], v[140:141]
	s_wait_loadcnt_dscnt 0x200
	v_mul_f64_e32 v[18:19], v[14:15], v[22:23]
	v_mul_f64_e32 v[22:23], v[16:17], v[22:23]
	v_fmac_f64_e32 v[132:133], v[6:7], v[142:143]
	v_fma_f64 v[130:131], v[4:5], v[142:143], -v[144:145]
	v_add_f64_e32 v[136:137], v[10:11], v[8:9]
	v_add_f64_e32 v[12:13], v[12:13], v[134:135]
	ds_load_b128 v[4:7], v2 offset:1568
	ds_load_b128 v[8:11], v2 offset:1584
	v_fmac_f64_e32 v[18:19], v[16:17], v[20:21]
	v_fma_f64 v[14:15], v[14:15], v[20:21], -v[22:23]
	s_wait_loadcnt_dscnt 0x101
	v_mul_f64_e32 v[2:3], v[4:5], v[148:149]
	v_mul_f64_e32 v[134:135], v[6:7], v[148:149]
	s_wait_loadcnt_dscnt 0x0
	v_mul_f64_e32 v[20:21], v[8:9], v[128:129]
	v_mul_f64_e32 v[22:23], v[10:11], v[128:129]
	v_add_f64_e32 v[16:17], v[136:137], v[130:131]
	v_add_f64_e32 v[12:13], v[12:13], v[132:133]
	v_fmac_f64_e32 v[2:3], v[6:7], v[146:147]
	v_fma_f64 v[4:5], v[4:5], v[146:147], -v[134:135]
	v_fmac_f64_e32 v[20:21], v[10:11], v[126:127]
	v_fma_f64 v[8:9], v[8:9], v[126:127], -v[22:23]
	v_add_f64_e32 v[6:7], v[16:17], v[14:15]
	v_add_f64_e32 v[12:13], v[12:13], v[18:19]
	s_delay_alu instid0(VALU_DEP_2) | instskip(NEXT) | instid1(VALU_DEP_2)
	v_add_f64_e32 v[4:5], v[6:7], v[4:5]
	v_add_f64_e32 v[2:3], v[12:13], v[2:3]
	s_delay_alu instid0(VALU_DEP_2) | instskip(NEXT) | instid1(VALU_DEP_2)
	;; [unrolled: 3-line block ×3, first 2 shown]
	v_add_f64_e64 v[2:3], v[158:159], -v[4:5]
	v_add_f64_e64 v[4:5], v[160:161], -v[6:7]
	scratch_store_b128 off, v[2:5], off offset:48
	s_wait_xcnt 0x0
	v_cmpx_lt_u32_e32 2, v1
	s_cbranch_execz .LBB113_309
; %bb.308:
	scratch_load_b128 v[2:5], off, s16
	v_mov_b32_e32 v6, 0
	s_delay_alu instid0(VALU_DEP_1)
	v_dual_mov_b32 v7, v6 :: v_dual_mov_b32 v8, v6
	v_mov_b32_e32 v9, v6
	scratch_store_b128 off, v[6:9], off offset:32
	s_wait_loadcnt 0x0
	ds_store_b128 v124, v[2:5]
.LBB113_309:
	s_wait_xcnt 0x0
	s_or_b32 exec_lo, exec_lo, s2
	s_wait_storecnt_dscnt 0x0
	s_barrier_signal -1
	s_barrier_wait -1
	s_clause 0x9
	scratch_load_b128 v[4:7], off, off offset:48
	scratch_load_b128 v[8:11], off, off offset:64
	;; [unrolled: 1-line block ×10, first 2 shown]
	v_mov_b32_e32 v2, 0
	s_mov_b32 s2, exec_lo
	v_dual_ashrrev_i32 v29, 31, v28 :: v_dual_ashrrev_i32 v31, 31, v30
	v_ashrrev_i32_e32 v33, 31, v32
	ds_load_b128 v[146:149], v2 offset:848
	s_clause 0x2
	scratch_load_b128 v[150:153], off, off offset:208
	scratch_load_b128 v[154:157], off, off offset:32
	;; [unrolled: 1-line block ×3, first 2 shown]
	v_ashrrev_i32_e32 v37, 31, v36
	v_ashrrev_i32_e32 v41, 31, v40
	v_dual_ashrrev_i32 v45, 31, v44 :: v_dual_ashrrev_i32 v35, 31, v34
	v_ashrrev_i32_e32 v49, 31, v48
	v_dual_ashrrev_i32 v53, 31, v52 :: v_dual_ashrrev_i32 v39, 31, v38
	;; [unrolled: 2-line block ×3, first 2 shown]
	v_ashrrev_i32_e32 v65, 31, v64
	v_ashrrev_i32_e32 v69, 31, v68
	v_dual_ashrrev_i32 v73, 31, v72 :: v_dual_ashrrev_i32 v47, 31, v46
	v_dual_ashrrev_i32 v51, 31, v50 :: v_dual_ashrrev_i32 v77, 31, v76
	v_ashrrev_i32_e32 v55, 31, v54
	v_ashrrev_i32_e32 v59, 31, v58
	v_dual_ashrrev_i32 v63, 31, v62 :: v_dual_ashrrev_i32 v81, 31, v80
	v_dual_ashrrev_i32 v85, 31, v84 :: v_dual_ashrrev_i32 v67, 31, v66
	;; [unrolled: 1-line block ×4, first 2 shown]
	v_ashrrev_i32_e32 v79, 31, v78
	v_dual_ashrrev_i32 v83, 31, v82 :: v_dual_ashrrev_i32 v97, 31, v96
	v_dual_ashrrev_i32 v87, 31, v86 :: v_dual_ashrrev_i32 v101, 31, v100
	v_ashrrev_i32_e32 v91, 31, v90
	v_dual_ashrrev_i32 v95, 31, v94 :: v_dual_ashrrev_i32 v105, 31, v104
	v_ashrrev_i32_e32 v109, 31, v108
	v_dual_ashrrev_i32 v113, 31, v112 :: v_dual_ashrrev_i32 v99, 31, v98
	v_dual_ashrrev_i32 v103, 31, v102 :: v_dual_ashrrev_i32 v117, 31, v116
	;; [unrolled: 1-line block ×3, first 2 shown]
	v_ashrrev_i32_e32 v111, 31, v110
	v_ashrrev_i32_e32 v115, 31, v114
	;; [unrolled: 1-line block ×4, first 2 shown]
	s_wait_loadcnt_dscnt 0xc00
	v_mul_f64_e32 v[166:167], v[148:149], v[6:7]
	v_mul_f64_e32 v[170:171], v[146:147], v[6:7]
	ds_load_b128 v[158:161], v2 offset:864
	v_fma_f64 v[174:175], v[146:147], v[4:5], -v[166:167]
	v_fmac_f64_e32 v[170:171], v[148:149], v[4:5]
	ds_load_b128 v[4:7], v2 offset:880
	s_wait_loadcnt_dscnt 0xb01
	v_mul_f64_e32 v[172:173], v[158:159], v[10:11]
	v_mul_f64_e32 v[10:11], v[160:161], v[10:11]
	scratch_load_b128 v[146:149], off, off offset:240
	ds_load_b128 v[166:169], v2 offset:896
	s_wait_loadcnt_dscnt 0xb01
	v_mul_f64_e32 v[176:177], v[4:5], v[14:15]
	v_mul_f64_e32 v[14:15], v[6:7], v[14:15]
	v_add_f64_e32 v[170:171], 0, v[170:171]
	v_fmac_f64_e32 v[172:173], v[160:161], v[8:9]
	v_fma_f64 v[158:159], v[158:159], v[8:9], -v[10:11]
	v_add_f64_e32 v[160:161], 0, v[174:175]
	scratch_load_b128 v[8:11], off, off offset:256
	v_fmac_f64_e32 v[176:177], v[6:7], v[12:13]
	v_fma_f64 v[178:179], v[4:5], v[12:13], -v[14:15]
	ds_load_b128 v[4:7], v2 offset:912
	s_wait_loadcnt_dscnt 0xb01
	v_mul_f64_e32 v[174:175], v[166:167], v[18:19]
	v_mul_f64_e32 v[18:19], v[168:169], v[18:19]
	scratch_load_b128 v[12:15], off, off offset:272
	v_add_f64_e32 v[170:171], v[170:171], v[172:173]
	v_add_f64_e32 v[180:181], v[160:161], v[158:159]
	ds_load_b128 v[158:161], v2 offset:928
	s_wait_loadcnt_dscnt 0xb01
	v_mul_f64_e32 v[172:173], v[4:5], v[22:23]
	v_mul_f64_e32 v[22:23], v[6:7], v[22:23]
	v_fmac_f64_e32 v[174:175], v[168:169], v[16:17]
	v_fma_f64 v[166:167], v[166:167], v[16:17], -v[18:19]
	scratch_load_b128 v[16:19], off, off offset:288
	v_add_f64_e32 v[170:171], v[170:171], v[176:177]
	v_add_f64_e32 v[168:169], v[180:181], v[178:179]
	v_fmac_f64_e32 v[172:173], v[6:7], v[20:21]
	v_fma_f64 v[178:179], v[4:5], v[20:21], -v[22:23]
	ds_load_b128 v[4:7], v2 offset:944
	s_wait_loadcnt_dscnt 0xb01
	v_mul_f64_e32 v[176:177], v[158:159], v[128:129]
	v_mul_f64_e32 v[128:129], v[160:161], v[128:129]
	scratch_load_b128 v[20:23], off, off offset:304
	v_add_f64_e32 v[170:171], v[170:171], v[174:175]
	s_wait_loadcnt_dscnt 0xb00
	v_mul_f64_e32 v[174:175], v[4:5], v[132:133]
	v_add_f64_e32 v[180:181], v[168:169], v[166:167]
	v_mul_f64_e32 v[132:133], v[6:7], v[132:133]
	ds_load_b128 v[166:169], v2 offset:960
	v_fmac_f64_e32 v[176:177], v[160:161], v[126:127]
	v_fma_f64 v[158:159], v[158:159], v[126:127], -v[128:129]
	scratch_load_b128 v[126:129], off, off offset:320
	v_add_f64_e32 v[170:171], v[170:171], v[172:173]
	v_fmac_f64_e32 v[174:175], v[6:7], v[130:131]
	v_add_f64_e32 v[160:161], v[180:181], v[178:179]
	v_fma_f64 v[178:179], v[4:5], v[130:131], -v[132:133]
	ds_load_b128 v[4:7], v2 offset:976
	s_wait_loadcnt_dscnt 0xb01
	v_mul_f64_e32 v[172:173], v[166:167], v[136:137]
	v_mul_f64_e32 v[136:137], v[168:169], v[136:137]
	scratch_load_b128 v[130:133], off, off offset:336
	v_add_f64_e32 v[170:171], v[170:171], v[176:177]
	s_wait_loadcnt_dscnt 0xb00
	v_mul_f64_e32 v[176:177], v[4:5], v[140:141]
	v_add_f64_e32 v[180:181], v[160:161], v[158:159]
	v_mul_f64_e32 v[140:141], v[6:7], v[140:141]
	ds_load_b128 v[158:161], v2 offset:992
	v_fmac_f64_e32 v[172:173], v[168:169], v[134:135]
	v_fma_f64 v[166:167], v[166:167], v[134:135], -v[136:137]
	scratch_load_b128 v[134:137], off, off offset:352
	v_add_f64_e32 v[170:171], v[170:171], v[174:175]
	v_fmac_f64_e32 v[176:177], v[6:7], v[138:139]
	v_add_f64_e32 v[168:169], v[180:181], v[178:179]
	;; [unrolled: 18-line block ×3, first 2 shown]
	v_fma_f64 v[178:179], v[4:5], v[150:151], -v[152:153]
	ds_load_b128 v[4:7], v2 offset:1040
	s_wait_loadcnt_dscnt 0xa01
	v_mul_f64_e32 v[176:177], v[166:167], v[164:165]
	v_mul_f64_e32 v[164:165], v[168:169], v[164:165]
	scratch_load_b128 v[150:153], off, off offset:400
	v_add_f64_e32 v[170:171], v[170:171], v[174:175]
	v_add_f64_e32 v[180:181], v[160:161], v[158:159]
	s_wait_loadcnt_dscnt 0xa00
	v_mul_f64_e32 v[174:175], v[4:5], v[148:149]
	v_mul_f64_e32 v[148:149], v[6:7], v[148:149]
	v_fmac_f64_e32 v[176:177], v[168:169], v[162:163]
	v_fma_f64 v[166:167], v[166:167], v[162:163], -v[164:165]
	ds_load_b128 v[158:161], v2 offset:1056
	scratch_load_b128 v[162:165], off, off offset:416
	v_add_f64_e32 v[170:171], v[170:171], v[172:173]
	v_add_f64_e32 v[168:169], v[180:181], v[178:179]
	v_fmac_f64_e32 v[174:175], v[6:7], v[146:147]
	v_fma_f64 v[178:179], v[4:5], v[146:147], -v[148:149]
	ds_load_b128 v[4:7], v2 offset:1072
	s_wait_loadcnt_dscnt 0xa01
	v_mul_f64_e32 v[172:173], v[158:159], v[10:11]
	v_mul_f64_e32 v[10:11], v[160:161], v[10:11]
	scratch_load_b128 v[146:149], off, off offset:432
	v_add_f64_e32 v[170:171], v[170:171], v[176:177]
	s_wait_loadcnt_dscnt 0xa00
	v_mul_f64_e32 v[176:177], v[4:5], v[14:15]
	v_add_f64_e32 v[180:181], v[168:169], v[166:167]
	v_mul_f64_e32 v[14:15], v[6:7], v[14:15]
	ds_load_b128 v[166:169], v2 offset:1088
	v_fmac_f64_e32 v[172:173], v[160:161], v[8:9]
	v_fma_f64 v[158:159], v[158:159], v[8:9], -v[10:11]
	scratch_load_b128 v[8:11], off, off offset:448
	v_add_f64_e32 v[170:171], v[170:171], v[174:175]
	v_fmac_f64_e32 v[176:177], v[6:7], v[12:13]
	v_add_f64_e32 v[160:161], v[180:181], v[178:179]
	v_fma_f64 v[178:179], v[4:5], v[12:13], -v[14:15]
	ds_load_b128 v[4:7], v2 offset:1104
	s_wait_loadcnt_dscnt 0xa01
	v_mul_f64_e32 v[174:175], v[166:167], v[18:19]
	v_mul_f64_e32 v[18:19], v[168:169], v[18:19]
	scratch_load_b128 v[12:15], off, off offset:464
	v_add_f64_e32 v[170:171], v[170:171], v[172:173]
	s_wait_loadcnt_dscnt 0xa00
	v_mul_f64_e32 v[172:173], v[4:5], v[22:23]
	v_add_f64_e32 v[180:181], v[160:161], v[158:159]
	v_mul_f64_e32 v[22:23], v[6:7], v[22:23]
	ds_load_b128 v[158:161], v2 offset:1120
	v_fmac_f64_e32 v[174:175], v[168:169], v[16:17]
	v_fma_f64 v[166:167], v[166:167], v[16:17], -v[18:19]
	scratch_load_b128 v[16:19], off, off offset:480
	v_add_f64_e32 v[170:171], v[170:171], v[176:177]
	v_fmac_f64_e32 v[172:173], v[6:7], v[20:21]
	v_add_f64_e32 v[168:169], v[180:181], v[178:179]
	;; [unrolled: 18-line block ×11, first 2 shown]
	v_fma_f64 v[178:179], v[4:5], v[150:151], -v[152:153]
	ds_load_b128 v[4:7], v2 offset:1424
	s_wait_loadcnt_dscnt 0xa01
	v_mul_f64_e32 v[176:177], v[166:167], v[164:165]
	v_mul_f64_e32 v[164:165], v[168:169], v[164:165]
	scratch_load_b128 v[150:153], off, off offset:784
	v_add_f64_e32 v[170:171], v[170:171], v[174:175]
	s_wait_loadcnt_dscnt 0xa00
	v_mul_f64_e32 v[174:175], v[4:5], v[148:149]
	v_add_f64_e32 v[180:181], v[160:161], v[158:159]
	v_mul_f64_e32 v[148:149], v[6:7], v[148:149]
	ds_load_b128 v[158:161], v2 offset:1440
	v_fmac_f64_e32 v[176:177], v[168:169], v[162:163]
	v_fma_f64 v[162:163], v[166:167], v[162:163], -v[164:165]
	s_wait_loadcnt_dscnt 0x900
	v_mul_f64_e32 v[168:169], v[158:159], v[10:11]
	v_mul_f64_e32 v[10:11], v[160:161], v[10:11]
	v_add_f64_e32 v[166:167], v[170:171], v[172:173]
	v_fmac_f64_e32 v[174:175], v[6:7], v[146:147]
	v_add_f64_e32 v[164:165], v[180:181], v[178:179]
	v_fma_f64 v[170:171], v[4:5], v[146:147], -v[148:149]
	ds_load_b128 v[4:7], v2 offset:1456
	ds_load_b128 v[146:149], v2 offset:1472
	v_fmac_f64_e32 v[168:169], v[160:161], v[8:9]
	v_fma_f64 v[8:9], v[158:159], v[8:9], -v[10:11]
	v_add_f64_e32 v[162:163], v[164:165], v[162:163]
	v_add_f64_e32 v[164:165], v[166:167], v[176:177]
	s_wait_loadcnt_dscnt 0x801
	v_mul_f64_e32 v[166:167], v[4:5], v[14:15]
	v_mul_f64_e32 v[14:15], v[6:7], v[14:15]
	s_wait_loadcnt_dscnt 0x700
	v_mul_f64_e32 v[160:161], v[146:147], v[18:19]
	v_mul_f64_e32 v[18:19], v[148:149], v[18:19]
	v_add_f64_e32 v[10:11], v[162:163], v[170:171]
	v_add_f64_e32 v[158:159], v[164:165], v[174:175]
	v_fmac_f64_e32 v[166:167], v[6:7], v[12:13]
	v_fma_f64 v[12:13], v[4:5], v[12:13], -v[14:15]
	v_fmac_f64_e32 v[160:161], v[148:149], v[16:17]
	v_fma_f64 v[16:17], v[146:147], v[16:17], -v[18:19]
	v_add_f64_e32 v[14:15], v[10:11], v[8:9]
	v_add_f64_e32 v[158:159], v[158:159], v[168:169]
	ds_load_b128 v[4:7], v2 offset:1488
	ds_load_b128 v[8:11], v2 offset:1504
	s_wait_loadcnt_dscnt 0x601
	v_mul_f64_e32 v[162:163], v[4:5], v[22:23]
	v_mul_f64_e32 v[22:23], v[6:7], v[22:23]
	s_wait_loadcnt_dscnt 0x500
	v_mul_f64_e32 v[18:19], v[8:9], v[128:129]
	v_mul_f64_e32 v[128:129], v[10:11], v[128:129]
	v_add_f64_e32 v[12:13], v[14:15], v[12:13]
	v_add_f64_e32 v[14:15], v[158:159], v[166:167]
	v_fmac_f64_e32 v[162:163], v[6:7], v[20:21]
	v_fma_f64 v[20:21], v[4:5], v[20:21], -v[22:23]
	v_fmac_f64_e32 v[18:19], v[10:11], v[126:127]
	v_fma_f64 v[8:9], v[8:9], v[126:127], -v[128:129]
	v_add_f64_e32 v[16:17], v[12:13], v[16:17]
	v_add_f64_e32 v[22:23], v[14:15], v[160:161]
	ds_load_b128 v[4:7], v2 offset:1520
	ds_load_b128 v[12:15], v2 offset:1536
	s_wait_loadcnt_dscnt 0x401
	v_mul_f64_e32 v[146:147], v[4:5], v[132:133]
	v_mul_f64_e32 v[132:133], v[6:7], v[132:133]
	v_add_f64_e32 v[10:11], v[16:17], v[20:21]
	v_add_f64_e32 v[16:17], v[22:23], v[162:163]
	s_wait_loadcnt_dscnt 0x300
	v_mul_f64_e32 v[20:21], v[12:13], v[136:137]
	v_mul_f64_e32 v[22:23], v[14:15], v[136:137]
	v_fmac_f64_e32 v[146:147], v[6:7], v[130:131]
	v_fma_f64 v[126:127], v[4:5], v[130:131], -v[132:133]
	v_add_f64_e32 v[128:129], v[10:11], v[8:9]
	v_add_f64_e32 v[16:17], v[16:17], v[18:19]
	ds_load_b128 v[4:7], v2 offset:1552
	ds_load_b128 v[8:11], v2 offset:1568
	v_fmac_f64_e32 v[20:21], v[14:15], v[134:135]
	v_fma_f64 v[12:13], v[12:13], v[134:135], -v[22:23]
	s_wait_loadcnt_dscnt 0x201
	v_mul_f64_e32 v[18:19], v[4:5], v[140:141]
	v_mul_f64_e32 v[130:131], v[6:7], v[140:141]
	s_wait_loadcnt_dscnt 0x100
	v_mul_f64_e32 v[22:23], v[8:9], v[144:145]
	v_add_f64_e32 v[14:15], v[128:129], v[126:127]
	v_add_f64_e32 v[16:17], v[16:17], v[146:147]
	v_mul_f64_e32 v[126:127], v[10:11], v[144:145]
	v_fmac_f64_e32 v[18:19], v[6:7], v[138:139]
	v_fma_f64 v[128:129], v[4:5], v[138:139], -v[130:131]
	ds_load_b128 v[4:7], v2 offset:1584
	v_fmac_f64_e32 v[22:23], v[10:11], v[142:143]
	v_add_f64_e32 v[12:13], v[14:15], v[12:13]
	v_add_f64_e32 v[14:15], v[16:17], v[20:21]
	v_fma_f64 v[8:9], v[8:9], v[142:143], -v[126:127]
	s_wait_loadcnt_dscnt 0x0
	v_mul_f64_e32 v[16:17], v[4:5], v[152:153]
	v_mul_f64_e32 v[20:21], v[6:7], v[152:153]
	v_add_f64_e32 v[10:11], v[12:13], v[128:129]
	v_add_f64_e32 v[12:13], v[14:15], v[18:19]
	s_delay_alu instid0(VALU_DEP_4) | instskip(NEXT) | instid1(VALU_DEP_4)
	v_fmac_f64_e32 v[16:17], v[6:7], v[150:151]
	v_fma_f64 v[4:5], v[4:5], v[150:151], -v[20:21]
	s_delay_alu instid0(VALU_DEP_4) | instskip(NEXT) | instid1(VALU_DEP_4)
	v_add_f64_e32 v[6:7], v[10:11], v[8:9]
	v_add_f64_e32 v[8:9], v[12:13], v[22:23]
	s_delay_alu instid0(VALU_DEP_2) | instskip(NEXT) | instid1(VALU_DEP_2)
	v_add_f64_e32 v[4:5], v[6:7], v[4:5]
	v_add_f64_e32 v[6:7], v[8:9], v[16:17]
	s_delay_alu instid0(VALU_DEP_2) | instskip(NEXT) | instid1(VALU_DEP_2)
	v_add_f64_e64 v[4:5], v[154:155], -v[4:5]
	v_add_f64_e64 v[6:7], v[156:157], -v[6:7]
	scratch_store_b128 off, v[4:7], off offset:32
	s_wait_xcnt 0x0
	v_cmpx_lt_u32_e32 1, v1
	s_cbranch_execz .LBB113_311
; %bb.310:
	scratch_load_b128 v[6:9], off, s18
	v_dual_mov_b32 v3, v2 :: v_dual_mov_b32 v4, v2
	v_mov_b32_e32 v5, v2
	scratch_store_b128 off, v[2:5], off offset:16
	s_wait_loadcnt 0x0
	ds_store_b128 v124, v[6:9]
.LBB113_311:
	s_wait_xcnt 0x0
	s_or_b32 exec_lo, exec_lo, s2
	s_wait_storecnt_dscnt 0x0
	s_barrier_signal -1
	s_barrier_wait -1
	s_clause 0x9
	scratch_load_b128 v[4:7], off, off offset:32
	scratch_load_b128 v[8:11], off, off offset:48
	;; [unrolled: 1-line block ×10, first 2 shown]
	ds_load_b128 v[146:149], v2 offset:832
	ds_load_b128 v[154:157], v2 offset:848
	s_clause 0x2
	scratch_load_b128 v[150:153], off, off offset:192
	scratch_load_b128 v[158:161], off, off offset:16
	;; [unrolled: 1-line block ×3, first 2 shown]
	s_mov_b32 s2, exec_lo
	s_wait_loadcnt_dscnt 0xc01
	v_mul_f64_e32 v[166:167], v[148:149], v[6:7]
	v_mul_f64_e32 v[170:171], v[146:147], v[6:7]
	s_wait_loadcnt_dscnt 0xb00
	v_mul_f64_e32 v[172:173], v[154:155], v[10:11]
	v_mul_f64_e32 v[10:11], v[156:157], v[10:11]
	s_delay_alu instid0(VALU_DEP_4) | instskip(NEXT) | instid1(VALU_DEP_4)
	v_fma_f64 v[174:175], v[146:147], v[4:5], -v[166:167]
	v_fmac_f64_e32 v[170:171], v[148:149], v[4:5]
	ds_load_b128 v[4:7], v2 offset:864
	ds_load_b128 v[146:149], v2 offset:880
	scratch_load_b128 v[166:169], off, off offset:224
	v_fmac_f64_e32 v[172:173], v[156:157], v[8:9]
	v_fma_f64 v[154:155], v[154:155], v[8:9], -v[10:11]
	scratch_load_b128 v[8:11], off, off offset:240
	s_wait_loadcnt_dscnt 0xc01
	v_mul_f64_e32 v[176:177], v[4:5], v[14:15]
	v_mul_f64_e32 v[14:15], v[6:7], v[14:15]
	v_add_f64_e32 v[156:157], 0, v[174:175]
	v_add_f64_e32 v[170:171], 0, v[170:171]
	s_wait_loadcnt_dscnt 0xb00
	v_mul_f64_e32 v[174:175], v[146:147], v[18:19]
	v_mul_f64_e32 v[18:19], v[148:149], v[18:19]
	v_fmac_f64_e32 v[176:177], v[6:7], v[12:13]
	v_fma_f64 v[178:179], v[4:5], v[12:13], -v[14:15]
	ds_load_b128 v[4:7], v2 offset:896
	ds_load_b128 v[12:15], v2 offset:912
	v_add_f64_e32 v[180:181], v[156:157], v[154:155]
	v_add_f64_e32 v[170:171], v[170:171], v[172:173]
	scratch_load_b128 v[154:157], off, off offset:256
	v_fmac_f64_e32 v[174:175], v[148:149], v[16:17]
	v_fma_f64 v[146:147], v[146:147], v[16:17], -v[18:19]
	scratch_load_b128 v[16:19], off, off offset:272
	s_wait_loadcnt_dscnt 0xc01
	v_mul_f64_e32 v[172:173], v[4:5], v[22:23]
	v_mul_f64_e32 v[22:23], v[6:7], v[22:23]
	v_add_f64_e32 v[148:149], v[180:181], v[178:179]
	v_add_f64_e32 v[170:171], v[170:171], v[176:177]
	s_wait_loadcnt_dscnt 0xb00
	v_mul_f64_e32 v[176:177], v[12:13], v[128:129]
	v_mul_f64_e32 v[128:129], v[14:15], v[128:129]
	v_fmac_f64_e32 v[172:173], v[6:7], v[20:21]
	v_fma_f64 v[178:179], v[4:5], v[20:21], -v[22:23]
	ds_load_b128 v[4:7], v2 offset:928
	ds_load_b128 v[20:23], v2 offset:944
	v_add_f64_e32 v[180:181], v[148:149], v[146:147]
	v_add_f64_e32 v[170:171], v[170:171], v[174:175]
	scratch_load_b128 v[146:149], off, off offset:288
	s_wait_loadcnt_dscnt 0xb01
	v_mul_f64_e32 v[174:175], v[4:5], v[132:133]
	v_mul_f64_e32 v[132:133], v[6:7], v[132:133]
	v_fmac_f64_e32 v[176:177], v[14:15], v[126:127]
	v_fma_f64 v[126:127], v[12:13], v[126:127], -v[128:129]
	scratch_load_b128 v[12:15], off, off offset:304
	v_add_f64_e32 v[128:129], v[180:181], v[178:179]
	v_add_f64_e32 v[170:171], v[170:171], v[172:173]
	s_wait_loadcnt_dscnt 0xb00
	v_mul_f64_e32 v[172:173], v[20:21], v[136:137]
	v_mul_f64_e32 v[136:137], v[22:23], v[136:137]
	v_fmac_f64_e32 v[174:175], v[6:7], v[130:131]
	v_fma_f64 v[178:179], v[4:5], v[130:131], -v[132:133]
	v_add_f64_e32 v[180:181], v[128:129], v[126:127]
	v_add_f64_e32 v[170:171], v[170:171], v[176:177]
	ds_load_b128 v[4:7], v2 offset:960
	ds_load_b128 v[126:129], v2 offset:976
	scratch_load_b128 v[130:133], off, off offset:320
	v_fmac_f64_e32 v[172:173], v[22:23], v[134:135]
	v_fma_f64 v[134:135], v[20:21], v[134:135], -v[136:137]
	scratch_load_b128 v[20:23], off, off offset:336
	s_wait_loadcnt_dscnt 0xc01
	v_mul_f64_e32 v[176:177], v[4:5], v[140:141]
	v_mul_f64_e32 v[140:141], v[6:7], v[140:141]
	v_add_f64_e32 v[136:137], v[180:181], v[178:179]
	v_add_f64_e32 v[170:171], v[170:171], v[174:175]
	s_wait_loadcnt_dscnt 0xb00
	v_mul_f64_e32 v[174:175], v[126:127], v[144:145]
	v_mul_f64_e32 v[144:145], v[128:129], v[144:145]
	v_fmac_f64_e32 v[176:177], v[6:7], v[138:139]
	v_fma_f64 v[178:179], v[4:5], v[138:139], -v[140:141]
	v_add_f64_e32 v[180:181], v[136:137], v[134:135]
	v_add_f64_e32 v[170:171], v[170:171], v[172:173]
	ds_load_b128 v[4:7], v2 offset:992
	ds_load_b128 v[134:137], v2 offset:1008
	scratch_load_b128 v[138:141], off, off offset:352
	v_fmac_f64_e32 v[174:175], v[128:129], v[142:143]
	v_fma_f64 v[142:143], v[126:127], v[142:143], -v[144:145]
	scratch_load_b128 v[126:129], off, off offset:368
	s_wait_loadcnt_dscnt 0xc01
	v_mul_f64_e32 v[172:173], v[4:5], v[152:153]
	v_mul_f64_e32 v[152:153], v[6:7], v[152:153]
	;; [unrolled: 18-line block ×5, first 2 shown]
	v_add_f64_e32 v[164:165], v[180:181], v[178:179]
	v_add_f64_e32 v[170:171], v[170:171], v[176:177]
	s_wait_loadcnt_dscnt 0xa00
	v_mul_f64_e32 v[176:177], v[142:143], v[14:15]
	v_mul_f64_e32 v[14:15], v[144:145], v[14:15]
	v_fmac_f64_e32 v[172:173], v[6:7], v[146:147]
	v_fma_f64 v[178:179], v[4:5], v[146:147], -v[148:149]
	ds_load_b128 v[4:7], v2 offset:1120
	ds_load_b128 v[146:149], v2 offset:1136
	v_add_f64_e32 v[180:181], v[164:165], v[162:163]
	v_add_f64_e32 v[170:171], v[170:171], v[174:175]
	scratch_load_b128 v[162:165], off, off offset:480
	v_fmac_f64_e32 v[176:177], v[144:145], v[12:13]
	v_fma_f64 v[142:143], v[142:143], v[12:13], -v[14:15]
	scratch_load_b128 v[12:15], off, off offset:496
	s_wait_loadcnt_dscnt 0xb01
	v_mul_f64_e32 v[174:175], v[4:5], v[132:133]
	v_mul_f64_e32 v[132:133], v[6:7], v[132:133]
	v_add_f64_e32 v[144:145], v[180:181], v[178:179]
	v_add_f64_e32 v[170:171], v[170:171], v[172:173]
	s_wait_loadcnt_dscnt 0xa00
	v_mul_f64_e32 v[172:173], v[146:147], v[22:23]
	v_mul_f64_e32 v[22:23], v[148:149], v[22:23]
	v_fmac_f64_e32 v[174:175], v[6:7], v[130:131]
	v_fma_f64 v[178:179], v[4:5], v[130:131], -v[132:133]
	ds_load_b128 v[4:7], v2 offset:1152
	ds_load_b128 v[130:133], v2 offset:1168
	v_add_f64_e32 v[180:181], v[144:145], v[142:143]
	v_add_f64_e32 v[170:171], v[170:171], v[176:177]
	scratch_load_b128 v[142:145], off, off offset:512
	s_wait_loadcnt_dscnt 0xa01
	v_mul_f64_e32 v[176:177], v[4:5], v[140:141]
	v_mul_f64_e32 v[140:141], v[6:7], v[140:141]
	v_fmac_f64_e32 v[172:173], v[148:149], v[20:21]
	v_fma_f64 v[146:147], v[146:147], v[20:21], -v[22:23]
	scratch_load_b128 v[20:23], off, off offset:528
	v_add_f64_e32 v[148:149], v[180:181], v[178:179]
	v_add_f64_e32 v[170:171], v[170:171], v[174:175]
	s_wait_loadcnt_dscnt 0xa00
	v_mul_f64_e32 v[174:175], v[130:131], v[128:129]
	v_mul_f64_e32 v[128:129], v[132:133], v[128:129]
	v_fmac_f64_e32 v[176:177], v[6:7], v[138:139]
	v_fma_f64 v[178:179], v[4:5], v[138:139], -v[140:141]
	ds_load_b128 v[4:7], v2 offset:1184
	ds_load_b128 v[138:141], v2 offset:1200
	v_add_f64_e32 v[180:181], v[148:149], v[146:147]
	v_add_f64_e32 v[170:171], v[170:171], v[172:173]
	scratch_load_b128 v[146:149], off, off offset:544
	s_wait_loadcnt_dscnt 0xa01
	v_mul_f64_e32 v[172:173], v[4:5], v[152:153]
	v_mul_f64_e32 v[152:153], v[6:7], v[152:153]
	v_fmac_f64_e32 v[174:175], v[132:133], v[126:127]
	v_fma_f64 v[130:131], v[130:131], v[126:127], -v[128:129]
	scratch_load_b128 v[126:129], off, off offset:560
	v_add_f64_e32 v[132:133], v[180:181], v[178:179]
	v_add_f64_e32 v[170:171], v[170:171], v[176:177]
	s_wait_loadcnt_dscnt 0xa00
	v_mul_f64_e32 v[176:177], v[138:139], v[136:137]
	v_mul_f64_e32 v[136:137], v[140:141], v[136:137]
	v_fmac_f64_e32 v[172:173], v[6:7], v[150:151]
	v_fma_f64 v[178:179], v[4:5], v[150:151], -v[152:153]
	v_add_f64_e32 v[180:181], v[132:133], v[130:131]
	v_add_f64_e32 v[170:171], v[170:171], v[174:175]
	ds_load_b128 v[4:7], v2 offset:1216
	ds_load_b128 v[130:133], v2 offset:1232
	scratch_load_b128 v[150:153], off, off offset:576
	v_fmac_f64_e32 v[176:177], v[140:141], v[134:135]
	v_fma_f64 v[138:139], v[138:139], v[134:135], -v[136:137]
	scratch_load_b128 v[134:137], off, off offset:592
	s_wait_loadcnt_dscnt 0xb01
	v_mul_f64_e32 v[174:175], v[4:5], v[168:169]
	v_mul_f64_e32 v[168:169], v[6:7], v[168:169]
	v_add_f64_e32 v[140:141], v[180:181], v[178:179]
	v_add_f64_e32 v[170:171], v[170:171], v[172:173]
	s_wait_loadcnt_dscnt 0xa00
	v_mul_f64_e32 v[172:173], v[130:131], v[10:11]
	v_mul_f64_e32 v[10:11], v[132:133], v[10:11]
	v_fmac_f64_e32 v[174:175], v[6:7], v[166:167]
	v_fma_f64 v[178:179], v[4:5], v[166:167], -v[168:169]
	v_add_f64_e32 v[180:181], v[140:141], v[138:139]
	v_add_f64_e32 v[170:171], v[170:171], v[176:177]
	ds_load_b128 v[4:7], v2 offset:1248
	ds_load_b128 v[138:141], v2 offset:1264
	scratch_load_b128 v[166:169], off, off offset:608
	v_fmac_f64_e32 v[172:173], v[132:133], v[8:9]
	v_fma_f64 v[130:131], v[130:131], v[8:9], -v[10:11]
	scratch_load_b128 v[8:11], off, off offset:624
	s_wait_loadcnt_dscnt 0xb01
	v_mul_f64_e32 v[176:177], v[4:5], v[156:157]
	v_mul_f64_e32 v[156:157], v[6:7], v[156:157]
	;; [unrolled: 18-line block ×7, first 2 shown]
	v_add_f64_e32 v[140:141], v[180:181], v[178:179]
	v_add_f64_e32 v[170:171], v[170:171], v[172:173]
	s_wait_loadcnt_dscnt 0xa00
	v_mul_f64_e32 v[172:173], v[130:131], v[10:11]
	v_mul_f64_e32 v[10:11], v[132:133], v[10:11]
	v_fmac_f64_e32 v[174:175], v[6:7], v[166:167]
	v_fma_f64 v[166:167], v[4:5], v[166:167], -v[168:169]
	v_add_f64_e32 v[168:169], v[140:141], v[138:139]
	v_add_f64_e32 v[170:171], v[170:171], v[176:177]
	ds_load_b128 v[4:7], v2 offset:1440
	ds_load_b128 v[138:141], v2 offset:1456
	v_fmac_f64_e32 v[172:173], v[132:133], v[8:9]
	v_fma_f64 v[8:9], v[130:131], v[8:9], -v[10:11]
	s_wait_loadcnt_dscnt 0x901
	v_mul_f64_e32 v[176:177], v[4:5], v[156:157]
	v_mul_f64_e32 v[156:157], v[6:7], v[156:157]
	s_wait_loadcnt_dscnt 0x800
	v_mul_f64_e32 v[132:133], v[138:139], v[18:19]
	v_mul_f64_e32 v[18:19], v[140:141], v[18:19]
	v_add_f64_e32 v[10:11], v[168:169], v[166:167]
	v_add_f64_e32 v[130:131], v[170:171], v[174:175]
	v_fmac_f64_e32 v[176:177], v[6:7], v[154:155]
	v_fma_f64 v[154:155], v[4:5], v[154:155], -v[156:157]
	v_fmac_f64_e32 v[132:133], v[140:141], v[16:17]
	v_fma_f64 v[16:17], v[138:139], v[16:17], -v[18:19]
	v_add_f64_e32 v[156:157], v[10:11], v[8:9]
	v_add_f64_e32 v[130:131], v[130:131], v[172:173]
	ds_load_b128 v[4:7], v2 offset:1472
	ds_load_b128 v[8:11], v2 offset:1488
	s_wait_loadcnt_dscnt 0x701
	v_mul_f64_e32 v[166:167], v[4:5], v[164:165]
	v_mul_f64_e32 v[164:165], v[6:7], v[164:165]
	s_wait_loadcnt_dscnt 0x600
	v_mul_f64_e32 v[138:139], v[8:9], v[14:15]
	v_mul_f64_e32 v[140:141], v[10:11], v[14:15]
	v_add_f64_e32 v[18:19], v[156:157], v[154:155]
	v_add_f64_e32 v[130:131], v[130:131], v[176:177]
	v_fmac_f64_e32 v[166:167], v[6:7], v[162:163]
	v_fma_f64 v[154:155], v[4:5], v[162:163], -v[164:165]
	v_fmac_f64_e32 v[138:139], v[10:11], v[12:13]
	v_fma_f64 v[8:9], v[8:9], v[12:13], -v[140:141]
	v_add_f64_e32 v[18:19], v[18:19], v[16:17]
	v_add_f64_e32 v[130:131], v[130:131], v[132:133]
	ds_load_b128 v[4:7], v2 offset:1504
	ds_load_b128 v[14:17], v2 offset:1520
	s_wait_loadcnt_dscnt 0x501
	v_mul_f64_e32 v[132:133], v[4:5], v[144:145]
	v_mul_f64_e32 v[144:145], v[6:7], v[144:145]
	v_add_f64_e32 v[10:11], v[18:19], v[154:155]
	v_add_f64_e32 v[12:13], v[130:131], v[166:167]
	s_wait_loadcnt_dscnt 0x400
	v_mul_f64_e32 v[18:19], v[14:15], v[22:23]
	v_mul_f64_e32 v[22:23], v[16:17], v[22:23]
	v_fmac_f64_e32 v[132:133], v[6:7], v[142:143]
	v_fma_f64 v[130:131], v[4:5], v[142:143], -v[144:145]
	v_add_f64_e32 v[140:141], v[10:11], v[8:9]
	v_add_f64_e32 v[12:13], v[12:13], v[138:139]
	ds_load_b128 v[4:7], v2 offset:1536
	ds_load_b128 v[8:11], v2 offset:1552
	v_fmac_f64_e32 v[18:19], v[16:17], v[20:21]
	v_fma_f64 v[14:15], v[14:15], v[20:21], -v[22:23]
	s_wait_loadcnt_dscnt 0x301
	v_mul_f64_e32 v[138:139], v[4:5], v[148:149]
	v_mul_f64_e32 v[142:143], v[6:7], v[148:149]
	s_wait_loadcnt_dscnt 0x200
	v_mul_f64_e32 v[20:21], v[8:9], v[128:129]
	v_mul_f64_e32 v[22:23], v[10:11], v[128:129]
	v_add_f64_e32 v[16:17], v[140:141], v[130:131]
	v_add_f64_e32 v[12:13], v[12:13], v[132:133]
	v_fmac_f64_e32 v[138:139], v[6:7], v[146:147]
	v_fma_f64 v[128:129], v[4:5], v[146:147], -v[142:143]
	v_fmac_f64_e32 v[20:21], v[10:11], v[126:127]
	v_fma_f64 v[8:9], v[8:9], v[126:127], -v[22:23]
	v_add_f64_e32 v[16:17], v[16:17], v[14:15]
	v_add_f64_e32 v[18:19], v[12:13], v[18:19]
	ds_load_b128 v[4:7], v2 offset:1568
	ds_load_b128 v[12:15], v2 offset:1584
	s_wait_loadcnt_dscnt 0x101
	v_mul_f64_e32 v[2:3], v[4:5], v[152:153]
	v_mul_f64_e32 v[130:131], v[6:7], v[152:153]
	s_wait_loadcnt_dscnt 0x0
	v_mul_f64_e32 v[22:23], v[14:15], v[136:137]
	v_add_f64_e32 v[10:11], v[16:17], v[128:129]
	v_add_f64_e32 v[16:17], v[18:19], v[138:139]
	v_mul_f64_e32 v[18:19], v[12:13], v[136:137]
	v_fmac_f64_e32 v[2:3], v[6:7], v[150:151]
	v_fma_f64 v[4:5], v[4:5], v[150:151], -v[130:131]
	v_add_f64_e32 v[6:7], v[10:11], v[8:9]
	v_add_f64_e32 v[8:9], v[16:17], v[20:21]
	v_fmac_f64_e32 v[18:19], v[14:15], v[134:135]
	v_fma_f64 v[10:11], v[12:13], v[134:135], -v[22:23]
	s_delay_alu instid0(VALU_DEP_4) | instskip(NEXT) | instid1(VALU_DEP_4)
	v_add_f64_e32 v[4:5], v[6:7], v[4:5]
	v_add_f64_e32 v[2:3], v[8:9], v[2:3]
	s_delay_alu instid0(VALU_DEP_2) | instskip(NEXT) | instid1(VALU_DEP_2)
	v_add_f64_e32 v[4:5], v[4:5], v[10:11]
	v_add_f64_e32 v[6:7], v[2:3], v[18:19]
	s_delay_alu instid0(VALU_DEP_2) | instskip(NEXT) | instid1(VALU_DEP_2)
	v_add_f64_e64 v[2:3], v[158:159], -v[4:5]
	v_add_f64_e64 v[4:5], v[160:161], -v[6:7]
	scratch_store_b128 off, v[2:5], off offset:16
	s_wait_xcnt 0x0
	v_cmpx_ne_u32_e32 0, v1
	s_cbranch_execz .LBB113_313
; %bb.312:
	scratch_load_b128 v[2:5], off, off
	v_mov_b32_e32 v6, 0
	s_delay_alu instid0(VALU_DEP_1)
	v_dual_mov_b32 v7, v6 :: v_dual_mov_b32 v8, v6
	v_mov_b32_e32 v9, v6
	scratch_store_b128 off, v[6:9], off
	s_wait_loadcnt 0x0
	ds_store_b128 v124, v[2:5]
.LBB113_313:
	s_wait_xcnt 0x0
	s_or_b32 exec_lo, exec_lo, s2
	s_wait_storecnt_dscnt 0x0
	s_barrier_signal -1
	s_barrier_wait -1
	s_clause 0x9
	scratch_load_b128 v[2:5], off, off offset:16
	scratch_load_b128 v[6:9], off, off offset:32
	;; [unrolled: 1-line block ×10, first 2 shown]
	v_mov_b32_e32 v158, 0
	v_lshl_add_u64 v[66:67], v[66:67], 4, s[4:5]
	s_and_b32 vcc_lo, exec_lo, s62
	ds_load_b128 v[144:147], v158 offset:816
	s_clause 0x2
	scratch_load_b128 v[148:151], off, off offset:176
	scratch_load_b128 v[160:163], off, off
	scratch_load_b128 v[164:167], off, off offset:192
	s_wait_loadcnt_dscnt 0xc00
	v_mul_f64_e32 v[22:23], v[146:147], v[4:5]
	v_mul_f64_e32 v[156:157], v[144:145], v[4:5]
	ds_load_b128 v[152:155], v158 offset:832
	ds_load_b128 v[168:171], v158 offset:864
	v_fma_f64 v[22:23], v[144:145], v[2:3], -v[22:23]
	v_fmac_f64_e32 v[156:157], v[146:147], v[2:3]
	ds_load_b128 v[2:5], v158 offset:848
	s_wait_loadcnt_dscnt 0xb02
	v_mul_f64_e32 v[172:173], v[152:153], v[8:9]
	v_mul_f64_e32 v[8:9], v[154:155], v[8:9]
	scratch_load_b128 v[144:147], off, off offset:208
	s_wait_loadcnt_dscnt 0xb00
	v_mul_f64_e32 v[174:175], v[2:3], v[12:13]
	v_mul_f64_e32 v[12:13], v[4:5], v[12:13]
	v_add_f64_e32 v[22:23], 0, v[22:23]
	v_fmac_f64_e32 v[172:173], v[154:155], v[6:7]
	v_fma_f64 v[152:153], v[152:153], v[6:7], -v[8:9]
	v_add_f64_e32 v[154:155], 0, v[156:157]
	scratch_load_b128 v[6:9], off, off offset:224
	v_fmac_f64_e32 v[174:175], v[4:5], v[10:11]
	v_fma_f64 v[176:177], v[2:3], v[10:11], -v[12:13]
	ds_load_b128 v[2:5], v158 offset:880
	s_wait_loadcnt 0xb
	v_mul_f64_e32 v[156:157], v[168:169], v[16:17]
	v_mul_f64_e32 v[16:17], v[170:171], v[16:17]
	scratch_load_b128 v[10:13], off, off offset:240
	v_add_f64_e32 v[22:23], v[22:23], v[152:153]
	v_add_f64_e32 v[172:173], v[154:155], v[172:173]
	ds_load_b128 v[152:155], v158 offset:896
	s_wait_loadcnt_dscnt 0xb01
	v_mul_f64_e32 v[178:179], v[2:3], v[20:21]
	v_mul_f64_e32 v[20:21], v[4:5], v[20:21]
	v_fmac_f64_e32 v[156:157], v[170:171], v[14:15]
	v_fma_f64 v[168:169], v[168:169], v[14:15], -v[16:17]
	scratch_load_b128 v[14:17], off, off offset:256
	v_add_f64_e32 v[22:23], v[22:23], v[176:177]
	v_add_f64_e32 v[170:171], v[172:173], v[174:175]
	v_fmac_f64_e32 v[178:179], v[4:5], v[18:19]
	v_fma_f64 v[174:175], v[2:3], v[18:19], -v[20:21]
	ds_load_b128 v[2:5], v158 offset:912
	s_wait_loadcnt_dscnt 0xb01
	v_mul_f64_e32 v[172:173], v[152:153], v[126:127]
	v_mul_f64_e32 v[126:127], v[154:155], v[126:127]
	scratch_load_b128 v[18:21], off, off offset:272
	s_wait_loadcnt_dscnt 0xb00
	v_mul_f64_e32 v[176:177], v[2:3], v[130:131]
	v_mul_f64_e32 v[130:131], v[4:5], v[130:131]
	v_add_f64_e32 v[22:23], v[22:23], v[168:169]
	v_add_f64_e32 v[156:157], v[170:171], v[156:157]
	ds_load_b128 v[168:171], v158 offset:928
	v_fmac_f64_e32 v[172:173], v[154:155], v[124:125]
	v_fma_f64 v[152:153], v[152:153], v[124:125], -v[126:127]
	scratch_load_b128 v[124:127], off, off offset:288
	v_fmac_f64_e32 v[176:177], v[4:5], v[128:129]
	v_add_f64_e32 v[22:23], v[22:23], v[174:175]
	v_add_f64_e32 v[154:155], v[156:157], v[178:179]
	v_fma_f64 v[174:175], v[2:3], v[128:129], -v[130:131]
	ds_load_b128 v[2:5], v158 offset:944
	s_wait_loadcnt_dscnt 0xb01
	v_mul_f64_e32 v[156:157], v[168:169], v[134:135]
	v_mul_f64_e32 v[134:135], v[170:171], v[134:135]
	scratch_load_b128 v[128:131], off, off offset:304
	s_wait_loadcnt_dscnt 0xb00
	v_mul_f64_e32 v[178:179], v[2:3], v[138:139]
	v_mul_f64_e32 v[138:139], v[4:5], v[138:139]
	v_add_f64_e32 v[22:23], v[22:23], v[152:153]
	v_add_f64_e32 v[172:173], v[154:155], v[172:173]
	ds_load_b128 v[152:155], v158 offset:960
	v_fmac_f64_e32 v[156:157], v[170:171], v[132:133]
	v_fma_f64 v[168:169], v[168:169], v[132:133], -v[134:135]
	scratch_load_b128 v[132:135], off, off offset:320
	v_fmac_f64_e32 v[178:179], v[4:5], v[136:137]
	v_add_f64_e32 v[22:23], v[22:23], v[174:175]
	v_add_f64_e32 v[170:171], v[172:173], v[176:177]
	;; [unrolled: 18-line block ×3, first 2 shown]
	v_fma_f64 v[174:175], v[2:3], v[148:149], -v[150:151]
	ds_load_b128 v[2:5], v158 offset:1008
	s_wait_loadcnt_dscnt 0xa01
	v_mul_f64_e32 v[156:157], v[168:169], v[166:167]
	v_mul_f64_e32 v[166:167], v[170:171], v[166:167]
	scratch_load_b128 v[148:151], off, off offset:368
	v_add_f64_e32 v[22:23], v[22:23], v[152:153]
	v_add_f64_e32 v[172:173], v[154:155], v[172:173]
	s_wait_loadcnt_dscnt 0xa00
	v_mul_f64_e32 v[178:179], v[2:3], v[146:147]
	v_mul_f64_e32 v[146:147], v[4:5], v[146:147]
	v_fmac_f64_e32 v[156:157], v[170:171], v[164:165]
	v_fma_f64 v[168:169], v[168:169], v[164:165], -v[166:167]
	ds_load_b128 v[152:155], v158 offset:1024
	scratch_load_b128 v[164:167], off, off offset:384
	v_add_f64_e32 v[22:23], v[22:23], v[174:175]
	v_add_f64_e32 v[170:171], v[172:173], v[176:177]
	v_fmac_f64_e32 v[178:179], v[4:5], v[144:145]
	v_fma_f64 v[174:175], v[2:3], v[144:145], -v[146:147]
	ds_load_b128 v[2:5], v158 offset:1040
	s_wait_loadcnt_dscnt 0xa01
	v_mul_f64_e32 v[172:173], v[152:153], v[8:9]
	v_mul_f64_e32 v[8:9], v[154:155], v[8:9]
	scratch_load_b128 v[144:147], off, off offset:400
	s_wait_loadcnt_dscnt 0xa00
	v_mul_f64_e32 v[176:177], v[2:3], v[12:13]
	v_mul_f64_e32 v[12:13], v[4:5], v[12:13]
	v_add_f64_e32 v[22:23], v[22:23], v[168:169]
	v_add_f64_e32 v[156:157], v[170:171], v[156:157]
	ds_load_b128 v[168:171], v158 offset:1056
	v_fmac_f64_e32 v[172:173], v[154:155], v[6:7]
	v_fma_f64 v[152:153], v[152:153], v[6:7], -v[8:9]
	scratch_load_b128 v[6:9], off, off offset:416
	v_fmac_f64_e32 v[176:177], v[4:5], v[10:11]
	v_add_f64_e32 v[22:23], v[22:23], v[174:175]
	v_add_f64_e32 v[154:155], v[156:157], v[178:179]
	v_fma_f64 v[174:175], v[2:3], v[10:11], -v[12:13]
	ds_load_b128 v[2:5], v158 offset:1072
	s_wait_loadcnt_dscnt 0xa01
	v_mul_f64_e32 v[156:157], v[168:169], v[16:17]
	v_mul_f64_e32 v[16:17], v[170:171], v[16:17]
	scratch_load_b128 v[10:13], off, off offset:432
	s_wait_loadcnt_dscnt 0xa00
	v_mul_f64_e32 v[178:179], v[2:3], v[20:21]
	v_mul_f64_e32 v[20:21], v[4:5], v[20:21]
	v_add_f64_e32 v[22:23], v[22:23], v[152:153]
	v_add_f64_e32 v[172:173], v[154:155], v[172:173]
	ds_load_b128 v[152:155], v158 offset:1088
	v_fmac_f64_e32 v[156:157], v[170:171], v[14:15]
	v_fma_f64 v[168:169], v[168:169], v[14:15], -v[16:17]
	scratch_load_b128 v[14:17], off, off offset:448
	v_fmac_f64_e32 v[178:179], v[4:5], v[18:19]
	v_add_f64_e32 v[22:23], v[22:23], v[174:175]
	v_add_f64_e32 v[170:171], v[172:173], v[176:177]
	;; [unrolled: 18-line block ×12, first 2 shown]
	v_fma_f64 v[174:175], v[2:3], v[144:145], -v[146:147]
	ds_load_b128 v[2:5], v158 offset:1424
	s_wait_loadcnt_dscnt 0xa01
	v_mul_f64_e32 v[172:173], v[152:153], v[8:9]
	v_mul_f64_e32 v[8:9], v[154:155], v[8:9]
	scratch_load_b128 v[144:147], off, off offset:784
	s_wait_loadcnt_dscnt 0xa00
	v_mul_f64_e32 v[176:177], v[2:3], v[12:13]
	v_mul_f64_e32 v[12:13], v[4:5], v[12:13]
	v_add_f64_e32 v[22:23], v[22:23], v[168:169]
	v_add_f64_e32 v[156:157], v[170:171], v[156:157]
	ds_load_b128 v[168:171], v158 offset:1440
	v_fmac_f64_e32 v[172:173], v[154:155], v[6:7]
	v_fma_f64 v[6:7], v[152:153], v[6:7], -v[8:9]
	s_wait_loadcnt_dscnt 0x900
	v_mul_f64_e32 v[152:153], v[168:169], v[16:17]
	v_mul_f64_e32 v[16:17], v[170:171], v[16:17]
	v_fmac_f64_e32 v[176:177], v[4:5], v[10:11]
	v_fma_f64 v[10:11], v[2:3], v[10:11], -v[12:13]
	v_add_f64_e32 v[8:9], v[22:23], v[174:175]
	v_add_f64_e32 v[22:23], v[156:157], v[178:179]
	v_lshl_add_u64 v[156:157], v[28:29], 4, s[4:5]
	v_lshl_add_u64 v[28:29], v[100:101], 4, s[4:5]
	v_fmac_f64_e32 v[152:153], v[170:171], v[14:15]
	v_fma_f64 v[14:15], v[168:169], v[14:15], -v[16:17]
	v_add_f64_e32 v[12:13], v[8:9], v[6:7]
	v_add_f64_e32 v[22:23], v[22:23], v[172:173]
	ds_load_b128 v[2:5], v158 offset:1456
	ds_load_b128 v[6:9], v158 offset:1472
	s_wait_loadcnt_dscnt 0x801
	v_mul_f64_e32 v[154:155], v[2:3], v[20:21]
	v_mul_f64_e32 v[20:21], v[4:5], v[20:21]
	s_wait_loadcnt_dscnt 0x700
	v_mul_f64_e32 v[16:17], v[6:7], v[126:127]
	v_add_f64_e32 v[10:11], v[12:13], v[10:11]
	v_add_f64_e32 v[12:13], v[22:23], v[176:177]
	v_mul_f64_e32 v[22:23], v[8:9], v[126:127]
	v_fmac_f64_e32 v[154:155], v[4:5], v[18:19]
	v_fma_f64 v[18:19], v[2:3], v[18:19], -v[20:21]
	v_fmac_f64_e32 v[16:17], v[8:9], v[124:125]
	v_add_f64_e32 v[14:15], v[10:11], v[14:15]
	v_add_f64_e32 v[20:21], v[12:13], v[152:153]
	ds_load_b128 v[2:5], v158 offset:1488
	ds_load_b128 v[10:13], v158 offset:1504
	v_fma_f64 v[6:7], v[6:7], v[124:125], -v[22:23]
	v_lshl_add_u64 v[152:153], v[32:33], 4, s[4:5]
	v_lshl_add_u64 v[32:33], v[96:97], 4, s[4:5]
	s_wait_loadcnt_dscnt 0x601
	v_mul_f64_e32 v[126:127], v[2:3], v[130:131]
	v_mul_f64_e32 v[130:131], v[4:5], v[130:131]
	v_add_f64_e32 v[8:9], v[14:15], v[18:19]
	v_add_f64_e32 v[14:15], v[20:21], v[154:155]
	s_wait_loadcnt_dscnt 0x500
	v_mul_f64_e32 v[18:19], v[10:11], v[134:135]
	v_mul_f64_e32 v[20:21], v[12:13], v[134:135]
	v_lshl_add_u64 v[154:155], v[30:31], 4, s[4:5]
	v_lshl_add_u64 v[134:135], v[50:51], 4, s[4:5]
	;; [unrolled: 1-line block ×4, first 2 shown]
	v_fmac_f64_e32 v[126:127], v[4:5], v[128:129]
	v_fma_f64 v[22:23], v[2:3], v[128:129], -v[130:131]
	v_lshl_add_u64 v[130:131], v[52:53], 4, s[4:5]
	v_lshl_add_u64 v[52:53], v[76:77], 4, s[4:5]
	v_add_f64_e32 v[124:125], v[8:9], v[6:7]
	v_add_f64_e32 v[14:15], v[14:15], v[16:17]
	ds_load_b128 v[2:5], v158 offset:1520
	ds_load_b128 v[6:9], v158 offset:1536
	v_fmac_f64_e32 v[18:19], v[12:13], v[132:133]
	v_fma_f64 v[10:11], v[10:11], v[132:133], -v[20:21]
	v_lshl_add_u64 v[132:133], v[62:63], 4, s[4:5]
	v_lshl_add_u64 v[62:63], v[70:71], 4, s[4:5]
	s_wait_loadcnt_dscnt 0x401
	v_mul_f64_e32 v[16:17], v[2:3], v[138:139]
	v_mul_f64_e32 v[128:129], v[4:5], v[138:139]
	s_wait_loadcnt_dscnt 0x300
	v_mul_f64_e32 v[20:21], v[6:7], v[142:143]
	v_lshl_add_u64 v[138:139], v[46:47], 4, s[4:5]
	v_lshl_add_u64 v[46:47], v[82:83], 4, s[4:5]
	v_add_f64_e32 v[12:13], v[124:125], v[22:23]
	v_add_f64_e32 v[14:15], v[14:15], v[126:127]
	v_mul_f64_e32 v[22:23], v[8:9], v[142:143]
	v_lshl_add_u64 v[142:143], v[42:43], 4, s[4:5]
	v_lshl_add_u64 v[42:43], v[86:87], 4, s[4:5]
	v_fmac_f64_e32 v[16:17], v[4:5], v[136:137]
	v_fma_f64 v[124:125], v[2:3], v[136:137], -v[128:129]
	v_fmac_f64_e32 v[20:21], v[8:9], v[140:141]
	v_lshl_add_u64 v[136:137], v[48:49], 4, s[4:5]
	v_lshl_add_u64 v[48:49], v[80:81], 4, s[4:5]
	v_add_f64_e32 v[126:127], v[12:13], v[10:11]
	v_add_f64_e32 v[14:15], v[14:15], v[18:19]
	ds_load_b128 v[2:5], v158 offset:1552
	ds_load_b128 v[10:13], v158 offset:1568
	v_fma_f64 v[6:7], v[6:7], v[140:141], -v[22:23]
	v_lshl_add_u64 v[140:141], v[44:45], 4, s[4:5]
	v_lshl_add_u64 v[44:45], v[84:85], 4, s[4:5]
	s_wait_loadcnt_dscnt 0x201
	v_mul_f64_e32 v[18:19], v[2:3], v[150:151]
	v_mul_f64_e32 v[128:129], v[4:5], v[150:151]
	s_wait_loadcnt_dscnt 0x100
	v_mul_f64_e32 v[22:23], v[12:13], v[166:167]
	v_lshl_add_u64 v[150:151], v[34:35], 4, s[4:5]
	v_lshl_add_u64 v[34:35], v[94:95], 4, s[4:5]
	v_add_f64_e32 v[8:9], v[126:127], v[124:125]
	v_add_f64_e32 v[14:15], v[14:15], v[16:17]
	v_mul_f64_e32 v[16:17], v[10:11], v[166:167]
	v_lshl_add_u64 v[126:127], v[56:57], 4, s[4:5]
	v_lshl_add_u64 v[56:57], v[74:75], 4, s[4:5]
	v_fmac_f64_e32 v[18:19], v[4:5], v[148:149]
	v_fma_f64 v[124:125], v[2:3], v[148:149], -v[128:129]
	ds_load_b128 v[2:5], v158 offset:1584
	v_fma_f64 v[10:11], v[10:11], v[164:165], -v[22:23]
	v_lshl_add_u64 v[148:149], v[36:37], 4, s[4:5]
	v_lshl_add_u64 v[128:129], v[54:55], 4, s[4:5]
	;; [unrolled: 1-line block ×6, first 2 shown]
	v_add_f64_e32 v[6:7], v[8:9], v[6:7]
	v_add_f64_e32 v[8:9], v[14:15], v[20:21]
	v_fmac_f64_e32 v[16:17], v[12:13], v[164:165]
	v_lshl_add_u64 v[12:13], v[112:113], 4, s[4:5]
	s_wait_loadcnt_dscnt 0x0
	v_mul_f64_e32 v[14:15], v[2:3], v[146:147]
	v_mul_f64_e32 v[20:21], v[4:5], v[146:147]
	v_lshl_add_u64 v[146:147], v[38:39], 4, s[4:5]
	v_lshl_add_u64 v[38:39], v[90:91], 4, s[4:5]
	v_add_f64_e32 v[6:7], v[6:7], v[124:125]
	v_add_f64_e32 v[8:9], v[8:9], v[18:19]
	v_lshl_add_u64 v[124:125], v[58:59], 4, s[4:5]
	v_lshl_add_u64 v[58:59], v[60:61], 4, s[4:5]
	;; [unrolled: 1-line block ×4, first 2 shown]
	v_fmac_f64_e32 v[14:15], v[4:5], v[144:145]
	v_fma_f64 v[2:3], v[2:3], v[144:145], -v[20:21]
	v_lshl_add_u64 v[144:145], v[40:41], 4, s[4:5]
	v_lshl_add_u64 v[40:41], v[88:89], 4, s[4:5]
	;; [unrolled: 1-line block ×3, first 2 shown]
	v_add_f64_e32 v[4:5], v[6:7], v[10:11]
	v_add_f64_e32 v[6:7], v[8:9], v[16:17]
	v_lshl_add_u64 v[16:17], v[108:109], 4, s[4:5]
	v_lshl_add_u64 v[10:11], v[114:115], 4, s[4:5]
	;; [unrolled: 1-line block ×3, first 2 shown]
	v_add_f64_e32 v[2:3], v[4:5], v[2:3]
	v_add_f64_e32 v[4:5], v[6:7], v[14:15]
	v_lshl_add_u64 v[14:15], v[110:111], 4, s[4:5]
	v_lshl_add_u64 v[6:7], v[118:119], 4, s[4:5]
	s_delay_alu instid0(VALU_DEP_4) | instskip(NEXT) | instid1(VALU_DEP_4)
	v_add_f64_e64 v[160:161], v[160:161], -v[2:3]
	v_add_f64_e64 v[162:163], v[162:163], -v[4:5]
	v_lshl_add_u64 v[4:5], v[120:121], 4, s[4:5]
	v_lshl_add_u64 v[2:3], v[122:123], 4, s[4:5]
	scratch_store_b128 off, v[160:163], off
	s_cbranch_vccz .LBB113_412
; %bb.314:
	global_load_b32 v68, v158, s[8:9] offset:192
	s_load_b64 s[2:3], s[0:1], 0x4
	v_bfe_u32 v69, v0, 10, 10
	v_bfe_u32 v0, v0, 20, 10
	s_wait_kmcnt 0x0
	s_lshr_b32 s0, s2, 16
	s_delay_alu instid0(VALU_DEP_2) | instskip(SKIP_1) | instid1(SALU_CYCLE_1)
	v_mul_u32_u24_e32 v69, s3, v69
	s_mul_i32 s0, s0, s3
	v_mul_u32_u24_e32 v1, s0, v1
	s_delay_alu instid0(VALU_DEP_1) | instskip(NEXT) | instid1(VALU_DEP_1)
	v_add3_u32 v0, v1, v69, v0
	v_lshl_add_u32 v0, v0, 4, 0x648
	s_wait_loadcnt 0x0
	v_cmp_ne_u32_e32 vcc_lo, 49, v68
	s_cbranch_vccz .LBB113_316
; %bb.315:
	v_lshlrev_b32_e32 v1, 4, v68
	s_clause 0x1
	scratch_load_b128 v[68:71], off, s15
	scratch_load_b128 v[72:75], v1, off offset:-16
	s_wait_loadcnt 0x1
	ds_store_2addr_b64 v0, v[68:69], v[70:71] offset1:1
	s_wait_loadcnt 0x0
	s_clause 0x1
	scratch_store_b128 off, v[72:75], s15
	scratch_store_b128 v1, v[68:71], off offset:-16
.LBB113_316:
	s_wait_xcnt 0x0
	v_mov_b32_e32 v1, 0
	global_load_b32 v68, v1, s[8:9] offset:188
	s_wait_loadcnt 0x0
	v_cmp_eq_u32_e32 vcc_lo, 48, v68
	s_cbranch_vccnz .LBB113_318
; %bb.317:
	v_lshlrev_b32_e32 v68, 4, v68
	s_delay_alu instid0(VALU_DEP_1)
	v_mov_b32_e32 v76, v68
	s_clause 0x1
	scratch_load_b128 v[68:71], off, s17
	scratch_load_b128 v[72:75], v76, off offset:-16
	s_wait_loadcnt 0x1
	ds_store_2addr_b64 v0, v[68:69], v[70:71] offset1:1
	s_wait_loadcnt 0x0
	s_clause 0x1
	scratch_store_b128 off, v[72:75], s17
	scratch_store_b128 v76, v[68:71], off offset:-16
.LBB113_318:
	global_load_b32 v1, v1, s[8:9] offset:184
	s_wait_loadcnt 0x0
	v_cmp_eq_u32_e32 vcc_lo, 47, v1
	s_cbranch_vccnz .LBB113_320
; %bb.319:
	s_wait_xcnt 0x0
	v_lshlrev_b32_e32 v1, 4, v1
	s_clause 0x1
	scratch_load_b128 v[68:71], off, s19
	scratch_load_b128 v[72:75], v1, off offset:-16
	s_wait_loadcnt 0x1
	ds_store_2addr_b64 v0, v[68:69], v[70:71] offset1:1
	s_wait_loadcnt 0x0
	s_clause 0x1
	scratch_store_b128 off, v[72:75], s19
	scratch_store_b128 v1, v[68:71], off offset:-16
.LBB113_320:
	s_wait_xcnt 0x0
	v_mov_b32_e32 v1, 0
	global_load_b32 v68, v1, s[8:9] offset:180
	s_wait_loadcnt 0x0
	v_cmp_eq_u32_e32 vcc_lo, 46, v68
	s_cbranch_vccnz .LBB113_322
; %bb.321:
	v_lshlrev_b32_e32 v68, 4, v68
	s_delay_alu instid0(VALU_DEP_1)
	v_mov_b32_e32 v76, v68
	s_clause 0x1
	scratch_load_b128 v[68:71], off, s20
	scratch_load_b128 v[72:75], v76, off offset:-16
	s_wait_loadcnt 0x1
	ds_store_2addr_b64 v0, v[68:69], v[70:71] offset1:1
	s_wait_loadcnt 0x0
	s_clause 0x1
	scratch_store_b128 off, v[72:75], s20
	scratch_store_b128 v76, v[68:71], off offset:-16
.LBB113_322:
	global_load_b32 v1, v1, s[8:9] offset:176
	s_wait_loadcnt 0x0
	v_cmp_eq_u32_e32 vcc_lo, 45, v1
	s_cbranch_vccnz .LBB113_324
; %bb.323:
	s_wait_xcnt 0x0
	v_lshlrev_b32_e32 v1, 4, v1
	s_clause 0x1
	scratch_load_b128 v[68:71], off, s21
	scratch_load_b128 v[72:75], v1, off offset:-16
	s_wait_loadcnt 0x1
	ds_store_2addr_b64 v0, v[68:69], v[70:71] offset1:1
	s_wait_loadcnt 0x0
	s_clause 0x1
	scratch_store_b128 off, v[72:75], s21
	scratch_store_b128 v1, v[68:71], off offset:-16
.LBB113_324:
	;; [unrolled: 37-line block ×23, first 2 shown]
	s_wait_xcnt 0x0
	v_mov_b32_e32 v1, 0
	global_load_b32 v68, v1, s[8:9] offset:4
	s_wait_loadcnt 0x0
	v_cmp_eq_u32_e32 vcc_lo, 2, v68
	s_cbranch_vccnz .LBB113_410
; %bb.409:
	v_lshlrev_b32_e32 v68, 4, v68
	s_delay_alu instid0(VALU_DEP_1)
	v_mov_b32_e32 v76, v68
	s_clause 0x1
	scratch_load_b128 v[68:71], off, s18
	scratch_load_b128 v[72:75], v76, off offset:-16
	s_wait_loadcnt 0x1
	ds_store_2addr_b64 v0, v[68:69], v[70:71] offset1:1
	s_wait_loadcnt 0x0
	s_clause 0x1
	scratch_store_b128 off, v[72:75], s18
	scratch_store_b128 v76, v[68:71], off offset:-16
.LBB113_410:
	global_load_b32 v1, v1, s[8:9]
	s_wait_loadcnt 0x0
	v_cmp_eq_u32_e32 vcc_lo, 1, v1
	s_cbranch_vccnz .LBB113_412
; %bb.411:
	s_wait_xcnt 0x0
	v_lshlrev_b32_e32 v1, 4, v1
	scratch_load_b128 v[68:71], off, off
	scratch_load_b128 v[72:75], v1, off offset:-16
	s_wait_loadcnt 0x1
	ds_store_2addr_b64 v0, v[68:69], v[70:71] offset1:1
	s_wait_loadcnt 0x0
	scratch_store_b128 off, v[72:75], off
	scratch_store_b128 v1, v[68:71], off offset:-16
.LBB113_412:
	scratch_load_b128 v[68:71], off, off
	s_wait_loadcnt 0x0
	flat_store_b128 v[24:25], v[68:71]
	scratch_load_b128 v[68:71], off, s18
	s_wait_loadcnt 0x0
	flat_store_b128 v[26:27], v[68:71]
	scratch_load_b128 v[24:27], off, s16
	;; [unrolled: 3-line block ×49, first 2 shown]
	s_wait_loadcnt 0x0
	flat_store_b128 v[2:3], v[4:7]
	s_sendmsg sendmsg(MSG_DEALLOC_VGPRS)
	s_endpgm
	.section	.rodata,"a",@progbits
	.p2align	6, 0x0
	.amdhsa_kernel _ZN9rocsolver6v33100L18getri_kernel_smallILi50E19rocblas_complex_numIdEPKPS3_EEvT1_iilPiilS8_bb
		.amdhsa_group_segment_fixed_size 2632
		.amdhsa_private_segment_fixed_size 816
		.amdhsa_kernarg_size 60
		.amdhsa_user_sgpr_count 4
		.amdhsa_user_sgpr_dispatch_ptr 1
		.amdhsa_user_sgpr_queue_ptr 0
		.amdhsa_user_sgpr_kernarg_segment_ptr 1
		.amdhsa_user_sgpr_dispatch_id 0
		.amdhsa_user_sgpr_kernarg_preload_length 0
		.amdhsa_user_sgpr_kernarg_preload_offset 0
		.amdhsa_user_sgpr_private_segment_size 0
		.amdhsa_wavefront_size32 1
		.amdhsa_uses_dynamic_stack 0
		.amdhsa_enable_private_segment 1
		.amdhsa_system_sgpr_workgroup_id_x 1
		.amdhsa_system_sgpr_workgroup_id_y 0
		.amdhsa_system_sgpr_workgroup_id_z 0
		.amdhsa_system_sgpr_workgroup_info 0
		.amdhsa_system_vgpr_workitem_id 2
		.amdhsa_next_free_vgpr 182
		.amdhsa_next_free_sgpr 85
		.amdhsa_named_barrier_count 0
		.amdhsa_reserve_vcc 1
		.amdhsa_float_round_mode_32 0
		.amdhsa_float_round_mode_16_64 0
		.amdhsa_float_denorm_mode_32 3
		.amdhsa_float_denorm_mode_16_64 3
		.amdhsa_fp16_overflow 0
		.amdhsa_memory_ordered 1
		.amdhsa_forward_progress 1
		.amdhsa_inst_pref_size 255
		.amdhsa_round_robin_scheduling 0
		.amdhsa_exception_fp_ieee_invalid_op 0
		.amdhsa_exception_fp_denorm_src 0
		.amdhsa_exception_fp_ieee_div_zero 0
		.amdhsa_exception_fp_ieee_overflow 0
		.amdhsa_exception_fp_ieee_underflow 0
		.amdhsa_exception_fp_ieee_inexact 0
		.amdhsa_exception_int_div_zero 0
	.end_amdhsa_kernel
	.section	.text._ZN9rocsolver6v33100L18getri_kernel_smallILi50E19rocblas_complex_numIdEPKPS3_EEvT1_iilPiilS8_bb,"axG",@progbits,_ZN9rocsolver6v33100L18getri_kernel_smallILi50E19rocblas_complex_numIdEPKPS3_EEvT1_iilPiilS8_bb,comdat
.Lfunc_end113:
	.size	_ZN9rocsolver6v33100L18getri_kernel_smallILi50E19rocblas_complex_numIdEPKPS3_EEvT1_iilPiilS8_bb, .Lfunc_end113-_ZN9rocsolver6v33100L18getri_kernel_smallILi50E19rocblas_complex_numIdEPKPS3_EEvT1_iilPiilS8_bb
                                        ; -- End function
	.set _ZN9rocsolver6v33100L18getri_kernel_smallILi50E19rocblas_complex_numIdEPKPS3_EEvT1_iilPiilS8_bb.num_vgpr, 182
	.set _ZN9rocsolver6v33100L18getri_kernel_smallILi50E19rocblas_complex_numIdEPKPS3_EEvT1_iilPiilS8_bb.num_agpr, 0
	.set _ZN9rocsolver6v33100L18getri_kernel_smallILi50E19rocblas_complex_numIdEPKPS3_EEvT1_iilPiilS8_bb.numbered_sgpr, 85
	.set _ZN9rocsolver6v33100L18getri_kernel_smallILi50E19rocblas_complex_numIdEPKPS3_EEvT1_iilPiilS8_bb.num_named_barrier, 0
	.set _ZN9rocsolver6v33100L18getri_kernel_smallILi50E19rocblas_complex_numIdEPKPS3_EEvT1_iilPiilS8_bb.private_seg_size, 816
	.set _ZN9rocsolver6v33100L18getri_kernel_smallILi50E19rocblas_complex_numIdEPKPS3_EEvT1_iilPiilS8_bb.uses_vcc, 1
	.set _ZN9rocsolver6v33100L18getri_kernel_smallILi50E19rocblas_complex_numIdEPKPS3_EEvT1_iilPiilS8_bb.uses_flat_scratch, 1
	.set _ZN9rocsolver6v33100L18getri_kernel_smallILi50E19rocblas_complex_numIdEPKPS3_EEvT1_iilPiilS8_bb.has_dyn_sized_stack, 0
	.set _ZN9rocsolver6v33100L18getri_kernel_smallILi50E19rocblas_complex_numIdEPKPS3_EEvT1_iilPiilS8_bb.has_recursion, 0
	.set _ZN9rocsolver6v33100L18getri_kernel_smallILi50E19rocblas_complex_numIdEPKPS3_EEvT1_iilPiilS8_bb.has_indirect_call, 0
	.section	.AMDGPU.csdata,"",@progbits
; Kernel info:
; codeLenInByte = 94772
; TotalNumSgprs: 87
; NumVgprs: 182
; ScratchSize: 816
; MemoryBound: 0
; FloatMode: 240
; IeeeMode: 1
; LDSByteSize: 2632 bytes/workgroup (compile time only)
; SGPRBlocks: 0
; VGPRBlocks: 11
; NumSGPRsForWavesPerEU: 87
; NumVGPRsForWavesPerEU: 182
; NamedBarCnt: 0
; Occupancy: 5
; WaveLimiterHint : 1
; COMPUTE_PGM_RSRC2:SCRATCH_EN: 1
; COMPUTE_PGM_RSRC2:USER_SGPR: 4
; COMPUTE_PGM_RSRC2:TRAP_HANDLER: 0
; COMPUTE_PGM_RSRC2:TGID_X_EN: 1
; COMPUTE_PGM_RSRC2:TGID_Y_EN: 0
; COMPUTE_PGM_RSRC2:TGID_Z_EN: 0
; COMPUTE_PGM_RSRC2:TIDIG_COMP_CNT: 2
	.section	.text._ZN9rocsolver6v33100L18getri_kernel_smallILi51E19rocblas_complex_numIdEPKPS3_EEvT1_iilPiilS8_bb,"axG",@progbits,_ZN9rocsolver6v33100L18getri_kernel_smallILi51E19rocblas_complex_numIdEPKPS3_EEvT1_iilPiilS8_bb,comdat
	.globl	_ZN9rocsolver6v33100L18getri_kernel_smallILi51E19rocblas_complex_numIdEPKPS3_EEvT1_iilPiilS8_bb ; -- Begin function _ZN9rocsolver6v33100L18getri_kernel_smallILi51E19rocblas_complex_numIdEPKPS3_EEvT1_iilPiilS8_bb
	.p2align	8
	.type	_ZN9rocsolver6v33100L18getri_kernel_smallILi51E19rocblas_complex_numIdEPKPS3_EEvT1_iilPiilS8_bb,@function
_ZN9rocsolver6v33100L18getri_kernel_smallILi51E19rocblas_complex_numIdEPKPS3_EEvT1_iilPiilS8_bb: ; @_ZN9rocsolver6v33100L18getri_kernel_smallILi51E19rocblas_complex_numIdEPKPS3_EEvT1_iilPiilS8_bb
; %bb.0:
	v_and_b32_e32 v1, 0x3ff, v0
	s_mov_b32 s4, exec_lo
	s_delay_alu instid0(VALU_DEP_1)
	v_cmpx_gt_u32_e32 51, v1
	s_cbranch_execz .LBB114_218
; %bb.1:
	s_clause 0x1
	s_load_b32 s16, s[2:3], 0x38
	s_load_b64 s[8:9], s[2:3], 0x0
	s_getreg_b32 s6, hwreg(HW_REG_IB_STS2, 6, 4)
	s_wait_kmcnt 0x0
	s_bitcmp1_b32 s16, 8
	s_cselect_b32 s63, -1, 0
	s_bfe_u32 s4, ttmp6, 0x4000c
	s_and_b32 s5, ttmp6, 15
	s_add_co_i32 s4, s4, 1
	s_delay_alu instid0(SALU_CYCLE_1) | instskip(NEXT) | instid1(SALU_CYCLE_1)
	s_mul_i32 s4, ttmp9, s4
	s_add_co_i32 s5, s5, s4
	s_cmp_eq_u32 s6, 0
	s_cselect_b32 s10, ttmp9, s5
	s_load_b128 s[4:7], s[2:3], 0x28
	s_ashr_i32 s11, s10, 31
	s_delay_alu instid0(SALU_CYCLE_1) | instskip(NEXT) | instid1(SALU_CYCLE_1)
	s_lshl_b64 s[12:13], s[10:11], 3
	s_add_nc_u64 s[8:9], s[8:9], s[12:13]
	s_load_b64 s[14:15], s[8:9], 0x0
	s_wait_xcnt 0x0
	s_bfe_u32 s8, s16, 0x10008
	s_delay_alu instid0(SALU_CYCLE_1)
	s_cmp_eq_u32 s8, 0
                                        ; implicit-def: $sgpr8_sgpr9
	s_cbranch_scc1 .LBB114_3
; %bb.2:
	s_load_b96 s[16:18], s[2:3], 0x18
	s_wait_kmcnt 0x0
	s_mul_u64 s[4:5], s[4:5], s[10:11]
	s_delay_alu instid0(SALU_CYCLE_1) | instskip(SKIP_4) | instid1(SALU_CYCLE_1)
	s_lshl_b64 s[4:5], s[4:5], 2
	s_ashr_i32 s9, s18, 31
	s_mov_b32 s8, s18
	s_add_nc_u64 s[4:5], s[16:17], s[4:5]
	s_lshl_b64 s[8:9], s[8:9], 2
	s_add_nc_u64 s[8:9], s[4:5], s[8:9]
.LBB114_3:
	s_clause 0x1
	s_load_b64 s[12:13], s[2:3], 0x8
	s_load_b32 s64, s[2:3], 0x38
	v_dual_mov_b32 v15, 0 :: v_dual_lshlrev_b32 v14, 4, v1
	s_movk_i32 s65, 0x1d0
	s_movk_i32 s66, 0x1e0
	;; [unrolled: 1-line block ×16, first 2 shown]
	s_wait_kmcnt 0x0
	s_ashr_i32 s3, s12, 31
	s_mov_b32 s2, s12
	v_add3_u32 v28, s13, s13, v1
	s_lshl_b64 s[2:3], s[2:3], 4
	s_movk_i32 s81, 0x2d0
	s_add_nc_u64 s[4:5], s[14:15], s[2:3]
	s_ashr_i32 s3, s13, 31
	flat_load_b128 v[2:5], v1, s[4:5] scale_offset
	v_add_nc_u64_e32 v[24:25], s[4:5], v[14:15]
	s_mov_b32 s2, s13
	v_add_nc_u32_e32 v30, s13, v28
	s_movk_i32 s82, 0x2e0
	s_movk_i32 s83, 0x2f0
	;; [unrolled: 1-line block ×4, first 2 shown]
	v_lshl_add_u64 v[26:27], s[2:3], 4, v[24:25]
	v_add_nc_u32_e32 v32, s13, v30
	s_movk_i32 s86, 0x320
	s_mov_b32 s18, 16
	s_mov_b32 s16, 32
	;; [unrolled: 1-line block ×3, first 2 shown]
	v_add_nc_u32_e32 v34, s13, v32
	s_mov_b32 s12, 64
	s_movk_i32 s62, 0x50
	s_movk_i32 s61, 0x60
	s_movk_i32 s60, 0x70
	v_add_nc_u32_e32 v36, s13, v34
	s_movk_i32 s59, 0x80
	s_movk_i32 s58, 0x90
	s_movk_i32 s57, 0xa0
	s_movk_i32 s56, 0xb0
	v_add_nc_u32_e32 v38, s13, v36
	s_movk_i32 s55, 0xc0
	;; [unrolled: 5-line block ×6, first 2 shown]
	s_mov_b32 s38, s65
	s_mov_b32 s37, s66
	s_mov_b32 s36, s67
	v_add_nc_u32_e32 v48, s13, v46
	s_mov_b32 s35, s68
	s_mov_b32 s34, s69
	s_mov_b32 s33, s70
	s_mov_b32 s31, s71
	v_add_nc_u32_e32 v50, s13, v48
	s_mov_b32 s30, s72
	;; [unrolled: 5-line block ×5, first 2 shown]
	s_mov_b32 s15, s85
	s_bitcmp0_b32 s64, 0
	s_mov_b32 s3, -1
	v_add_nc_u32_e32 v58, s13, v56
	s_delay_alu instid0(VALU_DEP_1) | instskip(NEXT) | instid1(VALU_DEP_1)
	v_add_nc_u32_e32 v60, s13, v58
	v_add_nc_u32_e32 v62, s13, v60
	s_delay_alu instid0(VALU_DEP_1) | instskip(NEXT) | instid1(VALU_DEP_1)
	v_add_nc_u32_e32 v66, s13, v62
	;; [unrolled: 3-line block ×16, first 2 shown]
	v_add_nc_u32_e32 v122, s13, v120
	s_delay_alu instid0(VALU_DEP_1)
	v_add_nc_u32_e32 v124, s13, v122
	s_mov_b32 s13, s86
	s_wait_loadcnt_dscnt 0x0
	scratch_store_b128 off, v[2:5], off
	flat_load_b128 v[2:5], v[26:27]
	s_wait_loadcnt_dscnt 0x0
	scratch_store_b128 off, v[2:5], off offset:16
	flat_load_b128 v[2:5], v28, s[4:5] scale_offset
	s_wait_loadcnt_dscnt 0x0
	scratch_store_b128 off, v[2:5], off offset:32
	flat_load_b128 v[2:5], v30, s[4:5] scale_offset
	;; [unrolled: 3-line block ×49, first 2 shown]
	s_wait_loadcnt_dscnt 0x0
	scratch_store_b128 off, v[2:5], off offset:800
	s_cbranch_scc1 .LBB114_216
; %bb.4:
	v_cmp_eq_u32_e64 s2, 0, v1
	s_wait_xcnt 0x0
	s_and_saveexec_b32 s3, s2
; %bb.5:
	v_mov_b32_e32 v2, 0
	ds_store_b32 v2, v2 offset:1632
; %bb.6:
	s_or_b32 exec_lo, exec_lo, s3
	s_wait_storecnt_dscnt 0x0
	s_barrier_signal -1
	s_barrier_wait -1
	scratch_load_b128 v[2:5], v1, off scale_offset
	s_wait_loadcnt 0x0
	v_cmp_eq_f64_e32 vcc_lo, 0, v[2:3]
	v_cmp_eq_f64_e64 s3, 0, v[4:5]
	s_and_b32 s3, vcc_lo, s3
	s_delay_alu instid0(SALU_CYCLE_1)
	s_and_saveexec_b32 s64, s3
	s_cbranch_execz .LBB114_10
; %bb.7:
	v_mov_b32_e32 v2, 0
	s_mov_b32 s65, 0
	ds_load_b32 v3, v2 offset:1632
	s_wait_dscnt 0x0
	v_readfirstlane_b32 s3, v3
	v_add_nc_u32_e32 v3, 1, v1
	s_cmp_eq_u32 s3, 0
	s_delay_alu instid0(VALU_DEP_1) | instskip(SKIP_1) | instid1(SALU_CYCLE_1)
	v_cmp_gt_i32_e32 vcc_lo, s3, v3
	s_cselect_b32 s66, -1, 0
	s_or_b32 s66, s66, vcc_lo
	s_delay_alu instid0(SALU_CYCLE_1)
	s_and_b32 exec_lo, exec_lo, s66
	s_cbranch_execz .LBB114_10
; %bb.8:
	v_mov_b32_e32 v4, s3
.LBB114_9:                              ; =>This Inner Loop Header: Depth=1
	ds_cmpstore_rtn_b32 v4, v2, v3, v4 offset:1632
	s_wait_dscnt 0x0
	v_cmp_ne_u32_e32 vcc_lo, 0, v4
	v_cmp_le_i32_e64 s3, v4, v3
	s_and_b32 s3, vcc_lo, s3
	s_delay_alu instid0(SALU_CYCLE_1) | instskip(NEXT) | instid1(SALU_CYCLE_1)
	s_and_b32 s3, exec_lo, s3
	s_or_b32 s65, s3, s65
	s_delay_alu instid0(SALU_CYCLE_1)
	s_and_not1_b32 exec_lo, exec_lo, s65
	s_cbranch_execnz .LBB114_9
.LBB114_10:
	s_or_b32 exec_lo, exec_lo, s64
	v_mov_b32_e32 v2, 0
	s_barrier_signal -1
	s_barrier_wait -1
	ds_load_b32 v3, v2 offset:1632
	s_and_saveexec_b32 s3, s2
	s_cbranch_execz .LBB114_12
; %bb.11:
	s_lshl_b64 s[64:65], s[10:11], 2
	s_delay_alu instid0(SALU_CYCLE_1)
	s_add_nc_u64 s[64:65], s[6:7], s[64:65]
	s_wait_dscnt 0x0
	global_store_b32 v2, v3, s[64:65]
.LBB114_12:
	s_wait_xcnt 0x0
	s_or_b32 exec_lo, exec_lo, s3
	s_wait_dscnt 0x0
	v_cmp_ne_u32_e32 vcc_lo, 0, v3
	s_mov_b32 s3, 0
	s_cbranch_vccnz .LBB114_216
; %bb.13:
	v_lshl_add_u32 v15, v1, 4, 0
                                        ; implicit-def: $vgpr6_vgpr7
                                        ; implicit-def: $vgpr10_vgpr11
	scratch_load_b128 v[2:5], v15, off
	s_wait_loadcnt 0x0
	v_cmp_ngt_f64_e64 s3, |v[2:3]|, |v[4:5]|
	s_wait_xcnt 0x0
	s_and_saveexec_b32 s64, s3
	s_delay_alu instid0(SALU_CYCLE_1)
	s_xor_b32 s3, exec_lo, s64
	s_cbranch_execz .LBB114_15
; %bb.14:
	v_div_scale_f64 v[6:7], null, v[4:5], v[4:5], v[2:3]
	v_div_scale_f64 v[12:13], vcc_lo, v[2:3], v[4:5], v[2:3]
	s_delay_alu instid0(VALU_DEP_2) | instskip(SKIP_1) | instid1(TRANS32_DEP_1)
	v_rcp_f64_e32 v[8:9], v[6:7]
	v_nop
	v_fma_f64 v[10:11], -v[6:7], v[8:9], 1.0
	s_delay_alu instid0(VALU_DEP_1) | instskip(NEXT) | instid1(VALU_DEP_1)
	v_fmac_f64_e32 v[8:9], v[8:9], v[10:11]
	v_fma_f64 v[10:11], -v[6:7], v[8:9], 1.0
	s_delay_alu instid0(VALU_DEP_1) | instskip(NEXT) | instid1(VALU_DEP_1)
	v_fmac_f64_e32 v[8:9], v[8:9], v[10:11]
	v_mul_f64_e32 v[10:11], v[12:13], v[8:9]
	s_delay_alu instid0(VALU_DEP_1) | instskip(NEXT) | instid1(VALU_DEP_1)
	v_fma_f64 v[6:7], -v[6:7], v[10:11], v[12:13]
	v_div_fmas_f64 v[6:7], v[6:7], v[8:9], v[10:11]
	s_delay_alu instid0(VALU_DEP_1) | instskip(NEXT) | instid1(VALU_DEP_1)
	v_div_fixup_f64 v[6:7], v[6:7], v[4:5], v[2:3]
	v_fmac_f64_e32 v[4:5], v[2:3], v[6:7]
	s_delay_alu instid0(VALU_DEP_1) | instskip(SKIP_1) | instid1(VALU_DEP_2)
	v_div_scale_f64 v[2:3], null, v[4:5], v[4:5], 1.0
	v_div_scale_f64 v[12:13], vcc_lo, 1.0, v[4:5], 1.0
	v_rcp_f64_e32 v[8:9], v[2:3]
	v_nop
	s_delay_alu instid0(TRANS32_DEP_1) | instskip(NEXT) | instid1(VALU_DEP_1)
	v_fma_f64 v[10:11], -v[2:3], v[8:9], 1.0
	v_fmac_f64_e32 v[8:9], v[8:9], v[10:11]
	s_delay_alu instid0(VALU_DEP_1) | instskip(NEXT) | instid1(VALU_DEP_1)
	v_fma_f64 v[10:11], -v[2:3], v[8:9], 1.0
	v_fmac_f64_e32 v[8:9], v[8:9], v[10:11]
	s_delay_alu instid0(VALU_DEP_1) | instskip(NEXT) | instid1(VALU_DEP_1)
	v_mul_f64_e32 v[10:11], v[12:13], v[8:9]
	v_fma_f64 v[2:3], -v[2:3], v[10:11], v[12:13]
	s_delay_alu instid0(VALU_DEP_1) | instskip(NEXT) | instid1(VALU_DEP_1)
	v_div_fmas_f64 v[2:3], v[2:3], v[8:9], v[10:11]
	v_div_fixup_f64 v[8:9], v[2:3], v[4:5], 1.0
                                        ; implicit-def: $vgpr2_vgpr3
	s_delay_alu instid0(VALU_DEP_1) | instskip(SKIP_1) | instid1(VALU_DEP_2)
	v_mul_f64_e32 v[6:7], v[6:7], v[8:9]
	v_xor_b32_e32 v9, 0x80000000, v9
	v_xor_b32_e32 v11, 0x80000000, v7
	s_delay_alu instid0(VALU_DEP_3)
	v_mov_b32_e32 v10, v6
.LBB114_15:
	s_and_not1_saveexec_b32 s3, s3
	s_cbranch_execz .LBB114_17
; %bb.16:
	v_div_scale_f64 v[6:7], null, v[2:3], v[2:3], v[4:5]
	v_div_scale_f64 v[12:13], vcc_lo, v[4:5], v[2:3], v[4:5]
	s_delay_alu instid0(VALU_DEP_2) | instskip(SKIP_1) | instid1(TRANS32_DEP_1)
	v_rcp_f64_e32 v[8:9], v[6:7]
	v_nop
	v_fma_f64 v[10:11], -v[6:7], v[8:9], 1.0
	s_delay_alu instid0(VALU_DEP_1) | instskip(NEXT) | instid1(VALU_DEP_1)
	v_fmac_f64_e32 v[8:9], v[8:9], v[10:11]
	v_fma_f64 v[10:11], -v[6:7], v[8:9], 1.0
	s_delay_alu instid0(VALU_DEP_1) | instskip(NEXT) | instid1(VALU_DEP_1)
	v_fmac_f64_e32 v[8:9], v[8:9], v[10:11]
	v_mul_f64_e32 v[10:11], v[12:13], v[8:9]
	s_delay_alu instid0(VALU_DEP_1) | instskip(NEXT) | instid1(VALU_DEP_1)
	v_fma_f64 v[6:7], -v[6:7], v[10:11], v[12:13]
	v_div_fmas_f64 v[6:7], v[6:7], v[8:9], v[10:11]
	s_delay_alu instid0(VALU_DEP_1) | instskip(NEXT) | instid1(VALU_DEP_1)
	v_div_fixup_f64 v[8:9], v[6:7], v[2:3], v[4:5]
	v_fmac_f64_e32 v[2:3], v[4:5], v[8:9]
	s_delay_alu instid0(VALU_DEP_1) | instskip(NEXT) | instid1(VALU_DEP_1)
	v_div_scale_f64 v[4:5], null, v[2:3], v[2:3], 1.0
	v_rcp_f64_e32 v[6:7], v[4:5]
	v_nop
	s_delay_alu instid0(TRANS32_DEP_1) | instskip(NEXT) | instid1(VALU_DEP_1)
	v_fma_f64 v[10:11], -v[4:5], v[6:7], 1.0
	v_fmac_f64_e32 v[6:7], v[6:7], v[10:11]
	s_delay_alu instid0(VALU_DEP_1) | instskip(NEXT) | instid1(VALU_DEP_1)
	v_fma_f64 v[10:11], -v[4:5], v[6:7], 1.0
	v_fmac_f64_e32 v[6:7], v[6:7], v[10:11]
	v_div_scale_f64 v[10:11], vcc_lo, 1.0, v[2:3], 1.0
	s_delay_alu instid0(VALU_DEP_1) | instskip(NEXT) | instid1(VALU_DEP_1)
	v_mul_f64_e32 v[12:13], v[10:11], v[6:7]
	v_fma_f64 v[4:5], -v[4:5], v[12:13], v[10:11]
	s_delay_alu instid0(VALU_DEP_1) | instskip(NEXT) | instid1(VALU_DEP_1)
	v_div_fmas_f64 v[4:5], v[4:5], v[6:7], v[12:13]
	v_div_fixup_f64 v[6:7], v[4:5], v[2:3], 1.0
	s_delay_alu instid0(VALU_DEP_1)
	v_mul_f64_e64 v[8:9], v[8:9], -v[6:7]
	v_xor_b32_e32 v11, 0x80000000, v7
	v_mov_b32_e32 v10, v6
.LBB114_17:
	s_or_b32 exec_lo, exec_lo, s3
	s_clause 0x1
	scratch_store_b128 v15, v[6:9], off
	scratch_load_b128 v[2:5], off, s18
	v_xor_b32_e32 v13, 0x80000000, v9
	v_mov_b32_e32 v12, v8
	s_wait_xcnt 0x1
	v_add_nc_u32_e32 v6, 0x330, v14
	ds_store_b128 v14, v[10:13]
	s_wait_loadcnt 0x0
	ds_store_b128 v14, v[2:5] offset:816
	s_wait_storecnt_dscnt 0x0
	s_barrier_signal -1
	s_barrier_wait -1
	s_wait_xcnt 0x0
	s_and_saveexec_b32 s3, s2
	s_cbranch_execz .LBB114_19
; %bb.18:
	scratch_load_b128 v[2:5], v15, off
	ds_load_b128 v[8:11], v6
	v_mov_b32_e32 v7, 0
	ds_load_b128 v[16:19], v7 offset:16
	s_wait_loadcnt_dscnt 0x1
	v_mul_f64_e32 v[12:13], v[8:9], v[4:5]
	v_mul_f64_e32 v[4:5], v[10:11], v[4:5]
	s_delay_alu instid0(VALU_DEP_2) | instskip(NEXT) | instid1(VALU_DEP_2)
	v_fmac_f64_e32 v[12:13], v[10:11], v[2:3]
	v_fma_f64 v[2:3], v[8:9], v[2:3], -v[4:5]
	s_delay_alu instid0(VALU_DEP_2) | instskip(NEXT) | instid1(VALU_DEP_2)
	v_add_f64_e32 v[8:9], 0, v[12:13]
	v_add_f64_e32 v[2:3], 0, v[2:3]
	s_wait_dscnt 0x0
	s_delay_alu instid0(VALU_DEP_2) | instskip(NEXT) | instid1(VALU_DEP_2)
	v_mul_f64_e32 v[10:11], v[8:9], v[18:19]
	v_mul_f64_e32 v[4:5], v[2:3], v[18:19]
	s_delay_alu instid0(VALU_DEP_2) | instskip(NEXT) | instid1(VALU_DEP_2)
	v_fma_f64 v[2:3], v[2:3], v[16:17], -v[10:11]
	v_fmac_f64_e32 v[4:5], v[8:9], v[16:17]
	scratch_store_b128 off, v[2:5], off offset:16
.LBB114_19:
	s_wait_xcnt 0x0
	s_or_b32 exec_lo, exec_lo, s3
	s_wait_storecnt 0x0
	s_barrier_signal -1
	s_barrier_wait -1
	scratch_load_b128 v[2:5], off, s16
	s_mov_b32 s3, exec_lo
	s_wait_loadcnt 0x0
	ds_store_b128 v6, v[2:5]
	s_wait_dscnt 0x0
	s_barrier_signal -1
	s_barrier_wait -1
	v_cmpx_gt_u32_e32 2, v1
	s_cbranch_execz .LBB114_23
; %bb.20:
	scratch_load_b128 v[2:5], v15, off
	ds_load_b128 v[8:11], v6
	s_wait_loadcnt_dscnt 0x0
	v_mul_f64_e32 v[12:13], v[10:11], v[4:5]
	v_mul_f64_e32 v[16:17], v[8:9], v[4:5]
	s_delay_alu instid0(VALU_DEP_2) | instskip(NEXT) | instid1(VALU_DEP_2)
	v_fma_f64 v[4:5], v[8:9], v[2:3], -v[12:13]
	v_fmac_f64_e32 v[16:17], v[10:11], v[2:3]
	s_delay_alu instid0(VALU_DEP_2) | instskip(NEXT) | instid1(VALU_DEP_2)
	v_add_f64_e32 v[4:5], 0, v[4:5]
	v_add_f64_e32 v[2:3], 0, v[16:17]
	s_and_saveexec_b32 s64, s2
	s_cbranch_execz .LBB114_22
; %bb.21:
	scratch_load_b128 v[8:11], off, off offset:16
	v_mov_b32_e32 v7, 0
	ds_load_b128 v[16:19], v7 offset:832
	s_wait_loadcnt_dscnt 0x0
	v_mul_f64_e32 v[12:13], v[16:17], v[10:11]
	v_mul_f64_e32 v[10:11], v[18:19], v[10:11]
	s_delay_alu instid0(VALU_DEP_2) | instskip(NEXT) | instid1(VALU_DEP_2)
	v_fmac_f64_e32 v[12:13], v[18:19], v[8:9]
	v_fma_f64 v[8:9], v[16:17], v[8:9], -v[10:11]
	s_delay_alu instid0(VALU_DEP_2) | instskip(NEXT) | instid1(VALU_DEP_2)
	v_add_f64_e32 v[2:3], v[2:3], v[12:13]
	v_add_f64_e32 v[4:5], v[4:5], v[8:9]
.LBB114_22:
	s_or_b32 exec_lo, exec_lo, s64
	v_mov_b32_e32 v7, 0
	ds_load_b128 v[8:11], v7 offset:32
	s_wait_dscnt 0x0
	v_mul_f64_e32 v[16:17], v[2:3], v[10:11]
	v_mul_f64_e32 v[12:13], v[4:5], v[10:11]
	s_delay_alu instid0(VALU_DEP_2) | instskip(NEXT) | instid1(VALU_DEP_2)
	v_fma_f64 v[10:11], v[4:5], v[8:9], -v[16:17]
	v_fmac_f64_e32 v[12:13], v[2:3], v[8:9]
	scratch_store_b128 off, v[10:13], off offset:32
.LBB114_23:
	s_wait_xcnt 0x0
	s_or_b32 exec_lo, exec_lo, s3
	s_wait_storecnt 0x0
	s_barrier_signal -1
	s_barrier_wait -1
	scratch_load_b128 v[2:5], off, s14
	v_add_nc_u32_e32 v7, -1, v1
	s_mov_b32 s2, exec_lo
	s_wait_loadcnt 0x0
	ds_store_b128 v6, v[2:5]
	s_wait_dscnt 0x0
	s_barrier_signal -1
	s_barrier_wait -1
	v_cmpx_gt_u32_e32 3, v1
	s_cbranch_execz .LBB114_27
; %bb.24:
	v_dual_mov_b32 v10, v14 :: v_dual_add_nc_u32 v8, -1, v1
	v_mov_b64_e32 v[2:3], 0
	v_mov_b64_e32 v[4:5], 0
	v_add_nc_u32_e32 v9, 0x330, v14
	s_delay_alu instid0(VALU_DEP_4)
	v_or_b32_e32 v10, 8, v10
	s_mov_b32 s3, 0
.LBB114_25:                             ; =>This Inner Loop Header: Depth=1
	scratch_load_b128 v[16:19], v10, off offset:-8
	ds_load_b128 v[20:23], v9
	v_dual_add_nc_u32 v8, 1, v8 :: v_dual_add_nc_u32 v9, 16, v9
	s_wait_xcnt 0x0
	v_add_nc_u32_e32 v10, 16, v10
	s_delay_alu instid0(VALU_DEP_2) | instskip(SKIP_4) | instid1(VALU_DEP_2)
	v_cmp_lt_u32_e32 vcc_lo, 1, v8
	s_or_b32 s3, vcc_lo, s3
	s_wait_loadcnt_dscnt 0x0
	v_mul_f64_e32 v[12:13], v[22:23], v[18:19]
	v_mul_f64_e32 v[18:19], v[20:21], v[18:19]
	v_fma_f64 v[12:13], v[20:21], v[16:17], -v[12:13]
	s_delay_alu instid0(VALU_DEP_2) | instskip(NEXT) | instid1(VALU_DEP_2)
	v_fmac_f64_e32 v[18:19], v[22:23], v[16:17]
	v_add_f64_e32 v[4:5], v[4:5], v[12:13]
	s_delay_alu instid0(VALU_DEP_2)
	v_add_f64_e32 v[2:3], v[2:3], v[18:19]
	s_and_not1_b32 exec_lo, exec_lo, s3
	s_cbranch_execnz .LBB114_25
; %bb.26:
	s_or_b32 exec_lo, exec_lo, s3
	v_mov_b32_e32 v8, 0
	ds_load_b128 v[8:11], v8 offset:48
	s_wait_dscnt 0x0
	v_mul_f64_e32 v[16:17], v[2:3], v[10:11]
	v_mul_f64_e32 v[12:13], v[4:5], v[10:11]
	s_delay_alu instid0(VALU_DEP_2) | instskip(NEXT) | instid1(VALU_DEP_2)
	v_fma_f64 v[10:11], v[4:5], v[8:9], -v[16:17]
	v_fmac_f64_e32 v[12:13], v[2:3], v[8:9]
	scratch_store_b128 off, v[10:13], off offset:48
.LBB114_27:
	s_wait_xcnt 0x0
	s_or_b32 exec_lo, exec_lo, s2
	s_wait_storecnt 0x0
	s_barrier_signal -1
	s_barrier_wait -1
	scratch_load_b128 v[2:5], off, s12
	s_mov_b32 s2, exec_lo
	s_wait_loadcnt 0x0
	ds_store_b128 v6, v[2:5]
	s_wait_dscnt 0x0
	s_barrier_signal -1
	s_barrier_wait -1
	v_cmpx_gt_u32_e32 4, v1
	s_cbranch_execz .LBB114_31
; %bb.28:
	v_dual_mov_b32 v10, v14 :: v_dual_add_nc_u32 v8, -1, v1
	v_mov_b64_e32 v[2:3], 0
	v_mov_b64_e32 v[4:5], 0
	v_add_nc_u32_e32 v9, 0x330, v14
	s_delay_alu instid0(VALU_DEP_4)
	v_or_b32_e32 v10, 8, v10
	s_mov_b32 s3, 0
.LBB114_29:                             ; =>This Inner Loop Header: Depth=1
	scratch_load_b128 v[16:19], v10, off offset:-8
	ds_load_b128 v[20:23], v9
	v_dual_add_nc_u32 v8, 1, v8 :: v_dual_add_nc_u32 v9, 16, v9
	s_wait_xcnt 0x0
	v_add_nc_u32_e32 v10, 16, v10
	s_delay_alu instid0(VALU_DEP_2) | instskip(SKIP_4) | instid1(VALU_DEP_2)
	v_cmp_lt_u32_e32 vcc_lo, 2, v8
	s_or_b32 s3, vcc_lo, s3
	s_wait_loadcnt_dscnt 0x0
	v_mul_f64_e32 v[12:13], v[22:23], v[18:19]
	v_mul_f64_e32 v[18:19], v[20:21], v[18:19]
	v_fma_f64 v[12:13], v[20:21], v[16:17], -v[12:13]
	s_delay_alu instid0(VALU_DEP_2) | instskip(NEXT) | instid1(VALU_DEP_2)
	v_fmac_f64_e32 v[18:19], v[22:23], v[16:17]
	v_add_f64_e32 v[4:5], v[4:5], v[12:13]
	s_delay_alu instid0(VALU_DEP_2)
	v_add_f64_e32 v[2:3], v[2:3], v[18:19]
	s_and_not1_b32 exec_lo, exec_lo, s3
	s_cbranch_execnz .LBB114_29
; %bb.30:
	s_or_b32 exec_lo, exec_lo, s3
	v_mov_b32_e32 v8, 0
	ds_load_b128 v[8:11], v8 offset:64
	s_wait_dscnt 0x0
	v_mul_f64_e32 v[16:17], v[2:3], v[10:11]
	v_mul_f64_e32 v[12:13], v[4:5], v[10:11]
	s_delay_alu instid0(VALU_DEP_2) | instskip(NEXT) | instid1(VALU_DEP_2)
	v_fma_f64 v[10:11], v[4:5], v[8:9], -v[16:17]
	v_fmac_f64_e32 v[12:13], v[2:3], v[8:9]
	scratch_store_b128 off, v[10:13], off offset:64
.LBB114_31:
	s_wait_xcnt 0x0
	s_or_b32 exec_lo, exec_lo, s2
	s_wait_storecnt 0x0
	s_barrier_signal -1
	s_barrier_wait -1
	scratch_load_b128 v[2:5], off, s62
	;; [unrolled: 54-line block ×19, first 2 shown]
	s_mov_b32 s2, exec_lo
	s_wait_loadcnt 0x0
	ds_store_b128 v6, v[2:5]
	s_wait_dscnt 0x0
	s_barrier_signal -1
	s_barrier_wait -1
	v_cmpx_gt_u32_e32 22, v1
	s_cbranch_execz .LBB114_103
; %bb.100:
	v_dual_mov_b32 v10, v14 :: v_dual_add_nc_u32 v8, -1, v1
	v_mov_b64_e32 v[2:3], 0
	v_mov_b64_e32 v[4:5], 0
	v_add_nc_u32_e32 v9, 0x330, v14
	s_delay_alu instid0(VALU_DEP_4)
	v_or_b32_e32 v10, 8, v10
	s_mov_b32 s3, 0
.LBB114_101:                            ; =>This Inner Loop Header: Depth=1
	scratch_load_b128 v[16:19], v10, off offset:-8
	ds_load_b128 v[20:23], v9
	v_dual_add_nc_u32 v8, 1, v8 :: v_dual_add_nc_u32 v9, 16, v9
	s_wait_xcnt 0x0
	v_add_nc_u32_e32 v10, 16, v10
	s_delay_alu instid0(VALU_DEP_2) | instskip(SKIP_4) | instid1(VALU_DEP_2)
	v_cmp_lt_u32_e32 vcc_lo, 20, v8
	s_or_b32 s3, vcc_lo, s3
	s_wait_loadcnt_dscnt 0x0
	v_mul_f64_e32 v[12:13], v[22:23], v[18:19]
	v_mul_f64_e32 v[18:19], v[20:21], v[18:19]
	v_fma_f64 v[12:13], v[20:21], v[16:17], -v[12:13]
	s_delay_alu instid0(VALU_DEP_2) | instskip(NEXT) | instid1(VALU_DEP_2)
	v_fmac_f64_e32 v[18:19], v[22:23], v[16:17]
	v_add_f64_e32 v[4:5], v[4:5], v[12:13]
	s_delay_alu instid0(VALU_DEP_2)
	v_add_f64_e32 v[2:3], v[2:3], v[18:19]
	s_and_not1_b32 exec_lo, exec_lo, s3
	s_cbranch_execnz .LBB114_101
; %bb.102:
	s_or_b32 exec_lo, exec_lo, s3
	v_mov_b32_e32 v8, 0
	ds_load_b128 v[8:11], v8 offset:352
	s_wait_dscnt 0x0
	v_mul_f64_e32 v[16:17], v[2:3], v[10:11]
	v_mul_f64_e32 v[12:13], v[4:5], v[10:11]
	s_delay_alu instid0(VALU_DEP_2) | instskip(NEXT) | instid1(VALU_DEP_2)
	v_fma_f64 v[10:11], v[4:5], v[8:9], -v[16:17]
	v_fmac_f64_e32 v[12:13], v[2:3], v[8:9]
	scratch_store_b128 off, v[10:13], off offset:352
.LBB114_103:
	s_wait_xcnt 0x0
	s_or_b32 exec_lo, exec_lo, s2
	s_wait_storecnt 0x0
	s_barrier_signal -1
	s_barrier_wait -1
	scratch_load_b128 v[2:5], off, s44
	s_mov_b32 s2, exec_lo
	s_wait_loadcnt 0x0
	ds_store_b128 v6, v[2:5]
	s_wait_dscnt 0x0
	s_barrier_signal -1
	s_barrier_wait -1
	v_cmpx_gt_u32_e32 23, v1
	s_cbranch_execz .LBB114_107
; %bb.104:
	v_dual_mov_b32 v10, v14 :: v_dual_add_nc_u32 v8, -1, v1
	v_mov_b64_e32 v[2:3], 0
	v_mov_b64_e32 v[4:5], 0
	v_add_nc_u32_e32 v9, 0x330, v14
	s_delay_alu instid0(VALU_DEP_4)
	v_or_b32_e32 v10, 8, v10
	s_mov_b32 s3, 0
.LBB114_105:                            ; =>This Inner Loop Header: Depth=1
	scratch_load_b128 v[16:19], v10, off offset:-8
	ds_load_b128 v[20:23], v9
	v_dual_add_nc_u32 v8, 1, v8 :: v_dual_add_nc_u32 v9, 16, v9
	s_wait_xcnt 0x0
	v_add_nc_u32_e32 v10, 16, v10
	s_delay_alu instid0(VALU_DEP_2) | instskip(SKIP_4) | instid1(VALU_DEP_2)
	v_cmp_lt_u32_e32 vcc_lo, 21, v8
	s_or_b32 s3, vcc_lo, s3
	s_wait_loadcnt_dscnt 0x0
	v_mul_f64_e32 v[12:13], v[22:23], v[18:19]
	v_mul_f64_e32 v[18:19], v[20:21], v[18:19]
	v_fma_f64 v[12:13], v[20:21], v[16:17], -v[12:13]
	s_delay_alu instid0(VALU_DEP_2) | instskip(NEXT) | instid1(VALU_DEP_2)
	v_fmac_f64_e32 v[18:19], v[22:23], v[16:17]
	v_add_f64_e32 v[4:5], v[4:5], v[12:13]
	s_delay_alu instid0(VALU_DEP_2)
	v_add_f64_e32 v[2:3], v[2:3], v[18:19]
	s_and_not1_b32 exec_lo, exec_lo, s3
	s_cbranch_execnz .LBB114_105
; %bb.106:
	s_or_b32 exec_lo, exec_lo, s3
	v_mov_b32_e32 v8, 0
	ds_load_b128 v[8:11], v8 offset:368
	s_wait_dscnt 0x0
	v_mul_f64_e32 v[16:17], v[2:3], v[10:11]
	v_mul_f64_e32 v[12:13], v[4:5], v[10:11]
	s_delay_alu instid0(VALU_DEP_2) | instskip(NEXT) | instid1(VALU_DEP_2)
	v_fma_f64 v[10:11], v[4:5], v[8:9], -v[16:17]
	v_fmac_f64_e32 v[12:13], v[2:3], v[8:9]
	scratch_store_b128 off, v[10:13], off offset:368
.LBB114_107:
	s_wait_xcnt 0x0
	s_or_b32 exec_lo, exec_lo, s2
	s_wait_storecnt 0x0
	s_barrier_signal -1
	s_barrier_wait -1
	scratch_load_b128 v[2:5], off, s43
	;; [unrolled: 54-line block ×28, first 2 shown]
	s_mov_b32 s2, exec_lo
	s_wait_loadcnt 0x0
	ds_store_b128 v6, v[2:5]
	s_wait_dscnt 0x0
	s_barrier_signal -1
	s_barrier_wait -1
	v_cmpx_ne_u32_e32 50, v1
	s_cbranch_execz .LBB114_215
; %bb.212:
	v_mov_b32_e32 v8, v14
	v_mov_b64_e32 v[2:3], 0
	v_mov_b64_e32 v[4:5], 0
	s_mov_b32 s3, 0
	s_delay_alu instid0(VALU_DEP_3)
	v_or_b32_e32 v8, 8, v8
.LBB114_213:                            ; =>This Inner Loop Header: Depth=1
	scratch_load_b128 v[10:13], v8, off offset:-8
	ds_load_b128 v[14:17], v6
	v_dual_add_nc_u32 v7, 1, v7 :: v_dual_add_nc_u32 v6, 16, v6
	s_wait_xcnt 0x0
	v_add_nc_u32_e32 v8, 16, v8
	s_delay_alu instid0(VALU_DEP_2) | instskip(SKIP_4) | instid1(VALU_DEP_2)
	v_cmp_lt_u32_e32 vcc_lo, 48, v7
	s_or_b32 s3, vcc_lo, s3
	s_wait_loadcnt_dscnt 0x0
	v_mul_f64_e32 v[18:19], v[16:17], v[12:13]
	v_mul_f64_e32 v[12:13], v[14:15], v[12:13]
	v_fma_f64 v[14:15], v[14:15], v[10:11], -v[18:19]
	s_delay_alu instid0(VALU_DEP_2) | instskip(NEXT) | instid1(VALU_DEP_2)
	v_fmac_f64_e32 v[12:13], v[16:17], v[10:11]
	v_add_f64_e32 v[4:5], v[4:5], v[14:15]
	s_delay_alu instid0(VALU_DEP_2)
	v_add_f64_e32 v[2:3], v[2:3], v[12:13]
	s_and_not1_b32 exec_lo, exec_lo, s3
	s_cbranch_execnz .LBB114_213
; %bb.214:
	s_or_b32 exec_lo, exec_lo, s3
	v_mov_b32_e32 v6, 0
	ds_load_b128 v[6:9], v6 offset:800
	s_wait_dscnt 0x0
	v_mul_f64_e32 v[12:13], v[2:3], v[8:9]
	v_mul_f64_e32 v[10:11], v[4:5], v[8:9]
	s_delay_alu instid0(VALU_DEP_2) | instskip(NEXT) | instid1(VALU_DEP_2)
	v_fma_f64 v[8:9], v[4:5], v[6:7], -v[12:13]
	v_fmac_f64_e32 v[10:11], v[2:3], v[6:7]
	scratch_store_b128 off, v[8:11], off offset:800
.LBB114_215:
	s_wait_xcnt 0x0
	s_or_b32 exec_lo, exec_lo, s2
	s_mov_b32 s3, -1
	s_wait_storecnt 0x0
	s_barrier_signal -1
	s_barrier_wait -1
.LBB114_216:
	s_and_b32 vcc_lo, exec_lo, s3
	s_cbranch_vccz .LBB114_218
; %bb.217:
	s_wait_xcnt 0x0
	v_mov_b32_e32 v2, 0
	s_lshl_b64 s[2:3], s[10:11], 2
	s_delay_alu instid0(SALU_CYCLE_1)
	s_add_nc_u64 s[2:3], s[6:7], s[2:3]
	global_load_b32 v2, v2, s[2:3]
	s_wait_loadcnt 0x0
	v_cmp_ne_u32_e32 vcc_lo, 0, v2
	s_cbranch_vccz .LBB114_219
.LBB114_218:
	s_sendmsg sendmsg(MSG_DEALLOC_VGPRS)
	s_endpgm
.LBB114_219:
	v_lshl_add_u32 v126, v1, 4, 0x330
	s_wait_xcnt 0x0
	s_mov_b32 s2, exec_lo
	v_cmpx_eq_u32_e32 50, v1
	s_cbranch_execz .LBB114_221
; %bb.220:
	scratch_load_b128 v[2:5], off, s15
	v_mov_b32_e32 v6, 0
	s_delay_alu instid0(VALU_DEP_1)
	v_dual_mov_b32 v7, v6 :: v_dual_mov_b32 v8, v6
	v_mov_b32_e32 v9, v6
	scratch_store_b128 off, v[6:9], off offset:784
	s_wait_loadcnt 0x0
	ds_store_b128 v126, v[2:5]
.LBB114_221:
	s_wait_xcnt 0x0
	s_or_b32 exec_lo, exec_lo, s2
	s_wait_storecnt_dscnt 0x0
	s_barrier_signal -1
	s_barrier_wait -1
	s_clause 0x1
	scratch_load_b128 v[4:7], off, off offset:800
	scratch_load_b128 v[8:11], off, off offset:784
	v_mov_b32_e32 v2, 0
	s_mov_b32 s2, exec_lo
	ds_load_b128 v[12:15], v2 offset:1616
	s_wait_loadcnt_dscnt 0x100
	v_mul_f64_e32 v[16:17], v[14:15], v[6:7]
	v_mul_f64_e32 v[6:7], v[12:13], v[6:7]
	s_delay_alu instid0(VALU_DEP_2) | instskip(NEXT) | instid1(VALU_DEP_2)
	v_fma_f64 v[12:13], v[12:13], v[4:5], -v[16:17]
	v_fmac_f64_e32 v[6:7], v[14:15], v[4:5]
	s_delay_alu instid0(VALU_DEP_2) | instskip(NEXT) | instid1(VALU_DEP_2)
	v_add_f64_e32 v[4:5], 0, v[12:13]
	v_add_f64_e32 v[6:7], 0, v[6:7]
	s_wait_loadcnt 0x0
	s_delay_alu instid0(VALU_DEP_2) | instskip(NEXT) | instid1(VALU_DEP_2)
	v_add_f64_e64 v[4:5], v[8:9], -v[4:5]
	v_add_f64_e64 v[6:7], v[10:11], -v[6:7]
	scratch_store_b128 off, v[4:7], off offset:784
	s_wait_xcnt 0x0
	v_cmpx_lt_u32_e32 48, v1
	s_cbranch_execz .LBB114_223
; %bb.222:
	scratch_load_b128 v[6:9], off, s17
	v_dual_mov_b32 v3, v2 :: v_dual_mov_b32 v4, v2
	v_mov_b32_e32 v5, v2
	scratch_store_b128 off, v[2:5], off offset:768
	s_wait_loadcnt 0x0
	ds_store_b128 v126, v[6:9]
.LBB114_223:
	s_wait_xcnt 0x0
	s_or_b32 exec_lo, exec_lo, s2
	s_wait_storecnt_dscnt 0x0
	s_barrier_signal -1
	s_barrier_wait -1
	s_clause 0x2
	scratch_load_b128 v[4:7], off, off offset:784
	scratch_load_b128 v[8:11], off, off offset:800
	;; [unrolled: 1-line block ×3, first 2 shown]
	ds_load_b128 v[16:19], v2 offset:1600
	ds_load_b128 v[20:23], v2 offset:1616
	s_mov_b32 s2, exec_lo
	s_wait_loadcnt_dscnt 0x201
	v_mul_f64_e32 v[2:3], v[18:19], v[6:7]
	v_mul_f64_e32 v[6:7], v[16:17], v[6:7]
	s_wait_loadcnt_dscnt 0x100
	v_mul_f64_e32 v[128:129], v[20:21], v[10:11]
	v_mul_f64_e32 v[10:11], v[22:23], v[10:11]
	s_delay_alu instid0(VALU_DEP_4) | instskip(NEXT) | instid1(VALU_DEP_4)
	v_fma_f64 v[2:3], v[16:17], v[4:5], -v[2:3]
	v_fmac_f64_e32 v[6:7], v[18:19], v[4:5]
	s_delay_alu instid0(VALU_DEP_4) | instskip(NEXT) | instid1(VALU_DEP_4)
	v_fmac_f64_e32 v[128:129], v[22:23], v[8:9]
	v_fma_f64 v[4:5], v[20:21], v[8:9], -v[10:11]
	s_delay_alu instid0(VALU_DEP_4) | instskip(NEXT) | instid1(VALU_DEP_4)
	v_add_f64_e32 v[2:3], 0, v[2:3]
	v_add_f64_e32 v[6:7], 0, v[6:7]
	s_delay_alu instid0(VALU_DEP_2) | instskip(NEXT) | instid1(VALU_DEP_2)
	v_add_f64_e32 v[2:3], v[2:3], v[4:5]
	v_add_f64_e32 v[4:5], v[6:7], v[128:129]
	s_wait_loadcnt 0x0
	s_delay_alu instid0(VALU_DEP_2) | instskip(NEXT) | instid1(VALU_DEP_2)
	v_add_f64_e64 v[2:3], v[12:13], -v[2:3]
	v_add_f64_e64 v[4:5], v[14:15], -v[4:5]
	scratch_store_b128 off, v[2:5], off offset:768
	s_wait_xcnt 0x0
	v_cmpx_lt_u32_e32 47, v1
	s_cbranch_execz .LBB114_225
; %bb.224:
	scratch_load_b128 v[2:5], off, s19
	v_mov_b32_e32 v6, 0
	s_delay_alu instid0(VALU_DEP_1)
	v_dual_mov_b32 v7, v6 :: v_dual_mov_b32 v8, v6
	v_mov_b32_e32 v9, v6
	scratch_store_b128 off, v[6:9], off offset:752
	s_wait_loadcnt 0x0
	ds_store_b128 v126, v[2:5]
.LBB114_225:
	s_wait_xcnt 0x0
	s_or_b32 exec_lo, exec_lo, s2
	s_wait_storecnt_dscnt 0x0
	s_barrier_signal -1
	s_barrier_wait -1
	s_clause 0x3
	scratch_load_b128 v[4:7], off, off offset:768
	scratch_load_b128 v[8:11], off, off offset:784
	;; [unrolled: 1-line block ×4, first 2 shown]
	v_mov_b32_e32 v2, 0
	ds_load_b128 v[20:23], v2 offset:1584
	ds_load_b128 v[128:131], v2 offset:1600
	s_mov_b32 s2, exec_lo
	s_wait_loadcnt_dscnt 0x301
	v_mul_f64_e32 v[132:133], v[22:23], v[6:7]
	v_mul_f64_e32 v[134:135], v[20:21], v[6:7]
	s_wait_loadcnt_dscnt 0x200
	v_mul_f64_e32 v[136:137], v[128:129], v[10:11]
	v_mul_f64_e32 v[10:11], v[130:131], v[10:11]
	s_delay_alu instid0(VALU_DEP_4) | instskip(NEXT) | instid1(VALU_DEP_4)
	v_fma_f64 v[20:21], v[20:21], v[4:5], -v[132:133]
	v_fmac_f64_e32 v[134:135], v[22:23], v[4:5]
	ds_load_b128 v[4:7], v2 offset:1616
	v_fmac_f64_e32 v[136:137], v[130:131], v[8:9]
	v_fma_f64 v[8:9], v[128:129], v[8:9], -v[10:11]
	s_wait_loadcnt_dscnt 0x100
	v_mul_f64_e32 v[22:23], v[4:5], v[14:15]
	v_mul_f64_e32 v[14:15], v[6:7], v[14:15]
	v_add_f64_e32 v[10:11], 0, v[20:21]
	v_add_f64_e32 v[20:21], 0, v[134:135]
	s_delay_alu instid0(VALU_DEP_4) | instskip(NEXT) | instid1(VALU_DEP_4)
	v_fmac_f64_e32 v[22:23], v[6:7], v[12:13]
	v_fma_f64 v[4:5], v[4:5], v[12:13], -v[14:15]
	s_delay_alu instid0(VALU_DEP_4) | instskip(NEXT) | instid1(VALU_DEP_4)
	v_add_f64_e32 v[6:7], v[10:11], v[8:9]
	v_add_f64_e32 v[8:9], v[20:21], v[136:137]
	s_delay_alu instid0(VALU_DEP_2) | instskip(NEXT) | instid1(VALU_DEP_2)
	v_add_f64_e32 v[4:5], v[6:7], v[4:5]
	v_add_f64_e32 v[6:7], v[8:9], v[22:23]
	s_wait_loadcnt 0x0
	s_delay_alu instid0(VALU_DEP_2) | instskip(NEXT) | instid1(VALU_DEP_2)
	v_add_f64_e64 v[4:5], v[16:17], -v[4:5]
	v_add_f64_e64 v[6:7], v[18:19], -v[6:7]
	scratch_store_b128 off, v[4:7], off offset:752
	s_wait_xcnt 0x0
	v_cmpx_lt_u32_e32 46, v1
	s_cbranch_execz .LBB114_227
; %bb.226:
	scratch_load_b128 v[6:9], off, s20
	v_dual_mov_b32 v3, v2 :: v_dual_mov_b32 v4, v2
	v_mov_b32_e32 v5, v2
	scratch_store_b128 off, v[2:5], off offset:736
	s_wait_loadcnt 0x0
	ds_store_b128 v126, v[6:9]
.LBB114_227:
	s_wait_xcnt 0x0
	s_or_b32 exec_lo, exec_lo, s2
	s_wait_storecnt_dscnt 0x0
	s_barrier_signal -1
	s_barrier_wait -1
	s_clause 0x4
	scratch_load_b128 v[4:7], off, off offset:752
	scratch_load_b128 v[8:11], off, off offset:768
	;; [unrolled: 1-line block ×5, first 2 shown]
	ds_load_b128 v[128:131], v2 offset:1568
	ds_load_b128 v[132:135], v2 offset:1584
	s_mov_b32 s2, exec_lo
	s_wait_loadcnt_dscnt 0x401
	v_mul_f64_e32 v[136:137], v[130:131], v[6:7]
	v_mul_f64_e32 v[138:139], v[128:129], v[6:7]
	s_wait_loadcnt_dscnt 0x300
	v_mul_f64_e32 v[140:141], v[132:133], v[10:11]
	v_mul_f64_e32 v[10:11], v[134:135], v[10:11]
	s_delay_alu instid0(VALU_DEP_4) | instskip(NEXT) | instid1(VALU_DEP_4)
	v_fma_f64 v[136:137], v[128:129], v[4:5], -v[136:137]
	v_fmac_f64_e32 v[138:139], v[130:131], v[4:5]
	ds_load_b128 v[4:7], v2 offset:1600
	ds_load_b128 v[128:131], v2 offset:1616
	v_fmac_f64_e32 v[140:141], v[134:135], v[8:9]
	v_fma_f64 v[8:9], v[132:133], v[8:9], -v[10:11]
	s_wait_loadcnt_dscnt 0x201
	v_mul_f64_e32 v[2:3], v[4:5], v[14:15]
	v_mul_f64_e32 v[14:15], v[6:7], v[14:15]
	s_wait_loadcnt_dscnt 0x100
	v_mul_f64_e32 v[134:135], v[128:129], v[18:19]
	v_mul_f64_e32 v[18:19], v[130:131], v[18:19]
	v_add_f64_e32 v[10:11], 0, v[136:137]
	v_add_f64_e32 v[132:133], 0, v[138:139]
	v_fmac_f64_e32 v[2:3], v[6:7], v[12:13]
	v_fma_f64 v[4:5], v[4:5], v[12:13], -v[14:15]
	v_fmac_f64_e32 v[134:135], v[130:131], v[16:17]
	v_add_f64_e32 v[6:7], v[10:11], v[8:9]
	v_add_f64_e32 v[8:9], v[132:133], v[140:141]
	v_fma_f64 v[10:11], v[128:129], v[16:17], -v[18:19]
	s_delay_alu instid0(VALU_DEP_3) | instskip(NEXT) | instid1(VALU_DEP_3)
	v_add_f64_e32 v[4:5], v[6:7], v[4:5]
	v_add_f64_e32 v[2:3], v[8:9], v[2:3]
	s_delay_alu instid0(VALU_DEP_2) | instskip(NEXT) | instid1(VALU_DEP_2)
	v_add_f64_e32 v[4:5], v[4:5], v[10:11]
	v_add_f64_e32 v[6:7], v[2:3], v[134:135]
	s_wait_loadcnt 0x0
	s_delay_alu instid0(VALU_DEP_2) | instskip(NEXT) | instid1(VALU_DEP_2)
	v_add_f64_e64 v[2:3], v[20:21], -v[4:5]
	v_add_f64_e64 v[4:5], v[22:23], -v[6:7]
	scratch_store_b128 off, v[2:5], off offset:736
	s_wait_xcnt 0x0
	v_cmpx_lt_u32_e32 45, v1
	s_cbranch_execz .LBB114_229
; %bb.228:
	scratch_load_b128 v[2:5], off, s21
	v_mov_b32_e32 v6, 0
	s_delay_alu instid0(VALU_DEP_1)
	v_dual_mov_b32 v7, v6 :: v_dual_mov_b32 v8, v6
	v_mov_b32_e32 v9, v6
	scratch_store_b128 off, v[6:9], off offset:720
	s_wait_loadcnt 0x0
	ds_store_b128 v126, v[2:5]
.LBB114_229:
	s_wait_xcnt 0x0
	s_or_b32 exec_lo, exec_lo, s2
	s_wait_storecnt_dscnt 0x0
	s_barrier_signal -1
	s_barrier_wait -1
	s_clause 0x5
	scratch_load_b128 v[4:7], off, off offset:736
	scratch_load_b128 v[8:11], off, off offset:752
	;; [unrolled: 1-line block ×6, first 2 shown]
	v_mov_b32_e32 v2, 0
	ds_load_b128 v[132:135], v2 offset:1552
	ds_load_b128 v[136:139], v2 offset:1568
	s_mov_b32 s2, exec_lo
	s_wait_loadcnt_dscnt 0x501
	v_mul_f64_e32 v[140:141], v[134:135], v[6:7]
	v_mul_f64_e32 v[142:143], v[132:133], v[6:7]
	s_wait_loadcnt_dscnt 0x400
	v_mul_f64_e32 v[144:145], v[136:137], v[10:11]
	v_mul_f64_e32 v[10:11], v[138:139], v[10:11]
	s_delay_alu instid0(VALU_DEP_4) | instskip(NEXT) | instid1(VALU_DEP_4)
	v_fma_f64 v[140:141], v[132:133], v[4:5], -v[140:141]
	v_fmac_f64_e32 v[142:143], v[134:135], v[4:5]
	ds_load_b128 v[4:7], v2 offset:1584
	ds_load_b128 v[132:135], v2 offset:1600
	v_fmac_f64_e32 v[144:145], v[138:139], v[8:9]
	v_fma_f64 v[8:9], v[136:137], v[8:9], -v[10:11]
	s_wait_loadcnt_dscnt 0x301
	v_mul_f64_e32 v[146:147], v[4:5], v[14:15]
	v_mul_f64_e32 v[14:15], v[6:7], v[14:15]
	s_wait_loadcnt_dscnt 0x200
	v_mul_f64_e32 v[138:139], v[132:133], v[18:19]
	v_mul_f64_e32 v[18:19], v[134:135], v[18:19]
	v_add_f64_e32 v[10:11], 0, v[140:141]
	v_add_f64_e32 v[136:137], 0, v[142:143]
	v_fmac_f64_e32 v[146:147], v[6:7], v[12:13]
	v_fma_f64 v[12:13], v[4:5], v[12:13], -v[14:15]
	ds_load_b128 v[4:7], v2 offset:1616
	v_fmac_f64_e32 v[138:139], v[134:135], v[16:17]
	v_fma_f64 v[16:17], v[132:133], v[16:17], -v[18:19]
	v_add_f64_e32 v[8:9], v[10:11], v[8:9]
	v_add_f64_e32 v[10:11], v[136:137], v[144:145]
	s_wait_loadcnt_dscnt 0x100
	v_mul_f64_e32 v[14:15], v[4:5], v[22:23]
	v_mul_f64_e32 v[22:23], v[6:7], v[22:23]
	s_delay_alu instid0(VALU_DEP_4) | instskip(NEXT) | instid1(VALU_DEP_4)
	v_add_f64_e32 v[8:9], v[8:9], v[12:13]
	v_add_f64_e32 v[10:11], v[10:11], v[146:147]
	s_delay_alu instid0(VALU_DEP_4) | instskip(NEXT) | instid1(VALU_DEP_4)
	v_fmac_f64_e32 v[14:15], v[6:7], v[20:21]
	v_fma_f64 v[4:5], v[4:5], v[20:21], -v[22:23]
	s_delay_alu instid0(VALU_DEP_4) | instskip(NEXT) | instid1(VALU_DEP_4)
	v_add_f64_e32 v[6:7], v[8:9], v[16:17]
	v_add_f64_e32 v[8:9], v[10:11], v[138:139]
	s_delay_alu instid0(VALU_DEP_2) | instskip(NEXT) | instid1(VALU_DEP_2)
	v_add_f64_e32 v[4:5], v[6:7], v[4:5]
	v_add_f64_e32 v[6:7], v[8:9], v[14:15]
	s_wait_loadcnt 0x0
	s_delay_alu instid0(VALU_DEP_2) | instskip(NEXT) | instid1(VALU_DEP_2)
	v_add_f64_e64 v[4:5], v[128:129], -v[4:5]
	v_add_f64_e64 v[6:7], v[130:131], -v[6:7]
	scratch_store_b128 off, v[4:7], off offset:720
	s_wait_xcnt 0x0
	v_cmpx_lt_u32_e32 44, v1
	s_cbranch_execz .LBB114_231
; %bb.230:
	scratch_load_b128 v[6:9], off, s22
	v_dual_mov_b32 v3, v2 :: v_dual_mov_b32 v4, v2
	v_mov_b32_e32 v5, v2
	scratch_store_b128 off, v[2:5], off offset:704
	s_wait_loadcnt 0x0
	ds_store_b128 v126, v[6:9]
.LBB114_231:
	s_wait_xcnt 0x0
	s_or_b32 exec_lo, exec_lo, s2
	s_wait_storecnt_dscnt 0x0
	s_barrier_signal -1
	s_barrier_wait -1
	s_clause 0x6
	scratch_load_b128 v[4:7], off, off offset:720
	scratch_load_b128 v[8:11], off, off offset:736
	;; [unrolled: 1-line block ×7, first 2 shown]
	ds_load_b128 v[136:139], v2 offset:1536
	ds_load_b128 v[140:143], v2 offset:1552
	s_mov_b32 s2, exec_lo
	s_wait_loadcnt_dscnt 0x601
	v_mul_f64_e32 v[144:145], v[138:139], v[6:7]
	v_mul_f64_e32 v[146:147], v[136:137], v[6:7]
	s_wait_loadcnt_dscnt 0x500
	v_mul_f64_e32 v[148:149], v[140:141], v[10:11]
	v_mul_f64_e32 v[10:11], v[142:143], v[10:11]
	s_delay_alu instid0(VALU_DEP_4) | instskip(NEXT) | instid1(VALU_DEP_4)
	v_fma_f64 v[144:145], v[136:137], v[4:5], -v[144:145]
	v_fmac_f64_e32 v[146:147], v[138:139], v[4:5]
	ds_load_b128 v[4:7], v2 offset:1568
	ds_load_b128 v[136:139], v2 offset:1584
	v_fmac_f64_e32 v[148:149], v[142:143], v[8:9]
	v_fma_f64 v[8:9], v[140:141], v[8:9], -v[10:11]
	s_wait_loadcnt_dscnt 0x401
	v_mul_f64_e32 v[150:151], v[4:5], v[14:15]
	v_mul_f64_e32 v[14:15], v[6:7], v[14:15]
	s_wait_loadcnt_dscnt 0x300
	v_mul_f64_e32 v[142:143], v[136:137], v[18:19]
	v_mul_f64_e32 v[18:19], v[138:139], v[18:19]
	v_add_f64_e32 v[10:11], 0, v[144:145]
	v_add_f64_e32 v[140:141], 0, v[146:147]
	v_fmac_f64_e32 v[150:151], v[6:7], v[12:13]
	v_fma_f64 v[12:13], v[4:5], v[12:13], -v[14:15]
	v_fmac_f64_e32 v[142:143], v[138:139], v[16:17]
	v_fma_f64 v[16:17], v[136:137], v[16:17], -v[18:19]
	v_add_f64_e32 v[14:15], v[10:11], v[8:9]
	v_add_f64_e32 v[140:141], v[140:141], v[148:149]
	ds_load_b128 v[4:7], v2 offset:1600
	ds_load_b128 v[8:11], v2 offset:1616
	s_wait_loadcnt_dscnt 0x201
	v_mul_f64_e32 v[2:3], v[4:5], v[22:23]
	v_mul_f64_e32 v[22:23], v[6:7], v[22:23]
	s_wait_loadcnt_dscnt 0x100
	v_mul_f64_e32 v[18:19], v[8:9], v[130:131]
	v_mul_f64_e32 v[130:131], v[10:11], v[130:131]
	v_add_f64_e32 v[12:13], v[14:15], v[12:13]
	v_add_f64_e32 v[14:15], v[140:141], v[150:151]
	v_fmac_f64_e32 v[2:3], v[6:7], v[20:21]
	v_fma_f64 v[4:5], v[4:5], v[20:21], -v[22:23]
	v_fmac_f64_e32 v[18:19], v[10:11], v[128:129]
	v_fma_f64 v[8:9], v[8:9], v[128:129], -v[130:131]
	v_add_f64_e32 v[6:7], v[12:13], v[16:17]
	v_add_f64_e32 v[12:13], v[14:15], v[142:143]
	s_delay_alu instid0(VALU_DEP_2) | instskip(NEXT) | instid1(VALU_DEP_2)
	v_add_f64_e32 v[4:5], v[6:7], v[4:5]
	v_add_f64_e32 v[2:3], v[12:13], v[2:3]
	s_delay_alu instid0(VALU_DEP_2) | instskip(NEXT) | instid1(VALU_DEP_2)
	v_add_f64_e32 v[4:5], v[4:5], v[8:9]
	v_add_f64_e32 v[6:7], v[2:3], v[18:19]
	s_wait_loadcnt 0x0
	s_delay_alu instid0(VALU_DEP_2) | instskip(NEXT) | instid1(VALU_DEP_2)
	v_add_f64_e64 v[2:3], v[132:133], -v[4:5]
	v_add_f64_e64 v[4:5], v[134:135], -v[6:7]
	scratch_store_b128 off, v[2:5], off offset:704
	s_wait_xcnt 0x0
	v_cmpx_lt_u32_e32 43, v1
	s_cbranch_execz .LBB114_233
; %bb.232:
	scratch_load_b128 v[2:5], off, s23
	v_mov_b32_e32 v6, 0
	s_delay_alu instid0(VALU_DEP_1)
	v_dual_mov_b32 v7, v6 :: v_dual_mov_b32 v8, v6
	v_mov_b32_e32 v9, v6
	scratch_store_b128 off, v[6:9], off offset:688
	s_wait_loadcnt 0x0
	ds_store_b128 v126, v[2:5]
.LBB114_233:
	s_wait_xcnt 0x0
	s_or_b32 exec_lo, exec_lo, s2
	s_wait_storecnt_dscnt 0x0
	s_barrier_signal -1
	s_barrier_wait -1
	s_clause 0x7
	scratch_load_b128 v[4:7], off, off offset:704
	scratch_load_b128 v[8:11], off, off offset:720
	;; [unrolled: 1-line block ×8, first 2 shown]
	v_mov_b32_e32 v2, 0
	ds_load_b128 v[140:143], v2 offset:1520
	ds_load_b128 v[144:147], v2 offset:1536
	s_mov_b32 s2, exec_lo
	s_wait_loadcnt_dscnt 0x701
	v_mul_f64_e32 v[148:149], v[142:143], v[6:7]
	v_mul_f64_e32 v[150:151], v[140:141], v[6:7]
	s_wait_loadcnt_dscnt 0x600
	v_mul_f64_e32 v[152:153], v[144:145], v[10:11]
	v_mul_f64_e32 v[10:11], v[146:147], v[10:11]
	s_delay_alu instid0(VALU_DEP_4) | instskip(NEXT) | instid1(VALU_DEP_4)
	v_fma_f64 v[148:149], v[140:141], v[4:5], -v[148:149]
	v_fmac_f64_e32 v[150:151], v[142:143], v[4:5]
	ds_load_b128 v[4:7], v2 offset:1552
	ds_load_b128 v[140:143], v2 offset:1568
	v_fmac_f64_e32 v[152:153], v[146:147], v[8:9]
	v_fma_f64 v[8:9], v[144:145], v[8:9], -v[10:11]
	s_wait_loadcnt_dscnt 0x501
	v_mul_f64_e32 v[154:155], v[4:5], v[14:15]
	v_mul_f64_e32 v[14:15], v[6:7], v[14:15]
	s_wait_loadcnt_dscnt 0x400
	v_mul_f64_e32 v[146:147], v[140:141], v[18:19]
	v_mul_f64_e32 v[18:19], v[142:143], v[18:19]
	v_add_f64_e32 v[10:11], 0, v[148:149]
	v_add_f64_e32 v[144:145], 0, v[150:151]
	v_fmac_f64_e32 v[154:155], v[6:7], v[12:13]
	v_fma_f64 v[12:13], v[4:5], v[12:13], -v[14:15]
	v_fmac_f64_e32 v[146:147], v[142:143], v[16:17]
	v_fma_f64 v[16:17], v[140:141], v[16:17], -v[18:19]
	v_add_f64_e32 v[14:15], v[10:11], v[8:9]
	v_add_f64_e32 v[144:145], v[144:145], v[152:153]
	ds_load_b128 v[4:7], v2 offset:1584
	ds_load_b128 v[8:11], v2 offset:1600
	s_wait_loadcnt_dscnt 0x301
	v_mul_f64_e32 v[148:149], v[4:5], v[22:23]
	v_mul_f64_e32 v[22:23], v[6:7], v[22:23]
	s_wait_loadcnt_dscnt 0x200
	v_mul_f64_e32 v[18:19], v[8:9], v[130:131]
	v_mul_f64_e32 v[130:131], v[10:11], v[130:131]
	v_add_f64_e32 v[12:13], v[14:15], v[12:13]
	v_add_f64_e32 v[14:15], v[144:145], v[154:155]
	v_fmac_f64_e32 v[148:149], v[6:7], v[20:21]
	v_fma_f64 v[20:21], v[4:5], v[20:21], -v[22:23]
	ds_load_b128 v[4:7], v2 offset:1616
	v_fmac_f64_e32 v[18:19], v[10:11], v[128:129]
	v_fma_f64 v[8:9], v[8:9], v[128:129], -v[130:131]
	v_add_f64_e32 v[12:13], v[12:13], v[16:17]
	v_add_f64_e32 v[14:15], v[14:15], v[146:147]
	s_wait_loadcnt_dscnt 0x100
	v_mul_f64_e32 v[16:17], v[4:5], v[134:135]
	v_mul_f64_e32 v[22:23], v[6:7], v[134:135]
	s_delay_alu instid0(VALU_DEP_4) | instskip(NEXT) | instid1(VALU_DEP_4)
	v_add_f64_e32 v[10:11], v[12:13], v[20:21]
	v_add_f64_e32 v[12:13], v[14:15], v[148:149]
	s_delay_alu instid0(VALU_DEP_4) | instskip(NEXT) | instid1(VALU_DEP_4)
	v_fmac_f64_e32 v[16:17], v[6:7], v[132:133]
	v_fma_f64 v[4:5], v[4:5], v[132:133], -v[22:23]
	s_delay_alu instid0(VALU_DEP_4) | instskip(NEXT) | instid1(VALU_DEP_4)
	v_add_f64_e32 v[6:7], v[10:11], v[8:9]
	v_add_f64_e32 v[8:9], v[12:13], v[18:19]
	s_delay_alu instid0(VALU_DEP_2) | instskip(NEXT) | instid1(VALU_DEP_2)
	v_add_f64_e32 v[4:5], v[6:7], v[4:5]
	v_add_f64_e32 v[6:7], v[8:9], v[16:17]
	s_wait_loadcnt 0x0
	s_delay_alu instid0(VALU_DEP_2) | instskip(NEXT) | instid1(VALU_DEP_2)
	v_add_f64_e64 v[4:5], v[136:137], -v[4:5]
	v_add_f64_e64 v[6:7], v[138:139], -v[6:7]
	scratch_store_b128 off, v[4:7], off offset:688
	s_wait_xcnt 0x0
	v_cmpx_lt_u32_e32 42, v1
	s_cbranch_execz .LBB114_235
; %bb.234:
	scratch_load_b128 v[6:9], off, s24
	v_dual_mov_b32 v3, v2 :: v_dual_mov_b32 v4, v2
	v_mov_b32_e32 v5, v2
	scratch_store_b128 off, v[2:5], off offset:672
	s_wait_loadcnt 0x0
	ds_store_b128 v126, v[6:9]
.LBB114_235:
	s_wait_xcnt 0x0
	s_or_b32 exec_lo, exec_lo, s2
	s_wait_storecnt_dscnt 0x0
	s_barrier_signal -1
	s_barrier_wait -1
	s_clause 0x7
	scratch_load_b128 v[4:7], off, off offset:688
	scratch_load_b128 v[8:11], off, off offset:704
	;; [unrolled: 1-line block ×8, first 2 shown]
	ds_load_b128 v[140:143], v2 offset:1504
	ds_load_b128 v[144:147], v2 offset:1520
	scratch_load_b128 v[148:151], off, off offset:672
	s_mov_b32 s2, exec_lo
	s_wait_loadcnt_dscnt 0x801
	v_mul_f64_e32 v[152:153], v[142:143], v[6:7]
	v_mul_f64_e32 v[154:155], v[140:141], v[6:7]
	s_wait_loadcnt_dscnt 0x700
	v_mul_f64_e32 v[156:157], v[144:145], v[10:11]
	v_mul_f64_e32 v[10:11], v[146:147], v[10:11]
	s_delay_alu instid0(VALU_DEP_4) | instskip(NEXT) | instid1(VALU_DEP_4)
	v_fma_f64 v[152:153], v[140:141], v[4:5], -v[152:153]
	v_fmac_f64_e32 v[154:155], v[142:143], v[4:5]
	ds_load_b128 v[4:7], v2 offset:1536
	ds_load_b128 v[140:143], v2 offset:1552
	v_fmac_f64_e32 v[156:157], v[146:147], v[8:9]
	v_fma_f64 v[8:9], v[144:145], v[8:9], -v[10:11]
	s_wait_loadcnt_dscnt 0x601
	v_mul_f64_e32 v[158:159], v[4:5], v[14:15]
	v_mul_f64_e32 v[14:15], v[6:7], v[14:15]
	s_wait_loadcnt_dscnt 0x500
	v_mul_f64_e32 v[146:147], v[140:141], v[18:19]
	v_mul_f64_e32 v[18:19], v[142:143], v[18:19]
	v_add_f64_e32 v[10:11], 0, v[152:153]
	v_add_f64_e32 v[144:145], 0, v[154:155]
	v_fmac_f64_e32 v[158:159], v[6:7], v[12:13]
	v_fma_f64 v[12:13], v[4:5], v[12:13], -v[14:15]
	v_fmac_f64_e32 v[146:147], v[142:143], v[16:17]
	v_fma_f64 v[16:17], v[140:141], v[16:17], -v[18:19]
	v_add_f64_e32 v[14:15], v[10:11], v[8:9]
	v_add_f64_e32 v[144:145], v[144:145], v[156:157]
	ds_load_b128 v[4:7], v2 offset:1568
	ds_load_b128 v[8:11], v2 offset:1584
	s_wait_loadcnt_dscnt 0x401
	v_mul_f64_e32 v[152:153], v[4:5], v[22:23]
	v_mul_f64_e32 v[22:23], v[6:7], v[22:23]
	s_wait_loadcnt_dscnt 0x300
	v_mul_f64_e32 v[18:19], v[8:9], v[130:131]
	v_mul_f64_e32 v[130:131], v[10:11], v[130:131]
	v_add_f64_e32 v[12:13], v[14:15], v[12:13]
	v_add_f64_e32 v[14:15], v[144:145], v[158:159]
	v_fmac_f64_e32 v[152:153], v[6:7], v[20:21]
	v_fma_f64 v[20:21], v[4:5], v[20:21], -v[22:23]
	v_fmac_f64_e32 v[18:19], v[10:11], v[128:129]
	v_fma_f64 v[8:9], v[8:9], v[128:129], -v[130:131]
	v_add_f64_e32 v[16:17], v[12:13], v[16:17]
	v_add_f64_e32 v[22:23], v[14:15], v[146:147]
	ds_load_b128 v[4:7], v2 offset:1600
	ds_load_b128 v[12:15], v2 offset:1616
	s_wait_loadcnt_dscnt 0x201
	v_mul_f64_e32 v[2:3], v[4:5], v[134:135]
	v_mul_f64_e32 v[134:135], v[6:7], v[134:135]
	v_add_f64_e32 v[10:11], v[16:17], v[20:21]
	v_add_f64_e32 v[16:17], v[22:23], v[152:153]
	s_wait_loadcnt_dscnt 0x100
	v_mul_f64_e32 v[20:21], v[12:13], v[138:139]
	v_mul_f64_e32 v[22:23], v[14:15], v[138:139]
	v_fmac_f64_e32 v[2:3], v[6:7], v[132:133]
	v_fma_f64 v[4:5], v[4:5], v[132:133], -v[134:135]
	v_add_f64_e32 v[6:7], v[10:11], v[8:9]
	v_add_f64_e32 v[8:9], v[16:17], v[18:19]
	v_fmac_f64_e32 v[20:21], v[14:15], v[136:137]
	v_fma_f64 v[10:11], v[12:13], v[136:137], -v[22:23]
	s_delay_alu instid0(VALU_DEP_4) | instskip(NEXT) | instid1(VALU_DEP_4)
	v_add_f64_e32 v[4:5], v[6:7], v[4:5]
	v_add_f64_e32 v[2:3], v[8:9], v[2:3]
	s_delay_alu instid0(VALU_DEP_2) | instskip(NEXT) | instid1(VALU_DEP_2)
	v_add_f64_e32 v[4:5], v[4:5], v[10:11]
	v_add_f64_e32 v[6:7], v[2:3], v[20:21]
	s_wait_loadcnt 0x0
	s_delay_alu instid0(VALU_DEP_2) | instskip(NEXT) | instid1(VALU_DEP_2)
	v_add_f64_e64 v[2:3], v[148:149], -v[4:5]
	v_add_f64_e64 v[4:5], v[150:151], -v[6:7]
	scratch_store_b128 off, v[2:5], off offset:672
	s_wait_xcnt 0x0
	v_cmpx_lt_u32_e32 41, v1
	s_cbranch_execz .LBB114_237
; %bb.236:
	scratch_load_b128 v[2:5], off, s25
	v_mov_b32_e32 v6, 0
	s_delay_alu instid0(VALU_DEP_1)
	v_dual_mov_b32 v7, v6 :: v_dual_mov_b32 v8, v6
	v_mov_b32_e32 v9, v6
	scratch_store_b128 off, v[6:9], off offset:656
	s_wait_loadcnt 0x0
	ds_store_b128 v126, v[2:5]
.LBB114_237:
	s_wait_xcnt 0x0
	s_or_b32 exec_lo, exec_lo, s2
	s_wait_storecnt_dscnt 0x0
	s_barrier_signal -1
	s_barrier_wait -1
	s_clause 0x8
	scratch_load_b128 v[4:7], off, off offset:672
	scratch_load_b128 v[8:11], off, off offset:688
	;; [unrolled: 1-line block ×9, first 2 shown]
	v_mov_b32_e32 v2, 0
	scratch_load_b128 v[148:151], off, off offset:656
	s_mov_b32 s2, exec_lo
	ds_load_b128 v[144:147], v2 offset:1488
	ds_load_b128 v[152:155], v2 offset:1504
	s_wait_loadcnt_dscnt 0x901
	v_mul_f64_e32 v[156:157], v[146:147], v[6:7]
	v_mul_f64_e32 v[158:159], v[144:145], v[6:7]
	s_wait_loadcnt_dscnt 0x800
	v_mul_f64_e32 v[160:161], v[152:153], v[10:11]
	v_mul_f64_e32 v[10:11], v[154:155], v[10:11]
	s_delay_alu instid0(VALU_DEP_4) | instskip(NEXT) | instid1(VALU_DEP_4)
	v_fma_f64 v[156:157], v[144:145], v[4:5], -v[156:157]
	v_fmac_f64_e32 v[158:159], v[146:147], v[4:5]
	ds_load_b128 v[4:7], v2 offset:1520
	ds_load_b128 v[144:147], v2 offset:1536
	v_fmac_f64_e32 v[160:161], v[154:155], v[8:9]
	v_fma_f64 v[8:9], v[152:153], v[8:9], -v[10:11]
	s_wait_loadcnt_dscnt 0x701
	v_mul_f64_e32 v[162:163], v[4:5], v[14:15]
	v_mul_f64_e32 v[14:15], v[6:7], v[14:15]
	s_wait_loadcnt_dscnt 0x600
	v_mul_f64_e32 v[154:155], v[144:145], v[18:19]
	v_mul_f64_e32 v[18:19], v[146:147], v[18:19]
	v_add_f64_e32 v[10:11], 0, v[156:157]
	v_add_f64_e32 v[152:153], 0, v[158:159]
	v_fmac_f64_e32 v[162:163], v[6:7], v[12:13]
	v_fma_f64 v[12:13], v[4:5], v[12:13], -v[14:15]
	v_fmac_f64_e32 v[154:155], v[146:147], v[16:17]
	v_fma_f64 v[16:17], v[144:145], v[16:17], -v[18:19]
	v_add_f64_e32 v[14:15], v[10:11], v[8:9]
	v_add_f64_e32 v[152:153], v[152:153], v[160:161]
	ds_load_b128 v[4:7], v2 offset:1552
	ds_load_b128 v[8:11], v2 offset:1568
	s_wait_loadcnt_dscnt 0x501
	v_mul_f64_e32 v[156:157], v[4:5], v[22:23]
	v_mul_f64_e32 v[22:23], v[6:7], v[22:23]
	s_wait_loadcnt_dscnt 0x400
	v_mul_f64_e32 v[18:19], v[8:9], v[130:131]
	v_mul_f64_e32 v[130:131], v[10:11], v[130:131]
	v_add_f64_e32 v[12:13], v[14:15], v[12:13]
	v_add_f64_e32 v[14:15], v[152:153], v[162:163]
	v_fmac_f64_e32 v[156:157], v[6:7], v[20:21]
	v_fma_f64 v[20:21], v[4:5], v[20:21], -v[22:23]
	v_fmac_f64_e32 v[18:19], v[10:11], v[128:129]
	v_fma_f64 v[8:9], v[8:9], v[128:129], -v[130:131]
	v_add_f64_e32 v[16:17], v[12:13], v[16:17]
	v_add_f64_e32 v[22:23], v[14:15], v[154:155]
	ds_load_b128 v[4:7], v2 offset:1584
	ds_load_b128 v[12:15], v2 offset:1600
	s_wait_loadcnt_dscnt 0x301
	v_mul_f64_e32 v[144:145], v[4:5], v[134:135]
	v_mul_f64_e32 v[134:135], v[6:7], v[134:135]
	v_add_f64_e32 v[10:11], v[16:17], v[20:21]
	v_add_f64_e32 v[16:17], v[22:23], v[156:157]
	s_wait_loadcnt_dscnt 0x200
	v_mul_f64_e32 v[20:21], v[12:13], v[138:139]
	v_mul_f64_e32 v[22:23], v[14:15], v[138:139]
	v_fmac_f64_e32 v[144:145], v[6:7], v[132:133]
	v_fma_f64 v[128:129], v[4:5], v[132:133], -v[134:135]
	ds_load_b128 v[4:7], v2 offset:1616
	v_add_f64_e32 v[8:9], v[10:11], v[8:9]
	v_add_f64_e32 v[10:11], v[16:17], v[18:19]
	v_fmac_f64_e32 v[20:21], v[14:15], v[136:137]
	v_fma_f64 v[12:13], v[12:13], v[136:137], -v[22:23]
	s_wait_loadcnt_dscnt 0x100
	v_mul_f64_e32 v[16:17], v[4:5], v[142:143]
	v_mul_f64_e32 v[18:19], v[6:7], v[142:143]
	v_add_f64_e32 v[8:9], v[8:9], v[128:129]
	v_add_f64_e32 v[10:11], v[10:11], v[144:145]
	s_delay_alu instid0(VALU_DEP_4) | instskip(NEXT) | instid1(VALU_DEP_4)
	v_fmac_f64_e32 v[16:17], v[6:7], v[140:141]
	v_fma_f64 v[4:5], v[4:5], v[140:141], -v[18:19]
	s_delay_alu instid0(VALU_DEP_4) | instskip(NEXT) | instid1(VALU_DEP_4)
	v_add_f64_e32 v[6:7], v[8:9], v[12:13]
	v_add_f64_e32 v[8:9], v[10:11], v[20:21]
	s_delay_alu instid0(VALU_DEP_2) | instskip(NEXT) | instid1(VALU_DEP_2)
	v_add_f64_e32 v[4:5], v[6:7], v[4:5]
	v_add_f64_e32 v[6:7], v[8:9], v[16:17]
	s_wait_loadcnt 0x0
	s_delay_alu instid0(VALU_DEP_2) | instskip(NEXT) | instid1(VALU_DEP_2)
	v_add_f64_e64 v[4:5], v[148:149], -v[4:5]
	v_add_f64_e64 v[6:7], v[150:151], -v[6:7]
	scratch_store_b128 off, v[4:7], off offset:656
	s_wait_xcnt 0x0
	v_cmpx_lt_u32_e32 40, v1
	s_cbranch_execz .LBB114_239
; %bb.238:
	scratch_load_b128 v[6:9], off, s26
	v_dual_mov_b32 v3, v2 :: v_dual_mov_b32 v4, v2
	v_mov_b32_e32 v5, v2
	scratch_store_b128 off, v[2:5], off offset:640
	s_wait_loadcnt 0x0
	ds_store_b128 v126, v[6:9]
.LBB114_239:
	s_wait_xcnt 0x0
	s_or_b32 exec_lo, exec_lo, s2
	s_wait_storecnt_dscnt 0x0
	s_barrier_signal -1
	s_barrier_wait -1
	s_clause 0x9
	scratch_load_b128 v[4:7], off, off offset:656
	scratch_load_b128 v[8:11], off, off offset:672
	;; [unrolled: 1-line block ×10, first 2 shown]
	ds_load_b128 v[148:151], v2 offset:1472
	ds_load_b128 v[152:155], v2 offset:1488
	scratch_load_b128 v[156:159], off, off offset:640
	s_mov_b32 s2, exec_lo
	s_wait_loadcnt_dscnt 0xa01
	v_mul_f64_e32 v[160:161], v[150:151], v[6:7]
	v_mul_f64_e32 v[162:163], v[148:149], v[6:7]
	s_wait_loadcnt_dscnt 0x900
	v_mul_f64_e32 v[164:165], v[152:153], v[10:11]
	v_mul_f64_e32 v[10:11], v[154:155], v[10:11]
	s_delay_alu instid0(VALU_DEP_4) | instskip(NEXT) | instid1(VALU_DEP_4)
	v_fma_f64 v[160:161], v[148:149], v[4:5], -v[160:161]
	v_fmac_f64_e32 v[162:163], v[150:151], v[4:5]
	ds_load_b128 v[4:7], v2 offset:1504
	ds_load_b128 v[148:151], v2 offset:1520
	v_fmac_f64_e32 v[164:165], v[154:155], v[8:9]
	v_fma_f64 v[8:9], v[152:153], v[8:9], -v[10:11]
	s_wait_loadcnt_dscnt 0x801
	v_mul_f64_e32 v[166:167], v[4:5], v[14:15]
	v_mul_f64_e32 v[14:15], v[6:7], v[14:15]
	s_wait_loadcnt_dscnt 0x700
	v_mul_f64_e32 v[154:155], v[148:149], v[18:19]
	v_mul_f64_e32 v[18:19], v[150:151], v[18:19]
	v_add_f64_e32 v[10:11], 0, v[160:161]
	v_add_f64_e32 v[152:153], 0, v[162:163]
	v_fmac_f64_e32 v[166:167], v[6:7], v[12:13]
	v_fma_f64 v[12:13], v[4:5], v[12:13], -v[14:15]
	v_fmac_f64_e32 v[154:155], v[150:151], v[16:17]
	v_fma_f64 v[16:17], v[148:149], v[16:17], -v[18:19]
	v_add_f64_e32 v[14:15], v[10:11], v[8:9]
	v_add_f64_e32 v[152:153], v[152:153], v[164:165]
	ds_load_b128 v[4:7], v2 offset:1536
	ds_load_b128 v[8:11], v2 offset:1552
	s_wait_loadcnt_dscnt 0x601
	v_mul_f64_e32 v[160:161], v[4:5], v[22:23]
	v_mul_f64_e32 v[22:23], v[6:7], v[22:23]
	s_wait_loadcnt_dscnt 0x500
	v_mul_f64_e32 v[18:19], v[8:9], v[130:131]
	v_mul_f64_e32 v[130:131], v[10:11], v[130:131]
	v_add_f64_e32 v[12:13], v[14:15], v[12:13]
	v_add_f64_e32 v[14:15], v[152:153], v[166:167]
	v_fmac_f64_e32 v[160:161], v[6:7], v[20:21]
	v_fma_f64 v[20:21], v[4:5], v[20:21], -v[22:23]
	v_fmac_f64_e32 v[18:19], v[10:11], v[128:129]
	v_fma_f64 v[8:9], v[8:9], v[128:129], -v[130:131]
	v_add_f64_e32 v[16:17], v[12:13], v[16:17]
	v_add_f64_e32 v[22:23], v[14:15], v[154:155]
	ds_load_b128 v[4:7], v2 offset:1568
	ds_load_b128 v[12:15], v2 offset:1584
	s_wait_loadcnt_dscnt 0x401
	v_mul_f64_e32 v[148:149], v[4:5], v[134:135]
	v_mul_f64_e32 v[134:135], v[6:7], v[134:135]
	v_add_f64_e32 v[10:11], v[16:17], v[20:21]
	v_add_f64_e32 v[16:17], v[22:23], v[160:161]
	s_wait_loadcnt_dscnt 0x300
	v_mul_f64_e32 v[20:21], v[12:13], v[138:139]
	v_mul_f64_e32 v[22:23], v[14:15], v[138:139]
	v_fmac_f64_e32 v[148:149], v[6:7], v[132:133]
	v_fma_f64 v[128:129], v[4:5], v[132:133], -v[134:135]
	v_add_f64_e32 v[130:131], v[10:11], v[8:9]
	v_add_f64_e32 v[16:17], v[16:17], v[18:19]
	ds_load_b128 v[4:7], v2 offset:1600
	ds_load_b128 v[8:11], v2 offset:1616
	v_fmac_f64_e32 v[20:21], v[14:15], v[136:137]
	v_fma_f64 v[12:13], v[12:13], v[136:137], -v[22:23]
	s_wait_loadcnt_dscnt 0x201
	v_mul_f64_e32 v[2:3], v[4:5], v[142:143]
	v_mul_f64_e32 v[18:19], v[6:7], v[142:143]
	s_wait_loadcnt_dscnt 0x100
	v_mul_f64_e32 v[22:23], v[8:9], v[146:147]
	v_add_f64_e32 v[14:15], v[130:131], v[128:129]
	v_add_f64_e32 v[16:17], v[16:17], v[148:149]
	v_mul_f64_e32 v[128:129], v[10:11], v[146:147]
	v_fmac_f64_e32 v[2:3], v[6:7], v[140:141]
	v_fma_f64 v[4:5], v[4:5], v[140:141], -v[18:19]
	v_fmac_f64_e32 v[22:23], v[10:11], v[144:145]
	v_add_f64_e32 v[6:7], v[14:15], v[12:13]
	v_add_f64_e32 v[12:13], v[16:17], v[20:21]
	v_fma_f64 v[8:9], v[8:9], v[144:145], -v[128:129]
	s_delay_alu instid0(VALU_DEP_3) | instskip(NEXT) | instid1(VALU_DEP_3)
	v_add_f64_e32 v[4:5], v[6:7], v[4:5]
	v_add_f64_e32 v[2:3], v[12:13], v[2:3]
	s_delay_alu instid0(VALU_DEP_2) | instskip(NEXT) | instid1(VALU_DEP_2)
	v_add_f64_e32 v[4:5], v[4:5], v[8:9]
	v_add_f64_e32 v[6:7], v[2:3], v[22:23]
	s_wait_loadcnt 0x0
	s_delay_alu instid0(VALU_DEP_2) | instskip(NEXT) | instid1(VALU_DEP_2)
	v_add_f64_e64 v[2:3], v[156:157], -v[4:5]
	v_add_f64_e64 v[4:5], v[158:159], -v[6:7]
	scratch_store_b128 off, v[2:5], off offset:640
	s_wait_xcnt 0x0
	v_cmpx_lt_u32_e32 39, v1
	s_cbranch_execz .LBB114_241
; %bb.240:
	scratch_load_b128 v[2:5], off, s27
	v_mov_b32_e32 v6, 0
	s_delay_alu instid0(VALU_DEP_1)
	v_dual_mov_b32 v7, v6 :: v_dual_mov_b32 v8, v6
	v_mov_b32_e32 v9, v6
	scratch_store_b128 off, v[6:9], off offset:624
	s_wait_loadcnt 0x0
	ds_store_b128 v126, v[2:5]
.LBB114_241:
	s_wait_xcnt 0x0
	s_or_b32 exec_lo, exec_lo, s2
	s_wait_storecnt_dscnt 0x0
	s_barrier_signal -1
	s_barrier_wait -1
	s_clause 0x9
	scratch_load_b128 v[4:7], off, off offset:640
	scratch_load_b128 v[8:11], off, off offset:656
	;; [unrolled: 1-line block ×10, first 2 shown]
	v_mov_b32_e32 v2, 0
	s_mov_b32 s2, exec_lo
	ds_load_b128 v[148:151], v2 offset:1456
	s_clause 0x1
	scratch_load_b128 v[152:155], off, off offset:800
	scratch_load_b128 v[156:159], off, off offset:624
	s_wait_loadcnt_dscnt 0xb00
	v_mul_f64_e32 v[164:165], v[150:151], v[6:7]
	v_mul_f64_e32 v[166:167], v[148:149], v[6:7]
	ds_load_b128 v[160:163], v2 offset:1472
	s_wait_loadcnt_dscnt 0xa00
	v_mul_f64_e32 v[168:169], v[160:161], v[10:11]
	v_mul_f64_e32 v[10:11], v[162:163], v[10:11]
	v_fma_f64 v[164:165], v[148:149], v[4:5], -v[164:165]
	v_fmac_f64_e32 v[166:167], v[150:151], v[4:5]
	ds_load_b128 v[4:7], v2 offset:1488
	ds_load_b128 v[148:151], v2 offset:1504
	s_wait_loadcnt_dscnt 0x901
	v_mul_f64_e32 v[170:171], v[4:5], v[14:15]
	v_mul_f64_e32 v[14:15], v[6:7], v[14:15]
	v_fmac_f64_e32 v[168:169], v[162:163], v[8:9]
	v_fma_f64 v[8:9], v[160:161], v[8:9], -v[10:11]
	s_wait_loadcnt_dscnt 0x800
	v_mul_f64_e32 v[162:163], v[148:149], v[18:19]
	v_mul_f64_e32 v[18:19], v[150:151], v[18:19]
	v_add_f64_e32 v[10:11], 0, v[164:165]
	v_add_f64_e32 v[160:161], 0, v[166:167]
	v_fmac_f64_e32 v[170:171], v[6:7], v[12:13]
	v_fma_f64 v[12:13], v[4:5], v[12:13], -v[14:15]
	v_fmac_f64_e32 v[162:163], v[150:151], v[16:17]
	v_fma_f64 v[16:17], v[148:149], v[16:17], -v[18:19]
	v_add_f64_e32 v[14:15], v[10:11], v[8:9]
	v_add_f64_e32 v[160:161], v[160:161], v[168:169]
	ds_load_b128 v[4:7], v2 offset:1520
	ds_load_b128 v[8:11], v2 offset:1536
	s_wait_loadcnt_dscnt 0x701
	v_mul_f64_e32 v[164:165], v[4:5], v[22:23]
	v_mul_f64_e32 v[22:23], v[6:7], v[22:23]
	s_wait_loadcnt_dscnt 0x600
	v_mul_f64_e32 v[18:19], v[8:9], v[130:131]
	v_mul_f64_e32 v[130:131], v[10:11], v[130:131]
	v_add_f64_e32 v[12:13], v[14:15], v[12:13]
	v_add_f64_e32 v[14:15], v[160:161], v[170:171]
	v_fmac_f64_e32 v[164:165], v[6:7], v[20:21]
	v_fma_f64 v[20:21], v[4:5], v[20:21], -v[22:23]
	v_fmac_f64_e32 v[18:19], v[10:11], v[128:129]
	v_fma_f64 v[8:9], v[8:9], v[128:129], -v[130:131]
	v_add_f64_e32 v[16:17], v[12:13], v[16:17]
	v_add_f64_e32 v[22:23], v[14:15], v[162:163]
	ds_load_b128 v[4:7], v2 offset:1552
	ds_load_b128 v[12:15], v2 offset:1568
	s_wait_loadcnt_dscnt 0x501
	v_mul_f64_e32 v[148:149], v[4:5], v[134:135]
	v_mul_f64_e32 v[134:135], v[6:7], v[134:135]
	v_add_f64_e32 v[10:11], v[16:17], v[20:21]
	v_add_f64_e32 v[16:17], v[22:23], v[164:165]
	s_wait_loadcnt_dscnt 0x400
	v_mul_f64_e32 v[20:21], v[12:13], v[138:139]
	v_mul_f64_e32 v[22:23], v[14:15], v[138:139]
	v_fmac_f64_e32 v[148:149], v[6:7], v[132:133]
	v_fma_f64 v[128:129], v[4:5], v[132:133], -v[134:135]
	v_add_f64_e32 v[130:131], v[10:11], v[8:9]
	v_add_f64_e32 v[16:17], v[16:17], v[18:19]
	ds_load_b128 v[4:7], v2 offset:1584
	ds_load_b128 v[8:11], v2 offset:1600
	v_fmac_f64_e32 v[20:21], v[14:15], v[136:137]
	v_fma_f64 v[12:13], v[12:13], v[136:137], -v[22:23]
	s_wait_loadcnt_dscnt 0x301
	v_mul_f64_e32 v[18:19], v[4:5], v[142:143]
	v_mul_f64_e32 v[132:133], v[6:7], v[142:143]
	s_wait_loadcnt_dscnt 0x200
	v_mul_f64_e32 v[22:23], v[8:9], v[146:147]
	v_add_f64_e32 v[14:15], v[130:131], v[128:129]
	v_add_f64_e32 v[16:17], v[16:17], v[148:149]
	v_mul_f64_e32 v[128:129], v[10:11], v[146:147]
	v_fmac_f64_e32 v[18:19], v[6:7], v[140:141]
	v_fma_f64 v[130:131], v[4:5], v[140:141], -v[132:133]
	ds_load_b128 v[4:7], v2 offset:1616
	v_fmac_f64_e32 v[22:23], v[10:11], v[144:145]
	v_add_f64_e32 v[12:13], v[14:15], v[12:13]
	v_add_f64_e32 v[14:15], v[16:17], v[20:21]
	v_fma_f64 v[8:9], v[8:9], v[144:145], -v[128:129]
	s_wait_loadcnt_dscnt 0x100
	v_mul_f64_e32 v[16:17], v[4:5], v[154:155]
	v_mul_f64_e32 v[20:21], v[6:7], v[154:155]
	v_add_f64_e32 v[10:11], v[12:13], v[130:131]
	v_add_f64_e32 v[12:13], v[14:15], v[18:19]
	s_delay_alu instid0(VALU_DEP_4) | instskip(NEXT) | instid1(VALU_DEP_4)
	v_fmac_f64_e32 v[16:17], v[6:7], v[152:153]
	v_fma_f64 v[4:5], v[4:5], v[152:153], -v[20:21]
	s_delay_alu instid0(VALU_DEP_4) | instskip(NEXT) | instid1(VALU_DEP_4)
	v_add_f64_e32 v[6:7], v[10:11], v[8:9]
	v_add_f64_e32 v[8:9], v[12:13], v[22:23]
	s_delay_alu instid0(VALU_DEP_2) | instskip(NEXT) | instid1(VALU_DEP_2)
	v_add_f64_e32 v[4:5], v[6:7], v[4:5]
	v_add_f64_e32 v[6:7], v[8:9], v[16:17]
	s_wait_loadcnt 0x0
	s_delay_alu instid0(VALU_DEP_2) | instskip(NEXT) | instid1(VALU_DEP_2)
	v_add_f64_e64 v[4:5], v[156:157], -v[4:5]
	v_add_f64_e64 v[6:7], v[158:159], -v[6:7]
	scratch_store_b128 off, v[4:7], off offset:624
	s_wait_xcnt 0x0
	v_cmpx_lt_u32_e32 38, v1
	s_cbranch_execz .LBB114_243
; %bb.242:
	scratch_load_b128 v[6:9], off, s28
	v_dual_mov_b32 v3, v2 :: v_dual_mov_b32 v4, v2
	v_mov_b32_e32 v5, v2
	scratch_store_b128 off, v[2:5], off offset:608
	s_wait_loadcnt 0x0
	ds_store_b128 v126, v[6:9]
.LBB114_243:
	s_wait_xcnt 0x0
	s_or_b32 exec_lo, exec_lo, s2
	s_wait_storecnt_dscnt 0x0
	s_barrier_signal -1
	s_barrier_wait -1
	s_clause 0x9
	scratch_load_b128 v[4:7], off, off offset:624
	scratch_load_b128 v[8:11], off, off offset:640
	;; [unrolled: 1-line block ×10, first 2 shown]
	ds_load_b128 v[148:151], v2 offset:1440
	ds_load_b128 v[156:159], v2 offset:1456
	s_clause 0x2
	scratch_load_b128 v[152:155], off, off offset:784
	scratch_load_b128 v[160:163], off, off offset:608
	;; [unrolled: 1-line block ×3, first 2 shown]
	s_mov_b32 s2, exec_lo
	s_wait_loadcnt_dscnt 0xc01
	v_mul_f64_e32 v[168:169], v[150:151], v[6:7]
	v_mul_f64_e32 v[170:171], v[148:149], v[6:7]
	s_wait_loadcnt_dscnt 0xb00
	v_mul_f64_e32 v[172:173], v[156:157], v[10:11]
	v_mul_f64_e32 v[10:11], v[158:159], v[10:11]
	s_delay_alu instid0(VALU_DEP_4) | instskip(NEXT) | instid1(VALU_DEP_4)
	v_fma_f64 v[168:169], v[148:149], v[4:5], -v[168:169]
	v_fmac_f64_e32 v[170:171], v[150:151], v[4:5]
	ds_load_b128 v[4:7], v2 offset:1472
	ds_load_b128 v[148:151], v2 offset:1488
	v_fmac_f64_e32 v[172:173], v[158:159], v[8:9]
	v_fma_f64 v[8:9], v[156:157], v[8:9], -v[10:11]
	s_wait_loadcnt_dscnt 0xa01
	v_mul_f64_e32 v[174:175], v[4:5], v[14:15]
	v_mul_f64_e32 v[14:15], v[6:7], v[14:15]
	s_wait_loadcnt_dscnt 0x900
	v_mul_f64_e32 v[158:159], v[148:149], v[18:19]
	v_mul_f64_e32 v[18:19], v[150:151], v[18:19]
	v_add_f64_e32 v[10:11], 0, v[168:169]
	v_add_f64_e32 v[156:157], 0, v[170:171]
	v_fmac_f64_e32 v[174:175], v[6:7], v[12:13]
	v_fma_f64 v[12:13], v[4:5], v[12:13], -v[14:15]
	v_fmac_f64_e32 v[158:159], v[150:151], v[16:17]
	v_fma_f64 v[16:17], v[148:149], v[16:17], -v[18:19]
	v_add_f64_e32 v[14:15], v[10:11], v[8:9]
	v_add_f64_e32 v[156:157], v[156:157], v[172:173]
	ds_load_b128 v[4:7], v2 offset:1504
	ds_load_b128 v[8:11], v2 offset:1520
	s_wait_loadcnt_dscnt 0x801
	v_mul_f64_e32 v[168:169], v[4:5], v[22:23]
	v_mul_f64_e32 v[22:23], v[6:7], v[22:23]
	s_wait_loadcnt_dscnt 0x700
	v_mul_f64_e32 v[18:19], v[8:9], v[130:131]
	v_mul_f64_e32 v[130:131], v[10:11], v[130:131]
	v_add_f64_e32 v[12:13], v[14:15], v[12:13]
	v_add_f64_e32 v[14:15], v[156:157], v[174:175]
	v_fmac_f64_e32 v[168:169], v[6:7], v[20:21]
	v_fma_f64 v[20:21], v[4:5], v[20:21], -v[22:23]
	v_fmac_f64_e32 v[18:19], v[10:11], v[128:129]
	v_fma_f64 v[8:9], v[8:9], v[128:129], -v[130:131]
	v_add_f64_e32 v[16:17], v[12:13], v[16:17]
	v_add_f64_e32 v[22:23], v[14:15], v[158:159]
	ds_load_b128 v[4:7], v2 offset:1536
	ds_load_b128 v[12:15], v2 offset:1552
	s_wait_loadcnt_dscnt 0x601
	v_mul_f64_e32 v[148:149], v[4:5], v[134:135]
	v_mul_f64_e32 v[134:135], v[6:7], v[134:135]
	v_add_f64_e32 v[10:11], v[16:17], v[20:21]
	v_add_f64_e32 v[16:17], v[22:23], v[168:169]
	s_wait_loadcnt_dscnt 0x500
	v_mul_f64_e32 v[20:21], v[12:13], v[138:139]
	v_mul_f64_e32 v[22:23], v[14:15], v[138:139]
	v_fmac_f64_e32 v[148:149], v[6:7], v[132:133]
	v_fma_f64 v[128:129], v[4:5], v[132:133], -v[134:135]
	v_add_f64_e32 v[130:131], v[10:11], v[8:9]
	v_add_f64_e32 v[16:17], v[16:17], v[18:19]
	ds_load_b128 v[4:7], v2 offset:1568
	ds_load_b128 v[8:11], v2 offset:1584
	v_fmac_f64_e32 v[20:21], v[14:15], v[136:137]
	v_fma_f64 v[12:13], v[12:13], v[136:137], -v[22:23]
	s_wait_loadcnt_dscnt 0x401
	v_mul_f64_e32 v[18:19], v[4:5], v[142:143]
	v_mul_f64_e32 v[132:133], v[6:7], v[142:143]
	s_wait_loadcnt_dscnt 0x300
	v_mul_f64_e32 v[22:23], v[8:9], v[146:147]
	v_add_f64_e32 v[14:15], v[130:131], v[128:129]
	v_add_f64_e32 v[16:17], v[16:17], v[148:149]
	v_mul_f64_e32 v[128:129], v[10:11], v[146:147]
	v_fmac_f64_e32 v[18:19], v[6:7], v[140:141]
	v_fma_f64 v[130:131], v[4:5], v[140:141], -v[132:133]
	v_fmac_f64_e32 v[22:23], v[10:11], v[144:145]
	v_add_f64_e32 v[132:133], v[14:15], v[12:13]
	v_add_f64_e32 v[16:17], v[16:17], v[20:21]
	ds_load_b128 v[4:7], v2 offset:1600
	ds_load_b128 v[12:15], v2 offset:1616
	v_fma_f64 v[8:9], v[8:9], v[144:145], -v[128:129]
	s_wait_loadcnt_dscnt 0x201
	v_mul_f64_e32 v[2:3], v[4:5], v[154:155]
	v_mul_f64_e32 v[20:21], v[6:7], v[154:155]
	s_wait_loadcnt_dscnt 0x0
	v_mul_f64_e32 v[128:129], v[14:15], v[166:167]
	v_add_f64_e32 v[10:11], v[132:133], v[130:131]
	v_add_f64_e32 v[16:17], v[16:17], v[18:19]
	v_mul_f64_e32 v[18:19], v[12:13], v[166:167]
	v_fmac_f64_e32 v[2:3], v[6:7], v[152:153]
	v_fma_f64 v[4:5], v[4:5], v[152:153], -v[20:21]
	v_add_f64_e32 v[6:7], v[10:11], v[8:9]
	v_add_f64_e32 v[8:9], v[16:17], v[22:23]
	v_fmac_f64_e32 v[18:19], v[14:15], v[164:165]
	v_fma_f64 v[10:11], v[12:13], v[164:165], -v[128:129]
	s_delay_alu instid0(VALU_DEP_4) | instskip(NEXT) | instid1(VALU_DEP_4)
	v_add_f64_e32 v[4:5], v[6:7], v[4:5]
	v_add_f64_e32 v[2:3], v[8:9], v[2:3]
	s_delay_alu instid0(VALU_DEP_2) | instskip(NEXT) | instid1(VALU_DEP_2)
	v_add_f64_e32 v[4:5], v[4:5], v[10:11]
	v_add_f64_e32 v[6:7], v[2:3], v[18:19]
	s_delay_alu instid0(VALU_DEP_2) | instskip(NEXT) | instid1(VALU_DEP_2)
	v_add_f64_e64 v[2:3], v[160:161], -v[4:5]
	v_add_f64_e64 v[4:5], v[162:163], -v[6:7]
	scratch_store_b128 off, v[2:5], off offset:608
	s_wait_xcnt 0x0
	v_cmpx_lt_u32_e32 37, v1
	s_cbranch_execz .LBB114_245
; %bb.244:
	scratch_load_b128 v[2:5], off, s29
	v_mov_b32_e32 v6, 0
	s_delay_alu instid0(VALU_DEP_1)
	v_dual_mov_b32 v7, v6 :: v_dual_mov_b32 v8, v6
	v_mov_b32_e32 v9, v6
	scratch_store_b128 off, v[6:9], off offset:592
	s_wait_loadcnt 0x0
	ds_store_b128 v126, v[2:5]
.LBB114_245:
	s_wait_xcnt 0x0
	s_or_b32 exec_lo, exec_lo, s2
	s_wait_storecnt_dscnt 0x0
	s_barrier_signal -1
	s_barrier_wait -1
	s_clause 0x9
	scratch_load_b128 v[4:7], off, off offset:608
	scratch_load_b128 v[8:11], off, off offset:624
	;; [unrolled: 1-line block ×10, first 2 shown]
	v_mov_b32_e32 v2, 0
	s_mov_b32 s2, exec_lo
	ds_load_b128 v[148:151], v2 offset:1424
	s_clause 0x2
	scratch_load_b128 v[152:155], off, off offset:768
	scratch_load_b128 v[156:159], off, off offset:592
	;; [unrolled: 1-line block ×3, first 2 shown]
	s_wait_loadcnt_dscnt 0xc00
	v_mul_f64_e32 v[168:169], v[150:151], v[6:7]
	v_mul_f64_e32 v[172:173], v[148:149], v[6:7]
	ds_load_b128 v[160:163], v2 offset:1440
	v_fma_f64 v[176:177], v[148:149], v[4:5], -v[168:169]
	v_fmac_f64_e32 v[172:173], v[150:151], v[4:5]
	ds_load_b128 v[4:7], v2 offset:1456
	s_wait_loadcnt_dscnt 0xb01
	v_mul_f64_e32 v[174:175], v[160:161], v[10:11]
	v_mul_f64_e32 v[10:11], v[162:163], v[10:11]
	scratch_load_b128 v[148:151], off, off offset:800
	ds_load_b128 v[168:171], v2 offset:1472
	s_wait_loadcnt_dscnt 0xb01
	v_mul_f64_e32 v[178:179], v[4:5], v[14:15]
	v_mul_f64_e32 v[14:15], v[6:7], v[14:15]
	v_fmac_f64_e32 v[174:175], v[162:163], v[8:9]
	v_fma_f64 v[8:9], v[160:161], v[8:9], -v[10:11]
	v_add_f64_e32 v[10:11], 0, v[176:177]
	v_add_f64_e32 v[160:161], 0, v[172:173]
	s_wait_loadcnt_dscnt 0xa00
	v_mul_f64_e32 v[162:163], v[168:169], v[18:19]
	v_mul_f64_e32 v[18:19], v[170:171], v[18:19]
	v_fmac_f64_e32 v[178:179], v[6:7], v[12:13]
	v_fma_f64 v[12:13], v[4:5], v[12:13], -v[14:15]
	v_add_f64_e32 v[14:15], v[10:11], v[8:9]
	v_add_f64_e32 v[160:161], v[160:161], v[174:175]
	ds_load_b128 v[4:7], v2 offset:1488
	ds_load_b128 v[8:11], v2 offset:1504
	v_fmac_f64_e32 v[162:163], v[170:171], v[16:17]
	v_fma_f64 v[16:17], v[168:169], v[16:17], -v[18:19]
	s_wait_loadcnt_dscnt 0x901
	v_mul_f64_e32 v[172:173], v[4:5], v[22:23]
	v_mul_f64_e32 v[22:23], v[6:7], v[22:23]
	s_wait_loadcnt_dscnt 0x800
	v_mul_f64_e32 v[18:19], v[8:9], v[130:131]
	v_mul_f64_e32 v[130:131], v[10:11], v[130:131]
	v_add_f64_e32 v[12:13], v[14:15], v[12:13]
	v_add_f64_e32 v[14:15], v[160:161], v[178:179]
	v_fmac_f64_e32 v[172:173], v[6:7], v[20:21]
	v_fma_f64 v[20:21], v[4:5], v[20:21], -v[22:23]
	v_fmac_f64_e32 v[18:19], v[10:11], v[128:129]
	v_fma_f64 v[8:9], v[8:9], v[128:129], -v[130:131]
	v_add_f64_e32 v[16:17], v[12:13], v[16:17]
	v_add_f64_e32 v[22:23], v[14:15], v[162:163]
	ds_load_b128 v[4:7], v2 offset:1520
	ds_load_b128 v[12:15], v2 offset:1536
	s_wait_loadcnt_dscnt 0x701
	v_mul_f64_e32 v[160:161], v[4:5], v[134:135]
	v_mul_f64_e32 v[134:135], v[6:7], v[134:135]
	v_add_f64_e32 v[10:11], v[16:17], v[20:21]
	v_add_f64_e32 v[16:17], v[22:23], v[172:173]
	s_wait_loadcnt_dscnt 0x600
	v_mul_f64_e32 v[20:21], v[12:13], v[138:139]
	v_mul_f64_e32 v[22:23], v[14:15], v[138:139]
	v_fmac_f64_e32 v[160:161], v[6:7], v[132:133]
	v_fma_f64 v[128:129], v[4:5], v[132:133], -v[134:135]
	v_add_f64_e32 v[130:131], v[10:11], v[8:9]
	v_add_f64_e32 v[16:17], v[16:17], v[18:19]
	ds_load_b128 v[4:7], v2 offset:1552
	ds_load_b128 v[8:11], v2 offset:1568
	v_fmac_f64_e32 v[20:21], v[14:15], v[136:137]
	v_fma_f64 v[12:13], v[12:13], v[136:137], -v[22:23]
	s_wait_loadcnt_dscnt 0x501
	v_mul_f64_e32 v[18:19], v[4:5], v[142:143]
	v_mul_f64_e32 v[132:133], v[6:7], v[142:143]
	s_wait_loadcnt_dscnt 0x400
	v_mul_f64_e32 v[22:23], v[8:9], v[146:147]
	v_add_f64_e32 v[14:15], v[130:131], v[128:129]
	v_add_f64_e32 v[16:17], v[16:17], v[160:161]
	v_mul_f64_e32 v[128:129], v[10:11], v[146:147]
	v_fmac_f64_e32 v[18:19], v[6:7], v[140:141]
	v_fma_f64 v[130:131], v[4:5], v[140:141], -v[132:133]
	v_fmac_f64_e32 v[22:23], v[10:11], v[144:145]
	v_add_f64_e32 v[132:133], v[14:15], v[12:13]
	v_add_f64_e32 v[16:17], v[16:17], v[20:21]
	ds_load_b128 v[4:7], v2 offset:1584
	ds_load_b128 v[12:15], v2 offset:1600
	v_fma_f64 v[8:9], v[8:9], v[144:145], -v[128:129]
	s_wait_loadcnt_dscnt 0x301
	v_mul_f64_e32 v[20:21], v[4:5], v[154:155]
	v_mul_f64_e32 v[134:135], v[6:7], v[154:155]
	s_wait_loadcnt_dscnt 0x100
	v_mul_f64_e32 v[128:129], v[14:15], v[166:167]
	v_add_f64_e32 v[10:11], v[132:133], v[130:131]
	v_add_f64_e32 v[16:17], v[16:17], v[18:19]
	v_mul_f64_e32 v[18:19], v[12:13], v[166:167]
	v_fmac_f64_e32 v[20:21], v[6:7], v[152:153]
	v_fma_f64 v[130:131], v[4:5], v[152:153], -v[134:135]
	ds_load_b128 v[4:7], v2 offset:1616
	v_fma_f64 v[12:13], v[12:13], v[164:165], -v[128:129]
	v_add_f64_e32 v[8:9], v[10:11], v[8:9]
	v_add_f64_e32 v[10:11], v[16:17], v[22:23]
	v_fmac_f64_e32 v[18:19], v[14:15], v[164:165]
	s_wait_loadcnt_dscnt 0x0
	v_mul_f64_e32 v[16:17], v[4:5], v[150:151]
	v_mul_f64_e32 v[22:23], v[6:7], v[150:151]
	v_add_f64_e32 v[8:9], v[8:9], v[130:131]
	v_add_f64_e32 v[10:11], v[10:11], v[20:21]
	s_delay_alu instid0(VALU_DEP_4) | instskip(NEXT) | instid1(VALU_DEP_4)
	v_fmac_f64_e32 v[16:17], v[6:7], v[148:149]
	v_fma_f64 v[4:5], v[4:5], v[148:149], -v[22:23]
	s_delay_alu instid0(VALU_DEP_4) | instskip(NEXT) | instid1(VALU_DEP_4)
	v_add_f64_e32 v[6:7], v[8:9], v[12:13]
	v_add_f64_e32 v[8:9], v[10:11], v[18:19]
	s_delay_alu instid0(VALU_DEP_2) | instskip(NEXT) | instid1(VALU_DEP_2)
	v_add_f64_e32 v[4:5], v[6:7], v[4:5]
	v_add_f64_e32 v[6:7], v[8:9], v[16:17]
	s_delay_alu instid0(VALU_DEP_2) | instskip(NEXT) | instid1(VALU_DEP_2)
	v_add_f64_e64 v[4:5], v[156:157], -v[4:5]
	v_add_f64_e64 v[6:7], v[158:159], -v[6:7]
	scratch_store_b128 off, v[4:7], off offset:592
	s_wait_xcnt 0x0
	v_cmpx_lt_u32_e32 36, v1
	s_cbranch_execz .LBB114_247
; %bb.246:
	scratch_load_b128 v[6:9], off, s30
	v_dual_mov_b32 v3, v2 :: v_dual_mov_b32 v4, v2
	v_mov_b32_e32 v5, v2
	scratch_store_b128 off, v[2:5], off offset:576
	s_wait_loadcnt 0x0
	ds_store_b128 v126, v[6:9]
.LBB114_247:
	s_wait_xcnt 0x0
	s_or_b32 exec_lo, exec_lo, s2
	s_wait_storecnt_dscnt 0x0
	s_barrier_signal -1
	s_barrier_wait -1
	s_clause 0x9
	scratch_load_b128 v[4:7], off, off offset:592
	scratch_load_b128 v[8:11], off, off offset:608
	;; [unrolled: 1-line block ×10, first 2 shown]
	ds_load_b128 v[148:151], v2 offset:1408
	ds_load_b128 v[156:159], v2 offset:1424
	s_clause 0x2
	scratch_load_b128 v[152:155], off, off offset:752
	scratch_load_b128 v[160:163], off, off offset:576
	;; [unrolled: 1-line block ×3, first 2 shown]
	s_mov_b32 s2, exec_lo
	s_wait_loadcnt_dscnt 0xc01
	v_mul_f64_e32 v[168:169], v[150:151], v[6:7]
	v_mul_f64_e32 v[172:173], v[148:149], v[6:7]
	s_wait_loadcnt_dscnt 0xb00
	v_mul_f64_e32 v[174:175], v[156:157], v[10:11]
	v_mul_f64_e32 v[10:11], v[158:159], v[10:11]
	s_delay_alu instid0(VALU_DEP_4) | instskip(NEXT) | instid1(VALU_DEP_4)
	v_fma_f64 v[176:177], v[148:149], v[4:5], -v[168:169]
	v_fmac_f64_e32 v[172:173], v[150:151], v[4:5]
	ds_load_b128 v[4:7], v2 offset:1440
	ds_load_b128 v[148:151], v2 offset:1456
	scratch_load_b128 v[168:171], off, off offset:784
	v_fmac_f64_e32 v[174:175], v[158:159], v[8:9]
	v_fma_f64 v[156:157], v[156:157], v[8:9], -v[10:11]
	scratch_load_b128 v[8:11], off, off offset:800
	s_wait_loadcnt_dscnt 0xc01
	v_mul_f64_e32 v[178:179], v[4:5], v[14:15]
	v_mul_f64_e32 v[14:15], v[6:7], v[14:15]
	v_add_f64_e32 v[158:159], 0, v[176:177]
	v_add_f64_e32 v[172:173], 0, v[172:173]
	s_wait_loadcnt_dscnt 0xb00
	v_mul_f64_e32 v[176:177], v[148:149], v[18:19]
	v_mul_f64_e32 v[18:19], v[150:151], v[18:19]
	v_fmac_f64_e32 v[178:179], v[6:7], v[12:13]
	v_fma_f64 v[180:181], v[4:5], v[12:13], -v[14:15]
	ds_load_b128 v[4:7], v2 offset:1472
	ds_load_b128 v[12:15], v2 offset:1488
	v_add_f64_e32 v[156:157], v[158:159], v[156:157]
	v_add_f64_e32 v[158:159], v[172:173], v[174:175]
	v_fmac_f64_e32 v[176:177], v[150:151], v[16:17]
	v_fma_f64 v[16:17], v[148:149], v[16:17], -v[18:19]
	s_wait_loadcnt_dscnt 0xa01
	v_mul_f64_e32 v[172:173], v[4:5], v[22:23]
	v_mul_f64_e32 v[22:23], v[6:7], v[22:23]
	s_wait_loadcnt_dscnt 0x900
	v_mul_f64_e32 v[150:151], v[12:13], v[130:131]
	v_mul_f64_e32 v[130:131], v[14:15], v[130:131]
	v_add_f64_e32 v[18:19], v[156:157], v[180:181]
	v_add_f64_e32 v[148:149], v[158:159], v[178:179]
	v_fmac_f64_e32 v[172:173], v[6:7], v[20:21]
	v_fma_f64 v[20:21], v[4:5], v[20:21], -v[22:23]
	v_fmac_f64_e32 v[150:151], v[14:15], v[128:129]
	v_fma_f64 v[12:13], v[12:13], v[128:129], -v[130:131]
	v_add_f64_e32 v[22:23], v[18:19], v[16:17]
	v_add_f64_e32 v[148:149], v[148:149], v[176:177]
	ds_load_b128 v[4:7], v2 offset:1504
	ds_load_b128 v[16:19], v2 offset:1520
	s_wait_loadcnt_dscnt 0x801
	v_mul_f64_e32 v[156:157], v[4:5], v[134:135]
	v_mul_f64_e32 v[134:135], v[6:7], v[134:135]
	s_wait_loadcnt_dscnt 0x700
	v_mul_f64_e32 v[128:129], v[18:19], v[138:139]
	v_add_f64_e32 v[14:15], v[22:23], v[20:21]
	v_add_f64_e32 v[20:21], v[148:149], v[172:173]
	v_mul_f64_e32 v[22:23], v[16:17], v[138:139]
	v_fmac_f64_e32 v[156:157], v[6:7], v[132:133]
	v_fma_f64 v[130:131], v[4:5], v[132:133], -v[134:135]
	v_fma_f64 v[16:17], v[16:17], v[136:137], -v[128:129]
	v_add_f64_e32 v[132:133], v[14:15], v[12:13]
	v_add_f64_e32 v[20:21], v[20:21], v[150:151]
	ds_load_b128 v[4:7], v2 offset:1536
	ds_load_b128 v[12:15], v2 offset:1552
	v_fmac_f64_e32 v[22:23], v[18:19], v[136:137]
	s_wait_loadcnt_dscnt 0x601
	v_mul_f64_e32 v[134:135], v[4:5], v[142:143]
	v_mul_f64_e32 v[138:139], v[6:7], v[142:143]
	s_wait_loadcnt_dscnt 0x500
	v_mul_f64_e32 v[128:129], v[12:13], v[146:147]
	v_add_f64_e32 v[18:19], v[132:133], v[130:131]
	v_add_f64_e32 v[20:21], v[20:21], v[156:157]
	v_mul_f64_e32 v[130:131], v[14:15], v[146:147]
	v_fmac_f64_e32 v[134:135], v[6:7], v[140:141]
	v_fma_f64 v[132:133], v[4:5], v[140:141], -v[138:139]
	v_fmac_f64_e32 v[128:129], v[14:15], v[144:145]
	v_add_f64_e32 v[136:137], v[18:19], v[16:17]
	v_add_f64_e32 v[20:21], v[20:21], v[22:23]
	ds_load_b128 v[4:7], v2 offset:1568
	ds_load_b128 v[16:19], v2 offset:1584
	v_fma_f64 v[12:13], v[12:13], v[144:145], -v[130:131]
	s_wait_loadcnt_dscnt 0x401
	v_mul_f64_e32 v[22:23], v[4:5], v[154:155]
	v_mul_f64_e32 v[138:139], v[6:7], v[154:155]
	s_wait_loadcnt_dscnt 0x200
	v_mul_f64_e32 v[130:131], v[16:17], v[166:167]
	v_add_f64_e32 v[14:15], v[136:137], v[132:133]
	v_add_f64_e32 v[20:21], v[20:21], v[134:135]
	v_mul_f64_e32 v[132:133], v[18:19], v[166:167]
	v_fmac_f64_e32 v[22:23], v[6:7], v[152:153]
	v_fma_f64 v[134:135], v[4:5], v[152:153], -v[138:139]
	v_fmac_f64_e32 v[130:131], v[18:19], v[164:165]
	v_add_f64_e32 v[136:137], v[14:15], v[12:13]
	v_add_f64_e32 v[20:21], v[20:21], v[128:129]
	ds_load_b128 v[4:7], v2 offset:1600
	ds_load_b128 v[12:15], v2 offset:1616
	v_fma_f64 v[16:17], v[16:17], v[164:165], -v[132:133]
	s_wait_loadcnt_dscnt 0x101
	v_mul_f64_e32 v[2:3], v[4:5], v[170:171]
	v_mul_f64_e32 v[128:129], v[6:7], v[170:171]
	v_add_f64_e32 v[18:19], v[136:137], v[134:135]
	v_add_f64_e32 v[20:21], v[20:21], v[22:23]
	s_wait_loadcnt_dscnt 0x0
	v_mul_f64_e32 v[22:23], v[12:13], v[10:11]
	v_mul_f64_e32 v[10:11], v[14:15], v[10:11]
	v_fmac_f64_e32 v[2:3], v[6:7], v[168:169]
	v_fma_f64 v[4:5], v[4:5], v[168:169], -v[128:129]
	v_add_f64_e32 v[6:7], v[18:19], v[16:17]
	v_add_f64_e32 v[16:17], v[20:21], v[130:131]
	v_fmac_f64_e32 v[22:23], v[14:15], v[8:9]
	v_fma_f64 v[8:9], v[12:13], v[8:9], -v[10:11]
	s_delay_alu instid0(VALU_DEP_4) | instskip(NEXT) | instid1(VALU_DEP_4)
	v_add_f64_e32 v[4:5], v[6:7], v[4:5]
	v_add_f64_e32 v[2:3], v[16:17], v[2:3]
	s_delay_alu instid0(VALU_DEP_2) | instskip(NEXT) | instid1(VALU_DEP_2)
	v_add_f64_e32 v[4:5], v[4:5], v[8:9]
	v_add_f64_e32 v[6:7], v[2:3], v[22:23]
	s_delay_alu instid0(VALU_DEP_2) | instskip(NEXT) | instid1(VALU_DEP_2)
	v_add_f64_e64 v[2:3], v[160:161], -v[4:5]
	v_add_f64_e64 v[4:5], v[162:163], -v[6:7]
	scratch_store_b128 off, v[2:5], off offset:576
	s_wait_xcnt 0x0
	v_cmpx_lt_u32_e32 35, v1
	s_cbranch_execz .LBB114_249
; %bb.248:
	scratch_load_b128 v[2:5], off, s31
	v_mov_b32_e32 v6, 0
	s_delay_alu instid0(VALU_DEP_1)
	v_dual_mov_b32 v7, v6 :: v_dual_mov_b32 v8, v6
	v_mov_b32_e32 v9, v6
	scratch_store_b128 off, v[6:9], off offset:560
	s_wait_loadcnt 0x0
	ds_store_b128 v126, v[2:5]
.LBB114_249:
	s_wait_xcnt 0x0
	s_or_b32 exec_lo, exec_lo, s2
	s_wait_storecnt_dscnt 0x0
	s_barrier_signal -1
	s_barrier_wait -1
	s_clause 0x9
	scratch_load_b128 v[4:7], off, off offset:576
	scratch_load_b128 v[8:11], off, off offset:592
	;; [unrolled: 1-line block ×10, first 2 shown]
	v_mov_b32_e32 v2, 0
	s_mov_b32 s2, exec_lo
	ds_load_b128 v[148:151], v2 offset:1392
	s_clause 0x2
	scratch_load_b128 v[152:155], off, off offset:736
	scratch_load_b128 v[156:159], off, off offset:560
	;; [unrolled: 1-line block ×3, first 2 shown]
	s_wait_loadcnt_dscnt 0xc00
	v_mul_f64_e32 v[168:169], v[150:151], v[6:7]
	v_mul_f64_e32 v[172:173], v[148:149], v[6:7]
	ds_load_b128 v[160:163], v2 offset:1408
	v_fma_f64 v[176:177], v[148:149], v[4:5], -v[168:169]
	v_fmac_f64_e32 v[172:173], v[150:151], v[4:5]
	ds_load_b128 v[4:7], v2 offset:1424
	s_wait_loadcnt_dscnt 0xb01
	v_mul_f64_e32 v[174:175], v[160:161], v[10:11]
	v_mul_f64_e32 v[10:11], v[162:163], v[10:11]
	scratch_load_b128 v[148:151], off, off offset:768
	ds_load_b128 v[168:171], v2 offset:1440
	s_wait_loadcnt_dscnt 0xb01
	v_mul_f64_e32 v[178:179], v[4:5], v[14:15]
	v_mul_f64_e32 v[14:15], v[6:7], v[14:15]
	v_add_f64_e32 v[172:173], 0, v[172:173]
	v_fmac_f64_e32 v[174:175], v[162:163], v[8:9]
	v_fma_f64 v[160:161], v[160:161], v[8:9], -v[10:11]
	v_add_f64_e32 v[162:163], 0, v[176:177]
	scratch_load_b128 v[8:11], off, off offset:784
	v_fmac_f64_e32 v[178:179], v[6:7], v[12:13]
	v_fma_f64 v[180:181], v[4:5], v[12:13], -v[14:15]
	ds_load_b128 v[4:7], v2 offset:1456
	s_wait_loadcnt_dscnt 0xb01
	v_mul_f64_e32 v[176:177], v[168:169], v[18:19]
	v_mul_f64_e32 v[18:19], v[170:171], v[18:19]
	scratch_load_b128 v[12:15], off, off offset:800
	v_add_f64_e32 v[172:173], v[172:173], v[174:175]
	v_add_f64_e32 v[182:183], v[162:163], v[160:161]
	ds_load_b128 v[160:163], v2 offset:1472
	s_wait_loadcnt_dscnt 0xb01
	v_mul_f64_e32 v[174:175], v[4:5], v[22:23]
	v_mul_f64_e32 v[22:23], v[6:7], v[22:23]
	v_fmac_f64_e32 v[176:177], v[170:171], v[16:17]
	v_fma_f64 v[16:17], v[168:169], v[16:17], -v[18:19]
	s_wait_loadcnt_dscnt 0xa00
	v_mul_f64_e32 v[170:171], v[160:161], v[130:131]
	v_mul_f64_e32 v[130:131], v[162:163], v[130:131]
	v_add_f64_e32 v[168:169], v[172:173], v[178:179]
	v_add_f64_e32 v[18:19], v[182:183], v[180:181]
	v_fmac_f64_e32 v[174:175], v[6:7], v[20:21]
	v_fma_f64 v[20:21], v[4:5], v[20:21], -v[22:23]
	v_fmac_f64_e32 v[170:171], v[162:163], v[128:129]
	v_fma_f64 v[128:129], v[160:161], v[128:129], -v[130:131]
	v_add_f64_e32 v[168:169], v[168:169], v[176:177]
	v_add_f64_e32 v[22:23], v[18:19], v[16:17]
	ds_load_b128 v[4:7], v2 offset:1488
	ds_load_b128 v[16:19], v2 offset:1504
	s_wait_loadcnt_dscnt 0x901
	v_mul_f64_e32 v[172:173], v[4:5], v[134:135]
	v_mul_f64_e32 v[134:135], v[6:7], v[134:135]
	s_wait_loadcnt_dscnt 0x800
	v_mul_f64_e32 v[130:131], v[16:17], v[138:139]
	v_mul_f64_e32 v[138:139], v[18:19], v[138:139]
	v_add_f64_e32 v[20:21], v[22:23], v[20:21]
	v_add_f64_e32 v[22:23], v[168:169], v[174:175]
	v_fmac_f64_e32 v[172:173], v[6:7], v[132:133]
	v_fma_f64 v[132:133], v[4:5], v[132:133], -v[134:135]
	v_fmac_f64_e32 v[130:131], v[18:19], v[136:137]
	v_fma_f64 v[16:17], v[16:17], v[136:137], -v[138:139]
	v_add_f64_e32 v[128:129], v[20:21], v[128:129]
	v_add_f64_e32 v[134:135], v[22:23], v[170:171]
	ds_load_b128 v[4:7], v2 offset:1520
	ds_load_b128 v[20:23], v2 offset:1536
	s_wait_loadcnt_dscnt 0x701
	v_mul_f64_e32 v[160:161], v[4:5], v[142:143]
	v_mul_f64_e32 v[142:143], v[6:7], v[142:143]
	v_add_f64_e32 v[18:19], v[128:129], v[132:133]
	v_add_f64_e32 v[128:129], v[134:135], v[172:173]
	s_wait_loadcnt_dscnt 0x600
	v_mul_f64_e32 v[132:133], v[20:21], v[146:147]
	v_mul_f64_e32 v[134:135], v[22:23], v[146:147]
	v_fmac_f64_e32 v[160:161], v[6:7], v[140:141]
	v_fma_f64 v[136:137], v[4:5], v[140:141], -v[142:143]
	v_add_f64_e32 v[138:139], v[18:19], v[16:17]
	v_add_f64_e32 v[128:129], v[128:129], v[130:131]
	ds_load_b128 v[4:7], v2 offset:1552
	ds_load_b128 v[16:19], v2 offset:1568
	v_fmac_f64_e32 v[132:133], v[22:23], v[144:145]
	v_fma_f64 v[20:21], v[20:21], v[144:145], -v[134:135]
	s_wait_loadcnt_dscnt 0x501
	v_mul_f64_e32 v[130:131], v[4:5], v[154:155]
	v_mul_f64_e32 v[140:141], v[6:7], v[154:155]
	s_wait_loadcnt_dscnt 0x300
	v_mul_f64_e32 v[134:135], v[16:17], v[166:167]
	v_add_f64_e32 v[22:23], v[138:139], v[136:137]
	v_add_f64_e32 v[128:129], v[128:129], v[160:161]
	v_mul_f64_e32 v[136:137], v[18:19], v[166:167]
	v_fmac_f64_e32 v[130:131], v[6:7], v[152:153]
	v_fma_f64 v[138:139], v[4:5], v[152:153], -v[140:141]
	v_fmac_f64_e32 v[134:135], v[18:19], v[164:165]
	v_add_f64_e32 v[140:141], v[22:23], v[20:21]
	v_add_f64_e32 v[128:129], v[128:129], v[132:133]
	ds_load_b128 v[4:7], v2 offset:1584
	ds_load_b128 v[20:23], v2 offset:1600
	v_fma_f64 v[16:17], v[16:17], v[164:165], -v[136:137]
	s_wait_loadcnt_dscnt 0x201
	v_mul_f64_e32 v[132:133], v[4:5], v[150:151]
	v_mul_f64_e32 v[142:143], v[6:7], v[150:151]
	v_add_f64_e32 v[18:19], v[140:141], v[138:139]
	v_add_f64_e32 v[128:129], v[128:129], v[130:131]
	s_wait_loadcnt_dscnt 0x100
	v_mul_f64_e32 v[130:131], v[20:21], v[10:11]
	v_mul_f64_e32 v[10:11], v[22:23], v[10:11]
	v_fmac_f64_e32 v[132:133], v[6:7], v[148:149]
	v_fma_f64 v[136:137], v[4:5], v[148:149], -v[142:143]
	ds_load_b128 v[4:7], v2 offset:1616
	v_add_f64_e32 v[16:17], v[18:19], v[16:17]
	v_add_f64_e32 v[18:19], v[128:129], v[134:135]
	v_fmac_f64_e32 v[130:131], v[22:23], v[8:9]
	v_fma_f64 v[8:9], v[20:21], v[8:9], -v[10:11]
	s_wait_loadcnt_dscnt 0x0
	v_mul_f64_e32 v[128:129], v[4:5], v[14:15]
	v_mul_f64_e32 v[14:15], v[6:7], v[14:15]
	v_add_f64_e32 v[10:11], v[16:17], v[136:137]
	v_add_f64_e32 v[16:17], v[18:19], v[132:133]
	s_delay_alu instid0(VALU_DEP_4) | instskip(NEXT) | instid1(VALU_DEP_4)
	v_fmac_f64_e32 v[128:129], v[6:7], v[12:13]
	v_fma_f64 v[4:5], v[4:5], v[12:13], -v[14:15]
	s_delay_alu instid0(VALU_DEP_4) | instskip(NEXT) | instid1(VALU_DEP_4)
	v_add_f64_e32 v[6:7], v[10:11], v[8:9]
	v_add_f64_e32 v[8:9], v[16:17], v[130:131]
	s_delay_alu instid0(VALU_DEP_2) | instskip(NEXT) | instid1(VALU_DEP_2)
	v_add_f64_e32 v[4:5], v[6:7], v[4:5]
	v_add_f64_e32 v[6:7], v[8:9], v[128:129]
	s_delay_alu instid0(VALU_DEP_2) | instskip(NEXT) | instid1(VALU_DEP_2)
	v_add_f64_e64 v[4:5], v[156:157], -v[4:5]
	v_add_f64_e64 v[6:7], v[158:159], -v[6:7]
	scratch_store_b128 off, v[4:7], off offset:560
	s_wait_xcnt 0x0
	v_cmpx_lt_u32_e32 34, v1
	s_cbranch_execz .LBB114_251
; %bb.250:
	scratch_load_b128 v[6:9], off, s33
	v_dual_mov_b32 v3, v2 :: v_dual_mov_b32 v4, v2
	v_mov_b32_e32 v5, v2
	scratch_store_b128 off, v[2:5], off offset:544
	s_wait_loadcnt 0x0
	ds_store_b128 v126, v[6:9]
.LBB114_251:
	s_wait_xcnt 0x0
	s_or_b32 exec_lo, exec_lo, s2
	s_wait_storecnt_dscnt 0x0
	s_barrier_signal -1
	s_barrier_wait -1
	s_clause 0x9
	scratch_load_b128 v[4:7], off, off offset:560
	scratch_load_b128 v[8:11], off, off offset:576
	;; [unrolled: 1-line block ×10, first 2 shown]
	ds_load_b128 v[148:151], v2 offset:1376
	ds_load_b128 v[156:159], v2 offset:1392
	s_clause 0x2
	scratch_load_b128 v[152:155], off, off offset:720
	scratch_load_b128 v[160:163], off, off offset:544
	;; [unrolled: 1-line block ×3, first 2 shown]
	s_mov_b32 s2, exec_lo
	s_wait_loadcnt_dscnt 0xc01
	v_mul_f64_e32 v[168:169], v[150:151], v[6:7]
	v_mul_f64_e32 v[172:173], v[148:149], v[6:7]
	s_wait_loadcnt_dscnt 0xb00
	v_mul_f64_e32 v[174:175], v[156:157], v[10:11]
	v_mul_f64_e32 v[10:11], v[158:159], v[10:11]
	s_delay_alu instid0(VALU_DEP_4) | instskip(NEXT) | instid1(VALU_DEP_4)
	v_fma_f64 v[176:177], v[148:149], v[4:5], -v[168:169]
	v_fmac_f64_e32 v[172:173], v[150:151], v[4:5]
	ds_load_b128 v[4:7], v2 offset:1408
	ds_load_b128 v[148:151], v2 offset:1424
	scratch_load_b128 v[168:171], off, off offset:752
	v_fmac_f64_e32 v[174:175], v[158:159], v[8:9]
	v_fma_f64 v[156:157], v[156:157], v[8:9], -v[10:11]
	scratch_load_b128 v[8:11], off, off offset:768
	s_wait_loadcnt_dscnt 0xc01
	v_mul_f64_e32 v[178:179], v[4:5], v[14:15]
	v_mul_f64_e32 v[14:15], v[6:7], v[14:15]
	v_add_f64_e32 v[158:159], 0, v[176:177]
	v_add_f64_e32 v[172:173], 0, v[172:173]
	s_wait_loadcnt_dscnt 0xb00
	v_mul_f64_e32 v[176:177], v[148:149], v[18:19]
	v_mul_f64_e32 v[18:19], v[150:151], v[18:19]
	v_fmac_f64_e32 v[178:179], v[6:7], v[12:13]
	v_fma_f64 v[180:181], v[4:5], v[12:13], -v[14:15]
	ds_load_b128 v[4:7], v2 offset:1440
	ds_load_b128 v[12:15], v2 offset:1456
	v_add_f64_e32 v[182:183], v[158:159], v[156:157]
	v_add_f64_e32 v[172:173], v[172:173], v[174:175]
	scratch_load_b128 v[156:159], off, off offset:784
	v_fmac_f64_e32 v[176:177], v[150:151], v[16:17]
	v_fma_f64 v[148:149], v[148:149], v[16:17], -v[18:19]
	scratch_load_b128 v[16:19], off, off offset:800
	s_wait_loadcnt_dscnt 0xc01
	v_mul_f64_e32 v[174:175], v[4:5], v[22:23]
	v_mul_f64_e32 v[22:23], v[6:7], v[22:23]
	v_add_f64_e32 v[150:151], v[182:183], v[180:181]
	v_add_f64_e32 v[172:173], v[172:173], v[178:179]
	s_wait_loadcnt_dscnt 0xb00
	v_mul_f64_e32 v[178:179], v[12:13], v[130:131]
	v_mul_f64_e32 v[130:131], v[14:15], v[130:131]
	v_fmac_f64_e32 v[174:175], v[6:7], v[20:21]
	v_fma_f64 v[180:181], v[4:5], v[20:21], -v[22:23]
	ds_load_b128 v[4:7], v2 offset:1472
	ds_load_b128 v[20:23], v2 offset:1488
	v_add_f64_e32 v[148:149], v[150:151], v[148:149]
	v_add_f64_e32 v[150:151], v[172:173], v[176:177]
	s_wait_loadcnt_dscnt 0xa01
	v_mul_f64_e32 v[172:173], v[4:5], v[134:135]
	v_mul_f64_e32 v[134:135], v[6:7], v[134:135]
	v_fmac_f64_e32 v[178:179], v[14:15], v[128:129]
	v_fma_f64 v[12:13], v[12:13], v[128:129], -v[130:131]
	s_wait_loadcnt_dscnt 0x900
	v_mul_f64_e32 v[130:131], v[20:21], v[138:139]
	v_mul_f64_e32 v[138:139], v[22:23], v[138:139]
	v_add_f64_e32 v[14:15], v[148:149], v[180:181]
	v_add_f64_e32 v[128:129], v[150:151], v[174:175]
	v_fmac_f64_e32 v[172:173], v[6:7], v[132:133]
	v_fma_f64 v[132:133], v[4:5], v[132:133], -v[134:135]
	v_fmac_f64_e32 v[130:131], v[22:23], v[136:137]
	v_fma_f64 v[20:21], v[20:21], v[136:137], -v[138:139]
	v_add_f64_e32 v[134:135], v[14:15], v[12:13]
	v_add_f64_e32 v[128:129], v[128:129], v[178:179]
	ds_load_b128 v[4:7], v2 offset:1504
	ds_load_b128 v[12:15], v2 offset:1520
	s_wait_loadcnt_dscnt 0x801
	v_mul_f64_e32 v[148:149], v[4:5], v[142:143]
	v_mul_f64_e32 v[142:143], v[6:7], v[142:143]
	v_add_f64_e32 v[22:23], v[134:135], v[132:133]
	v_add_f64_e32 v[128:129], v[128:129], v[172:173]
	s_wait_loadcnt_dscnt 0x700
	v_mul_f64_e32 v[132:133], v[12:13], v[146:147]
	v_mul_f64_e32 v[134:135], v[14:15], v[146:147]
	v_fmac_f64_e32 v[148:149], v[6:7], v[140:141]
	v_fma_f64 v[136:137], v[4:5], v[140:141], -v[142:143]
	v_add_f64_e32 v[138:139], v[22:23], v[20:21]
	v_add_f64_e32 v[128:129], v[128:129], v[130:131]
	ds_load_b128 v[4:7], v2 offset:1536
	ds_load_b128 v[20:23], v2 offset:1552
	v_fmac_f64_e32 v[132:133], v[14:15], v[144:145]
	v_fma_f64 v[12:13], v[12:13], v[144:145], -v[134:135]
	s_wait_loadcnt_dscnt 0x601
	v_mul_f64_e32 v[130:131], v[4:5], v[154:155]
	v_mul_f64_e32 v[140:141], v[6:7], v[154:155]
	s_wait_loadcnt_dscnt 0x400
	v_mul_f64_e32 v[134:135], v[20:21], v[166:167]
	v_add_f64_e32 v[14:15], v[138:139], v[136:137]
	v_add_f64_e32 v[128:129], v[128:129], v[148:149]
	v_mul_f64_e32 v[136:137], v[22:23], v[166:167]
	v_fmac_f64_e32 v[130:131], v[6:7], v[152:153]
	v_fma_f64 v[138:139], v[4:5], v[152:153], -v[140:141]
	v_fmac_f64_e32 v[134:135], v[22:23], v[164:165]
	v_add_f64_e32 v[140:141], v[14:15], v[12:13]
	v_add_f64_e32 v[128:129], v[128:129], v[132:133]
	ds_load_b128 v[4:7], v2 offset:1568
	ds_load_b128 v[12:15], v2 offset:1584
	v_fma_f64 v[20:21], v[20:21], v[164:165], -v[136:137]
	s_wait_loadcnt_dscnt 0x301
	v_mul_f64_e32 v[132:133], v[4:5], v[170:171]
	v_mul_f64_e32 v[142:143], v[6:7], v[170:171]
	v_add_f64_e32 v[22:23], v[140:141], v[138:139]
	v_add_f64_e32 v[128:129], v[128:129], v[130:131]
	s_wait_loadcnt_dscnt 0x200
	v_mul_f64_e32 v[130:131], v[12:13], v[10:11]
	v_mul_f64_e32 v[10:11], v[14:15], v[10:11]
	v_fmac_f64_e32 v[132:133], v[6:7], v[168:169]
	v_fma_f64 v[136:137], v[4:5], v[168:169], -v[142:143]
	v_add_f64_e32 v[138:139], v[22:23], v[20:21]
	v_add_f64_e32 v[128:129], v[128:129], v[134:135]
	ds_load_b128 v[4:7], v2 offset:1600
	ds_load_b128 v[20:23], v2 offset:1616
	v_fmac_f64_e32 v[130:131], v[14:15], v[8:9]
	v_fma_f64 v[8:9], v[12:13], v[8:9], -v[10:11]
	s_wait_loadcnt_dscnt 0x101
	v_mul_f64_e32 v[2:3], v[4:5], v[158:159]
	v_mul_f64_e32 v[134:135], v[6:7], v[158:159]
	s_wait_loadcnt_dscnt 0x0
	v_mul_f64_e32 v[14:15], v[20:21], v[18:19]
	v_mul_f64_e32 v[18:19], v[22:23], v[18:19]
	v_add_f64_e32 v[10:11], v[138:139], v[136:137]
	v_add_f64_e32 v[12:13], v[128:129], v[132:133]
	v_fmac_f64_e32 v[2:3], v[6:7], v[156:157]
	v_fma_f64 v[4:5], v[4:5], v[156:157], -v[134:135]
	v_fmac_f64_e32 v[14:15], v[22:23], v[16:17]
	v_add_f64_e32 v[6:7], v[10:11], v[8:9]
	v_add_f64_e32 v[8:9], v[12:13], v[130:131]
	v_fma_f64 v[10:11], v[20:21], v[16:17], -v[18:19]
	s_delay_alu instid0(VALU_DEP_3) | instskip(NEXT) | instid1(VALU_DEP_3)
	v_add_f64_e32 v[4:5], v[6:7], v[4:5]
	v_add_f64_e32 v[2:3], v[8:9], v[2:3]
	s_delay_alu instid0(VALU_DEP_2) | instskip(NEXT) | instid1(VALU_DEP_2)
	v_add_f64_e32 v[4:5], v[4:5], v[10:11]
	v_add_f64_e32 v[6:7], v[2:3], v[14:15]
	s_delay_alu instid0(VALU_DEP_2) | instskip(NEXT) | instid1(VALU_DEP_2)
	v_add_f64_e64 v[2:3], v[160:161], -v[4:5]
	v_add_f64_e64 v[4:5], v[162:163], -v[6:7]
	scratch_store_b128 off, v[2:5], off offset:544
	s_wait_xcnt 0x0
	v_cmpx_lt_u32_e32 33, v1
	s_cbranch_execz .LBB114_253
; %bb.252:
	scratch_load_b128 v[2:5], off, s34
	v_mov_b32_e32 v6, 0
	s_delay_alu instid0(VALU_DEP_1)
	v_dual_mov_b32 v7, v6 :: v_dual_mov_b32 v8, v6
	v_mov_b32_e32 v9, v6
	scratch_store_b128 off, v[6:9], off offset:528
	s_wait_loadcnt 0x0
	ds_store_b128 v126, v[2:5]
.LBB114_253:
	s_wait_xcnt 0x0
	s_or_b32 exec_lo, exec_lo, s2
	s_wait_storecnt_dscnt 0x0
	s_barrier_signal -1
	s_barrier_wait -1
	s_clause 0x9
	scratch_load_b128 v[4:7], off, off offset:544
	scratch_load_b128 v[8:11], off, off offset:560
	;; [unrolled: 1-line block ×10, first 2 shown]
	v_mov_b32_e32 v2, 0
	s_mov_b32 s2, exec_lo
	ds_load_b128 v[148:151], v2 offset:1360
	s_clause 0x2
	scratch_load_b128 v[152:155], off, off offset:704
	scratch_load_b128 v[156:159], off, off offset:528
	;; [unrolled: 1-line block ×3, first 2 shown]
	s_wait_loadcnt_dscnt 0xc00
	v_mul_f64_e32 v[168:169], v[150:151], v[6:7]
	v_mul_f64_e32 v[172:173], v[148:149], v[6:7]
	ds_load_b128 v[160:163], v2 offset:1376
	v_fma_f64 v[176:177], v[148:149], v[4:5], -v[168:169]
	v_fmac_f64_e32 v[172:173], v[150:151], v[4:5]
	ds_load_b128 v[4:7], v2 offset:1392
	s_wait_loadcnt_dscnt 0xb01
	v_mul_f64_e32 v[174:175], v[160:161], v[10:11]
	v_mul_f64_e32 v[10:11], v[162:163], v[10:11]
	scratch_load_b128 v[148:151], off, off offset:736
	ds_load_b128 v[168:171], v2 offset:1408
	s_wait_loadcnt_dscnt 0xb01
	v_mul_f64_e32 v[178:179], v[4:5], v[14:15]
	v_mul_f64_e32 v[14:15], v[6:7], v[14:15]
	v_add_f64_e32 v[172:173], 0, v[172:173]
	v_fmac_f64_e32 v[174:175], v[162:163], v[8:9]
	v_fma_f64 v[160:161], v[160:161], v[8:9], -v[10:11]
	v_add_f64_e32 v[162:163], 0, v[176:177]
	scratch_load_b128 v[8:11], off, off offset:752
	v_fmac_f64_e32 v[178:179], v[6:7], v[12:13]
	v_fma_f64 v[180:181], v[4:5], v[12:13], -v[14:15]
	ds_load_b128 v[4:7], v2 offset:1424
	s_wait_loadcnt_dscnt 0xb01
	v_mul_f64_e32 v[176:177], v[168:169], v[18:19]
	v_mul_f64_e32 v[18:19], v[170:171], v[18:19]
	scratch_load_b128 v[12:15], off, off offset:768
	v_add_f64_e32 v[172:173], v[172:173], v[174:175]
	v_add_f64_e32 v[182:183], v[162:163], v[160:161]
	ds_load_b128 v[160:163], v2 offset:1440
	s_wait_loadcnt_dscnt 0xb01
	v_mul_f64_e32 v[174:175], v[4:5], v[22:23]
	v_mul_f64_e32 v[22:23], v[6:7], v[22:23]
	v_fmac_f64_e32 v[176:177], v[170:171], v[16:17]
	v_fma_f64 v[168:169], v[168:169], v[16:17], -v[18:19]
	scratch_load_b128 v[16:19], off, off offset:784
	v_add_f64_e32 v[172:173], v[172:173], v[178:179]
	v_add_f64_e32 v[170:171], v[182:183], v[180:181]
	v_fmac_f64_e32 v[174:175], v[6:7], v[20:21]
	v_fma_f64 v[180:181], v[4:5], v[20:21], -v[22:23]
	ds_load_b128 v[4:7], v2 offset:1456
	s_wait_loadcnt_dscnt 0xb01
	v_mul_f64_e32 v[178:179], v[160:161], v[130:131]
	v_mul_f64_e32 v[130:131], v[162:163], v[130:131]
	scratch_load_b128 v[20:23], off, off offset:800
	v_add_f64_e32 v[172:173], v[172:173], v[176:177]
	s_wait_loadcnt_dscnt 0xb00
	v_mul_f64_e32 v[176:177], v[4:5], v[134:135]
	v_add_f64_e32 v[182:183], v[170:171], v[168:169]
	v_mul_f64_e32 v[134:135], v[6:7], v[134:135]
	ds_load_b128 v[168:171], v2 offset:1472
	v_fmac_f64_e32 v[178:179], v[162:163], v[128:129]
	v_fma_f64 v[128:129], v[160:161], v[128:129], -v[130:131]
	s_wait_loadcnt_dscnt 0xa00
	v_mul_f64_e32 v[162:163], v[168:169], v[138:139]
	v_mul_f64_e32 v[138:139], v[170:171], v[138:139]
	v_add_f64_e32 v[160:161], v[172:173], v[174:175]
	v_fmac_f64_e32 v[176:177], v[6:7], v[132:133]
	v_add_f64_e32 v[130:131], v[182:183], v[180:181]
	v_fma_f64 v[132:133], v[4:5], v[132:133], -v[134:135]
	v_fmac_f64_e32 v[162:163], v[170:171], v[136:137]
	v_fma_f64 v[136:137], v[168:169], v[136:137], -v[138:139]
	v_add_f64_e32 v[160:161], v[160:161], v[178:179]
	v_add_f64_e32 v[134:135], v[130:131], v[128:129]
	ds_load_b128 v[4:7], v2 offset:1488
	ds_load_b128 v[128:131], v2 offset:1504
	s_wait_loadcnt_dscnt 0x901
	v_mul_f64_e32 v[172:173], v[4:5], v[142:143]
	v_mul_f64_e32 v[142:143], v[6:7], v[142:143]
	s_wait_loadcnt_dscnt 0x800
	v_mul_f64_e32 v[138:139], v[128:129], v[146:147]
	v_mul_f64_e32 v[146:147], v[130:131], v[146:147]
	v_add_f64_e32 v[132:133], v[134:135], v[132:133]
	v_add_f64_e32 v[134:135], v[160:161], v[176:177]
	v_fmac_f64_e32 v[172:173], v[6:7], v[140:141]
	v_fma_f64 v[140:141], v[4:5], v[140:141], -v[142:143]
	v_fmac_f64_e32 v[138:139], v[130:131], v[144:145]
	v_fma_f64 v[128:129], v[128:129], v[144:145], -v[146:147]
	v_add_f64_e32 v[136:137], v[132:133], v[136:137]
	v_add_f64_e32 v[142:143], v[134:135], v[162:163]
	ds_load_b128 v[4:7], v2 offset:1520
	ds_load_b128 v[132:135], v2 offset:1536
	s_wait_loadcnt_dscnt 0x701
	v_mul_f64_e32 v[160:161], v[4:5], v[154:155]
	v_mul_f64_e32 v[154:155], v[6:7], v[154:155]
	v_add_f64_e32 v[130:131], v[136:137], v[140:141]
	v_add_f64_e32 v[136:137], v[142:143], v[172:173]
	s_wait_loadcnt_dscnt 0x500
	v_mul_f64_e32 v[140:141], v[132:133], v[166:167]
	v_mul_f64_e32 v[142:143], v[134:135], v[166:167]
	v_fmac_f64_e32 v[160:161], v[6:7], v[152:153]
	v_fma_f64 v[144:145], v[4:5], v[152:153], -v[154:155]
	v_add_f64_e32 v[146:147], v[130:131], v[128:129]
	v_add_f64_e32 v[136:137], v[136:137], v[138:139]
	ds_load_b128 v[4:7], v2 offset:1552
	ds_load_b128 v[128:131], v2 offset:1568
	v_fmac_f64_e32 v[140:141], v[134:135], v[164:165]
	v_fma_f64 v[132:133], v[132:133], v[164:165], -v[142:143]
	s_wait_loadcnt_dscnt 0x401
	v_mul_f64_e32 v[138:139], v[4:5], v[150:151]
	v_mul_f64_e32 v[150:151], v[6:7], v[150:151]
	v_add_f64_e32 v[134:135], v[146:147], v[144:145]
	v_add_f64_e32 v[136:137], v[136:137], v[160:161]
	s_wait_loadcnt_dscnt 0x300
	v_mul_f64_e32 v[142:143], v[128:129], v[10:11]
	v_mul_f64_e32 v[10:11], v[130:131], v[10:11]
	v_fmac_f64_e32 v[138:139], v[6:7], v[148:149]
	v_fma_f64 v[144:145], v[4:5], v[148:149], -v[150:151]
	v_add_f64_e32 v[146:147], v[134:135], v[132:133]
	v_add_f64_e32 v[136:137], v[136:137], v[140:141]
	ds_load_b128 v[4:7], v2 offset:1584
	ds_load_b128 v[132:135], v2 offset:1600
	v_fmac_f64_e32 v[142:143], v[130:131], v[8:9]
	v_fma_f64 v[8:9], v[128:129], v[8:9], -v[10:11]
	s_wait_loadcnt_dscnt 0x201
	v_mul_f64_e32 v[140:141], v[4:5], v[14:15]
	v_mul_f64_e32 v[14:15], v[6:7], v[14:15]
	s_wait_loadcnt_dscnt 0x100
	v_mul_f64_e32 v[130:131], v[132:133], v[18:19]
	v_mul_f64_e32 v[18:19], v[134:135], v[18:19]
	v_add_f64_e32 v[10:11], v[146:147], v[144:145]
	v_add_f64_e32 v[128:129], v[136:137], v[138:139]
	v_fmac_f64_e32 v[140:141], v[6:7], v[12:13]
	v_fma_f64 v[12:13], v[4:5], v[12:13], -v[14:15]
	ds_load_b128 v[4:7], v2 offset:1616
	v_fmac_f64_e32 v[130:131], v[134:135], v[16:17]
	v_fma_f64 v[16:17], v[132:133], v[16:17], -v[18:19]
	v_add_f64_e32 v[8:9], v[10:11], v[8:9]
	v_add_f64_e32 v[10:11], v[128:129], v[142:143]
	s_wait_loadcnt_dscnt 0x0
	v_mul_f64_e32 v[14:15], v[4:5], v[22:23]
	v_mul_f64_e32 v[22:23], v[6:7], v[22:23]
	s_delay_alu instid0(VALU_DEP_4) | instskip(NEXT) | instid1(VALU_DEP_4)
	v_add_f64_e32 v[8:9], v[8:9], v[12:13]
	v_add_f64_e32 v[10:11], v[10:11], v[140:141]
	s_delay_alu instid0(VALU_DEP_4) | instskip(NEXT) | instid1(VALU_DEP_4)
	v_fmac_f64_e32 v[14:15], v[6:7], v[20:21]
	v_fma_f64 v[4:5], v[4:5], v[20:21], -v[22:23]
	s_delay_alu instid0(VALU_DEP_4) | instskip(NEXT) | instid1(VALU_DEP_4)
	v_add_f64_e32 v[6:7], v[8:9], v[16:17]
	v_add_f64_e32 v[8:9], v[10:11], v[130:131]
	s_delay_alu instid0(VALU_DEP_2) | instskip(NEXT) | instid1(VALU_DEP_2)
	v_add_f64_e32 v[4:5], v[6:7], v[4:5]
	v_add_f64_e32 v[6:7], v[8:9], v[14:15]
	s_delay_alu instid0(VALU_DEP_2) | instskip(NEXT) | instid1(VALU_DEP_2)
	v_add_f64_e64 v[4:5], v[156:157], -v[4:5]
	v_add_f64_e64 v[6:7], v[158:159], -v[6:7]
	scratch_store_b128 off, v[4:7], off offset:528
	s_wait_xcnt 0x0
	v_cmpx_lt_u32_e32 32, v1
	s_cbranch_execz .LBB114_255
; %bb.254:
	scratch_load_b128 v[6:9], off, s35
	v_dual_mov_b32 v3, v2 :: v_dual_mov_b32 v4, v2
	v_mov_b32_e32 v5, v2
	scratch_store_b128 off, v[2:5], off offset:512
	s_wait_loadcnt 0x0
	ds_store_b128 v126, v[6:9]
.LBB114_255:
	s_wait_xcnt 0x0
	s_or_b32 exec_lo, exec_lo, s2
	s_wait_storecnt_dscnt 0x0
	s_barrier_signal -1
	s_barrier_wait -1
	s_clause 0x9
	scratch_load_b128 v[4:7], off, off offset:528
	scratch_load_b128 v[8:11], off, off offset:544
	;; [unrolled: 1-line block ×10, first 2 shown]
	ds_load_b128 v[148:151], v2 offset:1344
	ds_load_b128 v[156:159], v2 offset:1360
	s_clause 0x2
	scratch_load_b128 v[152:155], off, off offset:688
	scratch_load_b128 v[160:163], off, off offset:512
	;; [unrolled: 1-line block ×3, first 2 shown]
	s_mov_b32 s2, exec_lo
	s_wait_loadcnt_dscnt 0xc01
	v_mul_f64_e32 v[168:169], v[150:151], v[6:7]
	v_mul_f64_e32 v[172:173], v[148:149], v[6:7]
	s_wait_loadcnt_dscnt 0xb00
	v_mul_f64_e32 v[174:175], v[156:157], v[10:11]
	v_mul_f64_e32 v[10:11], v[158:159], v[10:11]
	s_delay_alu instid0(VALU_DEP_4) | instskip(NEXT) | instid1(VALU_DEP_4)
	v_fma_f64 v[176:177], v[148:149], v[4:5], -v[168:169]
	v_fmac_f64_e32 v[172:173], v[150:151], v[4:5]
	ds_load_b128 v[4:7], v2 offset:1376
	ds_load_b128 v[148:151], v2 offset:1392
	scratch_load_b128 v[168:171], off, off offset:720
	v_fmac_f64_e32 v[174:175], v[158:159], v[8:9]
	v_fma_f64 v[156:157], v[156:157], v[8:9], -v[10:11]
	scratch_load_b128 v[8:11], off, off offset:736
	s_wait_loadcnt_dscnt 0xc01
	v_mul_f64_e32 v[178:179], v[4:5], v[14:15]
	v_mul_f64_e32 v[14:15], v[6:7], v[14:15]
	v_add_f64_e32 v[158:159], 0, v[176:177]
	v_add_f64_e32 v[172:173], 0, v[172:173]
	s_wait_loadcnt_dscnt 0xb00
	v_mul_f64_e32 v[176:177], v[148:149], v[18:19]
	v_mul_f64_e32 v[18:19], v[150:151], v[18:19]
	v_fmac_f64_e32 v[178:179], v[6:7], v[12:13]
	v_fma_f64 v[180:181], v[4:5], v[12:13], -v[14:15]
	ds_load_b128 v[4:7], v2 offset:1408
	ds_load_b128 v[12:15], v2 offset:1424
	v_add_f64_e32 v[182:183], v[158:159], v[156:157]
	v_add_f64_e32 v[172:173], v[172:173], v[174:175]
	scratch_load_b128 v[156:159], off, off offset:752
	v_fmac_f64_e32 v[176:177], v[150:151], v[16:17]
	v_fma_f64 v[148:149], v[148:149], v[16:17], -v[18:19]
	scratch_load_b128 v[16:19], off, off offset:768
	s_wait_loadcnt_dscnt 0xc01
	v_mul_f64_e32 v[174:175], v[4:5], v[22:23]
	v_mul_f64_e32 v[22:23], v[6:7], v[22:23]
	v_add_f64_e32 v[150:151], v[182:183], v[180:181]
	v_add_f64_e32 v[172:173], v[172:173], v[178:179]
	s_wait_loadcnt_dscnt 0xb00
	v_mul_f64_e32 v[178:179], v[12:13], v[130:131]
	v_mul_f64_e32 v[130:131], v[14:15], v[130:131]
	v_fmac_f64_e32 v[174:175], v[6:7], v[20:21]
	v_fma_f64 v[180:181], v[4:5], v[20:21], -v[22:23]
	ds_load_b128 v[4:7], v2 offset:1440
	ds_load_b128 v[20:23], v2 offset:1456
	v_add_f64_e32 v[182:183], v[150:151], v[148:149]
	v_add_f64_e32 v[172:173], v[172:173], v[176:177]
	scratch_load_b128 v[148:151], off, off offset:784
	s_wait_loadcnt_dscnt 0xb01
	v_mul_f64_e32 v[176:177], v[4:5], v[134:135]
	v_mul_f64_e32 v[134:135], v[6:7], v[134:135]
	v_fmac_f64_e32 v[178:179], v[14:15], v[128:129]
	v_fma_f64 v[128:129], v[12:13], v[128:129], -v[130:131]
	scratch_load_b128 v[12:15], off, off offset:800
	v_add_f64_e32 v[130:131], v[182:183], v[180:181]
	v_add_f64_e32 v[172:173], v[172:173], v[174:175]
	s_wait_loadcnt_dscnt 0xb00
	v_mul_f64_e32 v[174:175], v[20:21], v[138:139]
	v_mul_f64_e32 v[138:139], v[22:23], v[138:139]
	v_fmac_f64_e32 v[176:177], v[6:7], v[132:133]
	v_fma_f64 v[132:133], v[4:5], v[132:133], -v[134:135]
	v_add_f64_e32 v[134:135], v[130:131], v[128:129]
	v_add_f64_e32 v[172:173], v[172:173], v[178:179]
	ds_load_b128 v[4:7], v2 offset:1472
	ds_load_b128 v[128:131], v2 offset:1488
	v_fmac_f64_e32 v[174:175], v[22:23], v[136:137]
	v_fma_f64 v[20:21], v[20:21], v[136:137], -v[138:139]
	s_wait_loadcnt_dscnt 0xa01
	v_mul_f64_e32 v[178:179], v[4:5], v[142:143]
	v_mul_f64_e32 v[142:143], v[6:7], v[142:143]
	s_wait_loadcnt_dscnt 0x900
	v_mul_f64_e32 v[136:137], v[130:131], v[146:147]
	v_add_f64_e32 v[22:23], v[134:135], v[132:133]
	v_add_f64_e32 v[132:133], v[172:173], v[176:177]
	v_mul_f64_e32 v[134:135], v[128:129], v[146:147]
	v_fmac_f64_e32 v[178:179], v[6:7], v[140:141]
	v_fma_f64 v[138:139], v[4:5], v[140:141], -v[142:143]
	v_fma_f64 v[128:129], v[128:129], v[144:145], -v[136:137]
	v_add_f64_e32 v[140:141], v[22:23], v[20:21]
	v_add_f64_e32 v[132:133], v[132:133], v[174:175]
	ds_load_b128 v[4:7], v2 offset:1504
	ds_load_b128 v[20:23], v2 offset:1520
	v_fmac_f64_e32 v[134:135], v[130:131], v[144:145]
	s_wait_loadcnt_dscnt 0x801
	v_mul_f64_e32 v[142:143], v[4:5], v[154:155]
	v_mul_f64_e32 v[146:147], v[6:7], v[154:155]
	s_wait_loadcnt_dscnt 0x600
	v_mul_f64_e32 v[136:137], v[20:21], v[166:167]
	v_add_f64_e32 v[130:131], v[140:141], v[138:139]
	v_add_f64_e32 v[132:133], v[132:133], v[178:179]
	v_mul_f64_e32 v[138:139], v[22:23], v[166:167]
	v_fmac_f64_e32 v[142:143], v[6:7], v[152:153]
	v_fma_f64 v[140:141], v[4:5], v[152:153], -v[146:147]
	v_fmac_f64_e32 v[136:137], v[22:23], v[164:165]
	v_add_f64_e32 v[144:145], v[130:131], v[128:129]
	v_add_f64_e32 v[132:133], v[132:133], v[134:135]
	ds_load_b128 v[4:7], v2 offset:1536
	ds_load_b128 v[128:131], v2 offset:1552
	v_fma_f64 v[20:21], v[20:21], v[164:165], -v[138:139]
	s_wait_loadcnt_dscnt 0x501
	v_mul_f64_e32 v[134:135], v[4:5], v[170:171]
	v_mul_f64_e32 v[146:147], v[6:7], v[170:171]
	s_wait_loadcnt_dscnt 0x400
	v_mul_f64_e32 v[138:139], v[128:129], v[10:11]
	v_mul_f64_e32 v[10:11], v[130:131], v[10:11]
	v_add_f64_e32 v[22:23], v[144:145], v[140:141]
	v_add_f64_e32 v[132:133], v[132:133], v[142:143]
	v_fmac_f64_e32 v[134:135], v[6:7], v[168:169]
	v_fma_f64 v[140:141], v[4:5], v[168:169], -v[146:147]
	v_fmac_f64_e32 v[138:139], v[130:131], v[8:9]
	v_fma_f64 v[8:9], v[128:129], v[8:9], -v[10:11]
	v_add_f64_e32 v[142:143], v[22:23], v[20:21]
	v_add_f64_e32 v[132:133], v[132:133], v[136:137]
	ds_load_b128 v[4:7], v2 offset:1568
	ds_load_b128 v[20:23], v2 offset:1584
	s_wait_loadcnt_dscnt 0x301
	v_mul_f64_e32 v[136:137], v[4:5], v[158:159]
	v_mul_f64_e32 v[144:145], v[6:7], v[158:159]
	s_wait_loadcnt_dscnt 0x200
	v_mul_f64_e32 v[130:131], v[20:21], v[18:19]
	v_mul_f64_e32 v[18:19], v[22:23], v[18:19]
	v_add_f64_e32 v[10:11], v[142:143], v[140:141]
	v_add_f64_e32 v[128:129], v[132:133], v[134:135]
	v_fmac_f64_e32 v[136:137], v[6:7], v[156:157]
	v_fma_f64 v[132:133], v[4:5], v[156:157], -v[144:145]
	v_fmac_f64_e32 v[130:131], v[22:23], v[16:17]
	v_fma_f64 v[16:17], v[20:21], v[16:17], -v[18:19]
	v_add_f64_e32 v[134:135], v[10:11], v[8:9]
	v_add_f64_e32 v[128:129], v[128:129], v[138:139]
	ds_load_b128 v[4:7], v2 offset:1600
	ds_load_b128 v[8:11], v2 offset:1616
	s_wait_loadcnt_dscnt 0x101
	v_mul_f64_e32 v[2:3], v[4:5], v[150:151]
	v_mul_f64_e32 v[138:139], v[6:7], v[150:151]
	s_wait_loadcnt_dscnt 0x0
	v_mul_f64_e32 v[22:23], v[8:9], v[14:15]
	v_mul_f64_e32 v[14:15], v[10:11], v[14:15]
	v_add_f64_e32 v[18:19], v[134:135], v[132:133]
	v_add_f64_e32 v[20:21], v[128:129], v[136:137]
	v_fmac_f64_e32 v[2:3], v[6:7], v[148:149]
	v_fma_f64 v[4:5], v[4:5], v[148:149], -v[138:139]
	v_fmac_f64_e32 v[22:23], v[10:11], v[12:13]
	v_fma_f64 v[8:9], v[8:9], v[12:13], -v[14:15]
	v_add_f64_e32 v[6:7], v[18:19], v[16:17]
	v_add_f64_e32 v[16:17], v[20:21], v[130:131]
	s_delay_alu instid0(VALU_DEP_2) | instskip(NEXT) | instid1(VALU_DEP_2)
	v_add_f64_e32 v[4:5], v[6:7], v[4:5]
	v_add_f64_e32 v[2:3], v[16:17], v[2:3]
	s_delay_alu instid0(VALU_DEP_2) | instskip(NEXT) | instid1(VALU_DEP_2)
	;; [unrolled: 3-line block ×3, first 2 shown]
	v_add_f64_e64 v[2:3], v[160:161], -v[4:5]
	v_add_f64_e64 v[4:5], v[162:163], -v[6:7]
	scratch_store_b128 off, v[2:5], off offset:512
	s_wait_xcnt 0x0
	v_cmpx_lt_u32_e32 31, v1
	s_cbranch_execz .LBB114_257
; %bb.256:
	scratch_load_b128 v[2:5], off, s36
	v_mov_b32_e32 v6, 0
	s_delay_alu instid0(VALU_DEP_1)
	v_dual_mov_b32 v7, v6 :: v_dual_mov_b32 v8, v6
	v_mov_b32_e32 v9, v6
	scratch_store_b128 off, v[6:9], off offset:496
	s_wait_loadcnt 0x0
	ds_store_b128 v126, v[2:5]
.LBB114_257:
	s_wait_xcnt 0x0
	s_or_b32 exec_lo, exec_lo, s2
	s_wait_storecnt_dscnt 0x0
	s_barrier_signal -1
	s_barrier_wait -1
	s_clause 0x9
	scratch_load_b128 v[4:7], off, off offset:512
	scratch_load_b128 v[8:11], off, off offset:528
	;; [unrolled: 1-line block ×10, first 2 shown]
	v_mov_b32_e32 v2, 0
	s_mov_b32 s2, exec_lo
	ds_load_b128 v[148:151], v2 offset:1328
	s_clause 0x2
	scratch_load_b128 v[152:155], off, off offset:672
	scratch_load_b128 v[156:159], off, off offset:496
	;; [unrolled: 1-line block ×3, first 2 shown]
	s_wait_loadcnt_dscnt 0xc00
	v_mul_f64_e32 v[168:169], v[150:151], v[6:7]
	v_mul_f64_e32 v[172:173], v[148:149], v[6:7]
	ds_load_b128 v[160:163], v2 offset:1344
	v_fma_f64 v[176:177], v[148:149], v[4:5], -v[168:169]
	v_fmac_f64_e32 v[172:173], v[150:151], v[4:5]
	ds_load_b128 v[4:7], v2 offset:1360
	s_wait_loadcnt_dscnt 0xb01
	v_mul_f64_e32 v[174:175], v[160:161], v[10:11]
	v_mul_f64_e32 v[10:11], v[162:163], v[10:11]
	scratch_load_b128 v[148:151], off, off offset:704
	ds_load_b128 v[168:171], v2 offset:1376
	s_wait_loadcnt_dscnt 0xb01
	v_mul_f64_e32 v[178:179], v[4:5], v[14:15]
	v_mul_f64_e32 v[14:15], v[6:7], v[14:15]
	v_add_f64_e32 v[172:173], 0, v[172:173]
	v_fmac_f64_e32 v[174:175], v[162:163], v[8:9]
	v_fma_f64 v[160:161], v[160:161], v[8:9], -v[10:11]
	v_add_f64_e32 v[162:163], 0, v[176:177]
	scratch_load_b128 v[8:11], off, off offset:720
	v_fmac_f64_e32 v[178:179], v[6:7], v[12:13]
	v_fma_f64 v[180:181], v[4:5], v[12:13], -v[14:15]
	ds_load_b128 v[4:7], v2 offset:1392
	s_wait_loadcnt_dscnt 0xb01
	v_mul_f64_e32 v[176:177], v[168:169], v[18:19]
	v_mul_f64_e32 v[18:19], v[170:171], v[18:19]
	scratch_load_b128 v[12:15], off, off offset:736
	v_add_f64_e32 v[172:173], v[172:173], v[174:175]
	v_add_f64_e32 v[182:183], v[162:163], v[160:161]
	ds_load_b128 v[160:163], v2 offset:1408
	s_wait_loadcnt_dscnt 0xb01
	v_mul_f64_e32 v[174:175], v[4:5], v[22:23]
	v_mul_f64_e32 v[22:23], v[6:7], v[22:23]
	v_fmac_f64_e32 v[176:177], v[170:171], v[16:17]
	v_fma_f64 v[168:169], v[168:169], v[16:17], -v[18:19]
	scratch_load_b128 v[16:19], off, off offset:752
	v_add_f64_e32 v[172:173], v[172:173], v[178:179]
	v_add_f64_e32 v[170:171], v[182:183], v[180:181]
	v_fmac_f64_e32 v[174:175], v[6:7], v[20:21]
	v_fma_f64 v[180:181], v[4:5], v[20:21], -v[22:23]
	ds_load_b128 v[4:7], v2 offset:1424
	s_wait_loadcnt_dscnt 0xb01
	v_mul_f64_e32 v[178:179], v[160:161], v[130:131]
	v_mul_f64_e32 v[130:131], v[162:163], v[130:131]
	scratch_load_b128 v[20:23], off, off offset:768
	v_add_f64_e32 v[172:173], v[172:173], v[176:177]
	s_wait_loadcnt_dscnt 0xb00
	v_mul_f64_e32 v[176:177], v[4:5], v[134:135]
	v_add_f64_e32 v[182:183], v[170:171], v[168:169]
	v_mul_f64_e32 v[134:135], v[6:7], v[134:135]
	ds_load_b128 v[168:171], v2 offset:1440
	v_fmac_f64_e32 v[178:179], v[162:163], v[128:129]
	v_fma_f64 v[160:161], v[160:161], v[128:129], -v[130:131]
	scratch_load_b128 v[128:131], off, off offset:784
	v_add_f64_e32 v[172:173], v[172:173], v[174:175]
	v_fmac_f64_e32 v[176:177], v[6:7], v[132:133]
	v_add_f64_e32 v[162:163], v[182:183], v[180:181]
	v_fma_f64 v[180:181], v[4:5], v[132:133], -v[134:135]
	ds_load_b128 v[4:7], v2 offset:1456
	s_wait_loadcnt_dscnt 0xb01
	v_mul_f64_e32 v[174:175], v[168:169], v[138:139]
	v_mul_f64_e32 v[138:139], v[170:171], v[138:139]
	scratch_load_b128 v[132:135], off, off offset:800
	v_add_f64_e32 v[172:173], v[172:173], v[178:179]
	s_wait_loadcnt_dscnt 0xb00
	v_mul_f64_e32 v[178:179], v[4:5], v[142:143]
	v_add_f64_e32 v[182:183], v[162:163], v[160:161]
	v_mul_f64_e32 v[142:143], v[6:7], v[142:143]
	ds_load_b128 v[160:163], v2 offset:1472
	v_fmac_f64_e32 v[174:175], v[170:171], v[136:137]
	v_fma_f64 v[136:137], v[168:169], v[136:137], -v[138:139]
	s_wait_loadcnt_dscnt 0xa00
	v_mul_f64_e32 v[170:171], v[160:161], v[146:147]
	v_mul_f64_e32 v[146:147], v[162:163], v[146:147]
	v_add_f64_e32 v[168:169], v[172:173], v[176:177]
	v_fmac_f64_e32 v[178:179], v[6:7], v[140:141]
	v_add_f64_e32 v[138:139], v[182:183], v[180:181]
	v_fma_f64 v[140:141], v[4:5], v[140:141], -v[142:143]
	v_fmac_f64_e32 v[170:171], v[162:163], v[144:145]
	v_fma_f64 v[144:145], v[160:161], v[144:145], -v[146:147]
	v_add_f64_e32 v[168:169], v[168:169], v[174:175]
	v_add_f64_e32 v[142:143], v[138:139], v[136:137]
	ds_load_b128 v[4:7], v2 offset:1488
	ds_load_b128 v[136:139], v2 offset:1504
	s_wait_loadcnt_dscnt 0x901
	v_mul_f64_e32 v[172:173], v[4:5], v[154:155]
	v_mul_f64_e32 v[154:155], v[6:7], v[154:155]
	s_wait_loadcnt_dscnt 0x700
	v_mul_f64_e32 v[146:147], v[136:137], v[166:167]
	v_mul_f64_e32 v[160:161], v[138:139], v[166:167]
	v_add_f64_e32 v[140:141], v[142:143], v[140:141]
	v_add_f64_e32 v[142:143], v[168:169], v[178:179]
	v_fmac_f64_e32 v[172:173], v[6:7], v[152:153]
	v_fma_f64 v[152:153], v[4:5], v[152:153], -v[154:155]
	v_fmac_f64_e32 v[146:147], v[138:139], v[164:165]
	v_fma_f64 v[136:137], v[136:137], v[164:165], -v[160:161]
	v_add_f64_e32 v[144:145], v[140:141], v[144:145]
	v_add_f64_e32 v[154:155], v[142:143], v[170:171]
	ds_load_b128 v[4:7], v2 offset:1520
	ds_load_b128 v[140:143], v2 offset:1536
	s_wait_loadcnt_dscnt 0x601
	v_mul_f64_e32 v[162:163], v[4:5], v[150:151]
	v_mul_f64_e32 v[150:151], v[6:7], v[150:151]
	v_add_f64_e32 v[138:139], v[144:145], v[152:153]
	v_add_f64_e32 v[144:145], v[154:155], v[172:173]
	s_wait_loadcnt_dscnt 0x500
	v_mul_f64_e32 v[152:153], v[140:141], v[10:11]
	v_mul_f64_e32 v[10:11], v[142:143], v[10:11]
	v_fmac_f64_e32 v[162:163], v[6:7], v[148:149]
	v_fma_f64 v[148:149], v[4:5], v[148:149], -v[150:151]
	v_add_f64_e32 v[150:151], v[138:139], v[136:137]
	v_add_f64_e32 v[144:145], v[144:145], v[146:147]
	ds_load_b128 v[4:7], v2 offset:1552
	ds_load_b128 v[136:139], v2 offset:1568
	v_fmac_f64_e32 v[152:153], v[142:143], v[8:9]
	v_fma_f64 v[8:9], v[140:141], v[8:9], -v[10:11]
	s_wait_loadcnt_dscnt 0x401
	v_mul_f64_e32 v[146:147], v[4:5], v[14:15]
	v_mul_f64_e32 v[14:15], v[6:7], v[14:15]
	s_wait_loadcnt_dscnt 0x300
	v_mul_f64_e32 v[142:143], v[136:137], v[18:19]
	v_mul_f64_e32 v[18:19], v[138:139], v[18:19]
	v_add_f64_e32 v[10:11], v[150:151], v[148:149]
	v_add_f64_e32 v[140:141], v[144:145], v[162:163]
	v_fmac_f64_e32 v[146:147], v[6:7], v[12:13]
	v_fma_f64 v[12:13], v[4:5], v[12:13], -v[14:15]
	v_fmac_f64_e32 v[142:143], v[138:139], v[16:17]
	v_fma_f64 v[16:17], v[136:137], v[16:17], -v[18:19]
	v_add_f64_e32 v[14:15], v[10:11], v[8:9]
	v_add_f64_e32 v[140:141], v[140:141], v[152:153]
	ds_load_b128 v[4:7], v2 offset:1584
	ds_load_b128 v[8:11], v2 offset:1600
	s_wait_loadcnt_dscnt 0x201
	v_mul_f64_e32 v[144:145], v[4:5], v[22:23]
	v_mul_f64_e32 v[22:23], v[6:7], v[22:23]
	s_wait_loadcnt_dscnt 0x100
	v_mul_f64_e32 v[18:19], v[8:9], v[130:131]
	v_mul_f64_e32 v[130:131], v[10:11], v[130:131]
	v_add_f64_e32 v[12:13], v[14:15], v[12:13]
	v_add_f64_e32 v[14:15], v[140:141], v[146:147]
	v_fmac_f64_e32 v[144:145], v[6:7], v[20:21]
	v_fma_f64 v[20:21], v[4:5], v[20:21], -v[22:23]
	ds_load_b128 v[4:7], v2 offset:1616
	v_fmac_f64_e32 v[18:19], v[10:11], v[128:129]
	v_fma_f64 v[8:9], v[8:9], v[128:129], -v[130:131]
	v_add_f64_e32 v[12:13], v[12:13], v[16:17]
	v_add_f64_e32 v[14:15], v[14:15], v[142:143]
	s_wait_loadcnt_dscnt 0x0
	v_mul_f64_e32 v[16:17], v[4:5], v[134:135]
	v_mul_f64_e32 v[22:23], v[6:7], v[134:135]
	s_delay_alu instid0(VALU_DEP_4) | instskip(NEXT) | instid1(VALU_DEP_4)
	v_add_f64_e32 v[10:11], v[12:13], v[20:21]
	v_add_f64_e32 v[12:13], v[14:15], v[144:145]
	s_delay_alu instid0(VALU_DEP_4) | instskip(NEXT) | instid1(VALU_DEP_4)
	v_fmac_f64_e32 v[16:17], v[6:7], v[132:133]
	v_fma_f64 v[4:5], v[4:5], v[132:133], -v[22:23]
	s_delay_alu instid0(VALU_DEP_4) | instskip(NEXT) | instid1(VALU_DEP_4)
	v_add_f64_e32 v[6:7], v[10:11], v[8:9]
	v_add_f64_e32 v[8:9], v[12:13], v[18:19]
	s_delay_alu instid0(VALU_DEP_2) | instskip(NEXT) | instid1(VALU_DEP_2)
	v_add_f64_e32 v[4:5], v[6:7], v[4:5]
	v_add_f64_e32 v[6:7], v[8:9], v[16:17]
	s_delay_alu instid0(VALU_DEP_2) | instskip(NEXT) | instid1(VALU_DEP_2)
	v_add_f64_e64 v[4:5], v[156:157], -v[4:5]
	v_add_f64_e64 v[6:7], v[158:159], -v[6:7]
	scratch_store_b128 off, v[4:7], off offset:496
	s_wait_xcnt 0x0
	v_cmpx_lt_u32_e32 30, v1
	s_cbranch_execz .LBB114_259
; %bb.258:
	scratch_load_b128 v[6:9], off, s37
	v_dual_mov_b32 v3, v2 :: v_dual_mov_b32 v4, v2
	v_mov_b32_e32 v5, v2
	scratch_store_b128 off, v[2:5], off offset:480
	s_wait_loadcnt 0x0
	ds_store_b128 v126, v[6:9]
.LBB114_259:
	s_wait_xcnt 0x0
	s_or_b32 exec_lo, exec_lo, s2
	s_wait_storecnt_dscnt 0x0
	s_barrier_signal -1
	s_barrier_wait -1
	s_clause 0x9
	scratch_load_b128 v[4:7], off, off offset:496
	scratch_load_b128 v[8:11], off, off offset:512
	;; [unrolled: 1-line block ×10, first 2 shown]
	ds_load_b128 v[148:151], v2 offset:1312
	ds_load_b128 v[156:159], v2 offset:1328
	s_clause 0x2
	scratch_load_b128 v[152:155], off, off offset:656
	scratch_load_b128 v[160:163], off, off offset:480
	;; [unrolled: 1-line block ×3, first 2 shown]
	s_mov_b32 s2, exec_lo
	s_wait_loadcnt_dscnt 0xc01
	v_mul_f64_e32 v[168:169], v[150:151], v[6:7]
	v_mul_f64_e32 v[172:173], v[148:149], v[6:7]
	s_wait_loadcnt_dscnt 0xb00
	v_mul_f64_e32 v[174:175], v[156:157], v[10:11]
	v_mul_f64_e32 v[10:11], v[158:159], v[10:11]
	s_delay_alu instid0(VALU_DEP_4) | instskip(NEXT) | instid1(VALU_DEP_4)
	v_fma_f64 v[176:177], v[148:149], v[4:5], -v[168:169]
	v_fmac_f64_e32 v[172:173], v[150:151], v[4:5]
	ds_load_b128 v[4:7], v2 offset:1344
	ds_load_b128 v[148:151], v2 offset:1360
	scratch_load_b128 v[168:171], off, off offset:688
	v_fmac_f64_e32 v[174:175], v[158:159], v[8:9]
	v_fma_f64 v[156:157], v[156:157], v[8:9], -v[10:11]
	scratch_load_b128 v[8:11], off, off offset:704
	s_wait_loadcnt_dscnt 0xc01
	v_mul_f64_e32 v[178:179], v[4:5], v[14:15]
	v_mul_f64_e32 v[14:15], v[6:7], v[14:15]
	v_add_f64_e32 v[158:159], 0, v[176:177]
	v_add_f64_e32 v[172:173], 0, v[172:173]
	s_wait_loadcnt_dscnt 0xb00
	v_mul_f64_e32 v[176:177], v[148:149], v[18:19]
	v_mul_f64_e32 v[18:19], v[150:151], v[18:19]
	v_fmac_f64_e32 v[178:179], v[6:7], v[12:13]
	v_fma_f64 v[180:181], v[4:5], v[12:13], -v[14:15]
	ds_load_b128 v[4:7], v2 offset:1376
	ds_load_b128 v[12:15], v2 offset:1392
	v_add_f64_e32 v[182:183], v[158:159], v[156:157]
	v_add_f64_e32 v[172:173], v[172:173], v[174:175]
	scratch_load_b128 v[156:159], off, off offset:720
	v_fmac_f64_e32 v[176:177], v[150:151], v[16:17]
	v_fma_f64 v[148:149], v[148:149], v[16:17], -v[18:19]
	scratch_load_b128 v[16:19], off, off offset:736
	s_wait_loadcnt_dscnt 0xc01
	v_mul_f64_e32 v[174:175], v[4:5], v[22:23]
	v_mul_f64_e32 v[22:23], v[6:7], v[22:23]
	v_add_f64_e32 v[150:151], v[182:183], v[180:181]
	v_add_f64_e32 v[172:173], v[172:173], v[178:179]
	s_wait_loadcnt_dscnt 0xb00
	v_mul_f64_e32 v[178:179], v[12:13], v[130:131]
	v_mul_f64_e32 v[130:131], v[14:15], v[130:131]
	v_fmac_f64_e32 v[174:175], v[6:7], v[20:21]
	v_fma_f64 v[180:181], v[4:5], v[20:21], -v[22:23]
	ds_load_b128 v[4:7], v2 offset:1408
	ds_load_b128 v[20:23], v2 offset:1424
	v_add_f64_e32 v[182:183], v[150:151], v[148:149]
	v_add_f64_e32 v[172:173], v[172:173], v[176:177]
	scratch_load_b128 v[148:151], off, off offset:752
	s_wait_loadcnt_dscnt 0xb01
	v_mul_f64_e32 v[176:177], v[4:5], v[134:135]
	v_mul_f64_e32 v[134:135], v[6:7], v[134:135]
	v_fmac_f64_e32 v[178:179], v[14:15], v[128:129]
	v_fma_f64 v[128:129], v[12:13], v[128:129], -v[130:131]
	scratch_load_b128 v[12:15], off, off offset:768
	v_add_f64_e32 v[130:131], v[182:183], v[180:181]
	v_add_f64_e32 v[172:173], v[172:173], v[174:175]
	s_wait_loadcnt_dscnt 0xb00
	v_mul_f64_e32 v[174:175], v[20:21], v[138:139]
	v_mul_f64_e32 v[138:139], v[22:23], v[138:139]
	v_fmac_f64_e32 v[176:177], v[6:7], v[132:133]
	v_fma_f64 v[180:181], v[4:5], v[132:133], -v[134:135]
	v_add_f64_e32 v[182:183], v[130:131], v[128:129]
	v_add_f64_e32 v[172:173], v[172:173], v[178:179]
	ds_load_b128 v[4:7], v2 offset:1440
	ds_load_b128 v[128:131], v2 offset:1456
	scratch_load_b128 v[132:135], off, off offset:784
	v_fmac_f64_e32 v[174:175], v[22:23], v[136:137]
	v_fma_f64 v[136:137], v[20:21], v[136:137], -v[138:139]
	scratch_load_b128 v[20:23], off, off offset:800
	s_wait_loadcnt_dscnt 0xc01
	v_mul_f64_e32 v[178:179], v[4:5], v[142:143]
	v_mul_f64_e32 v[142:143], v[6:7], v[142:143]
	v_add_f64_e32 v[138:139], v[182:183], v[180:181]
	v_add_f64_e32 v[172:173], v[172:173], v[176:177]
	s_wait_loadcnt_dscnt 0xb00
	v_mul_f64_e32 v[176:177], v[128:129], v[146:147]
	v_mul_f64_e32 v[146:147], v[130:131], v[146:147]
	v_fmac_f64_e32 v[178:179], v[6:7], v[140:141]
	v_fma_f64 v[140:141], v[4:5], v[140:141], -v[142:143]
	v_add_f64_e32 v[142:143], v[138:139], v[136:137]
	v_add_f64_e32 v[172:173], v[172:173], v[174:175]
	ds_load_b128 v[4:7], v2 offset:1472
	ds_load_b128 v[136:139], v2 offset:1488
	v_fmac_f64_e32 v[176:177], v[130:131], v[144:145]
	v_fma_f64 v[128:129], v[128:129], v[144:145], -v[146:147]
	s_wait_loadcnt_dscnt 0xa01
	v_mul_f64_e32 v[174:175], v[4:5], v[154:155]
	v_mul_f64_e32 v[154:155], v[6:7], v[154:155]
	s_wait_loadcnt_dscnt 0x800
	v_mul_f64_e32 v[144:145], v[138:139], v[166:167]
	v_add_f64_e32 v[130:131], v[142:143], v[140:141]
	v_add_f64_e32 v[140:141], v[172:173], v[178:179]
	v_mul_f64_e32 v[142:143], v[136:137], v[166:167]
	v_fmac_f64_e32 v[174:175], v[6:7], v[152:153]
	v_fma_f64 v[146:147], v[4:5], v[152:153], -v[154:155]
	v_fma_f64 v[136:137], v[136:137], v[164:165], -v[144:145]
	v_add_f64_e32 v[152:153], v[130:131], v[128:129]
	v_add_f64_e32 v[140:141], v[140:141], v[176:177]
	ds_load_b128 v[4:7], v2 offset:1504
	ds_load_b128 v[128:131], v2 offset:1520
	v_fmac_f64_e32 v[142:143], v[138:139], v[164:165]
	s_wait_loadcnt_dscnt 0x701
	v_mul_f64_e32 v[154:155], v[4:5], v[170:171]
	v_mul_f64_e32 v[166:167], v[6:7], v[170:171]
	s_wait_loadcnt_dscnt 0x600
	v_mul_f64_e32 v[144:145], v[128:129], v[10:11]
	v_mul_f64_e32 v[10:11], v[130:131], v[10:11]
	v_add_f64_e32 v[138:139], v[152:153], v[146:147]
	v_add_f64_e32 v[140:141], v[140:141], v[174:175]
	v_fmac_f64_e32 v[154:155], v[6:7], v[168:169]
	v_fma_f64 v[146:147], v[4:5], v[168:169], -v[166:167]
	v_fmac_f64_e32 v[144:145], v[130:131], v[8:9]
	v_fma_f64 v[8:9], v[128:129], v[8:9], -v[10:11]
	v_add_f64_e32 v[152:153], v[138:139], v[136:137]
	v_add_f64_e32 v[140:141], v[140:141], v[142:143]
	ds_load_b128 v[4:7], v2 offset:1536
	ds_load_b128 v[136:139], v2 offset:1552
	s_wait_loadcnt_dscnt 0x501
	v_mul_f64_e32 v[142:143], v[4:5], v[158:159]
	v_mul_f64_e32 v[158:159], v[6:7], v[158:159]
	s_wait_loadcnt_dscnt 0x400
	v_mul_f64_e32 v[130:131], v[136:137], v[18:19]
	v_mul_f64_e32 v[18:19], v[138:139], v[18:19]
	v_add_f64_e32 v[10:11], v[152:153], v[146:147]
	v_add_f64_e32 v[128:129], v[140:141], v[154:155]
	v_fmac_f64_e32 v[142:143], v[6:7], v[156:157]
	v_fma_f64 v[140:141], v[4:5], v[156:157], -v[158:159]
	v_fmac_f64_e32 v[130:131], v[138:139], v[16:17]
	v_fma_f64 v[16:17], v[136:137], v[16:17], -v[18:19]
	v_add_f64_e32 v[146:147], v[10:11], v[8:9]
	v_add_f64_e32 v[128:129], v[128:129], v[144:145]
	ds_load_b128 v[4:7], v2 offset:1568
	ds_load_b128 v[8:11], v2 offset:1584
	;; [unrolled: 16-line block ×3, first 2 shown]
	s_wait_loadcnt_dscnt 0x101
	v_mul_f64_e32 v[2:3], v[4:5], v[134:135]
	v_mul_f64_e32 v[130:131], v[6:7], v[134:135]
	v_add_f64_e32 v[10:11], v[18:19], v[140:141]
	v_add_f64_e32 v[12:13], v[128:129], v[144:145]
	s_wait_loadcnt_dscnt 0x0
	v_mul_f64_e32 v[18:19], v[14:15], v[22:23]
	v_mul_f64_e32 v[22:23], v[16:17], v[22:23]
	v_fmac_f64_e32 v[2:3], v[6:7], v[132:133]
	v_fma_f64 v[4:5], v[4:5], v[132:133], -v[130:131]
	v_add_f64_e32 v[6:7], v[10:11], v[8:9]
	v_add_f64_e32 v[8:9], v[12:13], v[136:137]
	v_fmac_f64_e32 v[18:19], v[16:17], v[20:21]
	v_fma_f64 v[10:11], v[14:15], v[20:21], -v[22:23]
	s_delay_alu instid0(VALU_DEP_4) | instskip(NEXT) | instid1(VALU_DEP_4)
	v_add_f64_e32 v[4:5], v[6:7], v[4:5]
	v_add_f64_e32 v[2:3], v[8:9], v[2:3]
	s_delay_alu instid0(VALU_DEP_2) | instskip(NEXT) | instid1(VALU_DEP_2)
	v_add_f64_e32 v[4:5], v[4:5], v[10:11]
	v_add_f64_e32 v[6:7], v[2:3], v[18:19]
	s_delay_alu instid0(VALU_DEP_2) | instskip(NEXT) | instid1(VALU_DEP_2)
	v_add_f64_e64 v[2:3], v[160:161], -v[4:5]
	v_add_f64_e64 v[4:5], v[162:163], -v[6:7]
	scratch_store_b128 off, v[2:5], off offset:480
	s_wait_xcnt 0x0
	v_cmpx_lt_u32_e32 29, v1
	s_cbranch_execz .LBB114_261
; %bb.260:
	scratch_load_b128 v[2:5], off, s38
	v_mov_b32_e32 v6, 0
	s_delay_alu instid0(VALU_DEP_1)
	v_dual_mov_b32 v7, v6 :: v_dual_mov_b32 v8, v6
	v_mov_b32_e32 v9, v6
	scratch_store_b128 off, v[6:9], off offset:464
	s_wait_loadcnt 0x0
	ds_store_b128 v126, v[2:5]
.LBB114_261:
	s_wait_xcnt 0x0
	s_or_b32 exec_lo, exec_lo, s2
	s_wait_storecnt_dscnt 0x0
	s_barrier_signal -1
	s_barrier_wait -1
	s_clause 0x9
	scratch_load_b128 v[4:7], off, off offset:480
	scratch_load_b128 v[8:11], off, off offset:496
	;; [unrolled: 1-line block ×10, first 2 shown]
	v_mov_b32_e32 v2, 0
	s_mov_b32 s2, exec_lo
	ds_load_b128 v[148:151], v2 offset:1296
	s_clause 0x2
	scratch_load_b128 v[152:155], off, off offset:640
	scratch_load_b128 v[156:159], off, off offset:464
	;; [unrolled: 1-line block ×3, first 2 shown]
	s_wait_loadcnt_dscnt 0xc00
	v_mul_f64_e32 v[168:169], v[150:151], v[6:7]
	v_mul_f64_e32 v[172:173], v[148:149], v[6:7]
	ds_load_b128 v[160:163], v2 offset:1312
	v_fma_f64 v[176:177], v[148:149], v[4:5], -v[168:169]
	v_fmac_f64_e32 v[172:173], v[150:151], v[4:5]
	ds_load_b128 v[4:7], v2 offset:1328
	s_wait_loadcnt_dscnt 0xb01
	v_mul_f64_e32 v[174:175], v[160:161], v[10:11]
	v_mul_f64_e32 v[10:11], v[162:163], v[10:11]
	scratch_load_b128 v[148:151], off, off offset:672
	ds_load_b128 v[168:171], v2 offset:1344
	s_wait_loadcnt_dscnt 0xb01
	v_mul_f64_e32 v[178:179], v[4:5], v[14:15]
	v_mul_f64_e32 v[14:15], v[6:7], v[14:15]
	v_add_f64_e32 v[172:173], 0, v[172:173]
	v_fmac_f64_e32 v[174:175], v[162:163], v[8:9]
	v_fma_f64 v[160:161], v[160:161], v[8:9], -v[10:11]
	v_add_f64_e32 v[162:163], 0, v[176:177]
	scratch_load_b128 v[8:11], off, off offset:688
	v_fmac_f64_e32 v[178:179], v[6:7], v[12:13]
	v_fma_f64 v[180:181], v[4:5], v[12:13], -v[14:15]
	ds_load_b128 v[4:7], v2 offset:1360
	s_wait_loadcnt_dscnt 0xb01
	v_mul_f64_e32 v[176:177], v[168:169], v[18:19]
	v_mul_f64_e32 v[18:19], v[170:171], v[18:19]
	scratch_load_b128 v[12:15], off, off offset:704
	v_add_f64_e32 v[172:173], v[172:173], v[174:175]
	v_add_f64_e32 v[182:183], v[162:163], v[160:161]
	ds_load_b128 v[160:163], v2 offset:1376
	s_wait_loadcnt_dscnt 0xb01
	v_mul_f64_e32 v[174:175], v[4:5], v[22:23]
	v_mul_f64_e32 v[22:23], v[6:7], v[22:23]
	v_fmac_f64_e32 v[176:177], v[170:171], v[16:17]
	v_fma_f64 v[168:169], v[168:169], v[16:17], -v[18:19]
	scratch_load_b128 v[16:19], off, off offset:720
	v_add_f64_e32 v[172:173], v[172:173], v[178:179]
	v_add_f64_e32 v[170:171], v[182:183], v[180:181]
	v_fmac_f64_e32 v[174:175], v[6:7], v[20:21]
	v_fma_f64 v[180:181], v[4:5], v[20:21], -v[22:23]
	ds_load_b128 v[4:7], v2 offset:1392
	s_wait_loadcnt_dscnt 0xb01
	v_mul_f64_e32 v[178:179], v[160:161], v[130:131]
	v_mul_f64_e32 v[130:131], v[162:163], v[130:131]
	scratch_load_b128 v[20:23], off, off offset:736
	v_add_f64_e32 v[172:173], v[172:173], v[176:177]
	s_wait_loadcnt_dscnt 0xb00
	v_mul_f64_e32 v[176:177], v[4:5], v[134:135]
	v_add_f64_e32 v[182:183], v[170:171], v[168:169]
	v_mul_f64_e32 v[134:135], v[6:7], v[134:135]
	ds_load_b128 v[168:171], v2 offset:1408
	v_fmac_f64_e32 v[178:179], v[162:163], v[128:129]
	v_fma_f64 v[160:161], v[160:161], v[128:129], -v[130:131]
	scratch_load_b128 v[128:131], off, off offset:752
	v_add_f64_e32 v[172:173], v[172:173], v[174:175]
	v_fmac_f64_e32 v[176:177], v[6:7], v[132:133]
	v_add_f64_e32 v[162:163], v[182:183], v[180:181]
	v_fma_f64 v[180:181], v[4:5], v[132:133], -v[134:135]
	ds_load_b128 v[4:7], v2 offset:1424
	s_wait_loadcnt_dscnt 0xb01
	v_mul_f64_e32 v[174:175], v[168:169], v[138:139]
	v_mul_f64_e32 v[138:139], v[170:171], v[138:139]
	scratch_load_b128 v[132:135], off, off offset:768
	v_add_f64_e32 v[172:173], v[172:173], v[178:179]
	s_wait_loadcnt_dscnt 0xb00
	v_mul_f64_e32 v[178:179], v[4:5], v[142:143]
	v_add_f64_e32 v[182:183], v[162:163], v[160:161]
	v_mul_f64_e32 v[142:143], v[6:7], v[142:143]
	ds_load_b128 v[160:163], v2 offset:1440
	v_fmac_f64_e32 v[174:175], v[170:171], v[136:137]
	v_fma_f64 v[168:169], v[168:169], v[136:137], -v[138:139]
	scratch_load_b128 v[136:139], off, off offset:784
	v_add_f64_e32 v[172:173], v[172:173], v[176:177]
	v_fmac_f64_e32 v[178:179], v[6:7], v[140:141]
	v_add_f64_e32 v[170:171], v[182:183], v[180:181]
	v_fma_f64 v[180:181], v[4:5], v[140:141], -v[142:143]
	ds_load_b128 v[4:7], v2 offset:1456
	s_wait_loadcnt_dscnt 0xb01
	v_mul_f64_e32 v[176:177], v[160:161], v[146:147]
	v_mul_f64_e32 v[146:147], v[162:163], v[146:147]
	scratch_load_b128 v[140:143], off, off offset:800
	v_add_f64_e32 v[172:173], v[172:173], v[174:175]
	s_wait_loadcnt_dscnt 0xb00
	v_mul_f64_e32 v[174:175], v[4:5], v[154:155]
	v_add_f64_e32 v[182:183], v[170:171], v[168:169]
	v_mul_f64_e32 v[154:155], v[6:7], v[154:155]
	ds_load_b128 v[168:171], v2 offset:1472
	v_fmac_f64_e32 v[176:177], v[162:163], v[144:145]
	v_fma_f64 v[144:145], v[160:161], v[144:145], -v[146:147]
	s_wait_loadcnt_dscnt 0x900
	v_mul_f64_e32 v[162:163], v[168:169], v[166:167]
	v_mul_f64_e32 v[166:167], v[170:171], v[166:167]
	v_add_f64_e32 v[160:161], v[172:173], v[178:179]
	v_fmac_f64_e32 v[174:175], v[6:7], v[152:153]
	v_add_f64_e32 v[146:147], v[182:183], v[180:181]
	v_fma_f64 v[152:153], v[4:5], v[152:153], -v[154:155]
	v_fmac_f64_e32 v[162:163], v[170:171], v[164:165]
	v_fma_f64 v[164:165], v[168:169], v[164:165], -v[166:167]
	v_add_f64_e32 v[160:161], v[160:161], v[176:177]
	v_add_f64_e32 v[154:155], v[146:147], v[144:145]
	ds_load_b128 v[4:7], v2 offset:1488
	ds_load_b128 v[144:147], v2 offset:1504
	s_wait_loadcnt_dscnt 0x801
	v_mul_f64_e32 v[172:173], v[4:5], v[150:151]
	v_mul_f64_e32 v[150:151], v[6:7], v[150:151]
	v_add_f64_e32 v[152:153], v[154:155], v[152:153]
	v_add_f64_e32 v[154:155], v[160:161], v[174:175]
	s_wait_loadcnt_dscnt 0x700
	v_mul_f64_e32 v[160:161], v[144:145], v[10:11]
	v_mul_f64_e32 v[10:11], v[146:147], v[10:11]
	v_fmac_f64_e32 v[172:173], v[6:7], v[148:149]
	v_fma_f64 v[166:167], v[4:5], v[148:149], -v[150:151]
	ds_load_b128 v[4:7], v2 offset:1520
	ds_load_b128 v[148:151], v2 offset:1536
	v_add_f64_e32 v[152:153], v[152:153], v[164:165]
	v_add_f64_e32 v[154:155], v[154:155], v[162:163]
	v_fmac_f64_e32 v[160:161], v[146:147], v[8:9]
	v_fma_f64 v[8:9], v[144:145], v[8:9], -v[10:11]
	s_wait_loadcnt_dscnt 0x601
	v_mul_f64_e32 v[162:163], v[4:5], v[14:15]
	v_mul_f64_e32 v[14:15], v[6:7], v[14:15]
	s_wait_loadcnt_dscnt 0x500
	v_mul_f64_e32 v[146:147], v[148:149], v[18:19]
	v_mul_f64_e32 v[18:19], v[150:151], v[18:19]
	v_add_f64_e32 v[10:11], v[152:153], v[166:167]
	v_add_f64_e32 v[144:145], v[154:155], v[172:173]
	v_fmac_f64_e32 v[162:163], v[6:7], v[12:13]
	v_fma_f64 v[12:13], v[4:5], v[12:13], -v[14:15]
	v_fmac_f64_e32 v[146:147], v[150:151], v[16:17]
	v_fma_f64 v[16:17], v[148:149], v[16:17], -v[18:19]
	v_add_f64_e32 v[14:15], v[10:11], v[8:9]
	v_add_f64_e32 v[144:145], v[144:145], v[160:161]
	ds_load_b128 v[4:7], v2 offset:1552
	ds_load_b128 v[8:11], v2 offset:1568
	s_wait_loadcnt_dscnt 0x401
	v_mul_f64_e32 v[152:153], v[4:5], v[22:23]
	v_mul_f64_e32 v[22:23], v[6:7], v[22:23]
	s_wait_loadcnt_dscnt 0x300
	v_mul_f64_e32 v[18:19], v[8:9], v[130:131]
	v_mul_f64_e32 v[130:131], v[10:11], v[130:131]
	v_add_f64_e32 v[12:13], v[14:15], v[12:13]
	v_add_f64_e32 v[14:15], v[144:145], v[162:163]
	v_fmac_f64_e32 v[152:153], v[6:7], v[20:21]
	v_fma_f64 v[20:21], v[4:5], v[20:21], -v[22:23]
	v_fmac_f64_e32 v[18:19], v[10:11], v[128:129]
	v_fma_f64 v[8:9], v[8:9], v[128:129], -v[130:131]
	v_add_f64_e32 v[16:17], v[12:13], v[16:17]
	v_add_f64_e32 v[22:23], v[14:15], v[146:147]
	ds_load_b128 v[4:7], v2 offset:1584
	ds_load_b128 v[12:15], v2 offset:1600
	s_wait_loadcnt_dscnt 0x201
	v_mul_f64_e32 v[144:145], v[4:5], v[134:135]
	v_mul_f64_e32 v[134:135], v[6:7], v[134:135]
	v_add_f64_e32 v[10:11], v[16:17], v[20:21]
	v_add_f64_e32 v[16:17], v[22:23], v[152:153]
	s_wait_loadcnt_dscnt 0x100
	v_mul_f64_e32 v[20:21], v[12:13], v[138:139]
	v_mul_f64_e32 v[22:23], v[14:15], v[138:139]
	v_fmac_f64_e32 v[144:145], v[6:7], v[132:133]
	v_fma_f64 v[128:129], v[4:5], v[132:133], -v[134:135]
	ds_load_b128 v[4:7], v2 offset:1616
	v_add_f64_e32 v[8:9], v[10:11], v[8:9]
	v_add_f64_e32 v[10:11], v[16:17], v[18:19]
	v_fmac_f64_e32 v[20:21], v[14:15], v[136:137]
	v_fma_f64 v[12:13], v[12:13], v[136:137], -v[22:23]
	s_wait_loadcnt_dscnt 0x0
	v_mul_f64_e32 v[16:17], v[4:5], v[142:143]
	v_mul_f64_e32 v[18:19], v[6:7], v[142:143]
	v_add_f64_e32 v[8:9], v[8:9], v[128:129]
	v_add_f64_e32 v[10:11], v[10:11], v[144:145]
	s_delay_alu instid0(VALU_DEP_4) | instskip(NEXT) | instid1(VALU_DEP_4)
	v_fmac_f64_e32 v[16:17], v[6:7], v[140:141]
	v_fma_f64 v[4:5], v[4:5], v[140:141], -v[18:19]
	s_delay_alu instid0(VALU_DEP_4) | instskip(NEXT) | instid1(VALU_DEP_4)
	v_add_f64_e32 v[6:7], v[8:9], v[12:13]
	v_add_f64_e32 v[8:9], v[10:11], v[20:21]
	s_delay_alu instid0(VALU_DEP_2) | instskip(NEXT) | instid1(VALU_DEP_2)
	v_add_f64_e32 v[4:5], v[6:7], v[4:5]
	v_add_f64_e32 v[6:7], v[8:9], v[16:17]
	s_delay_alu instid0(VALU_DEP_2) | instskip(NEXT) | instid1(VALU_DEP_2)
	v_add_f64_e64 v[4:5], v[156:157], -v[4:5]
	v_add_f64_e64 v[6:7], v[158:159], -v[6:7]
	scratch_store_b128 off, v[4:7], off offset:464
	s_wait_xcnt 0x0
	v_cmpx_lt_u32_e32 28, v1
	s_cbranch_execz .LBB114_263
; %bb.262:
	scratch_load_b128 v[6:9], off, s39
	v_dual_mov_b32 v3, v2 :: v_dual_mov_b32 v4, v2
	v_mov_b32_e32 v5, v2
	scratch_store_b128 off, v[2:5], off offset:448
	s_wait_loadcnt 0x0
	ds_store_b128 v126, v[6:9]
.LBB114_263:
	s_wait_xcnt 0x0
	s_or_b32 exec_lo, exec_lo, s2
	s_wait_storecnt_dscnt 0x0
	s_barrier_signal -1
	s_barrier_wait -1
	s_clause 0x9
	scratch_load_b128 v[4:7], off, off offset:464
	scratch_load_b128 v[8:11], off, off offset:480
	;; [unrolled: 1-line block ×10, first 2 shown]
	ds_load_b128 v[148:151], v2 offset:1280
	ds_load_b128 v[156:159], v2 offset:1296
	s_clause 0x2
	scratch_load_b128 v[152:155], off, off offset:624
	scratch_load_b128 v[160:163], off, off offset:448
	;; [unrolled: 1-line block ×3, first 2 shown]
	s_mov_b32 s2, exec_lo
	s_wait_loadcnt_dscnt 0xc01
	v_mul_f64_e32 v[168:169], v[150:151], v[6:7]
	v_mul_f64_e32 v[172:173], v[148:149], v[6:7]
	s_wait_loadcnt_dscnt 0xb00
	v_mul_f64_e32 v[174:175], v[156:157], v[10:11]
	v_mul_f64_e32 v[10:11], v[158:159], v[10:11]
	s_delay_alu instid0(VALU_DEP_4) | instskip(NEXT) | instid1(VALU_DEP_4)
	v_fma_f64 v[176:177], v[148:149], v[4:5], -v[168:169]
	v_fmac_f64_e32 v[172:173], v[150:151], v[4:5]
	ds_load_b128 v[4:7], v2 offset:1312
	ds_load_b128 v[148:151], v2 offset:1328
	scratch_load_b128 v[168:171], off, off offset:656
	v_fmac_f64_e32 v[174:175], v[158:159], v[8:9]
	v_fma_f64 v[156:157], v[156:157], v[8:9], -v[10:11]
	scratch_load_b128 v[8:11], off, off offset:672
	s_wait_loadcnt_dscnt 0xc01
	v_mul_f64_e32 v[178:179], v[4:5], v[14:15]
	v_mul_f64_e32 v[14:15], v[6:7], v[14:15]
	v_add_f64_e32 v[158:159], 0, v[176:177]
	v_add_f64_e32 v[172:173], 0, v[172:173]
	s_wait_loadcnt_dscnt 0xb00
	v_mul_f64_e32 v[176:177], v[148:149], v[18:19]
	v_mul_f64_e32 v[18:19], v[150:151], v[18:19]
	v_fmac_f64_e32 v[178:179], v[6:7], v[12:13]
	v_fma_f64 v[180:181], v[4:5], v[12:13], -v[14:15]
	ds_load_b128 v[4:7], v2 offset:1344
	ds_load_b128 v[12:15], v2 offset:1360
	v_add_f64_e32 v[182:183], v[158:159], v[156:157]
	v_add_f64_e32 v[172:173], v[172:173], v[174:175]
	scratch_load_b128 v[156:159], off, off offset:688
	v_fmac_f64_e32 v[176:177], v[150:151], v[16:17]
	v_fma_f64 v[148:149], v[148:149], v[16:17], -v[18:19]
	scratch_load_b128 v[16:19], off, off offset:704
	s_wait_loadcnt_dscnt 0xc01
	v_mul_f64_e32 v[174:175], v[4:5], v[22:23]
	v_mul_f64_e32 v[22:23], v[6:7], v[22:23]
	v_add_f64_e32 v[150:151], v[182:183], v[180:181]
	v_add_f64_e32 v[172:173], v[172:173], v[178:179]
	s_wait_loadcnt_dscnt 0xb00
	v_mul_f64_e32 v[178:179], v[12:13], v[130:131]
	v_mul_f64_e32 v[130:131], v[14:15], v[130:131]
	v_fmac_f64_e32 v[174:175], v[6:7], v[20:21]
	v_fma_f64 v[180:181], v[4:5], v[20:21], -v[22:23]
	ds_load_b128 v[4:7], v2 offset:1376
	ds_load_b128 v[20:23], v2 offset:1392
	v_add_f64_e32 v[182:183], v[150:151], v[148:149]
	v_add_f64_e32 v[172:173], v[172:173], v[176:177]
	scratch_load_b128 v[148:151], off, off offset:720
	s_wait_loadcnt_dscnt 0xb01
	v_mul_f64_e32 v[176:177], v[4:5], v[134:135]
	v_mul_f64_e32 v[134:135], v[6:7], v[134:135]
	v_fmac_f64_e32 v[178:179], v[14:15], v[128:129]
	v_fma_f64 v[128:129], v[12:13], v[128:129], -v[130:131]
	scratch_load_b128 v[12:15], off, off offset:736
	v_add_f64_e32 v[130:131], v[182:183], v[180:181]
	v_add_f64_e32 v[172:173], v[172:173], v[174:175]
	s_wait_loadcnt_dscnt 0xb00
	v_mul_f64_e32 v[174:175], v[20:21], v[138:139]
	v_mul_f64_e32 v[138:139], v[22:23], v[138:139]
	v_fmac_f64_e32 v[176:177], v[6:7], v[132:133]
	v_fma_f64 v[180:181], v[4:5], v[132:133], -v[134:135]
	v_add_f64_e32 v[182:183], v[130:131], v[128:129]
	v_add_f64_e32 v[172:173], v[172:173], v[178:179]
	ds_load_b128 v[4:7], v2 offset:1408
	ds_load_b128 v[128:131], v2 offset:1424
	scratch_load_b128 v[132:135], off, off offset:752
	v_fmac_f64_e32 v[174:175], v[22:23], v[136:137]
	v_fma_f64 v[136:137], v[20:21], v[136:137], -v[138:139]
	scratch_load_b128 v[20:23], off, off offset:768
	s_wait_loadcnt_dscnt 0xc01
	v_mul_f64_e32 v[178:179], v[4:5], v[142:143]
	v_mul_f64_e32 v[142:143], v[6:7], v[142:143]
	v_add_f64_e32 v[138:139], v[182:183], v[180:181]
	v_add_f64_e32 v[172:173], v[172:173], v[176:177]
	s_wait_loadcnt_dscnt 0xb00
	v_mul_f64_e32 v[176:177], v[128:129], v[146:147]
	v_mul_f64_e32 v[146:147], v[130:131], v[146:147]
	v_fmac_f64_e32 v[178:179], v[6:7], v[140:141]
	v_fma_f64 v[180:181], v[4:5], v[140:141], -v[142:143]
	v_add_f64_e32 v[182:183], v[138:139], v[136:137]
	v_add_f64_e32 v[172:173], v[172:173], v[174:175]
	ds_load_b128 v[4:7], v2 offset:1440
	ds_load_b128 v[136:139], v2 offset:1456
	scratch_load_b128 v[140:143], off, off offset:784
	v_fmac_f64_e32 v[176:177], v[130:131], v[144:145]
	v_fma_f64 v[144:145], v[128:129], v[144:145], -v[146:147]
	scratch_load_b128 v[128:131], off, off offset:800
	s_wait_loadcnt_dscnt 0xc01
	v_mul_f64_e32 v[174:175], v[4:5], v[154:155]
	v_mul_f64_e32 v[154:155], v[6:7], v[154:155]
	v_add_f64_e32 v[146:147], v[182:183], v[180:181]
	v_add_f64_e32 v[172:173], v[172:173], v[178:179]
	s_wait_loadcnt_dscnt 0xa00
	v_mul_f64_e32 v[178:179], v[136:137], v[166:167]
	v_mul_f64_e32 v[166:167], v[138:139], v[166:167]
	v_fmac_f64_e32 v[174:175], v[6:7], v[152:153]
	v_fma_f64 v[152:153], v[4:5], v[152:153], -v[154:155]
	v_add_f64_e32 v[154:155], v[146:147], v[144:145]
	v_add_f64_e32 v[172:173], v[172:173], v[176:177]
	ds_load_b128 v[4:7], v2 offset:1472
	ds_load_b128 v[144:147], v2 offset:1488
	v_fmac_f64_e32 v[178:179], v[138:139], v[164:165]
	v_fma_f64 v[136:137], v[136:137], v[164:165], -v[166:167]
	s_wait_loadcnt_dscnt 0x901
	v_mul_f64_e32 v[176:177], v[4:5], v[170:171]
	v_mul_f64_e32 v[170:171], v[6:7], v[170:171]
	v_add_f64_e32 v[138:139], v[154:155], v[152:153]
	v_add_f64_e32 v[152:153], v[172:173], v[174:175]
	s_wait_loadcnt_dscnt 0x800
	v_mul_f64_e32 v[154:155], v[144:145], v[10:11]
	v_mul_f64_e32 v[10:11], v[146:147], v[10:11]
	v_fmac_f64_e32 v[176:177], v[6:7], v[168:169]
	v_fma_f64 v[164:165], v[4:5], v[168:169], -v[170:171]
	v_add_f64_e32 v[166:167], v[138:139], v[136:137]
	v_add_f64_e32 v[152:153], v[152:153], v[178:179]
	ds_load_b128 v[4:7], v2 offset:1504
	ds_load_b128 v[136:139], v2 offset:1520
	v_fmac_f64_e32 v[154:155], v[146:147], v[8:9]
	v_fma_f64 v[8:9], v[144:145], v[8:9], -v[10:11]
	s_wait_loadcnt_dscnt 0x701
	v_mul_f64_e32 v[168:169], v[4:5], v[158:159]
	v_mul_f64_e32 v[158:159], v[6:7], v[158:159]
	s_wait_loadcnt_dscnt 0x600
	v_mul_f64_e32 v[146:147], v[136:137], v[18:19]
	v_mul_f64_e32 v[18:19], v[138:139], v[18:19]
	v_add_f64_e32 v[10:11], v[166:167], v[164:165]
	v_add_f64_e32 v[144:145], v[152:153], v[176:177]
	v_fmac_f64_e32 v[168:169], v[6:7], v[156:157]
	v_fma_f64 v[152:153], v[4:5], v[156:157], -v[158:159]
	v_fmac_f64_e32 v[146:147], v[138:139], v[16:17]
	v_fma_f64 v[16:17], v[136:137], v[16:17], -v[18:19]
	v_add_f64_e32 v[156:157], v[10:11], v[8:9]
	v_add_f64_e32 v[144:145], v[144:145], v[154:155]
	ds_load_b128 v[4:7], v2 offset:1536
	ds_load_b128 v[8:11], v2 offset:1552
	s_wait_loadcnt_dscnt 0x501
	v_mul_f64_e32 v[154:155], v[4:5], v[150:151]
	v_mul_f64_e32 v[150:151], v[6:7], v[150:151]
	s_wait_loadcnt_dscnt 0x400
	v_mul_f64_e32 v[138:139], v[8:9], v[14:15]
	v_add_f64_e32 v[18:19], v[156:157], v[152:153]
	v_add_f64_e32 v[136:137], v[144:145], v[168:169]
	v_mul_f64_e32 v[144:145], v[10:11], v[14:15]
	v_fmac_f64_e32 v[154:155], v[6:7], v[148:149]
	v_fma_f64 v[148:149], v[4:5], v[148:149], -v[150:151]
	v_fmac_f64_e32 v[138:139], v[10:11], v[12:13]
	v_add_f64_e32 v[18:19], v[18:19], v[16:17]
	v_add_f64_e32 v[136:137], v[136:137], v[146:147]
	ds_load_b128 v[4:7], v2 offset:1568
	ds_load_b128 v[14:17], v2 offset:1584
	v_fma_f64 v[8:9], v[8:9], v[12:13], -v[144:145]
	s_wait_loadcnt_dscnt 0x301
	v_mul_f64_e32 v[146:147], v[4:5], v[134:135]
	v_mul_f64_e32 v[134:135], v[6:7], v[134:135]
	v_add_f64_e32 v[10:11], v[18:19], v[148:149]
	v_add_f64_e32 v[12:13], v[136:137], v[154:155]
	s_wait_loadcnt_dscnt 0x200
	v_mul_f64_e32 v[18:19], v[14:15], v[22:23]
	v_mul_f64_e32 v[22:23], v[16:17], v[22:23]
	v_fmac_f64_e32 v[146:147], v[6:7], v[132:133]
	v_fma_f64 v[132:133], v[4:5], v[132:133], -v[134:135]
	v_add_f64_e32 v[134:135], v[10:11], v[8:9]
	v_add_f64_e32 v[12:13], v[12:13], v[138:139]
	ds_load_b128 v[4:7], v2 offset:1600
	ds_load_b128 v[8:11], v2 offset:1616
	v_fmac_f64_e32 v[18:19], v[16:17], v[20:21]
	v_fma_f64 v[14:15], v[14:15], v[20:21], -v[22:23]
	s_wait_loadcnt_dscnt 0x101
	v_mul_f64_e32 v[2:3], v[4:5], v[142:143]
	v_mul_f64_e32 v[136:137], v[6:7], v[142:143]
	s_wait_loadcnt_dscnt 0x0
	v_mul_f64_e32 v[20:21], v[8:9], v[130:131]
	v_mul_f64_e32 v[22:23], v[10:11], v[130:131]
	v_add_f64_e32 v[16:17], v[134:135], v[132:133]
	v_add_f64_e32 v[12:13], v[12:13], v[146:147]
	v_fmac_f64_e32 v[2:3], v[6:7], v[140:141]
	v_fma_f64 v[4:5], v[4:5], v[140:141], -v[136:137]
	v_fmac_f64_e32 v[20:21], v[10:11], v[128:129]
	v_fma_f64 v[8:9], v[8:9], v[128:129], -v[22:23]
	v_add_f64_e32 v[6:7], v[16:17], v[14:15]
	v_add_f64_e32 v[12:13], v[12:13], v[18:19]
	s_delay_alu instid0(VALU_DEP_2) | instskip(NEXT) | instid1(VALU_DEP_2)
	v_add_f64_e32 v[4:5], v[6:7], v[4:5]
	v_add_f64_e32 v[2:3], v[12:13], v[2:3]
	s_delay_alu instid0(VALU_DEP_2) | instskip(NEXT) | instid1(VALU_DEP_2)
	;; [unrolled: 3-line block ×3, first 2 shown]
	v_add_f64_e64 v[2:3], v[160:161], -v[4:5]
	v_add_f64_e64 v[4:5], v[162:163], -v[6:7]
	scratch_store_b128 off, v[2:5], off offset:448
	s_wait_xcnt 0x0
	v_cmpx_lt_u32_e32 27, v1
	s_cbranch_execz .LBB114_265
; %bb.264:
	scratch_load_b128 v[2:5], off, s40
	v_mov_b32_e32 v6, 0
	s_delay_alu instid0(VALU_DEP_1)
	v_dual_mov_b32 v7, v6 :: v_dual_mov_b32 v8, v6
	v_mov_b32_e32 v9, v6
	scratch_store_b128 off, v[6:9], off offset:432
	s_wait_loadcnt 0x0
	ds_store_b128 v126, v[2:5]
.LBB114_265:
	s_wait_xcnt 0x0
	s_or_b32 exec_lo, exec_lo, s2
	s_wait_storecnt_dscnt 0x0
	s_barrier_signal -1
	s_barrier_wait -1
	s_clause 0x9
	scratch_load_b128 v[4:7], off, off offset:448
	scratch_load_b128 v[8:11], off, off offset:464
	;; [unrolled: 1-line block ×10, first 2 shown]
	v_mov_b32_e32 v2, 0
	s_mov_b32 s2, exec_lo
	ds_load_b128 v[148:151], v2 offset:1264
	s_clause 0x2
	scratch_load_b128 v[152:155], off, off offset:608
	scratch_load_b128 v[156:159], off, off offset:432
	;; [unrolled: 1-line block ×3, first 2 shown]
	s_wait_loadcnt_dscnt 0xc00
	v_mul_f64_e32 v[168:169], v[150:151], v[6:7]
	v_mul_f64_e32 v[172:173], v[148:149], v[6:7]
	ds_load_b128 v[160:163], v2 offset:1280
	v_fma_f64 v[176:177], v[148:149], v[4:5], -v[168:169]
	v_fmac_f64_e32 v[172:173], v[150:151], v[4:5]
	ds_load_b128 v[4:7], v2 offset:1296
	s_wait_loadcnt_dscnt 0xb01
	v_mul_f64_e32 v[174:175], v[160:161], v[10:11]
	v_mul_f64_e32 v[10:11], v[162:163], v[10:11]
	scratch_load_b128 v[148:151], off, off offset:640
	ds_load_b128 v[168:171], v2 offset:1312
	s_wait_loadcnt_dscnt 0xb01
	v_mul_f64_e32 v[178:179], v[4:5], v[14:15]
	v_mul_f64_e32 v[14:15], v[6:7], v[14:15]
	v_add_f64_e32 v[172:173], 0, v[172:173]
	v_fmac_f64_e32 v[174:175], v[162:163], v[8:9]
	v_fma_f64 v[160:161], v[160:161], v[8:9], -v[10:11]
	v_add_f64_e32 v[162:163], 0, v[176:177]
	scratch_load_b128 v[8:11], off, off offset:656
	v_fmac_f64_e32 v[178:179], v[6:7], v[12:13]
	v_fma_f64 v[180:181], v[4:5], v[12:13], -v[14:15]
	ds_load_b128 v[4:7], v2 offset:1328
	s_wait_loadcnt_dscnt 0xb01
	v_mul_f64_e32 v[176:177], v[168:169], v[18:19]
	v_mul_f64_e32 v[18:19], v[170:171], v[18:19]
	scratch_load_b128 v[12:15], off, off offset:672
	v_add_f64_e32 v[172:173], v[172:173], v[174:175]
	v_add_f64_e32 v[182:183], v[162:163], v[160:161]
	ds_load_b128 v[160:163], v2 offset:1344
	s_wait_loadcnt_dscnt 0xb01
	v_mul_f64_e32 v[174:175], v[4:5], v[22:23]
	v_mul_f64_e32 v[22:23], v[6:7], v[22:23]
	v_fmac_f64_e32 v[176:177], v[170:171], v[16:17]
	v_fma_f64 v[168:169], v[168:169], v[16:17], -v[18:19]
	scratch_load_b128 v[16:19], off, off offset:688
	v_add_f64_e32 v[172:173], v[172:173], v[178:179]
	v_add_f64_e32 v[170:171], v[182:183], v[180:181]
	v_fmac_f64_e32 v[174:175], v[6:7], v[20:21]
	v_fma_f64 v[180:181], v[4:5], v[20:21], -v[22:23]
	ds_load_b128 v[4:7], v2 offset:1360
	s_wait_loadcnt_dscnt 0xb01
	v_mul_f64_e32 v[178:179], v[160:161], v[130:131]
	v_mul_f64_e32 v[130:131], v[162:163], v[130:131]
	scratch_load_b128 v[20:23], off, off offset:704
	v_add_f64_e32 v[172:173], v[172:173], v[176:177]
	s_wait_loadcnt_dscnt 0xb00
	v_mul_f64_e32 v[176:177], v[4:5], v[134:135]
	v_add_f64_e32 v[182:183], v[170:171], v[168:169]
	v_mul_f64_e32 v[134:135], v[6:7], v[134:135]
	ds_load_b128 v[168:171], v2 offset:1376
	v_fmac_f64_e32 v[178:179], v[162:163], v[128:129]
	v_fma_f64 v[160:161], v[160:161], v[128:129], -v[130:131]
	scratch_load_b128 v[128:131], off, off offset:720
	v_add_f64_e32 v[172:173], v[172:173], v[174:175]
	v_fmac_f64_e32 v[176:177], v[6:7], v[132:133]
	v_add_f64_e32 v[162:163], v[182:183], v[180:181]
	v_fma_f64 v[180:181], v[4:5], v[132:133], -v[134:135]
	ds_load_b128 v[4:7], v2 offset:1392
	s_wait_loadcnt_dscnt 0xb01
	v_mul_f64_e32 v[174:175], v[168:169], v[138:139]
	v_mul_f64_e32 v[138:139], v[170:171], v[138:139]
	scratch_load_b128 v[132:135], off, off offset:736
	v_add_f64_e32 v[172:173], v[172:173], v[178:179]
	s_wait_loadcnt_dscnt 0xb00
	v_mul_f64_e32 v[178:179], v[4:5], v[142:143]
	v_add_f64_e32 v[182:183], v[162:163], v[160:161]
	v_mul_f64_e32 v[142:143], v[6:7], v[142:143]
	ds_load_b128 v[160:163], v2 offset:1408
	v_fmac_f64_e32 v[174:175], v[170:171], v[136:137]
	v_fma_f64 v[168:169], v[168:169], v[136:137], -v[138:139]
	scratch_load_b128 v[136:139], off, off offset:752
	v_add_f64_e32 v[172:173], v[172:173], v[176:177]
	v_fmac_f64_e32 v[178:179], v[6:7], v[140:141]
	v_add_f64_e32 v[170:171], v[182:183], v[180:181]
	;; [unrolled: 18-line block ×3, first 2 shown]
	v_fma_f64 v[180:181], v[4:5], v[152:153], -v[154:155]
	ds_load_b128 v[4:7], v2 offset:1456
	s_wait_loadcnt_dscnt 0xa01
	v_mul_f64_e32 v[178:179], v[168:169], v[166:167]
	v_mul_f64_e32 v[166:167], v[170:171], v[166:167]
	scratch_load_b128 v[152:155], off, off offset:800
	v_add_f64_e32 v[172:173], v[172:173], v[176:177]
	v_add_f64_e32 v[182:183], v[162:163], v[160:161]
	s_wait_loadcnt_dscnt 0xa00
	v_mul_f64_e32 v[176:177], v[4:5], v[150:151]
	v_mul_f64_e32 v[150:151], v[6:7], v[150:151]
	v_fmac_f64_e32 v[178:179], v[170:171], v[164:165]
	v_fma_f64 v[164:165], v[168:169], v[164:165], -v[166:167]
	ds_load_b128 v[160:163], v2 offset:1472
	v_add_f64_e32 v[168:169], v[172:173], v[174:175]
	v_add_f64_e32 v[166:167], v[182:183], v[180:181]
	s_wait_loadcnt_dscnt 0x900
	v_mul_f64_e32 v[170:171], v[160:161], v[10:11]
	v_mul_f64_e32 v[10:11], v[162:163], v[10:11]
	v_fmac_f64_e32 v[176:177], v[6:7], v[148:149]
	v_fma_f64 v[172:173], v[4:5], v[148:149], -v[150:151]
	ds_load_b128 v[4:7], v2 offset:1488
	ds_load_b128 v[148:151], v2 offset:1504
	v_add_f64_e32 v[164:165], v[166:167], v[164:165]
	v_add_f64_e32 v[166:167], v[168:169], v[178:179]
	s_wait_loadcnt_dscnt 0x801
	v_mul_f64_e32 v[168:169], v[4:5], v[14:15]
	v_mul_f64_e32 v[14:15], v[6:7], v[14:15]
	v_fmac_f64_e32 v[170:171], v[162:163], v[8:9]
	v_fma_f64 v[8:9], v[160:161], v[8:9], -v[10:11]
	s_wait_loadcnt_dscnt 0x700
	v_mul_f64_e32 v[162:163], v[148:149], v[18:19]
	v_mul_f64_e32 v[18:19], v[150:151], v[18:19]
	v_add_f64_e32 v[10:11], v[164:165], v[172:173]
	v_add_f64_e32 v[160:161], v[166:167], v[176:177]
	v_fmac_f64_e32 v[168:169], v[6:7], v[12:13]
	v_fma_f64 v[12:13], v[4:5], v[12:13], -v[14:15]
	v_fmac_f64_e32 v[162:163], v[150:151], v[16:17]
	v_fma_f64 v[16:17], v[148:149], v[16:17], -v[18:19]
	v_add_f64_e32 v[14:15], v[10:11], v[8:9]
	v_add_f64_e32 v[160:161], v[160:161], v[170:171]
	ds_load_b128 v[4:7], v2 offset:1520
	ds_load_b128 v[8:11], v2 offset:1536
	s_wait_loadcnt_dscnt 0x601
	v_mul_f64_e32 v[164:165], v[4:5], v[22:23]
	v_mul_f64_e32 v[22:23], v[6:7], v[22:23]
	s_wait_loadcnt_dscnt 0x500
	v_mul_f64_e32 v[18:19], v[8:9], v[130:131]
	v_mul_f64_e32 v[130:131], v[10:11], v[130:131]
	v_add_f64_e32 v[12:13], v[14:15], v[12:13]
	v_add_f64_e32 v[14:15], v[160:161], v[168:169]
	v_fmac_f64_e32 v[164:165], v[6:7], v[20:21]
	v_fma_f64 v[20:21], v[4:5], v[20:21], -v[22:23]
	v_fmac_f64_e32 v[18:19], v[10:11], v[128:129]
	v_fma_f64 v[8:9], v[8:9], v[128:129], -v[130:131]
	v_add_f64_e32 v[16:17], v[12:13], v[16:17]
	v_add_f64_e32 v[22:23], v[14:15], v[162:163]
	ds_load_b128 v[4:7], v2 offset:1552
	ds_load_b128 v[12:15], v2 offset:1568
	s_wait_loadcnt_dscnt 0x401
	v_mul_f64_e32 v[148:149], v[4:5], v[134:135]
	v_mul_f64_e32 v[134:135], v[6:7], v[134:135]
	v_add_f64_e32 v[10:11], v[16:17], v[20:21]
	v_add_f64_e32 v[16:17], v[22:23], v[164:165]
	s_wait_loadcnt_dscnt 0x300
	v_mul_f64_e32 v[20:21], v[12:13], v[138:139]
	v_mul_f64_e32 v[22:23], v[14:15], v[138:139]
	v_fmac_f64_e32 v[148:149], v[6:7], v[132:133]
	v_fma_f64 v[128:129], v[4:5], v[132:133], -v[134:135]
	v_add_f64_e32 v[130:131], v[10:11], v[8:9]
	v_add_f64_e32 v[16:17], v[16:17], v[18:19]
	ds_load_b128 v[4:7], v2 offset:1584
	ds_load_b128 v[8:11], v2 offset:1600
	v_fmac_f64_e32 v[20:21], v[14:15], v[136:137]
	v_fma_f64 v[12:13], v[12:13], v[136:137], -v[22:23]
	s_wait_loadcnt_dscnt 0x201
	v_mul_f64_e32 v[18:19], v[4:5], v[142:143]
	v_mul_f64_e32 v[132:133], v[6:7], v[142:143]
	s_wait_loadcnt_dscnt 0x100
	v_mul_f64_e32 v[22:23], v[8:9], v[146:147]
	v_add_f64_e32 v[14:15], v[130:131], v[128:129]
	v_add_f64_e32 v[16:17], v[16:17], v[148:149]
	v_mul_f64_e32 v[128:129], v[10:11], v[146:147]
	v_fmac_f64_e32 v[18:19], v[6:7], v[140:141]
	v_fma_f64 v[130:131], v[4:5], v[140:141], -v[132:133]
	ds_load_b128 v[4:7], v2 offset:1616
	v_fmac_f64_e32 v[22:23], v[10:11], v[144:145]
	v_add_f64_e32 v[12:13], v[14:15], v[12:13]
	v_add_f64_e32 v[14:15], v[16:17], v[20:21]
	v_fma_f64 v[8:9], v[8:9], v[144:145], -v[128:129]
	s_wait_loadcnt_dscnt 0x0
	v_mul_f64_e32 v[16:17], v[4:5], v[154:155]
	v_mul_f64_e32 v[20:21], v[6:7], v[154:155]
	v_add_f64_e32 v[10:11], v[12:13], v[130:131]
	v_add_f64_e32 v[12:13], v[14:15], v[18:19]
	s_delay_alu instid0(VALU_DEP_4) | instskip(NEXT) | instid1(VALU_DEP_4)
	v_fmac_f64_e32 v[16:17], v[6:7], v[152:153]
	v_fma_f64 v[4:5], v[4:5], v[152:153], -v[20:21]
	s_delay_alu instid0(VALU_DEP_4) | instskip(NEXT) | instid1(VALU_DEP_4)
	v_add_f64_e32 v[6:7], v[10:11], v[8:9]
	v_add_f64_e32 v[8:9], v[12:13], v[22:23]
	s_delay_alu instid0(VALU_DEP_2) | instskip(NEXT) | instid1(VALU_DEP_2)
	v_add_f64_e32 v[4:5], v[6:7], v[4:5]
	v_add_f64_e32 v[6:7], v[8:9], v[16:17]
	s_delay_alu instid0(VALU_DEP_2) | instskip(NEXT) | instid1(VALU_DEP_2)
	v_add_f64_e64 v[4:5], v[156:157], -v[4:5]
	v_add_f64_e64 v[6:7], v[158:159], -v[6:7]
	scratch_store_b128 off, v[4:7], off offset:432
	s_wait_xcnt 0x0
	v_cmpx_lt_u32_e32 26, v1
	s_cbranch_execz .LBB114_267
; %bb.266:
	scratch_load_b128 v[6:9], off, s41
	v_dual_mov_b32 v3, v2 :: v_dual_mov_b32 v4, v2
	v_mov_b32_e32 v5, v2
	scratch_store_b128 off, v[2:5], off offset:416
	s_wait_loadcnt 0x0
	ds_store_b128 v126, v[6:9]
.LBB114_267:
	s_wait_xcnt 0x0
	s_or_b32 exec_lo, exec_lo, s2
	s_wait_storecnt_dscnt 0x0
	s_barrier_signal -1
	s_barrier_wait -1
	s_clause 0x9
	scratch_load_b128 v[4:7], off, off offset:432
	scratch_load_b128 v[8:11], off, off offset:448
	;; [unrolled: 1-line block ×10, first 2 shown]
	ds_load_b128 v[148:151], v2 offset:1248
	ds_load_b128 v[156:159], v2 offset:1264
	s_clause 0x2
	scratch_load_b128 v[152:155], off, off offset:592
	scratch_load_b128 v[160:163], off, off offset:416
	;; [unrolled: 1-line block ×3, first 2 shown]
	s_mov_b32 s2, exec_lo
	s_wait_loadcnt_dscnt 0xc01
	v_mul_f64_e32 v[168:169], v[150:151], v[6:7]
	v_mul_f64_e32 v[172:173], v[148:149], v[6:7]
	s_wait_loadcnt_dscnt 0xb00
	v_mul_f64_e32 v[174:175], v[156:157], v[10:11]
	v_mul_f64_e32 v[10:11], v[158:159], v[10:11]
	s_delay_alu instid0(VALU_DEP_4) | instskip(NEXT) | instid1(VALU_DEP_4)
	v_fma_f64 v[176:177], v[148:149], v[4:5], -v[168:169]
	v_fmac_f64_e32 v[172:173], v[150:151], v[4:5]
	ds_load_b128 v[4:7], v2 offset:1280
	ds_load_b128 v[148:151], v2 offset:1296
	scratch_load_b128 v[168:171], off, off offset:624
	v_fmac_f64_e32 v[174:175], v[158:159], v[8:9]
	v_fma_f64 v[156:157], v[156:157], v[8:9], -v[10:11]
	scratch_load_b128 v[8:11], off, off offset:640
	s_wait_loadcnt_dscnt 0xc01
	v_mul_f64_e32 v[178:179], v[4:5], v[14:15]
	v_mul_f64_e32 v[14:15], v[6:7], v[14:15]
	v_add_f64_e32 v[158:159], 0, v[176:177]
	v_add_f64_e32 v[172:173], 0, v[172:173]
	s_wait_loadcnt_dscnt 0xb00
	v_mul_f64_e32 v[176:177], v[148:149], v[18:19]
	v_mul_f64_e32 v[18:19], v[150:151], v[18:19]
	v_fmac_f64_e32 v[178:179], v[6:7], v[12:13]
	v_fma_f64 v[180:181], v[4:5], v[12:13], -v[14:15]
	ds_load_b128 v[4:7], v2 offset:1312
	ds_load_b128 v[12:15], v2 offset:1328
	v_add_f64_e32 v[182:183], v[158:159], v[156:157]
	v_add_f64_e32 v[172:173], v[172:173], v[174:175]
	scratch_load_b128 v[156:159], off, off offset:656
	v_fmac_f64_e32 v[176:177], v[150:151], v[16:17]
	v_fma_f64 v[148:149], v[148:149], v[16:17], -v[18:19]
	scratch_load_b128 v[16:19], off, off offset:672
	s_wait_loadcnt_dscnt 0xc01
	v_mul_f64_e32 v[174:175], v[4:5], v[22:23]
	v_mul_f64_e32 v[22:23], v[6:7], v[22:23]
	v_add_f64_e32 v[150:151], v[182:183], v[180:181]
	v_add_f64_e32 v[172:173], v[172:173], v[178:179]
	s_wait_loadcnt_dscnt 0xb00
	v_mul_f64_e32 v[178:179], v[12:13], v[130:131]
	v_mul_f64_e32 v[130:131], v[14:15], v[130:131]
	v_fmac_f64_e32 v[174:175], v[6:7], v[20:21]
	v_fma_f64 v[180:181], v[4:5], v[20:21], -v[22:23]
	ds_load_b128 v[4:7], v2 offset:1344
	ds_load_b128 v[20:23], v2 offset:1360
	v_add_f64_e32 v[182:183], v[150:151], v[148:149]
	v_add_f64_e32 v[172:173], v[172:173], v[176:177]
	scratch_load_b128 v[148:151], off, off offset:688
	s_wait_loadcnt_dscnt 0xb01
	v_mul_f64_e32 v[176:177], v[4:5], v[134:135]
	v_mul_f64_e32 v[134:135], v[6:7], v[134:135]
	v_fmac_f64_e32 v[178:179], v[14:15], v[128:129]
	v_fma_f64 v[128:129], v[12:13], v[128:129], -v[130:131]
	scratch_load_b128 v[12:15], off, off offset:704
	v_add_f64_e32 v[130:131], v[182:183], v[180:181]
	v_add_f64_e32 v[172:173], v[172:173], v[174:175]
	s_wait_loadcnt_dscnt 0xb00
	v_mul_f64_e32 v[174:175], v[20:21], v[138:139]
	v_mul_f64_e32 v[138:139], v[22:23], v[138:139]
	v_fmac_f64_e32 v[176:177], v[6:7], v[132:133]
	v_fma_f64 v[180:181], v[4:5], v[132:133], -v[134:135]
	v_add_f64_e32 v[182:183], v[130:131], v[128:129]
	v_add_f64_e32 v[172:173], v[172:173], v[178:179]
	ds_load_b128 v[4:7], v2 offset:1376
	ds_load_b128 v[128:131], v2 offset:1392
	scratch_load_b128 v[132:135], off, off offset:720
	v_fmac_f64_e32 v[174:175], v[22:23], v[136:137]
	v_fma_f64 v[136:137], v[20:21], v[136:137], -v[138:139]
	scratch_load_b128 v[20:23], off, off offset:736
	s_wait_loadcnt_dscnt 0xc01
	v_mul_f64_e32 v[178:179], v[4:5], v[142:143]
	v_mul_f64_e32 v[142:143], v[6:7], v[142:143]
	v_add_f64_e32 v[138:139], v[182:183], v[180:181]
	v_add_f64_e32 v[172:173], v[172:173], v[176:177]
	s_wait_loadcnt_dscnt 0xb00
	v_mul_f64_e32 v[176:177], v[128:129], v[146:147]
	v_mul_f64_e32 v[146:147], v[130:131], v[146:147]
	v_fmac_f64_e32 v[178:179], v[6:7], v[140:141]
	v_fma_f64 v[180:181], v[4:5], v[140:141], -v[142:143]
	v_add_f64_e32 v[182:183], v[138:139], v[136:137]
	v_add_f64_e32 v[172:173], v[172:173], v[174:175]
	ds_load_b128 v[4:7], v2 offset:1408
	ds_load_b128 v[136:139], v2 offset:1424
	scratch_load_b128 v[140:143], off, off offset:752
	v_fmac_f64_e32 v[176:177], v[130:131], v[144:145]
	v_fma_f64 v[144:145], v[128:129], v[144:145], -v[146:147]
	scratch_load_b128 v[128:131], off, off offset:768
	s_wait_loadcnt_dscnt 0xc01
	v_mul_f64_e32 v[174:175], v[4:5], v[154:155]
	v_mul_f64_e32 v[154:155], v[6:7], v[154:155]
	;; [unrolled: 18-line block ×3, first 2 shown]
	v_add_f64_e32 v[166:167], v[182:183], v[180:181]
	v_add_f64_e32 v[172:173], v[172:173], v[174:175]
	s_wait_loadcnt_dscnt 0xa00
	v_mul_f64_e32 v[174:175], v[144:145], v[10:11]
	v_mul_f64_e32 v[10:11], v[146:147], v[10:11]
	v_fmac_f64_e32 v[176:177], v[6:7], v[168:169]
	v_fma_f64 v[168:169], v[4:5], v[168:169], -v[170:171]
	v_add_f64_e32 v[170:171], v[166:167], v[164:165]
	v_add_f64_e32 v[172:173], v[172:173], v[178:179]
	ds_load_b128 v[4:7], v2 offset:1472
	ds_load_b128 v[164:167], v2 offset:1488
	v_fmac_f64_e32 v[174:175], v[146:147], v[8:9]
	v_fma_f64 v[8:9], v[144:145], v[8:9], -v[10:11]
	s_wait_loadcnt_dscnt 0x901
	v_mul_f64_e32 v[178:179], v[4:5], v[158:159]
	v_mul_f64_e32 v[158:159], v[6:7], v[158:159]
	s_wait_loadcnt_dscnt 0x800
	v_mul_f64_e32 v[146:147], v[164:165], v[18:19]
	v_mul_f64_e32 v[18:19], v[166:167], v[18:19]
	v_add_f64_e32 v[10:11], v[170:171], v[168:169]
	v_add_f64_e32 v[144:145], v[172:173], v[176:177]
	v_fmac_f64_e32 v[178:179], v[6:7], v[156:157]
	v_fma_f64 v[156:157], v[4:5], v[156:157], -v[158:159]
	v_fmac_f64_e32 v[146:147], v[166:167], v[16:17]
	v_fma_f64 v[16:17], v[164:165], v[16:17], -v[18:19]
	v_add_f64_e32 v[158:159], v[10:11], v[8:9]
	v_add_f64_e32 v[144:145], v[144:145], v[174:175]
	ds_load_b128 v[4:7], v2 offset:1504
	ds_load_b128 v[8:11], v2 offset:1520
	s_wait_loadcnt_dscnt 0x701
	v_mul_f64_e32 v[168:169], v[4:5], v[150:151]
	v_mul_f64_e32 v[150:151], v[6:7], v[150:151]
	v_add_f64_e32 v[18:19], v[158:159], v[156:157]
	v_add_f64_e32 v[144:145], v[144:145], v[178:179]
	s_wait_loadcnt_dscnt 0x600
	v_mul_f64_e32 v[156:157], v[8:9], v[14:15]
	v_mul_f64_e32 v[158:159], v[10:11], v[14:15]
	v_fmac_f64_e32 v[168:169], v[6:7], v[148:149]
	v_fma_f64 v[148:149], v[4:5], v[148:149], -v[150:151]
	v_add_f64_e32 v[18:19], v[18:19], v[16:17]
	v_add_f64_e32 v[144:145], v[144:145], v[146:147]
	ds_load_b128 v[4:7], v2 offset:1536
	ds_load_b128 v[14:17], v2 offset:1552
	v_fmac_f64_e32 v[156:157], v[10:11], v[12:13]
	v_fma_f64 v[8:9], v[8:9], v[12:13], -v[158:159]
	s_wait_loadcnt_dscnt 0x501
	v_mul_f64_e32 v[146:147], v[4:5], v[134:135]
	v_mul_f64_e32 v[134:135], v[6:7], v[134:135]
	v_add_f64_e32 v[10:11], v[18:19], v[148:149]
	v_add_f64_e32 v[12:13], v[144:145], v[168:169]
	s_wait_loadcnt_dscnt 0x400
	v_mul_f64_e32 v[18:19], v[14:15], v[22:23]
	v_mul_f64_e32 v[22:23], v[16:17], v[22:23]
	v_fmac_f64_e32 v[146:147], v[6:7], v[132:133]
	v_fma_f64 v[132:133], v[4:5], v[132:133], -v[134:135]
	v_add_f64_e32 v[134:135], v[10:11], v[8:9]
	v_add_f64_e32 v[12:13], v[12:13], v[156:157]
	ds_load_b128 v[4:7], v2 offset:1568
	ds_load_b128 v[8:11], v2 offset:1584
	v_fmac_f64_e32 v[18:19], v[16:17], v[20:21]
	v_fma_f64 v[14:15], v[14:15], v[20:21], -v[22:23]
	s_wait_loadcnt_dscnt 0x301
	v_mul_f64_e32 v[144:145], v[4:5], v[142:143]
	v_mul_f64_e32 v[142:143], v[6:7], v[142:143]
	s_wait_loadcnt_dscnt 0x200
	v_mul_f64_e32 v[20:21], v[8:9], v[130:131]
	v_mul_f64_e32 v[22:23], v[10:11], v[130:131]
	v_add_f64_e32 v[16:17], v[134:135], v[132:133]
	v_add_f64_e32 v[12:13], v[12:13], v[146:147]
	v_fmac_f64_e32 v[144:145], v[6:7], v[140:141]
	v_fma_f64 v[130:131], v[4:5], v[140:141], -v[142:143]
	v_fmac_f64_e32 v[20:21], v[10:11], v[128:129]
	v_fma_f64 v[8:9], v[8:9], v[128:129], -v[22:23]
	v_add_f64_e32 v[16:17], v[16:17], v[14:15]
	v_add_f64_e32 v[18:19], v[12:13], v[18:19]
	ds_load_b128 v[4:7], v2 offset:1600
	ds_load_b128 v[12:15], v2 offset:1616
	s_wait_loadcnt_dscnt 0x101
	v_mul_f64_e32 v[2:3], v[4:5], v[154:155]
	v_mul_f64_e32 v[132:133], v[6:7], v[154:155]
	s_wait_loadcnt_dscnt 0x0
	v_mul_f64_e32 v[22:23], v[14:15], v[138:139]
	v_add_f64_e32 v[10:11], v[16:17], v[130:131]
	v_add_f64_e32 v[16:17], v[18:19], v[144:145]
	v_mul_f64_e32 v[18:19], v[12:13], v[138:139]
	v_fmac_f64_e32 v[2:3], v[6:7], v[152:153]
	v_fma_f64 v[4:5], v[4:5], v[152:153], -v[132:133]
	v_add_f64_e32 v[6:7], v[10:11], v[8:9]
	v_add_f64_e32 v[8:9], v[16:17], v[20:21]
	v_fmac_f64_e32 v[18:19], v[14:15], v[136:137]
	v_fma_f64 v[10:11], v[12:13], v[136:137], -v[22:23]
	s_delay_alu instid0(VALU_DEP_4) | instskip(NEXT) | instid1(VALU_DEP_4)
	v_add_f64_e32 v[4:5], v[6:7], v[4:5]
	v_add_f64_e32 v[2:3], v[8:9], v[2:3]
	s_delay_alu instid0(VALU_DEP_2) | instskip(NEXT) | instid1(VALU_DEP_2)
	v_add_f64_e32 v[4:5], v[4:5], v[10:11]
	v_add_f64_e32 v[6:7], v[2:3], v[18:19]
	s_delay_alu instid0(VALU_DEP_2) | instskip(NEXT) | instid1(VALU_DEP_2)
	v_add_f64_e64 v[2:3], v[160:161], -v[4:5]
	v_add_f64_e64 v[4:5], v[162:163], -v[6:7]
	scratch_store_b128 off, v[2:5], off offset:416
	s_wait_xcnt 0x0
	v_cmpx_lt_u32_e32 25, v1
	s_cbranch_execz .LBB114_269
; %bb.268:
	scratch_load_b128 v[2:5], off, s42
	v_mov_b32_e32 v6, 0
	s_delay_alu instid0(VALU_DEP_1)
	v_dual_mov_b32 v7, v6 :: v_dual_mov_b32 v8, v6
	v_mov_b32_e32 v9, v6
	scratch_store_b128 off, v[6:9], off offset:400
	s_wait_loadcnt 0x0
	ds_store_b128 v126, v[2:5]
.LBB114_269:
	s_wait_xcnt 0x0
	s_or_b32 exec_lo, exec_lo, s2
	s_wait_storecnt_dscnt 0x0
	s_barrier_signal -1
	s_barrier_wait -1
	s_clause 0x9
	scratch_load_b128 v[4:7], off, off offset:416
	scratch_load_b128 v[8:11], off, off offset:432
	;; [unrolled: 1-line block ×10, first 2 shown]
	v_mov_b32_e32 v2, 0
	s_mov_b32 s2, exec_lo
	ds_load_b128 v[148:151], v2 offset:1232
	s_clause 0x2
	scratch_load_b128 v[152:155], off, off offset:576
	scratch_load_b128 v[156:159], off, off offset:400
	;; [unrolled: 1-line block ×3, first 2 shown]
	s_wait_loadcnt_dscnt 0xc00
	v_mul_f64_e32 v[168:169], v[150:151], v[6:7]
	v_mul_f64_e32 v[172:173], v[148:149], v[6:7]
	ds_load_b128 v[160:163], v2 offset:1248
	v_fma_f64 v[176:177], v[148:149], v[4:5], -v[168:169]
	v_fmac_f64_e32 v[172:173], v[150:151], v[4:5]
	ds_load_b128 v[4:7], v2 offset:1264
	s_wait_loadcnt_dscnt 0xb01
	v_mul_f64_e32 v[174:175], v[160:161], v[10:11]
	v_mul_f64_e32 v[10:11], v[162:163], v[10:11]
	scratch_load_b128 v[148:151], off, off offset:608
	ds_load_b128 v[168:171], v2 offset:1280
	s_wait_loadcnt_dscnt 0xb01
	v_mul_f64_e32 v[178:179], v[4:5], v[14:15]
	v_mul_f64_e32 v[14:15], v[6:7], v[14:15]
	v_add_f64_e32 v[172:173], 0, v[172:173]
	v_fmac_f64_e32 v[174:175], v[162:163], v[8:9]
	v_fma_f64 v[160:161], v[160:161], v[8:9], -v[10:11]
	v_add_f64_e32 v[162:163], 0, v[176:177]
	scratch_load_b128 v[8:11], off, off offset:624
	v_fmac_f64_e32 v[178:179], v[6:7], v[12:13]
	v_fma_f64 v[180:181], v[4:5], v[12:13], -v[14:15]
	ds_load_b128 v[4:7], v2 offset:1296
	s_wait_loadcnt_dscnt 0xb01
	v_mul_f64_e32 v[176:177], v[168:169], v[18:19]
	v_mul_f64_e32 v[18:19], v[170:171], v[18:19]
	scratch_load_b128 v[12:15], off, off offset:640
	v_add_f64_e32 v[172:173], v[172:173], v[174:175]
	v_add_f64_e32 v[182:183], v[162:163], v[160:161]
	ds_load_b128 v[160:163], v2 offset:1312
	s_wait_loadcnt_dscnt 0xb01
	v_mul_f64_e32 v[174:175], v[4:5], v[22:23]
	v_mul_f64_e32 v[22:23], v[6:7], v[22:23]
	v_fmac_f64_e32 v[176:177], v[170:171], v[16:17]
	v_fma_f64 v[168:169], v[168:169], v[16:17], -v[18:19]
	scratch_load_b128 v[16:19], off, off offset:656
	v_add_f64_e32 v[172:173], v[172:173], v[178:179]
	v_add_f64_e32 v[170:171], v[182:183], v[180:181]
	v_fmac_f64_e32 v[174:175], v[6:7], v[20:21]
	v_fma_f64 v[180:181], v[4:5], v[20:21], -v[22:23]
	ds_load_b128 v[4:7], v2 offset:1328
	s_wait_loadcnt_dscnt 0xb01
	v_mul_f64_e32 v[178:179], v[160:161], v[130:131]
	v_mul_f64_e32 v[130:131], v[162:163], v[130:131]
	scratch_load_b128 v[20:23], off, off offset:672
	v_add_f64_e32 v[172:173], v[172:173], v[176:177]
	s_wait_loadcnt_dscnt 0xb00
	v_mul_f64_e32 v[176:177], v[4:5], v[134:135]
	v_add_f64_e32 v[182:183], v[170:171], v[168:169]
	v_mul_f64_e32 v[134:135], v[6:7], v[134:135]
	ds_load_b128 v[168:171], v2 offset:1344
	v_fmac_f64_e32 v[178:179], v[162:163], v[128:129]
	v_fma_f64 v[160:161], v[160:161], v[128:129], -v[130:131]
	scratch_load_b128 v[128:131], off, off offset:688
	v_add_f64_e32 v[172:173], v[172:173], v[174:175]
	v_fmac_f64_e32 v[176:177], v[6:7], v[132:133]
	v_add_f64_e32 v[162:163], v[182:183], v[180:181]
	v_fma_f64 v[180:181], v[4:5], v[132:133], -v[134:135]
	ds_load_b128 v[4:7], v2 offset:1360
	s_wait_loadcnt_dscnt 0xb01
	v_mul_f64_e32 v[174:175], v[168:169], v[138:139]
	v_mul_f64_e32 v[138:139], v[170:171], v[138:139]
	scratch_load_b128 v[132:135], off, off offset:704
	v_add_f64_e32 v[172:173], v[172:173], v[178:179]
	s_wait_loadcnt_dscnt 0xb00
	v_mul_f64_e32 v[178:179], v[4:5], v[142:143]
	v_add_f64_e32 v[182:183], v[162:163], v[160:161]
	v_mul_f64_e32 v[142:143], v[6:7], v[142:143]
	ds_load_b128 v[160:163], v2 offset:1376
	v_fmac_f64_e32 v[174:175], v[170:171], v[136:137]
	v_fma_f64 v[168:169], v[168:169], v[136:137], -v[138:139]
	scratch_load_b128 v[136:139], off, off offset:720
	v_add_f64_e32 v[172:173], v[172:173], v[176:177]
	v_fmac_f64_e32 v[178:179], v[6:7], v[140:141]
	v_add_f64_e32 v[170:171], v[182:183], v[180:181]
	;; [unrolled: 18-line block ×3, first 2 shown]
	v_fma_f64 v[180:181], v[4:5], v[152:153], -v[154:155]
	ds_load_b128 v[4:7], v2 offset:1424
	s_wait_loadcnt_dscnt 0xa01
	v_mul_f64_e32 v[178:179], v[168:169], v[166:167]
	v_mul_f64_e32 v[166:167], v[170:171], v[166:167]
	scratch_load_b128 v[152:155], off, off offset:768
	v_add_f64_e32 v[172:173], v[172:173], v[176:177]
	v_add_f64_e32 v[182:183], v[162:163], v[160:161]
	s_wait_loadcnt_dscnt 0xa00
	v_mul_f64_e32 v[176:177], v[4:5], v[150:151]
	v_mul_f64_e32 v[150:151], v[6:7], v[150:151]
	v_fmac_f64_e32 v[178:179], v[170:171], v[164:165]
	v_fma_f64 v[168:169], v[168:169], v[164:165], -v[166:167]
	ds_load_b128 v[160:163], v2 offset:1440
	scratch_load_b128 v[164:167], off, off offset:784
	v_add_f64_e32 v[172:173], v[172:173], v[174:175]
	v_add_f64_e32 v[170:171], v[182:183], v[180:181]
	v_fmac_f64_e32 v[176:177], v[6:7], v[148:149]
	v_fma_f64 v[180:181], v[4:5], v[148:149], -v[150:151]
	ds_load_b128 v[4:7], v2 offset:1456
	s_wait_loadcnt_dscnt 0xa01
	v_mul_f64_e32 v[174:175], v[160:161], v[10:11]
	v_mul_f64_e32 v[10:11], v[162:163], v[10:11]
	scratch_load_b128 v[148:151], off, off offset:800
	v_add_f64_e32 v[172:173], v[172:173], v[178:179]
	s_wait_loadcnt_dscnt 0xa00
	v_mul_f64_e32 v[178:179], v[4:5], v[14:15]
	v_add_f64_e32 v[182:183], v[170:171], v[168:169]
	v_mul_f64_e32 v[14:15], v[6:7], v[14:15]
	ds_load_b128 v[168:171], v2 offset:1472
	v_fmac_f64_e32 v[174:175], v[162:163], v[8:9]
	v_fma_f64 v[8:9], v[160:161], v[8:9], -v[10:11]
	s_wait_loadcnt_dscnt 0x900
	v_mul_f64_e32 v[162:163], v[168:169], v[18:19]
	v_mul_f64_e32 v[18:19], v[170:171], v[18:19]
	v_add_f64_e32 v[160:161], v[172:173], v[176:177]
	v_fmac_f64_e32 v[178:179], v[6:7], v[12:13]
	v_add_f64_e32 v[10:11], v[182:183], v[180:181]
	v_fma_f64 v[12:13], v[4:5], v[12:13], -v[14:15]
	v_fmac_f64_e32 v[162:163], v[170:171], v[16:17]
	v_fma_f64 v[16:17], v[168:169], v[16:17], -v[18:19]
	v_add_f64_e32 v[160:161], v[160:161], v[174:175]
	v_add_f64_e32 v[14:15], v[10:11], v[8:9]
	ds_load_b128 v[4:7], v2 offset:1488
	ds_load_b128 v[8:11], v2 offset:1504
	s_wait_loadcnt_dscnt 0x801
	v_mul_f64_e32 v[172:173], v[4:5], v[22:23]
	v_mul_f64_e32 v[22:23], v[6:7], v[22:23]
	s_wait_loadcnt_dscnt 0x700
	v_mul_f64_e32 v[18:19], v[8:9], v[130:131]
	v_mul_f64_e32 v[130:131], v[10:11], v[130:131]
	v_add_f64_e32 v[12:13], v[14:15], v[12:13]
	v_add_f64_e32 v[14:15], v[160:161], v[178:179]
	v_fmac_f64_e32 v[172:173], v[6:7], v[20:21]
	v_fma_f64 v[20:21], v[4:5], v[20:21], -v[22:23]
	v_fmac_f64_e32 v[18:19], v[10:11], v[128:129]
	v_fma_f64 v[8:9], v[8:9], v[128:129], -v[130:131]
	v_add_f64_e32 v[16:17], v[12:13], v[16:17]
	v_add_f64_e32 v[22:23], v[14:15], v[162:163]
	ds_load_b128 v[4:7], v2 offset:1520
	ds_load_b128 v[12:15], v2 offset:1536
	s_wait_loadcnt_dscnt 0x601
	v_mul_f64_e32 v[160:161], v[4:5], v[134:135]
	v_mul_f64_e32 v[134:135], v[6:7], v[134:135]
	v_add_f64_e32 v[10:11], v[16:17], v[20:21]
	v_add_f64_e32 v[16:17], v[22:23], v[172:173]
	s_wait_loadcnt_dscnt 0x500
	v_mul_f64_e32 v[20:21], v[12:13], v[138:139]
	v_mul_f64_e32 v[22:23], v[14:15], v[138:139]
	v_fmac_f64_e32 v[160:161], v[6:7], v[132:133]
	v_fma_f64 v[128:129], v[4:5], v[132:133], -v[134:135]
	v_add_f64_e32 v[130:131], v[10:11], v[8:9]
	v_add_f64_e32 v[16:17], v[16:17], v[18:19]
	ds_load_b128 v[4:7], v2 offset:1552
	ds_load_b128 v[8:11], v2 offset:1568
	v_fmac_f64_e32 v[20:21], v[14:15], v[136:137]
	v_fma_f64 v[12:13], v[12:13], v[136:137], -v[22:23]
	s_wait_loadcnt_dscnt 0x401
	v_mul_f64_e32 v[18:19], v[4:5], v[142:143]
	v_mul_f64_e32 v[132:133], v[6:7], v[142:143]
	s_wait_loadcnt_dscnt 0x300
	v_mul_f64_e32 v[22:23], v[8:9], v[146:147]
	v_add_f64_e32 v[14:15], v[130:131], v[128:129]
	v_add_f64_e32 v[16:17], v[16:17], v[160:161]
	v_mul_f64_e32 v[128:129], v[10:11], v[146:147]
	v_fmac_f64_e32 v[18:19], v[6:7], v[140:141]
	v_fma_f64 v[130:131], v[4:5], v[140:141], -v[132:133]
	v_fmac_f64_e32 v[22:23], v[10:11], v[144:145]
	v_add_f64_e32 v[132:133], v[14:15], v[12:13]
	v_add_f64_e32 v[16:17], v[16:17], v[20:21]
	ds_load_b128 v[4:7], v2 offset:1584
	ds_load_b128 v[12:15], v2 offset:1600
	v_fma_f64 v[8:9], v[8:9], v[144:145], -v[128:129]
	s_wait_loadcnt_dscnt 0x201
	v_mul_f64_e32 v[20:21], v[4:5], v[154:155]
	v_mul_f64_e32 v[134:135], v[6:7], v[154:155]
	s_wait_loadcnt_dscnt 0x100
	v_mul_f64_e32 v[128:129], v[14:15], v[166:167]
	v_add_f64_e32 v[10:11], v[132:133], v[130:131]
	v_add_f64_e32 v[16:17], v[16:17], v[18:19]
	v_mul_f64_e32 v[18:19], v[12:13], v[166:167]
	v_fmac_f64_e32 v[20:21], v[6:7], v[152:153]
	v_fma_f64 v[130:131], v[4:5], v[152:153], -v[134:135]
	ds_load_b128 v[4:7], v2 offset:1616
	v_fma_f64 v[12:13], v[12:13], v[164:165], -v[128:129]
	v_add_f64_e32 v[8:9], v[10:11], v[8:9]
	v_add_f64_e32 v[10:11], v[16:17], v[22:23]
	v_fmac_f64_e32 v[18:19], v[14:15], v[164:165]
	s_wait_loadcnt_dscnt 0x0
	v_mul_f64_e32 v[16:17], v[4:5], v[150:151]
	v_mul_f64_e32 v[22:23], v[6:7], v[150:151]
	v_add_f64_e32 v[8:9], v[8:9], v[130:131]
	v_add_f64_e32 v[10:11], v[10:11], v[20:21]
	s_delay_alu instid0(VALU_DEP_4) | instskip(NEXT) | instid1(VALU_DEP_4)
	v_fmac_f64_e32 v[16:17], v[6:7], v[148:149]
	v_fma_f64 v[4:5], v[4:5], v[148:149], -v[22:23]
	s_delay_alu instid0(VALU_DEP_4) | instskip(NEXT) | instid1(VALU_DEP_4)
	v_add_f64_e32 v[6:7], v[8:9], v[12:13]
	v_add_f64_e32 v[8:9], v[10:11], v[18:19]
	s_delay_alu instid0(VALU_DEP_2) | instskip(NEXT) | instid1(VALU_DEP_2)
	v_add_f64_e32 v[4:5], v[6:7], v[4:5]
	v_add_f64_e32 v[6:7], v[8:9], v[16:17]
	s_delay_alu instid0(VALU_DEP_2) | instskip(NEXT) | instid1(VALU_DEP_2)
	v_add_f64_e64 v[4:5], v[156:157], -v[4:5]
	v_add_f64_e64 v[6:7], v[158:159], -v[6:7]
	scratch_store_b128 off, v[4:7], off offset:400
	s_wait_xcnt 0x0
	v_cmpx_lt_u32_e32 24, v1
	s_cbranch_execz .LBB114_271
; %bb.270:
	scratch_load_b128 v[6:9], off, s43
	v_dual_mov_b32 v3, v2 :: v_dual_mov_b32 v4, v2
	v_mov_b32_e32 v5, v2
	scratch_store_b128 off, v[2:5], off offset:384
	s_wait_loadcnt 0x0
	ds_store_b128 v126, v[6:9]
.LBB114_271:
	s_wait_xcnt 0x0
	s_or_b32 exec_lo, exec_lo, s2
	s_wait_storecnt_dscnt 0x0
	s_barrier_signal -1
	s_barrier_wait -1
	s_clause 0x9
	scratch_load_b128 v[4:7], off, off offset:400
	scratch_load_b128 v[8:11], off, off offset:416
	;; [unrolled: 1-line block ×10, first 2 shown]
	ds_load_b128 v[148:151], v2 offset:1216
	ds_load_b128 v[156:159], v2 offset:1232
	s_clause 0x2
	scratch_load_b128 v[152:155], off, off offset:560
	scratch_load_b128 v[160:163], off, off offset:384
	;; [unrolled: 1-line block ×3, first 2 shown]
	s_mov_b32 s2, exec_lo
	s_wait_loadcnt_dscnt 0xc01
	v_mul_f64_e32 v[168:169], v[150:151], v[6:7]
	v_mul_f64_e32 v[172:173], v[148:149], v[6:7]
	s_wait_loadcnt_dscnt 0xb00
	v_mul_f64_e32 v[174:175], v[156:157], v[10:11]
	v_mul_f64_e32 v[10:11], v[158:159], v[10:11]
	s_delay_alu instid0(VALU_DEP_4) | instskip(NEXT) | instid1(VALU_DEP_4)
	v_fma_f64 v[176:177], v[148:149], v[4:5], -v[168:169]
	v_fmac_f64_e32 v[172:173], v[150:151], v[4:5]
	ds_load_b128 v[4:7], v2 offset:1248
	ds_load_b128 v[148:151], v2 offset:1264
	scratch_load_b128 v[168:171], off, off offset:592
	v_fmac_f64_e32 v[174:175], v[158:159], v[8:9]
	v_fma_f64 v[156:157], v[156:157], v[8:9], -v[10:11]
	scratch_load_b128 v[8:11], off, off offset:608
	s_wait_loadcnt_dscnt 0xc01
	v_mul_f64_e32 v[178:179], v[4:5], v[14:15]
	v_mul_f64_e32 v[14:15], v[6:7], v[14:15]
	v_add_f64_e32 v[158:159], 0, v[176:177]
	v_add_f64_e32 v[172:173], 0, v[172:173]
	s_wait_loadcnt_dscnt 0xb00
	v_mul_f64_e32 v[176:177], v[148:149], v[18:19]
	v_mul_f64_e32 v[18:19], v[150:151], v[18:19]
	v_fmac_f64_e32 v[178:179], v[6:7], v[12:13]
	v_fma_f64 v[180:181], v[4:5], v[12:13], -v[14:15]
	ds_load_b128 v[4:7], v2 offset:1280
	ds_load_b128 v[12:15], v2 offset:1296
	v_add_f64_e32 v[182:183], v[158:159], v[156:157]
	v_add_f64_e32 v[172:173], v[172:173], v[174:175]
	scratch_load_b128 v[156:159], off, off offset:624
	v_fmac_f64_e32 v[176:177], v[150:151], v[16:17]
	v_fma_f64 v[148:149], v[148:149], v[16:17], -v[18:19]
	scratch_load_b128 v[16:19], off, off offset:640
	s_wait_loadcnt_dscnt 0xc01
	v_mul_f64_e32 v[174:175], v[4:5], v[22:23]
	v_mul_f64_e32 v[22:23], v[6:7], v[22:23]
	v_add_f64_e32 v[150:151], v[182:183], v[180:181]
	v_add_f64_e32 v[172:173], v[172:173], v[178:179]
	s_wait_loadcnt_dscnt 0xb00
	v_mul_f64_e32 v[178:179], v[12:13], v[130:131]
	v_mul_f64_e32 v[130:131], v[14:15], v[130:131]
	v_fmac_f64_e32 v[174:175], v[6:7], v[20:21]
	v_fma_f64 v[180:181], v[4:5], v[20:21], -v[22:23]
	ds_load_b128 v[4:7], v2 offset:1312
	ds_load_b128 v[20:23], v2 offset:1328
	v_add_f64_e32 v[182:183], v[150:151], v[148:149]
	v_add_f64_e32 v[172:173], v[172:173], v[176:177]
	scratch_load_b128 v[148:151], off, off offset:656
	s_wait_loadcnt_dscnt 0xb01
	v_mul_f64_e32 v[176:177], v[4:5], v[134:135]
	v_mul_f64_e32 v[134:135], v[6:7], v[134:135]
	v_fmac_f64_e32 v[178:179], v[14:15], v[128:129]
	v_fma_f64 v[128:129], v[12:13], v[128:129], -v[130:131]
	scratch_load_b128 v[12:15], off, off offset:672
	v_add_f64_e32 v[130:131], v[182:183], v[180:181]
	v_add_f64_e32 v[172:173], v[172:173], v[174:175]
	s_wait_loadcnt_dscnt 0xb00
	v_mul_f64_e32 v[174:175], v[20:21], v[138:139]
	v_mul_f64_e32 v[138:139], v[22:23], v[138:139]
	v_fmac_f64_e32 v[176:177], v[6:7], v[132:133]
	v_fma_f64 v[180:181], v[4:5], v[132:133], -v[134:135]
	v_add_f64_e32 v[182:183], v[130:131], v[128:129]
	v_add_f64_e32 v[172:173], v[172:173], v[178:179]
	ds_load_b128 v[4:7], v2 offset:1344
	ds_load_b128 v[128:131], v2 offset:1360
	scratch_load_b128 v[132:135], off, off offset:688
	v_fmac_f64_e32 v[174:175], v[22:23], v[136:137]
	v_fma_f64 v[136:137], v[20:21], v[136:137], -v[138:139]
	scratch_load_b128 v[20:23], off, off offset:704
	s_wait_loadcnt_dscnt 0xc01
	v_mul_f64_e32 v[178:179], v[4:5], v[142:143]
	v_mul_f64_e32 v[142:143], v[6:7], v[142:143]
	v_add_f64_e32 v[138:139], v[182:183], v[180:181]
	v_add_f64_e32 v[172:173], v[172:173], v[176:177]
	s_wait_loadcnt_dscnt 0xb00
	v_mul_f64_e32 v[176:177], v[128:129], v[146:147]
	v_mul_f64_e32 v[146:147], v[130:131], v[146:147]
	v_fmac_f64_e32 v[178:179], v[6:7], v[140:141]
	v_fma_f64 v[180:181], v[4:5], v[140:141], -v[142:143]
	v_add_f64_e32 v[182:183], v[138:139], v[136:137]
	v_add_f64_e32 v[172:173], v[172:173], v[174:175]
	ds_load_b128 v[4:7], v2 offset:1376
	ds_load_b128 v[136:139], v2 offset:1392
	scratch_load_b128 v[140:143], off, off offset:720
	v_fmac_f64_e32 v[176:177], v[130:131], v[144:145]
	v_fma_f64 v[144:145], v[128:129], v[144:145], -v[146:147]
	scratch_load_b128 v[128:131], off, off offset:736
	s_wait_loadcnt_dscnt 0xc01
	v_mul_f64_e32 v[174:175], v[4:5], v[154:155]
	v_mul_f64_e32 v[154:155], v[6:7], v[154:155]
	;; [unrolled: 18-line block ×4, first 2 shown]
	v_add_f64_e32 v[146:147], v[182:183], v[180:181]
	v_add_f64_e32 v[172:173], v[172:173], v[176:177]
	s_wait_loadcnt_dscnt 0xa00
	v_mul_f64_e32 v[176:177], v[164:165], v[18:19]
	v_mul_f64_e32 v[18:19], v[166:167], v[18:19]
	v_fmac_f64_e32 v[178:179], v[6:7], v[156:157]
	v_fma_f64 v[156:157], v[4:5], v[156:157], -v[158:159]
	v_add_f64_e32 v[158:159], v[146:147], v[144:145]
	v_add_f64_e32 v[172:173], v[172:173], v[174:175]
	ds_load_b128 v[4:7], v2 offset:1472
	ds_load_b128 v[144:147], v2 offset:1488
	v_fmac_f64_e32 v[176:177], v[166:167], v[16:17]
	v_fma_f64 v[16:17], v[164:165], v[16:17], -v[18:19]
	s_wait_loadcnt_dscnt 0x901
	v_mul_f64_e32 v[174:175], v[4:5], v[150:151]
	v_mul_f64_e32 v[150:151], v[6:7], v[150:151]
	s_wait_loadcnt_dscnt 0x800
	v_mul_f64_e32 v[164:165], v[146:147], v[14:15]
	v_add_f64_e32 v[18:19], v[158:159], v[156:157]
	v_add_f64_e32 v[156:157], v[172:173], v[178:179]
	v_mul_f64_e32 v[158:159], v[144:145], v[14:15]
	v_fmac_f64_e32 v[174:175], v[6:7], v[148:149]
	v_fma_f64 v[148:149], v[4:5], v[148:149], -v[150:151]
	v_add_f64_e32 v[18:19], v[18:19], v[16:17]
	v_add_f64_e32 v[150:151], v[156:157], v[176:177]
	ds_load_b128 v[4:7], v2 offset:1504
	ds_load_b128 v[14:17], v2 offset:1520
	v_fmac_f64_e32 v[158:159], v[146:147], v[12:13]
	v_fma_f64 v[12:13], v[144:145], v[12:13], -v[164:165]
	s_wait_loadcnt_dscnt 0x701
	v_mul_f64_e32 v[156:157], v[4:5], v[134:135]
	v_mul_f64_e32 v[134:135], v[6:7], v[134:135]
	s_wait_loadcnt_dscnt 0x600
	v_mul_f64_e32 v[146:147], v[14:15], v[22:23]
	v_mul_f64_e32 v[22:23], v[16:17], v[22:23]
	v_add_f64_e32 v[18:19], v[18:19], v[148:149]
	v_add_f64_e32 v[144:145], v[150:151], v[174:175]
	v_fmac_f64_e32 v[156:157], v[6:7], v[132:133]
	v_fma_f64 v[148:149], v[4:5], v[132:133], -v[134:135]
	ds_load_b128 v[4:7], v2 offset:1536
	ds_load_b128 v[132:135], v2 offset:1552
	v_fmac_f64_e32 v[146:147], v[16:17], v[20:21]
	v_fma_f64 v[14:15], v[14:15], v[20:21], -v[22:23]
	v_add_f64_e32 v[12:13], v[18:19], v[12:13]
	v_add_f64_e32 v[18:19], v[144:145], v[158:159]
	s_wait_loadcnt_dscnt 0x501
	v_mul_f64_e32 v[144:145], v[4:5], v[142:143]
	v_mul_f64_e32 v[142:143], v[6:7], v[142:143]
	s_wait_loadcnt_dscnt 0x400
	v_mul_f64_e32 v[20:21], v[134:135], v[130:131]
	v_add_f64_e32 v[12:13], v[12:13], v[148:149]
	v_add_f64_e32 v[16:17], v[18:19], v[156:157]
	v_mul_f64_e32 v[18:19], v[132:133], v[130:131]
	v_fmac_f64_e32 v[144:145], v[6:7], v[140:141]
	v_fma_f64 v[22:23], v[4:5], v[140:141], -v[142:143]
	v_fma_f64 v[20:21], v[132:133], v[128:129], -v[20:21]
	v_add_f64_e32 v[130:131], v[12:13], v[14:15]
	v_add_f64_e32 v[16:17], v[16:17], v[146:147]
	ds_load_b128 v[4:7], v2 offset:1568
	ds_load_b128 v[12:15], v2 offset:1584
	v_fmac_f64_e32 v[18:19], v[134:135], v[128:129]
	s_wait_loadcnt_dscnt 0x301
	v_mul_f64_e32 v[140:141], v[4:5], v[154:155]
	v_mul_f64_e32 v[142:143], v[6:7], v[154:155]
	s_wait_loadcnt_dscnt 0x200
	v_mul_f64_e32 v[128:129], v[12:13], v[138:139]
	v_add_f64_e32 v[22:23], v[130:131], v[22:23]
	v_add_f64_e32 v[16:17], v[16:17], v[144:145]
	v_mul_f64_e32 v[130:131], v[14:15], v[138:139]
	v_fmac_f64_e32 v[140:141], v[6:7], v[152:153]
	v_fma_f64 v[132:133], v[4:5], v[152:153], -v[142:143]
	v_fmac_f64_e32 v[128:129], v[14:15], v[136:137]
	v_add_f64_e32 v[20:21], v[22:23], v[20:21]
	v_add_f64_e32 v[22:23], v[16:17], v[18:19]
	ds_load_b128 v[4:7], v2 offset:1600
	ds_load_b128 v[16:19], v2 offset:1616
	v_fma_f64 v[12:13], v[12:13], v[136:137], -v[130:131]
	s_wait_loadcnt_dscnt 0x101
	v_mul_f64_e32 v[2:3], v[4:5], v[170:171]
	v_mul_f64_e32 v[134:135], v[6:7], v[170:171]
	v_add_f64_e32 v[14:15], v[20:21], v[132:133]
	v_add_f64_e32 v[20:21], v[22:23], v[140:141]
	s_wait_loadcnt_dscnt 0x0
	v_mul_f64_e32 v[22:23], v[16:17], v[10:11]
	v_mul_f64_e32 v[10:11], v[18:19], v[10:11]
	v_fmac_f64_e32 v[2:3], v[6:7], v[168:169]
	v_fma_f64 v[4:5], v[4:5], v[168:169], -v[134:135]
	v_add_f64_e32 v[6:7], v[14:15], v[12:13]
	v_add_f64_e32 v[12:13], v[20:21], v[128:129]
	v_fmac_f64_e32 v[22:23], v[18:19], v[8:9]
	v_fma_f64 v[8:9], v[16:17], v[8:9], -v[10:11]
	s_delay_alu instid0(VALU_DEP_4) | instskip(NEXT) | instid1(VALU_DEP_4)
	v_add_f64_e32 v[4:5], v[6:7], v[4:5]
	v_add_f64_e32 v[2:3], v[12:13], v[2:3]
	s_delay_alu instid0(VALU_DEP_2) | instskip(NEXT) | instid1(VALU_DEP_2)
	v_add_f64_e32 v[4:5], v[4:5], v[8:9]
	v_add_f64_e32 v[6:7], v[2:3], v[22:23]
	s_delay_alu instid0(VALU_DEP_2) | instskip(NEXT) | instid1(VALU_DEP_2)
	v_add_f64_e64 v[2:3], v[160:161], -v[4:5]
	v_add_f64_e64 v[4:5], v[162:163], -v[6:7]
	scratch_store_b128 off, v[2:5], off offset:384
	s_wait_xcnt 0x0
	v_cmpx_lt_u32_e32 23, v1
	s_cbranch_execz .LBB114_273
; %bb.272:
	scratch_load_b128 v[2:5], off, s44
	v_mov_b32_e32 v6, 0
	s_delay_alu instid0(VALU_DEP_1)
	v_dual_mov_b32 v7, v6 :: v_dual_mov_b32 v8, v6
	v_mov_b32_e32 v9, v6
	scratch_store_b128 off, v[6:9], off offset:368
	s_wait_loadcnt 0x0
	ds_store_b128 v126, v[2:5]
.LBB114_273:
	s_wait_xcnt 0x0
	s_or_b32 exec_lo, exec_lo, s2
	s_wait_storecnt_dscnt 0x0
	s_barrier_signal -1
	s_barrier_wait -1
	s_clause 0x9
	scratch_load_b128 v[4:7], off, off offset:384
	scratch_load_b128 v[8:11], off, off offset:400
	;; [unrolled: 1-line block ×10, first 2 shown]
	v_mov_b32_e32 v2, 0
	s_mov_b32 s2, exec_lo
	ds_load_b128 v[148:151], v2 offset:1200
	s_clause 0x2
	scratch_load_b128 v[152:155], off, off offset:544
	scratch_load_b128 v[156:159], off, off offset:368
	;; [unrolled: 1-line block ×3, first 2 shown]
	s_wait_loadcnt_dscnt 0xc00
	v_mul_f64_e32 v[168:169], v[150:151], v[6:7]
	v_mul_f64_e32 v[172:173], v[148:149], v[6:7]
	ds_load_b128 v[160:163], v2 offset:1216
	v_fma_f64 v[176:177], v[148:149], v[4:5], -v[168:169]
	v_fmac_f64_e32 v[172:173], v[150:151], v[4:5]
	ds_load_b128 v[4:7], v2 offset:1232
	s_wait_loadcnt_dscnt 0xb01
	v_mul_f64_e32 v[174:175], v[160:161], v[10:11]
	v_mul_f64_e32 v[10:11], v[162:163], v[10:11]
	scratch_load_b128 v[148:151], off, off offset:576
	ds_load_b128 v[168:171], v2 offset:1248
	s_wait_loadcnt_dscnt 0xb01
	v_mul_f64_e32 v[178:179], v[4:5], v[14:15]
	v_mul_f64_e32 v[14:15], v[6:7], v[14:15]
	v_add_f64_e32 v[172:173], 0, v[172:173]
	v_fmac_f64_e32 v[174:175], v[162:163], v[8:9]
	v_fma_f64 v[160:161], v[160:161], v[8:9], -v[10:11]
	v_add_f64_e32 v[162:163], 0, v[176:177]
	scratch_load_b128 v[8:11], off, off offset:592
	v_fmac_f64_e32 v[178:179], v[6:7], v[12:13]
	v_fma_f64 v[180:181], v[4:5], v[12:13], -v[14:15]
	ds_load_b128 v[4:7], v2 offset:1264
	s_wait_loadcnt_dscnt 0xb01
	v_mul_f64_e32 v[176:177], v[168:169], v[18:19]
	v_mul_f64_e32 v[18:19], v[170:171], v[18:19]
	scratch_load_b128 v[12:15], off, off offset:608
	v_add_f64_e32 v[172:173], v[172:173], v[174:175]
	v_add_f64_e32 v[182:183], v[162:163], v[160:161]
	ds_load_b128 v[160:163], v2 offset:1280
	s_wait_loadcnt_dscnt 0xb01
	v_mul_f64_e32 v[174:175], v[4:5], v[22:23]
	v_mul_f64_e32 v[22:23], v[6:7], v[22:23]
	v_fmac_f64_e32 v[176:177], v[170:171], v[16:17]
	v_fma_f64 v[168:169], v[168:169], v[16:17], -v[18:19]
	scratch_load_b128 v[16:19], off, off offset:624
	v_add_f64_e32 v[172:173], v[172:173], v[178:179]
	v_add_f64_e32 v[170:171], v[182:183], v[180:181]
	v_fmac_f64_e32 v[174:175], v[6:7], v[20:21]
	v_fma_f64 v[180:181], v[4:5], v[20:21], -v[22:23]
	ds_load_b128 v[4:7], v2 offset:1296
	s_wait_loadcnt_dscnt 0xb01
	v_mul_f64_e32 v[178:179], v[160:161], v[130:131]
	v_mul_f64_e32 v[130:131], v[162:163], v[130:131]
	scratch_load_b128 v[20:23], off, off offset:640
	v_add_f64_e32 v[172:173], v[172:173], v[176:177]
	s_wait_loadcnt_dscnt 0xb00
	v_mul_f64_e32 v[176:177], v[4:5], v[134:135]
	v_add_f64_e32 v[182:183], v[170:171], v[168:169]
	v_mul_f64_e32 v[134:135], v[6:7], v[134:135]
	ds_load_b128 v[168:171], v2 offset:1312
	v_fmac_f64_e32 v[178:179], v[162:163], v[128:129]
	v_fma_f64 v[160:161], v[160:161], v[128:129], -v[130:131]
	scratch_load_b128 v[128:131], off, off offset:656
	v_add_f64_e32 v[172:173], v[172:173], v[174:175]
	v_fmac_f64_e32 v[176:177], v[6:7], v[132:133]
	v_add_f64_e32 v[162:163], v[182:183], v[180:181]
	v_fma_f64 v[180:181], v[4:5], v[132:133], -v[134:135]
	ds_load_b128 v[4:7], v2 offset:1328
	s_wait_loadcnt_dscnt 0xb01
	v_mul_f64_e32 v[174:175], v[168:169], v[138:139]
	v_mul_f64_e32 v[138:139], v[170:171], v[138:139]
	scratch_load_b128 v[132:135], off, off offset:672
	v_add_f64_e32 v[172:173], v[172:173], v[178:179]
	s_wait_loadcnt_dscnt 0xb00
	v_mul_f64_e32 v[178:179], v[4:5], v[142:143]
	v_add_f64_e32 v[182:183], v[162:163], v[160:161]
	v_mul_f64_e32 v[142:143], v[6:7], v[142:143]
	ds_load_b128 v[160:163], v2 offset:1344
	v_fmac_f64_e32 v[174:175], v[170:171], v[136:137]
	v_fma_f64 v[168:169], v[168:169], v[136:137], -v[138:139]
	scratch_load_b128 v[136:139], off, off offset:688
	v_add_f64_e32 v[172:173], v[172:173], v[176:177]
	v_fmac_f64_e32 v[178:179], v[6:7], v[140:141]
	v_add_f64_e32 v[170:171], v[182:183], v[180:181]
	;; [unrolled: 18-line block ×3, first 2 shown]
	v_fma_f64 v[180:181], v[4:5], v[152:153], -v[154:155]
	ds_load_b128 v[4:7], v2 offset:1392
	s_wait_loadcnt_dscnt 0xa01
	v_mul_f64_e32 v[178:179], v[168:169], v[166:167]
	v_mul_f64_e32 v[166:167], v[170:171], v[166:167]
	scratch_load_b128 v[152:155], off, off offset:736
	v_add_f64_e32 v[172:173], v[172:173], v[176:177]
	v_add_f64_e32 v[182:183], v[162:163], v[160:161]
	s_wait_loadcnt_dscnt 0xa00
	v_mul_f64_e32 v[176:177], v[4:5], v[150:151]
	v_mul_f64_e32 v[150:151], v[6:7], v[150:151]
	v_fmac_f64_e32 v[178:179], v[170:171], v[164:165]
	v_fma_f64 v[168:169], v[168:169], v[164:165], -v[166:167]
	ds_load_b128 v[160:163], v2 offset:1408
	scratch_load_b128 v[164:167], off, off offset:752
	v_add_f64_e32 v[172:173], v[172:173], v[174:175]
	v_add_f64_e32 v[170:171], v[182:183], v[180:181]
	v_fmac_f64_e32 v[176:177], v[6:7], v[148:149]
	v_fma_f64 v[180:181], v[4:5], v[148:149], -v[150:151]
	ds_load_b128 v[4:7], v2 offset:1424
	s_wait_loadcnt_dscnt 0xa01
	v_mul_f64_e32 v[174:175], v[160:161], v[10:11]
	v_mul_f64_e32 v[10:11], v[162:163], v[10:11]
	scratch_load_b128 v[148:151], off, off offset:768
	v_add_f64_e32 v[172:173], v[172:173], v[178:179]
	s_wait_loadcnt_dscnt 0xa00
	v_mul_f64_e32 v[178:179], v[4:5], v[14:15]
	v_add_f64_e32 v[182:183], v[170:171], v[168:169]
	v_mul_f64_e32 v[14:15], v[6:7], v[14:15]
	ds_load_b128 v[168:171], v2 offset:1440
	v_fmac_f64_e32 v[174:175], v[162:163], v[8:9]
	v_fma_f64 v[160:161], v[160:161], v[8:9], -v[10:11]
	scratch_load_b128 v[8:11], off, off offset:784
	v_add_f64_e32 v[172:173], v[172:173], v[176:177]
	v_fmac_f64_e32 v[178:179], v[6:7], v[12:13]
	v_add_f64_e32 v[162:163], v[182:183], v[180:181]
	v_fma_f64 v[180:181], v[4:5], v[12:13], -v[14:15]
	ds_load_b128 v[4:7], v2 offset:1456
	s_wait_loadcnt_dscnt 0xa01
	v_mul_f64_e32 v[176:177], v[168:169], v[18:19]
	v_mul_f64_e32 v[18:19], v[170:171], v[18:19]
	scratch_load_b128 v[12:15], off, off offset:800
	v_add_f64_e32 v[172:173], v[172:173], v[174:175]
	s_wait_loadcnt_dscnt 0xa00
	v_mul_f64_e32 v[174:175], v[4:5], v[22:23]
	v_add_f64_e32 v[182:183], v[162:163], v[160:161]
	v_mul_f64_e32 v[22:23], v[6:7], v[22:23]
	ds_load_b128 v[160:163], v2 offset:1472
	v_fmac_f64_e32 v[176:177], v[170:171], v[16:17]
	v_fma_f64 v[16:17], v[168:169], v[16:17], -v[18:19]
	s_wait_loadcnt_dscnt 0x900
	v_mul_f64_e32 v[170:171], v[160:161], v[130:131]
	v_mul_f64_e32 v[130:131], v[162:163], v[130:131]
	v_add_f64_e32 v[168:169], v[172:173], v[178:179]
	v_fmac_f64_e32 v[174:175], v[6:7], v[20:21]
	v_add_f64_e32 v[18:19], v[182:183], v[180:181]
	v_fma_f64 v[20:21], v[4:5], v[20:21], -v[22:23]
	v_fmac_f64_e32 v[170:171], v[162:163], v[128:129]
	v_fma_f64 v[128:129], v[160:161], v[128:129], -v[130:131]
	v_add_f64_e32 v[168:169], v[168:169], v[176:177]
	v_add_f64_e32 v[22:23], v[18:19], v[16:17]
	ds_load_b128 v[4:7], v2 offset:1488
	ds_load_b128 v[16:19], v2 offset:1504
	s_wait_loadcnt_dscnt 0x801
	v_mul_f64_e32 v[172:173], v[4:5], v[134:135]
	v_mul_f64_e32 v[134:135], v[6:7], v[134:135]
	s_wait_loadcnt_dscnt 0x700
	v_mul_f64_e32 v[130:131], v[16:17], v[138:139]
	v_mul_f64_e32 v[138:139], v[18:19], v[138:139]
	v_add_f64_e32 v[20:21], v[22:23], v[20:21]
	v_add_f64_e32 v[22:23], v[168:169], v[174:175]
	v_fmac_f64_e32 v[172:173], v[6:7], v[132:133]
	v_fma_f64 v[132:133], v[4:5], v[132:133], -v[134:135]
	v_fmac_f64_e32 v[130:131], v[18:19], v[136:137]
	v_fma_f64 v[16:17], v[16:17], v[136:137], -v[138:139]
	v_add_f64_e32 v[128:129], v[20:21], v[128:129]
	v_add_f64_e32 v[134:135], v[22:23], v[170:171]
	ds_load_b128 v[4:7], v2 offset:1520
	ds_load_b128 v[20:23], v2 offset:1536
	s_wait_loadcnt_dscnt 0x601
	v_mul_f64_e32 v[160:161], v[4:5], v[142:143]
	v_mul_f64_e32 v[142:143], v[6:7], v[142:143]
	v_add_f64_e32 v[18:19], v[128:129], v[132:133]
	v_add_f64_e32 v[128:129], v[134:135], v[172:173]
	s_wait_loadcnt_dscnt 0x500
	v_mul_f64_e32 v[132:133], v[20:21], v[146:147]
	v_mul_f64_e32 v[134:135], v[22:23], v[146:147]
	v_fmac_f64_e32 v[160:161], v[6:7], v[140:141]
	v_fma_f64 v[136:137], v[4:5], v[140:141], -v[142:143]
	v_add_f64_e32 v[138:139], v[18:19], v[16:17]
	v_add_f64_e32 v[128:129], v[128:129], v[130:131]
	ds_load_b128 v[4:7], v2 offset:1552
	ds_load_b128 v[16:19], v2 offset:1568
	v_fmac_f64_e32 v[132:133], v[22:23], v[144:145]
	v_fma_f64 v[20:21], v[20:21], v[144:145], -v[134:135]
	s_wait_loadcnt_dscnt 0x401
	v_mul_f64_e32 v[130:131], v[4:5], v[154:155]
	v_mul_f64_e32 v[140:141], v[6:7], v[154:155]
	s_wait_loadcnt_dscnt 0x300
	v_mul_f64_e32 v[134:135], v[16:17], v[166:167]
	v_add_f64_e32 v[22:23], v[138:139], v[136:137]
	v_add_f64_e32 v[128:129], v[128:129], v[160:161]
	v_mul_f64_e32 v[136:137], v[18:19], v[166:167]
	v_fmac_f64_e32 v[130:131], v[6:7], v[152:153]
	v_fma_f64 v[138:139], v[4:5], v[152:153], -v[140:141]
	v_fmac_f64_e32 v[134:135], v[18:19], v[164:165]
	v_add_f64_e32 v[140:141], v[22:23], v[20:21]
	v_add_f64_e32 v[128:129], v[128:129], v[132:133]
	ds_load_b128 v[4:7], v2 offset:1584
	ds_load_b128 v[20:23], v2 offset:1600
	v_fma_f64 v[16:17], v[16:17], v[164:165], -v[136:137]
	s_wait_loadcnt_dscnt 0x201
	v_mul_f64_e32 v[132:133], v[4:5], v[150:151]
	v_mul_f64_e32 v[142:143], v[6:7], v[150:151]
	v_add_f64_e32 v[18:19], v[140:141], v[138:139]
	v_add_f64_e32 v[128:129], v[128:129], v[130:131]
	s_wait_loadcnt_dscnt 0x100
	v_mul_f64_e32 v[130:131], v[20:21], v[10:11]
	v_mul_f64_e32 v[10:11], v[22:23], v[10:11]
	v_fmac_f64_e32 v[132:133], v[6:7], v[148:149]
	v_fma_f64 v[136:137], v[4:5], v[148:149], -v[142:143]
	ds_load_b128 v[4:7], v2 offset:1616
	v_add_f64_e32 v[16:17], v[18:19], v[16:17]
	v_add_f64_e32 v[18:19], v[128:129], v[134:135]
	v_fmac_f64_e32 v[130:131], v[22:23], v[8:9]
	v_fma_f64 v[8:9], v[20:21], v[8:9], -v[10:11]
	s_wait_loadcnt_dscnt 0x0
	v_mul_f64_e32 v[128:129], v[4:5], v[14:15]
	v_mul_f64_e32 v[14:15], v[6:7], v[14:15]
	v_add_f64_e32 v[10:11], v[16:17], v[136:137]
	v_add_f64_e32 v[16:17], v[18:19], v[132:133]
	s_delay_alu instid0(VALU_DEP_4) | instskip(NEXT) | instid1(VALU_DEP_4)
	v_fmac_f64_e32 v[128:129], v[6:7], v[12:13]
	v_fma_f64 v[4:5], v[4:5], v[12:13], -v[14:15]
	s_delay_alu instid0(VALU_DEP_4) | instskip(NEXT) | instid1(VALU_DEP_4)
	v_add_f64_e32 v[6:7], v[10:11], v[8:9]
	v_add_f64_e32 v[8:9], v[16:17], v[130:131]
	s_delay_alu instid0(VALU_DEP_2) | instskip(NEXT) | instid1(VALU_DEP_2)
	v_add_f64_e32 v[4:5], v[6:7], v[4:5]
	v_add_f64_e32 v[6:7], v[8:9], v[128:129]
	s_delay_alu instid0(VALU_DEP_2) | instskip(NEXT) | instid1(VALU_DEP_2)
	v_add_f64_e64 v[4:5], v[156:157], -v[4:5]
	v_add_f64_e64 v[6:7], v[158:159], -v[6:7]
	scratch_store_b128 off, v[4:7], off offset:368
	s_wait_xcnt 0x0
	v_cmpx_lt_u32_e32 22, v1
	s_cbranch_execz .LBB114_275
; %bb.274:
	scratch_load_b128 v[6:9], off, s45
	v_dual_mov_b32 v3, v2 :: v_dual_mov_b32 v4, v2
	v_mov_b32_e32 v5, v2
	scratch_store_b128 off, v[2:5], off offset:352
	s_wait_loadcnt 0x0
	ds_store_b128 v126, v[6:9]
.LBB114_275:
	s_wait_xcnt 0x0
	s_or_b32 exec_lo, exec_lo, s2
	s_wait_storecnt_dscnt 0x0
	s_barrier_signal -1
	s_barrier_wait -1
	s_clause 0x9
	scratch_load_b128 v[4:7], off, off offset:368
	scratch_load_b128 v[8:11], off, off offset:384
	;; [unrolled: 1-line block ×10, first 2 shown]
	ds_load_b128 v[148:151], v2 offset:1184
	ds_load_b128 v[156:159], v2 offset:1200
	s_clause 0x2
	scratch_load_b128 v[152:155], off, off offset:528
	scratch_load_b128 v[160:163], off, off offset:352
	;; [unrolled: 1-line block ×3, first 2 shown]
	s_mov_b32 s2, exec_lo
	s_wait_loadcnt_dscnt 0xc01
	v_mul_f64_e32 v[168:169], v[150:151], v[6:7]
	v_mul_f64_e32 v[172:173], v[148:149], v[6:7]
	s_wait_loadcnt_dscnt 0xb00
	v_mul_f64_e32 v[174:175], v[156:157], v[10:11]
	v_mul_f64_e32 v[10:11], v[158:159], v[10:11]
	s_delay_alu instid0(VALU_DEP_4) | instskip(NEXT) | instid1(VALU_DEP_4)
	v_fma_f64 v[176:177], v[148:149], v[4:5], -v[168:169]
	v_fmac_f64_e32 v[172:173], v[150:151], v[4:5]
	ds_load_b128 v[4:7], v2 offset:1216
	ds_load_b128 v[148:151], v2 offset:1232
	scratch_load_b128 v[168:171], off, off offset:560
	v_fmac_f64_e32 v[174:175], v[158:159], v[8:9]
	v_fma_f64 v[156:157], v[156:157], v[8:9], -v[10:11]
	scratch_load_b128 v[8:11], off, off offset:576
	s_wait_loadcnt_dscnt 0xc01
	v_mul_f64_e32 v[178:179], v[4:5], v[14:15]
	v_mul_f64_e32 v[14:15], v[6:7], v[14:15]
	v_add_f64_e32 v[158:159], 0, v[176:177]
	v_add_f64_e32 v[172:173], 0, v[172:173]
	s_wait_loadcnt_dscnt 0xb00
	v_mul_f64_e32 v[176:177], v[148:149], v[18:19]
	v_mul_f64_e32 v[18:19], v[150:151], v[18:19]
	v_fmac_f64_e32 v[178:179], v[6:7], v[12:13]
	v_fma_f64 v[180:181], v[4:5], v[12:13], -v[14:15]
	ds_load_b128 v[4:7], v2 offset:1248
	ds_load_b128 v[12:15], v2 offset:1264
	v_add_f64_e32 v[182:183], v[158:159], v[156:157]
	v_add_f64_e32 v[172:173], v[172:173], v[174:175]
	scratch_load_b128 v[156:159], off, off offset:592
	v_fmac_f64_e32 v[176:177], v[150:151], v[16:17]
	v_fma_f64 v[148:149], v[148:149], v[16:17], -v[18:19]
	scratch_load_b128 v[16:19], off, off offset:608
	s_wait_loadcnt_dscnt 0xc01
	v_mul_f64_e32 v[174:175], v[4:5], v[22:23]
	v_mul_f64_e32 v[22:23], v[6:7], v[22:23]
	v_add_f64_e32 v[150:151], v[182:183], v[180:181]
	v_add_f64_e32 v[172:173], v[172:173], v[178:179]
	s_wait_loadcnt_dscnt 0xb00
	v_mul_f64_e32 v[178:179], v[12:13], v[130:131]
	v_mul_f64_e32 v[130:131], v[14:15], v[130:131]
	v_fmac_f64_e32 v[174:175], v[6:7], v[20:21]
	v_fma_f64 v[180:181], v[4:5], v[20:21], -v[22:23]
	ds_load_b128 v[4:7], v2 offset:1280
	ds_load_b128 v[20:23], v2 offset:1296
	v_add_f64_e32 v[182:183], v[150:151], v[148:149]
	v_add_f64_e32 v[172:173], v[172:173], v[176:177]
	scratch_load_b128 v[148:151], off, off offset:624
	s_wait_loadcnt_dscnt 0xb01
	v_mul_f64_e32 v[176:177], v[4:5], v[134:135]
	v_mul_f64_e32 v[134:135], v[6:7], v[134:135]
	v_fmac_f64_e32 v[178:179], v[14:15], v[128:129]
	v_fma_f64 v[128:129], v[12:13], v[128:129], -v[130:131]
	scratch_load_b128 v[12:15], off, off offset:640
	v_add_f64_e32 v[130:131], v[182:183], v[180:181]
	v_add_f64_e32 v[172:173], v[172:173], v[174:175]
	s_wait_loadcnt_dscnt 0xb00
	v_mul_f64_e32 v[174:175], v[20:21], v[138:139]
	v_mul_f64_e32 v[138:139], v[22:23], v[138:139]
	v_fmac_f64_e32 v[176:177], v[6:7], v[132:133]
	v_fma_f64 v[180:181], v[4:5], v[132:133], -v[134:135]
	v_add_f64_e32 v[182:183], v[130:131], v[128:129]
	v_add_f64_e32 v[172:173], v[172:173], v[178:179]
	ds_load_b128 v[4:7], v2 offset:1312
	ds_load_b128 v[128:131], v2 offset:1328
	scratch_load_b128 v[132:135], off, off offset:656
	v_fmac_f64_e32 v[174:175], v[22:23], v[136:137]
	v_fma_f64 v[136:137], v[20:21], v[136:137], -v[138:139]
	scratch_load_b128 v[20:23], off, off offset:672
	s_wait_loadcnt_dscnt 0xc01
	v_mul_f64_e32 v[178:179], v[4:5], v[142:143]
	v_mul_f64_e32 v[142:143], v[6:7], v[142:143]
	v_add_f64_e32 v[138:139], v[182:183], v[180:181]
	v_add_f64_e32 v[172:173], v[172:173], v[176:177]
	s_wait_loadcnt_dscnt 0xb00
	v_mul_f64_e32 v[176:177], v[128:129], v[146:147]
	v_mul_f64_e32 v[146:147], v[130:131], v[146:147]
	v_fmac_f64_e32 v[178:179], v[6:7], v[140:141]
	v_fma_f64 v[180:181], v[4:5], v[140:141], -v[142:143]
	v_add_f64_e32 v[182:183], v[138:139], v[136:137]
	v_add_f64_e32 v[172:173], v[172:173], v[174:175]
	ds_load_b128 v[4:7], v2 offset:1344
	ds_load_b128 v[136:139], v2 offset:1360
	scratch_load_b128 v[140:143], off, off offset:688
	v_fmac_f64_e32 v[176:177], v[130:131], v[144:145]
	v_fma_f64 v[144:145], v[128:129], v[144:145], -v[146:147]
	scratch_load_b128 v[128:131], off, off offset:704
	s_wait_loadcnt_dscnt 0xc01
	v_mul_f64_e32 v[174:175], v[4:5], v[154:155]
	v_mul_f64_e32 v[154:155], v[6:7], v[154:155]
	;; [unrolled: 18-line block ×5, first 2 shown]
	v_add_f64_e32 v[166:167], v[182:183], v[180:181]
	v_add_f64_e32 v[172:173], v[172:173], v[178:179]
	s_wait_loadcnt_dscnt 0xa00
	v_mul_f64_e32 v[178:179], v[144:145], v[14:15]
	v_mul_f64_e32 v[14:15], v[146:147], v[14:15]
	v_fmac_f64_e32 v[174:175], v[6:7], v[148:149]
	v_fma_f64 v[180:181], v[4:5], v[148:149], -v[150:151]
	ds_load_b128 v[4:7], v2 offset:1472
	ds_load_b128 v[148:151], v2 offset:1488
	v_add_f64_e32 v[164:165], v[166:167], v[164:165]
	v_add_f64_e32 v[166:167], v[172:173], v[176:177]
	v_fmac_f64_e32 v[178:179], v[146:147], v[12:13]
	v_fma_f64 v[12:13], v[144:145], v[12:13], -v[14:15]
	s_wait_loadcnt_dscnt 0x901
	v_mul_f64_e32 v[172:173], v[4:5], v[134:135]
	v_mul_f64_e32 v[134:135], v[6:7], v[134:135]
	s_wait_loadcnt_dscnt 0x800
	v_mul_f64_e32 v[146:147], v[148:149], v[22:23]
	v_mul_f64_e32 v[22:23], v[150:151], v[22:23]
	v_add_f64_e32 v[14:15], v[164:165], v[180:181]
	v_add_f64_e32 v[144:145], v[166:167], v[174:175]
	v_fmac_f64_e32 v[172:173], v[6:7], v[132:133]
	v_fma_f64 v[132:133], v[4:5], v[132:133], -v[134:135]
	v_fmac_f64_e32 v[146:147], v[150:151], v[20:21]
	v_fma_f64 v[20:21], v[148:149], v[20:21], -v[22:23]
	v_add_f64_e32 v[134:135], v[14:15], v[12:13]
	v_add_f64_e32 v[144:145], v[144:145], v[178:179]
	ds_load_b128 v[4:7], v2 offset:1504
	ds_load_b128 v[12:15], v2 offset:1520
	s_wait_loadcnt_dscnt 0x701
	v_mul_f64_e32 v[164:165], v[4:5], v[142:143]
	v_mul_f64_e32 v[142:143], v[6:7], v[142:143]
	v_add_f64_e32 v[22:23], v[134:135], v[132:133]
	v_add_f64_e32 v[132:133], v[144:145], v[172:173]
	s_wait_loadcnt_dscnt 0x600
	v_mul_f64_e32 v[134:135], v[12:13], v[130:131]
	v_mul_f64_e32 v[130:131], v[14:15], v[130:131]
	v_fmac_f64_e32 v[164:165], v[6:7], v[140:141]
	v_fma_f64 v[140:141], v[4:5], v[140:141], -v[142:143]
	v_add_f64_e32 v[142:143], v[22:23], v[20:21]
	v_add_f64_e32 v[132:133], v[132:133], v[146:147]
	ds_load_b128 v[4:7], v2 offset:1536
	ds_load_b128 v[20:23], v2 offset:1552
	v_fmac_f64_e32 v[134:135], v[14:15], v[128:129]
	v_fma_f64 v[12:13], v[12:13], v[128:129], -v[130:131]
	s_wait_loadcnt_dscnt 0x501
	v_mul_f64_e32 v[144:145], v[4:5], v[154:155]
	v_mul_f64_e32 v[146:147], v[6:7], v[154:155]
	s_wait_loadcnt_dscnt 0x400
	v_mul_f64_e32 v[130:131], v[20:21], v[138:139]
	v_add_f64_e32 v[14:15], v[142:143], v[140:141]
	v_add_f64_e32 v[128:129], v[132:133], v[164:165]
	v_mul_f64_e32 v[132:133], v[22:23], v[138:139]
	v_fmac_f64_e32 v[144:145], v[6:7], v[152:153]
	v_fma_f64 v[138:139], v[4:5], v[152:153], -v[146:147]
	v_fmac_f64_e32 v[130:131], v[22:23], v[136:137]
	v_add_f64_e32 v[140:141], v[14:15], v[12:13]
	v_add_f64_e32 v[128:129], v[128:129], v[134:135]
	ds_load_b128 v[4:7], v2 offset:1568
	ds_load_b128 v[12:15], v2 offset:1584
	v_fma_f64 v[20:21], v[20:21], v[136:137], -v[132:133]
	s_wait_loadcnt_dscnt 0x301
	v_mul_f64_e32 v[134:135], v[4:5], v[170:171]
	v_mul_f64_e32 v[142:143], v[6:7], v[170:171]
	s_wait_loadcnt_dscnt 0x200
	v_mul_f64_e32 v[132:133], v[12:13], v[10:11]
	v_mul_f64_e32 v[10:11], v[14:15], v[10:11]
	v_add_f64_e32 v[22:23], v[140:141], v[138:139]
	v_add_f64_e32 v[128:129], v[128:129], v[144:145]
	v_fmac_f64_e32 v[134:135], v[6:7], v[168:169]
	v_fma_f64 v[136:137], v[4:5], v[168:169], -v[142:143]
	v_fmac_f64_e32 v[132:133], v[14:15], v[8:9]
	v_fma_f64 v[8:9], v[12:13], v[8:9], -v[10:11]
	v_add_f64_e32 v[138:139], v[22:23], v[20:21]
	v_add_f64_e32 v[128:129], v[128:129], v[130:131]
	ds_load_b128 v[4:7], v2 offset:1600
	ds_load_b128 v[20:23], v2 offset:1616
	s_wait_loadcnt_dscnt 0x101
	v_mul_f64_e32 v[2:3], v[4:5], v[158:159]
	v_mul_f64_e32 v[130:131], v[6:7], v[158:159]
	s_wait_loadcnt_dscnt 0x0
	v_mul_f64_e32 v[14:15], v[20:21], v[18:19]
	v_mul_f64_e32 v[18:19], v[22:23], v[18:19]
	v_add_f64_e32 v[10:11], v[138:139], v[136:137]
	v_add_f64_e32 v[12:13], v[128:129], v[134:135]
	v_fmac_f64_e32 v[2:3], v[6:7], v[156:157]
	v_fma_f64 v[4:5], v[4:5], v[156:157], -v[130:131]
	v_fmac_f64_e32 v[14:15], v[22:23], v[16:17]
	v_add_f64_e32 v[6:7], v[10:11], v[8:9]
	v_add_f64_e32 v[8:9], v[12:13], v[132:133]
	v_fma_f64 v[10:11], v[20:21], v[16:17], -v[18:19]
	s_delay_alu instid0(VALU_DEP_3) | instskip(NEXT) | instid1(VALU_DEP_3)
	v_add_f64_e32 v[4:5], v[6:7], v[4:5]
	v_add_f64_e32 v[2:3], v[8:9], v[2:3]
	s_delay_alu instid0(VALU_DEP_2) | instskip(NEXT) | instid1(VALU_DEP_2)
	v_add_f64_e32 v[4:5], v[4:5], v[10:11]
	v_add_f64_e32 v[6:7], v[2:3], v[14:15]
	s_delay_alu instid0(VALU_DEP_2) | instskip(NEXT) | instid1(VALU_DEP_2)
	v_add_f64_e64 v[2:3], v[160:161], -v[4:5]
	v_add_f64_e64 v[4:5], v[162:163], -v[6:7]
	scratch_store_b128 off, v[2:5], off offset:352
	s_wait_xcnt 0x0
	v_cmpx_lt_u32_e32 21, v1
	s_cbranch_execz .LBB114_277
; %bb.276:
	scratch_load_b128 v[2:5], off, s46
	v_mov_b32_e32 v6, 0
	s_delay_alu instid0(VALU_DEP_1)
	v_dual_mov_b32 v7, v6 :: v_dual_mov_b32 v8, v6
	v_mov_b32_e32 v9, v6
	scratch_store_b128 off, v[6:9], off offset:336
	s_wait_loadcnt 0x0
	ds_store_b128 v126, v[2:5]
.LBB114_277:
	s_wait_xcnt 0x0
	s_or_b32 exec_lo, exec_lo, s2
	s_wait_storecnt_dscnt 0x0
	s_barrier_signal -1
	s_barrier_wait -1
	s_clause 0x9
	scratch_load_b128 v[4:7], off, off offset:352
	scratch_load_b128 v[8:11], off, off offset:368
	;; [unrolled: 1-line block ×10, first 2 shown]
	v_mov_b32_e32 v2, 0
	s_mov_b32 s2, exec_lo
	ds_load_b128 v[148:151], v2 offset:1168
	s_clause 0x2
	scratch_load_b128 v[152:155], off, off offset:512
	scratch_load_b128 v[156:159], off, off offset:336
	scratch_load_b128 v[164:167], off, off offset:528
	s_wait_loadcnt_dscnt 0xc00
	v_mul_f64_e32 v[168:169], v[150:151], v[6:7]
	v_mul_f64_e32 v[172:173], v[148:149], v[6:7]
	ds_load_b128 v[160:163], v2 offset:1184
	v_fma_f64 v[176:177], v[148:149], v[4:5], -v[168:169]
	v_fmac_f64_e32 v[172:173], v[150:151], v[4:5]
	ds_load_b128 v[4:7], v2 offset:1200
	s_wait_loadcnt_dscnt 0xb01
	v_mul_f64_e32 v[174:175], v[160:161], v[10:11]
	v_mul_f64_e32 v[10:11], v[162:163], v[10:11]
	scratch_load_b128 v[148:151], off, off offset:544
	ds_load_b128 v[168:171], v2 offset:1216
	s_wait_loadcnt_dscnt 0xb01
	v_mul_f64_e32 v[178:179], v[4:5], v[14:15]
	v_mul_f64_e32 v[14:15], v[6:7], v[14:15]
	v_add_f64_e32 v[172:173], 0, v[172:173]
	v_fmac_f64_e32 v[174:175], v[162:163], v[8:9]
	v_fma_f64 v[160:161], v[160:161], v[8:9], -v[10:11]
	v_add_f64_e32 v[162:163], 0, v[176:177]
	scratch_load_b128 v[8:11], off, off offset:560
	v_fmac_f64_e32 v[178:179], v[6:7], v[12:13]
	v_fma_f64 v[180:181], v[4:5], v[12:13], -v[14:15]
	ds_load_b128 v[4:7], v2 offset:1232
	s_wait_loadcnt_dscnt 0xb01
	v_mul_f64_e32 v[176:177], v[168:169], v[18:19]
	v_mul_f64_e32 v[18:19], v[170:171], v[18:19]
	scratch_load_b128 v[12:15], off, off offset:576
	v_add_f64_e32 v[172:173], v[172:173], v[174:175]
	v_add_f64_e32 v[182:183], v[162:163], v[160:161]
	ds_load_b128 v[160:163], v2 offset:1248
	s_wait_loadcnt_dscnt 0xb01
	v_mul_f64_e32 v[174:175], v[4:5], v[22:23]
	v_mul_f64_e32 v[22:23], v[6:7], v[22:23]
	v_fmac_f64_e32 v[176:177], v[170:171], v[16:17]
	v_fma_f64 v[168:169], v[168:169], v[16:17], -v[18:19]
	scratch_load_b128 v[16:19], off, off offset:592
	v_add_f64_e32 v[172:173], v[172:173], v[178:179]
	v_add_f64_e32 v[170:171], v[182:183], v[180:181]
	v_fmac_f64_e32 v[174:175], v[6:7], v[20:21]
	v_fma_f64 v[180:181], v[4:5], v[20:21], -v[22:23]
	ds_load_b128 v[4:7], v2 offset:1264
	s_wait_loadcnt_dscnt 0xb01
	v_mul_f64_e32 v[178:179], v[160:161], v[130:131]
	v_mul_f64_e32 v[130:131], v[162:163], v[130:131]
	scratch_load_b128 v[20:23], off, off offset:608
	v_add_f64_e32 v[172:173], v[172:173], v[176:177]
	s_wait_loadcnt_dscnt 0xb00
	v_mul_f64_e32 v[176:177], v[4:5], v[134:135]
	v_add_f64_e32 v[182:183], v[170:171], v[168:169]
	v_mul_f64_e32 v[134:135], v[6:7], v[134:135]
	ds_load_b128 v[168:171], v2 offset:1280
	v_fmac_f64_e32 v[178:179], v[162:163], v[128:129]
	v_fma_f64 v[160:161], v[160:161], v[128:129], -v[130:131]
	scratch_load_b128 v[128:131], off, off offset:624
	v_add_f64_e32 v[172:173], v[172:173], v[174:175]
	v_fmac_f64_e32 v[176:177], v[6:7], v[132:133]
	v_add_f64_e32 v[162:163], v[182:183], v[180:181]
	v_fma_f64 v[180:181], v[4:5], v[132:133], -v[134:135]
	ds_load_b128 v[4:7], v2 offset:1296
	s_wait_loadcnt_dscnt 0xb01
	v_mul_f64_e32 v[174:175], v[168:169], v[138:139]
	v_mul_f64_e32 v[138:139], v[170:171], v[138:139]
	scratch_load_b128 v[132:135], off, off offset:640
	v_add_f64_e32 v[172:173], v[172:173], v[178:179]
	s_wait_loadcnt_dscnt 0xb00
	v_mul_f64_e32 v[178:179], v[4:5], v[142:143]
	v_add_f64_e32 v[182:183], v[162:163], v[160:161]
	v_mul_f64_e32 v[142:143], v[6:7], v[142:143]
	ds_load_b128 v[160:163], v2 offset:1312
	v_fmac_f64_e32 v[174:175], v[170:171], v[136:137]
	v_fma_f64 v[168:169], v[168:169], v[136:137], -v[138:139]
	scratch_load_b128 v[136:139], off, off offset:656
	v_add_f64_e32 v[172:173], v[172:173], v[176:177]
	v_fmac_f64_e32 v[178:179], v[6:7], v[140:141]
	v_add_f64_e32 v[170:171], v[182:183], v[180:181]
	;; [unrolled: 18-line block ×3, first 2 shown]
	v_fma_f64 v[180:181], v[4:5], v[152:153], -v[154:155]
	ds_load_b128 v[4:7], v2 offset:1360
	s_wait_loadcnt_dscnt 0xa01
	v_mul_f64_e32 v[178:179], v[168:169], v[166:167]
	v_mul_f64_e32 v[166:167], v[170:171], v[166:167]
	scratch_load_b128 v[152:155], off, off offset:704
	v_add_f64_e32 v[172:173], v[172:173], v[176:177]
	v_add_f64_e32 v[182:183], v[162:163], v[160:161]
	s_wait_loadcnt_dscnt 0xa00
	v_mul_f64_e32 v[176:177], v[4:5], v[150:151]
	v_mul_f64_e32 v[150:151], v[6:7], v[150:151]
	v_fmac_f64_e32 v[178:179], v[170:171], v[164:165]
	v_fma_f64 v[168:169], v[168:169], v[164:165], -v[166:167]
	ds_load_b128 v[160:163], v2 offset:1376
	scratch_load_b128 v[164:167], off, off offset:720
	v_add_f64_e32 v[172:173], v[172:173], v[174:175]
	v_add_f64_e32 v[170:171], v[182:183], v[180:181]
	v_fmac_f64_e32 v[176:177], v[6:7], v[148:149]
	v_fma_f64 v[180:181], v[4:5], v[148:149], -v[150:151]
	ds_load_b128 v[4:7], v2 offset:1392
	s_wait_loadcnt_dscnt 0xa01
	v_mul_f64_e32 v[174:175], v[160:161], v[10:11]
	v_mul_f64_e32 v[10:11], v[162:163], v[10:11]
	scratch_load_b128 v[148:151], off, off offset:736
	v_add_f64_e32 v[172:173], v[172:173], v[178:179]
	s_wait_loadcnt_dscnt 0xa00
	v_mul_f64_e32 v[178:179], v[4:5], v[14:15]
	v_add_f64_e32 v[182:183], v[170:171], v[168:169]
	v_mul_f64_e32 v[14:15], v[6:7], v[14:15]
	ds_load_b128 v[168:171], v2 offset:1408
	v_fmac_f64_e32 v[174:175], v[162:163], v[8:9]
	v_fma_f64 v[160:161], v[160:161], v[8:9], -v[10:11]
	scratch_load_b128 v[8:11], off, off offset:752
	v_add_f64_e32 v[172:173], v[172:173], v[176:177]
	v_fmac_f64_e32 v[178:179], v[6:7], v[12:13]
	v_add_f64_e32 v[162:163], v[182:183], v[180:181]
	v_fma_f64 v[180:181], v[4:5], v[12:13], -v[14:15]
	ds_load_b128 v[4:7], v2 offset:1424
	s_wait_loadcnt_dscnt 0xa01
	v_mul_f64_e32 v[176:177], v[168:169], v[18:19]
	v_mul_f64_e32 v[18:19], v[170:171], v[18:19]
	scratch_load_b128 v[12:15], off, off offset:768
	v_add_f64_e32 v[172:173], v[172:173], v[174:175]
	s_wait_loadcnt_dscnt 0xa00
	v_mul_f64_e32 v[174:175], v[4:5], v[22:23]
	v_add_f64_e32 v[182:183], v[162:163], v[160:161]
	v_mul_f64_e32 v[22:23], v[6:7], v[22:23]
	ds_load_b128 v[160:163], v2 offset:1440
	v_fmac_f64_e32 v[176:177], v[170:171], v[16:17]
	v_fma_f64 v[168:169], v[168:169], v[16:17], -v[18:19]
	scratch_load_b128 v[16:19], off, off offset:784
	v_add_f64_e32 v[172:173], v[172:173], v[178:179]
	v_fmac_f64_e32 v[174:175], v[6:7], v[20:21]
	v_add_f64_e32 v[170:171], v[182:183], v[180:181]
	v_fma_f64 v[180:181], v[4:5], v[20:21], -v[22:23]
	ds_load_b128 v[4:7], v2 offset:1456
	s_wait_loadcnt_dscnt 0xa01
	v_mul_f64_e32 v[178:179], v[160:161], v[130:131]
	v_mul_f64_e32 v[130:131], v[162:163], v[130:131]
	scratch_load_b128 v[20:23], off, off offset:800
	v_add_f64_e32 v[172:173], v[172:173], v[176:177]
	s_wait_loadcnt_dscnt 0xa00
	v_mul_f64_e32 v[176:177], v[4:5], v[134:135]
	v_add_f64_e32 v[182:183], v[170:171], v[168:169]
	v_mul_f64_e32 v[134:135], v[6:7], v[134:135]
	ds_load_b128 v[168:171], v2 offset:1472
	v_fmac_f64_e32 v[178:179], v[162:163], v[128:129]
	v_fma_f64 v[128:129], v[160:161], v[128:129], -v[130:131]
	s_wait_loadcnt_dscnt 0x900
	v_mul_f64_e32 v[162:163], v[168:169], v[138:139]
	v_mul_f64_e32 v[138:139], v[170:171], v[138:139]
	v_add_f64_e32 v[160:161], v[172:173], v[174:175]
	v_fmac_f64_e32 v[176:177], v[6:7], v[132:133]
	v_add_f64_e32 v[130:131], v[182:183], v[180:181]
	v_fma_f64 v[132:133], v[4:5], v[132:133], -v[134:135]
	v_fmac_f64_e32 v[162:163], v[170:171], v[136:137]
	v_fma_f64 v[136:137], v[168:169], v[136:137], -v[138:139]
	v_add_f64_e32 v[160:161], v[160:161], v[178:179]
	v_add_f64_e32 v[134:135], v[130:131], v[128:129]
	ds_load_b128 v[4:7], v2 offset:1488
	ds_load_b128 v[128:131], v2 offset:1504
	s_wait_loadcnt_dscnt 0x801
	v_mul_f64_e32 v[172:173], v[4:5], v[142:143]
	v_mul_f64_e32 v[142:143], v[6:7], v[142:143]
	s_wait_loadcnt_dscnt 0x700
	v_mul_f64_e32 v[138:139], v[128:129], v[146:147]
	v_mul_f64_e32 v[146:147], v[130:131], v[146:147]
	v_add_f64_e32 v[132:133], v[134:135], v[132:133]
	v_add_f64_e32 v[134:135], v[160:161], v[176:177]
	v_fmac_f64_e32 v[172:173], v[6:7], v[140:141]
	v_fma_f64 v[140:141], v[4:5], v[140:141], -v[142:143]
	v_fmac_f64_e32 v[138:139], v[130:131], v[144:145]
	v_fma_f64 v[128:129], v[128:129], v[144:145], -v[146:147]
	v_add_f64_e32 v[136:137], v[132:133], v[136:137]
	v_add_f64_e32 v[142:143], v[134:135], v[162:163]
	ds_load_b128 v[4:7], v2 offset:1520
	ds_load_b128 v[132:135], v2 offset:1536
	s_wait_loadcnt_dscnt 0x601
	v_mul_f64_e32 v[160:161], v[4:5], v[154:155]
	v_mul_f64_e32 v[154:155], v[6:7], v[154:155]
	v_add_f64_e32 v[130:131], v[136:137], v[140:141]
	v_add_f64_e32 v[136:137], v[142:143], v[172:173]
	s_wait_loadcnt_dscnt 0x500
	v_mul_f64_e32 v[140:141], v[132:133], v[166:167]
	v_mul_f64_e32 v[142:143], v[134:135], v[166:167]
	v_fmac_f64_e32 v[160:161], v[6:7], v[152:153]
	v_fma_f64 v[144:145], v[4:5], v[152:153], -v[154:155]
	v_add_f64_e32 v[146:147], v[130:131], v[128:129]
	v_add_f64_e32 v[136:137], v[136:137], v[138:139]
	ds_load_b128 v[4:7], v2 offset:1552
	ds_load_b128 v[128:131], v2 offset:1568
	v_fmac_f64_e32 v[140:141], v[134:135], v[164:165]
	v_fma_f64 v[132:133], v[132:133], v[164:165], -v[142:143]
	s_wait_loadcnt_dscnt 0x401
	v_mul_f64_e32 v[138:139], v[4:5], v[150:151]
	v_mul_f64_e32 v[150:151], v[6:7], v[150:151]
	s_wait_loadcnt_dscnt 0x300
	v_mul_f64_e32 v[142:143], v[128:129], v[10:11]
	v_mul_f64_e32 v[10:11], v[130:131], v[10:11]
	v_add_f64_e32 v[134:135], v[146:147], v[144:145]
	v_add_f64_e32 v[136:137], v[136:137], v[160:161]
	v_fmac_f64_e32 v[138:139], v[6:7], v[148:149]
	v_fma_f64 v[144:145], v[4:5], v[148:149], -v[150:151]
	v_fmac_f64_e32 v[142:143], v[130:131], v[8:9]
	v_fma_f64 v[8:9], v[128:129], v[8:9], -v[10:11]
	v_add_f64_e32 v[146:147], v[134:135], v[132:133]
	v_add_f64_e32 v[136:137], v[136:137], v[140:141]
	ds_load_b128 v[4:7], v2 offset:1584
	ds_load_b128 v[132:135], v2 offset:1600
	s_wait_loadcnt_dscnt 0x201
	v_mul_f64_e32 v[140:141], v[4:5], v[14:15]
	v_mul_f64_e32 v[14:15], v[6:7], v[14:15]
	s_wait_loadcnt_dscnt 0x100
	v_mul_f64_e32 v[130:131], v[132:133], v[18:19]
	v_mul_f64_e32 v[18:19], v[134:135], v[18:19]
	v_add_f64_e32 v[10:11], v[146:147], v[144:145]
	v_add_f64_e32 v[128:129], v[136:137], v[138:139]
	v_fmac_f64_e32 v[140:141], v[6:7], v[12:13]
	v_fma_f64 v[12:13], v[4:5], v[12:13], -v[14:15]
	ds_load_b128 v[4:7], v2 offset:1616
	v_fmac_f64_e32 v[130:131], v[134:135], v[16:17]
	v_fma_f64 v[16:17], v[132:133], v[16:17], -v[18:19]
	v_add_f64_e32 v[8:9], v[10:11], v[8:9]
	v_add_f64_e32 v[10:11], v[128:129], v[142:143]
	s_wait_loadcnt_dscnt 0x0
	v_mul_f64_e32 v[14:15], v[4:5], v[22:23]
	v_mul_f64_e32 v[22:23], v[6:7], v[22:23]
	s_delay_alu instid0(VALU_DEP_4) | instskip(NEXT) | instid1(VALU_DEP_4)
	v_add_f64_e32 v[8:9], v[8:9], v[12:13]
	v_add_f64_e32 v[10:11], v[10:11], v[140:141]
	s_delay_alu instid0(VALU_DEP_4) | instskip(NEXT) | instid1(VALU_DEP_4)
	v_fmac_f64_e32 v[14:15], v[6:7], v[20:21]
	v_fma_f64 v[4:5], v[4:5], v[20:21], -v[22:23]
	s_delay_alu instid0(VALU_DEP_4) | instskip(NEXT) | instid1(VALU_DEP_4)
	v_add_f64_e32 v[6:7], v[8:9], v[16:17]
	v_add_f64_e32 v[8:9], v[10:11], v[130:131]
	s_delay_alu instid0(VALU_DEP_2) | instskip(NEXT) | instid1(VALU_DEP_2)
	v_add_f64_e32 v[4:5], v[6:7], v[4:5]
	v_add_f64_e32 v[6:7], v[8:9], v[14:15]
	s_delay_alu instid0(VALU_DEP_2) | instskip(NEXT) | instid1(VALU_DEP_2)
	v_add_f64_e64 v[4:5], v[156:157], -v[4:5]
	v_add_f64_e64 v[6:7], v[158:159], -v[6:7]
	scratch_store_b128 off, v[4:7], off offset:336
	s_wait_xcnt 0x0
	v_cmpx_lt_u32_e32 20, v1
	s_cbranch_execz .LBB114_279
; %bb.278:
	scratch_load_b128 v[6:9], off, s47
	v_dual_mov_b32 v3, v2 :: v_dual_mov_b32 v4, v2
	v_mov_b32_e32 v5, v2
	scratch_store_b128 off, v[2:5], off offset:320
	s_wait_loadcnt 0x0
	ds_store_b128 v126, v[6:9]
.LBB114_279:
	s_wait_xcnt 0x0
	s_or_b32 exec_lo, exec_lo, s2
	s_wait_storecnt_dscnt 0x0
	s_barrier_signal -1
	s_barrier_wait -1
	s_clause 0x9
	scratch_load_b128 v[4:7], off, off offset:336
	scratch_load_b128 v[8:11], off, off offset:352
	;; [unrolled: 1-line block ×10, first 2 shown]
	ds_load_b128 v[148:151], v2 offset:1152
	ds_load_b128 v[156:159], v2 offset:1168
	s_clause 0x2
	scratch_load_b128 v[152:155], off, off offset:496
	scratch_load_b128 v[160:163], off, off offset:320
	;; [unrolled: 1-line block ×3, first 2 shown]
	s_mov_b32 s2, exec_lo
	s_wait_loadcnt_dscnt 0xc01
	v_mul_f64_e32 v[168:169], v[150:151], v[6:7]
	v_mul_f64_e32 v[172:173], v[148:149], v[6:7]
	s_wait_loadcnt_dscnt 0xb00
	v_mul_f64_e32 v[174:175], v[156:157], v[10:11]
	v_mul_f64_e32 v[10:11], v[158:159], v[10:11]
	s_delay_alu instid0(VALU_DEP_4) | instskip(NEXT) | instid1(VALU_DEP_4)
	v_fma_f64 v[176:177], v[148:149], v[4:5], -v[168:169]
	v_fmac_f64_e32 v[172:173], v[150:151], v[4:5]
	ds_load_b128 v[4:7], v2 offset:1184
	ds_load_b128 v[148:151], v2 offset:1200
	scratch_load_b128 v[168:171], off, off offset:528
	v_fmac_f64_e32 v[174:175], v[158:159], v[8:9]
	v_fma_f64 v[156:157], v[156:157], v[8:9], -v[10:11]
	scratch_load_b128 v[8:11], off, off offset:544
	s_wait_loadcnt_dscnt 0xc01
	v_mul_f64_e32 v[178:179], v[4:5], v[14:15]
	v_mul_f64_e32 v[14:15], v[6:7], v[14:15]
	v_add_f64_e32 v[158:159], 0, v[176:177]
	v_add_f64_e32 v[172:173], 0, v[172:173]
	s_wait_loadcnt_dscnt 0xb00
	v_mul_f64_e32 v[176:177], v[148:149], v[18:19]
	v_mul_f64_e32 v[18:19], v[150:151], v[18:19]
	v_fmac_f64_e32 v[178:179], v[6:7], v[12:13]
	v_fma_f64 v[180:181], v[4:5], v[12:13], -v[14:15]
	ds_load_b128 v[4:7], v2 offset:1216
	ds_load_b128 v[12:15], v2 offset:1232
	v_add_f64_e32 v[182:183], v[158:159], v[156:157]
	v_add_f64_e32 v[172:173], v[172:173], v[174:175]
	scratch_load_b128 v[156:159], off, off offset:560
	v_fmac_f64_e32 v[176:177], v[150:151], v[16:17]
	v_fma_f64 v[148:149], v[148:149], v[16:17], -v[18:19]
	scratch_load_b128 v[16:19], off, off offset:576
	s_wait_loadcnt_dscnt 0xc01
	v_mul_f64_e32 v[174:175], v[4:5], v[22:23]
	v_mul_f64_e32 v[22:23], v[6:7], v[22:23]
	v_add_f64_e32 v[150:151], v[182:183], v[180:181]
	v_add_f64_e32 v[172:173], v[172:173], v[178:179]
	s_wait_loadcnt_dscnt 0xb00
	v_mul_f64_e32 v[178:179], v[12:13], v[130:131]
	v_mul_f64_e32 v[130:131], v[14:15], v[130:131]
	v_fmac_f64_e32 v[174:175], v[6:7], v[20:21]
	v_fma_f64 v[180:181], v[4:5], v[20:21], -v[22:23]
	ds_load_b128 v[4:7], v2 offset:1248
	ds_load_b128 v[20:23], v2 offset:1264
	v_add_f64_e32 v[182:183], v[150:151], v[148:149]
	v_add_f64_e32 v[172:173], v[172:173], v[176:177]
	scratch_load_b128 v[148:151], off, off offset:592
	s_wait_loadcnt_dscnt 0xb01
	v_mul_f64_e32 v[176:177], v[4:5], v[134:135]
	v_mul_f64_e32 v[134:135], v[6:7], v[134:135]
	v_fmac_f64_e32 v[178:179], v[14:15], v[128:129]
	v_fma_f64 v[128:129], v[12:13], v[128:129], -v[130:131]
	scratch_load_b128 v[12:15], off, off offset:608
	v_add_f64_e32 v[130:131], v[182:183], v[180:181]
	v_add_f64_e32 v[172:173], v[172:173], v[174:175]
	s_wait_loadcnt_dscnt 0xb00
	v_mul_f64_e32 v[174:175], v[20:21], v[138:139]
	v_mul_f64_e32 v[138:139], v[22:23], v[138:139]
	v_fmac_f64_e32 v[176:177], v[6:7], v[132:133]
	v_fma_f64 v[180:181], v[4:5], v[132:133], -v[134:135]
	v_add_f64_e32 v[182:183], v[130:131], v[128:129]
	v_add_f64_e32 v[172:173], v[172:173], v[178:179]
	ds_load_b128 v[4:7], v2 offset:1280
	ds_load_b128 v[128:131], v2 offset:1296
	scratch_load_b128 v[132:135], off, off offset:624
	v_fmac_f64_e32 v[174:175], v[22:23], v[136:137]
	v_fma_f64 v[136:137], v[20:21], v[136:137], -v[138:139]
	scratch_load_b128 v[20:23], off, off offset:640
	s_wait_loadcnt_dscnt 0xc01
	v_mul_f64_e32 v[178:179], v[4:5], v[142:143]
	v_mul_f64_e32 v[142:143], v[6:7], v[142:143]
	v_add_f64_e32 v[138:139], v[182:183], v[180:181]
	v_add_f64_e32 v[172:173], v[172:173], v[176:177]
	s_wait_loadcnt_dscnt 0xb00
	v_mul_f64_e32 v[176:177], v[128:129], v[146:147]
	v_mul_f64_e32 v[146:147], v[130:131], v[146:147]
	v_fmac_f64_e32 v[178:179], v[6:7], v[140:141]
	v_fma_f64 v[180:181], v[4:5], v[140:141], -v[142:143]
	v_add_f64_e32 v[182:183], v[138:139], v[136:137]
	v_add_f64_e32 v[172:173], v[172:173], v[174:175]
	ds_load_b128 v[4:7], v2 offset:1312
	ds_load_b128 v[136:139], v2 offset:1328
	scratch_load_b128 v[140:143], off, off offset:656
	v_fmac_f64_e32 v[176:177], v[130:131], v[144:145]
	v_fma_f64 v[144:145], v[128:129], v[144:145], -v[146:147]
	scratch_load_b128 v[128:131], off, off offset:672
	s_wait_loadcnt_dscnt 0xc01
	v_mul_f64_e32 v[174:175], v[4:5], v[154:155]
	v_mul_f64_e32 v[154:155], v[6:7], v[154:155]
	;; [unrolled: 18-line block ×5, first 2 shown]
	v_add_f64_e32 v[166:167], v[182:183], v[180:181]
	v_add_f64_e32 v[172:173], v[172:173], v[178:179]
	s_wait_loadcnt_dscnt 0xa00
	v_mul_f64_e32 v[178:179], v[144:145], v[14:15]
	v_mul_f64_e32 v[14:15], v[146:147], v[14:15]
	v_fmac_f64_e32 v[174:175], v[6:7], v[148:149]
	v_fma_f64 v[180:181], v[4:5], v[148:149], -v[150:151]
	ds_load_b128 v[4:7], v2 offset:1440
	ds_load_b128 v[148:151], v2 offset:1456
	v_add_f64_e32 v[182:183], v[166:167], v[164:165]
	v_add_f64_e32 v[172:173], v[172:173], v[176:177]
	scratch_load_b128 v[164:167], off, off offset:784
	v_fmac_f64_e32 v[178:179], v[146:147], v[12:13]
	v_fma_f64 v[144:145], v[144:145], v[12:13], -v[14:15]
	scratch_load_b128 v[12:15], off, off offset:800
	s_wait_loadcnt_dscnt 0xb01
	v_mul_f64_e32 v[176:177], v[4:5], v[134:135]
	v_mul_f64_e32 v[134:135], v[6:7], v[134:135]
	v_add_f64_e32 v[146:147], v[182:183], v[180:181]
	v_add_f64_e32 v[172:173], v[172:173], v[174:175]
	s_wait_loadcnt_dscnt 0xa00
	v_mul_f64_e32 v[174:175], v[148:149], v[22:23]
	v_mul_f64_e32 v[22:23], v[150:151], v[22:23]
	v_fmac_f64_e32 v[176:177], v[6:7], v[132:133]
	v_fma_f64 v[180:181], v[4:5], v[132:133], -v[134:135]
	ds_load_b128 v[4:7], v2 offset:1472
	ds_load_b128 v[132:135], v2 offset:1488
	v_add_f64_e32 v[144:145], v[146:147], v[144:145]
	v_add_f64_e32 v[146:147], v[172:173], v[178:179]
	v_fmac_f64_e32 v[174:175], v[150:151], v[20:21]
	s_wait_loadcnt_dscnt 0x901
	v_mul_f64_e32 v[172:173], v[4:5], v[142:143]
	v_mul_f64_e32 v[142:143], v[6:7], v[142:143]
	v_fma_f64 v[20:21], v[148:149], v[20:21], -v[22:23]
	v_add_f64_e32 v[22:23], v[144:145], v[180:181]
	v_add_f64_e32 v[144:145], v[146:147], v[176:177]
	s_wait_loadcnt_dscnt 0x800
	v_mul_f64_e32 v[146:147], v[132:133], v[130:131]
	v_mul_f64_e32 v[130:131], v[134:135], v[130:131]
	v_fmac_f64_e32 v[172:173], v[6:7], v[140:141]
	v_fma_f64 v[140:141], v[4:5], v[140:141], -v[142:143]
	v_add_f64_e32 v[142:143], v[22:23], v[20:21]
	v_add_f64_e32 v[144:145], v[144:145], v[174:175]
	ds_load_b128 v[4:7], v2 offset:1504
	ds_load_b128 v[20:23], v2 offset:1520
	v_fmac_f64_e32 v[146:147], v[134:135], v[128:129]
	v_fma_f64 v[128:129], v[132:133], v[128:129], -v[130:131]
	s_wait_loadcnt_dscnt 0x701
	v_mul_f64_e32 v[148:149], v[4:5], v[154:155]
	v_mul_f64_e32 v[150:151], v[6:7], v[154:155]
	s_wait_loadcnt_dscnt 0x600
	v_mul_f64_e32 v[134:135], v[20:21], v[138:139]
	v_mul_f64_e32 v[138:139], v[22:23], v[138:139]
	v_add_f64_e32 v[130:131], v[142:143], v[140:141]
	v_add_f64_e32 v[132:133], v[144:145], v[172:173]
	v_fmac_f64_e32 v[148:149], v[6:7], v[152:153]
	v_fma_f64 v[140:141], v[4:5], v[152:153], -v[150:151]
	v_fmac_f64_e32 v[134:135], v[22:23], v[136:137]
	v_fma_f64 v[20:21], v[20:21], v[136:137], -v[138:139]
	v_add_f64_e32 v[142:143], v[130:131], v[128:129]
	v_add_f64_e32 v[132:133], v[132:133], v[146:147]
	ds_load_b128 v[4:7], v2 offset:1536
	ds_load_b128 v[128:131], v2 offset:1552
	s_wait_loadcnt_dscnt 0x501
	v_mul_f64_e32 v[144:145], v[4:5], v[170:171]
	v_mul_f64_e32 v[146:147], v[6:7], v[170:171]
	s_wait_loadcnt_dscnt 0x400
	v_mul_f64_e32 v[136:137], v[128:129], v[10:11]
	v_mul_f64_e32 v[10:11], v[130:131], v[10:11]
	v_add_f64_e32 v[22:23], v[142:143], v[140:141]
	v_add_f64_e32 v[132:133], v[132:133], v[148:149]
	v_fmac_f64_e32 v[144:145], v[6:7], v[168:169]
	v_fma_f64 v[138:139], v[4:5], v[168:169], -v[146:147]
	v_fmac_f64_e32 v[136:137], v[130:131], v[8:9]
	v_fma_f64 v[8:9], v[128:129], v[8:9], -v[10:11]
	v_add_f64_e32 v[140:141], v[22:23], v[20:21]
	v_add_f64_e32 v[132:133], v[132:133], v[134:135]
	ds_load_b128 v[4:7], v2 offset:1568
	ds_load_b128 v[20:23], v2 offset:1584
	;; [unrolled: 16-line block ×3, first 2 shown]
	s_wait_loadcnt_dscnt 0x101
	v_mul_f64_e32 v[2:3], v[4:5], v[166:167]
	v_mul_f64_e32 v[136:137], v[6:7], v[166:167]
	s_wait_loadcnt_dscnt 0x0
	v_mul_f64_e32 v[22:23], v[8:9], v[14:15]
	v_mul_f64_e32 v[14:15], v[10:11], v[14:15]
	v_add_f64_e32 v[18:19], v[138:139], v[132:133]
	v_add_f64_e32 v[20:21], v[128:129], v[134:135]
	v_fmac_f64_e32 v[2:3], v[6:7], v[164:165]
	v_fma_f64 v[4:5], v[4:5], v[164:165], -v[136:137]
	v_fmac_f64_e32 v[22:23], v[10:11], v[12:13]
	v_fma_f64 v[8:9], v[8:9], v[12:13], -v[14:15]
	v_add_f64_e32 v[6:7], v[18:19], v[16:17]
	v_add_f64_e32 v[16:17], v[20:21], v[130:131]
	s_delay_alu instid0(VALU_DEP_2) | instskip(NEXT) | instid1(VALU_DEP_2)
	v_add_f64_e32 v[4:5], v[6:7], v[4:5]
	v_add_f64_e32 v[2:3], v[16:17], v[2:3]
	s_delay_alu instid0(VALU_DEP_2) | instskip(NEXT) | instid1(VALU_DEP_2)
	;; [unrolled: 3-line block ×3, first 2 shown]
	v_add_f64_e64 v[2:3], v[160:161], -v[4:5]
	v_add_f64_e64 v[4:5], v[162:163], -v[6:7]
	scratch_store_b128 off, v[2:5], off offset:320
	s_wait_xcnt 0x0
	v_cmpx_lt_u32_e32 19, v1
	s_cbranch_execz .LBB114_281
; %bb.280:
	scratch_load_b128 v[2:5], off, s48
	v_mov_b32_e32 v6, 0
	s_delay_alu instid0(VALU_DEP_1)
	v_dual_mov_b32 v7, v6 :: v_dual_mov_b32 v8, v6
	v_mov_b32_e32 v9, v6
	scratch_store_b128 off, v[6:9], off offset:304
	s_wait_loadcnt 0x0
	ds_store_b128 v126, v[2:5]
.LBB114_281:
	s_wait_xcnt 0x0
	s_or_b32 exec_lo, exec_lo, s2
	s_wait_storecnt_dscnt 0x0
	s_barrier_signal -1
	s_barrier_wait -1
	s_clause 0x9
	scratch_load_b128 v[4:7], off, off offset:320
	scratch_load_b128 v[8:11], off, off offset:336
	;; [unrolled: 1-line block ×10, first 2 shown]
	v_mov_b32_e32 v2, 0
	s_mov_b32 s2, exec_lo
	ds_load_b128 v[148:151], v2 offset:1136
	s_clause 0x2
	scratch_load_b128 v[152:155], off, off offset:480
	scratch_load_b128 v[156:159], off, off offset:304
	;; [unrolled: 1-line block ×3, first 2 shown]
	s_wait_loadcnt_dscnt 0xc00
	v_mul_f64_e32 v[168:169], v[150:151], v[6:7]
	v_mul_f64_e32 v[172:173], v[148:149], v[6:7]
	ds_load_b128 v[160:163], v2 offset:1152
	v_fma_f64 v[176:177], v[148:149], v[4:5], -v[168:169]
	v_fmac_f64_e32 v[172:173], v[150:151], v[4:5]
	ds_load_b128 v[4:7], v2 offset:1168
	s_wait_loadcnt_dscnt 0xb01
	v_mul_f64_e32 v[174:175], v[160:161], v[10:11]
	v_mul_f64_e32 v[10:11], v[162:163], v[10:11]
	scratch_load_b128 v[148:151], off, off offset:512
	ds_load_b128 v[168:171], v2 offset:1184
	s_wait_loadcnt_dscnt 0xb01
	v_mul_f64_e32 v[178:179], v[4:5], v[14:15]
	v_mul_f64_e32 v[14:15], v[6:7], v[14:15]
	v_add_f64_e32 v[172:173], 0, v[172:173]
	v_fmac_f64_e32 v[174:175], v[162:163], v[8:9]
	v_fma_f64 v[160:161], v[160:161], v[8:9], -v[10:11]
	v_add_f64_e32 v[162:163], 0, v[176:177]
	scratch_load_b128 v[8:11], off, off offset:528
	v_fmac_f64_e32 v[178:179], v[6:7], v[12:13]
	v_fma_f64 v[180:181], v[4:5], v[12:13], -v[14:15]
	ds_load_b128 v[4:7], v2 offset:1200
	s_wait_loadcnt_dscnt 0xb01
	v_mul_f64_e32 v[176:177], v[168:169], v[18:19]
	v_mul_f64_e32 v[18:19], v[170:171], v[18:19]
	scratch_load_b128 v[12:15], off, off offset:544
	v_add_f64_e32 v[172:173], v[172:173], v[174:175]
	v_add_f64_e32 v[182:183], v[162:163], v[160:161]
	ds_load_b128 v[160:163], v2 offset:1216
	s_wait_loadcnt_dscnt 0xb01
	v_mul_f64_e32 v[174:175], v[4:5], v[22:23]
	v_mul_f64_e32 v[22:23], v[6:7], v[22:23]
	v_fmac_f64_e32 v[176:177], v[170:171], v[16:17]
	v_fma_f64 v[168:169], v[168:169], v[16:17], -v[18:19]
	scratch_load_b128 v[16:19], off, off offset:560
	v_add_f64_e32 v[172:173], v[172:173], v[178:179]
	v_add_f64_e32 v[170:171], v[182:183], v[180:181]
	v_fmac_f64_e32 v[174:175], v[6:7], v[20:21]
	v_fma_f64 v[180:181], v[4:5], v[20:21], -v[22:23]
	ds_load_b128 v[4:7], v2 offset:1232
	s_wait_loadcnt_dscnt 0xb01
	v_mul_f64_e32 v[178:179], v[160:161], v[130:131]
	v_mul_f64_e32 v[130:131], v[162:163], v[130:131]
	scratch_load_b128 v[20:23], off, off offset:576
	v_add_f64_e32 v[172:173], v[172:173], v[176:177]
	s_wait_loadcnt_dscnt 0xb00
	v_mul_f64_e32 v[176:177], v[4:5], v[134:135]
	v_add_f64_e32 v[182:183], v[170:171], v[168:169]
	v_mul_f64_e32 v[134:135], v[6:7], v[134:135]
	ds_load_b128 v[168:171], v2 offset:1248
	v_fmac_f64_e32 v[178:179], v[162:163], v[128:129]
	v_fma_f64 v[160:161], v[160:161], v[128:129], -v[130:131]
	scratch_load_b128 v[128:131], off, off offset:592
	v_add_f64_e32 v[172:173], v[172:173], v[174:175]
	v_fmac_f64_e32 v[176:177], v[6:7], v[132:133]
	v_add_f64_e32 v[162:163], v[182:183], v[180:181]
	v_fma_f64 v[180:181], v[4:5], v[132:133], -v[134:135]
	ds_load_b128 v[4:7], v2 offset:1264
	s_wait_loadcnt_dscnt 0xb01
	v_mul_f64_e32 v[174:175], v[168:169], v[138:139]
	v_mul_f64_e32 v[138:139], v[170:171], v[138:139]
	scratch_load_b128 v[132:135], off, off offset:608
	v_add_f64_e32 v[172:173], v[172:173], v[178:179]
	s_wait_loadcnt_dscnt 0xb00
	v_mul_f64_e32 v[178:179], v[4:5], v[142:143]
	v_add_f64_e32 v[182:183], v[162:163], v[160:161]
	v_mul_f64_e32 v[142:143], v[6:7], v[142:143]
	ds_load_b128 v[160:163], v2 offset:1280
	v_fmac_f64_e32 v[174:175], v[170:171], v[136:137]
	v_fma_f64 v[168:169], v[168:169], v[136:137], -v[138:139]
	scratch_load_b128 v[136:139], off, off offset:624
	v_add_f64_e32 v[172:173], v[172:173], v[176:177]
	v_fmac_f64_e32 v[178:179], v[6:7], v[140:141]
	v_add_f64_e32 v[170:171], v[182:183], v[180:181]
	;; [unrolled: 18-line block ×3, first 2 shown]
	v_fma_f64 v[180:181], v[4:5], v[152:153], -v[154:155]
	ds_load_b128 v[4:7], v2 offset:1328
	s_wait_loadcnt_dscnt 0xa01
	v_mul_f64_e32 v[178:179], v[168:169], v[166:167]
	v_mul_f64_e32 v[166:167], v[170:171], v[166:167]
	scratch_load_b128 v[152:155], off, off offset:672
	v_add_f64_e32 v[172:173], v[172:173], v[176:177]
	v_add_f64_e32 v[182:183], v[162:163], v[160:161]
	s_wait_loadcnt_dscnt 0xa00
	v_mul_f64_e32 v[176:177], v[4:5], v[150:151]
	v_mul_f64_e32 v[150:151], v[6:7], v[150:151]
	v_fmac_f64_e32 v[178:179], v[170:171], v[164:165]
	v_fma_f64 v[168:169], v[168:169], v[164:165], -v[166:167]
	ds_load_b128 v[160:163], v2 offset:1344
	scratch_load_b128 v[164:167], off, off offset:688
	v_add_f64_e32 v[172:173], v[172:173], v[174:175]
	v_add_f64_e32 v[170:171], v[182:183], v[180:181]
	v_fmac_f64_e32 v[176:177], v[6:7], v[148:149]
	v_fma_f64 v[180:181], v[4:5], v[148:149], -v[150:151]
	ds_load_b128 v[4:7], v2 offset:1360
	s_wait_loadcnt_dscnt 0xa01
	v_mul_f64_e32 v[174:175], v[160:161], v[10:11]
	v_mul_f64_e32 v[10:11], v[162:163], v[10:11]
	scratch_load_b128 v[148:151], off, off offset:704
	v_add_f64_e32 v[172:173], v[172:173], v[178:179]
	s_wait_loadcnt_dscnt 0xa00
	v_mul_f64_e32 v[178:179], v[4:5], v[14:15]
	v_add_f64_e32 v[182:183], v[170:171], v[168:169]
	v_mul_f64_e32 v[14:15], v[6:7], v[14:15]
	ds_load_b128 v[168:171], v2 offset:1376
	v_fmac_f64_e32 v[174:175], v[162:163], v[8:9]
	v_fma_f64 v[160:161], v[160:161], v[8:9], -v[10:11]
	scratch_load_b128 v[8:11], off, off offset:720
	v_add_f64_e32 v[172:173], v[172:173], v[176:177]
	v_fmac_f64_e32 v[178:179], v[6:7], v[12:13]
	v_add_f64_e32 v[162:163], v[182:183], v[180:181]
	v_fma_f64 v[180:181], v[4:5], v[12:13], -v[14:15]
	ds_load_b128 v[4:7], v2 offset:1392
	s_wait_loadcnt_dscnt 0xa01
	v_mul_f64_e32 v[176:177], v[168:169], v[18:19]
	v_mul_f64_e32 v[18:19], v[170:171], v[18:19]
	scratch_load_b128 v[12:15], off, off offset:736
	v_add_f64_e32 v[172:173], v[172:173], v[174:175]
	s_wait_loadcnt_dscnt 0xa00
	v_mul_f64_e32 v[174:175], v[4:5], v[22:23]
	v_add_f64_e32 v[182:183], v[162:163], v[160:161]
	v_mul_f64_e32 v[22:23], v[6:7], v[22:23]
	ds_load_b128 v[160:163], v2 offset:1408
	v_fmac_f64_e32 v[176:177], v[170:171], v[16:17]
	v_fma_f64 v[168:169], v[168:169], v[16:17], -v[18:19]
	scratch_load_b128 v[16:19], off, off offset:752
	v_add_f64_e32 v[172:173], v[172:173], v[178:179]
	v_fmac_f64_e32 v[174:175], v[6:7], v[20:21]
	v_add_f64_e32 v[170:171], v[182:183], v[180:181]
	;; [unrolled: 18-line block ×3, first 2 shown]
	v_fma_f64 v[180:181], v[4:5], v[132:133], -v[134:135]
	ds_load_b128 v[4:7], v2 offset:1456
	s_wait_loadcnt_dscnt 0xa01
	v_mul_f64_e32 v[174:175], v[168:169], v[138:139]
	v_mul_f64_e32 v[138:139], v[170:171], v[138:139]
	scratch_load_b128 v[132:135], off, off offset:800
	v_add_f64_e32 v[172:173], v[172:173], v[178:179]
	s_wait_loadcnt_dscnt 0xa00
	v_mul_f64_e32 v[178:179], v[4:5], v[142:143]
	v_add_f64_e32 v[182:183], v[162:163], v[160:161]
	v_mul_f64_e32 v[142:143], v[6:7], v[142:143]
	ds_load_b128 v[160:163], v2 offset:1472
	v_fmac_f64_e32 v[174:175], v[170:171], v[136:137]
	v_fma_f64 v[136:137], v[168:169], v[136:137], -v[138:139]
	s_wait_loadcnt_dscnt 0x900
	v_mul_f64_e32 v[170:171], v[160:161], v[146:147]
	v_mul_f64_e32 v[146:147], v[162:163], v[146:147]
	v_add_f64_e32 v[168:169], v[172:173], v[176:177]
	v_fmac_f64_e32 v[178:179], v[6:7], v[140:141]
	v_add_f64_e32 v[138:139], v[182:183], v[180:181]
	v_fma_f64 v[140:141], v[4:5], v[140:141], -v[142:143]
	v_fmac_f64_e32 v[170:171], v[162:163], v[144:145]
	v_fma_f64 v[144:145], v[160:161], v[144:145], -v[146:147]
	v_add_f64_e32 v[168:169], v[168:169], v[174:175]
	v_add_f64_e32 v[142:143], v[138:139], v[136:137]
	ds_load_b128 v[4:7], v2 offset:1488
	ds_load_b128 v[136:139], v2 offset:1504
	s_wait_loadcnt_dscnt 0x801
	v_mul_f64_e32 v[172:173], v[4:5], v[154:155]
	v_mul_f64_e32 v[154:155], v[6:7], v[154:155]
	s_wait_loadcnt_dscnt 0x700
	v_mul_f64_e32 v[146:147], v[136:137], v[166:167]
	v_mul_f64_e32 v[160:161], v[138:139], v[166:167]
	v_add_f64_e32 v[140:141], v[142:143], v[140:141]
	v_add_f64_e32 v[142:143], v[168:169], v[178:179]
	v_fmac_f64_e32 v[172:173], v[6:7], v[152:153]
	v_fma_f64 v[152:153], v[4:5], v[152:153], -v[154:155]
	v_fmac_f64_e32 v[146:147], v[138:139], v[164:165]
	v_fma_f64 v[136:137], v[136:137], v[164:165], -v[160:161]
	v_add_f64_e32 v[144:145], v[140:141], v[144:145]
	v_add_f64_e32 v[154:155], v[142:143], v[170:171]
	ds_load_b128 v[4:7], v2 offset:1520
	ds_load_b128 v[140:143], v2 offset:1536
	s_wait_loadcnt_dscnt 0x601
	v_mul_f64_e32 v[162:163], v[4:5], v[150:151]
	v_mul_f64_e32 v[150:151], v[6:7], v[150:151]
	v_add_f64_e32 v[138:139], v[144:145], v[152:153]
	v_add_f64_e32 v[144:145], v[154:155], v[172:173]
	s_wait_loadcnt_dscnt 0x500
	v_mul_f64_e32 v[152:153], v[140:141], v[10:11]
	v_mul_f64_e32 v[10:11], v[142:143], v[10:11]
	v_fmac_f64_e32 v[162:163], v[6:7], v[148:149]
	v_fma_f64 v[148:149], v[4:5], v[148:149], -v[150:151]
	v_add_f64_e32 v[150:151], v[138:139], v[136:137]
	v_add_f64_e32 v[144:145], v[144:145], v[146:147]
	ds_load_b128 v[4:7], v2 offset:1552
	ds_load_b128 v[136:139], v2 offset:1568
	v_fmac_f64_e32 v[152:153], v[142:143], v[8:9]
	v_fma_f64 v[8:9], v[140:141], v[8:9], -v[10:11]
	s_wait_loadcnt_dscnt 0x401
	v_mul_f64_e32 v[146:147], v[4:5], v[14:15]
	v_mul_f64_e32 v[14:15], v[6:7], v[14:15]
	s_wait_loadcnt_dscnt 0x300
	v_mul_f64_e32 v[142:143], v[136:137], v[18:19]
	v_mul_f64_e32 v[18:19], v[138:139], v[18:19]
	v_add_f64_e32 v[10:11], v[150:151], v[148:149]
	v_add_f64_e32 v[140:141], v[144:145], v[162:163]
	v_fmac_f64_e32 v[146:147], v[6:7], v[12:13]
	v_fma_f64 v[12:13], v[4:5], v[12:13], -v[14:15]
	v_fmac_f64_e32 v[142:143], v[138:139], v[16:17]
	v_fma_f64 v[16:17], v[136:137], v[16:17], -v[18:19]
	v_add_f64_e32 v[14:15], v[10:11], v[8:9]
	v_add_f64_e32 v[140:141], v[140:141], v[152:153]
	ds_load_b128 v[4:7], v2 offset:1584
	ds_load_b128 v[8:11], v2 offset:1600
	s_wait_loadcnt_dscnt 0x201
	v_mul_f64_e32 v[144:145], v[4:5], v[22:23]
	v_mul_f64_e32 v[22:23], v[6:7], v[22:23]
	s_wait_loadcnt_dscnt 0x100
	v_mul_f64_e32 v[18:19], v[8:9], v[130:131]
	v_mul_f64_e32 v[130:131], v[10:11], v[130:131]
	v_add_f64_e32 v[12:13], v[14:15], v[12:13]
	v_add_f64_e32 v[14:15], v[140:141], v[146:147]
	v_fmac_f64_e32 v[144:145], v[6:7], v[20:21]
	v_fma_f64 v[20:21], v[4:5], v[20:21], -v[22:23]
	ds_load_b128 v[4:7], v2 offset:1616
	v_fmac_f64_e32 v[18:19], v[10:11], v[128:129]
	v_fma_f64 v[8:9], v[8:9], v[128:129], -v[130:131]
	v_add_f64_e32 v[12:13], v[12:13], v[16:17]
	v_add_f64_e32 v[14:15], v[14:15], v[142:143]
	s_wait_loadcnt_dscnt 0x0
	v_mul_f64_e32 v[16:17], v[4:5], v[134:135]
	v_mul_f64_e32 v[22:23], v[6:7], v[134:135]
	s_delay_alu instid0(VALU_DEP_4) | instskip(NEXT) | instid1(VALU_DEP_4)
	v_add_f64_e32 v[10:11], v[12:13], v[20:21]
	v_add_f64_e32 v[12:13], v[14:15], v[144:145]
	s_delay_alu instid0(VALU_DEP_4) | instskip(NEXT) | instid1(VALU_DEP_4)
	v_fmac_f64_e32 v[16:17], v[6:7], v[132:133]
	v_fma_f64 v[4:5], v[4:5], v[132:133], -v[22:23]
	s_delay_alu instid0(VALU_DEP_4) | instskip(NEXT) | instid1(VALU_DEP_4)
	v_add_f64_e32 v[6:7], v[10:11], v[8:9]
	v_add_f64_e32 v[8:9], v[12:13], v[18:19]
	s_delay_alu instid0(VALU_DEP_2) | instskip(NEXT) | instid1(VALU_DEP_2)
	v_add_f64_e32 v[4:5], v[6:7], v[4:5]
	v_add_f64_e32 v[6:7], v[8:9], v[16:17]
	s_delay_alu instid0(VALU_DEP_2) | instskip(NEXT) | instid1(VALU_DEP_2)
	v_add_f64_e64 v[4:5], v[156:157], -v[4:5]
	v_add_f64_e64 v[6:7], v[158:159], -v[6:7]
	scratch_store_b128 off, v[4:7], off offset:304
	s_wait_xcnt 0x0
	v_cmpx_lt_u32_e32 18, v1
	s_cbranch_execz .LBB114_283
; %bb.282:
	scratch_load_b128 v[6:9], off, s49
	v_dual_mov_b32 v3, v2 :: v_dual_mov_b32 v4, v2
	v_mov_b32_e32 v5, v2
	scratch_store_b128 off, v[2:5], off offset:288
	s_wait_loadcnt 0x0
	ds_store_b128 v126, v[6:9]
.LBB114_283:
	s_wait_xcnt 0x0
	s_or_b32 exec_lo, exec_lo, s2
	s_wait_storecnt_dscnt 0x0
	s_barrier_signal -1
	s_barrier_wait -1
	s_clause 0x9
	scratch_load_b128 v[4:7], off, off offset:304
	scratch_load_b128 v[8:11], off, off offset:320
	;; [unrolled: 1-line block ×10, first 2 shown]
	ds_load_b128 v[148:151], v2 offset:1120
	ds_load_b128 v[156:159], v2 offset:1136
	s_clause 0x2
	scratch_load_b128 v[152:155], off, off offset:464
	scratch_load_b128 v[160:163], off, off offset:288
	;; [unrolled: 1-line block ×3, first 2 shown]
	s_mov_b32 s2, exec_lo
	s_wait_loadcnt_dscnt 0xc01
	v_mul_f64_e32 v[168:169], v[150:151], v[6:7]
	v_mul_f64_e32 v[172:173], v[148:149], v[6:7]
	s_wait_loadcnt_dscnt 0xb00
	v_mul_f64_e32 v[174:175], v[156:157], v[10:11]
	v_mul_f64_e32 v[10:11], v[158:159], v[10:11]
	s_delay_alu instid0(VALU_DEP_4) | instskip(NEXT) | instid1(VALU_DEP_4)
	v_fma_f64 v[176:177], v[148:149], v[4:5], -v[168:169]
	v_fmac_f64_e32 v[172:173], v[150:151], v[4:5]
	ds_load_b128 v[4:7], v2 offset:1152
	ds_load_b128 v[148:151], v2 offset:1168
	scratch_load_b128 v[168:171], off, off offset:496
	v_fmac_f64_e32 v[174:175], v[158:159], v[8:9]
	v_fma_f64 v[156:157], v[156:157], v[8:9], -v[10:11]
	scratch_load_b128 v[8:11], off, off offset:512
	s_wait_loadcnt_dscnt 0xc01
	v_mul_f64_e32 v[178:179], v[4:5], v[14:15]
	v_mul_f64_e32 v[14:15], v[6:7], v[14:15]
	v_add_f64_e32 v[158:159], 0, v[176:177]
	v_add_f64_e32 v[172:173], 0, v[172:173]
	s_wait_loadcnt_dscnt 0xb00
	v_mul_f64_e32 v[176:177], v[148:149], v[18:19]
	v_mul_f64_e32 v[18:19], v[150:151], v[18:19]
	v_fmac_f64_e32 v[178:179], v[6:7], v[12:13]
	v_fma_f64 v[180:181], v[4:5], v[12:13], -v[14:15]
	ds_load_b128 v[4:7], v2 offset:1184
	ds_load_b128 v[12:15], v2 offset:1200
	v_add_f64_e32 v[182:183], v[158:159], v[156:157]
	v_add_f64_e32 v[172:173], v[172:173], v[174:175]
	scratch_load_b128 v[156:159], off, off offset:528
	v_fmac_f64_e32 v[176:177], v[150:151], v[16:17]
	v_fma_f64 v[148:149], v[148:149], v[16:17], -v[18:19]
	scratch_load_b128 v[16:19], off, off offset:544
	s_wait_loadcnt_dscnt 0xc01
	v_mul_f64_e32 v[174:175], v[4:5], v[22:23]
	v_mul_f64_e32 v[22:23], v[6:7], v[22:23]
	v_add_f64_e32 v[150:151], v[182:183], v[180:181]
	v_add_f64_e32 v[172:173], v[172:173], v[178:179]
	s_wait_loadcnt_dscnt 0xb00
	v_mul_f64_e32 v[178:179], v[12:13], v[130:131]
	v_mul_f64_e32 v[130:131], v[14:15], v[130:131]
	v_fmac_f64_e32 v[174:175], v[6:7], v[20:21]
	v_fma_f64 v[180:181], v[4:5], v[20:21], -v[22:23]
	ds_load_b128 v[4:7], v2 offset:1216
	ds_load_b128 v[20:23], v2 offset:1232
	v_add_f64_e32 v[182:183], v[150:151], v[148:149]
	v_add_f64_e32 v[172:173], v[172:173], v[176:177]
	scratch_load_b128 v[148:151], off, off offset:560
	s_wait_loadcnt_dscnt 0xb01
	v_mul_f64_e32 v[176:177], v[4:5], v[134:135]
	v_mul_f64_e32 v[134:135], v[6:7], v[134:135]
	v_fmac_f64_e32 v[178:179], v[14:15], v[128:129]
	v_fma_f64 v[128:129], v[12:13], v[128:129], -v[130:131]
	scratch_load_b128 v[12:15], off, off offset:576
	v_add_f64_e32 v[130:131], v[182:183], v[180:181]
	v_add_f64_e32 v[172:173], v[172:173], v[174:175]
	s_wait_loadcnt_dscnt 0xb00
	v_mul_f64_e32 v[174:175], v[20:21], v[138:139]
	v_mul_f64_e32 v[138:139], v[22:23], v[138:139]
	v_fmac_f64_e32 v[176:177], v[6:7], v[132:133]
	v_fma_f64 v[180:181], v[4:5], v[132:133], -v[134:135]
	v_add_f64_e32 v[182:183], v[130:131], v[128:129]
	v_add_f64_e32 v[172:173], v[172:173], v[178:179]
	ds_load_b128 v[4:7], v2 offset:1248
	ds_load_b128 v[128:131], v2 offset:1264
	scratch_load_b128 v[132:135], off, off offset:592
	v_fmac_f64_e32 v[174:175], v[22:23], v[136:137]
	v_fma_f64 v[136:137], v[20:21], v[136:137], -v[138:139]
	scratch_load_b128 v[20:23], off, off offset:608
	s_wait_loadcnt_dscnt 0xc01
	v_mul_f64_e32 v[178:179], v[4:5], v[142:143]
	v_mul_f64_e32 v[142:143], v[6:7], v[142:143]
	v_add_f64_e32 v[138:139], v[182:183], v[180:181]
	v_add_f64_e32 v[172:173], v[172:173], v[176:177]
	s_wait_loadcnt_dscnt 0xb00
	v_mul_f64_e32 v[176:177], v[128:129], v[146:147]
	v_mul_f64_e32 v[146:147], v[130:131], v[146:147]
	v_fmac_f64_e32 v[178:179], v[6:7], v[140:141]
	v_fma_f64 v[180:181], v[4:5], v[140:141], -v[142:143]
	v_add_f64_e32 v[182:183], v[138:139], v[136:137]
	v_add_f64_e32 v[172:173], v[172:173], v[174:175]
	ds_load_b128 v[4:7], v2 offset:1280
	ds_load_b128 v[136:139], v2 offset:1296
	scratch_load_b128 v[140:143], off, off offset:624
	v_fmac_f64_e32 v[176:177], v[130:131], v[144:145]
	v_fma_f64 v[144:145], v[128:129], v[144:145], -v[146:147]
	scratch_load_b128 v[128:131], off, off offset:640
	s_wait_loadcnt_dscnt 0xc01
	v_mul_f64_e32 v[174:175], v[4:5], v[154:155]
	v_mul_f64_e32 v[154:155], v[6:7], v[154:155]
	;; [unrolled: 18-line block ×5, first 2 shown]
	v_add_f64_e32 v[166:167], v[182:183], v[180:181]
	v_add_f64_e32 v[172:173], v[172:173], v[178:179]
	s_wait_loadcnt_dscnt 0xa00
	v_mul_f64_e32 v[178:179], v[144:145], v[14:15]
	v_mul_f64_e32 v[14:15], v[146:147], v[14:15]
	v_fmac_f64_e32 v[174:175], v[6:7], v[148:149]
	v_fma_f64 v[180:181], v[4:5], v[148:149], -v[150:151]
	ds_load_b128 v[4:7], v2 offset:1408
	ds_load_b128 v[148:151], v2 offset:1424
	v_add_f64_e32 v[182:183], v[166:167], v[164:165]
	v_add_f64_e32 v[172:173], v[172:173], v[176:177]
	scratch_load_b128 v[164:167], off, off offset:752
	v_fmac_f64_e32 v[178:179], v[146:147], v[12:13]
	v_fma_f64 v[144:145], v[144:145], v[12:13], -v[14:15]
	scratch_load_b128 v[12:15], off, off offset:768
	s_wait_loadcnt_dscnt 0xb01
	v_mul_f64_e32 v[176:177], v[4:5], v[134:135]
	v_mul_f64_e32 v[134:135], v[6:7], v[134:135]
	v_add_f64_e32 v[146:147], v[182:183], v[180:181]
	v_add_f64_e32 v[172:173], v[172:173], v[174:175]
	s_wait_loadcnt_dscnt 0xa00
	v_mul_f64_e32 v[174:175], v[148:149], v[22:23]
	v_mul_f64_e32 v[22:23], v[150:151], v[22:23]
	v_fmac_f64_e32 v[176:177], v[6:7], v[132:133]
	v_fma_f64 v[180:181], v[4:5], v[132:133], -v[134:135]
	ds_load_b128 v[4:7], v2 offset:1440
	ds_load_b128 v[132:135], v2 offset:1456
	v_add_f64_e32 v[182:183], v[146:147], v[144:145]
	v_add_f64_e32 v[172:173], v[172:173], v[178:179]
	scratch_load_b128 v[144:147], off, off offset:784
	s_wait_loadcnt_dscnt 0xa01
	v_mul_f64_e32 v[178:179], v[4:5], v[142:143]
	v_mul_f64_e32 v[142:143], v[6:7], v[142:143]
	v_fmac_f64_e32 v[174:175], v[150:151], v[20:21]
	v_fma_f64 v[148:149], v[148:149], v[20:21], -v[22:23]
	scratch_load_b128 v[20:23], off, off offset:800
	v_add_f64_e32 v[150:151], v[182:183], v[180:181]
	v_add_f64_e32 v[172:173], v[172:173], v[176:177]
	s_wait_loadcnt_dscnt 0xa00
	v_mul_f64_e32 v[176:177], v[132:133], v[130:131]
	v_mul_f64_e32 v[130:131], v[134:135], v[130:131]
	v_fmac_f64_e32 v[178:179], v[6:7], v[140:141]
	v_fma_f64 v[180:181], v[4:5], v[140:141], -v[142:143]
	ds_load_b128 v[4:7], v2 offset:1472
	ds_load_b128 v[140:143], v2 offset:1488
	v_add_f64_e32 v[148:149], v[150:151], v[148:149]
	v_add_f64_e32 v[150:151], v[172:173], v[174:175]
	v_fmac_f64_e32 v[176:177], v[134:135], v[128:129]
	s_wait_loadcnt_dscnt 0x901
	v_mul_f64_e32 v[172:173], v[4:5], v[154:155]
	v_mul_f64_e32 v[154:155], v[6:7], v[154:155]
	v_fma_f64 v[128:129], v[132:133], v[128:129], -v[130:131]
	s_wait_loadcnt_dscnt 0x800
	v_mul_f64_e32 v[134:135], v[140:141], v[138:139]
	v_mul_f64_e32 v[138:139], v[142:143], v[138:139]
	v_add_f64_e32 v[130:131], v[148:149], v[180:181]
	v_add_f64_e32 v[132:133], v[150:151], v[178:179]
	v_fmac_f64_e32 v[172:173], v[6:7], v[152:153]
	v_fma_f64 v[148:149], v[4:5], v[152:153], -v[154:155]
	v_fmac_f64_e32 v[134:135], v[142:143], v[136:137]
	v_fma_f64 v[136:137], v[140:141], v[136:137], -v[138:139]
	v_add_f64_e32 v[150:151], v[130:131], v[128:129]
	v_add_f64_e32 v[132:133], v[132:133], v[176:177]
	ds_load_b128 v[4:7], v2 offset:1504
	ds_load_b128 v[128:131], v2 offset:1520
	s_wait_loadcnt_dscnt 0x701
	v_mul_f64_e32 v[152:153], v[4:5], v[170:171]
	v_mul_f64_e32 v[154:155], v[6:7], v[170:171]
	s_wait_loadcnt_dscnt 0x600
	v_mul_f64_e32 v[140:141], v[128:129], v[10:11]
	v_mul_f64_e32 v[10:11], v[130:131], v[10:11]
	v_add_f64_e32 v[138:139], v[150:151], v[148:149]
	v_add_f64_e32 v[132:133], v[132:133], v[172:173]
	v_fmac_f64_e32 v[152:153], v[6:7], v[168:169]
	v_fma_f64 v[142:143], v[4:5], v[168:169], -v[154:155]
	v_fmac_f64_e32 v[140:141], v[130:131], v[8:9]
	v_fma_f64 v[8:9], v[128:129], v[8:9], -v[10:11]
	v_add_f64_e32 v[136:137], v[138:139], v[136:137]
	v_add_f64_e32 v[138:139], v[132:133], v[134:135]
	ds_load_b128 v[4:7], v2 offset:1536
	ds_load_b128 v[132:135], v2 offset:1552
	s_wait_loadcnt_dscnt 0x501
	v_mul_f64_e32 v[148:149], v[4:5], v[158:159]
	v_mul_f64_e32 v[150:151], v[6:7], v[158:159]
	;; [unrolled: 16-line block ×4, first 2 shown]
	v_add_f64_e32 v[10:11], v[18:19], v[136:137]
	v_add_f64_e32 v[12:13], v[128:129], v[140:141]
	s_wait_loadcnt_dscnt 0x0
	v_mul_f64_e32 v[18:19], v[14:15], v[22:23]
	v_mul_f64_e32 v[22:23], v[16:17], v[22:23]
	v_fmac_f64_e32 v[2:3], v[6:7], v[144:145]
	v_fma_f64 v[4:5], v[4:5], v[144:145], -v[130:131]
	v_add_f64_e32 v[6:7], v[10:11], v[8:9]
	v_add_f64_e32 v[8:9], v[12:13], v[132:133]
	v_fmac_f64_e32 v[18:19], v[16:17], v[20:21]
	v_fma_f64 v[10:11], v[14:15], v[20:21], -v[22:23]
	s_delay_alu instid0(VALU_DEP_4) | instskip(NEXT) | instid1(VALU_DEP_4)
	v_add_f64_e32 v[4:5], v[6:7], v[4:5]
	v_add_f64_e32 v[2:3], v[8:9], v[2:3]
	s_delay_alu instid0(VALU_DEP_2) | instskip(NEXT) | instid1(VALU_DEP_2)
	v_add_f64_e32 v[4:5], v[4:5], v[10:11]
	v_add_f64_e32 v[6:7], v[2:3], v[18:19]
	s_delay_alu instid0(VALU_DEP_2) | instskip(NEXT) | instid1(VALU_DEP_2)
	v_add_f64_e64 v[2:3], v[160:161], -v[4:5]
	v_add_f64_e64 v[4:5], v[162:163], -v[6:7]
	scratch_store_b128 off, v[2:5], off offset:288
	s_wait_xcnt 0x0
	v_cmpx_lt_u32_e32 17, v1
	s_cbranch_execz .LBB114_285
; %bb.284:
	scratch_load_b128 v[2:5], off, s50
	v_mov_b32_e32 v6, 0
	s_delay_alu instid0(VALU_DEP_1)
	v_dual_mov_b32 v7, v6 :: v_dual_mov_b32 v8, v6
	v_mov_b32_e32 v9, v6
	scratch_store_b128 off, v[6:9], off offset:272
	s_wait_loadcnt 0x0
	ds_store_b128 v126, v[2:5]
.LBB114_285:
	s_wait_xcnt 0x0
	s_or_b32 exec_lo, exec_lo, s2
	s_wait_storecnt_dscnt 0x0
	s_barrier_signal -1
	s_barrier_wait -1
	s_clause 0x9
	scratch_load_b128 v[4:7], off, off offset:288
	scratch_load_b128 v[8:11], off, off offset:304
	;; [unrolled: 1-line block ×10, first 2 shown]
	v_mov_b32_e32 v2, 0
	s_mov_b32 s2, exec_lo
	ds_load_b128 v[148:151], v2 offset:1104
	s_clause 0x2
	scratch_load_b128 v[152:155], off, off offset:448
	scratch_load_b128 v[156:159], off, off offset:272
	scratch_load_b128 v[164:167], off, off offset:464
	s_wait_loadcnt_dscnt 0xc00
	v_mul_f64_e32 v[168:169], v[150:151], v[6:7]
	v_mul_f64_e32 v[172:173], v[148:149], v[6:7]
	ds_load_b128 v[160:163], v2 offset:1120
	v_fma_f64 v[176:177], v[148:149], v[4:5], -v[168:169]
	v_fmac_f64_e32 v[172:173], v[150:151], v[4:5]
	ds_load_b128 v[4:7], v2 offset:1136
	s_wait_loadcnt_dscnt 0xb01
	v_mul_f64_e32 v[174:175], v[160:161], v[10:11]
	v_mul_f64_e32 v[10:11], v[162:163], v[10:11]
	scratch_load_b128 v[148:151], off, off offset:480
	ds_load_b128 v[168:171], v2 offset:1152
	s_wait_loadcnt_dscnt 0xb01
	v_mul_f64_e32 v[178:179], v[4:5], v[14:15]
	v_mul_f64_e32 v[14:15], v[6:7], v[14:15]
	v_add_f64_e32 v[172:173], 0, v[172:173]
	v_fmac_f64_e32 v[174:175], v[162:163], v[8:9]
	v_fma_f64 v[160:161], v[160:161], v[8:9], -v[10:11]
	v_add_f64_e32 v[162:163], 0, v[176:177]
	scratch_load_b128 v[8:11], off, off offset:496
	v_fmac_f64_e32 v[178:179], v[6:7], v[12:13]
	v_fma_f64 v[180:181], v[4:5], v[12:13], -v[14:15]
	ds_load_b128 v[4:7], v2 offset:1168
	s_wait_loadcnt_dscnt 0xb01
	v_mul_f64_e32 v[176:177], v[168:169], v[18:19]
	v_mul_f64_e32 v[18:19], v[170:171], v[18:19]
	scratch_load_b128 v[12:15], off, off offset:512
	v_add_f64_e32 v[172:173], v[172:173], v[174:175]
	v_add_f64_e32 v[182:183], v[162:163], v[160:161]
	ds_load_b128 v[160:163], v2 offset:1184
	s_wait_loadcnt_dscnt 0xb01
	v_mul_f64_e32 v[174:175], v[4:5], v[22:23]
	v_mul_f64_e32 v[22:23], v[6:7], v[22:23]
	v_fmac_f64_e32 v[176:177], v[170:171], v[16:17]
	v_fma_f64 v[168:169], v[168:169], v[16:17], -v[18:19]
	scratch_load_b128 v[16:19], off, off offset:528
	v_add_f64_e32 v[172:173], v[172:173], v[178:179]
	v_add_f64_e32 v[170:171], v[182:183], v[180:181]
	v_fmac_f64_e32 v[174:175], v[6:7], v[20:21]
	v_fma_f64 v[180:181], v[4:5], v[20:21], -v[22:23]
	ds_load_b128 v[4:7], v2 offset:1200
	s_wait_loadcnt_dscnt 0xb01
	v_mul_f64_e32 v[178:179], v[160:161], v[130:131]
	v_mul_f64_e32 v[130:131], v[162:163], v[130:131]
	scratch_load_b128 v[20:23], off, off offset:544
	v_add_f64_e32 v[172:173], v[172:173], v[176:177]
	s_wait_loadcnt_dscnt 0xb00
	v_mul_f64_e32 v[176:177], v[4:5], v[134:135]
	v_add_f64_e32 v[182:183], v[170:171], v[168:169]
	v_mul_f64_e32 v[134:135], v[6:7], v[134:135]
	ds_load_b128 v[168:171], v2 offset:1216
	v_fmac_f64_e32 v[178:179], v[162:163], v[128:129]
	v_fma_f64 v[160:161], v[160:161], v[128:129], -v[130:131]
	scratch_load_b128 v[128:131], off, off offset:560
	v_add_f64_e32 v[172:173], v[172:173], v[174:175]
	v_fmac_f64_e32 v[176:177], v[6:7], v[132:133]
	v_add_f64_e32 v[162:163], v[182:183], v[180:181]
	v_fma_f64 v[180:181], v[4:5], v[132:133], -v[134:135]
	ds_load_b128 v[4:7], v2 offset:1232
	s_wait_loadcnt_dscnt 0xb01
	v_mul_f64_e32 v[174:175], v[168:169], v[138:139]
	v_mul_f64_e32 v[138:139], v[170:171], v[138:139]
	scratch_load_b128 v[132:135], off, off offset:576
	v_add_f64_e32 v[172:173], v[172:173], v[178:179]
	s_wait_loadcnt_dscnt 0xb00
	v_mul_f64_e32 v[178:179], v[4:5], v[142:143]
	v_add_f64_e32 v[182:183], v[162:163], v[160:161]
	v_mul_f64_e32 v[142:143], v[6:7], v[142:143]
	ds_load_b128 v[160:163], v2 offset:1248
	v_fmac_f64_e32 v[174:175], v[170:171], v[136:137]
	v_fma_f64 v[168:169], v[168:169], v[136:137], -v[138:139]
	scratch_load_b128 v[136:139], off, off offset:592
	v_add_f64_e32 v[172:173], v[172:173], v[176:177]
	v_fmac_f64_e32 v[178:179], v[6:7], v[140:141]
	v_add_f64_e32 v[170:171], v[182:183], v[180:181]
	;; [unrolled: 18-line block ×3, first 2 shown]
	v_fma_f64 v[180:181], v[4:5], v[152:153], -v[154:155]
	ds_load_b128 v[4:7], v2 offset:1296
	s_wait_loadcnt_dscnt 0xa01
	v_mul_f64_e32 v[178:179], v[168:169], v[166:167]
	v_mul_f64_e32 v[166:167], v[170:171], v[166:167]
	scratch_load_b128 v[152:155], off, off offset:640
	v_add_f64_e32 v[172:173], v[172:173], v[176:177]
	v_add_f64_e32 v[182:183], v[162:163], v[160:161]
	s_wait_loadcnt_dscnt 0xa00
	v_mul_f64_e32 v[176:177], v[4:5], v[150:151]
	v_mul_f64_e32 v[150:151], v[6:7], v[150:151]
	v_fmac_f64_e32 v[178:179], v[170:171], v[164:165]
	v_fma_f64 v[168:169], v[168:169], v[164:165], -v[166:167]
	ds_load_b128 v[160:163], v2 offset:1312
	scratch_load_b128 v[164:167], off, off offset:656
	v_add_f64_e32 v[172:173], v[172:173], v[174:175]
	v_add_f64_e32 v[170:171], v[182:183], v[180:181]
	v_fmac_f64_e32 v[176:177], v[6:7], v[148:149]
	v_fma_f64 v[180:181], v[4:5], v[148:149], -v[150:151]
	ds_load_b128 v[4:7], v2 offset:1328
	s_wait_loadcnt_dscnt 0xa01
	v_mul_f64_e32 v[174:175], v[160:161], v[10:11]
	v_mul_f64_e32 v[10:11], v[162:163], v[10:11]
	scratch_load_b128 v[148:151], off, off offset:672
	v_add_f64_e32 v[172:173], v[172:173], v[178:179]
	s_wait_loadcnt_dscnt 0xa00
	v_mul_f64_e32 v[178:179], v[4:5], v[14:15]
	v_add_f64_e32 v[182:183], v[170:171], v[168:169]
	v_mul_f64_e32 v[14:15], v[6:7], v[14:15]
	ds_load_b128 v[168:171], v2 offset:1344
	v_fmac_f64_e32 v[174:175], v[162:163], v[8:9]
	v_fma_f64 v[160:161], v[160:161], v[8:9], -v[10:11]
	scratch_load_b128 v[8:11], off, off offset:688
	v_add_f64_e32 v[172:173], v[172:173], v[176:177]
	v_fmac_f64_e32 v[178:179], v[6:7], v[12:13]
	v_add_f64_e32 v[162:163], v[182:183], v[180:181]
	v_fma_f64 v[180:181], v[4:5], v[12:13], -v[14:15]
	ds_load_b128 v[4:7], v2 offset:1360
	s_wait_loadcnt_dscnt 0xa01
	v_mul_f64_e32 v[176:177], v[168:169], v[18:19]
	v_mul_f64_e32 v[18:19], v[170:171], v[18:19]
	scratch_load_b128 v[12:15], off, off offset:704
	v_add_f64_e32 v[172:173], v[172:173], v[174:175]
	s_wait_loadcnt_dscnt 0xa00
	v_mul_f64_e32 v[174:175], v[4:5], v[22:23]
	v_add_f64_e32 v[182:183], v[162:163], v[160:161]
	v_mul_f64_e32 v[22:23], v[6:7], v[22:23]
	ds_load_b128 v[160:163], v2 offset:1376
	v_fmac_f64_e32 v[176:177], v[170:171], v[16:17]
	v_fma_f64 v[168:169], v[168:169], v[16:17], -v[18:19]
	scratch_load_b128 v[16:19], off, off offset:720
	v_add_f64_e32 v[172:173], v[172:173], v[178:179]
	v_fmac_f64_e32 v[174:175], v[6:7], v[20:21]
	v_add_f64_e32 v[170:171], v[182:183], v[180:181]
	;; [unrolled: 18-line block ×4, first 2 shown]
	v_fma_f64 v[180:181], v[4:5], v[140:141], -v[142:143]
	ds_load_b128 v[4:7], v2 offset:1456
	s_wait_loadcnt_dscnt 0xa01
	v_mul_f64_e32 v[176:177], v[160:161], v[146:147]
	v_mul_f64_e32 v[146:147], v[162:163], v[146:147]
	scratch_load_b128 v[140:143], off, off offset:800
	v_add_f64_e32 v[172:173], v[172:173], v[174:175]
	s_wait_loadcnt_dscnt 0xa00
	v_mul_f64_e32 v[174:175], v[4:5], v[154:155]
	v_add_f64_e32 v[182:183], v[170:171], v[168:169]
	v_mul_f64_e32 v[154:155], v[6:7], v[154:155]
	ds_load_b128 v[168:171], v2 offset:1472
	v_fmac_f64_e32 v[176:177], v[162:163], v[144:145]
	v_fma_f64 v[144:145], v[160:161], v[144:145], -v[146:147]
	s_wait_loadcnt_dscnt 0x900
	v_mul_f64_e32 v[162:163], v[168:169], v[166:167]
	v_mul_f64_e32 v[166:167], v[170:171], v[166:167]
	v_add_f64_e32 v[160:161], v[172:173], v[178:179]
	v_fmac_f64_e32 v[174:175], v[6:7], v[152:153]
	v_add_f64_e32 v[146:147], v[182:183], v[180:181]
	v_fma_f64 v[152:153], v[4:5], v[152:153], -v[154:155]
	v_fmac_f64_e32 v[162:163], v[170:171], v[164:165]
	v_fma_f64 v[164:165], v[168:169], v[164:165], -v[166:167]
	v_add_f64_e32 v[160:161], v[160:161], v[176:177]
	v_add_f64_e32 v[154:155], v[146:147], v[144:145]
	ds_load_b128 v[4:7], v2 offset:1488
	ds_load_b128 v[144:147], v2 offset:1504
	s_wait_loadcnt_dscnt 0x801
	v_mul_f64_e32 v[172:173], v[4:5], v[150:151]
	v_mul_f64_e32 v[150:151], v[6:7], v[150:151]
	v_add_f64_e32 v[152:153], v[154:155], v[152:153]
	v_add_f64_e32 v[154:155], v[160:161], v[174:175]
	s_wait_loadcnt_dscnt 0x700
	v_mul_f64_e32 v[160:161], v[144:145], v[10:11]
	v_mul_f64_e32 v[10:11], v[146:147], v[10:11]
	v_fmac_f64_e32 v[172:173], v[6:7], v[148:149]
	v_fma_f64 v[166:167], v[4:5], v[148:149], -v[150:151]
	ds_load_b128 v[4:7], v2 offset:1520
	ds_load_b128 v[148:151], v2 offset:1536
	v_add_f64_e32 v[152:153], v[152:153], v[164:165]
	v_add_f64_e32 v[154:155], v[154:155], v[162:163]
	v_fmac_f64_e32 v[160:161], v[146:147], v[8:9]
	v_fma_f64 v[8:9], v[144:145], v[8:9], -v[10:11]
	s_wait_loadcnt_dscnt 0x601
	v_mul_f64_e32 v[162:163], v[4:5], v[14:15]
	v_mul_f64_e32 v[14:15], v[6:7], v[14:15]
	s_wait_loadcnt_dscnt 0x500
	v_mul_f64_e32 v[146:147], v[148:149], v[18:19]
	v_mul_f64_e32 v[18:19], v[150:151], v[18:19]
	v_add_f64_e32 v[10:11], v[152:153], v[166:167]
	v_add_f64_e32 v[144:145], v[154:155], v[172:173]
	v_fmac_f64_e32 v[162:163], v[6:7], v[12:13]
	v_fma_f64 v[12:13], v[4:5], v[12:13], -v[14:15]
	v_fmac_f64_e32 v[146:147], v[150:151], v[16:17]
	v_fma_f64 v[16:17], v[148:149], v[16:17], -v[18:19]
	v_add_f64_e32 v[14:15], v[10:11], v[8:9]
	v_add_f64_e32 v[144:145], v[144:145], v[160:161]
	ds_load_b128 v[4:7], v2 offset:1552
	ds_load_b128 v[8:11], v2 offset:1568
	s_wait_loadcnt_dscnt 0x401
	v_mul_f64_e32 v[152:153], v[4:5], v[22:23]
	v_mul_f64_e32 v[22:23], v[6:7], v[22:23]
	s_wait_loadcnt_dscnt 0x300
	v_mul_f64_e32 v[18:19], v[8:9], v[130:131]
	v_mul_f64_e32 v[130:131], v[10:11], v[130:131]
	v_add_f64_e32 v[12:13], v[14:15], v[12:13]
	v_add_f64_e32 v[14:15], v[144:145], v[162:163]
	v_fmac_f64_e32 v[152:153], v[6:7], v[20:21]
	v_fma_f64 v[20:21], v[4:5], v[20:21], -v[22:23]
	v_fmac_f64_e32 v[18:19], v[10:11], v[128:129]
	v_fma_f64 v[8:9], v[8:9], v[128:129], -v[130:131]
	v_add_f64_e32 v[16:17], v[12:13], v[16:17]
	v_add_f64_e32 v[22:23], v[14:15], v[146:147]
	ds_load_b128 v[4:7], v2 offset:1584
	ds_load_b128 v[12:15], v2 offset:1600
	s_wait_loadcnt_dscnt 0x201
	v_mul_f64_e32 v[144:145], v[4:5], v[134:135]
	v_mul_f64_e32 v[134:135], v[6:7], v[134:135]
	v_add_f64_e32 v[10:11], v[16:17], v[20:21]
	v_add_f64_e32 v[16:17], v[22:23], v[152:153]
	s_wait_loadcnt_dscnt 0x100
	v_mul_f64_e32 v[20:21], v[12:13], v[138:139]
	v_mul_f64_e32 v[22:23], v[14:15], v[138:139]
	v_fmac_f64_e32 v[144:145], v[6:7], v[132:133]
	v_fma_f64 v[128:129], v[4:5], v[132:133], -v[134:135]
	ds_load_b128 v[4:7], v2 offset:1616
	v_add_f64_e32 v[8:9], v[10:11], v[8:9]
	v_add_f64_e32 v[10:11], v[16:17], v[18:19]
	v_fmac_f64_e32 v[20:21], v[14:15], v[136:137]
	v_fma_f64 v[12:13], v[12:13], v[136:137], -v[22:23]
	s_wait_loadcnt_dscnt 0x0
	v_mul_f64_e32 v[16:17], v[4:5], v[142:143]
	v_mul_f64_e32 v[18:19], v[6:7], v[142:143]
	v_add_f64_e32 v[8:9], v[8:9], v[128:129]
	v_add_f64_e32 v[10:11], v[10:11], v[144:145]
	s_delay_alu instid0(VALU_DEP_4) | instskip(NEXT) | instid1(VALU_DEP_4)
	v_fmac_f64_e32 v[16:17], v[6:7], v[140:141]
	v_fma_f64 v[4:5], v[4:5], v[140:141], -v[18:19]
	s_delay_alu instid0(VALU_DEP_4) | instskip(NEXT) | instid1(VALU_DEP_4)
	v_add_f64_e32 v[6:7], v[8:9], v[12:13]
	v_add_f64_e32 v[8:9], v[10:11], v[20:21]
	s_delay_alu instid0(VALU_DEP_2) | instskip(NEXT) | instid1(VALU_DEP_2)
	v_add_f64_e32 v[4:5], v[6:7], v[4:5]
	v_add_f64_e32 v[6:7], v[8:9], v[16:17]
	s_delay_alu instid0(VALU_DEP_2) | instskip(NEXT) | instid1(VALU_DEP_2)
	v_add_f64_e64 v[4:5], v[156:157], -v[4:5]
	v_add_f64_e64 v[6:7], v[158:159], -v[6:7]
	scratch_store_b128 off, v[4:7], off offset:272
	s_wait_xcnt 0x0
	v_cmpx_lt_u32_e32 16, v1
	s_cbranch_execz .LBB114_287
; %bb.286:
	scratch_load_b128 v[6:9], off, s51
	v_dual_mov_b32 v3, v2 :: v_dual_mov_b32 v4, v2
	v_mov_b32_e32 v5, v2
	scratch_store_b128 off, v[2:5], off offset:256
	s_wait_loadcnt 0x0
	ds_store_b128 v126, v[6:9]
.LBB114_287:
	s_wait_xcnt 0x0
	s_or_b32 exec_lo, exec_lo, s2
	s_wait_storecnt_dscnt 0x0
	s_barrier_signal -1
	s_barrier_wait -1
	s_clause 0x9
	scratch_load_b128 v[4:7], off, off offset:272
	scratch_load_b128 v[8:11], off, off offset:288
	;; [unrolled: 1-line block ×10, first 2 shown]
	ds_load_b128 v[148:151], v2 offset:1088
	ds_load_b128 v[156:159], v2 offset:1104
	s_clause 0x2
	scratch_load_b128 v[152:155], off, off offset:432
	scratch_load_b128 v[160:163], off, off offset:256
	;; [unrolled: 1-line block ×3, first 2 shown]
	s_mov_b32 s2, exec_lo
	s_wait_loadcnt_dscnt 0xc01
	v_mul_f64_e32 v[168:169], v[150:151], v[6:7]
	v_mul_f64_e32 v[172:173], v[148:149], v[6:7]
	s_wait_loadcnt_dscnt 0xb00
	v_mul_f64_e32 v[174:175], v[156:157], v[10:11]
	v_mul_f64_e32 v[10:11], v[158:159], v[10:11]
	s_delay_alu instid0(VALU_DEP_4) | instskip(NEXT) | instid1(VALU_DEP_4)
	v_fma_f64 v[176:177], v[148:149], v[4:5], -v[168:169]
	v_fmac_f64_e32 v[172:173], v[150:151], v[4:5]
	ds_load_b128 v[4:7], v2 offset:1120
	ds_load_b128 v[148:151], v2 offset:1136
	scratch_load_b128 v[168:171], off, off offset:464
	v_fmac_f64_e32 v[174:175], v[158:159], v[8:9]
	v_fma_f64 v[156:157], v[156:157], v[8:9], -v[10:11]
	scratch_load_b128 v[8:11], off, off offset:480
	s_wait_loadcnt_dscnt 0xc01
	v_mul_f64_e32 v[178:179], v[4:5], v[14:15]
	v_mul_f64_e32 v[14:15], v[6:7], v[14:15]
	v_add_f64_e32 v[158:159], 0, v[176:177]
	v_add_f64_e32 v[172:173], 0, v[172:173]
	s_wait_loadcnt_dscnt 0xb00
	v_mul_f64_e32 v[176:177], v[148:149], v[18:19]
	v_mul_f64_e32 v[18:19], v[150:151], v[18:19]
	v_fmac_f64_e32 v[178:179], v[6:7], v[12:13]
	v_fma_f64 v[180:181], v[4:5], v[12:13], -v[14:15]
	ds_load_b128 v[4:7], v2 offset:1152
	ds_load_b128 v[12:15], v2 offset:1168
	v_add_f64_e32 v[182:183], v[158:159], v[156:157]
	v_add_f64_e32 v[172:173], v[172:173], v[174:175]
	scratch_load_b128 v[156:159], off, off offset:496
	v_fmac_f64_e32 v[176:177], v[150:151], v[16:17]
	v_fma_f64 v[148:149], v[148:149], v[16:17], -v[18:19]
	scratch_load_b128 v[16:19], off, off offset:512
	s_wait_loadcnt_dscnt 0xc01
	v_mul_f64_e32 v[174:175], v[4:5], v[22:23]
	v_mul_f64_e32 v[22:23], v[6:7], v[22:23]
	v_add_f64_e32 v[150:151], v[182:183], v[180:181]
	v_add_f64_e32 v[172:173], v[172:173], v[178:179]
	s_wait_loadcnt_dscnt 0xb00
	v_mul_f64_e32 v[178:179], v[12:13], v[130:131]
	v_mul_f64_e32 v[130:131], v[14:15], v[130:131]
	v_fmac_f64_e32 v[174:175], v[6:7], v[20:21]
	v_fma_f64 v[180:181], v[4:5], v[20:21], -v[22:23]
	ds_load_b128 v[4:7], v2 offset:1184
	ds_load_b128 v[20:23], v2 offset:1200
	v_add_f64_e32 v[182:183], v[150:151], v[148:149]
	v_add_f64_e32 v[172:173], v[172:173], v[176:177]
	scratch_load_b128 v[148:151], off, off offset:528
	s_wait_loadcnt_dscnt 0xb01
	v_mul_f64_e32 v[176:177], v[4:5], v[134:135]
	v_mul_f64_e32 v[134:135], v[6:7], v[134:135]
	v_fmac_f64_e32 v[178:179], v[14:15], v[128:129]
	v_fma_f64 v[128:129], v[12:13], v[128:129], -v[130:131]
	scratch_load_b128 v[12:15], off, off offset:544
	v_add_f64_e32 v[130:131], v[182:183], v[180:181]
	v_add_f64_e32 v[172:173], v[172:173], v[174:175]
	s_wait_loadcnt_dscnt 0xb00
	v_mul_f64_e32 v[174:175], v[20:21], v[138:139]
	v_mul_f64_e32 v[138:139], v[22:23], v[138:139]
	v_fmac_f64_e32 v[176:177], v[6:7], v[132:133]
	v_fma_f64 v[180:181], v[4:5], v[132:133], -v[134:135]
	v_add_f64_e32 v[182:183], v[130:131], v[128:129]
	v_add_f64_e32 v[172:173], v[172:173], v[178:179]
	ds_load_b128 v[4:7], v2 offset:1216
	ds_load_b128 v[128:131], v2 offset:1232
	scratch_load_b128 v[132:135], off, off offset:560
	v_fmac_f64_e32 v[174:175], v[22:23], v[136:137]
	v_fma_f64 v[136:137], v[20:21], v[136:137], -v[138:139]
	scratch_load_b128 v[20:23], off, off offset:576
	s_wait_loadcnt_dscnt 0xc01
	v_mul_f64_e32 v[178:179], v[4:5], v[142:143]
	v_mul_f64_e32 v[142:143], v[6:7], v[142:143]
	v_add_f64_e32 v[138:139], v[182:183], v[180:181]
	v_add_f64_e32 v[172:173], v[172:173], v[176:177]
	s_wait_loadcnt_dscnt 0xb00
	v_mul_f64_e32 v[176:177], v[128:129], v[146:147]
	v_mul_f64_e32 v[146:147], v[130:131], v[146:147]
	v_fmac_f64_e32 v[178:179], v[6:7], v[140:141]
	v_fma_f64 v[180:181], v[4:5], v[140:141], -v[142:143]
	v_add_f64_e32 v[182:183], v[138:139], v[136:137]
	v_add_f64_e32 v[172:173], v[172:173], v[174:175]
	ds_load_b128 v[4:7], v2 offset:1248
	ds_load_b128 v[136:139], v2 offset:1264
	scratch_load_b128 v[140:143], off, off offset:592
	v_fmac_f64_e32 v[176:177], v[130:131], v[144:145]
	v_fma_f64 v[144:145], v[128:129], v[144:145], -v[146:147]
	scratch_load_b128 v[128:131], off, off offset:608
	s_wait_loadcnt_dscnt 0xc01
	v_mul_f64_e32 v[174:175], v[4:5], v[154:155]
	v_mul_f64_e32 v[154:155], v[6:7], v[154:155]
	;; [unrolled: 18-line block ×5, first 2 shown]
	v_add_f64_e32 v[166:167], v[182:183], v[180:181]
	v_add_f64_e32 v[172:173], v[172:173], v[178:179]
	s_wait_loadcnt_dscnt 0xa00
	v_mul_f64_e32 v[178:179], v[144:145], v[14:15]
	v_mul_f64_e32 v[14:15], v[146:147], v[14:15]
	v_fmac_f64_e32 v[174:175], v[6:7], v[148:149]
	v_fma_f64 v[180:181], v[4:5], v[148:149], -v[150:151]
	ds_load_b128 v[4:7], v2 offset:1376
	ds_load_b128 v[148:151], v2 offset:1392
	v_add_f64_e32 v[182:183], v[166:167], v[164:165]
	v_add_f64_e32 v[172:173], v[172:173], v[176:177]
	scratch_load_b128 v[164:167], off, off offset:720
	v_fmac_f64_e32 v[178:179], v[146:147], v[12:13]
	v_fma_f64 v[144:145], v[144:145], v[12:13], -v[14:15]
	scratch_load_b128 v[12:15], off, off offset:736
	s_wait_loadcnt_dscnt 0xb01
	v_mul_f64_e32 v[176:177], v[4:5], v[134:135]
	v_mul_f64_e32 v[134:135], v[6:7], v[134:135]
	v_add_f64_e32 v[146:147], v[182:183], v[180:181]
	v_add_f64_e32 v[172:173], v[172:173], v[174:175]
	s_wait_loadcnt_dscnt 0xa00
	v_mul_f64_e32 v[174:175], v[148:149], v[22:23]
	v_mul_f64_e32 v[22:23], v[150:151], v[22:23]
	v_fmac_f64_e32 v[176:177], v[6:7], v[132:133]
	v_fma_f64 v[180:181], v[4:5], v[132:133], -v[134:135]
	ds_load_b128 v[4:7], v2 offset:1408
	ds_load_b128 v[132:135], v2 offset:1424
	v_add_f64_e32 v[182:183], v[146:147], v[144:145]
	v_add_f64_e32 v[172:173], v[172:173], v[178:179]
	scratch_load_b128 v[144:147], off, off offset:752
	s_wait_loadcnt_dscnt 0xa01
	v_mul_f64_e32 v[178:179], v[4:5], v[142:143]
	v_mul_f64_e32 v[142:143], v[6:7], v[142:143]
	v_fmac_f64_e32 v[174:175], v[150:151], v[20:21]
	v_fma_f64 v[148:149], v[148:149], v[20:21], -v[22:23]
	scratch_load_b128 v[20:23], off, off offset:768
	v_add_f64_e32 v[150:151], v[182:183], v[180:181]
	v_add_f64_e32 v[172:173], v[172:173], v[176:177]
	s_wait_loadcnt_dscnt 0xa00
	v_mul_f64_e32 v[176:177], v[132:133], v[130:131]
	v_mul_f64_e32 v[130:131], v[134:135], v[130:131]
	v_fmac_f64_e32 v[178:179], v[6:7], v[140:141]
	v_fma_f64 v[180:181], v[4:5], v[140:141], -v[142:143]
	ds_load_b128 v[4:7], v2 offset:1440
	ds_load_b128 v[140:143], v2 offset:1456
	v_add_f64_e32 v[182:183], v[150:151], v[148:149]
	v_add_f64_e32 v[172:173], v[172:173], v[174:175]
	scratch_load_b128 v[148:151], off, off offset:784
	s_wait_loadcnt_dscnt 0xa01
	v_mul_f64_e32 v[174:175], v[4:5], v[154:155]
	v_mul_f64_e32 v[154:155], v[6:7], v[154:155]
	v_fmac_f64_e32 v[176:177], v[134:135], v[128:129]
	v_fma_f64 v[132:133], v[132:133], v[128:129], -v[130:131]
	scratch_load_b128 v[128:131], off, off offset:800
	v_add_f64_e32 v[134:135], v[182:183], v[180:181]
	v_add_f64_e32 v[172:173], v[172:173], v[178:179]
	s_wait_loadcnt_dscnt 0xa00
	v_mul_f64_e32 v[178:179], v[140:141], v[138:139]
	v_mul_f64_e32 v[138:139], v[142:143], v[138:139]
	v_fmac_f64_e32 v[174:175], v[6:7], v[152:153]
	v_fma_f64 v[152:153], v[4:5], v[152:153], -v[154:155]
	v_add_f64_e32 v[154:155], v[134:135], v[132:133]
	v_add_f64_e32 v[172:173], v[172:173], v[176:177]
	ds_load_b128 v[4:7], v2 offset:1472
	ds_load_b128 v[132:135], v2 offset:1488
	v_fmac_f64_e32 v[178:179], v[142:143], v[136:137]
	v_fma_f64 v[136:137], v[140:141], v[136:137], -v[138:139]
	s_wait_loadcnt_dscnt 0x901
	v_mul_f64_e32 v[176:177], v[4:5], v[170:171]
	v_mul_f64_e32 v[170:171], v[6:7], v[170:171]
	s_wait_loadcnt_dscnt 0x800
	v_mul_f64_e32 v[142:143], v[132:133], v[10:11]
	v_mul_f64_e32 v[10:11], v[134:135], v[10:11]
	v_add_f64_e32 v[138:139], v[154:155], v[152:153]
	v_add_f64_e32 v[140:141], v[172:173], v[174:175]
	v_fmac_f64_e32 v[176:177], v[6:7], v[168:169]
	v_fma_f64 v[152:153], v[4:5], v[168:169], -v[170:171]
	v_fmac_f64_e32 v[142:143], v[134:135], v[8:9]
	v_fma_f64 v[8:9], v[132:133], v[8:9], -v[10:11]
	v_add_f64_e32 v[154:155], v[138:139], v[136:137]
	v_add_f64_e32 v[140:141], v[140:141], v[178:179]
	ds_load_b128 v[4:7], v2 offset:1504
	ds_load_b128 v[136:139], v2 offset:1520
	s_wait_loadcnt_dscnt 0x701
	v_mul_f64_e32 v[168:169], v[4:5], v[158:159]
	v_mul_f64_e32 v[158:159], v[6:7], v[158:159]
	s_wait_loadcnt_dscnt 0x600
	v_mul_f64_e32 v[134:135], v[136:137], v[18:19]
	v_mul_f64_e32 v[18:19], v[138:139], v[18:19]
	v_add_f64_e32 v[10:11], v[154:155], v[152:153]
	v_add_f64_e32 v[132:133], v[140:141], v[176:177]
	v_fmac_f64_e32 v[168:169], v[6:7], v[156:157]
	v_fma_f64 v[140:141], v[4:5], v[156:157], -v[158:159]
	v_fmac_f64_e32 v[134:135], v[138:139], v[16:17]
	v_fma_f64 v[16:17], v[136:137], v[16:17], -v[18:19]
	v_add_f64_e32 v[152:153], v[10:11], v[8:9]
	v_add_f64_e32 v[132:133], v[132:133], v[142:143]
	ds_load_b128 v[4:7], v2 offset:1536
	ds_load_b128 v[8:11], v2 offset:1552
	;; [unrolled: 16-line block ×3, first 2 shown]
	s_wait_loadcnt_dscnt 0x301
	v_mul_f64_e32 v[134:135], v[4:5], v[146:147]
	v_mul_f64_e32 v[146:147], v[6:7], v[146:147]
	v_add_f64_e32 v[10:11], v[18:19], v[140:141]
	v_add_f64_e32 v[12:13], v[132:133], v[142:143]
	s_wait_loadcnt_dscnt 0x200
	v_mul_f64_e32 v[18:19], v[14:15], v[22:23]
	v_mul_f64_e32 v[22:23], v[16:17], v[22:23]
	v_fmac_f64_e32 v[134:135], v[6:7], v[144:145]
	v_fma_f64 v[132:133], v[4:5], v[144:145], -v[146:147]
	v_add_f64_e32 v[138:139], v[10:11], v[8:9]
	v_add_f64_e32 v[12:13], v[12:13], v[136:137]
	ds_load_b128 v[4:7], v2 offset:1600
	ds_load_b128 v[8:11], v2 offset:1616
	v_fmac_f64_e32 v[18:19], v[16:17], v[20:21]
	v_fma_f64 v[14:15], v[14:15], v[20:21], -v[22:23]
	s_wait_loadcnt_dscnt 0x101
	v_mul_f64_e32 v[2:3], v[4:5], v[150:151]
	v_mul_f64_e32 v[136:137], v[6:7], v[150:151]
	s_wait_loadcnt_dscnt 0x0
	v_mul_f64_e32 v[20:21], v[8:9], v[130:131]
	v_mul_f64_e32 v[22:23], v[10:11], v[130:131]
	v_add_f64_e32 v[16:17], v[138:139], v[132:133]
	v_add_f64_e32 v[12:13], v[12:13], v[134:135]
	v_fmac_f64_e32 v[2:3], v[6:7], v[148:149]
	v_fma_f64 v[4:5], v[4:5], v[148:149], -v[136:137]
	v_fmac_f64_e32 v[20:21], v[10:11], v[128:129]
	v_fma_f64 v[8:9], v[8:9], v[128:129], -v[22:23]
	v_add_f64_e32 v[6:7], v[16:17], v[14:15]
	v_add_f64_e32 v[12:13], v[12:13], v[18:19]
	s_delay_alu instid0(VALU_DEP_2) | instskip(NEXT) | instid1(VALU_DEP_2)
	v_add_f64_e32 v[4:5], v[6:7], v[4:5]
	v_add_f64_e32 v[2:3], v[12:13], v[2:3]
	s_delay_alu instid0(VALU_DEP_2) | instskip(NEXT) | instid1(VALU_DEP_2)
	;; [unrolled: 3-line block ×3, first 2 shown]
	v_add_f64_e64 v[2:3], v[160:161], -v[4:5]
	v_add_f64_e64 v[4:5], v[162:163], -v[6:7]
	scratch_store_b128 off, v[2:5], off offset:256
	s_wait_xcnt 0x0
	v_cmpx_lt_u32_e32 15, v1
	s_cbranch_execz .LBB114_289
; %bb.288:
	scratch_load_b128 v[2:5], off, s52
	v_mov_b32_e32 v6, 0
	s_delay_alu instid0(VALU_DEP_1)
	v_dual_mov_b32 v7, v6 :: v_dual_mov_b32 v8, v6
	v_mov_b32_e32 v9, v6
	scratch_store_b128 off, v[6:9], off offset:240
	s_wait_loadcnt 0x0
	ds_store_b128 v126, v[2:5]
.LBB114_289:
	s_wait_xcnt 0x0
	s_or_b32 exec_lo, exec_lo, s2
	s_wait_storecnt_dscnt 0x0
	s_barrier_signal -1
	s_barrier_wait -1
	s_clause 0x9
	scratch_load_b128 v[4:7], off, off offset:256
	scratch_load_b128 v[8:11], off, off offset:272
	;; [unrolled: 1-line block ×10, first 2 shown]
	v_mov_b32_e32 v2, 0
	s_mov_b32 s2, exec_lo
	ds_load_b128 v[148:151], v2 offset:1072
	s_clause 0x2
	scratch_load_b128 v[152:155], off, off offset:416
	scratch_load_b128 v[156:159], off, off offset:240
	;; [unrolled: 1-line block ×3, first 2 shown]
	s_wait_loadcnt_dscnt 0xc00
	v_mul_f64_e32 v[168:169], v[150:151], v[6:7]
	v_mul_f64_e32 v[172:173], v[148:149], v[6:7]
	ds_load_b128 v[160:163], v2 offset:1088
	v_fma_f64 v[176:177], v[148:149], v[4:5], -v[168:169]
	v_fmac_f64_e32 v[172:173], v[150:151], v[4:5]
	ds_load_b128 v[4:7], v2 offset:1104
	s_wait_loadcnt_dscnt 0xb01
	v_mul_f64_e32 v[174:175], v[160:161], v[10:11]
	v_mul_f64_e32 v[10:11], v[162:163], v[10:11]
	scratch_load_b128 v[148:151], off, off offset:448
	ds_load_b128 v[168:171], v2 offset:1120
	s_wait_loadcnt_dscnt 0xb01
	v_mul_f64_e32 v[178:179], v[4:5], v[14:15]
	v_mul_f64_e32 v[14:15], v[6:7], v[14:15]
	v_add_f64_e32 v[172:173], 0, v[172:173]
	v_fmac_f64_e32 v[174:175], v[162:163], v[8:9]
	v_fma_f64 v[160:161], v[160:161], v[8:9], -v[10:11]
	v_add_f64_e32 v[162:163], 0, v[176:177]
	scratch_load_b128 v[8:11], off, off offset:464
	v_fmac_f64_e32 v[178:179], v[6:7], v[12:13]
	v_fma_f64 v[180:181], v[4:5], v[12:13], -v[14:15]
	ds_load_b128 v[4:7], v2 offset:1136
	s_wait_loadcnt_dscnt 0xb01
	v_mul_f64_e32 v[176:177], v[168:169], v[18:19]
	v_mul_f64_e32 v[18:19], v[170:171], v[18:19]
	scratch_load_b128 v[12:15], off, off offset:480
	v_add_f64_e32 v[172:173], v[172:173], v[174:175]
	v_add_f64_e32 v[182:183], v[162:163], v[160:161]
	ds_load_b128 v[160:163], v2 offset:1152
	s_wait_loadcnt_dscnt 0xb01
	v_mul_f64_e32 v[174:175], v[4:5], v[22:23]
	v_mul_f64_e32 v[22:23], v[6:7], v[22:23]
	v_fmac_f64_e32 v[176:177], v[170:171], v[16:17]
	v_fma_f64 v[168:169], v[168:169], v[16:17], -v[18:19]
	scratch_load_b128 v[16:19], off, off offset:496
	v_add_f64_e32 v[172:173], v[172:173], v[178:179]
	v_add_f64_e32 v[170:171], v[182:183], v[180:181]
	v_fmac_f64_e32 v[174:175], v[6:7], v[20:21]
	v_fma_f64 v[180:181], v[4:5], v[20:21], -v[22:23]
	ds_load_b128 v[4:7], v2 offset:1168
	s_wait_loadcnt_dscnt 0xb01
	v_mul_f64_e32 v[178:179], v[160:161], v[130:131]
	v_mul_f64_e32 v[130:131], v[162:163], v[130:131]
	scratch_load_b128 v[20:23], off, off offset:512
	v_add_f64_e32 v[172:173], v[172:173], v[176:177]
	s_wait_loadcnt_dscnt 0xb00
	v_mul_f64_e32 v[176:177], v[4:5], v[134:135]
	v_add_f64_e32 v[182:183], v[170:171], v[168:169]
	v_mul_f64_e32 v[134:135], v[6:7], v[134:135]
	ds_load_b128 v[168:171], v2 offset:1184
	v_fmac_f64_e32 v[178:179], v[162:163], v[128:129]
	v_fma_f64 v[160:161], v[160:161], v[128:129], -v[130:131]
	scratch_load_b128 v[128:131], off, off offset:528
	v_add_f64_e32 v[172:173], v[172:173], v[174:175]
	v_fmac_f64_e32 v[176:177], v[6:7], v[132:133]
	v_add_f64_e32 v[162:163], v[182:183], v[180:181]
	v_fma_f64 v[180:181], v[4:5], v[132:133], -v[134:135]
	ds_load_b128 v[4:7], v2 offset:1200
	s_wait_loadcnt_dscnt 0xb01
	v_mul_f64_e32 v[174:175], v[168:169], v[138:139]
	v_mul_f64_e32 v[138:139], v[170:171], v[138:139]
	scratch_load_b128 v[132:135], off, off offset:544
	v_add_f64_e32 v[172:173], v[172:173], v[178:179]
	s_wait_loadcnt_dscnt 0xb00
	v_mul_f64_e32 v[178:179], v[4:5], v[142:143]
	v_add_f64_e32 v[182:183], v[162:163], v[160:161]
	v_mul_f64_e32 v[142:143], v[6:7], v[142:143]
	ds_load_b128 v[160:163], v2 offset:1216
	v_fmac_f64_e32 v[174:175], v[170:171], v[136:137]
	v_fma_f64 v[168:169], v[168:169], v[136:137], -v[138:139]
	scratch_load_b128 v[136:139], off, off offset:560
	v_add_f64_e32 v[172:173], v[172:173], v[176:177]
	v_fmac_f64_e32 v[178:179], v[6:7], v[140:141]
	v_add_f64_e32 v[170:171], v[182:183], v[180:181]
	;; [unrolled: 18-line block ×3, first 2 shown]
	v_fma_f64 v[180:181], v[4:5], v[152:153], -v[154:155]
	ds_load_b128 v[4:7], v2 offset:1264
	s_wait_loadcnt_dscnt 0xa01
	v_mul_f64_e32 v[178:179], v[168:169], v[166:167]
	v_mul_f64_e32 v[166:167], v[170:171], v[166:167]
	scratch_load_b128 v[152:155], off, off offset:608
	v_add_f64_e32 v[172:173], v[172:173], v[176:177]
	v_add_f64_e32 v[182:183], v[162:163], v[160:161]
	s_wait_loadcnt_dscnt 0xa00
	v_mul_f64_e32 v[176:177], v[4:5], v[150:151]
	v_mul_f64_e32 v[150:151], v[6:7], v[150:151]
	v_fmac_f64_e32 v[178:179], v[170:171], v[164:165]
	v_fma_f64 v[168:169], v[168:169], v[164:165], -v[166:167]
	ds_load_b128 v[160:163], v2 offset:1280
	scratch_load_b128 v[164:167], off, off offset:624
	v_add_f64_e32 v[172:173], v[172:173], v[174:175]
	v_add_f64_e32 v[170:171], v[182:183], v[180:181]
	v_fmac_f64_e32 v[176:177], v[6:7], v[148:149]
	v_fma_f64 v[180:181], v[4:5], v[148:149], -v[150:151]
	ds_load_b128 v[4:7], v2 offset:1296
	s_wait_loadcnt_dscnt 0xa01
	v_mul_f64_e32 v[174:175], v[160:161], v[10:11]
	v_mul_f64_e32 v[10:11], v[162:163], v[10:11]
	scratch_load_b128 v[148:151], off, off offset:640
	v_add_f64_e32 v[172:173], v[172:173], v[178:179]
	s_wait_loadcnt_dscnt 0xa00
	v_mul_f64_e32 v[178:179], v[4:5], v[14:15]
	v_add_f64_e32 v[182:183], v[170:171], v[168:169]
	v_mul_f64_e32 v[14:15], v[6:7], v[14:15]
	ds_load_b128 v[168:171], v2 offset:1312
	v_fmac_f64_e32 v[174:175], v[162:163], v[8:9]
	v_fma_f64 v[160:161], v[160:161], v[8:9], -v[10:11]
	scratch_load_b128 v[8:11], off, off offset:656
	v_add_f64_e32 v[172:173], v[172:173], v[176:177]
	v_fmac_f64_e32 v[178:179], v[6:7], v[12:13]
	v_add_f64_e32 v[162:163], v[182:183], v[180:181]
	v_fma_f64 v[180:181], v[4:5], v[12:13], -v[14:15]
	ds_load_b128 v[4:7], v2 offset:1328
	s_wait_loadcnt_dscnt 0xa01
	v_mul_f64_e32 v[176:177], v[168:169], v[18:19]
	v_mul_f64_e32 v[18:19], v[170:171], v[18:19]
	scratch_load_b128 v[12:15], off, off offset:672
	v_add_f64_e32 v[172:173], v[172:173], v[174:175]
	s_wait_loadcnt_dscnt 0xa00
	v_mul_f64_e32 v[174:175], v[4:5], v[22:23]
	v_add_f64_e32 v[182:183], v[162:163], v[160:161]
	v_mul_f64_e32 v[22:23], v[6:7], v[22:23]
	ds_load_b128 v[160:163], v2 offset:1344
	v_fmac_f64_e32 v[176:177], v[170:171], v[16:17]
	v_fma_f64 v[168:169], v[168:169], v[16:17], -v[18:19]
	scratch_load_b128 v[16:19], off, off offset:688
	v_add_f64_e32 v[172:173], v[172:173], v[178:179]
	v_fmac_f64_e32 v[174:175], v[6:7], v[20:21]
	v_add_f64_e32 v[170:171], v[182:183], v[180:181]
	;; [unrolled: 18-line block ×5, first 2 shown]
	v_fma_f64 v[180:181], v[4:5], v[152:153], -v[154:155]
	ds_load_b128 v[4:7], v2 offset:1456
	s_wait_loadcnt_dscnt 0xa01
	v_mul_f64_e32 v[178:179], v[168:169], v[166:167]
	v_mul_f64_e32 v[166:167], v[170:171], v[166:167]
	scratch_load_b128 v[152:155], off, off offset:800
	v_add_f64_e32 v[172:173], v[172:173], v[176:177]
	s_wait_loadcnt_dscnt 0xa00
	v_mul_f64_e32 v[176:177], v[4:5], v[150:151]
	v_add_f64_e32 v[182:183], v[162:163], v[160:161]
	v_mul_f64_e32 v[150:151], v[6:7], v[150:151]
	ds_load_b128 v[160:163], v2 offset:1472
	v_fmac_f64_e32 v[178:179], v[170:171], v[164:165]
	v_fma_f64 v[164:165], v[168:169], v[164:165], -v[166:167]
	s_wait_loadcnt_dscnt 0x900
	v_mul_f64_e32 v[170:171], v[160:161], v[10:11]
	v_mul_f64_e32 v[10:11], v[162:163], v[10:11]
	v_add_f64_e32 v[168:169], v[172:173], v[174:175]
	v_fmac_f64_e32 v[176:177], v[6:7], v[148:149]
	v_add_f64_e32 v[166:167], v[182:183], v[180:181]
	v_fma_f64 v[172:173], v[4:5], v[148:149], -v[150:151]
	ds_load_b128 v[4:7], v2 offset:1488
	ds_load_b128 v[148:151], v2 offset:1504
	v_fmac_f64_e32 v[170:171], v[162:163], v[8:9]
	v_fma_f64 v[8:9], v[160:161], v[8:9], -v[10:11]
	v_add_f64_e32 v[164:165], v[166:167], v[164:165]
	v_add_f64_e32 v[166:167], v[168:169], v[178:179]
	s_wait_loadcnt_dscnt 0x801
	v_mul_f64_e32 v[168:169], v[4:5], v[14:15]
	v_mul_f64_e32 v[14:15], v[6:7], v[14:15]
	s_wait_loadcnt_dscnt 0x700
	v_mul_f64_e32 v[162:163], v[148:149], v[18:19]
	v_mul_f64_e32 v[18:19], v[150:151], v[18:19]
	v_add_f64_e32 v[10:11], v[164:165], v[172:173]
	v_add_f64_e32 v[160:161], v[166:167], v[176:177]
	v_fmac_f64_e32 v[168:169], v[6:7], v[12:13]
	v_fma_f64 v[12:13], v[4:5], v[12:13], -v[14:15]
	v_fmac_f64_e32 v[162:163], v[150:151], v[16:17]
	v_fma_f64 v[16:17], v[148:149], v[16:17], -v[18:19]
	v_add_f64_e32 v[14:15], v[10:11], v[8:9]
	v_add_f64_e32 v[160:161], v[160:161], v[170:171]
	ds_load_b128 v[4:7], v2 offset:1520
	ds_load_b128 v[8:11], v2 offset:1536
	s_wait_loadcnt_dscnt 0x601
	v_mul_f64_e32 v[164:165], v[4:5], v[22:23]
	v_mul_f64_e32 v[22:23], v[6:7], v[22:23]
	s_wait_loadcnt_dscnt 0x500
	v_mul_f64_e32 v[18:19], v[8:9], v[130:131]
	v_mul_f64_e32 v[130:131], v[10:11], v[130:131]
	v_add_f64_e32 v[12:13], v[14:15], v[12:13]
	v_add_f64_e32 v[14:15], v[160:161], v[168:169]
	v_fmac_f64_e32 v[164:165], v[6:7], v[20:21]
	v_fma_f64 v[20:21], v[4:5], v[20:21], -v[22:23]
	v_fmac_f64_e32 v[18:19], v[10:11], v[128:129]
	v_fma_f64 v[8:9], v[8:9], v[128:129], -v[130:131]
	v_add_f64_e32 v[16:17], v[12:13], v[16:17]
	v_add_f64_e32 v[22:23], v[14:15], v[162:163]
	ds_load_b128 v[4:7], v2 offset:1552
	ds_load_b128 v[12:15], v2 offset:1568
	s_wait_loadcnt_dscnt 0x401
	v_mul_f64_e32 v[148:149], v[4:5], v[134:135]
	v_mul_f64_e32 v[134:135], v[6:7], v[134:135]
	v_add_f64_e32 v[10:11], v[16:17], v[20:21]
	v_add_f64_e32 v[16:17], v[22:23], v[164:165]
	s_wait_loadcnt_dscnt 0x300
	v_mul_f64_e32 v[20:21], v[12:13], v[138:139]
	v_mul_f64_e32 v[22:23], v[14:15], v[138:139]
	v_fmac_f64_e32 v[148:149], v[6:7], v[132:133]
	v_fma_f64 v[128:129], v[4:5], v[132:133], -v[134:135]
	v_add_f64_e32 v[130:131], v[10:11], v[8:9]
	v_add_f64_e32 v[16:17], v[16:17], v[18:19]
	ds_load_b128 v[4:7], v2 offset:1584
	ds_load_b128 v[8:11], v2 offset:1600
	v_fmac_f64_e32 v[20:21], v[14:15], v[136:137]
	v_fma_f64 v[12:13], v[12:13], v[136:137], -v[22:23]
	s_wait_loadcnt_dscnt 0x201
	v_mul_f64_e32 v[18:19], v[4:5], v[142:143]
	v_mul_f64_e32 v[132:133], v[6:7], v[142:143]
	s_wait_loadcnt_dscnt 0x100
	v_mul_f64_e32 v[22:23], v[8:9], v[146:147]
	v_add_f64_e32 v[14:15], v[130:131], v[128:129]
	v_add_f64_e32 v[16:17], v[16:17], v[148:149]
	v_mul_f64_e32 v[128:129], v[10:11], v[146:147]
	v_fmac_f64_e32 v[18:19], v[6:7], v[140:141]
	v_fma_f64 v[130:131], v[4:5], v[140:141], -v[132:133]
	ds_load_b128 v[4:7], v2 offset:1616
	v_fmac_f64_e32 v[22:23], v[10:11], v[144:145]
	v_add_f64_e32 v[12:13], v[14:15], v[12:13]
	v_add_f64_e32 v[14:15], v[16:17], v[20:21]
	v_fma_f64 v[8:9], v[8:9], v[144:145], -v[128:129]
	s_wait_loadcnt_dscnt 0x0
	v_mul_f64_e32 v[16:17], v[4:5], v[154:155]
	v_mul_f64_e32 v[20:21], v[6:7], v[154:155]
	v_add_f64_e32 v[10:11], v[12:13], v[130:131]
	v_add_f64_e32 v[12:13], v[14:15], v[18:19]
	s_delay_alu instid0(VALU_DEP_4) | instskip(NEXT) | instid1(VALU_DEP_4)
	v_fmac_f64_e32 v[16:17], v[6:7], v[152:153]
	v_fma_f64 v[4:5], v[4:5], v[152:153], -v[20:21]
	s_delay_alu instid0(VALU_DEP_4) | instskip(NEXT) | instid1(VALU_DEP_4)
	v_add_f64_e32 v[6:7], v[10:11], v[8:9]
	v_add_f64_e32 v[8:9], v[12:13], v[22:23]
	s_delay_alu instid0(VALU_DEP_2) | instskip(NEXT) | instid1(VALU_DEP_2)
	v_add_f64_e32 v[4:5], v[6:7], v[4:5]
	v_add_f64_e32 v[6:7], v[8:9], v[16:17]
	s_delay_alu instid0(VALU_DEP_2) | instskip(NEXT) | instid1(VALU_DEP_2)
	v_add_f64_e64 v[4:5], v[156:157], -v[4:5]
	v_add_f64_e64 v[6:7], v[158:159], -v[6:7]
	scratch_store_b128 off, v[4:7], off offset:240
	s_wait_xcnt 0x0
	v_cmpx_lt_u32_e32 14, v1
	s_cbranch_execz .LBB114_291
; %bb.290:
	scratch_load_b128 v[6:9], off, s53
	v_dual_mov_b32 v3, v2 :: v_dual_mov_b32 v4, v2
	v_mov_b32_e32 v5, v2
	scratch_store_b128 off, v[2:5], off offset:224
	s_wait_loadcnt 0x0
	ds_store_b128 v126, v[6:9]
.LBB114_291:
	s_wait_xcnt 0x0
	s_or_b32 exec_lo, exec_lo, s2
	s_wait_storecnt_dscnt 0x0
	s_barrier_signal -1
	s_barrier_wait -1
	s_clause 0x9
	scratch_load_b128 v[4:7], off, off offset:240
	scratch_load_b128 v[8:11], off, off offset:256
	;; [unrolled: 1-line block ×10, first 2 shown]
	ds_load_b128 v[148:151], v2 offset:1056
	ds_load_b128 v[156:159], v2 offset:1072
	s_clause 0x2
	scratch_load_b128 v[152:155], off, off offset:400
	scratch_load_b128 v[160:163], off, off offset:224
	;; [unrolled: 1-line block ×3, first 2 shown]
	s_mov_b32 s2, exec_lo
	s_wait_loadcnt_dscnt 0xc01
	v_mul_f64_e32 v[168:169], v[150:151], v[6:7]
	v_mul_f64_e32 v[172:173], v[148:149], v[6:7]
	s_wait_loadcnt_dscnt 0xb00
	v_mul_f64_e32 v[174:175], v[156:157], v[10:11]
	v_mul_f64_e32 v[10:11], v[158:159], v[10:11]
	s_delay_alu instid0(VALU_DEP_4) | instskip(NEXT) | instid1(VALU_DEP_4)
	v_fma_f64 v[176:177], v[148:149], v[4:5], -v[168:169]
	v_fmac_f64_e32 v[172:173], v[150:151], v[4:5]
	ds_load_b128 v[4:7], v2 offset:1088
	ds_load_b128 v[148:151], v2 offset:1104
	scratch_load_b128 v[168:171], off, off offset:432
	v_fmac_f64_e32 v[174:175], v[158:159], v[8:9]
	v_fma_f64 v[156:157], v[156:157], v[8:9], -v[10:11]
	scratch_load_b128 v[8:11], off, off offset:448
	s_wait_loadcnt_dscnt 0xc01
	v_mul_f64_e32 v[178:179], v[4:5], v[14:15]
	v_mul_f64_e32 v[14:15], v[6:7], v[14:15]
	v_add_f64_e32 v[158:159], 0, v[176:177]
	v_add_f64_e32 v[172:173], 0, v[172:173]
	s_wait_loadcnt_dscnt 0xb00
	v_mul_f64_e32 v[176:177], v[148:149], v[18:19]
	v_mul_f64_e32 v[18:19], v[150:151], v[18:19]
	v_fmac_f64_e32 v[178:179], v[6:7], v[12:13]
	v_fma_f64 v[180:181], v[4:5], v[12:13], -v[14:15]
	ds_load_b128 v[4:7], v2 offset:1120
	ds_load_b128 v[12:15], v2 offset:1136
	v_add_f64_e32 v[182:183], v[158:159], v[156:157]
	v_add_f64_e32 v[172:173], v[172:173], v[174:175]
	scratch_load_b128 v[156:159], off, off offset:464
	v_fmac_f64_e32 v[176:177], v[150:151], v[16:17]
	v_fma_f64 v[148:149], v[148:149], v[16:17], -v[18:19]
	scratch_load_b128 v[16:19], off, off offset:480
	s_wait_loadcnt_dscnt 0xc01
	v_mul_f64_e32 v[174:175], v[4:5], v[22:23]
	v_mul_f64_e32 v[22:23], v[6:7], v[22:23]
	v_add_f64_e32 v[150:151], v[182:183], v[180:181]
	v_add_f64_e32 v[172:173], v[172:173], v[178:179]
	s_wait_loadcnt_dscnt 0xb00
	v_mul_f64_e32 v[178:179], v[12:13], v[130:131]
	v_mul_f64_e32 v[130:131], v[14:15], v[130:131]
	v_fmac_f64_e32 v[174:175], v[6:7], v[20:21]
	v_fma_f64 v[180:181], v[4:5], v[20:21], -v[22:23]
	ds_load_b128 v[4:7], v2 offset:1152
	ds_load_b128 v[20:23], v2 offset:1168
	v_add_f64_e32 v[182:183], v[150:151], v[148:149]
	v_add_f64_e32 v[172:173], v[172:173], v[176:177]
	scratch_load_b128 v[148:151], off, off offset:496
	s_wait_loadcnt_dscnt 0xb01
	v_mul_f64_e32 v[176:177], v[4:5], v[134:135]
	v_mul_f64_e32 v[134:135], v[6:7], v[134:135]
	v_fmac_f64_e32 v[178:179], v[14:15], v[128:129]
	v_fma_f64 v[128:129], v[12:13], v[128:129], -v[130:131]
	scratch_load_b128 v[12:15], off, off offset:512
	v_add_f64_e32 v[130:131], v[182:183], v[180:181]
	v_add_f64_e32 v[172:173], v[172:173], v[174:175]
	s_wait_loadcnt_dscnt 0xb00
	v_mul_f64_e32 v[174:175], v[20:21], v[138:139]
	v_mul_f64_e32 v[138:139], v[22:23], v[138:139]
	v_fmac_f64_e32 v[176:177], v[6:7], v[132:133]
	v_fma_f64 v[180:181], v[4:5], v[132:133], -v[134:135]
	v_add_f64_e32 v[182:183], v[130:131], v[128:129]
	v_add_f64_e32 v[172:173], v[172:173], v[178:179]
	ds_load_b128 v[4:7], v2 offset:1184
	ds_load_b128 v[128:131], v2 offset:1200
	scratch_load_b128 v[132:135], off, off offset:528
	v_fmac_f64_e32 v[174:175], v[22:23], v[136:137]
	v_fma_f64 v[136:137], v[20:21], v[136:137], -v[138:139]
	scratch_load_b128 v[20:23], off, off offset:544
	s_wait_loadcnt_dscnt 0xc01
	v_mul_f64_e32 v[178:179], v[4:5], v[142:143]
	v_mul_f64_e32 v[142:143], v[6:7], v[142:143]
	v_add_f64_e32 v[138:139], v[182:183], v[180:181]
	v_add_f64_e32 v[172:173], v[172:173], v[176:177]
	s_wait_loadcnt_dscnt 0xb00
	v_mul_f64_e32 v[176:177], v[128:129], v[146:147]
	v_mul_f64_e32 v[146:147], v[130:131], v[146:147]
	v_fmac_f64_e32 v[178:179], v[6:7], v[140:141]
	v_fma_f64 v[180:181], v[4:5], v[140:141], -v[142:143]
	v_add_f64_e32 v[182:183], v[138:139], v[136:137]
	v_add_f64_e32 v[172:173], v[172:173], v[174:175]
	ds_load_b128 v[4:7], v2 offset:1216
	ds_load_b128 v[136:139], v2 offset:1232
	scratch_load_b128 v[140:143], off, off offset:560
	v_fmac_f64_e32 v[176:177], v[130:131], v[144:145]
	v_fma_f64 v[144:145], v[128:129], v[144:145], -v[146:147]
	scratch_load_b128 v[128:131], off, off offset:576
	s_wait_loadcnt_dscnt 0xc01
	v_mul_f64_e32 v[174:175], v[4:5], v[154:155]
	v_mul_f64_e32 v[154:155], v[6:7], v[154:155]
	;; [unrolled: 18-line block ×5, first 2 shown]
	v_add_f64_e32 v[166:167], v[182:183], v[180:181]
	v_add_f64_e32 v[172:173], v[172:173], v[178:179]
	s_wait_loadcnt_dscnt 0xa00
	v_mul_f64_e32 v[178:179], v[144:145], v[14:15]
	v_mul_f64_e32 v[14:15], v[146:147], v[14:15]
	v_fmac_f64_e32 v[174:175], v[6:7], v[148:149]
	v_fma_f64 v[180:181], v[4:5], v[148:149], -v[150:151]
	ds_load_b128 v[4:7], v2 offset:1344
	ds_load_b128 v[148:151], v2 offset:1360
	v_add_f64_e32 v[182:183], v[166:167], v[164:165]
	v_add_f64_e32 v[172:173], v[172:173], v[176:177]
	scratch_load_b128 v[164:167], off, off offset:688
	v_fmac_f64_e32 v[178:179], v[146:147], v[12:13]
	v_fma_f64 v[144:145], v[144:145], v[12:13], -v[14:15]
	scratch_load_b128 v[12:15], off, off offset:704
	s_wait_loadcnt_dscnt 0xb01
	v_mul_f64_e32 v[176:177], v[4:5], v[134:135]
	v_mul_f64_e32 v[134:135], v[6:7], v[134:135]
	v_add_f64_e32 v[146:147], v[182:183], v[180:181]
	v_add_f64_e32 v[172:173], v[172:173], v[174:175]
	s_wait_loadcnt_dscnt 0xa00
	v_mul_f64_e32 v[174:175], v[148:149], v[22:23]
	v_mul_f64_e32 v[22:23], v[150:151], v[22:23]
	v_fmac_f64_e32 v[176:177], v[6:7], v[132:133]
	v_fma_f64 v[180:181], v[4:5], v[132:133], -v[134:135]
	ds_load_b128 v[4:7], v2 offset:1376
	ds_load_b128 v[132:135], v2 offset:1392
	v_add_f64_e32 v[182:183], v[146:147], v[144:145]
	v_add_f64_e32 v[172:173], v[172:173], v[178:179]
	scratch_load_b128 v[144:147], off, off offset:720
	s_wait_loadcnt_dscnt 0xa01
	v_mul_f64_e32 v[178:179], v[4:5], v[142:143]
	v_mul_f64_e32 v[142:143], v[6:7], v[142:143]
	v_fmac_f64_e32 v[174:175], v[150:151], v[20:21]
	v_fma_f64 v[148:149], v[148:149], v[20:21], -v[22:23]
	scratch_load_b128 v[20:23], off, off offset:736
	v_add_f64_e32 v[150:151], v[182:183], v[180:181]
	v_add_f64_e32 v[172:173], v[172:173], v[176:177]
	s_wait_loadcnt_dscnt 0xa00
	v_mul_f64_e32 v[176:177], v[132:133], v[130:131]
	v_mul_f64_e32 v[130:131], v[134:135], v[130:131]
	v_fmac_f64_e32 v[178:179], v[6:7], v[140:141]
	v_fma_f64 v[180:181], v[4:5], v[140:141], -v[142:143]
	ds_load_b128 v[4:7], v2 offset:1408
	ds_load_b128 v[140:143], v2 offset:1424
	v_add_f64_e32 v[182:183], v[150:151], v[148:149]
	v_add_f64_e32 v[172:173], v[172:173], v[174:175]
	scratch_load_b128 v[148:151], off, off offset:752
	s_wait_loadcnt_dscnt 0xa01
	v_mul_f64_e32 v[174:175], v[4:5], v[154:155]
	v_mul_f64_e32 v[154:155], v[6:7], v[154:155]
	v_fmac_f64_e32 v[176:177], v[134:135], v[128:129]
	v_fma_f64 v[132:133], v[132:133], v[128:129], -v[130:131]
	scratch_load_b128 v[128:131], off, off offset:768
	v_add_f64_e32 v[134:135], v[182:183], v[180:181]
	v_add_f64_e32 v[172:173], v[172:173], v[178:179]
	s_wait_loadcnt_dscnt 0xa00
	v_mul_f64_e32 v[178:179], v[140:141], v[138:139]
	v_mul_f64_e32 v[138:139], v[142:143], v[138:139]
	v_fmac_f64_e32 v[174:175], v[6:7], v[152:153]
	v_fma_f64 v[180:181], v[4:5], v[152:153], -v[154:155]
	v_add_f64_e32 v[182:183], v[134:135], v[132:133]
	v_add_f64_e32 v[172:173], v[172:173], v[176:177]
	ds_load_b128 v[4:7], v2 offset:1440
	ds_load_b128 v[132:135], v2 offset:1456
	scratch_load_b128 v[152:155], off, off offset:784
	v_fmac_f64_e32 v[178:179], v[142:143], v[136:137]
	v_fma_f64 v[140:141], v[140:141], v[136:137], -v[138:139]
	scratch_load_b128 v[136:139], off, off offset:800
	s_wait_loadcnt_dscnt 0xb01
	v_mul_f64_e32 v[176:177], v[4:5], v[170:171]
	v_mul_f64_e32 v[170:171], v[6:7], v[170:171]
	v_add_f64_e32 v[142:143], v[182:183], v[180:181]
	v_add_f64_e32 v[172:173], v[172:173], v[174:175]
	s_wait_loadcnt_dscnt 0xa00
	v_mul_f64_e32 v[174:175], v[132:133], v[10:11]
	v_mul_f64_e32 v[10:11], v[134:135], v[10:11]
	v_fmac_f64_e32 v[176:177], v[6:7], v[168:169]
	v_fma_f64 v[168:169], v[4:5], v[168:169], -v[170:171]
	v_add_f64_e32 v[170:171], v[142:143], v[140:141]
	v_add_f64_e32 v[172:173], v[172:173], v[178:179]
	ds_load_b128 v[4:7], v2 offset:1472
	ds_load_b128 v[140:143], v2 offset:1488
	v_fmac_f64_e32 v[174:175], v[134:135], v[8:9]
	v_fma_f64 v[8:9], v[132:133], v[8:9], -v[10:11]
	s_wait_loadcnt_dscnt 0x901
	v_mul_f64_e32 v[178:179], v[4:5], v[158:159]
	v_mul_f64_e32 v[158:159], v[6:7], v[158:159]
	s_wait_loadcnt_dscnt 0x800
	v_mul_f64_e32 v[134:135], v[140:141], v[18:19]
	v_mul_f64_e32 v[18:19], v[142:143], v[18:19]
	v_add_f64_e32 v[10:11], v[170:171], v[168:169]
	v_add_f64_e32 v[132:133], v[172:173], v[176:177]
	v_fmac_f64_e32 v[178:179], v[6:7], v[156:157]
	v_fma_f64 v[156:157], v[4:5], v[156:157], -v[158:159]
	v_fmac_f64_e32 v[134:135], v[142:143], v[16:17]
	v_fma_f64 v[16:17], v[140:141], v[16:17], -v[18:19]
	v_add_f64_e32 v[158:159], v[10:11], v[8:9]
	v_add_f64_e32 v[132:133], v[132:133], v[174:175]
	ds_load_b128 v[4:7], v2 offset:1504
	ds_load_b128 v[8:11], v2 offset:1520
	s_wait_loadcnt_dscnt 0x701
	v_mul_f64_e32 v[168:169], v[4:5], v[166:167]
	v_mul_f64_e32 v[166:167], v[6:7], v[166:167]
	s_wait_loadcnt_dscnt 0x600
	v_mul_f64_e32 v[140:141], v[8:9], v[14:15]
	v_mul_f64_e32 v[142:143], v[10:11], v[14:15]
	v_add_f64_e32 v[18:19], v[158:159], v[156:157]
	v_add_f64_e32 v[132:133], v[132:133], v[178:179]
	v_fmac_f64_e32 v[168:169], v[6:7], v[164:165]
	v_fma_f64 v[156:157], v[4:5], v[164:165], -v[166:167]
	v_fmac_f64_e32 v[140:141], v[10:11], v[12:13]
	v_fma_f64 v[8:9], v[8:9], v[12:13], -v[142:143]
	v_add_f64_e32 v[18:19], v[18:19], v[16:17]
	v_add_f64_e32 v[132:133], v[132:133], v[134:135]
	ds_load_b128 v[4:7], v2 offset:1536
	ds_load_b128 v[14:17], v2 offset:1552
	s_wait_loadcnt_dscnt 0x501
	v_mul_f64_e32 v[134:135], v[4:5], v[146:147]
	v_mul_f64_e32 v[146:147], v[6:7], v[146:147]
	v_add_f64_e32 v[10:11], v[18:19], v[156:157]
	v_add_f64_e32 v[12:13], v[132:133], v[168:169]
	s_wait_loadcnt_dscnt 0x400
	v_mul_f64_e32 v[18:19], v[14:15], v[22:23]
	v_mul_f64_e32 v[22:23], v[16:17], v[22:23]
	v_fmac_f64_e32 v[134:135], v[6:7], v[144:145]
	v_fma_f64 v[132:133], v[4:5], v[144:145], -v[146:147]
	v_add_f64_e32 v[142:143], v[10:11], v[8:9]
	v_add_f64_e32 v[12:13], v[12:13], v[140:141]
	ds_load_b128 v[4:7], v2 offset:1568
	ds_load_b128 v[8:11], v2 offset:1584
	v_fmac_f64_e32 v[18:19], v[16:17], v[20:21]
	v_fma_f64 v[14:15], v[14:15], v[20:21], -v[22:23]
	s_wait_loadcnt_dscnt 0x301
	v_mul_f64_e32 v[140:141], v[4:5], v[150:151]
	v_mul_f64_e32 v[144:145], v[6:7], v[150:151]
	s_wait_loadcnt_dscnt 0x200
	v_mul_f64_e32 v[20:21], v[8:9], v[130:131]
	v_mul_f64_e32 v[22:23], v[10:11], v[130:131]
	v_add_f64_e32 v[16:17], v[142:143], v[132:133]
	v_add_f64_e32 v[12:13], v[12:13], v[134:135]
	v_fmac_f64_e32 v[140:141], v[6:7], v[148:149]
	v_fma_f64 v[130:131], v[4:5], v[148:149], -v[144:145]
	v_fmac_f64_e32 v[20:21], v[10:11], v[128:129]
	v_fma_f64 v[8:9], v[8:9], v[128:129], -v[22:23]
	v_add_f64_e32 v[16:17], v[16:17], v[14:15]
	v_add_f64_e32 v[18:19], v[12:13], v[18:19]
	ds_load_b128 v[4:7], v2 offset:1600
	ds_load_b128 v[12:15], v2 offset:1616
	s_wait_loadcnt_dscnt 0x101
	v_mul_f64_e32 v[2:3], v[4:5], v[154:155]
	v_mul_f64_e32 v[132:133], v[6:7], v[154:155]
	s_wait_loadcnt_dscnt 0x0
	v_mul_f64_e32 v[22:23], v[14:15], v[138:139]
	v_add_f64_e32 v[10:11], v[16:17], v[130:131]
	v_add_f64_e32 v[16:17], v[18:19], v[140:141]
	v_mul_f64_e32 v[18:19], v[12:13], v[138:139]
	v_fmac_f64_e32 v[2:3], v[6:7], v[152:153]
	v_fma_f64 v[4:5], v[4:5], v[152:153], -v[132:133]
	v_add_f64_e32 v[6:7], v[10:11], v[8:9]
	v_add_f64_e32 v[8:9], v[16:17], v[20:21]
	v_fmac_f64_e32 v[18:19], v[14:15], v[136:137]
	v_fma_f64 v[10:11], v[12:13], v[136:137], -v[22:23]
	s_delay_alu instid0(VALU_DEP_4) | instskip(NEXT) | instid1(VALU_DEP_4)
	v_add_f64_e32 v[4:5], v[6:7], v[4:5]
	v_add_f64_e32 v[2:3], v[8:9], v[2:3]
	s_delay_alu instid0(VALU_DEP_2) | instskip(NEXT) | instid1(VALU_DEP_2)
	v_add_f64_e32 v[4:5], v[4:5], v[10:11]
	v_add_f64_e32 v[6:7], v[2:3], v[18:19]
	s_delay_alu instid0(VALU_DEP_2) | instskip(NEXT) | instid1(VALU_DEP_2)
	v_add_f64_e64 v[2:3], v[160:161], -v[4:5]
	v_add_f64_e64 v[4:5], v[162:163], -v[6:7]
	scratch_store_b128 off, v[2:5], off offset:224
	s_wait_xcnt 0x0
	v_cmpx_lt_u32_e32 13, v1
	s_cbranch_execz .LBB114_293
; %bb.292:
	scratch_load_b128 v[2:5], off, s54
	v_mov_b32_e32 v6, 0
	s_delay_alu instid0(VALU_DEP_1)
	v_dual_mov_b32 v7, v6 :: v_dual_mov_b32 v8, v6
	v_mov_b32_e32 v9, v6
	scratch_store_b128 off, v[6:9], off offset:208
	s_wait_loadcnt 0x0
	ds_store_b128 v126, v[2:5]
.LBB114_293:
	s_wait_xcnt 0x0
	s_or_b32 exec_lo, exec_lo, s2
	s_wait_storecnt_dscnt 0x0
	s_barrier_signal -1
	s_barrier_wait -1
	s_clause 0x9
	scratch_load_b128 v[4:7], off, off offset:224
	scratch_load_b128 v[8:11], off, off offset:240
	;; [unrolled: 1-line block ×10, first 2 shown]
	v_mov_b32_e32 v2, 0
	s_mov_b32 s2, exec_lo
	ds_load_b128 v[148:151], v2 offset:1040
	s_clause 0x2
	scratch_load_b128 v[152:155], off, off offset:384
	scratch_load_b128 v[156:159], off, off offset:208
	;; [unrolled: 1-line block ×3, first 2 shown]
	s_wait_loadcnt_dscnt 0xc00
	v_mul_f64_e32 v[168:169], v[150:151], v[6:7]
	v_mul_f64_e32 v[172:173], v[148:149], v[6:7]
	ds_load_b128 v[160:163], v2 offset:1056
	v_fma_f64 v[176:177], v[148:149], v[4:5], -v[168:169]
	v_fmac_f64_e32 v[172:173], v[150:151], v[4:5]
	ds_load_b128 v[4:7], v2 offset:1072
	s_wait_loadcnt_dscnt 0xb01
	v_mul_f64_e32 v[174:175], v[160:161], v[10:11]
	v_mul_f64_e32 v[10:11], v[162:163], v[10:11]
	scratch_load_b128 v[148:151], off, off offset:416
	ds_load_b128 v[168:171], v2 offset:1088
	s_wait_loadcnt_dscnt 0xb01
	v_mul_f64_e32 v[178:179], v[4:5], v[14:15]
	v_mul_f64_e32 v[14:15], v[6:7], v[14:15]
	v_add_f64_e32 v[172:173], 0, v[172:173]
	v_fmac_f64_e32 v[174:175], v[162:163], v[8:9]
	v_fma_f64 v[160:161], v[160:161], v[8:9], -v[10:11]
	v_add_f64_e32 v[162:163], 0, v[176:177]
	scratch_load_b128 v[8:11], off, off offset:432
	v_fmac_f64_e32 v[178:179], v[6:7], v[12:13]
	v_fma_f64 v[180:181], v[4:5], v[12:13], -v[14:15]
	ds_load_b128 v[4:7], v2 offset:1104
	s_wait_loadcnt_dscnt 0xb01
	v_mul_f64_e32 v[176:177], v[168:169], v[18:19]
	v_mul_f64_e32 v[18:19], v[170:171], v[18:19]
	scratch_load_b128 v[12:15], off, off offset:448
	v_add_f64_e32 v[172:173], v[172:173], v[174:175]
	v_add_f64_e32 v[182:183], v[162:163], v[160:161]
	ds_load_b128 v[160:163], v2 offset:1120
	s_wait_loadcnt_dscnt 0xb01
	v_mul_f64_e32 v[174:175], v[4:5], v[22:23]
	v_mul_f64_e32 v[22:23], v[6:7], v[22:23]
	v_fmac_f64_e32 v[176:177], v[170:171], v[16:17]
	v_fma_f64 v[168:169], v[168:169], v[16:17], -v[18:19]
	scratch_load_b128 v[16:19], off, off offset:464
	v_add_f64_e32 v[172:173], v[172:173], v[178:179]
	v_add_f64_e32 v[170:171], v[182:183], v[180:181]
	v_fmac_f64_e32 v[174:175], v[6:7], v[20:21]
	v_fma_f64 v[180:181], v[4:5], v[20:21], -v[22:23]
	ds_load_b128 v[4:7], v2 offset:1136
	s_wait_loadcnt_dscnt 0xb01
	v_mul_f64_e32 v[178:179], v[160:161], v[130:131]
	v_mul_f64_e32 v[130:131], v[162:163], v[130:131]
	scratch_load_b128 v[20:23], off, off offset:480
	v_add_f64_e32 v[172:173], v[172:173], v[176:177]
	s_wait_loadcnt_dscnt 0xb00
	v_mul_f64_e32 v[176:177], v[4:5], v[134:135]
	v_add_f64_e32 v[182:183], v[170:171], v[168:169]
	v_mul_f64_e32 v[134:135], v[6:7], v[134:135]
	ds_load_b128 v[168:171], v2 offset:1152
	v_fmac_f64_e32 v[178:179], v[162:163], v[128:129]
	v_fma_f64 v[160:161], v[160:161], v[128:129], -v[130:131]
	scratch_load_b128 v[128:131], off, off offset:496
	v_add_f64_e32 v[172:173], v[172:173], v[174:175]
	v_fmac_f64_e32 v[176:177], v[6:7], v[132:133]
	v_add_f64_e32 v[162:163], v[182:183], v[180:181]
	v_fma_f64 v[180:181], v[4:5], v[132:133], -v[134:135]
	ds_load_b128 v[4:7], v2 offset:1168
	s_wait_loadcnt_dscnt 0xb01
	v_mul_f64_e32 v[174:175], v[168:169], v[138:139]
	v_mul_f64_e32 v[138:139], v[170:171], v[138:139]
	scratch_load_b128 v[132:135], off, off offset:512
	v_add_f64_e32 v[172:173], v[172:173], v[178:179]
	s_wait_loadcnt_dscnt 0xb00
	v_mul_f64_e32 v[178:179], v[4:5], v[142:143]
	v_add_f64_e32 v[182:183], v[162:163], v[160:161]
	v_mul_f64_e32 v[142:143], v[6:7], v[142:143]
	ds_load_b128 v[160:163], v2 offset:1184
	v_fmac_f64_e32 v[174:175], v[170:171], v[136:137]
	v_fma_f64 v[168:169], v[168:169], v[136:137], -v[138:139]
	scratch_load_b128 v[136:139], off, off offset:528
	v_add_f64_e32 v[172:173], v[172:173], v[176:177]
	v_fmac_f64_e32 v[178:179], v[6:7], v[140:141]
	v_add_f64_e32 v[170:171], v[182:183], v[180:181]
	;; [unrolled: 18-line block ×3, first 2 shown]
	v_fma_f64 v[180:181], v[4:5], v[152:153], -v[154:155]
	ds_load_b128 v[4:7], v2 offset:1232
	s_wait_loadcnt_dscnt 0xa01
	v_mul_f64_e32 v[178:179], v[168:169], v[166:167]
	v_mul_f64_e32 v[166:167], v[170:171], v[166:167]
	scratch_load_b128 v[152:155], off, off offset:576
	v_add_f64_e32 v[172:173], v[172:173], v[176:177]
	v_add_f64_e32 v[182:183], v[162:163], v[160:161]
	s_wait_loadcnt_dscnt 0xa00
	v_mul_f64_e32 v[176:177], v[4:5], v[150:151]
	v_mul_f64_e32 v[150:151], v[6:7], v[150:151]
	v_fmac_f64_e32 v[178:179], v[170:171], v[164:165]
	v_fma_f64 v[168:169], v[168:169], v[164:165], -v[166:167]
	ds_load_b128 v[160:163], v2 offset:1248
	scratch_load_b128 v[164:167], off, off offset:592
	v_add_f64_e32 v[172:173], v[172:173], v[174:175]
	v_add_f64_e32 v[170:171], v[182:183], v[180:181]
	v_fmac_f64_e32 v[176:177], v[6:7], v[148:149]
	v_fma_f64 v[180:181], v[4:5], v[148:149], -v[150:151]
	ds_load_b128 v[4:7], v2 offset:1264
	s_wait_loadcnt_dscnt 0xa01
	v_mul_f64_e32 v[174:175], v[160:161], v[10:11]
	v_mul_f64_e32 v[10:11], v[162:163], v[10:11]
	scratch_load_b128 v[148:151], off, off offset:608
	v_add_f64_e32 v[172:173], v[172:173], v[178:179]
	s_wait_loadcnt_dscnt 0xa00
	v_mul_f64_e32 v[178:179], v[4:5], v[14:15]
	v_add_f64_e32 v[182:183], v[170:171], v[168:169]
	v_mul_f64_e32 v[14:15], v[6:7], v[14:15]
	ds_load_b128 v[168:171], v2 offset:1280
	v_fmac_f64_e32 v[174:175], v[162:163], v[8:9]
	v_fma_f64 v[160:161], v[160:161], v[8:9], -v[10:11]
	scratch_load_b128 v[8:11], off, off offset:624
	v_add_f64_e32 v[172:173], v[172:173], v[176:177]
	v_fmac_f64_e32 v[178:179], v[6:7], v[12:13]
	v_add_f64_e32 v[162:163], v[182:183], v[180:181]
	v_fma_f64 v[180:181], v[4:5], v[12:13], -v[14:15]
	ds_load_b128 v[4:7], v2 offset:1296
	s_wait_loadcnt_dscnt 0xa01
	v_mul_f64_e32 v[176:177], v[168:169], v[18:19]
	v_mul_f64_e32 v[18:19], v[170:171], v[18:19]
	scratch_load_b128 v[12:15], off, off offset:640
	v_add_f64_e32 v[172:173], v[172:173], v[174:175]
	s_wait_loadcnt_dscnt 0xa00
	v_mul_f64_e32 v[174:175], v[4:5], v[22:23]
	v_add_f64_e32 v[182:183], v[162:163], v[160:161]
	v_mul_f64_e32 v[22:23], v[6:7], v[22:23]
	ds_load_b128 v[160:163], v2 offset:1312
	v_fmac_f64_e32 v[176:177], v[170:171], v[16:17]
	v_fma_f64 v[168:169], v[168:169], v[16:17], -v[18:19]
	scratch_load_b128 v[16:19], off, off offset:656
	v_add_f64_e32 v[172:173], v[172:173], v[178:179]
	v_fmac_f64_e32 v[174:175], v[6:7], v[20:21]
	v_add_f64_e32 v[170:171], v[182:183], v[180:181]
	;; [unrolled: 18-line block ×6, first 2 shown]
	v_fma_f64 v[180:181], v[4:5], v[148:149], -v[150:151]
	ds_load_b128 v[4:7], v2 offset:1456
	s_wait_loadcnt_dscnt 0xa01
	v_mul_f64_e32 v[174:175], v[160:161], v[10:11]
	v_mul_f64_e32 v[10:11], v[162:163], v[10:11]
	scratch_load_b128 v[148:151], off, off offset:800
	v_add_f64_e32 v[172:173], v[172:173], v[178:179]
	s_wait_loadcnt_dscnt 0xa00
	v_mul_f64_e32 v[178:179], v[4:5], v[14:15]
	v_add_f64_e32 v[182:183], v[170:171], v[168:169]
	v_mul_f64_e32 v[14:15], v[6:7], v[14:15]
	ds_load_b128 v[168:171], v2 offset:1472
	v_fmac_f64_e32 v[174:175], v[162:163], v[8:9]
	v_fma_f64 v[8:9], v[160:161], v[8:9], -v[10:11]
	s_wait_loadcnt_dscnt 0x900
	v_mul_f64_e32 v[162:163], v[168:169], v[18:19]
	v_mul_f64_e32 v[18:19], v[170:171], v[18:19]
	v_add_f64_e32 v[160:161], v[172:173], v[176:177]
	v_fmac_f64_e32 v[178:179], v[6:7], v[12:13]
	v_add_f64_e32 v[10:11], v[182:183], v[180:181]
	v_fma_f64 v[12:13], v[4:5], v[12:13], -v[14:15]
	v_fmac_f64_e32 v[162:163], v[170:171], v[16:17]
	v_fma_f64 v[16:17], v[168:169], v[16:17], -v[18:19]
	v_add_f64_e32 v[160:161], v[160:161], v[174:175]
	v_add_f64_e32 v[14:15], v[10:11], v[8:9]
	ds_load_b128 v[4:7], v2 offset:1488
	ds_load_b128 v[8:11], v2 offset:1504
	s_wait_loadcnt_dscnt 0x801
	v_mul_f64_e32 v[172:173], v[4:5], v[22:23]
	v_mul_f64_e32 v[22:23], v[6:7], v[22:23]
	s_wait_loadcnt_dscnt 0x700
	v_mul_f64_e32 v[18:19], v[8:9], v[130:131]
	v_mul_f64_e32 v[130:131], v[10:11], v[130:131]
	v_add_f64_e32 v[12:13], v[14:15], v[12:13]
	v_add_f64_e32 v[14:15], v[160:161], v[178:179]
	v_fmac_f64_e32 v[172:173], v[6:7], v[20:21]
	v_fma_f64 v[20:21], v[4:5], v[20:21], -v[22:23]
	v_fmac_f64_e32 v[18:19], v[10:11], v[128:129]
	v_fma_f64 v[8:9], v[8:9], v[128:129], -v[130:131]
	v_add_f64_e32 v[16:17], v[12:13], v[16:17]
	v_add_f64_e32 v[22:23], v[14:15], v[162:163]
	ds_load_b128 v[4:7], v2 offset:1520
	ds_load_b128 v[12:15], v2 offset:1536
	s_wait_loadcnt_dscnt 0x601
	v_mul_f64_e32 v[160:161], v[4:5], v[134:135]
	v_mul_f64_e32 v[134:135], v[6:7], v[134:135]
	v_add_f64_e32 v[10:11], v[16:17], v[20:21]
	v_add_f64_e32 v[16:17], v[22:23], v[172:173]
	s_wait_loadcnt_dscnt 0x500
	v_mul_f64_e32 v[20:21], v[12:13], v[138:139]
	v_mul_f64_e32 v[22:23], v[14:15], v[138:139]
	v_fmac_f64_e32 v[160:161], v[6:7], v[132:133]
	v_fma_f64 v[128:129], v[4:5], v[132:133], -v[134:135]
	v_add_f64_e32 v[130:131], v[10:11], v[8:9]
	v_add_f64_e32 v[16:17], v[16:17], v[18:19]
	ds_load_b128 v[4:7], v2 offset:1552
	ds_load_b128 v[8:11], v2 offset:1568
	v_fmac_f64_e32 v[20:21], v[14:15], v[136:137]
	v_fma_f64 v[12:13], v[12:13], v[136:137], -v[22:23]
	s_wait_loadcnt_dscnt 0x401
	v_mul_f64_e32 v[18:19], v[4:5], v[142:143]
	v_mul_f64_e32 v[132:133], v[6:7], v[142:143]
	s_wait_loadcnt_dscnt 0x300
	v_mul_f64_e32 v[22:23], v[8:9], v[146:147]
	v_add_f64_e32 v[14:15], v[130:131], v[128:129]
	v_add_f64_e32 v[16:17], v[16:17], v[160:161]
	v_mul_f64_e32 v[128:129], v[10:11], v[146:147]
	v_fmac_f64_e32 v[18:19], v[6:7], v[140:141]
	v_fma_f64 v[130:131], v[4:5], v[140:141], -v[132:133]
	v_fmac_f64_e32 v[22:23], v[10:11], v[144:145]
	v_add_f64_e32 v[132:133], v[14:15], v[12:13]
	v_add_f64_e32 v[16:17], v[16:17], v[20:21]
	ds_load_b128 v[4:7], v2 offset:1584
	ds_load_b128 v[12:15], v2 offset:1600
	v_fma_f64 v[8:9], v[8:9], v[144:145], -v[128:129]
	s_wait_loadcnt_dscnt 0x201
	v_mul_f64_e32 v[20:21], v[4:5], v[154:155]
	v_mul_f64_e32 v[134:135], v[6:7], v[154:155]
	s_wait_loadcnt_dscnt 0x100
	v_mul_f64_e32 v[128:129], v[14:15], v[166:167]
	v_add_f64_e32 v[10:11], v[132:133], v[130:131]
	v_add_f64_e32 v[16:17], v[16:17], v[18:19]
	v_mul_f64_e32 v[18:19], v[12:13], v[166:167]
	v_fmac_f64_e32 v[20:21], v[6:7], v[152:153]
	v_fma_f64 v[130:131], v[4:5], v[152:153], -v[134:135]
	ds_load_b128 v[4:7], v2 offset:1616
	v_fma_f64 v[12:13], v[12:13], v[164:165], -v[128:129]
	v_add_f64_e32 v[8:9], v[10:11], v[8:9]
	v_add_f64_e32 v[10:11], v[16:17], v[22:23]
	v_fmac_f64_e32 v[18:19], v[14:15], v[164:165]
	s_wait_loadcnt_dscnt 0x0
	v_mul_f64_e32 v[16:17], v[4:5], v[150:151]
	v_mul_f64_e32 v[22:23], v[6:7], v[150:151]
	v_add_f64_e32 v[8:9], v[8:9], v[130:131]
	v_add_f64_e32 v[10:11], v[10:11], v[20:21]
	s_delay_alu instid0(VALU_DEP_4) | instskip(NEXT) | instid1(VALU_DEP_4)
	v_fmac_f64_e32 v[16:17], v[6:7], v[148:149]
	v_fma_f64 v[4:5], v[4:5], v[148:149], -v[22:23]
	s_delay_alu instid0(VALU_DEP_4) | instskip(NEXT) | instid1(VALU_DEP_4)
	v_add_f64_e32 v[6:7], v[8:9], v[12:13]
	v_add_f64_e32 v[8:9], v[10:11], v[18:19]
	s_delay_alu instid0(VALU_DEP_2) | instskip(NEXT) | instid1(VALU_DEP_2)
	v_add_f64_e32 v[4:5], v[6:7], v[4:5]
	v_add_f64_e32 v[6:7], v[8:9], v[16:17]
	s_delay_alu instid0(VALU_DEP_2) | instskip(NEXT) | instid1(VALU_DEP_2)
	v_add_f64_e64 v[4:5], v[156:157], -v[4:5]
	v_add_f64_e64 v[6:7], v[158:159], -v[6:7]
	scratch_store_b128 off, v[4:7], off offset:208
	s_wait_xcnt 0x0
	v_cmpx_lt_u32_e32 12, v1
	s_cbranch_execz .LBB114_295
; %bb.294:
	scratch_load_b128 v[6:9], off, s55
	v_dual_mov_b32 v3, v2 :: v_dual_mov_b32 v4, v2
	v_mov_b32_e32 v5, v2
	scratch_store_b128 off, v[2:5], off offset:192
	s_wait_loadcnt 0x0
	ds_store_b128 v126, v[6:9]
.LBB114_295:
	s_wait_xcnt 0x0
	s_or_b32 exec_lo, exec_lo, s2
	s_wait_storecnt_dscnt 0x0
	s_barrier_signal -1
	s_barrier_wait -1
	s_clause 0x9
	scratch_load_b128 v[4:7], off, off offset:208
	scratch_load_b128 v[8:11], off, off offset:224
	;; [unrolled: 1-line block ×10, first 2 shown]
	ds_load_b128 v[148:151], v2 offset:1024
	ds_load_b128 v[156:159], v2 offset:1040
	s_clause 0x2
	scratch_load_b128 v[152:155], off, off offset:368
	scratch_load_b128 v[160:163], off, off offset:192
	;; [unrolled: 1-line block ×3, first 2 shown]
	s_mov_b32 s2, exec_lo
	s_wait_loadcnt_dscnt 0xc01
	v_mul_f64_e32 v[168:169], v[150:151], v[6:7]
	v_mul_f64_e32 v[172:173], v[148:149], v[6:7]
	s_wait_loadcnt_dscnt 0xb00
	v_mul_f64_e32 v[174:175], v[156:157], v[10:11]
	v_mul_f64_e32 v[10:11], v[158:159], v[10:11]
	s_delay_alu instid0(VALU_DEP_4) | instskip(NEXT) | instid1(VALU_DEP_4)
	v_fma_f64 v[176:177], v[148:149], v[4:5], -v[168:169]
	v_fmac_f64_e32 v[172:173], v[150:151], v[4:5]
	ds_load_b128 v[4:7], v2 offset:1056
	ds_load_b128 v[148:151], v2 offset:1072
	scratch_load_b128 v[168:171], off, off offset:400
	v_fmac_f64_e32 v[174:175], v[158:159], v[8:9]
	v_fma_f64 v[156:157], v[156:157], v[8:9], -v[10:11]
	scratch_load_b128 v[8:11], off, off offset:416
	s_wait_loadcnt_dscnt 0xc01
	v_mul_f64_e32 v[178:179], v[4:5], v[14:15]
	v_mul_f64_e32 v[14:15], v[6:7], v[14:15]
	v_add_f64_e32 v[158:159], 0, v[176:177]
	v_add_f64_e32 v[172:173], 0, v[172:173]
	s_wait_loadcnt_dscnt 0xb00
	v_mul_f64_e32 v[176:177], v[148:149], v[18:19]
	v_mul_f64_e32 v[18:19], v[150:151], v[18:19]
	v_fmac_f64_e32 v[178:179], v[6:7], v[12:13]
	v_fma_f64 v[180:181], v[4:5], v[12:13], -v[14:15]
	ds_load_b128 v[4:7], v2 offset:1088
	ds_load_b128 v[12:15], v2 offset:1104
	v_add_f64_e32 v[182:183], v[158:159], v[156:157]
	v_add_f64_e32 v[172:173], v[172:173], v[174:175]
	scratch_load_b128 v[156:159], off, off offset:432
	v_fmac_f64_e32 v[176:177], v[150:151], v[16:17]
	v_fma_f64 v[148:149], v[148:149], v[16:17], -v[18:19]
	scratch_load_b128 v[16:19], off, off offset:448
	s_wait_loadcnt_dscnt 0xc01
	v_mul_f64_e32 v[174:175], v[4:5], v[22:23]
	v_mul_f64_e32 v[22:23], v[6:7], v[22:23]
	v_add_f64_e32 v[150:151], v[182:183], v[180:181]
	v_add_f64_e32 v[172:173], v[172:173], v[178:179]
	s_wait_loadcnt_dscnt 0xb00
	v_mul_f64_e32 v[178:179], v[12:13], v[130:131]
	v_mul_f64_e32 v[130:131], v[14:15], v[130:131]
	v_fmac_f64_e32 v[174:175], v[6:7], v[20:21]
	v_fma_f64 v[180:181], v[4:5], v[20:21], -v[22:23]
	ds_load_b128 v[4:7], v2 offset:1120
	ds_load_b128 v[20:23], v2 offset:1136
	v_add_f64_e32 v[182:183], v[150:151], v[148:149]
	v_add_f64_e32 v[172:173], v[172:173], v[176:177]
	scratch_load_b128 v[148:151], off, off offset:464
	s_wait_loadcnt_dscnt 0xb01
	v_mul_f64_e32 v[176:177], v[4:5], v[134:135]
	v_mul_f64_e32 v[134:135], v[6:7], v[134:135]
	v_fmac_f64_e32 v[178:179], v[14:15], v[128:129]
	v_fma_f64 v[128:129], v[12:13], v[128:129], -v[130:131]
	scratch_load_b128 v[12:15], off, off offset:480
	v_add_f64_e32 v[130:131], v[182:183], v[180:181]
	v_add_f64_e32 v[172:173], v[172:173], v[174:175]
	s_wait_loadcnt_dscnt 0xb00
	v_mul_f64_e32 v[174:175], v[20:21], v[138:139]
	v_mul_f64_e32 v[138:139], v[22:23], v[138:139]
	v_fmac_f64_e32 v[176:177], v[6:7], v[132:133]
	v_fma_f64 v[180:181], v[4:5], v[132:133], -v[134:135]
	v_add_f64_e32 v[182:183], v[130:131], v[128:129]
	v_add_f64_e32 v[172:173], v[172:173], v[178:179]
	ds_load_b128 v[4:7], v2 offset:1152
	ds_load_b128 v[128:131], v2 offset:1168
	scratch_load_b128 v[132:135], off, off offset:496
	v_fmac_f64_e32 v[174:175], v[22:23], v[136:137]
	v_fma_f64 v[136:137], v[20:21], v[136:137], -v[138:139]
	scratch_load_b128 v[20:23], off, off offset:512
	s_wait_loadcnt_dscnt 0xc01
	v_mul_f64_e32 v[178:179], v[4:5], v[142:143]
	v_mul_f64_e32 v[142:143], v[6:7], v[142:143]
	v_add_f64_e32 v[138:139], v[182:183], v[180:181]
	v_add_f64_e32 v[172:173], v[172:173], v[176:177]
	s_wait_loadcnt_dscnt 0xb00
	v_mul_f64_e32 v[176:177], v[128:129], v[146:147]
	v_mul_f64_e32 v[146:147], v[130:131], v[146:147]
	v_fmac_f64_e32 v[178:179], v[6:7], v[140:141]
	v_fma_f64 v[180:181], v[4:5], v[140:141], -v[142:143]
	v_add_f64_e32 v[182:183], v[138:139], v[136:137]
	v_add_f64_e32 v[172:173], v[172:173], v[174:175]
	ds_load_b128 v[4:7], v2 offset:1184
	ds_load_b128 v[136:139], v2 offset:1200
	scratch_load_b128 v[140:143], off, off offset:528
	v_fmac_f64_e32 v[176:177], v[130:131], v[144:145]
	v_fma_f64 v[144:145], v[128:129], v[144:145], -v[146:147]
	scratch_load_b128 v[128:131], off, off offset:544
	s_wait_loadcnt_dscnt 0xc01
	v_mul_f64_e32 v[174:175], v[4:5], v[154:155]
	v_mul_f64_e32 v[154:155], v[6:7], v[154:155]
	;; [unrolled: 18-line block ×5, first 2 shown]
	v_add_f64_e32 v[166:167], v[182:183], v[180:181]
	v_add_f64_e32 v[172:173], v[172:173], v[178:179]
	s_wait_loadcnt_dscnt 0xa00
	v_mul_f64_e32 v[178:179], v[144:145], v[14:15]
	v_mul_f64_e32 v[14:15], v[146:147], v[14:15]
	v_fmac_f64_e32 v[174:175], v[6:7], v[148:149]
	v_fma_f64 v[180:181], v[4:5], v[148:149], -v[150:151]
	ds_load_b128 v[4:7], v2 offset:1312
	ds_load_b128 v[148:151], v2 offset:1328
	v_add_f64_e32 v[182:183], v[166:167], v[164:165]
	v_add_f64_e32 v[172:173], v[172:173], v[176:177]
	scratch_load_b128 v[164:167], off, off offset:656
	v_fmac_f64_e32 v[178:179], v[146:147], v[12:13]
	v_fma_f64 v[144:145], v[144:145], v[12:13], -v[14:15]
	scratch_load_b128 v[12:15], off, off offset:672
	s_wait_loadcnt_dscnt 0xb01
	v_mul_f64_e32 v[176:177], v[4:5], v[134:135]
	v_mul_f64_e32 v[134:135], v[6:7], v[134:135]
	v_add_f64_e32 v[146:147], v[182:183], v[180:181]
	v_add_f64_e32 v[172:173], v[172:173], v[174:175]
	s_wait_loadcnt_dscnt 0xa00
	v_mul_f64_e32 v[174:175], v[148:149], v[22:23]
	v_mul_f64_e32 v[22:23], v[150:151], v[22:23]
	v_fmac_f64_e32 v[176:177], v[6:7], v[132:133]
	v_fma_f64 v[180:181], v[4:5], v[132:133], -v[134:135]
	ds_load_b128 v[4:7], v2 offset:1344
	ds_load_b128 v[132:135], v2 offset:1360
	v_add_f64_e32 v[182:183], v[146:147], v[144:145]
	v_add_f64_e32 v[172:173], v[172:173], v[178:179]
	scratch_load_b128 v[144:147], off, off offset:688
	s_wait_loadcnt_dscnt 0xa01
	v_mul_f64_e32 v[178:179], v[4:5], v[142:143]
	v_mul_f64_e32 v[142:143], v[6:7], v[142:143]
	v_fmac_f64_e32 v[174:175], v[150:151], v[20:21]
	v_fma_f64 v[148:149], v[148:149], v[20:21], -v[22:23]
	scratch_load_b128 v[20:23], off, off offset:704
	v_add_f64_e32 v[150:151], v[182:183], v[180:181]
	v_add_f64_e32 v[172:173], v[172:173], v[176:177]
	s_wait_loadcnt_dscnt 0xa00
	v_mul_f64_e32 v[176:177], v[132:133], v[130:131]
	v_mul_f64_e32 v[130:131], v[134:135], v[130:131]
	v_fmac_f64_e32 v[178:179], v[6:7], v[140:141]
	v_fma_f64 v[180:181], v[4:5], v[140:141], -v[142:143]
	ds_load_b128 v[4:7], v2 offset:1376
	ds_load_b128 v[140:143], v2 offset:1392
	v_add_f64_e32 v[182:183], v[150:151], v[148:149]
	v_add_f64_e32 v[172:173], v[172:173], v[174:175]
	scratch_load_b128 v[148:151], off, off offset:720
	s_wait_loadcnt_dscnt 0xa01
	v_mul_f64_e32 v[174:175], v[4:5], v[154:155]
	v_mul_f64_e32 v[154:155], v[6:7], v[154:155]
	v_fmac_f64_e32 v[176:177], v[134:135], v[128:129]
	v_fma_f64 v[132:133], v[132:133], v[128:129], -v[130:131]
	scratch_load_b128 v[128:131], off, off offset:736
	v_add_f64_e32 v[134:135], v[182:183], v[180:181]
	v_add_f64_e32 v[172:173], v[172:173], v[178:179]
	s_wait_loadcnt_dscnt 0xa00
	v_mul_f64_e32 v[178:179], v[140:141], v[138:139]
	v_mul_f64_e32 v[138:139], v[142:143], v[138:139]
	v_fmac_f64_e32 v[174:175], v[6:7], v[152:153]
	v_fma_f64 v[180:181], v[4:5], v[152:153], -v[154:155]
	v_add_f64_e32 v[182:183], v[134:135], v[132:133]
	v_add_f64_e32 v[172:173], v[172:173], v[176:177]
	ds_load_b128 v[4:7], v2 offset:1408
	ds_load_b128 v[132:135], v2 offset:1424
	scratch_load_b128 v[152:155], off, off offset:752
	v_fmac_f64_e32 v[178:179], v[142:143], v[136:137]
	v_fma_f64 v[140:141], v[140:141], v[136:137], -v[138:139]
	scratch_load_b128 v[136:139], off, off offset:768
	s_wait_loadcnt_dscnt 0xb01
	v_mul_f64_e32 v[176:177], v[4:5], v[170:171]
	v_mul_f64_e32 v[170:171], v[6:7], v[170:171]
	v_add_f64_e32 v[142:143], v[182:183], v[180:181]
	v_add_f64_e32 v[172:173], v[172:173], v[174:175]
	s_wait_loadcnt_dscnt 0xa00
	v_mul_f64_e32 v[174:175], v[132:133], v[10:11]
	v_mul_f64_e32 v[10:11], v[134:135], v[10:11]
	v_fmac_f64_e32 v[176:177], v[6:7], v[168:169]
	v_fma_f64 v[180:181], v[4:5], v[168:169], -v[170:171]
	v_add_f64_e32 v[182:183], v[142:143], v[140:141]
	v_add_f64_e32 v[172:173], v[172:173], v[178:179]
	ds_load_b128 v[4:7], v2 offset:1440
	ds_load_b128 v[140:143], v2 offset:1456
	scratch_load_b128 v[168:171], off, off offset:784
	v_fmac_f64_e32 v[174:175], v[134:135], v[8:9]
	v_fma_f64 v[132:133], v[132:133], v[8:9], -v[10:11]
	scratch_load_b128 v[8:11], off, off offset:800
	s_wait_loadcnt_dscnt 0xb01
	v_mul_f64_e32 v[178:179], v[4:5], v[158:159]
	v_mul_f64_e32 v[158:159], v[6:7], v[158:159]
	v_add_f64_e32 v[134:135], v[182:183], v[180:181]
	v_add_f64_e32 v[172:173], v[172:173], v[176:177]
	s_wait_loadcnt_dscnt 0xa00
	v_mul_f64_e32 v[176:177], v[140:141], v[18:19]
	v_mul_f64_e32 v[18:19], v[142:143], v[18:19]
	v_fmac_f64_e32 v[178:179], v[6:7], v[156:157]
	v_fma_f64 v[156:157], v[4:5], v[156:157], -v[158:159]
	v_add_f64_e32 v[158:159], v[134:135], v[132:133]
	v_add_f64_e32 v[172:173], v[172:173], v[174:175]
	ds_load_b128 v[4:7], v2 offset:1472
	ds_load_b128 v[132:135], v2 offset:1488
	v_fmac_f64_e32 v[176:177], v[142:143], v[16:17]
	v_fma_f64 v[16:17], v[140:141], v[16:17], -v[18:19]
	s_wait_loadcnt_dscnt 0x901
	v_mul_f64_e32 v[174:175], v[4:5], v[166:167]
	v_mul_f64_e32 v[166:167], v[6:7], v[166:167]
	s_wait_loadcnt_dscnt 0x800
	v_mul_f64_e32 v[142:143], v[132:133], v[14:15]
	v_add_f64_e32 v[18:19], v[158:159], v[156:157]
	v_add_f64_e32 v[140:141], v[172:173], v[178:179]
	v_mul_f64_e32 v[156:157], v[134:135], v[14:15]
	v_fmac_f64_e32 v[174:175], v[6:7], v[164:165]
	v_fma_f64 v[158:159], v[4:5], v[164:165], -v[166:167]
	v_fmac_f64_e32 v[142:143], v[134:135], v[12:13]
	v_add_f64_e32 v[18:19], v[18:19], v[16:17]
	v_add_f64_e32 v[140:141], v[140:141], v[176:177]
	ds_load_b128 v[4:7], v2 offset:1504
	ds_load_b128 v[14:17], v2 offset:1520
	v_fma_f64 v[12:13], v[132:133], v[12:13], -v[156:157]
	s_wait_loadcnt_dscnt 0x701
	v_mul_f64_e32 v[164:165], v[4:5], v[146:147]
	v_mul_f64_e32 v[146:147], v[6:7], v[146:147]
	v_add_f64_e32 v[18:19], v[18:19], v[158:159]
	v_add_f64_e32 v[132:133], v[140:141], v[174:175]
	s_wait_loadcnt_dscnt 0x600
	v_mul_f64_e32 v[140:141], v[14:15], v[22:23]
	v_mul_f64_e32 v[22:23], v[16:17], v[22:23]
	v_fmac_f64_e32 v[164:165], v[6:7], v[144:145]
	v_fma_f64 v[144:145], v[4:5], v[144:145], -v[146:147]
	v_add_f64_e32 v[12:13], v[18:19], v[12:13]
	v_add_f64_e32 v[18:19], v[132:133], v[142:143]
	ds_load_b128 v[4:7], v2 offset:1536
	ds_load_b128 v[132:135], v2 offset:1552
	v_fmac_f64_e32 v[140:141], v[16:17], v[20:21]
	v_fma_f64 v[14:15], v[14:15], v[20:21], -v[22:23]
	s_wait_loadcnt_dscnt 0x501
	v_mul_f64_e32 v[142:143], v[4:5], v[150:151]
	v_mul_f64_e32 v[146:147], v[6:7], v[150:151]
	s_wait_loadcnt_dscnt 0x400
	v_mul_f64_e32 v[20:21], v[134:135], v[130:131]
	v_add_f64_e32 v[12:13], v[12:13], v[144:145]
	v_add_f64_e32 v[16:17], v[18:19], v[164:165]
	v_mul_f64_e32 v[18:19], v[132:133], v[130:131]
	v_fmac_f64_e32 v[142:143], v[6:7], v[148:149]
	v_fma_f64 v[22:23], v[4:5], v[148:149], -v[146:147]
	v_fma_f64 v[20:21], v[132:133], v[128:129], -v[20:21]
	v_add_f64_e32 v[130:131], v[12:13], v[14:15]
	v_add_f64_e32 v[16:17], v[16:17], v[140:141]
	ds_load_b128 v[4:7], v2 offset:1568
	ds_load_b128 v[12:15], v2 offset:1584
	v_fmac_f64_e32 v[18:19], v[134:135], v[128:129]
	s_wait_loadcnt_dscnt 0x301
	v_mul_f64_e32 v[140:141], v[4:5], v[154:155]
	v_mul_f64_e32 v[144:145], v[6:7], v[154:155]
	s_wait_loadcnt_dscnt 0x200
	v_mul_f64_e32 v[128:129], v[12:13], v[138:139]
	v_add_f64_e32 v[22:23], v[130:131], v[22:23]
	v_add_f64_e32 v[16:17], v[16:17], v[142:143]
	v_mul_f64_e32 v[130:131], v[14:15], v[138:139]
	v_fmac_f64_e32 v[140:141], v[6:7], v[152:153]
	v_fma_f64 v[132:133], v[4:5], v[152:153], -v[144:145]
	v_fmac_f64_e32 v[128:129], v[14:15], v[136:137]
	v_add_f64_e32 v[20:21], v[22:23], v[20:21]
	v_add_f64_e32 v[22:23], v[16:17], v[18:19]
	ds_load_b128 v[4:7], v2 offset:1600
	ds_load_b128 v[16:19], v2 offset:1616
	v_fma_f64 v[12:13], v[12:13], v[136:137], -v[130:131]
	s_wait_loadcnt_dscnt 0x101
	v_mul_f64_e32 v[2:3], v[4:5], v[170:171]
	v_mul_f64_e32 v[134:135], v[6:7], v[170:171]
	v_add_f64_e32 v[14:15], v[20:21], v[132:133]
	v_add_f64_e32 v[20:21], v[22:23], v[140:141]
	s_wait_loadcnt_dscnt 0x0
	v_mul_f64_e32 v[22:23], v[16:17], v[10:11]
	v_mul_f64_e32 v[10:11], v[18:19], v[10:11]
	v_fmac_f64_e32 v[2:3], v[6:7], v[168:169]
	v_fma_f64 v[4:5], v[4:5], v[168:169], -v[134:135]
	v_add_f64_e32 v[6:7], v[14:15], v[12:13]
	v_add_f64_e32 v[12:13], v[20:21], v[128:129]
	v_fmac_f64_e32 v[22:23], v[18:19], v[8:9]
	v_fma_f64 v[8:9], v[16:17], v[8:9], -v[10:11]
	s_delay_alu instid0(VALU_DEP_4) | instskip(NEXT) | instid1(VALU_DEP_4)
	v_add_f64_e32 v[4:5], v[6:7], v[4:5]
	v_add_f64_e32 v[2:3], v[12:13], v[2:3]
	s_delay_alu instid0(VALU_DEP_2) | instskip(NEXT) | instid1(VALU_DEP_2)
	v_add_f64_e32 v[4:5], v[4:5], v[8:9]
	v_add_f64_e32 v[6:7], v[2:3], v[22:23]
	s_delay_alu instid0(VALU_DEP_2) | instskip(NEXT) | instid1(VALU_DEP_2)
	v_add_f64_e64 v[2:3], v[160:161], -v[4:5]
	v_add_f64_e64 v[4:5], v[162:163], -v[6:7]
	scratch_store_b128 off, v[2:5], off offset:192
	s_wait_xcnt 0x0
	v_cmpx_lt_u32_e32 11, v1
	s_cbranch_execz .LBB114_297
; %bb.296:
	scratch_load_b128 v[2:5], off, s56
	v_mov_b32_e32 v6, 0
	s_delay_alu instid0(VALU_DEP_1)
	v_dual_mov_b32 v7, v6 :: v_dual_mov_b32 v8, v6
	v_mov_b32_e32 v9, v6
	scratch_store_b128 off, v[6:9], off offset:176
	s_wait_loadcnt 0x0
	ds_store_b128 v126, v[2:5]
.LBB114_297:
	s_wait_xcnt 0x0
	s_or_b32 exec_lo, exec_lo, s2
	s_wait_storecnt_dscnt 0x0
	s_barrier_signal -1
	s_barrier_wait -1
	s_clause 0x9
	scratch_load_b128 v[4:7], off, off offset:192
	scratch_load_b128 v[8:11], off, off offset:208
	;; [unrolled: 1-line block ×10, first 2 shown]
	v_mov_b32_e32 v2, 0
	s_mov_b32 s2, exec_lo
	ds_load_b128 v[148:151], v2 offset:1008
	s_clause 0x2
	scratch_load_b128 v[152:155], off, off offset:352
	scratch_load_b128 v[156:159], off, off offset:176
	;; [unrolled: 1-line block ×3, first 2 shown]
	s_wait_loadcnt_dscnt 0xc00
	v_mul_f64_e32 v[168:169], v[150:151], v[6:7]
	v_mul_f64_e32 v[172:173], v[148:149], v[6:7]
	ds_load_b128 v[160:163], v2 offset:1024
	v_fma_f64 v[176:177], v[148:149], v[4:5], -v[168:169]
	v_fmac_f64_e32 v[172:173], v[150:151], v[4:5]
	ds_load_b128 v[4:7], v2 offset:1040
	s_wait_loadcnt_dscnt 0xb01
	v_mul_f64_e32 v[174:175], v[160:161], v[10:11]
	v_mul_f64_e32 v[10:11], v[162:163], v[10:11]
	scratch_load_b128 v[148:151], off, off offset:384
	ds_load_b128 v[168:171], v2 offset:1056
	s_wait_loadcnt_dscnt 0xb01
	v_mul_f64_e32 v[178:179], v[4:5], v[14:15]
	v_mul_f64_e32 v[14:15], v[6:7], v[14:15]
	v_add_f64_e32 v[172:173], 0, v[172:173]
	v_fmac_f64_e32 v[174:175], v[162:163], v[8:9]
	v_fma_f64 v[160:161], v[160:161], v[8:9], -v[10:11]
	v_add_f64_e32 v[162:163], 0, v[176:177]
	scratch_load_b128 v[8:11], off, off offset:400
	v_fmac_f64_e32 v[178:179], v[6:7], v[12:13]
	v_fma_f64 v[180:181], v[4:5], v[12:13], -v[14:15]
	ds_load_b128 v[4:7], v2 offset:1072
	s_wait_loadcnt_dscnt 0xb01
	v_mul_f64_e32 v[176:177], v[168:169], v[18:19]
	v_mul_f64_e32 v[18:19], v[170:171], v[18:19]
	scratch_load_b128 v[12:15], off, off offset:416
	v_add_f64_e32 v[172:173], v[172:173], v[174:175]
	v_add_f64_e32 v[182:183], v[162:163], v[160:161]
	ds_load_b128 v[160:163], v2 offset:1088
	s_wait_loadcnt_dscnt 0xb01
	v_mul_f64_e32 v[174:175], v[4:5], v[22:23]
	v_mul_f64_e32 v[22:23], v[6:7], v[22:23]
	v_fmac_f64_e32 v[176:177], v[170:171], v[16:17]
	v_fma_f64 v[168:169], v[168:169], v[16:17], -v[18:19]
	scratch_load_b128 v[16:19], off, off offset:432
	v_add_f64_e32 v[172:173], v[172:173], v[178:179]
	v_add_f64_e32 v[170:171], v[182:183], v[180:181]
	v_fmac_f64_e32 v[174:175], v[6:7], v[20:21]
	v_fma_f64 v[180:181], v[4:5], v[20:21], -v[22:23]
	ds_load_b128 v[4:7], v2 offset:1104
	s_wait_loadcnt_dscnt 0xb01
	v_mul_f64_e32 v[178:179], v[160:161], v[130:131]
	v_mul_f64_e32 v[130:131], v[162:163], v[130:131]
	scratch_load_b128 v[20:23], off, off offset:448
	v_add_f64_e32 v[172:173], v[172:173], v[176:177]
	s_wait_loadcnt_dscnt 0xb00
	v_mul_f64_e32 v[176:177], v[4:5], v[134:135]
	v_add_f64_e32 v[182:183], v[170:171], v[168:169]
	v_mul_f64_e32 v[134:135], v[6:7], v[134:135]
	ds_load_b128 v[168:171], v2 offset:1120
	v_fmac_f64_e32 v[178:179], v[162:163], v[128:129]
	v_fma_f64 v[160:161], v[160:161], v[128:129], -v[130:131]
	scratch_load_b128 v[128:131], off, off offset:464
	v_add_f64_e32 v[172:173], v[172:173], v[174:175]
	v_fmac_f64_e32 v[176:177], v[6:7], v[132:133]
	v_add_f64_e32 v[162:163], v[182:183], v[180:181]
	v_fma_f64 v[180:181], v[4:5], v[132:133], -v[134:135]
	ds_load_b128 v[4:7], v2 offset:1136
	s_wait_loadcnt_dscnt 0xb01
	v_mul_f64_e32 v[174:175], v[168:169], v[138:139]
	v_mul_f64_e32 v[138:139], v[170:171], v[138:139]
	scratch_load_b128 v[132:135], off, off offset:480
	v_add_f64_e32 v[172:173], v[172:173], v[178:179]
	s_wait_loadcnt_dscnt 0xb00
	v_mul_f64_e32 v[178:179], v[4:5], v[142:143]
	v_add_f64_e32 v[182:183], v[162:163], v[160:161]
	v_mul_f64_e32 v[142:143], v[6:7], v[142:143]
	ds_load_b128 v[160:163], v2 offset:1152
	v_fmac_f64_e32 v[174:175], v[170:171], v[136:137]
	v_fma_f64 v[168:169], v[168:169], v[136:137], -v[138:139]
	scratch_load_b128 v[136:139], off, off offset:496
	v_add_f64_e32 v[172:173], v[172:173], v[176:177]
	v_fmac_f64_e32 v[178:179], v[6:7], v[140:141]
	v_add_f64_e32 v[170:171], v[182:183], v[180:181]
	;; [unrolled: 18-line block ×3, first 2 shown]
	v_fma_f64 v[180:181], v[4:5], v[152:153], -v[154:155]
	ds_load_b128 v[4:7], v2 offset:1200
	s_wait_loadcnt_dscnt 0xa01
	v_mul_f64_e32 v[178:179], v[168:169], v[166:167]
	v_mul_f64_e32 v[166:167], v[170:171], v[166:167]
	scratch_load_b128 v[152:155], off, off offset:544
	v_add_f64_e32 v[172:173], v[172:173], v[176:177]
	v_add_f64_e32 v[182:183], v[162:163], v[160:161]
	s_wait_loadcnt_dscnt 0xa00
	v_mul_f64_e32 v[176:177], v[4:5], v[150:151]
	v_mul_f64_e32 v[150:151], v[6:7], v[150:151]
	v_fmac_f64_e32 v[178:179], v[170:171], v[164:165]
	v_fma_f64 v[168:169], v[168:169], v[164:165], -v[166:167]
	ds_load_b128 v[160:163], v2 offset:1216
	scratch_load_b128 v[164:167], off, off offset:560
	v_add_f64_e32 v[172:173], v[172:173], v[174:175]
	v_add_f64_e32 v[170:171], v[182:183], v[180:181]
	v_fmac_f64_e32 v[176:177], v[6:7], v[148:149]
	v_fma_f64 v[180:181], v[4:5], v[148:149], -v[150:151]
	ds_load_b128 v[4:7], v2 offset:1232
	s_wait_loadcnt_dscnt 0xa01
	v_mul_f64_e32 v[174:175], v[160:161], v[10:11]
	v_mul_f64_e32 v[10:11], v[162:163], v[10:11]
	scratch_load_b128 v[148:151], off, off offset:576
	v_add_f64_e32 v[172:173], v[172:173], v[178:179]
	s_wait_loadcnt_dscnt 0xa00
	v_mul_f64_e32 v[178:179], v[4:5], v[14:15]
	v_add_f64_e32 v[182:183], v[170:171], v[168:169]
	v_mul_f64_e32 v[14:15], v[6:7], v[14:15]
	ds_load_b128 v[168:171], v2 offset:1248
	v_fmac_f64_e32 v[174:175], v[162:163], v[8:9]
	v_fma_f64 v[160:161], v[160:161], v[8:9], -v[10:11]
	scratch_load_b128 v[8:11], off, off offset:592
	v_add_f64_e32 v[172:173], v[172:173], v[176:177]
	v_fmac_f64_e32 v[178:179], v[6:7], v[12:13]
	v_add_f64_e32 v[162:163], v[182:183], v[180:181]
	v_fma_f64 v[180:181], v[4:5], v[12:13], -v[14:15]
	ds_load_b128 v[4:7], v2 offset:1264
	s_wait_loadcnt_dscnt 0xa01
	v_mul_f64_e32 v[176:177], v[168:169], v[18:19]
	v_mul_f64_e32 v[18:19], v[170:171], v[18:19]
	scratch_load_b128 v[12:15], off, off offset:608
	v_add_f64_e32 v[172:173], v[172:173], v[174:175]
	s_wait_loadcnt_dscnt 0xa00
	v_mul_f64_e32 v[174:175], v[4:5], v[22:23]
	v_add_f64_e32 v[182:183], v[162:163], v[160:161]
	v_mul_f64_e32 v[22:23], v[6:7], v[22:23]
	ds_load_b128 v[160:163], v2 offset:1280
	v_fmac_f64_e32 v[176:177], v[170:171], v[16:17]
	v_fma_f64 v[168:169], v[168:169], v[16:17], -v[18:19]
	scratch_load_b128 v[16:19], off, off offset:624
	v_add_f64_e32 v[172:173], v[172:173], v[178:179]
	v_fmac_f64_e32 v[174:175], v[6:7], v[20:21]
	v_add_f64_e32 v[170:171], v[182:183], v[180:181]
	;; [unrolled: 18-line block ×7, first 2 shown]
	v_fma_f64 v[180:181], v[4:5], v[12:13], -v[14:15]
	ds_load_b128 v[4:7], v2 offset:1456
	s_wait_loadcnt_dscnt 0xa01
	v_mul_f64_e32 v[176:177], v[168:169], v[18:19]
	v_mul_f64_e32 v[18:19], v[170:171], v[18:19]
	scratch_load_b128 v[12:15], off, off offset:800
	v_add_f64_e32 v[172:173], v[172:173], v[174:175]
	s_wait_loadcnt_dscnt 0xa00
	v_mul_f64_e32 v[174:175], v[4:5], v[22:23]
	v_add_f64_e32 v[182:183], v[162:163], v[160:161]
	v_mul_f64_e32 v[22:23], v[6:7], v[22:23]
	ds_load_b128 v[160:163], v2 offset:1472
	v_fmac_f64_e32 v[176:177], v[170:171], v[16:17]
	v_fma_f64 v[16:17], v[168:169], v[16:17], -v[18:19]
	s_wait_loadcnt_dscnt 0x900
	v_mul_f64_e32 v[170:171], v[160:161], v[130:131]
	v_mul_f64_e32 v[130:131], v[162:163], v[130:131]
	v_add_f64_e32 v[168:169], v[172:173], v[178:179]
	v_fmac_f64_e32 v[174:175], v[6:7], v[20:21]
	v_add_f64_e32 v[18:19], v[182:183], v[180:181]
	v_fma_f64 v[20:21], v[4:5], v[20:21], -v[22:23]
	v_fmac_f64_e32 v[170:171], v[162:163], v[128:129]
	v_fma_f64 v[128:129], v[160:161], v[128:129], -v[130:131]
	v_add_f64_e32 v[168:169], v[168:169], v[176:177]
	v_add_f64_e32 v[22:23], v[18:19], v[16:17]
	ds_load_b128 v[4:7], v2 offset:1488
	ds_load_b128 v[16:19], v2 offset:1504
	s_wait_loadcnt_dscnt 0x801
	v_mul_f64_e32 v[172:173], v[4:5], v[134:135]
	v_mul_f64_e32 v[134:135], v[6:7], v[134:135]
	s_wait_loadcnt_dscnt 0x700
	v_mul_f64_e32 v[130:131], v[16:17], v[138:139]
	v_mul_f64_e32 v[138:139], v[18:19], v[138:139]
	v_add_f64_e32 v[20:21], v[22:23], v[20:21]
	v_add_f64_e32 v[22:23], v[168:169], v[174:175]
	v_fmac_f64_e32 v[172:173], v[6:7], v[132:133]
	v_fma_f64 v[132:133], v[4:5], v[132:133], -v[134:135]
	v_fmac_f64_e32 v[130:131], v[18:19], v[136:137]
	v_fma_f64 v[16:17], v[16:17], v[136:137], -v[138:139]
	v_add_f64_e32 v[128:129], v[20:21], v[128:129]
	v_add_f64_e32 v[134:135], v[22:23], v[170:171]
	ds_load_b128 v[4:7], v2 offset:1520
	ds_load_b128 v[20:23], v2 offset:1536
	s_wait_loadcnt_dscnt 0x601
	v_mul_f64_e32 v[160:161], v[4:5], v[142:143]
	v_mul_f64_e32 v[142:143], v[6:7], v[142:143]
	v_add_f64_e32 v[18:19], v[128:129], v[132:133]
	v_add_f64_e32 v[128:129], v[134:135], v[172:173]
	s_wait_loadcnt_dscnt 0x500
	v_mul_f64_e32 v[132:133], v[20:21], v[146:147]
	v_mul_f64_e32 v[134:135], v[22:23], v[146:147]
	v_fmac_f64_e32 v[160:161], v[6:7], v[140:141]
	v_fma_f64 v[136:137], v[4:5], v[140:141], -v[142:143]
	v_add_f64_e32 v[138:139], v[18:19], v[16:17]
	v_add_f64_e32 v[128:129], v[128:129], v[130:131]
	ds_load_b128 v[4:7], v2 offset:1552
	ds_load_b128 v[16:19], v2 offset:1568
	v_fmac_f64_e32 v[132:133], v[22:23], v[144:145]
	v_fma_f64 v[20:21], v[20:21], v[144:145], -v[134:135]
	s_wait_loadcnt_dscnt 0x401
	v_mul_f64_e32 v[130:131], v[4:5], v[154:155]
	v_mul_f64_e32 v[140:141], v[6:7], v[154:155]
	s_wait_loadcnt_dscnt 0x300
	v_mul_f64_e32 v[134:135], v[16:17], v[166:167]
	v_add_f64_e32 v[22:23], v[138:139], v[136:137]
	v_add_f64_e32 v[128:129], v[128:129], v[160:161]
	v_mul_f64_e32 v[136:137], v[18:19], v[166:167]
	v_fmac_f64_e32 v[130:131], v[6:7], v[152:153]
	v_fma_f64 v[138:139], v[4:5], v[152:153], -v[140:141]
	v_fmac_f64_e32 v[134:135], v[18:19], v[164:165]
	v_add_f64_e32 v[140:141], v[22:23], v[20:21]
	v_add_f64_e32 v[128:129], v[128:129], v[132:133]
	ds_load_b128 v[4:7], v2 offset:1584
	ds_load_b128 v[20:23], v2 offset:1600
	v_fma_f64 v[16:17], v[16:17], v[164:165], -v[136:137]
	s_wait_loadcnt_dscnt 0x201
	v_mul_f64_e32 v[132:133], v[4:5], v[150:151]
	v_mul_f64_e32 v[142:143], v[6:7], v[150:151]
	v_add_f64_e32 v[18:19], v[140:141], v[138:139]
	v_add_f64_e32 v[128:129], v[128:129], v[130:131]
	s_wait_loadcnt_dscnt 0x100
	v_mul_f64_e32 v[130:131], v[20:21], v[10:11]
	v_mul_f64_e32 v[10:11], v[22:23], v[10:11]
	v_fmac_f64_e32 v[132:133], v[6:7], v[148:149]
	v_fma_f64 v[136:137], v[4:5], v[148:149], -v[142:143]
	ds_load_b128 v[4:7], v2 offset:1616
	v_add_f64_e32 v[16:17], v[18:19], v[16:17]
	v_add_f64_e32 v[18:19], v[128:129], v[134:135]
	v_fmac_f64_e32 v[130:131], v[22:23], v[8:9]
	v_fma_f64 v[8:9], v[20:21], v[8:9], -v[10:11]
	s_wait_loadcnt_dscnt 0x0
	v_mul_f64_e32 v[128:129], v[4:5], v[14:15]
	v_mul_f64_e32 v[14:15], v[6:7], v[14:15]
	v_add_f64_e32 v[10:11], v[16:17], v[136:137]
	v_add_f64_e32 v[16:17], v[18:19], v[132:133]
	s_delay_alu instid0(VALU_DEP_4) | instskip(NEXT) | instid1(VALU_DEP_4)
	v_fmac_f64_e32 v[128:129], v[6:7], v[12:13]
	v_fma_f64 v[4:5], v[4:5], v[12:13], -v[14:15]
	s_delay_alu instid0(VALU_DEP_4) | instskip(NEXT) | instid1(VALU_DEP_4)
	v_add_f64_e32 v[6:7], v[10:11], v[8:9]
	v_add_f64_e32 v[8:9], v[16:17], v[130:131]
	s_delay_alu instid0(VALU_DEP_2) | instskip(NEXT) | instid1(VALU_DEP_2)
	v_add_f64_e32 v[4:5], v[6:7], v[4:5]
	v_add_f64_e32 v[6:7], v[8:9], v[128:129]
	s_delay_alu instid0(VALU_DEP_2) | instskip(NEXT) | instid1(VALU_DEP_2)
	v_add_f64_e64 v[4:5], v[156:157], -v[4:5]
	v_add_f64_e64 v[6:7], v[158:159], -v[6:7]
	scratch_store_b128 off, v[4:7], off offset:176
	s_wait_xcnt 0x0
	v_cmpx_lt_u32_e32 10, v1
	s_cbranch_execz .LBB114_299
; %bb.298:
	scratch_load_b128 v[6:9], off, s57
	v_dual_mov_b32 v3, v2 :: v_dual_mov_b32 v4, v2
	v_mov_b32_e32 v5, v2
	scratch_store_b128 off, v[2:5], off offset:160
	s_wait_loadcnt 0x0
	ds_store_b128 v126, v[6:9]
.LBB114_299:
	s_wait_xcnt 0x0
	s_or_b32 exec_lo, exec_lo, s2
	s_wait_storecnt_dscnt 0x0
	s_barrier_signal -1
	s_barrier_wait -1
	s_clause 0x9
	scratch_load_b128 v[4:7], off, off offset:176
	scratch_load_b128 v[8:11], off, off offset:192
	;; [unrolled: 1-line block ×10, first 2 shown]
	ds_load_b128 v[148:151], v2 offset:992
	ds_load_b128 v[156:159], v2 offset:1008
	s_clause 0x2
	scratch_load_b128 v[152:155], off, off offset:336
	scratch_load_b128 v[160:163], off, off offset:160
	;; [unrolled: 1-line block ×3, first 2 shown]
	s_mov_b32 s2, exec_lo
	s_wait_loadcnt_dscnt 0xc01
	v_mul_f64_e32 v[168:169], v[150:151], v[6:7]
	v_mul_f64_e32 v[172:173], v[148:149], v[6:7]
	s_wait_loadcnt_dscnt 0xb00
	v_mul_f64_e32 v[174:175], v[156:157], v[10:11]
	v_mul_f64_e32 v[10:11], v[158:159], v[10:11]
	s_delay_alu instid0(VALU_DEP_4) | instskip(NEXT) | instid1(VALU_DEP_4)
	v_fma_f64 v[176:177], v[148:149], v[4:5], -v[168:169]
	v_fmac_f64_e32 v[172:173], v[150:151], v[4:5]
	ds_load_b128 v[4:7], v2 offset:1024
	ds_load_b128 v[148:151], v2 offset:1040
	scratch_load_b128 v[168:171], off, off offset:368
	v_fmac_f64_e32 v[174:175], v[158:159], v[8:9]
	v_fma_f64 v[156:157], v[156:157], v[8:9], -v[10:11]
	scratch_load_b128 v[8:11], off, off offset:384
	s_wait_loadcnt_dscnt 0xc01
	v_mul_f64_e32 v[178:179], v[4:5], v[14:15]
	v_mul_f64_e32 v[14:15], v[6:7], v[14:15]
	v_add_f64_e32 v[158:159], 0, v[176:177]
	v_add_f64_e32 v[172:173], 0, v[172:173]
	s_wait_loadcnt_dscnt 0xb00
	v_mul_f64_e32 v[176:177], v[148:149], v[18:19]
	v_mul_f64_e32 v[18:19], v[150:151], v[18:19]
	v_fmac_f64_e32 v[178:179], v[6:7], v[12:13]
	v_fma_f64 v[180:181], v[4:5], v[12:13], -v[14:15]
	ds_load_b128 v[4:7], v2 offset:1056
	ds_load_b128 v[12:15], v2 offset:1072
	v_add_f64_e32 v[182:183], v[158:159], v[156:157]
	v_add_f64_e32 v[172:173], v[172:173], v[174:175]
	scratch_load_b128 v[156:159], off, off offset:400
	v_fmac_f64_e32 v[176:177], v[150:151], v[16:17]
	v_fma_f64 v[148:149], v[148:149], v[16:17], -v[18:19]
	scratch_load_b128 v[16:19], off, off offset:416
	s_wait_loadcnt_dscnt 0xc01
	v_mul_f64_e32 v[174:175], v[4:5], v[22:23]
	v_mul_f64_e32 v[22:23], v[6:7], v[22:23]
	v_add_f64_e32 v[150:151], v[182:183], v[180:181]
	v_add_f64_e32 v[172:173], v[172:173], v[178:179]
	s_wait_loadcnt_dscnt 0xb00
	v_mul_f64_e32 v[178:179], v[12:13], v[130:131]
	v_mul_f64_e32 v[130:131], v[14:15], v[130:131]
	v_fmac_f64_e32 v[174:175], v[6:7], v[20:21]
	v_fma_f64 v[180:181], v[4:5], v[20:21], -v[22:23]
	ds_load_b128 v[4:7], v2 offset:1088
	ds_load_b128 v[20:23], v2 offset:1104
	v_add_f64_e32 v[182:183], v[150:151], v[148:149]
	v_add_f64_e32 v[172:173], v[172:173], v[176:177]
	scratch_load_b128 v[148:151], off, off offset:432
	s_wait_loadcnt_dscnt 0xb01
	v_mul_f64_e32 v[176:177], v[4:5], v[134:135]
	v_mul_f64_e32 v[134:135], v[6:7], v[134:135]
	v_fmac_f64_e32 v[178:179], v[14:15], v[128:129]
	v_fma_f64 v[128:129], v[12:13], v[128:129], -v[130:131]
	scratch_load_b128 v[12:15], off, off offset:448
	v_add_f64_e32 v[130:131], v[182:183], v[180:181]
	v_add_f64_e32 v[172:173], v[172:173], v[174:175]
	s_wait_loadcnt_dscnt 0xb00
	v_mul_f64_e32 v[174:175], v[20:21], v[138:139]
	v_mul_f64_e32 v[138:139], v[22:23], v[138:139]
	v_fmac_f64_e32 v[176:177], v[6:7], v[132:133]
	v_fma_f64 v[180:181], v[4:5], v[132:133], -v[134:135]
	v_add_f64_e32 v[182:183], v[130:131], v[128:129]
	v_add_f64_e32 v[172:173], v[172:173], v[178:179]
	ds_load_b128 v[4:7], v2 offset:1120
	ds_load_b128 v[128:131], v2 offset:1136
	scratch_load_b128 v[132:135], off, off offset:464
	v_fmac_f64_e32 v[174:175], v[22:23], v[136:137]
	v_fma_f64 v[136:137], v[20:21], v[136:137], -v[138:139]
	scratch_load_b128 v[20:23], off, off offset:480
	s_wait_loadcnt_dscnt 0xc01
	v_mul_f64_e32 v[178:179], v[4:5], v[142:143]
	v_mul_f64_e32 v[142:143], v[6:7], v[142:143]
	v_add_f64_e32 v[138:139], v[182:183], v[180:181]
	v_add_f64_e32 v[172:173], v[172:173], v[176:177]
	s_wait_loadcnt_dscnt 0xb00
	v_mul_f64_e32 v[176:177], v[128:129], v[146:147]
	v_mul_f64_e32 v[146:147], v[130:131], v[146:147]
	v_fmac_f64_e32 v[178:179], v[6:7], v[140:141]
	v_fma_f64 v[180:181], v[4:5], v[140:141], -v[142:143]
	v_add_f64_e32 v[182:183], v[138:139], v[136:137]
	v_add_f64_e32 v[172:173], v[172:173], v[174:175]
	ds_load_b128 v[4:7], v2 offset:1152
	ds_load_b128 v[136:139], v2 offset:1168
	scratch_load_b128 v[140:143], off, off offset:496
	v_fmac_f64_e32 v[176:177], v[130:131], v[144:145]
	v_fma_f64 v[144:145], v[128:129], v[144:145], -v[146:147]
	scratch_load_b128 v[128:131], off, off offset:512
	s_wait_loadcnt_dscnt 0xc01
	v_mul_f64_e32 v[174:175], v[4:5], v[154:155]
	v_mul_f64_e32 v[154:155], v[6:7], v[154:155]
	;; [unrolled: 18-line block ×5, first 2 shown]
	v_add_f64_e32 v[166:167], v[182:183], v[180:181]
	v_add_f64_e32 v[172:173], v[172:173], v[178:179]
	s_wait_loadcnt_dscnt 0xa00
	v_mul_f64_e32 v[178:179], v[144:145], v[14:15]
	v_mul_f64_e32 v[14:15], v[146:147], v[14:15]
	v_fmac_f64_e32 v[174:175], v[6:7], v[148:149]
	v_fma_f64 v[180:181], v[4:5], v[148:149], -v[150:151]
	ds_load_b128 v[4:7], v2 offset:1280
	ds_load_b128 v[148:151], v2 offset:1296
	v_add_f64_e32 v[182:183], v[166:167], v[164:165]
	v_add_f64_e32 v[172:173], v[172:173], v[176:177]
	scratch_load_b128 v[164:167], off, off offset:624
	v_fmac_f64_e32 v[178:179], v[146:147], v[12:13]
	v_fma_f64 v[144:145], v[144:145], v[12:13], -v[14:15]
	scratch_load_b128 v[12:15], off, off offset:640
	s_wait_loadcnt_dscnt 0xb01
	v_mul_f64_e32 v[176:177], v[4:5], v[134:135]
	v_mul_f64_e32 v[134:135], v[6:7], v[134:135]
	v_add_f64_e32 v[146:147], v[182:183], v[180:181]
	v_add_f64_e32 v[172:173], v[172:173], v[174:175]
	s_wait_loadcnt_dscnt 0xa00
	v_mul_f64_e32 v[174:175], v[148:149], v[22:23]
	v_mul_f64_e32 v[22:23], v[150:151], v[22:23]
	v_fmac_f64_e32 v[176:177], v[6:7], v[132:133]
	v_fma_f64 v[180:181], v[4:5], v[132:133], -v[134:135]
	ds_load_b128 v[4:7], v2 offset:1312
	ds_load_b128 v[132:135], v2 offset:1328
	v_add_f64_e32 v[182:183], v[146:147], v[144:145]
	v_add_f64_e32 v[172:173], v[172:173], v[178:179]
	scratch_load_b128 v[144:147], off, off offset:656
	s_wait_loadcnt_dscnt 0xa01
	v_mul_f64_e32 v[178:179], v[4:5], v[142:143]
	v_mul_f64_e32 v[142:143], v[6:7], v[142:143]
	v_fmac_f64_e32 v[174:175], v[150:151], v[20:21]
	v_fma_f64 v[148:149], v[148:149], v[20:21], -v[22:23]
	scratch_load_b128 v[20:23], off, off offset:672
	v_add_f64_e32 v[150:151], v[182:183], v[180:181]
	v_add_f64_e32 v[172:173], v[172:173], v[176:177]
	s_wait_loadcnt_dscnt 0xa00
	v_mul_f64_e32 v[176:177], v[132:133], v[130:131]
	v_mul_f64_e32 v[130:131], v[134:135], v[130:131]
	v_fmac_f64_e32 v[178:179], v[6:7], v[140:141]
	v_fma_f64 v[180:181], v[4:5], v[140:141], -v[142:143]
	ds_load_b128 v[4:7], v2 offset:1344
	ds_load_b128 v[140:143], v2 offset:1360
	v_add_f64_e32 v[182:183], v[150:151], v[148:149]
	v_add_f64_e32 v[172:173], v[172:173], v[174:175]
	scratch_load_b128 v[148:151], off, off offset:688
	s_wait_loadcnt_dscnt 0xa01
	v_mul_f64_e32 v[174:175], v[4:5], v[154:155]
	v_mul_f64_e32 v[154:155], v[6:7], v[154:155]
	v_fmac_f64_e32 v[176:177], v[134:135], v[128:129]
	v_fma_f64 v[132:133], v[132:133], v[128:129], -v[130:131]
	scratch_load_b128 v[128:131], off, off offset:704
	v_add_f64_e32 v[134:135], v[182:183], v[180:181]
	v_add_f64_e32 v[172:173], v[172:173], v[178:179]
	s_wait_loadcnt_dscnt 0xa00
	v_mul_f64_e32 v[178:179], v[140:141], v[138:139]
	v_mul_f64_e32 v[138:139], v[142:143], v[138:139]
	v_fmac_f64_e32 v[174:175], v[6:7], v[152:153]
	v_fma_f64 v[180:181], v[4:5], v[152:153], -v[154:155]
	v_add_f64_e32 v[182:183], v[134:135], v[132:133]
	v_add_f64_e32 v[172:173], v[172:173], v[176:177]
	ds_load_b128 v[4:7], v2 offset:1376
	ds_load_b128 v[132:135], v2 offset:1392
	scratch_load_b128 v[152:155], off, off offset:720
	v_fmac_f64_e32 v[178:179], v[142:143], v[136:137]
	v_fma_f64 v[140:141], v[140:141], v[136:137], -v[138:139]
	scratch_load_b128 v[136:139], off, off offset:736
	s_wait_loadcnt_dscnt 0xb01
	v_mul_f64_e32 v[176:177], v[4:5], v[170:171]
	v_mul_f64_e32 v[170:171], v[6:7], v[170:171]
	v_add_f64_e32 v[142:143], v[182:183], v[180:181]
	v_add_f64_e32 v[172:173], v[172:173], v[174:175]
	s_wait_loadcnt_dscnt 0xa00
	v_mul_f64_e32 v[174:175], v[132:133], v[10:11]
	v_mul_f64_e32 v[10:11], v[134:135], v[10:11]
	v_fmac_f64_e32 v[176:177], v[6:7], v[168:169]
	v_fma_f64 v[180:181], v[4:5], v[168:169], -v[170:171]
	v_add_f64_e32 v[182:183], v[142:143], v[140:141]
	v_add_f64_e32 v[172:173], v[172:173], v[178:179]
	ds_load_b128 v[4:7], v2 offset:1408
	ds_load_b128 v[140:143], v2 offset:1424
	scratch_load_b128 v[168:171], off, off offset:752
	v_fmac_f64_e32 v[174:175], v[134:135], v[8:9]
	v_fma_f64 v[132:133], v[132:133], v[8:9], -v[10:11]
	scratch_load_b128 v[8:11], off, off offset:768
	s_wait_loadcnt_dscnt 0xb01
	v_mul_f64_e32 v[178:179], v[4:5], v[158:159]
	v_mul_f64_e32 v[158:159], v[6:7], v[158:159]
	;; [unrolled: 18-line block ×3, first 2 shown]
	v_add_f64_e32 v[142:143], v[182:183], v[180:181]
	v_add_f64_e32 v[172:173], v[172:173], v[178:179]
	s_wait_loadcnt_dscnt 0xa00
	v_mul_f64_e32 v[178:179], v[132:133], v[14:15]
	v_mul_f64_e32 v[14:15], v[134:135], v[14:15]
	v_fmac_f64_e32 v[174:175], v[6:7], v[164:165]
	v_fma_f64 v[164:165], v[4:5], v[164:165], -v[166:167]
	v_add_f64_e32 v[166:167], v[142:143], v[140:141]
	v_add_f64_e32 v[172:173], v[172:173], v[176:177]
	ds_load_b128 v[4:7], v2 offset:1472
	ds_load_b128 v[140:143], v2 offset:1488
	v_fmac_f64_e32 v[178:179], v[134:135], v[12:13]
	v_fma_f64 v[12:13], v[132:133], v[12:13], -v[14:15]
	s_wait_loadcnt_dscnt 0x901
	v_mul_f64_e32 v[176:177], v[4:5], v[146:147]
	v_mul_f64_e32 v[146:147], v[6:7], v[146:147]
	s_wait_loadcnt_dscnt 0x800
	v_mul_f64_e32 v[134:135], v[140:141], v[22:23]
	v_mul_f64_e32 v[22:23], v[142:143], v[22:23]
	v_add_f64_e32 v[14:15], v[166:167], v[164:165]
	v_add_f64_e32 v[132:133], v[172:173], v[174:175]
	v_fmac_f64_e32 v[176:177], v[6:7], v[144:145]
	v_fma_f64 v[144:145], v[4:5], v[144:145], -v[146:147]
	v_fmac_f64_e32 v[134:135], v[142:143], v[20:21]
	v_fma_f64 v[20:21], v[140:141], v[20:21], -v[22:23]
	v_add_f64_e32 v[146:147], v[14:15], v[12:13]
	v_add_f64_e32 v[132:133], v[132:133], v[178:179]
	ds_load_b128 v[4:7], v2 offset:1504
	ds_load_b128 v[12:15], v2 offset:1520
	s_wait_loadcnt_dscnt 0x701
	v_mul_f64_e32 v[164:165], v[4:5], v[150:151]
	v_mul_f64_e32 v[150:151], v[6:7], v[150:151]
	s_wait_loadcnt_dscnt 0x600
	v_mul_f64_e32 v[140:141], v[12:13], v[130:131]
	v_mul_f64_e32 v[130:131], v[14:15], v[130:131]
	v_add_f64_e32 v[22:23], v[146:147], v[144:145]
	v_add_f64_e32 v[132:133], v[132:133], v[176:177]
	v_fmac_f64_e32 v[164:165], v[6:7], v[148:149]
	v_fma_f64 v[142:143], v[4:5], v[148:149], -v[150:151]
	v_fmac_f64_e32 v[140:141], v[14:15], v[128:129]
	v_fma_f64 v[12:13], v[12:13], v[128:129], -v[130:131]
	v_add_f64_e32 v[144:145], v[22:23], v[20:21]
	v_add_f64_e32 v[132:133], v[132:133], v[134:135]
	ds_load_b128 v[4:7], v2 offset:1536
	ds_load_b128 v[20:23], v2 offset:1552
	s_wait_loadcnt_dscnt 0x501
	v_mul_f64_e32 v[134:135], v[4:5], v[154:155]
	v_mul_f64_e32 v[146:147], v[6:7], v[154:155]
	s_wait_loadcnt_dscnt 0x400
	v_mul_f64_e32 v[130:131], v[20:21], v[138:139]
	v_add_f64_e32 v[14:15], v[144:145], v[142:143]
	v_add_f64_e32 v[128:129], v[132:133], v[164:165]
	v_mul_f64_e32 v[132:133], v[22:23], v[138:139]
	v_fmac_f64_e32 v[134:135], v[6:7], v[152:153]
	v_fma_f64 v[138:139], v[4:5], v[152:153], -v[146:147]
	v_fmac_f64_e32 v[130:131], v[22:23], v[136:137]
	v_add_f64_e32 v[142:143], v[14:15], v[12:13]
	v_add_f64_e32 v[128:129], v[128:129], v[140:141]
	ds_load_b128 v[4:7], v2 offset:1568
	ds_load_b128 v[12:15], v2 offset:1584
	v_fma_f64 v[20:21], v[20:21], v[136:137], -v[132:133]
	s_wait_loadcnt_dscnt 0x301
	v_mul_f64_e32 v[140:141], v[4:5], v[170:171]
	v_mul_f64_e32 v[144:145], v[6:7], v[170:171]
	s_wait_loadcnt_dscnt 0x200
	v_mul_f64_e32 v[132:133], v[12:13], v[10:11]
	v_mul_f64_e32 v[10:11], v[14:15], v[10:11]
	v_add_f64_e32 v[22:23], v[142:143], v[138:139]
	v_add_f64_e32 v[128:129], v[128:129], v[134:135]
	v_fmac_f64_e32 v[140:141], v[6:7], v[168:169]
	v_fma_f64 v[134:135], v[4:5], v[168:169], -v[144:145]
	v_fmac_f64_e32 v[132:133], v[14:15], v[8:9]
	v_fma_f64 v[8:9], v[12:13], v[8:9], -v[10:11]
	v_add_f64_e32 v[136:137], v[22:23], v[20:21]
	v_add_f64_e32 v[128:129], v[128:129], v[130:131]
	ds_load_b128 v[4:7], v2 offset:1600
	ds_load_b128 v[20:23], v2 offset:1616
	s_wait_loadcnt_dscnt 0x101
	v_mul_f64_e32 v[2:3], v[4:5], v[158:159]
	v_mul_f64_e32 v[130:131], v[6:7], v[158:159]
	s_wait_loadcnt_dscnt 0x0
	v_mul_f64_e32 v[14:15], v[20:21], v[18:19]
	v_mul_f64_e32 v[18:19], v[22:23], v[18:19]
	v_add_f64_e32 v[10:11], v[136:137], v[134:135]
	v_add_f64_e32 v[12:13], v[128:129], v[140:141]
	v_fmac_f64_e32 v[2:3], v[6:7], v[156:157]
	v_fma_f64 v[4:5], v[4:5], v[156:157], -v[130:131]
	v_fmac_f64_e32 v[14:15], v[22:23], v[16:17]
	v_add_f64_e32 v[6:7], v[10:11], v[8:9]
	v_add_f64_e32 v[8:9], v[12:13], v[132:133]
	v_fma_f64 v[10:11], v[20:21], v[16:17], -v[18:19]
	s_delay_alu instid0(VALU_DEP_3) | instskip(NEXT) | instid1(VALU_DEP_3)
	v_add_f64_e32 v[4:5], v[6:7], v[4:5]
	v_add_f64_e32 v[2:3], v[8:9], v[2:3]
	s_delay_alu instid0(VALU_DEP_2) | instskip(NEXT) | instid1(VALU_DEP_2)
	v_add_f64_e32 v[4:5], v[4:5], v[10:11]
	v_add_f64_e32 v[6:7], v[2:3], v[14:15]
	s_delay_alu instid0(VALU_DEP_2) | instskip(NEXT) | instid1(VALU_DEP_2)
	v_add_f64_e64 v[2:3], v[160:161], -v[4:5]
	v_add_f64_e64 v[4:5], v[162:163], -v[6:7]
	scratch_store_b128 off, v[2:5], off offset:160
	s_wait_xcnt 0x0
	v_cmpx_lt_u32_e32 9, v1
	s_cbranch_execz .LBB114_301
; %bb.300:
	scratch_load_b128 v[2:5], off, s58
	v_mov_b32_e32 v6, 0
	s_delay_alu instid0(VALU_DEP_1)
	v_dual_mov_b32 v7, v6 :: v_dual_mov_b32 v8, v6
	v_mov_b32_e32 v9, v6
	scratch_store_b128 off, v[6:9], off offset:144
	s_wait_loadcnt 0x0
	ds_store_b128 v126, v[2:5]
.LBB114_301:
	s_wait_xcnt 0x0
	s_or_b32 exec_lo, exec_lo, s2
	s_wait_storecnt_dscnt 0x0
	s_barrier_signal -1
	s_barrier_wait -1
	s_clause 0x9
	scratch_load_b128 v[4:7], off, off offset:160
	scratch_load_b128 v[8:11], off, off offset:176
	;; [unrolled: 1-line block ×10, first 2 shown]
	v_mov_b32_e32 v2, 0
	s_mov_b32 s2, exec_lo
	ds_load_b128 v[148:151], v2 offset:976
	s_clause 0x2
	scratch_load_b128 v[152:155], off, off offset:320
	scratch_load_b128 v[156:159], off, off offset:144
	;; [unrolled: 1-line block ×3, first 2 shown]
	s_wait_loadcnt_dscnt 0xc00
	v_mul_f64_e32 v[168:169], v[150:151], v[6:7]
	v_mul_f64_e32 v[172:173], v[148:149], v[6:7]
	ds_load_b128 v[160:163], v2 offset:992
	v_fma_f64 v[176:177], v[148:149], v[4:5], -v[168:169]
	v_fmac_f64_e32 v[172:173], v[150:151], v[4:5]
	ds_load_b128 v[4:7], v2 offset:1008
	s_wait_loadcnt_dscnt 0xb01
	v_mul_f64_e32 v[174:175], v[160:161], v[10:11]
	v_mul_f64_e32 v[10:11], v[162:163], v[10:11]
	scratch_load_b128 v[148:151], off, off offset:352
	ds_load_b128 v[168:171], v2 offset:1024
	s_wait_loadcnt_dscnt 0xb01
	v_mul_f64_e32 v[178:179], v[4:5], v[14:15]
	v_mul_f64_e32 v[14:15], v[6:7], v[14:15]
	v_add_f64_e32 v[172:173], 0, v[172:173]
	v_fmac_f64_e32 v[174:175], v[162:163], v[8:9]
	v_fma_f64 v[160:161], v[160:161], v[8:9], -v[10:11]
	v_add_f64_e32 v[162:163], 0, v[176:177]
	scratch_load_b128 v[8:11], off, off offset:368
	v_fmac_f64_e32 v[178:179], v[6:7], v[12:13]
	v_fma_f64 v[180:181], v[4:5], v[12:13], -v[14:15]
	ds_load_b128 v[4:7], v2 offset:1040
	s_wait_loadcnt_dscnt 0xb01
	v_mul_f64_e32 v[176:177], v[168:169], v[18:19]
	v_mul_f64_e32 v[18:19], v[170:171], v[18:19]
	scratch_load_b128 v[12:15], off, off offset:384
	v_add_f64_e32 v[172:173], v[172:173], v[174:175]
	v_add_f64_e32 v[182:183], v[162:163], v[160:161]
	ds_load_b128 v[160:163], v2 offset:1056
	s_wait_loadcnt_dscnt 0xb01
	v_mul_f64_e32 v[174:175], v[4:5], v[22:23]
	v_mul_f64_e32 v[22:23], v[6:7], v[22:23]
	v_fmac_f64_e32 v[176:177], v[170:171], v[16:17]
	v_fma_f64 v[168:169], v[168:169], v[16:17], -v[18:19]
	scratch_load_b128 v[16:19], off, off offset:400
	v_add_f64_e32 v[172:173], v[172:173], v[178:179]
	v_add_f64_e32 v[170:171], v[182:183], v[180:181]
	v_fmac_f64_e32 v[174:175], v[6:7], v[20:21]
	v_fma_f64 v[180:181], v[4:5], v[20:21], -v[22:23]
	ds_load_b128 v[4:7], v2 offset:1072
	s_wait_loadcnt_dscnt 0xb01
	v_mul_f64_e32 v[178:179], v[160:161], v[130:131]
	v_mul_f64_e32 v[130:131], v[162:163], v[130:131]
	scratch_load_b128 v[20:23], off, off offset:416
	v_add_f64_e32 v[172:173], v[172:173], v[176:177]
	s_wait_loadcnt_dscnt 0xb00
	v_mul_f64_e32 v[176:177], v[4:5], v[134:135]
	v_add_f64_e32 v[182:183], v[170:171], v[168:169]
	v_mul_f64_e32 v[134:135], v[6:7], v[134:135]
	ds_load_b128 v[168:171], v2 offset:1088
	v_fmac_f64_e32 v[178:179], v[162:163], v[128:129]
	v_fma_f64 v[160:161], v[160:161], v[128:129], -v[130:131]
	scratch_load_b128 v[128:131], off, off offset:432
	v_add_f64_e32 v[172:173], v[172:173], v[174:175]
	v_fmac_f64_e32 v[176:177], v[6:7], v[132:133]
	v_add_f64_e32 v[162:163], v[182:183], v[180:181]
	v_fma_f64 v[180:181], v[4:5], v[132:133], -v[134:135]
	ds_load_b128 v[4:7], v2 offset:1104
	s_wait_loadcnt_dscnt 0xb01
	v_mul_f64_e32 v[174:175], v[168:169], v[138:139]
	v_mul_f64_e32 v[138:139], v[170:171], v[138:139]
	scratch_load_b128 v[132:135], off, off offset:448
	v_add_f64_e32 v[172:173], v[172:173], v[178:179]
	s_wait_loadcnt_dscnt 0xb00
	v_mul_f64_e32 v[178:179], v[4:5], v[142:143]
	v_add_f64_e32 v[182:183], v[162:163], v[160:161]
	v_mul_f64_e32 v[142:143], v[6:7], v[142:143]
	ds_load_b128 v[160:163], v2 offset:1120
	v_fmac_f64_e32 v[174:175], v[170:171], v[136:137]
	v_fma_f64 v[168:169], v[168:169], v[136:137], -v[138:139]
	scratch_load_b128 v[136:139], off, off offset:464
	v_add_f64_e32 v[172:173], v[172:173], v[176:177]
	v_fmac_f64_e32 v[178:179], v[6:7], v[140:141]
	v_add_f64_e32 v[170:171], v[182:183], v[180:181]
	;; [unrolled: 18-line block ×3, first 2 shown]
	v_fma_f64 v[180:181], v[4:5], v[152:153], -v[154:155]
	ds_load_b128 v[4:7], v2 offset:1168
	s_wait_loadcnt_dscnt 0xa01
	v_mul_f64_e32 v[178:179], v[168:169], v[166:167]
	v_mul_f64_e32 v[166:167], v[170:171], v[166:167]
	scratch_load_b128 v[152:155], off, off offset:512
	v_add_f64_e32 v[172:173], v[172:173], v[176:177]
	v_add_f64_e32 v[182:183], v[162:163], v[160:161]
	s_wait_loadcnt_dscnt 0xa00
	v_mul_f64_e32 v[176:177], v[4:5], v[150:151]
	v_mul_f64_e32 v[150:151], v[6:7], v[150:151]
	v_fmac_f64_e32 v[178:179], v[170:171], v[164:165]
	v_fma_f64 v[168:169], v[168:169], v[164:165], -v[166:167]
	ds_load_b128 v[160:163], v2 offset:1184
	scratch_load_b128 v[164:167], off, off offset:528
	v_add_f64_e32 v[172:173], v[172:173], v[174:175]
	v_add_f64_e32 v[170:171], v[182:183], v[180:181]
	v_fmac_f64_e32 v[176:177], v[6:7], v[148:149]
	v_fma_f64 v[180:181], v[4:5], v[148:149], -v[150:151]
	ds_load_b128 v[4:7], v2 offset:1200
	s_wait_loadcnt_dscnt 0xa01
	v_mul_f64_e32 v[174:175], v[160:161], v[10:11]
	v_mul_f64_e32 v[10:11], v[162:163], v[10:11]
	scratch_load_b128 v[148:151], off, off offset:544
	v_add_f64_e32 v[172:173], v[172:173], v[178:179]
	s_wait_loadcnt_dscnt 0xa00
	v_mul_f64_e32 v[178:179], v[4:5], v[14:15]
	v_add_f64_e32 v[182:183], v[170:171], v[168:169]
	v_mul_f64_e32 v[14:15], v[6:7], v[14:15]
	ds_load_b128 v[168:171], v2 offset:1216
	v_fmac_f64_e32 v[174:175], v[162:163], v[8:9]
	v_fma_f64 v[160:161], v[160:161], v[8:9], -v[10:11]
	scratch_load_b128 v[8:11], off, off offset:560
	v_add_f64_e32 v[172:173], v[172:173], v[176:177]
	v_fmac_f64_e32 v[178:179], v[6:7], v[12:13]
	v_add_f64_e32 v[162:163], v[182:183], v[180:181]
	v_fma_f64 v[180:181], v[4:5], v[12:13], -v[14:15]
	ds_load_b128 v[4:7], v2 offset:1232
	s_wait_loadcnt_dscnt 0xa01
	v_mul_f64_e32 v[176:177], v[168:169], v[18:19]
	v_mul_f64_e32 v[18:19], v[170:171], v[18:19]
	scratch_load_b128 v[12:15], off, off offset:576
	v_add_f64_e32 v[172:173], v[172:173], v[174:175]
	s_wait_loadcnt_dscnt 0xa00
	v_mul_f64_e32 v[174:175], v[4:5], v[22:23]
	v_add_f64_e32 v[182:183], v[162:163], v[160:161]
	v_mul_f64_e32 v[22:23], v[6:7], v[22:23]
	ds_load_b128 v[160:163], v2 offset:1248
	v_fmac_f64_e32 v[176:177], v[170:171], v[16:17]
	v_fma_f64 v[168:169], v[168:169], v[16:17], -v[18:19]
	scratch_load_b128 v[16:19], off, off offset:592
	v_add_f64_e32 v[172:173], v[172:173], v[178:179]
	v_fmac_f64_e32 v[174:175], v[6:7], v[20:21]
	v_add_f64_e32 v[170:171], v[182:183], v[180:181]
	;; [unrolled: 18-line block ×8, first 2 shown]
	v_fma_f64 v[180:181], v[4:5], v[20:21], -v[22:23]
	ds_load_b128 v[4:7], v2 offset:1456
	s_wait_loadcnt_dscnt 0xa01
	v_mul_f64_e32 v[178:179], v[160:161], v[130:131]
	v_mul_f64_e32 v[130:131], v[162:163], v[130:131]
	scratch_load_b128 v[20:23], off, off offset:800
	v_add_f64_e32 v[172:173], v[172:173], v[176:177]
	s_wait_loadcnt_dscnt 0xa00
	v_mul_f64_e32 v[176:177], v[4:5], v[134:135]
	v_add_f64_e32 v[182:183], v[170:171], v[168:169]
	v_mul_f64_e32 v[134:135], v[6:7], v[134:135]
	ds_load_b128 v[168:171], v2 offset:1472
	v_fmac_f64_e32 v[178:179], v[162:163], v[128:129]
	v_fma_f64 v[128:129], v[160:161], v[128:129], -v[130:131]
	s_wait_loadcnt_dscnt 0x900
	v_mul_f64_e32 v[162:163], v[168:169], v[138:139]
	v_mul_f64_e32 v[138:139], v[170:171], v[138:139]
	v_add_f64_e32 v[160:161], v[172:173], v[174:175]
	v_fmac_f64_e32 v[176:177], v[6:7], v[132:133]
	v_add_f64_e32 v[130:131], v[182:183], v[180:181]
	v_fma_f64 v[132:133], v[4:5], v[132:133], -v[134:135]
	v_fmac_f64_e32 v[162:163], v[170:171], v[136:137]
	v_fma_f64 v[136:137], v[168:169], v[136:137], -v[138:139]
	v_add_f64_e32 v[160:161], v[160:161], v[178:179]
	v_add_f64_e32 v[134:135], v[130:131], v[128:129]
	ds_load_b128 v[4:7], v2 offset:1488
	ds_load_b128 v[128:131], v2 offset:1504
	s_wait_loadcnt_dscnt 0x801
	v_mul_f64_e32 v[172:173], v[4:5], v[142:143]
	v_mul_f64_e32 v[142:143], v[6:7], v[142:143]
	s_wait_loadcnt_dscnt 0x700
	v_mul_f64_e32 v[138:139], v[128:129], v[146:147]
	v_mul_f64_e32 v[146:147], v[130:131], v[146:147]
	v_add_f64_e32 v[132:133], v[134:135], v[132:133]
	v_add_f64_e32 v[134:135], v[160:161], v[176:177]
	v_fmac_f64_e32 v[172:173], v[6:7], v[140:141]
	v_fma_f64 v[140:141], v[4:5], v[140:141], -v[142:143]
	v_fmac_f64_e32 v[138:139], v[130:131], v[144:145]
	v_fma_f64 v[128:129], v[128:129], v[144:145], -v[146:147]
	v_add_f64_e32 v[136:137], v[132:133], v[136:137]
	v_add_f64_e32 v[142:143], v[134:135], v[162:163]
	ds_load_b128 v[4:7], v2 offset:1520
	ds_load_b128 v[132:135], v2 offset:1536
	s_wait_loadcnt_dscnt 0x601
	v_mul_f64_e32 v[160:161], v[4:5], v[154:155]
	v_mul_f64_e32 v[154:155], v[6:7], v[154:155]
	v_add_f64_e32 v[130:131], v[136:137], v[140:141]
	v_add_f64_e32 v[136:137], v[142:143], v[172:173]
	s_wait_loadcnt_dscnt 0x500
	v_mul_f64_e32 v[140:141], v[132:133], v[166:167]
	v_mul_f64_e32 v[142:143], v[134:135], v[166:167]
	v_fmac_f64_e32 v[160:161], v[6:7], v[152:153]
	v_fma_f64 v[144:145], v[4:5], v[152:153], -v[154:155]
	v_add_f64_e32 v[146:147], v[130:131], v[128:129]
	v_add_f64_e32 v[136:137], v[136:137], v[138:139]
	ds_load_b128 v[4:7], v2 offset:1552
	ds_load_b128 v[128:131], v2 offset:1568
	v_fmac_f64_e32 v[140:141], v[134:135], v[164:165]
	v_fma_f64 v[132:133], v[132:133], v[164:165], -v[142:143]
	s_wait_loadcnt_dscnt 0x401
	v_mul_f64_e32 v[138:139], v[4:5], v[150:151]
	v_mul_f64_e32 v[150:151], v[6:7], v[150:151]
	s_wait_loadcnt_dscnt 0x300
	v_mul_f64_e32 v[142:143], v[128:129], v[10:11]
	v_mul_f64_e32 v[10:11], v[130:131], v[10:11]
	v_add_f64_e32 v[134:135], v[146:147], v[144:145]
	v_add_f64_e32 v[136:137], v[136:137], v[160:161]
	v_fmac_f64_e32 v[138:139], v[6:7], v[148:149]
	v_fma_f64 v[144:145], v[4:5], v[148:149], -v[150:151]
	v_fmac_f64_e32 v[142:143], v[130:131], v[8:9]
	v_fma_f64 v[8:9], v[128:129], v[8:9], -v[10:11]
	v_add_f64_e32 v[146:147], v[134:135], v[132:133]
	v_add_f64_e32 v[136:137], v[136:137], v[140:141]
	ds_load_b128 v[4:7], v2 offset:1584
	ds_load_b128 v[132:135], v2 offset:1600
	s_wait_loadcnt_dscnt 0x201
	v_mul_f64_e32 v[140:141], v[4:5], v[14:15]
	v_mul_f64_e32 v[14:15], v[6:7], v[14:15]
	s_wait_loadcnt_dscnt 0x100
	v_mul_f64_e32 v[130:131], v[132:133], v[18:19]
	v_mul_f64_e32 v[18:19], v[134:135], v[18:19]
	v_add_f64_e32 v[10:11], v[146:147], v[144:145]
	v_add_f64_e32 v[128:129], v[136:137], v[138:139]
	v_fmac_f64_e32 v[140:141], v[6:7], v[12:13]
	v_fma_f64 v[12:13], v[4:5], v[12:13], -v[14:15]
	ds_load_b128 v[4:7], v2 offset:1616
	v_fmac_f64_e32 v[130:131], v[134:135], v[16:17]
	v_fma_f64 v[16:17], v[132:133], v[16:17], -v[18:19]
	v_add_f64_e32 v[8:9], v[10:11], v[8:9]
	v_add_f64_e32 v[10:11], v[128:129], v[142:143]
	s_wait_loadcnt_dscnt 0x0
	v_mul_f64_e32 v[14:15], v[4:5], v[22:23]
	v_mul_f64_e32 v[22:23], v[6:7], v[22:23]
	s_delay_alu instid0(VALU_DEP_4) | instskip(NEXT) | instid1(VALU_DEP_4)
	v_add_f64_e32 v[8:9], v[8:9], v[12:13]
	v_add_f64_e32 v[10:11], v[10:11], v[140:141]
	s_delay_alu instid0(VALU_DEP_4) | instskip(NEXT) | instid1(VALU_DEP_4)
	v_fmac_f64_e32 v[14:15], v[6:7], v[20:21]
	v_fma_f64 v[4:5], v[4:5], v[20:21], -v[22:23]
	s_delay_alu instid0(VALU_DEP_4) | instskip(NEXT) | instid1(VALU_DEP_4)
	v_add_f64_e32 v[6:7], v[8:9], v[16:17]
	v_add_f64_e32 v[8:9], v[10:11], v[130:131]
	s_delay_alu instid0(VALU_DEP_2) | instskip(NEXT) | instid1(VALU_DEP_2)
	v_add_f64_e32 v[4:5], v[6:7], v[4:5]
	v_add_f64_e32 v[6:7], v[8:9], v[14:15]
	s_delay_alu instid0(VALU_DEP_2) | instskip(NEXT) | instid1(VALU_DEP_2)
	v_add_f64_e64 v[4:5], v[156:157], -v[4:5]
	v_add_f64_e64 v[6:7], v[158:159], -v[6:7]
	scratch_store_b128 off, v[4:7], off offset:144
	s_wait_xcnt 0x0
	v_cmpx_lt_u32_e32 8, v1
	s_cbranch_execz .LBB114_303
; %bb.302:
	scratch_load_b128 v[6:9], off, s59
	v_dual_mov_b32 v3, v2 :: v_dual_mov_b32 v4, v2
	v_mov_b32_e32 v5, v2
	scratch_store_b128 off, v[2:5], off offset:128
	s_wait_loadcnt 0x0
	ds_store_b128 v126, v[6:9]
.LBB114_303:
	s_wait_xcnt 0x0
	s_or_b32 exec_lo, exec_lo, s2
	s_wait_storecnt_dscnt 0x0
	s_barrier_signal -1
	s_barrier_wait -1
	s_clause 0x9
	scratch_load_b128 v[4:7], off, off offset:144
	scratch_load_b128 v[8:11], off, off offset:160
	scratch_load_b128 v[12:15], off, off offset:176
	scratch_load_b128 v[16:19], off, off offset:192
	scratch_load_b128 v[20:23], off, off offset:208
	scratch_load_b128 v[128:131], off, off offset:224
	scratch_load_b128 v[132:135], off, off offset:240
	scratch_load_b128 v[136:139], off, off offset:256
	scratch_load_b128 v[140:143], off, off offset:272
	scratch_load_b128 v[144:147], off, off offset:288
	ds_load_b128 v[148:151], v2 offset:960
	ds_load_b128 v[156:159], v2 offset:976
	s_clause 0x2
	scratch_load_b128 v[152:155], off, off offset:304
	scratch_load_b128 v[160:163], off, off offset:128
	;; [unrolled: 1-line block ×3, first 2 shown]
	s_mov_b32 s2, exec_lo
	s_wait_loadcnt_dscnt 0xc01
	v_mul_f64_e32 v[168:169], v[150:151], v[6:7]
	v_mul_f64_e32 v[172:173], v[148:149], v[6:7]
	s_wait_loadcnt_dscnt 0xb00
	v_mul_f64_e32 v[174:175], v[156:157], v[10:11]
	v_mul_f64_e32 v[10:11], v[158:159], v[10:11]
	s_delay_alu instid0(VALU_DEP_4) | instskip(NEXT) | instid1(VALU_DEP_4)
	v_fma_f64 v[176:177], v[148:149], v[4:5], -v[168:169]
	v_fmac_f64_e32 v[172:173], v[150:151], v[4:5]
	ds_load_b128 v[4:7], v2 offset:992
	ds_load_b128 v[148:151], v2 offset:1008
	scratch_load_b128 v[168:171], off, off offset:336
	v_fmac_f64_e32 v[174:175], v[158:159], v[8:9]
	v_fma_f64 v[156:157], v[156:157], v[8:9], -v[10:11]
	scratch_load_b128 v[8:11], off, off offset:352
	s_wait_loadcnt_dscnt 0xc01
	v_mul_f64_e32 v[178:179], v[4:5], v[14:15]
	v_mul_f64_e32 v[14:15], v[6:7], v[14:15]
	v_add_f64_e32 v[158:159], 0, v[176:177]
	v_add_f64_e32 v[172:173], 0, v[172:173]
	s_wait_loadcnt_dscnt 0xb00
	v_mul_f64_e32 v[176:177], v[148:149], v[18:19]
	v_mul_f64_e32 v[18:19], v[150:151], v[18:19]
	v_fmac_f64_e32 v[178:179], v[6:7], v[12:13]
	v_fma_f64 v[180:181], v[4:5], v[12:13], -v[14:15]
	ds_load_b128 v[4:7], v2 offset:1024
	ds_load_b128 v[12:15], v2 offset:1040
	v_add_f64_e32 v[182:183], v[158:159], v[156:157]
	v_add_f64_e32 v[172:173], v[172:173], v[174:175]
	scratch_load_b128 v[156:159], off, off offset:368
	v_fmac_f64_e32 v[176:177], v[150:151], v[16:17]
	v_fma_f64 v[148:149], v[148:149], v[16:17], -v[18:19]
	scratch_load_b128 v[16:19], off, off offset:384
	s_wait_loadcnt_dscnt 0xc01
	v_mul_f64_e32 v[174:175], v[4:5], v[22:23]
	v_mul_f64_e32 v[22:23], v[6:7], v[22:23]
	v_add_f64_e32 v[150:151], v[182:183], v[180:181]
	v_add_f64_e32 v[172:173], v[172:173], v[178:179]
	s_wait_loadcnt_dscnt 0xb00
	v_mul_f64_e32 v[178:179], v[12:13], v[130:131]
	v_mul_f64_e32 v[130:131], v[14:15], v[130:131]
	v_fmac_f64_e32 v[174:175], v[6:7], v[20:21]
	v_fma_f64 v[180:181], v[4:5], v[20:21], -v[22:23]
	ds_load_b128 v[4:7], v2 offset:1056
	ds_load_b128 v[20:23], v2 offset:1072
	v_add_f64_e32 v[182:183], v[150:151], v[148:149]
	v_add_f64_e32 v[172:173], v[172:173], v[176:177]
	scratch_load_b128 v[148:151], off, off offset:400
	s_wait_loadcnt_dscnt 0xb01
	v_mul_f64_e32 v[176:177], v[4:5], v[134:135]
	v_mul_f64_e32 v[134:135], v[6:7], v[134:135]
	v_fmac_f64_e32 v[178:179], v[14:15], v[128:129]
	v_fma_f64 v[128:129], v[12:13], v[128:129], -v[130:131]
	scratch_load_b128 v[12:15], off, off offset:416
	v_add_f64_e32 v[130:131], v[182:183], v[180:181]
	v_add_f64_e32 v[172:173], v[172:173], v[174:175]
	s_wait_loadcnt_dscnt 0xb00
	v_mul_f64_e32 v[174:175], v[20:21], v[138:139]
	v_mul_f64_e32 v[138:139], v[22:23], v[138:139]
	v_fmac_f64_e32 v[176:177], v[6:7], v[132:133]
	v_fma_f64 v[180:181], v[4:5], v[132:133], -v[134:135]
	v_add_f64_e32 v[182:183], v[130:131], v[128:129]
	v_add_f64_e32 v[172:173], v[172:173], v[178:179]
	ds_load_b128 v[4:7], v2 offset:1088
	ds_load_b128 v[128:131], v2 offset:1104
	scratch_load_b128 v[132:135], off, off offset:432
	v_fmac_f64_e32 v[174:175], v[22:23], v[136:137]
	v_fma_f64 v[136:137], v[20:21], v[136:137], -v[138:139]
	scratch_load_b128 v[20:23], off, off offset:448
	s_wait_loadcnt_dscnt 0xc01
	v_mul_f64_e32 v[178:179], v[4:5], v[142:143]
	v_mul_f64_e32 v[142:143], v[6:7], v[142:143]
	v_add_f64_e32 v[138:139], v[182:183], v[180:181]
	v_add_f64_e32 v[172:173], v[172:173], v[176:177]
	s_wait_loadcnt_dscnt 0xb00
	v_mul_f64_e32 v[176:177], v[128:129], v[146:147]
	v_mul_f64_e32 v[146:147], v[130:131], v[146:147]
	v_fmac_f64_e32 v[178:179], v[6:7], v[140:141]
	v_fma_f64 v[180:181], v[4:5], v[140:141], -v[142:143]
	v_add_f64_e32 v[182:183], v[138:139], v[136:137]
	v_add_f64_e32 v[172:173], v[172:173], v[174:175]
	ds_load_b128 v[4:7], v2 offset:1120
	ds_load_b128 v[136:139], v2 offset:1136
	scratch_load_b128 v[140:143], off, off offset:464
	v_fmac_f64_e32 v[176:177], v[130:131], v[144:145]
	v_fma_f64 v[144:145], v[128:129], v[144:145], -v[146:147]
	scratch_load_b128 v[128:131], off, off offset:480
	s_wait_loadcnt_dscnt 0xc01
	v_mul_f64_e32 v[174:175], v[4:5], v[154:155]
	v_mul_f64_e32 v[154:155], v[6:7], v[154:155]
	;; [unrolled: 18-line block ×5, first 2 shown]
	v_add_f64_e32 v[166:167], v[182:183], v[180:181]
	v_add_f64_e32 v[172:173], v[172:173], v[178:179]
	s_wait_loadcnt_dscnt 0xa00
	v_mul_f64_e32 v[178:179], v[144:145], v[14:15]
	v_mul_f64_e32 v[14:15], v[146:147], v[14:15]
	v_fmac_f64_e32 v[174:175], v[6:7], v[148:149]
	v_fma_f64 v[180:181], v[4:5], v[148:149], -v[150:151]
	ds_load_b128 v[4:7], v2 offset:1248
	ds_load_b128 v[148:151], v2 offset:1264
	v_add_f64_e32 v[182:183], v[166:167], v[164:165]
	v_add_f64_e32 v[172:173], v[172:173], v[176:177]
	scratch_load_b128 v[164:167], off, off offset:592
	v_fmac_f64_e32 v[178:179], v[146:147], v[12:13]
	v_fma_f64 v[144:145], v[144:145], v[12:13], -v[14:15]
	scratch_load_b128 v[12:15], off, off offset:608
	s_wait_loadcnt_dscnt 0xb01
	v_mul_f64_e32 v[176:177], v[4:5], v[134:135]
	v_mul_f64_e32 v[134:135], v[6:7], v[134:135]
	v_add_f64_e32 v[146:147], v[182:183], v[180:181]
	v_add_f64_e32 v[172:173], v[172:173], v[174:175]
	s_wait_loadcnt_dscnt 0xa00
	v_mul_f64_e32 v[174:175], v[148:149], v[22:23]
	v_mul_f64_e32 v[22:23], v[150:151], v[22:23]
	v_fmac_f64_e32 v[176:177], v[6:7], v[132:133]
	v_fma_f64 v[180:181], v[4:5], v[132:133], -v[134:135]
	ds_load_b128 v[4:7], v2 offset:1280
	ds_load_b128 v[132:135], v2 offset:1296
	v_add_f64_e32 v[182:183], v[146:147], v[144:145]
	v_add_f64_e32 v[172:173], v[172:173], v[178:179]
	scratch_load_b128 v[144:147], off, off offset:624
	s_wait_loadcnt_dscnt 0xa01
	v_mul_f64_e32 v[178:179], v[4:5], v[142:143]
	v_mul_f64_e32 v[142:143], v[6:7], v[142:143]
	v_fmac_f64_e32 v[174:175], v[150:151], v[20:21]
	v_fma_f64 v[148:149], v[148:149], v[20:21], -v[22:23]
	scratch_load_b128 v[20:23], off, off offset:640
	v_add_f64_e32 v[150:151], v[182:183], v[180:181]
	v_add_f64_e32 v[172:173], v[172:173], v[176:177]
	s_wait_loadcnt_dscnt 0xa00
	v_mul_f64_e32 v[176:177], v[132:133], v[130:131]
	v_mul_f64_e32 v[130:131], v[134:135], v[130:131]
	v_fmac_f64_e32 v[178:179], v[6:7], v[140:141]
	v_fma_f64 v[180:181], v[4:5], v[140:141], -v[142:143]
	ds_load_b128 v[4:7], v2 offset:1312
	ds_load_b128 v[140:143], v2 offset:1328
	v_add_f64_e32 v[182:183], v[150:151], v[148:149]
	v_add_f64_e32 v[172:173], v[172:173], v[174:175]
	scratch_load_b128 v[148:151], off, off offset:656
	s_wait_loadcnt_dscnt 0xa01
	v_mul_f64_e32 v[174:175], v[4:5], v[154:155]
	v_mul_f64_e32 v[154:155], v[6:7], v[154:155]
	v_fmac_f64_e32 v[176:177], v[134:135], v[128:129]
	v_fma_f64 v[132:133], v[132:133], v[128:129], -v[130:131]
	scratch_load_b128 v[128:131], off, off offset:672
	v_add_f64_e32 v[134:135], v[182:183], v[180:181]
	v_add_f64_e32 v[172:173], v[172:173], v[178:179]
	s_wait_loadcnt_dscnt 0xa00
	v_mul_f64_e32 v[178:179], v[140:141], v[138:139]
	v_mul_f64_e32 v[138:139], v[142:143], v[138:139]
	v_fmac_f64_e32 v[174:175], v[6:7], v[152:153]
	v_fma_f64 v[180:181], v[4:5], v[152:153], -v[154:155]
	v_add_f64_e32 v[182:183], v[134:135], v[132:133]
	v_add_f64_e32 v[172:173], v[172:173], v[176:177]
	ds_load_b128 v[4:7], v2 offset:1344
	ds_load_b128 v[132:135], v2 offset:1360
	scratch_load_b128 v[152:155], off, off offset:688
	v_fmac_f64_e32 v[178:179], v[142:143], v[136:137]
	v_fma_f64 v[140:141], v[140:141], v[136:137], -v[138:139]
	scratch_load_b128 v[136:139], off, off offset:704
	s_wait_loadcnt_dscnt 0xb01
	v_mul_f64_e32 v[176:177], v[4:5], v[170:171]
	v_mul_f64_e32 v[170:171], v[6:7], v[170:171]
	v_add_f64_e32 v[142:143], v[182:183], v[180:181]
	v_add_f64_e32 v[172:173], v[172:173], v[174:175]
	s_wait_loadcnt_dscnt 0xa00
	v_mul_f64_e32 v[174:175], v[132:133], v[10:11]
	v_mul_f64_e32 v[10:11], v[134:135], v[10:11]
	v_fmac_f64_e32 v[176:177], v[6:7], v[168:169]
	v_fma_f64 v[180:181], v[4:5], v[168:169], -v[170:171]
	v_add_f64_e32 v[182:183], v[142:143], v[140:141]
	v_add_f64_e32 v[172:173], v[172:173], v[178:179]
	ds_load_b128 v[4:7], v2 offset:1376
	ds_load_b128 v[140:143], v2 offset:1392
	scratch_load_b128 v[168:171], off, off offset:720
	v_fmac_f64_e32 v[174:175], v[134:135], v[8:9]
	v_fma_f64 v[132:133], v[132:133], v[8:9], -v[10:11]
	scratch_load_b128 v[8:11], off, off offset:736
	s_wait_loadcnt_dscnt 0xb01
	v_mul_f64_e32 v[178:179], v[4:5], v[158:159]
	v_mul_f64_e32 v[158:159], v[6:7], v[158:159]
	;; [unrolled: 18-line block ×4, first 2 shown]
	v_add_f64_e32 v[134:135], v[182:183], v[180:181]
	v_add_f64_e32 v[172:173], v[172:173], v[174:175]
	s_wait_loadcnt_dscnt 0xa00
	v_mul_f64_e32 v[174:175], v[140:141], v[22:23]
	v_mul_f64_e32 v[22:23], v[142:143], v[22:23]
	v_fmac_f64_e32 v[176:177], v[6:7], v[144:145]
	v_fma_f64 v[144:145], v[4:5], v[144:145], -v[146:147]
	v_add_f64_e32 v[146:147], v[134:135], v[132:133]
	v_add_f64_e32 v[172:173], v[172:173], v[178:179]
	ds_load_b128 v[4:7], v2 offset:1472
	ds_load_b128 v[132:135], v2 offset:1488
	v_fmac_f64_e32 v[174:175], v[142:143], v[20:21]
	v_fma_f64 v[20:21], v[140:141], v[20:21], -v[22:23]
	s_wait_loadcnt_dscnt 0x901
	v_mul_f64_e32 v[178:179], v[4:5], v[150:151]
	v_mul_f64_e32 v[150:151], v[6:7], v[150:151]
	s_wait_loadcnt_dscnt 0x800
	v_mul_f64_e32 v[142:143], v[132:133], v[130:131]
	v_mul_f64_e32 v[130:131], v[134:135], v[130:131]
	v_add_f64_e32 v[22:23], v[146:147], v[144:145]
	v_add_f64_e32 v[140:141], v[172:173], v[176:177]
	v_fmac_f64_e32 v[178:179], v[6:7], v[148:149]
	v_fma_f64 v[144:145], v[4:5], v[148:149], -v[150:151]
	v_fmac_f64_e32 v[142:143], v[134:135], v[128:129]
	v_fma_f64 v[128:129], v[132:133], v[128:129], -v[130:131]
	v_add_f64_e32 v[146:147], v[22:23], v[20:21]
	v_add_f64_e32 v[140:141], v[140:141], v[174:175]
	ds_load_b128 v[4:7], v2 offset:1504
	ds_load_b128 v[20:23], v2 offset:1520
	s_wait_loadcnt_dscnt 0x701
	v_mul_f64_e32 v[148:149], v[4:5], v[154:155]
	v_mul_f64_e32 v[150:151], v[6:7], v[154:155]
	s_wait_loadcnt_dscnt 0x600
	v_mul_f64_e32 v[134:135], v[20:21], v[138:139]
	v_mul_f64_e32 v[138:139], v[22:23], v[138:139]
	v_add_f64_e32 v[130:131], v[146:147], v[144:145]
	v_add_f64_e32 v[132:133], v[140:141], v[178:179]
	v_fmac_f64_e32 v[148:149], v[6:7], v[152:153]
	v_fma_f64 v[140:141], v[4:5], v[152:153], -v[150:151]
	v_fmac_f64_e32 v[134:135], v[22:23], v[136:137]
	v_fma_f64 v[20:21], v[20:21], v[136:137], -v[138:139]
	v_add_f64_e32 v[144:145], v[130:131], v[128:129]
	v_add_f64_e32 v[132:133], v[132:133], v[142:143]
	ds_load_b128 v[4:7], v2 offset:1536
	ds_load_b128 v[128:131], v2 offset:1552
	;; [unrolled: 16-line block ×4, first 2 shown]
	s_wait_loadcnt_dscnt 0x101
	v_mul_f64_e32 v[2:3], v[4:5], v[166:167]
	v_mul_f64_e32 v[136:137], v[6:7], v[166:167]
	s_wait_loadcnt_dscnt 0x0
	v_mul_f64_e32 v[22:23], v[8:9], v[14:15]
	v_mul_f64_e32 v[14:15], v[10:11], v[14:15]
	v_add_f64_e32 v[18:19], v[138:139], v[132:133]
	v_add_f64_e32 v[20:21], v[128:129], v[134:135]
	v_fmac_f64_e32 v[2:3], v[6:7], v[164:165]
	v_fma_f64 v[4:5], v[4:5], v[164:165], -v[136:137]
	v_fmac_f64_e32 v[22:23], v[10:11], v[12:13]
	v_fma_f64 v[8:9], v[8:9], v[12:13], -v[14:15]
	v_add_f64_e32 v[6:7], v[18:19], v[16:17]
	v_add_f64_e32 v[16:17], v[20:21], v[130:131]
	s_delay_alu instid0(VALU_DEP_2) | instskip(NEXT) | instid1(VALU_DEP_2)
	v_add_f64_e32 v[4:5], v[6:7], v[4:5]
	v_add_f64_e32 v[2:3], v[16:17], v[2:3]
	s_delay_alu instid0(VALU_DEP_2) | instskip(NEXT) | instid1(VALU_DEP_2)
	;; [unrolled: 3-line block ×3, first 2 shown]
	v_add_f64_e64 v[2:3], v[160:161], -v[4:5]
	v_add_f64_e64 v[4:5], v[162:163], -v[6:7]
	scratch_store_b128 off, v[2:5], off offset:128
	s_wait_xcnt 0x0
	v_cmpx_lt_u32_e32 7, v1
	s_cbranch_execz .LBB114_305
; %bb.304:
	scratch_load_b128 v[2:5], off, s60
	v_mov_b32_e32 v6, 0
	s_delay_alu instid0(VALU_DEP_1)
	v_dual_mov_b32 v7, v6 :: v_dual_mov_b32 v8, v6
	v_mov_b32_e32 v9, v6
	scratch_store_b128 off, v[6:9], off offset:112
	s_wait_loadcnt 0x0
	ds_store_b128 v126, v[2:5]
.LBB114_305:
	s_wait_xcnt 0x0
	s_or_b32 exec_lo, exec_lo, s2
	s_wait_storecnt_dscnt 0x0
	s_barrier_signal -1
	s_barrier_wait -1
	s_clause 0x9
	scratch_load_b128 v[4:7], off, off offset:128
	scratch_load_b128 v[8:11], off, off offset:144
	;; [unrolled: 1-line block ×10, first 2 shown]
	v_mov_b32_e32 v2, 0
	s_mov_b32 s2, exec_lo
	ds_load_b128 v[148:151], v2 offset:944
	s_clause 0x2
	scratch_load_b128 v[152:155], off, off offset:288
	scratch_load_b128 v[156:159], off, off offset:112
	scratch_load_b128 v[164:167], off, off offset:304
	s_wait_loadcnt_dscnt 0xc00
	v_mul_f64_e32 v[168:169], v[150:151], v[6:7]
	v_mul_f64_e32 v[172:173], v[148:149], v[6:7]
	ds_load_b128 v[160:163], v2 offset:960
	v_fma_f64 v[176:177], v[148:149], v[4:5], -v[168:169]
	v_fmac_f64_e32 v[172:173], v[150:151], v[4:5]
	ds_load_b128 v[4:7], v2 offset:976
	s_wait_loadcnt_dscnt 0xb01
	v_mul_f64_e32 v[174:175], v[160:161], v[10:11]
	v_mul_f64_e32 v[10:11], v[162:163], v[10:11]
	scratch_load_b128 v[148:151], off, off offset:320
	ds_load_b128 v[168:171], v2 offset:992
	s_wait_loadcnt_dscnt 0xb01
	v_mul_f64_e32 v[178:179], v[4:5], v[14:15]
	v_mul_f64_e32 v[14:15], v[6:7], v[14:15]
	v_add_f64_e32 v[172:173], 0, v[172:173]
	v_fmac_f64_e32 v[174:175], v[162:163], v[8:9]
	v_fma_f64 v[160:161], v[160:161], v[8:9], -v[10:11]
	v_add_f64_e32 v[162:163], 0, v[176:177]
	scratch_load_b128 v[8:11], off, off offset:336
	v_fmac_f64_e32 v[178:179], v[6:7], v[12:13]
	v_fma_f64 v[180:181], v[4:5], v[12:13], -v[14:15]
	ds_load_b128 v[4:7], v2 offset:1008
	s_wait_loadcnt_dscnt 0xb01
	v_mul_f64_e32 v[176:177], v[168:169], v[18:19]
	v_mul_f64_e32 v[18:19], v[170:171], v[18:19]
	scratch_load_b128 v[12:15], off, off offset:352
	v_add_f64_e32 v[172:173], v[172:173], v[174:175]
	v_add_f64_e32 v[182:183], v[162:163], v[160:161]
	ds_load_b128 v[160:163], v2 offset:1024
	s_wait_loadcnt_dscnt 0xb01
	v_mul_f64_e32 v[174:175], v[4:5], v[22:23]
	v_mul_f64_e32 v[22:23], v[6:7], v[22:23]
	v_fmac_f64_e32 v[176:177], v[170:171], v[16:17]
	v_fma_f64 v[168:169], v[168:169], v[16:17], -v[18:19]
	scratch_load_b128 v[16:19], off, off offset:368
	v_add_f64_e32 v[172:173], v[172:173], v[178:179]
	v_add_f64_e32 v[170:171], v[182:183], v[180:181]
	v_fmac_f64_e32 v[174:175], v[6:7], v[20:21]
	v_fma_f64 v[180:181], v[4:5], v[20:21], -v[22:23]
	ds_load_b128 v[4:7], v2 offset:1040
	s_wait_loadcnt_dscnt 0xb01
	v_mul_f64_e32 v[178:179], v[160:161], v[130:131]
	v_mul_f64_e32 v[130:131], v[162:163], v[130:131]
	scratch_load_b128 v[20:23], off, off offset:384
	v_add_f64_e32 v[172:173], v[172:173], v[176:177]
	s_wait_loadcnt_dscnt 0xb00
	v_mul_f64_e32 v[176:177], v[4:5], v[134:135]
	v_add_f64_e32 v[182:183], v[170:171], v[168:169]
	v_mul_f64_e32 v[134:135], v[6:7], v[134:135]
	ds_load_b128 v[168:171], v2 offset:1056
	v_fmac_f64_e32 v[178:179], v[162:163], v[128:129]
	v_fma_f64 v[160:161], v[160:161], v[128:129], -v[130:131]
	scratch_load_b128 v[128:131], off, off offset:400
	v_add_f64_e32 v[172:173], v[172:173], v[174:175]
	v_fmac_f64_e32 v[176:177], v[6:7], v[132:133]
	v_add_f64_e32 v[162:163], v[182:183], v[180:181]
	v_fma_f64 v[180:181], v[4:5], v[132:133], -v[134:135]
	ds_load_b128 v[4:7], v2 offset:1072
	s_wait_loadcnt_dscnt 0xb01
	v_mul_f64_e32 v[174:175], v[168:169], v[138:139]
	v_mul_f64_e32 v[138:139], v[170:171], v[138:139]
	scratch_load_b128 v[132:135], off, off offset:416
	v_add_f64_e32 v[172:173], v[172:173], v[178:179]
	s_wait_loadcnt_dscnt 0xb00
	v_mul_f64_e32 v[178:179], v[4:5], v[142:143]
	v_add_f64_e32 v[182:183], v[162:163], v[160:161]
	v_mul_f64_e32 v[142:143], v[6:7], v[142:143]
	ds_load_b128 v[160:163], v2 offset:1088
	v_fmac_f64_e32 v[174:175], v[170:171], v[136:137]
	v_fma_f64 v[168:169], v[168:169], v[136:137], -v[138:139]
	scratch_load_b128 v[136:139], off, off offset:432
	v_add_f64_e32 v[172:173], v[172:173], v[176:177]
	v_fmac_f64_e32 v[178:179], v[6:7], v[140:141]
	v_add_f64_e32 v[170:171], v[182:183], v[180:181]
	v_fma_f64 v[180:181], v[4:5], v[140:141], -v[142:143]
	ds_load_b128 v[4:7], v2 offset:1104
	s_wait_loadcnt_dscnt 0xb01
	v_mul_f64_e32 v[176:177], v[160:161], v[146:147]
	v_mul_f64_e32 v[146:147], v[162:163], v[146:147]
	scratch_load_b128 v[140:143], off, off offset:448
	v_add_f64_e32 v[172:173], v[172:173], v[174:175]
	s_wait_loadcnt_dscnt 0xb00
	v_mul_f64_e32 v[174:175], v[4:5], v[154:155]
	v_add_f64_e32 v[182:183], v[170:171], v[168:169]
	v_mul_f64_e32 v[154:155], v[6:7], v[154:155]
	ds_load_b128 v[168:171], v2 offset:1120
	v_fmac_f64_e32 v[176:177], v[162:163], v[144:145]
	v_fma_f64 v[160:161], v[160:161], v[144:145], -v[146:147]
	scratch_load_b128 v[144:147], off, off offset:464
	v_add_f64_e32 v[172:173], v[172:173], v[178:179]
	v_fmac_f64_e32 v[174:175], v[6:7], v[152:153]
	v_add_f64_e32 v[162:163], v[182:183], v[180:181]
	v_fma_f64 v[180:181], v[4:5], v[152:153], -v[154:155]
	ds_load_b128 v[4:7], v2 offset:1136
	s_wait_loadcnt_dscnt 0xa01
	v_mul_f64_e32 v[178:179], v[168:169], v[166:167]
	v_mul_f64_e32 v[166:167], v[170:171], v[166:167]
	scratch_load_b128 v[152:155], off, off offset:480
	v_add_f64_e32 v[172:173], v[172:173], v[176:177]
	v_add_f64_e32 v[182:183], v[162:163], v[160:161]
	s_wait_loadcnt_dscnt 0xa00
	v_mul_f64_e32 v[176:177], v[4:5], v[150:151]
	v_mul_f64_e32 v[150:151], v[6:7], v[150:151]
	v_fmac_f64_e32 v[178:179], v[170:171], v[164:165]
	v_fma_f64 v[168:169], v[168:169], v[164:165], -v[166:167]
	ds_load_b128 v[160:163], v2 offset:1152
	scratch_load_b128 v[164:167], off, off offset:496
	v_add_f64_e32 v[172:173], v[172:173], v[174:175]
	v_add_f64_e32 v[170:171], v[182:183], v[180:181]
	v_fmac_f64_e32 v[176:177], v[6:7], v[148:149]
	v_fma_f64 v[180:181], v[4:5], v[148:149], -v[150:151]
	ds_load_b128 v[4:7], v2 offset:1168
	s_wait_loadcnt_dscnt 0xa01
	v_mul_f64_e32 v[174:175], v[160:161], v[10:11]
	v_mul_f64_e32 v[10:11], v[162:163], v[10:11]
	scratch_load_b128 v[148:151], off, off offset:512
	v_add_f64_e32 v[172:173], v[172:173], v[178:179]
	s_wait_loadcnt_dscnt 0xa00
	v_mul_f64_e32 v[178:179], v[4:5], v[14:15]
	v_add_f64_e32 v[182:183], v[170:171], v[168:169]
	v_mul_f64_e32 v[14:15], v[6:7], v[14:15]
	ds_load_b128 v[168:171], v2 offset:1184
	v_fmac_f64_e32 v[174:175], v[162:163], v[8:9]
	v_fma_f64 v[160:161], v[160:161], v[8:9], -v[10:11]
	scratch_load_b128 v[8:11], off, off offset:528
	v_add_f64_e32 v[172:173], v[172:173], v[176:177]
	v_fmac_f64_e32 v[178:179], v[6:7], v[12:13]
	v_add_f64_e32 v[162:163], v[182:183], v[180:181]
	v_fma_f64 v[180:181], v[4:5], v[12:13], -v[14:15]
	ds_load_b128 v[4:7], v2 offset:1200
	s_wait_loadcnt_dscnt 0xa01
	v_mul_f64_e32 v[176:177], v[168:169], v[18:19]
	v_mul_f64_e32 v[18:19], v[170:171], v[18:19]
	scratch_load_b128 v[12:15], off, off offset:544
	v_add_f64_e32 v[172:173], v[172:173], v[174:175]
	s_wait_loadcnt_dscnt 0xa00
	v_mul_f64_e32 v[174:175], v[4:5], v[22:23]
	v_add_f64_e32 v[182:183], v[162:163], v[160:161]
	v_mul_f64_e32 v[22:23], v[6:7], v[22:23]
	ds_load_b128 v[160:163], v2 offset:1216
	v_fmac_f64_e32 v[176:177], v[170:171], v[16:17]
	v_fma_f64 v[168:169], v[168:169], v[16:17], -v[18:19]
	scratch_load_b128 v[16:19], off, off offset:560
	v_add_f64_e32 v[172:173], v[172:173], v[178:179]
	v_fmac_f64_e32 v[174:175], v[6:7], v[20:21]
	v_add_f64_e32 v[170:171], v[182:183], v[180:181]
	;; [unrolled: 18-line block ×9, first 2 shown]
	v_fma_f64 v[180:181], v[4:5], v[132:133], -v[134:135]
	ds_load_b128 v[4:7], v2 offset:1456
	s_wait_loadcnt_dscnt 0xa01
	v_mul_f64_e32 v[174:175], v[168:169], v[138:139]
	v_mul_f64_e32 v[138:139], v[170:171], v[138:139]
	scratch_load_b128 v[132:135], off, off offset:800
	v_add_f64_e32 v[172:173], v[172:173], v[178:179]
	s_wait_loadcnt_dscnt 0xa00
	v_mul_f64_e32 v[178:179], v[4:5], v[142:143]
	v_add_f64_e32 v[182:183], v[162:163], v[160:161]
	v_mul_f64_e32 v[142:143], v[6:7], v[142:143]
	ds_load_b128 v[160:163], v2 offset:1472
	v_fmac_f64_e32 v[174:175], v[170:171], v[136:137]
	v_fma_f64 v[136:137], v[168:169], v[136:137], -v[138:139]
	s_wait_loadcnt_dscnt 0x900
	v_mul_f64_e32 v[170:171], v[160:161], v[146:147]
	v_mul_f64_e32 v[146:147], v[162:163], v[146:147]
	v_add_f64_e32 v[168:169], v[172:173], v[176:177]
	v_fmac_f64_e32 v[178:179], v[6:7], v[140:141]
	v_add_f64_e32 v[138:139], v[182:183], v[180:181]
	v_fma_f64 v[140:141], v[4:5], v[140:141], -v[142:143]
	v_fmac_f64_e32 v[170:171], v[162:163], v[144:145]
	v_fma_f64 v[144:145], v[160:161], v[144:145], -v[146:147]
	v_add_f64_e32 v[168:169], v[168:169], v[174:175]
	v_add_f64_e32 v[142:143], v[138:139], v[136:137]
	ds_load_b128 v[4:7], v2 offset:1488
	ds_load_b128 v[136:139], v2 offset:1504
	s_wait_loadcnt_dscnt 0x801
	v_mul_f64_e32 v[172:173], v[4:5], v[154:155]
	v_mul_f64_e32 v[154:155], v[6:7], v[154:155]
	s_wait_loadcnt_dscnt 0x700
	v_mul_f64_e32 v[146:147], v[136:137], v[166:167]
	v_mul_f64_e32 v[160:161], v[138:139], v[166:167]
	v_add_f64_e32 v[140:141], v[142:143], v[140:141]
	v_add_f64_e32 v[142:143], v[168:169], v[178:179]
	v_fmac_f64_e32 v[172:173], v[6:7], v[152:153]
	v_fma_f64 v[152:153], v[4:5], v[152:153], -v[154:155]
	v_fmac_f64_e32 v[146:147], v[138:139], v[164:165]
	v_fma_f64 v[136:137], v[136:137], v[164:165], -v[160:161]
	v_add_f64_e32 v[144:145], v[140:141], v[144:145]
	v_add_f64_e32 v[154:155], v[142:143], v[170:171]
	ds_load_b128 v[4:7], v2 offset:1520
	ds_load_b128 v[140:143], v2 offset:1536
	s_wait_loadcnt_dscnt 0x601
	v_mul_f64_e32 v[162:163], v[4:5], v[150:151]
	v_mul_f64_e32 v[150:151], v[6:7], v[150:151]
	v_add_f64_e32 v[138:139], v[144:145], v[152:153]
	v_add_f64_e32 v[144:145], v[154:155], v[172:173]
	s_wait_loadcnt_dscnt 0x500
	v_mul_f64_e32 v[152:153], v[140:141], v[10:11]
	v_mul_f64_e32 v[10:11], v[142:143], v[10:11]
	v_fmac_f64_e32 v[162:163], v[6:7], v[148:149]
	v_fma_f64 v[148:149], v[4:5], v[148:149], -v[150:151]
	v_add_f64_e32 v[150:151], v[138:139], v[136:137]
	v_add_f64_e32 v[144:145], v[144:145], v[146:147]
	ds_load_b128 v[4:7], v2 offset:1552
	ds_load_b128 v[136:139], v2 offset:1568
	v_fmac_f64_e32 v[152:153], v[142:143], v[8:9]
	v_fma_f64 v[8:9], v[140:141], v[8:9], -v[10:11]
	s_wait_loadcnt_dscnt 0x401
	v_mul_f64_e32 v[146:147], v[4:5], v[14:15]
	v_mul_f64_e32 v[14:15], v[6:7], v[14:15]
	s_wait_loadcnt_dscnt 0x300
	v_mul_f64_e32 v[142:143], v[136:137], v[18:19]
	v_mul_f64_e32 v[18:19], v[138:139], v[18:19]
	v_add_f64_e32 v[10:11], v[150:151], v[148:149]
	v_add_f64_e32 v[140:141], v[144:145], v[162:163]
	v_fmac_f64_e32 v[146:147], v[6:7], v[12:13]
	v_fma_f64 v[12:13], v[4:5], v[12:13], -v[14:15]
	v_fmac_f64_e32 v[142:143], v[138:139], v[16:17]
	v_fma_f64 v[16:17], v[136:137], v[16:17], -v[18:19]
	v_add_f64_e32 v[14:15], v[10:11], v[8:9]
	v_add_f64_e32 v[140:141], v[140:141], v[152:153]
	ds_load_b128 v[4:7], v2 offset:1584
	ds_load_b128 v[8:11], v2 offset:1600
	s_wait_loadcnt_dscnt 0x201
	v_mul_f64_e32 v[144:145], v[4:5], v[22:23]
	v_mul_f64_e32 v[22:23], v[6:7], v[22:23]
	s_wait_loadcnt_dscnt 0x100
	v_mul_f64_e32 v[18:19], v[8:9], v[130:131]
	v_mul_f64_e32 v[130:131], v[10:11], v[130:131]
	v_add_f64_e32 v[12:13], v[14:15], v[12:13]
	v_add_f64_e32 v[14:15], v[140:141], v[146:147]
	v_fmac_f64_e32 v[144:145], v[6:7], v[20:21]
	v_fma_f64 v[20:21], v[4:5], v[20:21], -v[22:23]
	ds_load_b128 v[4:7], v2 offset:1616
	v_fmac_f64_e32 v[18:19], v[10:11], v[128:129]
	v_fma_f64 v[8:9], v[8:9], v[128:129], -v[130:131]
	v_add_f64_e32 v[12:13], v[12:13], v[16:17]
	v_add_f64_e32 v[14:15], v[14:15], v[142:143]
	s_wait_loadcnt_dscnt 0x0
	v_mul_f64_e32 v[16:17], v[4:5], v[134:135]
	v_mul_f64_e32 v[22:23], v[6:7], v[134:135]
	s_delay_alu instid0(VALU_DEP_4) | instskip(NEXT) | instid1(VALU_DEP_4)
	v_add_f64_e32 v[10:11], v[12:13], v[20:21]
	v_add_f64_e32 v[12:13], v[14:15], v[144:145]
	s_delay_alu instid0(VALU_DEP_4) | instskip(NEXT) | instid1(VALU_DEP_4)
	v_fmac_f64_e32 v[16:17], v[6:7], v[132:133]
	v_fma_f64 v[4:5], v[4:5], v[132:133], -v[22:23]
	s_delay_alu instid0(VALU_DEP_4) | instskip(NEXT) | instid1(VALU_DEP_4)
	v_add_f64_e32 v[6:7], v[10:11], v[8:9]
	v_add_f64_e32 v[8:9], v[12:13], v[18:19]
	s_delay_alu instid0(VALU_DEP_2) | instskip(NEXT) | instid1(VALU_DEP_2)
	v_add_f64_e32 v[4:5], v[6:7], v[4:5]
	v_add_f64_e32 v[6:7], v[8:9], v[16:17]
	s_delay_alu instid0(VALU_DEP_2) | instskip(NEXT) | instid1(VALU_DEP_2)
	v_add_f64_e64 v[4:5], v[156:157], -v[4:5]
	v_add_f64_e64 v[6:7], v[158:159], -v[6:7]
	scratch_store_b128 off, v[4:7], off offset:112
	s_wait_xcnt 0x0
	v_cmpx_lt_u32_e32 6, v1
	s_cbranch_execz .LBB114_307
; %bb.306:
	scratch_load_b128 v[6:9], off, s61
	v_dual_mov_b32 v3, v2 :: v_dual_mov_b32 v4, v2
	v_mov_b32_e32 v5, v2
	scratch_store_b128 off, v[2:5], off offset:96
	s_wait_loadcnt 0x0
	ds_store_b128 v126, v[6:9]
.LBB114_307:
	s_wait_xcnt 0x0
	s_or_b32 exec_lo, exec_lo, s2
	s_wait_storecnt_dscnt 0x0
	s_barrier_signal -1
	s_barrier_wait -1
	s_clause 0x9
	scratch_load_b128 v[4:7], off, off offset:112
	scratch_load_b128 v[8:11], off, off offset:128
	;; [unrolled: 1-line block ×10, first 2 shown]
	ds_load_b128 v[148:151], v2 offset:928
	ds_load_b128 v[156:159], v2 offset:944
	s_clause 0x2
	scratch_load_b128 v[152:155], off, off offset:272
	scratch_load_b128 v[160:163], off, off offset:96
	;; [unrolled: 1-line block ×3, first 2 shown]
	s_mov_b32 s2, exec_lo
	s_wait_loadcnt_dscnt 0xc01
	v_mul_f64_e32 v[168:169], v[150:151], v[6:7]
	v_mul_f64_e32 v[172:173], v[148:149], v[6:7]
	s_wait_loadcnt_dscnt 0xb00
	v_mul_f64_e32 v[174:175], v[156:157], v[10:11]
	v_mul_f64_e32 v[10:11], v[158:159], v[10:11]
	s_delay_alu instid0(VALU_DEP_4) | instskip(NEXT) | instid1(VALU_DEP_4)
	v_fma_f64 v[176:177], v[148:149], v[4:5], -v[168:169]
	v_fmac_f64_e32 v[172:173], v[150:151], v[4:5]
	ds_load_b128 v[4:7], v2 offset:960
	ds_load_b128 v[148:151], v2 offset:976
	scratch_load_b128 v[168:171], off, off offset:304
	v_fmac_f64_e32 v[174:175], v[158:159], v[8:9]
	v_fma_f64 v[156:157], v[156:157], v[8:9], -v[10:11]
	scratch_load_b128 v[8:11], off, off offset:320
	s_wait_loadcnt_dscnt 0xc01
	v_mul_f64_e32 v[178:179], v[4:5], v[14:15]
	v_mul_f64_e32 v[14:15], v[6:7], v[14:15]
	v_add_f64_e32 v[158:159], 0, v[176:177]
	v_add_f64_e32 v[172:173], 0, v[172:173]
	s_wait_loadcnt_dscnt 0xb00
	v_mul_f64_e32 v[176:177], v[148:149], v[18:19]
	v_mul_f64_e32 v[18:19], v[150:151], v[18:19]
	v_fmac_f64_e32 v[178:179], v[6:7], v[12:13]
	v_fma_f64 v[180:181], v[4:5], v[12:13], -v[14:15]
	ds_load_b128 v[4:7], v2 offset:992
	ds_load_b128 v[12:15], v2 offset:1008
	v_add_f64_e32 v[182:183], v[158:159], v[156:157]
	v_add_f64_e32 v[172:173], v[172:173], v[174:175]
	scratch_load_b128 v[156:159], off, off offset:336
	v_fmac_f64_e32 v[176:177], v[150:151], v[16:17]
	v_fma_f64 v[148:149], v[148:149], v[16:17], -v[18:19]
	scratch_load_b128 v[16:19], off, off offset:352
	s_wait_loadcnt_dscnt 0xc01
	v_mul_f64_e32 v[174:175], v[4:5], v[22:23]
	v_mul_f64_e32 v[22:23], v[6:7], v[22:23]
	v_add_f64_e32 v[150:151], v[182:183], v[180:181]
	v_add_f64_e32 v[172:173], v[172:173], v[178:179]
	s_wait_loadcnt_dscnt 0xb00
	v_mul_f64_e32 v[178:179], v[12:13], v[130:131]
	v_mul_f64_e32 v[130:131], v[14:15], v[130:131]
	v_fmac_f64_e32 v[174:175], v[6:7], v[20:21]
	v_fma_f64 v[180:181], v[4:5], v[20:21], -v[22:23]
	ds_load_b128 v[4:7], v2 offset:1024
	ds_load_b128 v[20:23], v2 offset:1040
	v_add_f64_e32 v[182:183], v[150:151], v[148:149]
	v_add_f64_e32 v[172:173], v[172:173], v[176:177]
	scratch_load_b128 v[148:151], off, off offset:368
	s_wait_loadcnt_dscnt 0xb01
	v_mul_f64_e32 v[176:177], v[4:5], v[134:135]
	v_mul_f64_e32 v[134:135], v[6:7], v[134:135]
	v_fmac_f64_e32 v[178:179], v[14:15], v[128:129]
	v_fma_f64 v[128:129], v[12:13], v[128:129], -v[130:131]
	scratch_load_b128 v[12:15], off, off offset:384
	v_add_f64_e32 v[130:131], v[182:183], v[180:181]
	v_add_f64_e32 v[172:173], v[172:173], v[174:175]
	s_wait_loadcnt_dscnt 0xb00
	v_mul_f64_e32 v[174:175], v[20:21], v[138:139]
	v_mul_f64_e32 v[138:139], v[22:23], v[138:139]
	v_fmac_f64_e32 v[176:177], v[6:7], v[132:133]
	v_fma_f64 v[180:181], v[4:5], v[132:133], -v[134:135]
	v_add_f64_e32 v[182:183], v[130:131], v[128:129]
	v_add_f64_e32 v[172:173], v[172:173], v[178:179]
	ds_load_b128 v[4:7], v2 offset:1056
	ds_load_b128 v[128:131], v2 offset:1072
	scratch_load_b128 v[132:135], off, off offset:400
	v_fmac_f64_e32 v[174:175], v[22:23], v[136:137]
	v_fma_f64 v[136:137], v[20:21], v[136:137], -v[138:139]
	scratch_load_b128 v[20:23], off, off offset:416
	s_wait_loadcnt_dscnt 0xc01
	v_mul_f64_e32 v[178:179], v[4:5], v[142:143]
	v_mul_f64_e32 v[142:143], v[6:7], v[142:143]
	v_add_f64_e32 v[138:139], v[182:183], v[180:181]
	v_add_f64_e32 v[172:173], v[172:173], v[176:177]
	s_wait_loadcnt_dscnt 0xb00
	v_mul_f64_e32 v[176:177], v[128:129], v[146:147]
	v_mul_f64_e32 v[146:147], v[130:131], v[146:147]
	v_fmac_f64_e32 v[178:179], v[6:7], v[140:141]
	v_fma_f64 v[180:181], v[4:5], v[140:141], -v[142:143]
	v_add_f64_e32 v[182:183], v[138:139], v[136:137]
	v_add_f64_e32 v[172:173], v[172:173], v[174:175]
	ds_load_b128 v[4:7], v2 offset:1088
	ds_load_b128 v[136:139], v2 offset:1104
	scratch_load_b128 v[140:143], off, off offset:432
	v_fmac_f64_e32 v[176:177], v[130:131], v[144:145]
	v_fma_f64 v[144:145], v[128:129], v[144:145], -v[146:147]
	scratch_load_b128 v[128:131], off, off offset:448
	s_wait_loadcnt_dscnt 0xc01
	v_mul_f64_e32 v[174:175], v[4:5], v[154:155]
	v_mul_f64_e32 v[154:155], v[6:7], v[154:155]
	;; [unrolled: 18-line block ×5, first 2 shown]
	v_add_f64_e32 v[166:167], v[182:183], v[180:181]
	v_add_f64_e32 v[172:173], v[172:173], v[178:179]
	s_wait_loadcnt_dscnt 0xa00
	v_mul_f64_e32 v[178:179], v[144:145], v[14:15]
	v_mul_f64_e32 v[14:15], v[146:147], v[14:15]
	v_fmac_f64_e32 v[174:175], v[6:7], v[148:149]
	v_fma_f64 v[180:181], v[4:5], v[148:149], -v[150:151]
	ds_load_b128 v[4:7], v2 offset:1216
	ds_load_b128 v[148:151], v2 offset:1232
	v_add_f64_e32 v[182:183], v[166:167], v[164:165]
	v_add_f64_e32 v[172:173], v[172:173], v[176:177]
	scratch_load_b128 v[164:167], off, off offset:560
	v_fmac_f64_e32 v[178:179], v[146:147], v[12:13]
	v_fma_f64 v[144:145], v[144:145], v[12:13], -v[14:15]
	scratch_load_b128 v[12:15], off, off offset:576
	s_wait_loadcnt_dscnt 0xb01
	v_mul_f64_e32 v[176:177], v[4:5], v[134:135]
	v_mul_f64_e32 v[134:135], v[6:7], v[134:135]
	v_add_f64_e32 v[146:147], v[182:183], v[180:181]
	v_add_f64_e32 v[172:173], v[172:173], v[174:175]
	s_wait_loadcnt_dscnt 0xa00
	v_mul_f64_e32 v[174:175], v[148:149], v[22:23]
	v_mul_f64_e32 v[22:23], v[150:151], v[22:23]
	v_fmac_f64_e32 v[176:177], v[6:7], v[132:133]
	v_fma_f64 v[180:181], v[4:5], v[132:133], -v[134:135]
	ds_load_b128 v[4:7], v2 offset:1248
	ds_load_b128 v[132:135], v2 offset:1264
	v_add_f64_e32 v[182:183], v[146:147], v[144:145]
	v_add_f64_e32 v[172:173], v[172:173], v[178:179]
	scratch_load_b128 v[144:147], off, off offset:592
	s_wait_loadcnt_dscnt 0xa01
	v_mul_f64_e32 v[178:179], v[4:5], v[142:143]
	v_mul_f64_e32 v[142:143], v[6:7], v[142:143]
	v_fmac_f64_e32 v[174:175], v[150:151], v[20:21]
	v_fma_f64 v[148:149], v[148:149], v[20:21], -v[22:23]
	scratch_load_b128 v[20:23], off, off offset:608
	v_add_f64_e32 v[150:151], v[182:183], v[180:181]
	v_add_f64_e32 v[172:173], v[172:173], v[176:177]
	s_wait_loadcnt_dscnt 0xa00
	v_mul_f64_e32 v[176:177], v[132:133], v[130:131]
	v_mul_f64_e32 v[130:131], v[134:135], v[130:131]
	v_fmac_f64_e32 v[178:179], v[6:7], v[140:141]
	v_fma_f64 v[180:181], v[4:5], v[140:141], -v[142:143]
	ds_load_b128 v[4:7], v2 offset:1280
	ds_load_b128 v[140:143], v2 offset:1296
	v_add_f64_e32 v[182:183], v[150:151], v[148:149]
	v_add_f64_e32 v[172:173], v[172:173], v[174:175]
	scratch_load_b128 v[148:151], off, off offset:624
	s_wait_loadcnt_dscnt 0xa01
	v_mul_f64_e32 v[174:175], v[4:5], v[154:155]
	v_mul_f64_e32 v[154:155], v[6:7], v[154:155]
	v_fmac_f64_e32 v[176:177], v[134:135], v[128:129]
	v_fma_f64 v[132:133], v[132:133], v[128:129], -v[130:131]
	scratch_load_b128 v[128:131], off, off offset:640
	v_add_f64_e32 v[134:135], v[182:183], v[180:181]
	v_add_f64_e32 v[172:173], v[172:173], v[178:179]
	s_wait_loadcnt_dscnt 0xa00
	v_mul_f64_e32 v[178:179], v[140:141], v[138:139]
	v_mul_f64_e32 v[138:139], v[142:143], v[138:139]
	v_fmac_f64_e32 v[174:175], v[6:7], v[152:153]
	v_fma_f64 v[180:181], v[4:5], v[152:153], -v[154:155]
	v_add_f64_e32 v[182:183], v[134:135], v[132:133]
	v_add_f64_e32 v[172:173], v[172:173], v[176:177]
	ds_load_b128 v[4:7], v2 offset:1312
	ds_load_b128 v[132:135], v2 offset:1328
	scratch_load_b128 v[152:155], off, off offset:656
	v_fmac_f64_e32 v[178:179], v[142:143], v[136:137]
	v_fma_f64 v[140:141], v[140:141], v[136:137], -v[138:139]
	scratch_load_b128 v[136:139], off, off offset:672
	s_wait_loadcnt_dscnt 0xb01
	v_mul_f64_e32 v[176:177], v[4:5], v[170:171]
	v_mul_f64_e32 v[170:171], v[6:7], v[170:171]
	v_add_f64_e32 v[142:143], v[182:183], v[180:181]
	v_add_f64_e32 v[172:173], v[172:173], v[174:175]
	s_wait_loadcnt_dscnt 0xa00
	v_mul_f64_e32 v[174:175], v[132:133], v[10:11]
	v_mul_f64_e32 v[10:11], v[134:135], v[10:11]
	v_fmac_f64_e32 v[176:177], v[6:7], v[168:169]
	v_fma_f64 v[180:181], v[4:5], v[168:169], -v[170:171]
	v_add_f64_e32 v[182:183], v[142:143], v[140:141]
	v_add_f64_e32 v[172:173], v[172:173], v[178:179]
	ds_load_b128 v[4:7], v2 offset:1344
	ds_load_b128 v[140:143], v2 offset:1360
	scratch_load_b128 v[168:171], off, off offset:688
	v_fmac_f64_e32 v[174:175], v[134:135], v[8:9]
	v_fma_f64 v[132:133], v[132:133], v[8:9], -v[10:11]
	scratch_load_b128 v[8:11], off, off offset:704
	s_wait_loadcnt_dscnt 0xb01
	v_mul_f64_e32 v[178:179], v[4:5], v[158:159]
	v_mul_f64_e32 v[158:159], v[6:7], v[158:159]
	;; [unrolled: 18-line block ×5, first 2 shown]
	v_add_f64_e32 v[142:143], v[182:183], v[180:181]
	v_add_f64_e32 v[172:173], v[172:173], v[176:177]
	s_wait_loadcnt_dscnt 0xa00
	v_mul_f64_e32 v[176:177], v[132:133], v[130:131]
	v_mul_f64_e32 v[130:131], v[134:135], v[130:131]
	v_fmac_f64_e32 v[178:179], v[6:7], v[148:149]
	v_fma_f64 v[148:149], v[4:5], v[148:149], -v[150:151]
	v_add_f64_e32 v[150:151], v[142:143], v[140:141]
	v_add_f64_e32 v[172:173], v[172:173], v[174:175]
	ds_load_b128 v[4:7], v2 offset:1472
	ds_load_b128 v[140:143], v2 offset:1488
	v_fmac_f64_e32 v[176:177], v[134:135], v[128:129]
	v_fma_f64 v[128:129], v[132:133], v[128:129], -v[130:131]
	s_wait_loadcnt_dscnt 0x901
	v_mul_f64_e32 v[174:175], v[4:5], v[154:155]
	v_mul_f64_e32 v[154:155], v[6:7], v[154:155]
	s_wait_loadcnt_dscnt 0x800
	v_mul_f64_e32 v[134:135], v[140:141], v[138:139]
	v_mul_f64_e32 v[138:139], v[142:143], v[138:139]
	v_add_f64_e32 v[130:131], v[150:151], v[148:149]
	v_add_f64_e32 v[132:133], v[172:173], v[178:179]
	v_fmac_f64_e32 v[174:175], v[6:7], v[152:153]
	v_fma_f64 v[148:149], v[4:5], v[152:153], -v[154:155]
	v_fmac_f64_e32 v[134:135], v[142:143], v[136:137]
	v_fma_f64 v[136:137], v[140:141], v[136:137], -v[138:139]
	v_add_f64_e32 v[150:151], v[130:131], v[128:129]
	v_add_f64_e32 v[132:133], v[132:133], v[176:177]
	ds_load_b128 v[4:7], v2 offset:1504
	ds_load_b128 v[128:131], v2 offset:1520
	s_wait_loadcnt_dscnt 0x701
	v_mul_f64_e32 v[152:153], v[4:5], v[170:171]
	v_mul_f64_e32 v[154:155], v[6:7], v[170:171]
	s_wait_loadcnt_dscnt 0x600
	v_mul_f64_e32 v[140:141], v[128:129], v[10:11]
	v_mul_f64_e32 v[10:11], v[130:131], v[10:11]
	v_add_f64_e32 v[138:139], v[150:151], v[148:149]
	v_add_f64_e32 v[132:133], v[132:133], v[174:175]
	v_fmac_f64_e32 v[152:153], v[6:7], v[168:169]
	v_fma_f64 v[142:143], v[4:5], v[168:169], -v[154:155]
	v_fmac_f64_e32 v[140:141], v[130:131], v[8:9]
	v_fma_f64 v[8:9], v[128:129], v[8:9], -v[10:11]
	v_add_f64_e32 v[136:137], v[138:139], v[136:137]
	v_add_f64_e32 v[138:139], v[132:133], v[134:135]
	ds_load_b128 v[4:7], v2 offset:1536
	ds_load_b128 v[132:135], v2 offset:1552
	;; [unrolled: 16-line block ×4, first 2 shown]
	s_wait_loadcnt_dscnt 0x101
	v_mul_f64_e32 v[2:3], v[4:5], v[146:147]
	v_mul_f64_e32 v[130:131], v[6:7], v[146:147]
	v_add_f64_e32 v[10:11], v[18:19], v[136:137]
	v_add_f64_e32 v[12:13], v[128:129], v[140:141]
	s_wait_loadcnt_dscnt 0x0
	v_mul_f64_e32 v[18:19], v[14:15], v[22:23]
	v_mul_f64_e32 v[22:23], v[16:17], v[22:23]
	v_fmac_f64_e32 v[2:3], v[6:7], v[144:145]
	v_fma_f64 v[4:5], v[4:5], v[144:145], -v[130:131]
	v_add_f64_e32 v[6:7], v[10:11], v[8:9]
	v_add_f64_e32 v[8:9], v[12:13], v[132:133]
	v_fmac_f64_e32 v[18:19], v[16:17], v[20:21]
	v_fma_f64 v[10:11], v[14:15], v[20:21], -v[22:23]
	s_delay_alu instid0(VALU_DEP_4) | instskip(NEXT) | instid1(VALU_DEP_4)
	v_add_f64_e32 v[4:5], v[6:7], v[4:5]
	v_add_f64_e32 v[2:3], v[8:9], v[2:3]
	s_delay_alu instid0(VALU_DEP_2) | instskip(NEXT) | instid1(VALU_DEP_2)
	v_add_f64_e32 v[4:5], v[4:5], v[10:11]
	v_add_f64_e32 v[6:7], v[2:3], v[18:19]
	s_delay_alu instid0(VALU_DEP_2) | instskip(NEXT) | instid1(VALU_DEP_2)
	v_add_f64_e64 v[2:3], v[160:161], -v[4:5]
	v_add_f64_e64 v[4:5], v[162:163], -v[6:7]
	scratch_store_b128 off, v[2:5], off offset:96
	s_wait_xcnt 0x0
	v_cmpx_lt_u32_e32 5, v1
	s_cbranch_execz .LBB114_309
; %bb.308:
	scratch_load_b128 v[2:5], off, s62
	v_mov_b32_e32 v6, 0
	s_delay_alu instid0(VALU_DEP_1)
	v_dual_mov_b32 v7, v6 :: v_dual_mov_b32 v8, v6
	v_mov_b32_e32 v9, v6
	scratch_store_b128 off, v[6:9], off offset:80
	s_wait_loadcnt 0x0
	ds_store_b128 v126, v[2:5]
.LBB114_309:
	s_wait_xcnt 0x0
	s_or_b32 exec_lo, exec_lo, s2
	s_wait_storecnt_dscnt 0x0
	s_barrier_signal -1
	s_barrier_wait -1
	s_clause 0x9
	scratch_load_b128 v[4:7], off, off offset:96
	scratch_load_b128 v[8:11], off, off offset:112
	;; [unrolled: 1-line block ×10, first 2 shown]
	v_mov_b32_e32 v2, 0
	s_mov_b32 s2, exec_lo
	ds_load_b128 v[148:151], v2 offset:912
	s_clause 0x2
	scratch_load_b128 v[152:155], off, off offset:256
	scratch_load_b128 v[156:159], off, off offset:80
	;; [unrolled: 1-line block ×3, first 2 shown]
	s_wait_loadcnt_dscnt 0xc00
	v_mul_f64_e32 v[168:169], v[150:151], v[6:7]
	v_mul_f64_e32 v[172:173], v[148:149], v[6:7]
	ds_load_b128 v[160:163], v2 offset:928
	v_fma_f64 v[176:177], v[148:149], v[4:5], -v[168:169]
	v_fmac_f64_e32 v[172:173], v[150:151], v[4:5]
	ds_load_b128 v[4:7], v2 offset:944
	s_wait_loadcnt_dscnt 0xb01
	v_mul_f64_e32 v[174:175], v[160:161], v[10:11]
	v_mul_f64_e32 v[10:11], v[162:163], v[10:11]
	scratch_load_b128 v[148:151], off, off offset:288
	ds_load_b128 v[168:171], v2 offset:960
	s_wait_loadcnt_dscnt 0xb01
	v_mul_f64_e32 v[178:179], v[4:5], v[14:15]
	v_mul_f64_e32 v[14:15], v[6:7], v[14:15]
	v_add_f64_e32 v[172:173], 0, v[172:173]
	v_fmac_f64_e32 v[174:175], v[162:163], v[8:9]
	v_fma_f64 v[160:161], v[160:161], v[8:9], -v[10:11]
	v_add_f64_e32 v[162:163], 0, v[176:177]
	scratch_load_b128 v[8:11], off, off offset:304
	v_fmac_f64_e32 v[178:179], v[6:7], v[12:13]
	v_fma_f64 v[180:181], v[4:5], v[12:13], -v[14:15]
	ds_load_b128 v[4:7], v2 offset:976
	s_wait_loadcnt_dscnt 0xb01
	v_mul_f64_e32 v[176:177], v[168:169], v[18:19]
	v_mul_f64_e32 v[18:19], v[170:171], v[18:19]
	scratch_load_b128 v[12:15], off, off offset:320
	v_add_f64_e32 v[172:173], v[172:173], v[174:175]
	v_add_f64_e32 v[182:183], v[162:163], v[160:161]
	ds_load_b128 v[160:163], v2 offset:992
	s_wait_loadcnt_dscnt 0xb01
	v_mul_f64_e32 v[174:175], v[4:5], v[22:23]
	v_mul_f64_e32 v[22:23], v[6:7], v[22:23]
	v_fmac_f64_e32 v[176:177], v[170:171], v[16:17]
	v_fma_f64 v[168:169], v[168:169], v[16:17], -v[18:19]
	scratch_load_b128 v[16:19], off, off offset:336
	v_add_f64_e32 v[172:173], v[172:173], v[178:179]
	v_add_f64_e32 v[170:171], v[182:183], v[180:181]
	v_fmac_f64_e32 v[174:175], v[6:7], v[20:21]
	v_fma_f64 v[180:181], v[4:5], v[20:21], -v[22:23]
	ds_load_b128 v[4:7], v2 offset:1008
	s_wait_loadcnt_dscnt 0xb01
	v_mul_f64_e32 v[178:179], v[160:161], v[130:131]
	v_mul_f64_e32 v[130:131], v[162:163], v[130:131]
	scratch_load_b128 v[20:23], off, off offset:352
	v_add_f64_e32 v[172:173], v[172:173], v[176:177]
	s_wait_loadcnt_dscnt 0xb00
	v_mul_f64_e32 v[176:177], v[4:5], v[134:135]
	v_add_f64_e32 v[182:183], v[170:171], v[168:169]
	v_mul_f64_e32 v[134:135], v[6:7], v[134:135]
	ds_load_b128 v[168:171], v2 offset:1024
	v_fmac_f64_e32 v[178:179], v[162:163], v[128:129]
	v_fma_f64 v[160:161], v[160:161], v[128:129], -v[130:131]
	scratch_load_b128 v[128:131], off, off offset:368
	v_add_f64_e32 v[172:173], v[172:173], v[174:175]
	v_fmac_f64_e32 v[176:177], v[6:7], v[132:133]
	v_add_f64_e32 v[162:163], v[182:183], v[180:181]
	v_fma_f64 v[180:181], v[4:5], v[132:133], -v[134:135]
	ds_load_b128 v[4:7], v2 offset:1040
	s_wait_loadcnt_dscnt 0xb01
	v_mul_f64_e32 v[174:175], v[168:169], v[138:139]
	v_mul_f64_e32 v[138:139], v[170:171], v[138:139]
	scratch_load_b128 v[132:135], off, off offset:384
	v_add_f64_e32 v[172:173], v[172:173], v[178:179]
	s_wait_loadcnt_dscnt 0xb00
	v_mul_f64_e32 v[178:179], v[4:5], v[142:143]
	v_add_f64_e32 v[182:183], v[162:163], v[160:161]
	v_mul_f64_e32 v[142:143], v[6:7], v[142:143]
	ds_load_b128 v[160:163], v2 offset:1056
	v_fmac_f64_e32 v[174:175], v[170:171], v[136:137]
	v_fma_f64 v[168:169], v[168:169], v[136:137], -v[138:139]
	scratch_load_b128 v[136:139], off, off offset:400
	v_add_f64_e32 v[172:173], v[172:173], v[176:177]
	v_fmac_f64_e32 v[178:179], v[6:7], v[140:141]
	v_add_f64_e32 v[170:171], v[182:183], v[180:181]
	;; [unrolled: 18-line block ×3, first 2 shown]
	v_fma_f64 v[180:181], v[4:5], v[152:153], -v[154:155]
	ds_load_b128 v[4:7], v2 offset:1104
	s_wait_loadcnt_dscnt 0xa01
	v_mul_f64_e32 v[178:179], v[168:169], v[166:167]
	v_mul_f64_e32 v[166:167], v[170:171], v[166:167]
	scratch_load_b128 v[152:155], off, off offset:448
	v_add_f64_e32 v[172:173], v[172:173], v[176:177]
	v_add_f64_e32 v[182:183], v[162:163], v[160:161]
	s_wait_loadcnt_dscnt 0xa00
	v_mul_f64_e32 v[176:177], v[4:5], v[150:151]
	v_mul_f64_e32 v[150:151], v[6:7], v[150:151]
	v_fmac_f64_e32 v[178:179], v[170:171], v[164:165]
	v_fma_f64 v[168:169], v[168:169], v[164:165], -v[166:167]
	ds_load_b128 v[160:163], v2 offset:1120
	scratch_load_b128 v[164:167], off, off offset:464
	v_add_f64_e32 v[172:173], v[172:173], v[174:175]
	v_add_f64_e32 v[170:171], v[182:183], v[180:181]
	v_fmac_f64_e32 v[176:177], v[6:7], v[148:149]
	v_fma_f64 v[180:181], v[4:5], v[148:149], -v[150:151]
	ds_load_b128 v[4:7], v2 offset:1136
	s_wait_loadcnt_dscnt 0xa01
	v_mul_f64_e32 v[174:175], v[160:161], v[10:11]
	v_mul_f64_e32 v[10:11], v[162:163], v[10:11]
	scratch_load_b128 v[148:151], off, off offset:480
	v_add_f64_e32 v[172:173], v[172:173], v[178:179]
	s_wait_loadcnt_dscnt 0xa00
	v_mul_f64_e32 v[178:179], v[4:5], v[14:15]
	v_add_f64_e32 v[182:183], v[170:171], v[168:169]
	v_mul_f64_e32 v[14:15], v[6:7], v[14:15]
	ds_load_b128 v[168:171], v2 offset:1152
	v_fmac_f64_e32 v[174:175], v[162:163], v[8:9]
	v_fma_f64 v[160:161], v[160:161], v[8:9], -v[10:11]
	scratch_load_b128 v[8:11], off, off offset:496
	v_add_f64_e32 v[172:173], v[172:173], v[176:177]
	v_fmac_f64_e32 v[178:179], v[6:7], v[12:13]
	v_add_f64_e32 v[162:163], v[182:183], v[180:181]
	v_fma_f64 v[180:181], v[4:5], v[12:13], -v[14:15]
	ds_load_b128 v[4:7], v2 offset:1168
	s_wait_loadcnt_dscnt 0xa01
	v_mul_f64_e32 v[176:177], v[168:169], v[18:19]
	v_mul_f64_e32 v[18:19], v[170:171], v[18:19]
	scratch_load_b128 v[12:15], off, off offset:512
	v_add_f64_e32 v[172:173], v[172:173], v[174:175]
	s_wait_loadcnt_dscnt 0xa00
	v_mul_f64_e32 v[174:175], v[4:5], v[22:23]
	v_add_f64_e32 v[182:183], v[162:163], v[160:161]
	v_mul_f64_e32 v[22:23], v[6:7], v[22:23]
	ds_load_b128 v[160:163], v2 offset:1184
	v_fmac_f64_e32 v[176:177], v[170:171], v[16:17]
	v_fma_f64 v[168:169], v[168:169], v[16:17], -v[18:19]
	scratch_load_b128 v[16:19], off, off offset:528
	v_add_f64_e32 v[172:173], v[172:173], v[178:179]
	v_fmac_f64_e32 v[174:175], v[6:7], v[20:21]
	v_add_f64_e32 v[170:171], v[182:183], v[180:181]
	;; [unrolled: 18-line block ×10, first 2 shown]
	v_fma_f64 v[180:181], v[4:5], v[140:141], -v[142:143]
	ds_load_b128 v[4:7], v2 offset:1456
	s_wait_loadcnt_dscnt 0xa01
	v_mul_f64_e32 v[176:177], v[160:161], v[146:147]
	v_mul_f64_e32 v[146:147], v[162:163], v[146:147]
	scratch_load_b128 v[140:143], off, off offset:800
	v_add_f64_e32 v[172:173], v[172:173], v[174:175]
	s_wait_loadcnt_dscnt 0xa00
	v_mul_f64_e32 v[174:175], v[4:5], v[154:155]
	v_add_f64_e32 v[182:183], v[170:171], v[168:169]
	v_mul_f64_e32 v[154:155], v[6:7], v[154:155]
	ds_load_b128 v[168:171], v2 offset:1472
	v_fmac_f64_e32 v[176:177], v[162:163], v[144:145]
	v_fma_f64 v[144:145], v[160:161], v[144:145], -v[146:147]
	s_wait_loadcnt_dscnt 0x900
	v_mul_f64_e32 v[162:163], v[168:169], v[166:167]
	v_mul_f64_e32 v[166:167], v[170:171], v[166:167]
	v_add_f64_e32 v[160:161], v[172:173], v[178:179]
	v_fmac_f64_e32 v[174:175], v[6:7], v[152:153]
	v_add_f64_e32 v[146:147], v[182:183], v[180:181]
	v_fma_f64 v[152:153], v[4:5], v[152:153], -v[154:155]
	v_fmac_f64_e32 v[162:163], v[170:171], v[164:165]
	v_fma_f64 v[164:165], v[168:169], v[164:165], -v[166:167]
	v_add_f64_e32 v[160:161], v[160:161], v[176:177]
	v_add_f64_e32 v[154:155], v[146:147], v[144:145]
	ds_load_b128 v[4:7], v2 offset:1488
	ds_load_b128 v[144:147], v2 offset:1504
	s_wait_loadcnt_dscnt 0x801
	v_mul_f64_e32 v[172:173], v[4:5], v[150:151]
	v_mul_f64_e32 v[150:151], v[6:7], v[150:151]
	v_add_f64_e32 v[152:153], v[154:155], v[152:153]
	v_add_f64_e32 v[154:155], v[160:161], v[174:175]
	s_wait_loadcnt_dscnt 0x700
	v_mul_f64_e32 v[160:161], v[144:145], v[10:11]
	v_mul_f64_e32 v[10:11], v[146:147], v[10:11]
	v_fmac_f64_e32 v[172:173], v[6:7], v[148:149]
	v_fma_f64 v[166:167], v[4:5], v[148:149], -v[150:151]
	ds_load_b128 v[4:7], v2 offset:1520
	ds_load_b128 v[148:151], v2 offset:1536
	v_add_f64_e32 v[152:153], v[152:153], v[164:165]
	v_add_f64_e32 v[154:155], v[154:155], v[162:163]
	v_fmac_f64_e32 v[160:161], v[146:147], v[8:9]
	v_fma_f64 v[8:9], v[144:145], v[8:9], -v[10:11]
	s_wait_loadcnt_dscnt 0x601
	v_mul_f64_e32 v[162:163], v[4:5], v[14:15]
	v_mul_f64_e32 v[14:15], v[6:7], v[14:15]
	s_wait_loadcnt_dscnt 0x500
	v_mul_f64_e32 v[146:147], v[148:149], v[18:19]
	v_mul_f64_e32 v[18:19], v[150:151], v[18:19]
	v_add_f64_e32 v[10:11], v[152:153], v[166:167]
	v_add_f64_e32 v[144:145], v[154:155], v[172:173]
	v_fmac_f64_e32 v[162:163], v[6:7], v[12:13]
	v_fma_f64 v[12:13], v[4:5], v[12:13], -v[14:15]
	v_fmac_f64_e32 v[146:147], v[150:151], v[16:17]
	v_fma_f64 v[16:17], v[148:149], v[16:17], -v[18:19]
	v_add_f64_e32 v[14:15], v[10:11], v[8:9]
	v_add_f64_e32 v[144:145], v[144:145], v[160:161]
	ds_load_b128 v[4:7], v2 offset:1552
	ds_load_b128 v[8:11], v2 offset:1568
	s_wait_loadcnt_dscnt 0x401
	v_mul_f64_e32 v[152:153], v[4:5], v[22:23]
	v_mul_f64_e32 v[22:23], v[6:7], v[22:23]
	s_wait_loadcnt_dscnt 0x300
	v_mul_f64_e32 v[18:19], v[8:9], v[130:131]
	v_mul_f64_e32 v[130:131], v[10:11], v[130:131]
	v_add_f64_e32 v[12:13], v[14:15], v[12:13]
	v_add_f64_e32 v[14:15], v[144:145], v[162:163]
	v_fmac_f64_e32 v[152:153], v[6:7], v[20:21]
	v_fma_f64 v[20:21], v[4:5], v[20:21], -v[22:23]
	v_fmac_f64_e32 v[18:19], v[10:11], v[128:129]
	v_fma_f64 v[8:9], v[8:9], v[128:129], -v[130:131]
	v_add_f64_e32 v[16:17], v[12:13], v[16:17]
	v_add_f64_e32 v[22:23], v[14:15], v[146:147]
	ds_load_b128 v[4:7], v2 offset:1584
	ds_load_b128 v[12:15], v2 offset:1600
	s_wait_loadcnt_dscnt 0x201
	v_mul_f64_e32 v[144:145], v[4:5], v[134:135]
	v_mul_f64_e32 v[134:135], v[6:7], v[134:135]
	v_add_f64_e32 v[10:11], v[16:17], v[20:21]
	v_add_f64_e32 v[16:17], v[22:23], v[152:153]
	s_wait_loadcnt_dscnt 0x100
	v_mul_f64_e32 v[20:21], v[12:13], v[138:139]
	v_mul_f64_e32 v[22:23], v[14:15], v[138:139]
	v_fmac_f64_e32 v[144:145], v[6:7], v[132:133]
	v_fma_f64 v[128:129], v[4:5], v[132:133], -v[134:135]
	ds_load_b128 v[4:7], v2 offset:1616
	v_add_f64_e32 v[8:9], v[10:11], v[8:9]
	v_add_f64_e32 v[10:11], v[16:17], v[18:19]
	v_fmac_f64_e32 v[20:21], v[14:15], v[136:137]
	v_fma_f64 v[12:13], v[12:13], v[136:137], -v[22:23]
	s_wait_loadcnt_dscnt 0x0
	v_mul_f64_e32 v[16:17], v[4:5], v[142:143]
	v_mul_f64_e32 v[18:19], v[6:7], v[142:143]
	v_add_f64_e32 v[8:9], v[8:9], v[128:129]
	v_add_f64_e32 v[10:11], v[10:11], v[144:145]
	s_delay_alu instid0(VALU_DEP_4) | instskip(NEXT) | instid1(VALU_DEP_4)
	v_fmac_f64_e32 v[16:17], v[6:7], v[140:141]
	v_fma_f64 v[4:5], v[4:5], v[140:141], -v[18:19]
	s_delay_alu instid0(VALU_DEP_4) | instskip(NEXT) | instid1(VALU_DEP_4)
	v_add_f64_e32 v[6:7], v[8:9], v[12:13]
	v_add_f64_e32 v[8:9], v[10:11], v[20:21]
	s_delay_alu instid0(VALU_DEP_2) | instskip(NEXT) | instid1(VALU_DEP_2)
	v_add_f64_e32 v[4:5], v[6:7], v[4:5]
	v_add_f64_e32 v[6:7], v[8:9], v[16:17]
	s_delay_alu instid0(VALU_DEP_2) | instskip(NEXT) | instid1(VALU_DEP_2)
	v_add_f64_e64 v[4:5], v[156:157], -v[4:5]
	v_add_f64_e64 v[6:7], v[158:159], -v[6:7]
	scratch_store_b128 off, v[4:7], off offset:80
	s_wait_xcnt 0x0
	v_cmpx_lt_u32_e32 4, v1
	s_cbranch_execz .LBB114_311
; %bb.310:
	scratch_load_b128 v[6:9], off, s12
	v_dual_mov_b32 v3, v2 :: v_dual_mov_b32 v4, v2
	v_mov_b32_e32 v5, v2
	scratch_store_b128 off, v[2:5], off offset:64
	s_wait_loadcnt 0x0
	ds_store_b128 v126, v[6:9]
.LBB114_311:
	s_wait_xcnt 0x0
	s_or_b32 exec_lo, exec_lo, s2
	s_wait_storecnt_dscnt 0x0
	s_barrier_signal -1
	s_barrier_wait -1
	s_clause 0x9
	scratch_load_b128 v[4:7], off, off offset:80
	scratch_load_b128 v[8:11], off, off offset:96
	;; [unrolled: 1-line block ×10, first 2 shown]
	ds_load_b128 v[148:151], v2 offset:896
	ds_load_b128 v[156:159], v2 offset:912
	s_clause 0x2
	scratch_load_b128 v[152:155], off, off offset:240
	scratch_load_b128 v[160:163], off, off offset:64
	;; [unrolled: 1-line block ×3, first 2 shown]
	s_mov_b32 s2, exec_lo
	s_wait_loadcnt_dscnt 0xc01
	v_mul_f64_e32 v[168:169], v[150:151], v[6:7]
	v_mul_f64_e32 v[172:173], v[148:149], v[6:7]
	s_wait_loadcnt_dscnt 0xb00
	v_mul_f64_e32 v[174:175], v[156:157], v[10:11]
	v_mul_f64_e32 v[10:11], v[158:159], v[10:11]
	s_delay_alu instid0(VALU_DEP_4) | instskip(NEXT) | instid1(VALU_DEP_4)
	v_fma_f64 v[176:177], v[148:149], v[4:5], -v[168:169]
	v_fmac_f64_e32 v[172:173], v[150:151], v[4:5]
	ds_load_b128 v[4:7], v2 offset:928
	ds_load_b128 v[148:151], v2 offset:944
	scratch_load_b128 v[168:171], off, off offset:272
	v_fmac_f64_e32 v[174:175], v[158:159], v[8:9]
	v_fma_f64 v[156:157], v[156:157], v[8:9], -v[10:11]
	scratch_load_b128 v[8:11], off, off offset:288
	s_wait_loadcnt_dscnt 0xc01
	v_mul_f64_e32 v[178:179], v[4:5], v[14:15]
	v_mul_f64_e32 v[14:15], v[6:7], v[14:15]
	v_add_f64_e32 v[158:159], 0, v[176:177]
	v_add_f64_e32 v[172:173], 0, v[172:173]
	s_wait_loadcnt_dscnt 0xb00
	v_mul_f64_e32 v[176:177], v[148:149], v[18:19]
	v_mul_f64_e32 v[18:19], v[150:151], v[18:19]
	v_fmac_f64_e32 v[178:179], v[6:7], v[12:13]
	v_fma_f64 v[180:181], v[4:5], v[12:13], -v[14:15]
	ds_load_b128 v[4:7], v2 offset:960
	ds_load_b128 v[12:15], v2 offset:976
	v_add_f64_e32 v[182:183], v[158:159], v[156:157]
	v_add_f64_e32 v[172:173], v[172:173], v[174:175]
	scratch_load_b128 v[156:159], off, off offset:304
	v_fmac_f64_e32 v[176:177], v[150:151], v[16:17]
	v_fma_f64 v[148:149], v[148:149], v[16:17], -v[18:19]
	scratch_load_b128 v[16:19], off, off offset:320
	s_wait_loadcnt_dscnt 0xc01
	v_mul_f64_e32 v[174:175], v[4:5], v[22:23]
	v_mul_f64_e32 v[22:23], v[6:7], v[22:23]
	v_add_f64_e32 v[150:151], v[182:183], v[180:181]
	v_add_f64_e32 v[172:173], v[172:173], v[178:179]
	s_wait_loadcnt_dscnt 0xb00
	v_mul_f64_e32 v[178:179], v[12:13], v[130:131]
	v_mul_f64_e32 v[130:131], v[14:15], v[130:131]
	v_fmac_f64_e32 v[174:175], v[6:7], v[20:21]
	v_fma_f64 v[180:181], v[4:5], v[20:21], -v[22:23]
	ds_load_b128 v[4:7], v2 offset:992
	ds_load_b128 v[20:23], v2 offset:1008
	v_add_f64_e32 v[182:183], v[150:151], v[148:149]
	v_add_f64_e32 v[172:173], v[172:173], v[176:177]
	scratch_load_b128 v[148:151], off, off offset:336
	s_wait_loadcnt_dscnt 0xb01
	v_mul_f64_e32 v[176:177], v[4:5], v[134:135]
	v_mul_f64_e32 v[134:135], v[6:7], v[134:135]
	v_fmac_f64_e32 v[178:179], v[14:15], v[128:129]
	v_fma_f64 v[128:129], v[12:13], v[128:129], -v[130:131]
	scratch_load_b128 v[12:15], off, off offset:352
	v_add_f64_e32 v[130:131], v[182:183], v[180:181]
	v_add_f64_e32 v[172:173], v[172:173], v[174:175]
	s_wait_loadcnt_dscnt 0xb00
	v_mul_f64_e32 v[174:175], v[20:21], v[138:139]
	v_mul_f64_e32 v[138:139], v[22:23], v[138:139]
	v_fmac_f64_e32 v[176:177], v[6:7], v[132:133]
	v_fma_f64 v[180:181], v[4:5], v[132:133], -v[134:135]
	v_add_f64_e32 v[182:183], v[130:131], v[128:129]
	v_add_f64_e32 v[172:173], v[172:173], v[178:179]
	ds_load_b128 v[4:7], v2 offset:1024
	ds_load_b128 v[128:131], v2 offset:1040
	scratch_load_b128 v[132:135], off, off offset:368
	v_fmac_f64_e32 v[174:175], v[22:23], v[136:137]
	v_fma_f64 v[136:137], v[20:21], v[136:137], -v[138:139]
	scratch_load_b128 v[20:23], off, off offset:384
	s_wait_loadcnt_dscnt 0xc01
	v_mul_f64_e32 v[178:179], v[4:5], v[142:143]
	v_mul_f64_e32 v[142:143], v[6:7], v[142:143]
	v_add_f64_e32 v[138:139], v[182:183], v[180:181]
	v_add_f64_e32 v[172:173], v[172:173], v[176:177]
	s_wait_loadcnt_dscnt 0xb00
	v_mul_f64_e32 v[176:177], v[128:129], v[146:147]
	v_mul_f64_e32 v[146:147], v[130:131], v[146:147]
	v_fmac_f64_e32 v[178:179], v[6:7], v[140:141]
	v_fma_f64 v[180:181], v[4:5], v[140:141], -v[142:143]
	v_add_f64_e32 v[182:183], v[138:139], v[136:137]
	v_add_f64_e32 v[172:173], v[172:173], v[174:175]
	ds_load_b128 v[4:7], v2 offset:1056
	ds_load_b128 v[136:139], v2 offset:1072
	scratch_load_b128 v[140:143], off, off offset:400
	v_fmac_f64_e32 v[176:177], v[130:131], v[144:145]
	v_fma_f64 v[144:145], v[128:129], v[144:145], -v[146:147]
	scratch_load_b128 v[128:131], off, off offset:416
	s_wait_loadcnt_dscnt 0xc01
	v_mul_f64_e32 v[174:175], v[4:5], v[154:155]
	v_mul_f64_e32 v[154:155], v[6:7], v[154:155]
	;; [unrolled: 18-line block ×5, first 2 shown]
	v_add_f64_e32 v[166:167], v[182:183], v[180:181]
	v_add_f64_e32 v[172:173], v[172:173], v[178:179]
	s_wait_loadcnt_dscnt 0xa00
	v_mul_f64_e32 v[178:179], v[144:145], v[14:15]
	v_mul_f64_e32 v[14:15], v[146:147], v[14:15]
	v_fmac_f64_e32 v[174:175], v[6:7], v[148:149]
	v_fma_f64 v[180:181], v[4:5], v[148:149], -v[150:151]
	ds_load_b128 v[4:7], v2 offset:1184
	ds_load_b128 v[148:151], v2 offset:1200
	v_add_f64_e32 v[182:183], v[166:167], v[164:165]
	v_add_f64_e32 v[172:173], v[172:173], v[176:177]
	scratch_load_b128 v[164:167], off, off offset:528
	v_fmac_f64_e32 v[178:179], v[146:147], v[12:13]
	v_fma_f64 v[144:145], v[144:145], v[12:13], -v[14:15]
	scratch_load_b128 v[12:15], off, off offset:544
	s_wait_loadcnt_dscnt 0xb01
	v_mul_f64_e32 v[176:177], v[4:5], v[134:135]
	v_mul_f64_e32 v[134:135], v[6:7], v[134:135]
	v_add_f64_e32 v[146:147], v[182:183], v[180:181]
	v_add_f64_e32 v[172:173], v[172:173], v[174:175]
	s_wait_loadcnt_dscnt 0xa00
	v_mul_f64_e32 v[174:175], v[148:149], v[22:23]
	v_mul_f64_e32 v[22:23], v[150:151], v[22:23]
	v_fmac_f64_e32 v[176:177], v[6:7], v[132:133]
	v_fma_f64 v[180:181], v[4:5], v[132:133], -v[134:135]
	ds_load_b128 v[4:7], v2 offset:1216
	ds_load_b128 v[132:135], v2 offset:1232
	v_add_f64_e32 v[182:183], v[146:147], v[144:145]
	v_add_f64_e32 v[172:173], v[172:173], v[178:179]
	scratch_load_b128 v[144:147], off, off offset:560
	s_wait_loadcnt_dscnt 0xa01
	v_mul_f64_e32 v[178:179], v[4:5], v[142:143]
	v_mul_f64_e32 v[142:143], v[6:7], v[142:143]
	v_fmac_f64_e32 v[174:175], v[150:151], v[20:21]
	v_fma_f64 v[148:149], v[148:149], v[20:21], -v[22:23]
	scratch_load_b128 v[20:23], off, off offset:576
	v_add_f64_e32 v[150:151], v[182:183], v[180:181]
	v_add_f64_e32 v[172:173], v[172:173], v[176:177]
	s_wait_loadcnt_dscnt 0xa00
	v_mul_f64_e32 v[176:177], v[132:133], v[130:131]
	v_mul_f64_e32 v[130:131], v[134:135], v[130:131]
	v_fmac_f64_e32 v[178:179], v[6:7], v[140:141]
	v_fma_f64 v[180:181], v[4:5], v[140:141], -v[142:143]
	ds_load_b128 v[4:7], v2 offset:1248
	ds_load_b128 v[140:143], v2 offset:1264
	v_add_f64_e32 v[182:183], v[150:151], v[148:149]
	v_add_f64_e32 v[172:173], v[172:173], v[174:175]
	scratch_load_b128 v[148:151], off, off offset:592
	s_wait_loadcnt_dscnt 0xa01
	v_mul_f64_e32 v[174:175], v[4:5], v[154:155]
	v_mul_f64_e32 v[154:155], v[6:7], v[154:155]
	v_fmac_f64_e32 v[176:177], v[134:135], v[128:129]
	v_fma_f64 v[132:133], v[132:133], v[128:129], -v[130:131]
	scratch_load_b128 v[128:131], off, off offset:608
	v_add_f64_e32 v[134:135], v[182:183], v[180:181]
	v_add_f64_e32 v[172:173], v[172:173], v[178:179]
	s_wait_loadcnt_dscnt 0xa00
	v_mul_f64_e32 v[178:179], v[140:141], v[138:139]
	v_mul_f64_e32 v[138:139], v[142:143], v[138:139]
	v_fmac_f64_e32 v[174:175], v[6:7], v[152:153]
	v_fma_f64 v[180:181], v[4:5], v[152:153], -v[154:155]
	v_add_f64_e32 v[182:183], v[134:135], v[132:133]
	v_add_f64_e32 v[172:173], v[172:173], v[176:177]
	ds_load_b128 v[4:7], v2 offset:1280
	ds_load_b128 v[132:135], v2 offset:1296
	scratch_load_b128 v[152:155], off, off offset:624
	v_fmac_f64_e32 v[178:179], v[142:143], v[136:137]
	v_fma_f64 v[140:141], v[140:141], v[136:137], -v[138:139]
	scratch_load_b128 v[136:139], off, off offset:640
	s_wait_loadcnt_dscnt 0xb01
	v_mul_f64_e32 v[176:177], v[4:5], v[170:171]
	v_mul_f64_e32 v[170:171], v[6:7], v[170:171]
	v_add_f64_e32 v[142:143], v[182:183], v[180:181]
	v_add_f64_e32 v[172:173], v[172:173], v[174:175]
	s_wait_loadcnt_dscnt 0xa00
	v_mul_f64_e32 v[174:175], v[132:133], v[10:11]
	v_mul_f64_e32 v[10:11], v[134:135], v[10:11]
	v_fmac_f64_e32 v[176:177], v[6:7], v[168:169]
	v_fma_f64 v[180:181], v[4:5], v[168:169], -v[170:171]
	v_add_f64_e32 v[182:183], v[142:143], v[140:141]
	v_add_f64_e32 v[172:173], v[172:173], v[178:179]
	ds_load_b128 v[4:7], v2 offset:1312
	ds_load_b128 v[140:143], v2 offset:1328
	scratch_load_b128 v[168:171], off, off offset:656
	v_fmac_f64_e32 v[174:175], v[134:135], v[8:9]
	v_fma_f64 v[132:133], v[132:133], v[8:9], -v[10:11]
	scratch_load_b128 v[8:11], off, off offset:672
	s_wait_loadcnt_dscnt 0xb01
	v_mul_f64_e32 v[178:179], v[4:5], v[158:159]
	v_mul_f64_e32 v[158:159], v[6:7], v[158:159]
	;; [unrolled: 18-line block ×6, first 2 shown]
	v_add_f64_e32 v[134:135], v[182:183], v[180:181]
	v_add_f64_e32 v[172:173], v[172:173], v[178:179]
	s_wait_loadcnt_dscnt 0xa00
	v_mul_f64_e32 v[178:179], v[140:141], v[138:139]
	v_mul_f64_e32 v[138:139], v[142:143], v[138:139]
	v_fmac_f64_e32 v[174:175], v[6:7], v[152:153]
	v_fma_f64 v[152:153], v[4:5], v[152:153], -v[154:155]
	v_add_f64_e32 v[154:155], v[134:135], v[132:133]
	v_add_f64_e32 v[172:173], v[172:173], v[176:177]
	ds_load_b128 v[4:7], v2 offset:1472
	ds_load_b128 v[132:135], v2 offset:1488
	v_fmac_f64_e32 v[178:179], v[142:143], v[136:137]
	v_fma_f64 v[136:137], v[140:141], v[136:137], -v[138:139]
	s_wait_loadcnt_dscnt 0x901
	v_mul_f64_e32 v[176:177], v[4:5], v[170:171]
	v_mul_f64_e32 v[170:171], v[6:7], v[170:171]
	s_wait_loadcnt_dscnt 0x800
	v_mul_f64_e32 v[142:143], v[132:133], v[10:11]
	v_mul_f64_e32 v[10:11], v[134:135], v[10:11]
	v_add_f64_e32 v[138:139], v[154:155], v[152:153]
	v_add_f64_e32 v[140:141], v[172:173], v[174:175]
	v_fmac_f64_e32 v[176:177], v[6:7], v[168:169]
	v_fma_f64 v[152:153], v[4:5], v[168:169], -v[170:171]
	v_fmac_f64_e32 v[142:143], v[134:135], v[8:9]
	v_fma_f64 v[8:9], v[132:133], v[8:9], -v[10:11]
	v_add_f64_e32 v[154:155], v[138:139], v[136:137]
	v_add_f64_e32 v[140:141], v[140:141], v[178:179]
	ds_load_b128 v[4:7], v2 offset:1504
	ds_load_b128 v[136:139], v2 offset:1520
	s_wait_loadcnt_dscnt 0x701
	v_mul_f64_e32 v[168:169], v[4:5], v[158:159]
	v_mul_f64_e32 v[158:159], v[6:7], v[158:159]
	s_wait_loadcnt_dscnt 0x600
	v_mul_f64_e32 v[134:135], v[136:137], v[18:19]
	v_mul_f64_e32 v[18:19], v[138:139], v[18:19]
	v_add_f64_e32 v[10:11], v[154:155], v[152:153]
	v_add_f64_e32 v[132:133], v[140:141], v[176:177]
	v_fmac_f64_e32 v[168:169], v[6:7], v[156:157]
	v_fma_f64 v[140:141], v[4:5], v[156:157], -v[158:159]
	v_fmac_f64_e32 v[134:135], v[138:139], v[16:17]
	v_fma_f64 v[16:17], v[136:137], v[16:17], -v[18:19]
	v_add_f64_e32 v[152:153], v[10:11], v[8:9]
	v_add_f64_e32 v[132:133], v[132:133], v[142:143]
	ds_load_b128 v[4:7], v2 offset:1536
	ds_load_b128 v[8:11], v2 offset:1552
	s_wait_loadcnt_dscnt 0x501
	v_mul_f64_e32 v[142:143], v[4:5], v[166:167]
	v_mul_f64_e32 v[154:155], v[6:7], v[166:167]
	s_wait_loadcnt_dscnt 0x400
	v_mul_f64_e32 v[136:137], v[8:9], v[14:15]
	v_mul_f64_e32 v[138:139], v[10:11], v[14:15]
	v_add_f64_e32 v[18:19], v[152:153], v[140:141]
	v_add_f64_e32 v[132:133], v[132:133], v[168:169]
	v_fmac_f64_e32 v[142:143], v[6:7], v[164:165]
	v_fma_f64 v[140:141], v[4:5], v[164:165], -v[154:155]
	v_fmac_f64_e32 v[136:137], v[10:11], v[12:13]
	v_fma_f64 v[8:9], v[8:9], v[12:13], -v[138:139]
	v_add_f64_e32 v[18:19], v[18:19], v[16:17]
	v_add_f64_e32 v[132:133], v[132:133], v[134:135]
	ds_load_b128 v[4:7], v2 offset:1568
	ds_load_b128 v[14:17], v2 offset:1584
	s_wait_loadcnt_dscnt 0x301
	v_mul_f64_e32 v[134:135], v[4:5], v[146:147]
	v_mul_f64_e32 v[146:147], v[6:7], v[146:147]
	v_add_f64_e32 v[10:11], v[18:19], v[140:141]
	v_add_f64_e32 v[12:13], v[132:133], v[142:143]
	s_wait_loadcnt_dscnt 0x200
	v_mul_f64_e32 v[18:19], v[14:15], v[22:23]
	v_mul_f64_e32 v[22:23], v[16:17], v[22:23]
	v_fmac_f64_e32 v[134:135], v[6:7], v[144:145]
	v_fma_f64 v[132:133], v[4:5], v[144:145], -v[146:147]
	v_add_f64_e32 v[138:139], v[10:11], v[8:9]
	v_add_f64_e32 v[12:13], v[12:13], v[136:137]
	ds_load_b128 v[4:7], v2 offset:1600
	ds_load_b128 v[8:11], v2 offset:1616
	v_fmac_f64_e32 v[18:19], v[16:17], v[20:21]
	v_fma_f64 v[14:15], v[14:15], v[20:21], -v[22:23]
	s_wait_loadcnt_dscnt 0x101
	v_mul_f64_e32 v[2:3], v[4:5], v[150:151]
	v_mul_f64_e32 v[136:137], v[6:7], v[150:151]
	s_wait_loadcnt_dscnt 0x0
	v_mul_f64_e32 v[20:21], v[8:9], v[130:131]
	v_mul_f64_e32 v[22:23], v[10:11], v[130:131]
	v_add_f64_e32 v[16:17], v[138:139], v[132:133]
	v_add_f64_e32 v[12:13], v[12:13], v[134:135]
	v_fmac_f64_e32 v[2:3], v[6:7], v[148:149]
	v_fma_f64 v[4:5], v[4:5], v[148:149], -v[136:137]
	v_fmac_f64_e32 v[20:21], v[10:11], v[128:129]
	v_fma_f64 v[8:9], v[8:9], v[128:129], -v[22:23]
	v_add_f64_e32 v[6:7], v[16:17], v[14:15]
	v_add_f64_e32 v[12:13], v[12:13], v[18:19]
	s_delay_alu instid0(VALU_DEP_2) | instskip(NEXT) | instid1(VALU_DEP_2)
	v_add_f64_e32 v[4:5], v[6:7], v[4:5]
	v_add_f64_e32 v[2:3], v[12:13], v[2:3]
	s_delay_alu instid0(VALU_DEP_2) | instskip(NEXT) | instid1(VALU_DEP_2)
	;; [unrolled: 3-line block ×3, first 2 shown]
	v_add_f64_e64 v[2:3], v[160:161], -v[4:5]
	v_add_f64_e64 v[4:5], v[162:163], -v[6:7]
	scratch_store_b128 off, v[2:5], off offset:64
	s_wait_xcnt 0x0
	v_cmpx_lt_u32_e32 3, v1
	s_cbranch_execz .LBB114_313
; %bb.312:
	scratch_load_b128 v[2:5], off, s14
	v_mov_b32_e32 v6, 0
	s_delay_alu instid0(VALU_DEP_1)
	v_dual_mov_b32 v7, v6 :: v_dual_mov_b32 v8, v6
	v_mov_b32_e32 v9, v6
	scratch_store_b128 off, v[6:9], off offset:48
	s_wait_loadcnt 0x0
	ds_store_b128 v126, v[2:5]
.LBB114_313:
	s_wait_xcnt 0x0
	s_or_b32 exec_lo, exec_lo, s2
	s_wait_storecnt_dscnt 0x0
	s_barrier_signal -1
	s_barrier_wait -1
	s_clause 0x9
	scratch_load_b128 v[4:7], off, off offset:64
	scratch_load_b128 v[8:11], off, off offset:80
	;; [unrolled: 1-line block ×10, first 2 shown]
	v_mov_b32_e32 v2, 0
	s_mov_b32 s2, exec_lo
	ds_load_b128 v[148:151], v2 offset:880
	s_clause 0x2
	scratch_load_b128 v[152:155], off, off offset:224
	scratch_load_b128 v[156:159], off, off offset:48
	;; [unrolled: 1-line block ×3, first 2 shown]
	s_wait_loadcnt_dscnt 0xc00
	v_mul_f64_e32 v[168:169], v[150:151], v[6:7]
	v_mul_f64_e32 v[172:173], v[148:149], v[6:7]
	ds_load_b128 v[160:163], v2 offset:896
	v_fma_f64 v[176:177], v[148:149], v[4:5], -v[168:169]
	v_fmac_f64_e32 v[172:173], v[150:151], v[4:5]
	ds_load_b128 v[4:7], v2 offset:912
	s_wait_loadcnt_dscnt 0xb01
	v_mul_f64_e32 v[174:175], v[160:161], v[10:11]
	v_mul_f64_e32 v[10:11], v[162:163], v[10:11]
	scratch_load_b128 v[148:151], off, off offset:256
	ds_load_b128 v[168:171], v2 offset:928
	s_wait_loadcnt_dscnt 0xb01
	v_mul_f64_e32 v[178:179], v[4:5], v[14:15]
	v_mul_f64_e32 v[14:15], v[6:7], v[14:15]
	v_add_f64_e32 v[172:173], 0, v[172:173]
	v_fmac_f64_e32 v[174:175], v[162:163], v[8:9]
	v_fma_f64 v[160:161], v[160:161], v[8:9], -v[10:11]
	v_add_f64_e32 v[162:163], 0, v[176:177]
	scratch_load_b128 v[8:11], off, off offset:272
	v_fmac_f64_e32 v[178:179], v[6:7], v[12:13]
	v_fma_f64 v[180:181], v[4:5], v[12:13], -v[14:15]
	ds_load_b128 v[4:7], v2 offset:944
	s_wait_loadcnt_dscnt 0xb01
	v_mul_f64_e32 v[176:177], v[168:169], v[18:19]
	v_mul_f64_e32 v[18:19], v[170:171], v[18:19]
	scratch_load_b128 v[12:15], off, off offset:288
	v_add_f64_e32 v[172:173], v[172:173], v[174:175]
	v_add_f64_e32 v[182:183], v[162:163], v[160:161]
	ds_load_b128 v[160:163], v2 offset:960
	s_wait_loadcnt_dscnt 0xb01
	v_mul_f64_e32 v[174:175], v[4:5], v[22:23]
	v_mul_f64_e32 v[22:23], v[6:7], v[22:23]
	v_fmac_f64_e32 v[176:177], v[170:171], v[16:17]
	v_fma_f64 v[168:169], v[168:169], v[16:17], -v[18:19]
	scratch_load_b128 v[16:19], off, off offset:304
	v_add_f64_e32 v[172:173], v[172:173], v[178:179]
	v_add_f64_e32 v[170:171], v[182:183], v[180:181]
	v_fmac_f64_e32 v[174:175], v[6:7], v[20:21]
	v_fma_f64 v[180:181], v[4:5], v[20:21], -v[22:23]
	ds_load_b128 v[4:7], v2 offset:976
	s_wait_loadcnt_dscnt 0xb01
	v_mul_f64_e32 v[178:179], v[160:161], v[130:131]
	v_mul_f64_e32 v[130:131], v[162:163], v[130:131]
	scratch_load_b128 v[20:23], off, off offset:320
	v_add_f64_e32 v[172:173], v[172:173], v[176:177]
	s_wait_loadcnt_dscnt 0xb00
	v_mul_f64_e32 v[176:177], v[4:5], v[134:135]
	v_add_f64_e32 v[182:183], v[170:171], v[168:169]
	v_mul_f64_e32 v[134:135], v[6:7], v[134:135]
	ds_load_b128 v[168:171], v2 offset:992
	v_fmac_f64_e32 v[178:179], v[162:163], v[128:129]
	v_fma_f64 v[160:161], v[160:161], v[128:129], -v[130:131]
	scratch_load_b128 v[128:131], off, off offset:336
	v_add_f64_e32 v[172:173], v[172:173], v[174:175]
	v_fmac_f64_e32 v[176:177], v[6:7], v[132:133]
	v_add_f64_e32 v[162:163], v[182:183], v[180:181]
	v_fma_f64 v[180:181], v[4:5], v[132:133], -v[134:135]
	ds_load_b128 v[4:7], v2 offset:1008
	s_wait_loadcnt_dscnt 0xb01
	v_mul_f64_e32 v[174:175], v[168:169], v[138:139]
	v_mul_f64_e32 v[138:139], v[170:171], v[138:139]
	scratch_load_b128 v[132:135], off, off offset:352
	v_add_f64_e32 v[172:173], v[172:173], v[178:179]
	s_wait_loadcnt_dscnt 0xb00
	v_mul_f64_e32 v[178:179], v[4:5], v[142:143]
	v_add_f64_e32 v[182:183], v[162:163], v[160:161]
	v_mul_f64_e32 v[142:143], v[6:7], v[142:143]
	ds_load_b128 v[160:163], v2 offset:1024
	v_fmac_f64_e32 v[174:175], v[170:171], v[136:137]
	v_fma_f64 v[168:169], v[168:169], v[136:137], -v[138:139]
	scratch_load_b128 v[136:139], off, off offset:368
	v_add_f64_e32 v[172:173], v[172:173], v[176:177]
	v_fmac_f64_e32 v[178:179], v[6:7], v[140:141]
	v_add_f64_e32 v[170:171], v[182:183], v[180:181]
	;; [unrolled: 18-line block ×3, first 2 shown]
	v_fma_f64 v[180:181], v[4:5], v[152:153], -v[154:155]
	ds_load_b128 v[4:7], v2 offset:1072
	s_wait_loadcnt_dscnt 0xa01
	v_mul_f64_e32 v[178:179], v[168:169], v[166:167]
	v_mul_f64_e32 v[166:167], v[170:171], v[166:167]
	scratch_load_b128 v[152:155], off, off offset:416
	v_add_f64_e32 v[172:173], v[172:173], v[176:177]
	v_add_f64_e32 v[182:183], v[162:163], v[160:161]
	s_wait_loadcnt_dscnt 0xa00
	v_mul_f64_e32 v[176:177], v[4:5], v[150:151]
	v_mul_f64_e32 v[150:151], v[6:7], v[150:151]
	v_fmac_f64_e32 v[178:179], v[170:171], v[164:165]
	v_fma_f64 v[168:169], v[168:169], v[164:165], -v[166:167]
	ds_load_b128 v[160:163], v2 offset:1088
	scratch_load_b128 v[164:167], off, off offset:432
	v_add_f64_e32 v[172:173], v[172:173], v[174:175]
	v_add_f64_e32 v[170:171], v[182:183], v[180:181]
	v_fmac_f64_e32 v[176:177], v[6:7], v[148:149]
	v_fma_f64 v[180:181], v[4:5], v[148:149], -v[150:151]
	ds_load_b128 v[4:7], v2 offset:1104
	s_wait_loadcnt_dscnt 0xa01
	v_mul_f64_e32 v[174:175], v[160:161], v[10:11]
	v_mul_f64_e32 v[10:11], v[162:163], v[10:11]
	scratch_load_b128 v[148:151], off, off offset:448
	v_add_f64_e32 v[172:173], v[172:173], v[178:179]
	s_wait_loadcnt_dscnt 0xa00
	v_mul_f64_e32 v[178:179], v[4:5], v[14:15]
	v_add_f64_e32 v[182:183], v[170:171], v[168:169]
	v_mul_f64_e32 v[14:15], v[6:7], v[14:15]
	ds_load_b128 v[168:171], v2 offset:1120
	v_fmac_f64_e32 v[174:175], v[162:163], v[8:9]
	v_fma_f64 v[160:161], v[160:161], v[8:9], -v[10:11]
	scratch_load_b128 v[8:11], off, off offset:464
	v_add_f64_e32 v[172:173], v[172:173], v[176:177]
	v_fmac_f64_e32 v[178:179], v[6:7], v[12:13]
	v_add_f64_e32 v[162:163], v[182:183], v[180:181]
	v_fma_f64 v[180:181], v[4:5], v[12:13], -v[14:15]
	ds_load_b128 v[4:7], v2 offset:1136
	s_wait_loadcnt_dscnt 0xa01
	v_mul_f64_e32 v[176:177], v[168:169], v[18:19]
	v_mul_f64_e32 v[18:19], v[170:171], v[18:19]
	scratch_load_b128 v[12:15], off, off offset:480
	v_add_f64_e32 v[172:173], v[172:173], v[174:175]
	s_wait_loadcnt_dscnt 0xa00
	v_mul_f64_e32 v[174:175], v[4:5], v[22:23]
	v_add_f64_e32 v[182:183], v[162:163], v[160:161]
	v_mul_f64_e32 v[22:23], v[6:7], v[22:23]
	ds_load_b128 v[160:163], v2 offset:1152
	v_fmac_f64_e32 v[176:177], v[170:171], v[16:17]
	v_fma_f64 v[168:169], v[168:169], v[16:17], -v[18:19]
	scratch_load_b128 v[16:19], off, off offset:496
	v_add_f64_e32 v[172:173], v[172:173], v[178:179]
	v_fmac_f64_e32 v[174:175], v[6:7], v[20:21]
	v_add_f64_e32 v[170:171], v[182:183], v[180:181]
	;; [unrolled: 18-line block ×11, first 2 shown]
	v_fma_f64 v[180:181], v[4:5], v[152:153], -v[154:155]
	ds_load_b128 v[4:7], v2 offset:1456
	s_wait_loadcnt_dscnt 0xa01
	v_mul_f64_e32 v[178:179], v[168:169], v[166:167]
	v_mul_f64_e32 v[166:167], v[170:171], v[166:167]
	scratch_load_b128 v[152:155], off, off offset:800
	v_add_f64_e32 v[172:173], v[172:173], v[176:177]
	s_wait_loadcnt_dscnt 0xa00
	v_mul_f64_e32 v[176:177], v[4:5], v[150:151]
	v_add_f64_e32 v[182:183], v[162:163], v[160:161]
	v_mul_f64_e32 v[150:151], v[6:7], v[150:151]
	ds_load_b128 v[160:163], v2 offset:1472
	v_fmac_f64_e32 v[178:179], v[170:171], v[164:165]
	v_fma_f64 v[164:165], v[168:169], v[164:165], -v[166:167]
	s_wait_loadcnt_dscnt 0x900
	v_mul_f64_e32 v[170:171], v[160:161], v[10:11]
	v_mul_f64_e32 v[10:11], v[162:163], v[10:11]
	v_add_f64_e32 v[168:169], v[172:173], v[174:175]
	v_fmac_f64_e32 v[176:177], v[6:7], v[148:149]
	v_add_f64_e32 v[166:167], v[182:183], v[180:181]
	v_fma_f64 v[172:173], v[4:5], v[148:149], -v[150:151]
	ds_load_b128 v[4:7], v2 offset:1488
	ds_load_b128 v[148:151], v2 offset:1504
	v_fmac_f64_e32 v[170:171], v[162:163], v[8:9]
	v_fma_f64 v[8:9], v[160:161], v[8:9], -v[10:11]
	v_add_f64_e32 v[164:165], v[166:167], v[164:165]
	v_add_f64_e32 v[166:167], v[168:169], v[178:179]
	s_wait_loadcnt_dscnt 0x801
	v_mul_f64_e32 v[168:169], v[4:5], v[14:15]
	v_mul_f64_e32 v[14:15], v[6:7], v[14:15]
	s_wait_loadcnt_dscnt 0x700
	v_mul_f64_e32 v[162:163], v[148:149], v[18:19]
	v_mul_f64_e32 v[18:19], v[150:151], v[18:19]
	v_add_f64_e32 v[10:11], v[164:165], v[172:173]
	v_add_f64_e32 v[160:161], v[166:167], v[176:177]
	v_fmac_f64_e32 v[168:169], v[6:7], v[12:13]
	v_fma_f64 v[12:13], v[4:5], v[12:13], -v[14:15]
	v_fmac_f64_e32 v[162:163], v[150:151], v[16:17]
	v_fma_f64 v[16:17], v[148:149], v[16:17], -v[18:19]
	v_add_f64_e32 v[14:15], v[10:11], v[8:9]
	v_add_f64_e32 v[160:161], v[160:161], v[170:171]
	ds_load_b128 v[4:7], v2 offset:1520
	ds_load_b128 v[8:11], v2 offset:1536
	s_wait_loadcnt_dscnt 0x601
	v_mul_f64_e32 v[164:165], v[4:5], v[22:23]
	v_mul_f64_e32 v[22:23], v[6:7], v[22:23]
	s_wait_loadcnt_dscnt 0x500
	v_mul_f64_e32 v[18:19], v[8:9], v[130:131]
	v_mul_f64_e32 v[130:131], v[10:11], v[130:131]
	v_add_f64_e32 v[12:13], v[14:15], v[12:13]
	v_add_f64_e32 v[14:15], v[160:161], v[168:169]
	v_fmac_f64_e32 v[164:165], v[6:7], v[20:21]
	v_fma_f64 v[20:21], v[4:5], v[20:21], -v[22:23]
	v_fmac_f64_e32 v[18:19], v[10:11], v[128:129]
	v_fma_f64 v[8:9], v[8:9], v[128:129], -v[130:131]
	v_add_f64_e32 v[16:17], v[12:13], v[16:17]
	v_add_f64_e32 v[22:23], v[14:15], v[162:163]
	ds_load_b128 v[4:7], v2 offset:1552
	ds_load_b128 v[12:15], v2 offset:1568
	s_wait_loadcnt_dscnt 0x401
	v_mul_f64_e32 v[148:149], v[4:5], v[134:135]
	v_mul_f64_e32 v[134:135], v[6:7], v[134:135]
	v_add_f64_e32 v[10:11], v[16:17], v[20:21]
	v_add_f64_e32 v[16:17], v[22:23], v[164:165]
	s_wait_loadcnt_dscnt 0x300
	v_mul_f64_e32 v[20:21], v[12:13], v[138:139]
	v_mul_f64_e32 v[22:23], v[14:15], v[138:139]
	v_fmac_f64_e32 v[148:149], v[6:7], v[132:133]
	v_fma_f64 v[128:129], v[4:5], v[132:133], -v[134:135]
	v_add_f64_e32 v[130:131], v[10:11], v[8:9]
	v_add_f64_e32 v[16:17], v[16:17], v[18:19]
	ds_load_b128 v[4:7], v2 offset:1584
	ds_load_b128 v[8:11], v2 offset:1600
	v_fmac_f64_e32 v[20:21], v[14:15], v[136:137]
	v_fma_f64 v[12:13], v[12:13], v[136:137], -v[22:23]
	s_wait_loadcnt_dscnt 0x201
	v_mul_f64_e32 v[18:19], v[4:5], v[142:143]
	v_mul_f64_e32 v[132:133], v[6:7], v[142:143]
	s_wait_loadcnt_dscnt 0x100
	v_mul_f64_e32 v[22:23], v[8:9], v[146:147]
	v_add_f64_e32 v[14:15], v[130:131], v[128:129]
	v_add_f64_e32 v[16:17], v[16:17], v[148:149]
	v_mul_f64_e32 v[128:129], v[10:11], v[146:147]
	v_fmac_f64_e32 v[18:19], v[6:7], v[140:141]
	v_fma_f64 v[130:131], v[4:5], v[140:141], -v[132:133]
	ds_load_b128 v[4:7], v2 offset:1616
	v_fmac_f64_e32 v[22:23], v[10:11], v[144:145]
	v_add_f64_e32 v[12:13], v[14:15], v[12:13]
	v_add_f64_e32 v[14:15], v[16:17], v[20:21]
	v_fma_f64 v[8:9], v[8:9], v[144:145], -v[128:129]
	s_wait_loadcnt_dscnt 0x0
	v_mul_f64_e32 v[16:17], v[4:5], v[154:155]
	v_mul_f64_e32 v[20:21], v[6:7], v[154:155]
	v_add_f64_e32 v[10:11], v[12:13], v[130:131]
	v_add_f64_e32 v[12:13], v[14:15], v[18:19]
	s_delay_alu instid0(VALU_DEP_4) | instskip(NEXT) | instid1(VALU_DEP_4)
	v_fmac_f64_e32 v[16:17], v[6:7], v[152:153]
	v_fma_f64 v[4:5], v[4:5], v[152:153], -v[20:21]
	s_delay_alu instid0(VALU_DEP_4) | instskip(NEXT) | instid1(VALU_DEP_4)
	v_add_f64_e32 v[6:7], v[10:11], v[8:9]
	v_add_f64_e32 v[8:9], v[12:13], v[22:23]
	s_delay_alu instid0(VALU_DEP_2) | instskip(NEXT) | instid1(VALU_DEP_2)
	v_add_f64_e32 v[4:5], v[6:7], v[4:5]
	v_add_f64_e32 v[6:7], v[8:9], v[16:17]
	s_delay_alu instid0(VALU_DEP_2) | instskip(NEXT) | instid1(VALU_DEP_2)
	v_add_f64_e64 v[4:5], v[156:157], -v[4:5]
	v_add_f64_e64 v[6:7], v[158:159], -v[6:7]
	scratch_store_b128 off, v[4:7], off offset:48
	s_wait_xcnt 0x0
	v_cmpx_lt_u32_e32 2, v1
	s_cbranch_execz .LBB114_315
; %bb.314:
	scratch_load_b128 v[6:9], off, s16
	v_dual_mov_b32 v3, v2 :: v_dual_mov_b32 v4, v2
	v_mov_b32_e32 v5, v2
	scratch_store_b128 off, v[2:5], off offset:32
	s_wait_loadcnt 0x0
	ds_store_b128 v126, v[6:9]
.LBB114_315:
	s_wait_xcnt 0x0
	s_or_b32 exec_lo, exec_lo, s2
	s_wait_storecnt_dscnt 0x0
	s_barrier_signal -1
	s_barrier_wait -1
	s_clause 0x9
	scratch_load_b128 v[4:7], off, off offset:48
	scratch_load_b128 v[8:11], off, off offset:64
	;; [unrolled: 1-line block ×10, first 2 shown]
	ds_load_b128 v[148:151], v2 offset:864
	ds_load_b128 v[156:159], v2 offset:880
	s_clause 0x2
	scratch_load_b128 v[152:155], off, off offset:208
	scratch_load_b128 v[160:163], off, off offset:32
	;; [unrolled: 1-line block ×3, first 2 shown]
	s_mov_b32 s2, exec_lo
	v_ashrrev_i32_e32 v29, 31, v28
	v_ashrrev_i32_e32 v33, 31, v32
	;; [unrolled: 1-line block ×3, first 2 shown]
	v_dual_ashrrev_i32 v41, 31, v40 :: v_dual_ashrrev_i32 v31, 31, v30
	v_dual_ashrrev_i32 v35, 31, v34 :: v_dual_ashrrev_i32 v45, 31, v44
	;; [unrolled: 1-line block ×8, first 2 shown]
	v_ashrrev_i32_e32 v73, 31, v72
	v_ashrrev_i32_e32 v77, 31, v76
	v_dual_ashrrev_i32 v81, 31, v80 :: v_dual_ashrrev_i32 v63, 31, v62
	v_ashrrev_i32_e32 v67, 31, v66
	v_ashrrev_i32_e32 v71, 31, v70
	v_dual_ashrrev_i32 v75, 31, v74 :: v_dual_ashrrev_i32 v85, 31, v84
	v_dual_ashrrev_i32 v89, 31, v88 :: v_dual_ashrrev_i32 v79, 31, v78
	;; [unrolled: 1-line block ×3, first 2 shown]
	v_ashrrev_i32_e32 v97, 31, v96
	v_dual_ashrrev_i32 v101, 31, v100 :: v_dual_ashrrev_i32 v87, 31, v86
	v_dual_ashrrev_i32 v105, 31, v104 :: v_dual_ashrrev_i32 v91, 31, v90
	v_ashrrev_i32_e32 v109, 31, v108
	v_dual_ashrrev_i32 v113, 31, v112 :: v_dual_ashrrev_i32 v95, 31, v94
	v_ashrrev_i32_e32 v99, 31, v98
	v_dual_ashrrev_i32 v103, 31, v102 :: v_dual_ashrrev_i32 v117, 31, v116
	v_dual_ashrrev_i32 v121, 31, v120 :: v_dual_ashrrev_i32 v107, 31, v106
	;; [unrolled: 1-line block ×3, first 2 shown]
	v_ashrrev_i32_e32 v115, 31, v114
	v_ashrrev_i32_e32 v119, 31, v118
	;; [unrolled: 1-line block ×3, first 2 shown]
	s_wait_loadcnt_dscnt 0xc01
	v_mul_f64_e32 v[168:169], v[150:151], v[6:7]
	v_mul_f64_e32 v[172:173], v[148:149], v[6:7]
	s_wait_loadcnt_dscnt 0xb00
	v_mul_f64_e32 v[174:175], v[156:157], v[10:11]
	v_mul_f64_e32 v[10:11], v[158:159], v[10:11]
	s_delay_alu instid0(VALU_DEP_4) | instskip(NEXT) | instid1(VALU_DEP_4)
	v_fma_f64 v[176:177], v[148:149], v[4:5], -v[168:169]
	v_fmac_f64_e32 v[172:173], v[150:151], v[4:5]
	ds_load_b128 v[4:7], v2 offset:896
	ds_load_b128 v[168:171], v2 offset:912
	scratch_load_b128 v[148:151], off, off offset:240
	v_fmac_f64_e32 v[174:175], v[158:159], v[8:9]
	v_fma_f64 v[156:157], v[156:157], v[8:9], -v[10:11]
	scratch_load_b128 v[8:11], off, off offset:256
	s_wait_loadcnt_dscnt 0xc01
	v_mul_f64_e32 v[178:179], v[4:5], v[14:15]
	v_mul_f64_e32 v[14:15], v[6:7], v[14:15]
	v_add_f64_e32 v[158:159], 0, v[176:177]
	v_add_f64_e32 v[172:173], 0, v[172:173]
	s_wait_loadcnt_dscnt 0xb00
	v_mul_f64_e32 v[176:177], v[168:169], v[18:19]
	v_mul_f64_e32 v[18:19], v[170:171], v[18:19]
	v_fmac_f64_e32 v[178:179], v[6:7], v[12:13]
	v_fma_f64 v[180:181], v[4:5], v[12:13], -v[14:15]
	ds_load_b128 v[4:7], v2 offset:928
	scratch_load_b128 v[12:15], off, off offset:272
	v_add_f64_e32 v[182:183], v[158:159], v[156:157]
	v_add_f64_e32 v[172:173], v[172:173], v[174:175]
	ds_load_b128 v[156:159], v2 offset:944
	v_fmac_f64_e32 v[176:177], v[170:171], v[16:17]
	v_fma_f64 v[168:169], v[168:169], v[16:17], -v[18:19]
	scratch_load_b128 v[16:19], off, off offset:288
	s_wait_loadcnt_dscnt 0xc01
	v_mul_f64_e32 v[174:175], v[4:5], v[22:23]
	v_mul_f64_e32 v[22:23], v[6:7], v[22:23]
	v_add_f64_e32 v[170:171], v[182:183], v[180:181]
	v_add_f64_e32 v[172:173], v[172:173], v[178:179]
	s_wait_loadcnt_dscnt 0xb00
	v_mul_f64_e32 v[178:179], v[156:157], v[130:131]
	v_mul_f64_e32 v[130:131], v[158:159], v[130:131]
	v_fmac_f64_e32 v[174:175], v[6:7], v[20:21]
	v_fma_f64 v[180:181], v[4:5], v[20:21], -v[22:23]
	ds_load_b128 v[4:7], v2 offset:960
	scratch_load_b128 v[20:23], off, off offset:304
	v_add_f64_e32 v[182:183], v[170:171], v[168:169]
	v_add_f64_e32 v[172:173], v[172:173], v[176:177]
	ds_load_b128 v[168:171], v2 offset:976
	s_wait_loadcnt_dscnt 0xb01
	v_mul_f64_e32 v[176:177], v[4:5], v[134:135]
	v_mul_f64_e32 v[134:135], v[6:7], v[134:135]
	v_fmac_f64_e32 v[178:179], v[158:159], v[128:129]
	v_fma_f64 v[156:157], v[156:157], v[128:129], -v[130:131]
	scratch_load_b128 v[128:131], off, off offset:320
	v_add_f64_e32 v[158:159], v[182:183], v[180:181]
	v_add_f64_e32 v[172:173], v[172:173], v[174:175]
	s_wait_loadcnt_dscnt 0xb00
	v_mul_f64_e32 v[174:175], v[168:169], v[138:139]
	v_mul_f64_e32 v[138:139], v[170:171], v[138:139]
	v_fmac_f64_e32 v[176:177], v[6:7], v[132:133]
	v_fma_f64 v[180:181], v[4:5], v[132:133], -v[134:135]
	ds_load_b128 v[4:7], v2 offset:992
	scratch_load_b128 v[132:135], off, off offset:336
	v_add_f64_e32 v[182:183], v[158:159], v[156:157]
	v_add_f64_e32 v[172:173], v[172:173], v[178:179]
	ds_load_b128 v[156:159], v2 offset:1008
	s_wait_loadcnt_dscnt 0xb01
	v_mul_f64_e32 v[178:179], v[4:5], v[142:143]
	v_mul_f64_e32 v[142:143], v[6:7], v[142:143]
	v_fmac_f64_e32 v[174:175], v[170:171], v[136:137]
	v_fma_f64 v[168:169], v[168:169], v[136:137], -v[138:139]
	scratch_load_b128 v[136:139], off, off offset:352
	;; [unrolled: 18-line block ×3, first 2 shown]
	v_add_f64_e32 v[158:159], v[182:183], v[180:181]
	v_add_f64_e32 v[172:173], v[172:173], v[178:179]
	s_wait_loadcnt_dscnt 0xa00
	v_mul_f64_e32 v[178:179], v[168:169], v[166:167]
	v_mul_f64_e32 v[166:167], v[170:171], v[166:167]
	v_fmac_f64_e32 v[174:175], v[6:7], v[152:153]
	v_fma_f64 v[180:181], v[4:5], v[152:153], -v[154:155]
	ds_load_b128 v[4:7], v2 offset:1056
	scratch_load_b128 v[152:155], off, off offset:400
	v_add_f64_e32 v[182:183], v[158:159], v[156:157]
	v_add_f64_e32 v[172:173], v[172:173], v[176:177]
	ds_load_b128 v[156:159], v2 offset:1072
	v_fmac_f64_e32 v[178:179], v[170:171], v[164:165]
	s_wait_loadcnt_dscnt 0xa01
	v_mul_f64_e32 v[176:177], v[4:5], v[150:151]
	v_mul_f64_e32 v[150:151], v[6:7], v[150:151]
	v_fma_f64 v[168:169], v[168:169], v[164:165], -v[166:167]
	scratch_load_b128 v[164:167], off, off offset:416
	v_add_f64_e32 v[170:171], v[182:183], v[180:181]
	v_add_f64_e32 v[172:173], v[172:173], v[174:175]
	s_wait_loadcnt_dscnt 0xa00
	v_mul_f64_e32 v[174:175], v[156:157], v[10:11]
	v_mul_f64_e32 v[10:11], v[158:159], v[10:11]
	v_fmac_f64_e32 v[176:177], v[6:7], v[148:149]
	v_fma_f64 v[180:181], v[4:5], v[148:149], -v[150:151]
	ds_load_b128 v[4:7], v2 offset:1088
	scratch_load_b128 v[148:151], off, off offset:432
	v_add_f64_e32 v[182:183], v[170:171], v[168:169]
	v_add_f64_e32 v[172:173], v[172:173], v[178:179]
	ds_load_b128 v[168:171], v2 offset:1104
	s_wait_loadcnt_dscnt 0xa01
	v_mul_f64_e32 v[178:179], v[4:5], v[14:15]
	v_mul_f64_e32 v[14:15], v[6:7], v[14:15]
	v_fmac_f64_e32 v[174:175], v[158:159], v[8:9]
	v_fma_f64 v[156:157], v[156:157], v[8:9], -v[10:11]
	scratch_load_b128 v[8:11], off, off offset:448
	v_add_f64_e32 v[158:159], v[182:183], v[180:181]
	v_add_f64_e32 v[172:173], v[172:173], v[176:177]
	s_wait_loadcnt_dscnt 0xa00
	v_mul_f64_e32 v[176:177], v[168:169], v[18:19]
	v_mul_f64_e32 v[18:19], v[170:171], v[18:19]
	v_fmac_f64_e32 v[178:179], v[6:7], v[12:13]
	v_fma_f64 v[180:181], v[4:5], v[12:13], -v[14:15]
	ds_load_b128 v[4:7], v2 offset:1120
	scratch_load_b128 v[12:15], off, off offset:464
	v_add_f64_e32 v[182:183], v[158:159], v[156:157]
	v_add_f64_e32 v[172:173], v[172:173], v[174:175]
	ds_load_b128 v[156:159], v2 offset:1136
	s_wait_loadcnt_dscnt 0xa01
	v_mul_f64_e32 v[174:175], v[4:5], v[22:23]
	v_mul_f64_e32 v[22:23], v[6:7], v[22:23]
	v_fmac_f64_e32 v[176:177], v[170:171], v[16:17]
	;; [unrolled: 18-line block ×12, first 2 shown]
	v_fma_f64 v[168:169], v[168:169], v[164:165], -v[166:167]
	scratch_load_b128 v[164:167], off, off offset:800
	v_add_f64_e32 v[170:171], v[182:183], v[180:181]
	v_add_f64_e32 v[172:173], v[172:173], v[174:175]
	s_wait_loadcnt_dscnt 0xa00
	v_mul_f64_e32 v[174:175], v[156:157], v[10:11]
	v_mul_f64_e32 v[10:11], v[158:159], v[10:11]
	v_fmac_f64_e32 v[176:177], v[6:7], v[148:149]
	v_fma_f64 v[180:181], v[4:5], v[148:149], -v[150:151]
	ds_load_b128 v[4:7], v2 offset:1472
	ds_load_b128 v[148:151], v2 offset:1488
	v_add_f64_e32 v[168:169], v[170:171], v[168:169]
	v_add_f64_e32 v[170:171], v[172:173], v[178:179]
	s_wait_loadcnt_dscnt 0x901
	v_mul_f64_e32 v[172:173], v[4:5], v[14:15]
	v_mul_f64_e32 v[14:15], v[6:7], v[14:15]
	v_fmac_f64_e32 v[174:175], v[158:159], v[8:9]
	v_fma_f64 v[8:9], v[156:157], v[8:9], -v[10:11]
	s_wait_loadcnt_dscnt 0x800
	v_mul_f64_e32 v[158:159], v[148:149], v[18:19]
	v_mul_f64_e32 v[18:19], v[150:151], v[18:19]
	v_add_f64_e32 v[10:11], v[168:169], v[180:181]
	v_add_f64_e32 v[156:157], v[170:171], v[176:177]
	v_fmac_f64_e32 v[172:173], v[6:7], v[12:13]
	v_fma_f64 v[12:13], v[4:5], v[12:13], -v[14:15]
	v_fmac_f64_e32 v[158:159], v[150:151], v[16:17]
	v_fma_f64 v[16:17], v[148:149], v[16:17], -v[18:19]
	v_add_f64_e32 v[14:15], v[10:11], v[8:9]
	v_add_f64_e32 v[156:157], v[156:157], v[174:175]
	ds_load_b128 v[4:7], v2 offset:1504
	ds_load_b128 v[8:11], v2 offset:1520
	s_wait_loadcnt_dscnt 0x701
	v_mul_f64_e32 v[168:169], v[4:5], v[22:23]
	v_mul_f64_e32 v[22:23], v[6:7], v[22:23]
	s_wait_loadcnt_dscnt 0x600
	v_mul_f64_e32 v[18:19], v[8:9], v[130:131]
	v_mul_f64_e32 v[130:131], v[10:11], v[130:131]
	v_add_f64_e32 v[12:13], v[14:15], v[12:13]
	v_add_f64_e32 v[14:15], v[156:157], v[172:173]
	v_fmac_f64_e32 v[168:169], v[6:7], v[20:21]
	v_fma_f64 v[20:21], v[4:5], v[20:21], -v[22:23]
	v_fmac_f64_e32 v[18:19], v[10:11], v[128:129]
	v_fma_f64 v[8:9], v[8:9], v[128:129], -v[130:131]
	v_add_f64_e32 v[16:17], v[12:13], v[16:17]
	v_add_f64_e32 v[22:23], v[14:15], v[158:159]
	ds_load_b128 v[4:7], v2 offset:1536
	ds_load_b128 v[12:15], v2 offset:1552
	s_wait_loadcnt_dscnt 0x501
	v_mul_f64_e32 v[148:149], v[4:5], v[134:135]
	v_mul_f64_e32 v[134:135], v[6:7], v[134:135]
	v_add_f64_e32 v[10:11], v[16:17], v[20:21]
	v_add_f64_e32 v[16:17], v[22:23], v[168:169]
	s_wait_loadcnt_dscnt 0x400
	v_mul_f64_e32 v[20:21], v[12:13], v[138:139]
	v_mul_f64_e32 v[22:23], v[14:15], v[138:139]
	v_fmac_f64_e32 v[148:149], v[6:7], v[132:133]
	v_fma_f64 v[128:129], v[4:5], v[132:133], -v[134:135]
	v_add_f64_e32 v[130:131], v[10:11], v[8:9]
	v_add_f64_e32 v[16:17], v[16:17], v[18:19]
	ds_load_b128 v[4:7], v2 offset:1568
	ds_load_b128 v[8:11], v2 offset:1584
	v_fmac_f64_e32 v[20:21], v[14:15], v[136:137]
	v_fma_f64 v[12:13], v[12:13], v[136:137], -v[22:23]
	s_wait_loadcnt_dscnt 0x301
	v_mul_f64_e32 v[18:19], v[4:5], v[142:143]
	v_mul_f64_e32 v[132:133], v[6:7], v[142:143]
	s_wait_loadcnt_dscnt 0x200
	v_mul_f64_e32 v[22:23], v[8:9], v[146:147]
	v_add_f64_e32 v[14:15], v[130:131], v[128:129]
	v_add_f64_e32 v[16:17], v[16:17], v[148:149]
	v_mul_f64_e32 v[128:129], v[10:11], v[146:147]
	v_fmac_f64_e32 v[18:19], v[6:7], v[140:141]
	v_fma_f64 v[130:131], v[4:5], v[140:141], -v[132:133]
	v_fmac_f64_e32 v[22:23], v[10:11], v[144:145]
	v_add_f64_e32 v[132:133], v[14:15], v[12:13]
	v_add_f64_e32 v[16:17], v[16:17], v[20:21]
	ds_load_b128 v[4:7], v2 offset:1600
	ds_load_b128 v[12:15], v2 offset:1616
	v_fma_f64 v[8:9], v[8:9], v[144:145], -v[128:129]
	s_wait_loadcnt_dscnt 0x101
	v_mul_f64_e32 v[2:3], v[4:5], v[154:155]
	v_mul_f64_e32 v[20:21], v[6:7], v[154:155]
	s_wait_loadcnt_dscnt 0x0
	v_mul_f64_e32 v[128:129], v[14:15], v[166:167]
	v_add_f64_e32 v[10:11], v[132:133], v[130:131]
	v_add_f64_e32 v[16:17], v[16:17], v[18:19]
	v_mul_f64_e32 v[18:19], v[12:13], v[166:167]
	v_fmac_f64_e32 v[2:3], v[6:7], v[152:153]
	v_fma_f64 v[4:5], v[4:5], v[152:153], -v[20:21]
	v_add_f64_e32 v[6:7], v[10:11], v[8:9]
	v_add_f64_e32 v[8:9], v[16:17], v[22:23]
	v_fmac_f64_e32 v[18:19], v[14:15], v[164:165]
	v_fma_f64 v[10:11], v[12:13], v[164:165], -v[128:129]
	s_delay_alu instid0(VALU_DEP_4) | instskip(NEXT) | instid1(VALU_DEP_4)
	v_add_f64_e32 v[4:5], v[6:7], v[4:5]
	v_add_f64_e32 v[2:3], v[8:9], v[2:3]
	s_delay_alu instid0(VALU_DEP_2) | instskip(NEXT) | instid1(VALU_DEP_2)
	v_add_f64_e32 v[4:5], v[4:5], v[10:11]
	v_add_f64_e32 v[6:7], v[2:3], v[18:19]
	s_delay_alu instid0(VALU_DEP_2) | instskip(NEXT) | instid1(VALU_DEP_2)
	v_add_f64_e64 v[2:3], v[160:161], -v[4:5]
	v_add_f64_e64 v[4:5], v[162:163], -v[6:7]
	scratch_store_b128 off, v[2:5], off offset:32
	s_wait_xcnt 0x0
	v_cmpx_lt_u32_e32 1, v1
	s_cbranch_execz .LBB114_317
; %bb.316:
	scratch_load_b128 v[2:5], off, s18
	v_mov_b32_e32 v6, 0
	s_delay_alu instid0(VALU_DEP_1)
	v_dual_mov_b32 v7, v6 :: v_dual_mov_b32 v8, v6
	v_mov_b32_e32 v9, v6
	scratch_store_b128 off, v[6:9], off offset:16
	s_wait_loadcnt 0x0
	ds_store_b128 v126, v[2:5]
.LBB114_317:
	s_wait_xcnt 0x0
	s_or_b32 exec_lo, exec_lo, s2
	s_wait_storecnt_dscnt 0x0
	s_barrier_signal -1
	s_barrier_wait -1
	s_clause 0x9
	scratch_load_b128 v[4:7], off, off offset:32
	scratch_load_b128 v[8:11], off, off offset:48
	;; [unrolled: 1-line block ×10, first 2 shown]
	v_mov_b32_e32 v2, 0
	s_mov_b32 s2, exec_lo
	ds_load_b128 v[148:151], v2 offset:848
	s_clause 0x2
	scratch_load_b128 v[152:155], off, off offset:192
	scratch_load_b128 v[156:159], off, off offset:16
	;; [unrolled: 1-line block ×3, first 2 shown]
	s_wait_loadcnt_dscnt 0xc00
	v_mul_f64_e32 v[168:169], v[150:151], v[6:7]
	v_mul_f64_e32 v[172:173], v[148:149], v[6:7]
	ds_load_b128 v[160:163], v2 offset:864
	v_fma_f64 v[176:177], v[148:149], v[4:5], -v[168:169]
	v_fmac_f64_e32 v[172:173], v[150:151], v[4:5]
	ds_load_b128 v[4:7], v2 offset:880
	s_wait_loadcnt_dscnt 0xb01
	v_mul_f64_e32 v[174:175], v[160:161], v[10:11]
	v_mul_f64_e32 v[10:11], v[162:163], v[10:11]
	scratch_load_b128 v[148:151], off, off offset:224
	ds_load_b128 v[168:171], v2 offset:896
	s_wait_loadcnt_dscnt 0xb01
	v_mul_f64_e32 v[178:179], v[4:5], v[14:15]
	v_mul_f64_e32 v[14:15], v[6:7], v[14:15]
	v_add_f64_e32 v[172:173], 0, v[172:173]
	v_fmac_f64_e32 v[174:175], v[162:163], v[8:9]
	v_fma_f64 v[160:161], v[160:161], v[8:9], -v[10:11]
	v_add_f64_e32 v[162:163], 0, v[176:177]
	scratch_load_b128 v[8:11], off, off offset:240
	v_fmac_f64_e32 v[178:179], v[6:7], v[12:13]
	v_fma_f64 v[180:181], v[4:5], v[12:13], -v[14:15]
	ds_load_b128 v[4:7], v2 offset:912
	s_wait_loadcnt_dscnt 0xb01
	v_mul_f64_e32 v[176:177], v[168:169], v[18:19]
	v_mul_f64_e32 v[18:19], v[170:171], v[18:19]
	scratch_load_b128 v[12:15], off, off offset:256
	v_add_f64_e32 v[172:173], v[172:173], v[174:175]
	v_add_f64_e32 v[182:183], v[162:163], v[160:161]
	ds_load_b128 v[160:163], v2 offset:928
	s_wait_loadcnt_dscnt 0xb01
	v_mul_f64_e32 v[174:175], v[4:5], v[22:23]
	v_mul_f64_e32 v[22:23], v[6:7], v[22:23]
	v_fmac_f64_e32 v[176:177], v[170:171], v[16:17]
	v_fma_f64 v[168:169], v[168:169], v[16:17], -v[18:19]
	scratch_load_b128 v[16:19], off, off offset:272
	v_add_f64_e32 v[172:173], v[172:173], v[178:179]
	v_add_f64_e32 v[170:171], v[182:183], v[180:181]
	v_fmac_f64_e32 v[174:175], v[6:7], v[20:21]
	v_fma_f64 v[180:181], v[4:5], v[20:21], -v[22:23]
	ds_load_b128 v[4:7], v2 offset:944
	s_wait_loadcnt_dscnt 0xb01
	v_mul_f64_e32 v[178:179], v[160:161], v[130:131]
	v_mul_f64_e32 v[130:131], v[162:163], v[130:131]
	scratch_load_b128 v[20:23], off, off offset:288
	v_add_f64_e32 v[172:173], v[172:173], v[176:177]
	s_wait_loadcnt_dscnt 0xb00
	v_mul_f64_e32 v[176:177], v[4:5], v[134:135]
	v_add_f64_e32 v[182:183], v[170:171], v[168:169]
	v_mul_f64_e32 v[134:135], v[6:7], v[134:135]
	ds_load_b128 v[168:171], v2 offset:960
	v_fmac_f64_e32 v[178:179], v[162:163], v[128:129]
	v_fma_f64 v[160:161], v[160:161], v[128:129], -v[130:131]
	scratch_load_b128 v[128:131], off, off offset:304
	v_add_f64_e32 v[172:173], v[172:173], v[174:175]
	v_fmac_f64_e32 v[176:177], v[6:7], v[132:133]
	v_add_f64_e32 v[162:163], v[182:183], v[180:181]
	v_fma_f64 v[180:181], v[4:5], v[132:133], -v[134:135]
	ds_load_b128 v[4:7], v2 offset:976
	s_wait_loadcnt_dscnt 0xb01
	v_mul_f64_e32 v[174:175], v[168:169], v[138:139]
	v_mul_f64_e32 v[138:139], v[170:171], v[138:139]
	scratch_load_b128 v[132:135], off, off offset:320
	v_add_f64_e32 v[172:173], v[172:173], v[178:179]
	s_wait_loadcnt_dscnt 0xb00
	v_mul_f64_e32 v[178:179], v[4:5], v[142:143]
	v_add_f64_e32 v[182:183], v[162:163], v[160:161]
	v_mul_f64_e32 v[142:143], v[6:7], v[142:143]
	ds_load_b128 v[160:163], v2 offset:992
	v_fmac_f64_e32 v[174:175], v[170:171], v[136:137]
	v_fma_f64 v[168:169], v[168:169], v[136:137], -v[138:139]
	scratch_load_b128 v[136:139], off, off offset:336
	v_add_f64_e32 v[172:173], v[172:173], v[176:177]
	v_fmac_f64_e32 v[178:179], v[6:7], v[140:141]
	v_add_f64_e32 v[170:171], v[182:183], v[180:181]
	;; [unrolled: 18-line block ×3, first 2 shown]
	v_fma_f64 v[180:181], v[4:5], v[152:153], -v[154:155]
	ds_load_b128 v[4:7], v2 offset:1040
	s_wait_loadcnt_dscnt 0xa01
	v_mul_f64_e32 v[178:179], v[168:169], v[166:167]
	v_mul_f64_e32 v[166:167], v[170:171], v[166:167]
	scratch_load_b128 v[152:155], off, off offset:384
	v_add_f64_e32 v[172:173], v[172:173], v[176:177]
	v_add_f64_e32 v[182:183], v[162:163], v[160:161]
	s_wait_loadcnt_dscnt 0xa00
	v_mul_f64_e32 v[176:177], v[4:5], v[150:151]
	v_mul_f64_e32 v[150:151], v[6:7], v[150:151]
	v_fmac_f64_e32 v[178:179], v[170:171], v[164:165]
	v_fma_f64 v[168:169], v[168:169], v[164:165], -v[166:167]
	ds_load_b128 v[160:163], v2 offset:1056
	scratch_load_b128 v[164:167], off, off offset:400
	v_add_f64_e32 v[172:173], v[172:173], v[174:175]
	v_add_f64_e32 v[170:171], v[182:183], v[180:181]
	v_fmac_f64_e32 v[176:177], v[6:7], v[148:149]
	v_fma_f64 v[180:181], v[4:5], v[148:149], -v[150:151]
	ds_load_b128 v[4:7], v2 offset:1072
	s_wait_loadcnt_dscnt 0xa01
	v_mul_f64_e32 v[174:175], v[160:161], v[10:11]
	v_mul_f64_e32 v[10:11], v[162:163], v[10:11]
	scratch_load_b128 v[148:151], off, off offset:416
	v_add_f64_e32 v[172:173], v[172:173], v[178:179]
	s_wait_loadcnt_dscnt 0xa00
	v_mul_f64_e32 v[178:179], v[4:5], v[14:15]
	v_add_f64_e32 v[182:183], v[170:171], v[168:169]
	v_mul_f64_e32 v[14:15], v[6:7], v[14:15]
	ds_load_b128 v[168:171], v2 offset:1088
	v_fmac_f64_e32 v[174:175], v[162:163], v[8:9]
	v_fma_f64 v[160:161], v[160:161], v[8:9], -v[10:11]
	scratch_load_b128 v[8:11], off, off offset:432
	v_add_f64_e32 v[172:173], v[172:173], v[176:177]
	v_fmac_f64_e32 v[178:179], v[6:7], v[12:13]
	v_add_f64_e32 v[162:163], v[182:183], v[180:181]
	v_fma_f64 v[180:181], v[4:5], v[12:13], -v[14:15]
	ds_load_b128 v[4:7], v2 offset:1104
	s_wait_loadcnt_dscnt 0xa01
	v_mul_f64_e32 v[176:177], v[168:169], v[18:19]
	v_mul_f64_e32 v[18:19], v[170:171], v[18:19]
	scratch_load_b128 v[12:15], off, off offset:448
	v_add_f64_e32 v[172:173], v[172:173], v[174:175]
	s_wait_loadcnt_dscnt 0xa00
	v_mul_f64_e32 v[174:175], v[4:5], v[22:23]
	v_add_f64_e32 v[182:183], v[162:163], v[160:161]
	v_mul_f64_e32 v[22:23], v[6:7], v[22:23]
	ds_load_b128 v[160:163], v2 offset:1120
	v_fmac_f64_e32 v[176:177], v[170:171], v[16:17]
	v_fma_f64 v[168:169], v[168:169], v[16:17], -v[18:19]
	scratch_load_b128 v[16:19], off, off offset:464
	v_add_f64_e32 v[172:173], v[172:173], v[178:179]
	v_fmac_f64_e32 v[174:175], v[6:7], v[20:21]
	v_add_f64_e32 v[170:171], v[182:183], v[180:181]
	;; [unrolled: 18-line block ×12, first 2 shown]
	v_fma_f64 v[180:181], v[4:5], v[148:149], -v[150:151]
	ds_load_b128 v[4:7], v2 offset:1456
	s_wait_loadcnt_dscnt 0xa01
	v_mul_f64_e32 v[174:175], v[160:161], v[10:11]
	v_mul_f64_e32 v[10:11], v[162:163], v[10:11]
	scratch_load_b128 v[148:151], off, off offset:800
	v_add_f64_e32 v[172:173], v[172:173], v[178:179]
	s_wait_loadcnt_dscnt 0xa00
	v_mul_f64_e32 v[178:179], v[4:5], v[14:15]
	v_add_f64_e32 v[182:183], v[170:171], v[168:169]
	v_mul_f64_e32 v[14:15], v[6:7], v[14:15]
	ds_load_b128 v[168:171], v2 offset:1472
	v_fmac_f64_e32 v[174:175], v[162:163], v[8:9]
	v_fma_f64 v[8:9], v[160:161], v[8:9], -v[10:11]
	s_wait_loadcnt_dscnt 0x900
	v_mul_f64_e32 v[162:163], v[168:169], v[18:19]
	v_mul_f64_e32 v[18:19], v[170:171], v[18:19]
	v_add_f64_e32 v[160:161], v[172:173], v[176:177]
	v_fmac_f64_e32 v[178:179], v[6:7], v[12:13]
	v_add_f64_e32 v[10:11], v[182:183], v[180:181]
	v_fma_f64 v[12:13], v[4:5], v[12:13], -v[14:15]
	v_fmac_f64_e32 v[162:163], v[170:171], v[16:17]
	v_fma_f64 v[16:17], v[168:169], v[16:17], -v[18:19]
	v_add_f64_e32 v[160:161], v[160:161], v[174:175]
	v_add_f64_e32 v[14:15], v[10:11], v[8:9]
	ds_load_b128 v[4:7], v2 offset:1488
	ds_load_b128 v[8:11], v2 offset:1504
	s_wait_loadcnt_dscnt 0x801
	v_mul_f64_e32 v[172:173], v[4:5], v[22:23]
	v_mul_f64_e32 v[22:23], v[6:7], v[22:23]
	s_wait_loadcnt_dscnt 0x700
	v_mul_f64_e32 v[18:19], v[8:9], v[130:131]
	v_mul_f64_e32 v[130:131], v[10:11], v[130:131]
	v_add_f64_e32 v[12:13], v[14:15], v[12:13]
	v_add_f64_e32 v[14:15], v[160:161], v[178:179]
	v_fmac_f64_e32 v[172:173], v[6:7], v[20:21]
	v_fma_f64 v[20:21], v[4:5], v[20:21], -v[22:23]
	v_fmac_f64_e32 v[18:19], v[10:11], v[128:129]
	v_fma_f64 v[8:9], v[8:9], v[128:129], -v[130:131]
	v_add_f64_e32 v[16:17], v[12:13], v[16:17]
	v_add_f64_e32 v[22:23], v[14:15], v[162:163]
	ds_load_b128 v[4:7], v2 offset:1520
	ds_load_b128 v[12:15], v2 offset:1536
	s_wait_loadcnt_dscnt 0x601
	v_mul_f64_e32 v[160:161], v[4:5], v[134:135]
	v_mul_f64_e32 v[134:135], v[6:7], v[134:135]
	v_add_f64_e32 v[10:11], v[16:17], v[20:21]
	v_add_f64_e32 v[16:17], v[22:23], v[172:173]
	s_wait_loadcnt_dscnt 0x500
	v_mul_f64_e32 v[20:21], v[12:13], v[138:139]
	v_mul_f64_e32 v[22:23], v[14:15], v[138:139]
	v_fmac_f64_e32 v[160:161], v[6:7], v[132:133]
	v_fma_f64 v[128:129], v[4:5], v[132:133], -v[134:135]
	v_add_f64_e32 v[130:131], v[10:11], v[8:9]
	v_add_f64_e32 v[16:17], v[16:17], v[18:19]
	ds_load_b128 v[4:7], v2 offset:1552
	ds_load_b128 v[8:11], v2 offset:1568
	v_fmac_f64_e32 v[20:21], v[14:15], v[136:137]
	v_fma_f64 v[12:13], v[12:13], v[136:137], -v[22:23]
	s_wait_loadcnt_dscnt 0x401
	v_mul_f64_e32 v[18:19], v[4:5], v[142:143]
	v_mul_f64_e32 v[132:133], v[6:7], v[142:143]
	s_wait_loadcnt_dscnt 0x300
	v_mul_f64_e32 v[22:23], v[8:9], v[146:147]
	v_add_f64_e32 v[14:15], v[130:131], v[128:129]
	v_add_f64_e32 v[16:17], v[16:17], v[160:161]
	v_mul_f64_e32 v[128:129], v[10:11], v[146:147]
	v_fmac_f64_e32 v[18:19], v[6:7], v[140:141]
	v_fma_f64 v[130:131], v[4:5], v[140:141], -v[132:133]
	v_fmac_f64_e32 v[22:23], v[10:11], v[144:145]
	v_add_f64_e32 v[132:133], v[14:15], v[12:13]
	v_add_f64_e32 v[16:17], v[16:17], v[20:21]
	ds_load_b128 v[4:7], v2 offset:1584
	ds_load_b128 v[12:15], v2 offset:1600
	v_fma_f64 v[8:9], v[8:9], v[144:145], -v[128:129]
	s_wait_loadcnt_dscnt 0x201
	v_mul_f64_e32 v[20:21], v[4:5], v[154:155]
	v_mul_f64_e32 v[134:135], v[6:7], v[154:155]
	s_wait_loadcnt_dscnt 0x100
	v_mul_f64_e32 v[128:129], v[14:15], v[166:167]
	v_add_f64_e32 v[10:11], v[132:133], v[130:131]
	v_add_f64_e32 v[16:17], v[16:17], v[18:19]
	v_mul_f64_e32 v[18:19], v[12:13], v[166:167]
	v_fmac_f64_e32 v[20:21], v[6:7], v[152:153]
	v_fma_f64 v[130:131], v[4:5], v[152:153], -v[134:135]
	ds_load_b128 v[4:7], v2 offset:1616
	v_fma_f64 v[12:13], v[12:13], v[164:165], -v[128:129]
	v_add_f64_e32 v[8:9], v[10:11], v[8:9]
	v_add_f64_e32 v[10:11], v[16:17], v[22:23]
	v_fmac_f64_e32 v[18:19], v[14:15], v[164:165]
	s_wait_loadcnt_dscnt 0x0
	v_mul_f64_e32 v[16:17], v[4:5], v[150:151]
	v_mul_f64_e32 v[22:23], v[6:7], v[150:151]
	v_add_f64_e32 v[8:9], v[8:9], v[130:131]
	v_add_f64_e32 v[10:11], v[10:11], v[20:21]
	s_delay_alu instid0(VALU_DEP_4) | instskip(NEXT) | instid1(VALU_DEP_4)
	v_fmac_f64_e32 v[16:17], v[6:7], v[148:149]
	v_fma_f64 v[4:5], v[4:5], v[148:149], -v[22:23]
	s_delay_alu instid0(VALU_DEP_4) | instskip(NEXT) | instid1(VALU_DEP_4)
	v_add_f64_e32 v[6:7], v[8:9], v[12:13]
	v_add_f64_e32 v[8:9], v[10:11], v[18:19]
	s_delay_alu instid0(VALU_DEP_2) | instskip(NEXT) | instid1(VALU_DEP_2)
	v_add_f64_e32 v[4:5], v[6:7], v[4:5]
	v_add_f64_e32 v[6:7], v[8:9], v[16:17]
	s_delay_alu instid0(VALU_DEP_2) | instskip(NEXT) | instid1(VALU_DEP_2)
	v_add_f64_e64 v[4:5], v[156:157], -v[4:5]
	v_add_f64_e64 v[6:7], v[158:159], -v[6:7]
	scratch_store_b128 off, v[4:7], off offset:16
	s_wait_xcnt 0x0
	v_cmpx_ne_u32_e32 0, v1
	s_cbranch_execz .LBB114_319
; %bb.318:
	scratch_load_b128 v[6:9], off, off
	v_dual_mov_b32 v3, v2 :: v_dual_mov_b32 v4, v2
	v_mov_b32_e32 v5, v2
	scratch_store_b128 off, v[2:5], off
	s_wait_loadcnt 0x0
	ds_store_b128 v126, v[6:9]
.LBB114_319:
	s_wait_xcnt 0x0
	s_or_b32 exec_lo, exec_lo, s2
	s_wait_storecnt_dscnt 0x0
	s_barrier_signal -1
	s_barrier_wait -1
	s_clause 0x9
	scratch_load_b128 v[4:7], off, off offset:16
	scratch_load_b128 v[8:11], off, off offset:32
	;; [unrolled: 1-line block ×10, first 2 shown]
	ds_load_b128 v[146:149], v2 offset:832
	ds_load_b128 v[154:157], v2 offset:848
	s_clause 0x2
	scratch_load_b128 v[150:153], off, off offset:176
	scratch_load_b128 v[162:165], off, off
	scratch_load_b128 v[158:161], off, off offset:192
	s_and_b32 vcc_lo, exec_lo, s63
	s_wait_loadcnt_dscnt 0xc01
	v_mul_f64_e32 v[166:167], v[148:149], v[6:7]
	v_mul_f64_e32 v[170:171], v[146:147], v[6:7]
	s_wait_loadcnt_dscnt 0xb00
	v_mul_f64_e32 v[172:173], v[154:155], v[10:11]
	v_mul_f64_e32 v[10:11], v[156:157], v[10:11]
	s_delay_alu instid0(VALU_DEP_4) | instskip(NEXT) | instid1(VALU_DEP_4)
	v_fma_f64 v[174:175], v[146:147], v[4:5], -v[166:167]
	v_fmac_f64_e32 v[170:171], v[148:149], v[4:5]
	ds_load_b128 v[4:7], v2 offset:864
	ds_load_b128 v[146:149], v2 offset:880
	scratch_load_b128 v[166:169], off, off offset:208
	v_fmac_f64_e32 v[172:173], v[156:157], v[8:9]
	v_fma_f64 v[154:155], v[154:155], v[8:9], -v[10:11]
	scratch_load_b128 v[8:11], off, off offset:224
	s_wait_loadcnt_dscnt 0xc01
	v_mul_f64_e32 v[176:177], v[4:5], v[14:15]
	v_mul_f64_e32 v[14:15], v[6:7], v[14:15]
	v_add_f64_e32 v[156:157], 0, v[174:175]
	v_add_f64_e32 v[170:171], 0, v[170:171]
	s_wait_loadcnt_dscnt 0xb00
	v_mul_f64_e32 v[174:175], v[146:147], v[18:19]
	v_mul_f64_e32 v[18:19], v[148:149], v[18:19]
	v_fmac_f64_e32 v[176:177], v[6:7], v[12:13]
	v_fma_f64 v[178:179], v[4:5], v[12:13], -v[14:15]
	ds_load_b128 v[4:7], v2 offset:896
	ds_load_b128 v[12:15], v2 offset:912
	v_add_f64_e32 v[180:181], v[156:157], v[154:155]
	v_add_f64_e32 v[170:171], v[170:171], v[172:173]
	scratch_load_b128 v[154:157], off, off offset:240
	v_fmac_f64_e32 v[174:175], v[148:149], v[16:17]
	v_fma_f64 v[146:147], v[146:147], v[16:17], -v[18:19]
	scratch_load_b128 v[16:19], off, off offset:256
	s_wait_loadcnt_dscnt 0xc01
	v_mul_f64_e32 v[172:173], v[4:5], v[22:23]
	v_mul_f64_e32 v[22:23], v[6:7], v[22:23]
	v_add_f64_e32 v[148:149], v[180:181], v[178:179]
	v_add_f64_e32 v[170:171], v[170:171], v[176:177]
	s_wait_loadcnt_dscnt 0xb00
	v_mul_f64_e32 v[176:177], v[12:13], v[128:129]
	v_mul_f64_e32 v[128:129], v[14:15], v[128:129]
	v_fmac_f64_e32 v[172:173], v[6:7], v[20:21]
	v_fma_f64 v[178:179], v[4:5], v[20:21], -v[22:23]
	ds_load_b128 v[4:7], v2 offset:928
	ds_load_b128 v[20:23], v2 offset:944
	v_add_f64_e32 v[180:181], v[148:149], v[146:147]
	v_add_f64_e32 v[170:171], v[170:171], v[174:175]
	scratch_load_b128 v[146:149], off, off offset:272
	s_wait_loadcnt_dscnt 0xb01
	v_mul_f64_e32 v[174:175], v[4:5], v[132:133]
	v_mul_f64_e32 v[132:133], v[6:7], v[132:133]
	v_fmac_f64_e32 v[176:177], v[14:15], v[126:127]
	v_fma_f64 v[126:127], v[12:13], v[126:127], -v[128:129]
	scratch_load_b128 v[12:15], off, off offset:288
	v_add_f64_e32 v[128:129], v[180:181], v[178:179]
	v_add_f64_e32 v[170:171], v[170:171], v[172:173]
	s_wait_loadcnt_dscnt 0xb00
	v_mul_f64_e32 v[172:173], v[20:21], v[136:137]
	v_mul_f64_e32 v[136:137], v[22:23], v[136:137]
	v_fmac_f64_e32 v[174:175], v[6:7], v[130:131]
	v_fma_f64 v[178:179], v[4:5], v[130:131], -v[132:133]
	v_add_f64_e32 v[180:181], v[128:129], v[126:127]
	v_add_f64_e32 v[170:171], v[170:171], v[176:177]
	ds_load_b128 v[4:7], v2 offset:960
	ds_load_b128 v[126:129], v2 offset:976
	scratch_load_b128 v[130:133], off, off offset:304
	v_fmac_f64_e32 v[172:173], v[22:23], v[134:135]
	v_fma_f64 v[134:135], v[20:21], v[134:135], -v[136:137]
	scratch_load_b128 v[20:23], off, off offset:320
	s_wait_loadcnt_dscnt 0xc01
	v_mul_f64_e32 v[176:177], v[4:5], v[140:141]
	v_mul_f64_e32 v[140:141], v[6:7], v[140:141]
	v_add_f64_e32 v[136:137], v[180:181], v[178:179]
	v_add_f64_e32 v[170:171], v[170:171], v[174:175]
	s_wait_loadcnt_dscnt 0xb00
	v_mul_f64_e32 v[174:175], v[126:127], v[144:145]
	v_mul_f64_e32 v[144:145], v[128:129], v[144:145]
	v_fmac_f64_e32 v[176:177], v[6:7], v[138:139]
	v_fma_f64 v[178:179], v[4:5], v[138:139], -v[140:141]
	v_add_f64_e32 v[180:181], v[136:137], v[134:135]
	v_add_f64_e32 v[170:171], v[170:171], v[172:173]
	ds_load_b128 v[4:7], v2 offset:992
	ds_load_b128 v[134:137], v2 offset:1008
	scratch_load_b128 v[138:141], off, off offset:336
	v_fmac_f64_e32 v[174:175], v[128:129], v[142:143]
	v_fma_f64 v[142:143], v[126:127], v[142:143], -v[144:145]
	scratch_load_b128 v[126:129], off, off offset:352
	s_wait_loadcnt_dscnt 0xc01
	v_mul_f64_e32 v[172:173], v[4:5], v[152:153]
	v_mul_f64_e32 v[152:153], v[6:7], v[152:153]
	;; [unrolled: 18-line block ×5, first 2 shown]
	v_add_f64_e32 v[160:161], v[180:181], v[178:179]
	v_add_f64_e32 v[170:171], v[170:171], v[176:177]
	s_wait_loadcnt_dscnt 0xa00
	v_mul_f64_e32 v[176:177], v[142:143], v[14:15]
	v_mul_f64_e32 v[14:15], v[144:145], v[14:15]
	v_fmac_f64_e32 v[172:173], v[6:7], v[146:147]
	v_fma_f64 v[178:179], v[4:5], v[146:147], -v[148:149]
	ds_load_b128 v[4:7], v2 offset:1120
	ds_load_b128 v[146:149], v2 offset:1136
	v_add_f64_e32 v[180:181], v[160:161], v[158:159]
	v_add_f64_e32 v[170:171], v[170:171], v[174:175]
	scratch_load_b128 v[158:161], off, off offset:464
	v_fmac_f64_e32 v[176:177], v[144:145], v[12:13]
	v_fma_f64 v[142:143], v[142:143], v[12:13], -v[14:15]
	scratch_load_b128 v[12:15], off, off offset:480
	s_wait_loadcnt_dscnt 0xb01
	v_mul_f64_e32 v[174:175], v[4:5], v[132:133]
	v_mul_f64_e32 v[132:133], v[6:7], v[132:133]
	v_add_f64_e32 v[144:145], v[180:181], v[178:179]
	v_add_f64_e32 v[170:171], v[170:171], v[172:173]
	s_wait_loadcnt_dscnt 0xa00
	v_mul_f64_e32 v[172:173], v[146:147], v[22:23]
	v_mul_f64_e32 v[22:23], v[148:149], v[22:23]
	v_fmac_f64_e32 v[174:175], v[6:7], v[130:131]
	v_fma_f64 v[178:179], v[4:5], v[130:131], -v[132:133]
	ds_load_b128 v[4:7], v2 offset:1152
	ds_load_b128 v[130:133], v2 offset:1168
	v_add_f64_e32 v[180:181], v[144:145], v[142:143]
	v_add_f64_e32 v[170:171], v[170:171], v[176:177]
	scratch_load_b128 v[142:145], off, off offset:496
	s_wait_loadcnt_dscnt 0xa01
	v_mul_f64_e32 v[176:177], v[4:5], v[140:141]
	v_mul_f64_e32 v[140:141], v[6:7], v[140:141]
	v_fmac_f64_e32 v[172:173], v[148:149], v[20:21]
	v_fma_f64 v[146:147], v[146:147], v[20:21], -v[22:23]
	scratch_load_b128 v[20:23], off, off offset:512
	v_add_f64_e32 v[148:149], v[180:181], v[178:179]
	v_add_f64_e32 v[170:171], v[170:171], v[174:175]
	s_wait_loadcnt_dscnt 0xa00
	v_mul_f64_e32 v[174:175], v[130:131], v[128:129]
	v_mul_f64_e32 v[128:129], v[132:133], v[128:129]
	v_fmac_f64_e32 v[176:177], v[6:7], v[138:139]
	v_fma_f64 v[178:179], v[4:5], v[138:139], -v[140:141]
	ds_load_b128 v[4:7], v2 offset:1184
	ds_load_b128 v[138:141], v2 offset:1200
	v_add_f64_e32 v[180:181], v[148:149], v[146:147]
	v_add_f64_e32 v[170:171], v[170:171], v[172:173]
	scratch_load_b128 v[146:149], off, off offset:528
	s_wait_loadcnt_dscnt 0xa01
	v_mul_f64_e32 v[172:173], v[4:5], v[152:153]
	v_mul_f64_e32 v[152:153], v[6:7], v[152:153]
	v_fmac_f64_e32 v[174:175], v[132:133], v[126:127]
	v_fma_f64 v[130:131], v[130:131], v[126:127], -v[128:129]
	scratch_load_b128 v[126:129], off, off offset:544
	v_add_f64_e32 v[132:133], v[180:181], v[178:179]
	v_add_f64_e32 v[170:171], v[170:171], v[176:177]
	s_wait_loadcnt_dscnt 0xa00
	v_mul_f64_e32 v[176:177], v[138:139], v[136:137]
	v_mul_f64_e32 v[136:137], v[140:141], v[136:137]
	v_fmac_f64_e32 v[172:173], v[6:7], v[150:151]
	v_fma_f64 v[178:179], v[4:5], v[150:151], -v[152:153]
	v_add_f64_e32 v[180:181], v[132:133], v[130:131]
	v_add_f64_e32 v[170:171], v[170:171], v[174:175]
	ds_load_b128 v[4:7], v2 offset:1216
	ds_load_b128 v[130:133], v2 offset:1232
	scratch_load_b128 v[150:153], off, off offset:560
	v_fmac_f64_e32 v[176:177], v[140:141], v[134:135]
	v_fma_f64 v[138:139], v[138:139], v[134:135], -v[136:137]
	scratch_load_b128 v[134:137], off, off offset:576
	s_wait_loadcnt_dscnt 0xb01
	v_mul_f64_e32 v[174:175], v[4:5], v[168:169]
	v_mul_f64_e32 v[168:169], v[6:7], v[168:169]
	v_add_f64_e32 v[140:141], v[180:181], v[178:179]
	v_add_f64_e32 v[170:171], v[170:171], v[172:173]
	s_wait_loadcnt_dscnt 0xa00
	v_mul_f64_e32 v[172:173], v[130:131], v[10:11]
	v_mul_f64_e32 v[10:11], v[132:133], v[10:11]
	v_fmac_f64_e32 v[174:175], v[6:7], v[166:167]
	v_fma_f64 v[178:179], v[4:5], v[166:167], -v[168:169]
	v_add_f64_e32 v[180:181], v[140:141], v[138:139]
	v_add_f64_e32 v[170:171], v[170:171], v[176:177]
	ds_load_b128 v[4:7], v2 offset:1248
	ds_load_b128 v[138:141], v2 offset:1264
	scratch_load_b128 v[166:169], off, off offset:592
	v_fmac_f64_e32 v[172:173], v[132:133], v[8:9]
	v_fma_f64 v[130:131], v[130:131], v[8:9], -v[10:11]
	scratch_load_b128 v[8:11], off, off offset:608
	s_wait_loadcnt_dscnt 0xb01
	v_mul_f64_e32 v[176:177], v[4:5], v[156:157]
	v_mul_f64_e32 v[156:157], v[6:7], v[156:157]
	;; [unrolled: 18-line block ×8, first 2 shown]
	v_add_f64_e32 v[132:133], v[180:181], v[178:179]
	v_add_f64_e32 v[170:171], v[170:171], v[174:175]
	s_wait_loadcnt_dscnt 0xa00
	v_mul_f64_e32 v[174:175], v[138:139], v[18:19]
	v_mul_f64_e32 v[18:19], v[140:141], v[18:19]
	v_fmac_f64_e32 v[176:177], v[6:7], v[154:155]
	v_fma_f64 v[154:155], v[4:5], v[154:155], -v[156:157]
	v_add_f64_e32 v[156:157], v[132:133], v[130:131]
	v_add_f64_e32 v[170:171], v[170:171], v[172:173]
	ds_load_b128 v[4:7], v2 offset:1472
	ds_load_b128 v[130:133], v2 offset:1488
	v_fmac_f64_e32 v[174:175], v[140:141], v[16:17]
	v_fma_f64 v[16:17], v[138:139], v[16:17], -v[18:19]
	s_wait_loadcnt_dscnt 0x901
	v_mul_f64_e32 v[172:173], v[4:5], v[160:161]
	v_mul_f64_e32 v[160:161], v[6:7], v[160:161]
	s_wait_loadcnt_dscnt 0x800
	v_mul_f64_e32 v[140:141], v[130:131], v[14:15]
	v_add_f64_e32 v[18:19], v[156:157], v[154:155]
	v_add_f64_e32 v[138:139], v[170:171], v[176:177]
	v_mul_f64_e32 v[154:155], v[132:133], v[14:15]
	v_fmac_f64_e32 v[172:173], v[6:7], v[158:159]
	v_fma_f64 v[156:157], v[4:5], v[158:159], -v[160:161]
	v_fmac_f64_e32 v[140:141], v[132:133], v[12:13]
	v_lshl_add_u64 v[160:161], v[28:29], 4, s[4:5]
	v_lshl_add_u64 v[28:29], v[102:103], 4, s[4:5]
	v_add_f64_e32 v[18:19], v[18:19], v[16:17]
	v_add_f64_e32 v[138:139], v[138:139], v[174:175]
	ds_load_b128 v[4:7], v2 offset:1504
	ds_load_b128 v[14:17], v2 offset:1520
	v_fma_f64 v[12:13], v[130:131], v[12:13], -v[154:155]
	v_lshl_add_u64 v[154:155], v[34:35], 4, s[4:5]
	v_lshl_add_u64 v[34:35], v[96:97], 4, s[4:5]
	s_wait_loadcnt_dscnt 0x701
	v_mul_f64_e32 v[158:159], v[4:5], v[144:145]
	v_mul_f64_e32 v[144:145], v[6:7], v[144:145]
	v_add_f64_e32 v[18:19], v[18:19], v[156:157]
	v_add_f64_e32 v[130:131], v[138:139], v[172:173]
	s_wait_loadcnt_dscnt 0x600
	v_mul_f64_e32 v[138:139], v[14:15], v[22:23]
	v_mul_f64_e32 v[22:23], v[16:17], v[22:23]
	v_lshl_add_u64 v[156:157], v[32:33], 4, s[4:5]
	v_lshl_add_u64 v[32:33], v[98:99], 4, s[4:5]
	v_fmac_f64_e32 v[158:159], v[6:7], v[142:143]
	v_fma_f64 v[142:143], v[4:5], v[142:143], -v[144:145]
	v_add_f64_e32 v[12:13], v[18:19], v[12:13]
	v_add_f64_e32 v[18:19], v[130:131], v[140:141]
	ds_load_b128 v[4:7], v2 offset:1536
	ds_load_b128 v[130:133], v2 offset:1552
	v_fmac_f64_e32 v[138:139], v[16:17], v[20:21]
	v_fma_f64 v[14:15], v[14:15], v[20:21], -v[22:23]
	s_wait_loadcnt_dscnt 0x501
	v_mul_f64_e32 v[140:141], v[4:5], v[148:149]
	v_mul_f64_e32 v[144:145], v[6:7], v[148:149]
	s_wait_loadcnt_dscnt 0x400
	v_mul_f64_e32 v[20:21], v[132:133], v[128:129]
	v_lshl_add_u64 v[148:149], v[40:41], 4, s[4:5]
	v_lshl_add_u64 v[40:41], v[90:91], 4, s[4:5]
	v_add_f64_e32 v[12:13], v[12:13], v[142:143]
	v_add_f64_e32 v[16:17], v[18:19], v[158:159]
	v_mul_f64_e32 v[18:19], v[130:131], v[128:129]
	v_lshl_add_u64 v[158:159], v[30:31], 4, s[4:5]
	v_lshl_add_u64 v[30:31], v[100:101], 4, s[4:5]
	v_fmac_f64_e32 v[140:141], v[6:7], v[146:147]
	v_fma_f64 v[22:23], v[4:5], v[146:147], -v[144:145]
	v_fma_f64 v[20:21], v[130:131], v[126:127], -v[20:21]
	v_lshl_add_u64 v[146:147], v[42:43], 4, s[4:5]
	v_lshl_add_u64 v[144:145], v[44:45], 4, s[4:5]
	v_lshl_add_u64 v[44:45], v[86:87], 4, s[4:5]
	v_lshl_add_u64 v[42:43], v[88:89], 4, s[4:5]
	v_add_f64_e32 v[128:129], v[12:13], v[14:15]
	v_add_f64_e32 v[16:17], v[16:17], v[138:139]
	ds_load_b128 v[4:7], v2 offset:1568
	ds_load_b128 v[12:15], v2 offset:1584
	v_fmac_f64_e32 v[18:19], v[132:133], v[126:127]
	s_wait_loadcnt_dscnt 0x301
	v_mul_f64_e32 v[138:139], v[4:5], v[152:153]
	v_mul_f64_e32 v[142:143], v[6:7], v[152:153]
	s_wait_loadcnt_dscnt 0x200
	v_mul_f64_e32 v[126:127], v[12:13], v[136:137]
	v_lshl_add_u64 v[152:153], v[36:37], 4, s[4:5]
	v_lshl_add_u64 v[36:37], v[94:95], 4, s[4:5]
	v_add_f64_e32 v[22:23], v[128:129], v[22:23]
	v_add_f64_e32 v[16:17], v[16:17], v[140:141]
	v_mul_f64_e32 v[128:129], v[14:15], v[136:137]
	v_lshl_add_u64 v[140:141], v[48:49], 4, s[4:5]
	v_lshl_add_u64 v[136:137], v[52:53], 4, s[4:5]
	;; [unrolled: 1-line block ×4, first 2 shown]
	v_fmac_f64_e32 v[138:139], v[6:7], v[150:151]
	v_fma_f64 v[130:131], v[4:5], v[150:151], -v[142:143]
	v_fmac_f64_e32 v[126:127], v[14:15], v[134:135]
	v_lshl_add_u64 v[150:151], v[38:39], 4, s[4:5]
	v_lshl_add_u64 v[142:143], v[46:47], 4, s[4:5]
	v_lshl_add_u64 v[46:47], v[84:85], 4, s[4:5]
	v_lshl_add_u64 v[38:39], v[92:93], 4, s[4:5]
	v_add_f64_e32 v[20:21], v[22:23], v[20:21]
	v_add_f64_e32 v[22:23], v[16:17], v[18:19]
	ds_load_b128 v[4:7], v2 offset:1600
	ds_load_b128 v[16:19], v2 offset:1616
	v_fma_f64 v[12:13], v[12:13], v[134:135], -v[128:129]
	v_lshl_add_u64 v[128:129], v[58:59], 4, s[4:5]
	v_lshl_add_u64 v[58:59], v[62:63], 4, s[4:5]
	;; [unrolled: 1-line block ×5, first 2 shown]
	s_wait_loadcnt_dscnt 0x101
	v_mul_f64_e32 v[2:3], v[4:5], v[168:169]
	v_mul_f64_e32 v[132:133], v[6:7], v[168:169]
	v_add_f64_e32 v[14:15], v[20:21], v[130:131]
	v_add_f64_e32 v[20:21], v[22:23], v[138:139]
	s_wait_loadcnt_dscnt 0x0
	v_mul_f64_e32 v[22:23], v[16:17], v[10:11]
	v_mul_f64_e32 v[10:11], v[18:19], v[10:11]
	v_lshl_add_u64 v[138:139], v[50:51], 4, s[4:5]
	v_lshl_add_u64 v[130:131], v[56:57], 4, s[4:5]
	;; [unrolled: 1-line block ×4, first 2 shown]
	v_fmac_f64_e32 v[2:3], v[6:7], v[166:167]
	v_fma_f64 v[4:5], v[4:5], v[166:167], -v[132:133]
	v_lshl_add_u64 v[132:133], v[54:55], 4, s[4:5]
	v_lshl_add_u64 v[54:55], v[66:67], 4, s[4:5]
	;; [unrolled: 1-line block ×3, first 2 shown]
	v_add_f64_e32 v[6:7], v[14:15], v[12:13]
	v_add_f64_e32 v[12:13], v[20:21], v[126:127]
	v_fmac_f64_e32 v[22:23], v[18:19], v[8:9]
	v_fma_f64 v[8:9], v[16:17], v[8:9], -v[10:11]
	v_lshl_add_u64 v[126:127], v[60:61], 4, s[4:5]
	v_lshl_add_u64 v[60:61], v[74:75], 4, s[4:5]
	;; [unrolled: 1-line block ×7, first 2 shown]
	v_add_f64_e32 v[4:5], v[6:7], v[4:5]
	v_add_f64_e32 v[2:3], v[12:13], v[2:3]
	v_lshl_add_u64 v[12:13], v[114:115], 4, s[4:5]
	v_lshl_add_u64 v[6:7], v[120:121], 4, s[4:5]
	s_delay_alu instid0(VALU_DEP_4) | instskip(NEXT) | instid1(VALU_DEP_4)
	v_add_f64_e32 v[4:5], v[4:5], v[8:9]
	v_add_f64_e32 v[2:3], v[2:3], v[22:23]
	v_lshl_add_u64 v[22:23], v[104:105], 4, s[4:5]
	v_lshl_add_u64 v[8:9], v[118:119], 4, s[4:5]
	s_delay_alu instid0(VALU_DEP_4) | instskip(NEXT) | instid1(VALU_DEP_4)
	v_add_f64_e64 v[162:163], v[162:163], -v[4:5]
	v_add_f64_e64 v[164:165], v[164:165], -v[2:3]
	v_lshl_add_u64 v[4:5], v[122:123], 4, s[4:5]
	v_lshl_add_u64 v[2:3], v[124:125], 4, s[4:5]
	scratch_store_b128 off, v[162:165], off
	s_cbranch_vccz .LBB114_420
; %bb.320:
	v_mov_b32_e32 v68, 0
	s_load_b64 s[2:3], s[0:1], 0x4
	v_bfe_u32 v70, v0, 10, 10
	v_bfe_u32 v0, v0, 20, 10
	global_load_b32 v69, v68, s[8:9] offset:196
	s_wait_kmcnt 0x0
	s_lshr_b32 s0, s2, 16
	v_mul_u32_u24_e32 v70, s3, v70
	s_mul_i32 s0, s0, s3
	s_delay_alu instid0(SALU_CYCLE_1) | instskip(NEXT) | instid1(VALU_DEP_1)
	v_mul_u32_u24_e32 v1, s0, v1
	v_add3_u32 v0, v1, v70, v0
	s_delay_alu instid0(VALU_DEP_1)
	v_lshl_add_u32 v0, v0, 4, 0x668
	s_wait_loadcnt 0x0
	v_cmp_ne_u32_e32 vcc_lo, 50, v69
	s_cbranch_vccz .LBB114_322
; %bb.321:
	v_lshlrev_b32_e32 v1, 4, v69
	s_clause 0x1
	scratch_load_b128 v[70:73], off, s15
	scratch_load_b128 v[74:77], v1, off offset:-16
	s_wait_loadcnt 0x1
	ds_store_2addr_b64 v0, v[70:71], v[72:73] offset1:1
	s_wait_loadcnt 0x0
	s_clause 0x1
	scratch_store_b128 off, v[74:77], s15
	scratch_store_b128 v1, v[70:73], off offset:-16
.LBB114_322:
	global_load_b32 v1, v68, s[8:9] offset:192
	s_wait_loadcnt 0x0
	v_cmp_eq_u32_e32 vcc_lo, 49, v1
	s_cbranch_vccnz .LBB114_324
; %bb.323:
	v_lshlrev_b32_e32 v1, 4, v1
	s_clause 0x1
	scratch_load_b128 v[68:71], off, s17
	scratch_load_b128 v[72:75], v1, off offset:-16
	s_wait_loadcnt 0x1
	ds_store_2addr_b64 v0, v[68:69], v[70:71] offset1:1
	s_wait_loadcnt 0x0
	s_clause 0x1
	scratch_store_b128 off, v[72:75], s17
	scratch_store_b128 v1, v[68:71], off offset:-16
.LBB114_324:
	s_wait_xcnt 0x0
	v_mov_b32_e32 v1, 0
	global_load_b32 v68, v1, s[8:9] offset:188
	s_wait_loadcnt 0x0
	v_cmp_eq_u32_e32 vcc_lo, 48, v68
	s_cbranch_vccnz .LBB114_326
; %bb.325:
	v_lshlrev_b32_e32 v68, 4, v68
	s_delay_alu instid0(VALU_DEP_1)
	v_mov_b32_e32 v76, v68
	s_clause 0x1
	scratch_load_b128 v[68:71], off, s19
	scratch_load_b128 v[72:75], v76, off offset:-16
	s_wait_loadcnt 0x1
	ds_store_2addr_b64 v0, v[68:69], v[70:71] offset1:1
	s_wait_loadcnt 0x0
	s_clause 0x1
	scratch_store_b128 off, v[72:75], s19
	scratch_store_b128 v76, v[68:71], off offset:-16
.LBB114_326:
	global_load_b32 v1, v1, s[8:9] offset:184
	s_wait_loadcnt 0x0
	v_cmp_eq_u32_e32 vcc_lo, 47, v1
	s_cbranch_vccnz .LBB114_328
; %bb.327:
	s_wait_xcnt 0x0
	v_lshlrev_b32_e32 v1, 4, v1
	s_clause 0x1
	scratch_load_b128 v[68:71], off, s20
	scratch_load_b128 v[72:75], v1, off offset:-16
	s_wait_loadcnt 0x1
	ds_store_2addr_b64 v0, v[68:69], v[70:71] offset1:1
	s_wait_loadcnt 0x0
	s_clause 0x1
	scratch_store_b128 off, v[72:75], s20
	scratch_store_b128 v1, v[68:71], off offset:-16
.LBB114_328:
	s_wait_xcnt 0x0
	v_mov_b32_e32 v1, 0
	global_load_b32 v68, v1, s[8:9] offset:180
	s_wait_loadcnt 0x0
	v_cmp_eq_u32_e32 vcc_lo, 46, v68
	s_cbranch_vccnz .LBB114_330
; %bb.329:
	v_lshlrev_b32_e32 v68, 4, v68
	s_delay_alu instid0(VALU_DEP_1)
	v_mov_b32_e32 v76, v68
	s_clause 0x1
	scratch_load_b128 v[68:71], off, s21
	scratch_load_b128 v[72:75], v76, off offset:-16
	s_wait_loadcnt 0x1
	ds_store_2addr_b64 v0, v[68:69], v[70:71] offset1:1
	s_wait_loadcnt 0x0
	s_clause 0x1
	scratch_store_b128 off, v[72:75], s21
	scratch_store_b128 v76, v[68:71], off offset:-16
.LBB114_330:
	global_load_b32 v1, v1, s[8:9] offset:176
	s_wait_loadcnt 0x0
	v_cmp_eq_u32_e32 vcc_lo, 45, v1
	s_cbranch_vccnz .LBB114_332
; %bb.331:
	s_wait_xcnt 0x0
	v_lshlrev_b32_e32 v1, 4, v1
	s_clause 0x1
	scratch_load_b128 v[68:71], off, s22
	scratch_load_b128 v[72:75], v1, off offset:-16
	s_wait_loadcnt 0x1
	ds_store_2addr_b64 v0, v[68:69], v[70:71] offset1:1
	s_wait_loadcnt 0x0
	s_clause 0x1
	scratch_store_b128 off, v[72:75], s22
	scratch_store_b128 v1, v[68:71], off offset:-16
.LBB114_332:
	;; [unrolled: 37-line block ×23, first 2 shown]
	s_wait_xcnt 0x0
	v_mov_b32_e32 v1, 0
	global_load_b32 v68, v1, s[8:9] offset:4
	s_wait_loadcnt 0x0
	v_cmp_eq_u32_e32 vcc_lo, 2, v68
	s_cbranch_vccnz .LBB114_418
; %bb.417:
	v_lshlrev_b32_e32 v68, 4, v68
	s_delay_alu instid0(VALU_DEP_1)
	v_mov_b32_e32 v76, v68
	s_clause 0x1
	scratch_load_b128 v[68:71], off, s18
	scratch_load_b128 v[72:75], v76, off offset:-16
	s_wait_loadcnt 0x1
	ds_store_2addr_b64 v0, v[68:69], v[70:71] offset1:1
	s_wait_loadcnt 0x0
	s_clause 0x1
	scratch_store_b128 off, v[72:75], s18
	scratch_store_b128 v76, v[68:71], off offset:-16
.LBB114_418:
	global_load_b32 v1, v1, s[8:9]
	s_wait_loadcnt 0x0
	v_cmp_eq_u32_e32 vcc_lo, 1, v1
	s_cbranch_vccnz .LBB114_420
; %bb.419:
	s_wait_xcnt 0x0
	v_lshlrev_b32_e32 v1, 4, v1
	scratch_load_b128 v[68:71], off, off
	scratch_load_b128 v[72:75], v1, off offset:-16
	s_wait_loadcnt 0x1
	ds_store_2addr_b64 v0, v[68:69], v[70:71] offset1:1
	s_wait_loadcnt 0x0
	scratch_store_b128 off, v[72:75], off
	scratch_store_b128 v1, v[68:71], off offset:-16
.LBB114_420:
	scratch_load_b128 v[68:71], off, off
	s_wait_loadcnt 0x0
	flat_store_b128 v[24:25], v[68:71]
	scratch_load_b128 v[68:71], off, s18
	s_wait_loadcnt 0x0
	flat_store_b128 v[26:27], v[68:71]
	scratch_load_b128 v[24:27], off, s16
	;; [unrolled: 3-line block ×50, first 2 shown]
	s_wait_loadcnt 0x0
	flat_store_b128 v[2:3], v[4:7]
	s_sendmsg sendmsg(MSG_DEALLOC_VGPRS)
	s_endpgm
	.section	.rodata,"a",@progbits
	.p2align	6, 0x0
	.amdhsa_kernel _ZN9rocsolver6v33100L18getri_kernel_smallILi51E19rocblas_complex_numIdEPKPS3_EEvT1_iilPiilS8_bb
		.amdhsa_group_segment_fixed_size 2664
		.amdhsa_private_segment_fixed_size 832
		.amdhsa_kernarg_size 60
		.amdhsa_user_sgpr_count 4
		.amdhsa_user_sgpr_dispatch_ptr 1
		.amdhsa_user_sgpr_queue_ptr 0
		.amdhsa_user_sgpr_kernarg_segment_ptr 1
		.amdhsa_user_sgpr_dispatch_id 0
		.amdhsa_user_sgpr_kernarg_preload_length 0
		.amdhsa_user_sgpr_kernarg_preload_offset 0
		.amdhsa_user_sgpr_private_segment_size 0
		.amdhsa_wavefront_size32 1
		.amdhsa_uses_dynamic_stack 0
		.amdhsa_enable_private_segment 1
		.amdhsa_system_sgpr_workgroup_id_x 1
		.amdhsa_system_sgpr_workgroup_id_y 0
		.amdhsa_system_sgpr_workgroup_id_z 0
		.amdhsa_system_sgpr_workgroup_info 0
		.amdhsa_system_vgpr_workitem_id 2
		.amdhsa_next_free_vgpr 184
		.amdhsa_next_free_sgpr 87
		.amdhsa_named_barrier_count 0
		.amdhsa_reserve_vcc 1
		.amdhsa_float_round_mode_32 0
		.amdhsa_float_round_mode_16_64 0
		.amdhsa_float_denorm_mode_32 3
		.amdhsa_float_denorm_mode_16_64 3
		.amdhsa_fp16_overflow 0
		.amdhsa_memory_ordered 1
		.amdhsa_forward_progress 1
		.amdhsa_inst_pref_size 255
		.amdhsa_round_robin_scheduling 0
		.amdhsa_exception_fp_ieee_invalid_op 0
		.amdhsa_exception_fp_denorm_src 0
		.amdhsa_exception_fp_ieee_div_zero 0
		.amdhsa_exception_fp_ieee_overflow 0
		.amdhsa_exception_fp_ieee_underflow 0
		.amdhsa_exception_fp_ieee_inexact 0
		.amdhsa_exception_int_div_zero 0
	.end_amdhsa_kernel
	.section	.text._ZN9rocsolver6v33100L18getri_kernel_smallILi51E19rocblas_complex_numIdEPKPS3_EEvT1_iilPiilS8_bb,"axG",@progbits,_ZN9rocsolver6v33100L18getri_kernel_smallILi51E19rocblas_complex_numIdEPKPS3_EEvT1_iilPiilS8_bb,comdat
.Lfunc_end114:
	.size	_ZN9rocsolver6v33100L18getri_kernel_smallILi51E19rocblas_complex_numIdEPKPS3_EEvT1_iilPiilS8_bb, .Lfunc_end114-_ZN9rocsolver6v33100L18getri_kernel_smallILi51E19rocblas_complex_numIdEPKPS3_EEvT1_iilPiilS8_bb
                                        ; -- End function
	.set _ZN9rocsolver6v33100L18getri_kernel_smallILi51E19rocblas_complex_numIdEPKPS3_EEvT1_iilPiilS8_bb.num_vgpr, 184
	.set _ZN9rocsolver6v33100L18getri_kernel_smallILi51E19rocblas_complex_numIdEPKPS3_EEvT1_iilPiilS8_bb.num_agpr, 0
	.set _ZN9rocsolver6v33100L18getri_kernel_smallILi51E19rocblas_complex_numIdEPKPS3_EEvT1_iilPiilS8_bb.numbered_sgpr, 87
	.set _ZN9rocsolver6v33100L18getri_kernel_smallILi51E19rocblas_complex_numIdEPKPS3_EEvT1_iilPiilS8_bb.num_named_barrier, 0
	.set _ZN9rocsolver6v33100L18getri_kernel_smallILi51E19rocblas_complex_numIdEPKPS3_EEvT1_iilPiilS8_bb.private_seg_size, 832
	.set _ZN9rocsolver6v33100L18getri_kernel_smallILi51E19rocblas_complex_numIdEPKPS3_EEvT1_iilPiilS8_bb.uses_vcc, 1
	.set _ZN9rocsolver6v33100L18getri_kernel_smallILi51E19rocblas_complex_numIdEPKPS3_EEvT1_iilPiilS8_bb.uses_flat_scratch, 1
	.set _ZN9rocsolver6v33100L18getri_kernel_smallILi51E19rocblas_complex_numIdEPKPS3_EEvT1_iilPiilS8_bb.has_dyn_sized_stack, 0
	.set _ZN9rocsolver6v33100L18getri_kernel_smallILi51E19rocblas_complex_numIdEPKPS3_EEvT1_iilPiilS8_bb.has_recursion, 0
	.set _ZN9rocsolver6v33100L18getri_kernel_smallILi51E19rocblas_complex_numIdEPKPS3_EEvT1_iilPiilS8_bb.has_indirect_call, 0
	.section	.AMDGPU.csdata,"",@progbits
; Kernel info:
; codeLenInByte = 97984
; TotalNumSgprs: 89
; NumVgprs: 184
; ScratchSize: 832
; MemoryBound: 0
; FloatMode: 240
; IeeeMode: 1
; LDSByteSize: 2664 bytes/workgroup (compile time only)
; SGPRBlocks: 0
; VGPRBlocks: 11
; NumSGPRsForWavesPerEU: 89
; NumVGPRsForWavesPerEU: 184
; NamedBarCnt: 0
; Occupancy: 5
; WaveLimiterHint : 1
; COMPUTE_PGM_RSRC2:SCRATCH_EN: 1
; COMPUTE_PGM_RSRC2:USER_SGPR: 4
; COMPUTE_PGM_RSRC2:TRAP_HANDLER: 0
; COMPUTE_PGM_RSRC2:TGID_X_EN: 1
; COMPUTE_PGM_RSRC2:TGID_Y_EN: 0
; COMPUTE_PGM_RSRC2:TGID_Z_EN: 0
; COMPUTE_PGM_RSRC2:TIDIG_COMP_CNT: 2
	.section	.text._ZN9rocsolver6v33100L18getri_kernel_smallILi52E19rocblas_complex_numIdEPKPS3_EEvT1_iilPiilS8_bb,"axG",@progbits,_ZN9rocsolver6v33100L18getri_kernel_smallILi52E19rocblas_complex_numIdEPKPS3_EEvT1_iilPiilS8_bb,comdat
	.globl	_ZN9rocsolver6v33100L18getri_kernel_smallILi52E19rocblas_complex_numIdEPKPS3_EEvT1_iilPiilS8_bb ; -- Begin function _ZN9rocsolver6v33100L18getri_kernel_smallILi52E19rocblas_complex_numIdEPKPS3_EEvT1_iilPiilS8_bb
	.p2align	8
	.type	_ZN9rocsolver6v33100L18getri_kernel_smallILi52E19rocblas_complex_numIdEPKPS3_EEvT1_iilPiilS8_bb,@function
_ZN9rocsolver6v33100L18getri_kernel_smallILi52E19rocblas_complex_numIdEPKPS3_EEvT1_iilPiilS8_bb: ; @_ZN9rocsolver6v33100L18getri_kernel_smallILi52E19rocblas_complex_numIdEPKPS3_EEvT1_iilPiilS8_bb
; %bb.0:
	v_and_b32_e32 v1, 0x3ff, v0
	s_mov_b32 s4, exec_lo
	s_delay_alu instid0(VALU_DEP_1)
	v_cmpx_gt_u32_e32 52, v1
	s_cbranch_execz .LBB115_222
; %bb.1:
	s_clause 0x1
	s_load_b32 s16, s[2:3], 0x38
	s_load_b64 s[8:9], s[2:3], 0x0
	s_getreg_b32 s6, hwreg(HW_REG_IB_STS2, 6, 4)
	s_wait_kmcnt 0x0
	s_bitcmp1_b32 s16, 8
	s_cselect_b32 s64, -1, 0
	s_bfe_u32 s4, ttmp6, 0x4000c
	s_and_b32 s5, ttmp6, 15
	s_add_co_i32 s4, s4, 1
	s_delay_alu instid0(SALU_CYCLE_1) | instskip(NEXT) | instid1(SALU_CYCLE_1)
	s_mul_i32 s4, ttmp9, s4
	s_add_co_i32 s5, s5, s4
	s_cmp_eq_u32 s6, 0
	s_cselect_b32 s10, ttmp9, s5
	s_load_b128 s[4:7], s[2:3], 0x28
	s_ashr_i32 s11, s10, 31
	s_delay_alu instid0(SALU_CYCLE_1) | instskip(NEXT) | instid1(SALU_CYCLE_1)
	s_lshl_b64 s[12:13], s[10:11], 3
	s_add_nc_u64 s[8:9], s[8:9], s[12:13]
	s_load_b64 s[14:15], s[8:9], 0x0
	s_wait_xcnt 0x0
	s_bfe_u32 s8, s16, 0x10008
	s_delay_alu instid0(SALU_CYCLE_1)
	s_cmp_eq_u32 s8, 0
                                        ; implicit-def: $sgpr8_sgpr9
	s_cbranch_scc1 .LBB115_3
; %bb.2:
	s_load_b96 s[16:18], s[2:3], 0x18
	s_wait_kmcnt 0x0
	s_mul_u64 s[4:5], s[4:5], s[10:11]
	s_delay_alu instid0(SALU_CYCLE_1) | instskip(SKIP_4) | instid1(SALU_CYCLE_1)
	s_lshl_b64 s[4:5], s[4:5], 2
	s_ashr_i32 s9, s18, 31
	s_mov_b32 s8, s18
	s_add_nc_u64 s[4:5], s[16:17], s[4:5]
	s_lshl_b64 s[8:9], s[8:9], 2
	s_add_nc_u64 s[8:9], s[4:5], s[8:9]
.LBB115_3:
	s_clause 0x1
	s_load_b64 s[12:13], s[2:3], 0x8
	s_load_b32 s65, s[2:3], 0x38
	v_dual_mov_b32 v15, 0 :: v_dual_lshlrev_b32 v14, 4, v1
	s_movk_i32 s66, 0x1e0
	s_movk_i32 s67, 0x1f0
	;; [unrolled: 1-line block ×16, first 2 shown]
	s_wait_kmcnt 0x0
	s_ashr_i32 s3, s12, 31
	s_mov_b32 s2, s12
	v_add3_u32 v20, s13, s13, v1
	s_lshl_b64 s[2:3], s[2:3], 4
	s_movk_i32 s82, 0x2e0
	s_add_nc_u64 s[4:5], s[14:15], s[2:3]
	s_ashr_i32 s3, s13, 31
	flat_load_b128 v[2:5], v1, s[4:5] scale_offset
	v_add_nc_u64_e32 v[16:17], s[4:5], v[14:15]
	s_mov_b32 s2, s13
	v_add_nc_u32_e32 v22, s13, v20
	s_movk_i32 s83, 0x2f0
	s_movk_i32 s84, 0x300
	;; [unrolled: 1-line block ×4, first 2 shown]
	v_lshl_add_u64 v[18:19], s[2:3], 4, v[16:17]
	v_add_nc_u32_e32 v24, s13, v22
	s_movk_i32 s87, 0x330
	s_mov_b32 s18, 16
	s_mov_b32 s16, 32
	s_mov_b32 s14, 48
	v_add_nc_u32_e32 v26, s13, v24
	s_mov_b32 s12, 64
	s_movk_i32 s63, 0x50
	s_movk_i32 s62, 0x60
	s_movk_i32 s61, 0x70
	v_add_nc_u32_e32 v28, s13, v26
	s_movk_i32 s60, 0x80
	s_movk_i32 s59, 0x90
	s_movk_i32 s58, 0xa0
	s_movk_i32 s57, 0xb0
	v_add_nc_u32_e32 v30, s13, v28
	s_movk_i32 s56, 0xc0
	;; [unrolled: 5-line block ×6, first 2 shown]
	s_movk_i32 s39, 0x1d0
	s_mov_b32 s38, s66
	s_mov_b32 s37, s67
	v_add_nc_u32_e32 v40, s13, v38
	s_mov_b32 s36, s68
	s_mov_b32 s35, s69
	s_mov_b32 s34, s70
	s_mov_b32 s33, s71
	v_add_nc_u32_e32 v42, s13, v40
	s_mov_b32 s31, s72
	s_mov_b32 s30, s73
	;; [unrolled: 5-line block ×5, first 2 shown]
	s_mov_b32 s15, s86
	s_bitcmp0_b32 s65, 0
	v_add_nc_u32_e32 v50, s13, v48
	s_mov_b32 s3, -1
	s_delay_alu instid0(VALU_DEP_1) | instskip(NEXT) | instid1(VALU_DEP_1)
	v_add_nc_u32_e32 v52, s13, v50
	v_add_nc_u32_e32 v54, s13, v52
	s_delay_alu instid0(VALU_DEP_1) | instskip(NEXT) | instid1(VALU_DEP_1)
	v_add_nc_u32_e32 v56, s13, v54
	v_add_nc_u32_e32 v60, s13, v56
	;; [unrolled: 3-line block ×17, first 2 shown]
	s_mov_b32 s13, s87
	s_wait_loadcnt_dscnt 0x0
	scratch_store_b128 off, v[2:5], off
	flat_load_b128 v[2:5], v[18:19]
	s_wait_loadcnt_dscnt 0x0
	scratch_store_b128 off, v[2:5], off offset:16
	flat_load_b128 v[2:5], v20, s[4:5] scale_offset
	s_wait_loadcnt_dscnt 0x0
	scratch_store_b128 off, v[2:5], off offset:32
	flat_load_b128 v[2:5], v22, s[4:5] scale_offset
	;; [unrolled: 3-line block ×50, first 2 shown]
	s_wait_loadcnt_dscnt 0x0
	scratch_store_b128 off, v[2:5], off offset:816
	s_cbranch_scc1 .LBB115_220
; %bb.4:
	v_cmp_eq_u32_e64 s2, 0, v1
	s_wait_xcnt 0x0
	s_and_saveexec_b32 s3, s2
; %bb.5:
	v_mov_b32_e32 v2, 0
	ds_store_b32 v2, v2 offset:1664
; %bb.6:
	s_or_b32 exec_lo, exec_lo, s3
	s_wait_storecnt_dscnt 0x0
	s_barrier_signal -1
	s_barrier_wait -1
	scratch_load_b128 v[2:5], v1, off scale_offset
	s_wait_loadcnt 0x0
	v_cmp_eq_f64_e32 vcc_lo, 0, v[2:3]
	v_cmp_eq_f64_e64 s3, 0, v[4:5]
	s_and_b32 s3, vcc_lo, s3
	s_delay_alu instid0(SALU_CYCLE_1)
	s_and_saveexec_b32 s65, s3
	s_cbranch_execz .LBB115_10
; %bb.7:
	v_mov_b32_e32 v2, 0
	s_mov_b32 s66, 0
	ds_load_b32 v3, v2 offset:1664
	s_wait_dscnt 0x0
	v_readfirstlane_b32 s3, v3
	v_add_nc_u32_e32 v3, 1, v1
	s_cmp_eq_u32 s3, 0
	s_delay_alu instid0(VALU_DEP_1) | instskip(SKIP_1) | instid1(SALU_CYCLE_1)
	v_cmp_gt_i32_e32 vcc_lo, s3, v3
	s_cselect_b32 s67, -1, 0
	s_or_b32 s67, s67, vcc_lo
	s_delay_alu instid0(SALU_CYCLE_1)
	s_and_b32 exec_lo, exec_lo, s67
	s_cbranch_execz .LBB115_10
; %bb.8:
	v_mov_b32_e32 v4, s3
.LBB115_9:                              ; =>This Inner Loop Header: Depth=1
	ds_cmpstore_rtn_b32 v4, v2, v3, v4 offset:1664
	s_wait_dscnt 0x0
	v_cmp_ne_u32_e32 vcc_lo, 0, v4
	v_cmp_le_i32_e64 s3, v4, v3
	s_and_b32 s3, vcc_lo, s3
	s_delay_alu instid0(SALU_CYCLE_1) | instskip(NEXT) | instid1(SALU_CYCLE_1)
	s_and_b32 s3, exec_lo, s3
	s_or_b32 s66, s3, s66
	s_delay_alu instid0(SALU_CYCLE_1)
	s_and_not1_b32 exec_lo, exec_lo, s66
	s_cbranch_execnz .LBB115_9
.LBB115_10:
	s_or_b32 exec_lo, exec_lo, s65
	v_mov_b32_e32 v2, 0
	s_barrier_signal -1
	s_barrier_wait -1
	ds_load_b32 v3, v2 offset:1664
	s_and_saveexec_b32 s3, s2
	s_cbranch_execz .LBB115_12
; %bb.11:
	s_lshl_b64 s[66:67], s[10:11], 2
	s_delay_alu instid0(SALU_CYCLE_1)
	s_add_nc_u64 s[66:67], s[6:7], s[66:67]
	s_wait_dscnt 0x0
	global_store_b32 v2, v3, s[66:67]
.LBB115_12:
	s_wait_xcnt 0x0
	s_or_b32 exec_lo, exec_lo, s3
	s_wait_dscnt 0x0
	v_cmp_ne_u32_e32 vcc_lo, 0, v3
	s_mov_b32 s3, 0
	s_cbranch_vccnz .LBB115_220
; %bb.13:
	v_lshl_add_u32 v15, v1, 4, 0
                                        ; implicit-def: $vgpr6_vgpr7
                                        ; implicit-def: $vgpr10_vgpr11
	scratch_load_b128 v[2:5], v15, off
	s_wait_loadcnt 0x0
	v_cmp_ngt_f64_e64 s3, |v[2:3]|, |v[4:5]|
	s_wait_xcnt 0x0
	s_and_saveexec_b32 s65, s3
	s_delay_alu instid0(SALU_CYCLE_1)
	s_xor_b32 s3, exec_lo, s65
	s_cbranch_execz .LBB115_15
; %bb.14:
	v_div_scale_f64 v[6:7], null, v[4:5], v[4:5], v[2:3]
	v_div_scale_f64 v[12:13], vcc_lo, v[2:3], v[4:5], v[2:3]
	s_delay_alu instid0(VALU_DEP_2) | instskip(SKIP_1) | instid1(TRANS32_DEP_1)
	v_rcp_f64_e32 v[8:9], v[6:7]
	v_nop
	v_fma_f64 v[10:11], -v[6:7], v[8:9], 1.0
	s_delay_alu instid0(VALU_DEP_1) | instskip(NEXT) | instid1(VALU_DEP_1)
	v_fmac_f64_e32 v[8:9], v[8:9], v[10:11]
	v_fma_f64 v[10:11], -v[6:7], v[8:9], 1.0
	s_delay_alu instid0(VALU_DEP_1) | instskip(NEXT) | instid1(VALU_DEP_1)
	v_fmac_f64_e32 v[8:9], v[8:9], v[10:11]
	v_mul_f64_e32 v[10:11], v[12:13], v[8:9]
	s_delay_alu instid0(VALU_DEP_1) | instskip(NEXT) | instid1(VALU_DEP_1)
	v_fma_f64 v[6:7], -v[6:7], v[10:11], v[12:13]
	v_div_fmas_f64 v[6:7], v[6:7], v[8:9], v[10:11]
	s_delay_alu instid0(VALU_DEP_1) | instskip(NEXT) | instid1(VALU_DEP_1)
	v_div_fixup_f64 v[6:7], v[6:7], v[4:5], v[2:3]
	v_fmac_f64_e32 v[4:5], v[2:3], v[6:7]
	s_delay_alu instid0(VALU_DEP_1) | instskip(SKIP_1) | instid1(VALU_DEP_2)
	v_div_scale_f64 v[2:3], null, v[4:5], v[4:5], 1.0
	v_div_scale_f64 v[12:13], vcc_lo, 1.0, v[4:5], 1.0
	v_rcp_f64_e32 v[8:9], v[2:3]
	v_nop
	s_delay_alu instid0(TRANS32_DEP_1) | instskip(NEXT) | instid1(VALU_DEP_1)
	v_fma_f64 v[10:11], -v[2:3], v[8:9], 1.0
	v_fmac_f64_e32 v[8:9], v[8:9], v[10:11]
	s_delay_alu instid0(VALU_DEP_1) | instskip(NEXT) | instid1(VALU_DEP_1)
	v_fma_f64 v[10:11], -v[2:3], v[8:9], 1.0
	v_fmac_f64_e32 v[8:9], v[8:9], v[10:11]
	s_delay_alu instid0(VALU_DEP_1) | instskip(NEXT) | instid1(VALU_DEP_1)
	v_mul_f64_e32 v[10:11], v[12:13], v[8:9]
	v_fma_f64 v[2:3], -v[2:3], v[10:11], v[12:13]
	s_delay_alu instid0(VALU_DEP_1) | instskip(NEXT) | instid1(VALU_DEP_1)
	v_div_fmas_f64 v[2:3], v[2:3], v[8:9], v[10:11]
	v_div_fixup_f64 v[8:9], v[2:3], v[4:5], 1.0
                                        ; implicit-def: $vgpr2_vgpr3
	s_delay_alu instid0(VALU_DEP_1) | instskip(SKIP_1) | instid1(VALU_DEP_2)
	v_mul_f64_e32 v[6:7], v[6:7], v[8:9]
	v_xor_b32_e32 v9, 0x80000000, v9
	v_xor_b32_e32 v11, 0x80000000, v7
	s_delay_alu instid0(VALU_DEP_3)
	v_mov_b32_e32 v10, v6
.LBB115_15:
	s_and_not1_saveexec_b32 s3, s3
	s_cbranch_execz .LBB115_17
; %bb.16:
	v_div_scale_f64 v[6:7], null, v[2:3], v[2:3], v[4:5]
	v_div_scale_f64 v[12:13], vcc_lo, v[4:5], v[2:3], v[4:5]
	s_delay_alu instid0(VALU_DEP_2) | instskip(SKIP_1) | instid1(TRANS32_DEP_1)
	v_rcp_f64_e32 v[8:9], v[6:7]
	v_nop
	v_fma_f64 v[10:11], -v[6:7], v[8:9], 1.0
	s_delay_alu instid0(VALU_DEP_1) | instskip(NEXT) | instid1(VALU_DEP_1)
	v_fmac_f64_e32 v[8:9], v[8:9], v[10:11]
	v_fma_f64 v[10:11], -v[6:7], v[8:9], 1.0
	s_delay_alu instid0(VALU_DEP_1) | instskip(NEXT) | instid1(VALU_DEP_1)
	v_fmac_f64_e32 v[8:9], v[8:9], v[10:11]
	v_mul_f64_e32 v[10:11], v[12:13], v[8:9]
	s_delay_alu instid0(VALU_DEP_1) | instskip(NEXT) | instid1(VALU_DEP_1)
	v_fma_f64 v[6:7], -v[6:7], v[10:11], v[12:13]
	v_div_fmas_f64 v[6:7], v[6:7], v[8:9], v[10:11]
	s_delay_alu instid0(VALU_DEP_1) | instskip(NEXT) | instid1(VALU_DEP_1)
	v_div_fixup_f64 v[8:9], v[6:7], v[2:3], v[4:5]
	v_fmac_f64_e32 v[2:3], v[4:5], v[8:9]
	s_delay_alu instid0(VALU_DEP_1) | instskip(NEXT) | instid1(VALU_DEP_1)
	v_div_scale_f64 v[4:5], null, v[2:3], v[2:3], 1.0
	v_rcp_f64_e32 v[6:7], v[4:5]
	v_nop
	s_delay_alu instid0(TRANS32_DEP_1) | instskip(NEXT) | instid1(VALU_DEP_1)
	v_fma_f64 v[10:11], -v[4:5], v[6:7], 1.0
	v_fmac_f64_e32 v[6:7], v[6:7], v[10:11]
	s_delay_alu instid0(VALU_DEP_1) | instskip(NEXT) | instid1(VALU_DEP_1)
	v_fma_f64 v[10:11], -v[4:5], v[6:7], 1.0
	v_fmac_f64_e32 v[6:7], v[6:7], v[10:11]
	v_div_scale_f64 v[10:11], vcc_lo, 1.0, v[2:3], 1.0
	s_delay_alu instid0(VALU_DEP_1) | instskip(NEXT) | instid1(VALU_DEP_1)
	v_mul_f64_e32 v[12:13], v[10:11], v[6:7]
	v_fma_f64 v[4:5], -v[4:5], v[12:13], v[10:11]
	s_delay_alu instid0(VALU_DEP_1) | instskip(NEXT) | instid1(VALU_DEP_1)
	v_div_fmas_f64 v[4:5], v[4:5], v[6:7], v[12:13]
	v_div_fixup_f64 v[6:7], v[4:5], v[2:3], 1.0
	s_delay_alu instid0(VALU_DEP_1)
	v_mul_f64_e64 v[8:9], v[8:9], -v[6:7]
	v_xor_b32_e32 v11, 0x80000000, v7
	v_mov_b32_e32 v10, v6
.LBB115_17:
	s_or_b32 exec_lo, exec_lo, s3
	s_clause 0x1
	scratch_store_b128 v15, v[6:9], off
	scratch_load_b128 v[2:5], off, s18
	v_xor_b32_e32 v13, 0x80000000, v9
	v_mov_b32_e32 v12, v8
	s_wait_xcnt 0x1
	v_add_nc_u32_e32 v6, 0x340, v14
	ds_store_b128 v14, v[10:13]
	s_wait_loadcnt 0x0
	ds_store_b128 v14, v[2:5] offset:832
	s_wait_storecnt_dscnt 0x0
	s_barrier_signal -1
	s_barrier_wait -1
	s_wait_xcnt 0x0
	s_and_saveexec_b32 s3, s2
	s_cbranch_execz .LBB115_19
; %bb.18:
	scratch_load_b128 v[2:5], v15, off
	ds_load_b128 v[8:11], v6
	v_mov_b32_e32 v7, 0
	ds_load_b128 v[120:123], v7 offset:16
	s_wait_loadcnt_dscnt 0x1
	v_mul_f64_e32 v[12:13], v[8:9], v[4:5]
	v_mul_f64_e32 v[4:5], v[10:11], v[4:5]
	s_delay_alu instid0(VALU_DEP_2) | instskip(NEXT) | instid1(VALU_DEP_2)
	v_fmac_f64_e32 v[12:13], v[10:11], v[2:3]
	v_fma_f64 v[2:3], v[8:9], v[2:3], -v[4:5]
	s_delay_alu instid0(VALU_DEP_2) | instskip(NEXT) | instid1(VALU_DEP_2)
	v_add_f64_e32 v[8:9], 0, v[12:13]
	v_add_f64_e32 v[2:3], 0, v[2:3]
	s_wait_dscnt 0x0
	s_delay_alu instid0(VALU_DEP_2) | instskip(NEXT) | instid1(VALU_DEP_2)
	v_mul_f64_e32 v[10:11], v[8:9], v[122:123]
	v_mul_f64_e32 v[4:5], v[2:3], v[122:123]
	s_delay_alu instid0(VALU_DEP_2) | instskip(NEXT) | instid1(VALU_DEP_2)
	v_fma_f64 v[2:3], v[2:3], v[120:121], -v[10:11]
	v_fmac_f64_e32 v[4:5], v[8:9], v[120:121]
	scratch_store_b128 off, v[2:5], off offset:16
.LBB115_19:
	s_wait_xcnt 0x0
	s_or_b32 exec_lo, exec_lo, s3
	s_wait_storecnt 0x0
	s_barrier_signal -1
	s_barrier_wait -1
	scratch_load_b128 v[2:5], off, s16
	s_mov_b32 s3, exec_lo
	s_wait_loadcnt 0x0
	ds_store_b128 v6, v[2:5]
	s_wait_dscnt 0x0
	s_barrier_signal -1
	s_barrier_wait -1
	v_cmpx_gt_u32_e32 2, v1
	s_cbranch_execz .LBB115_23
; %bb.20:
	scratch_load_b128 v[2:5], v15, off
	ds_load_b128 v[8:11], v6
	s_wait_loadcnt_dscnt 0x0
	v_mul_f64_e32 v[12:13], v[10:11], v[4:5]
	v_mul_f64_e32 v[120:121], v[8:9], v[4:5]
	s_delay_alu instid0(VALU_DEP_2) | instskip(NEXT) | instid1(VALU_DEP_2)
	v_fma_f64 v[4:5], v[8:9], v[2:3], -v[12:13]
	v_fmac_f64_e32 v[120:121], v[10:11], v[2:3]
	s_delay_alu instid0(VALU_DEP_2) | instskip(NEXT) | instid1(VALU_DEP_2)
	v_add_f64_e32 v[4:5], 0, v[4:5]
	v_add_f64_e32 v[2:3], 0, v[120:121]
	s_and_saveexec_b32 s65, s2
	s_cbranch_execz .LBB115_22
; %bb.21:
	scratch_load_b128 v[8:11], off, off offset:16
	v_mov_b32_e32 v7, 0
	ds_load_b128 v[120:123], v7 offset:848
	s_wait_loadcnt_dscnt 0x0
	v_mul_f64_e32 v[12:13], v[120:121], v[10:11]
	v_mul_f64_e32 v[10:11], v[122:123], v[10:11]
	s_delay_alu instid0(VALU_DEP_2) | instskip(NEXT) | instid1(VALU_DEP_2)
	v_fmac_f64_e32 v[12:13], v[122:123], v[8:9]
	v_fma_f64 v[8:9], v[120:121], v[8:9], -v[10:11]
	s_delay_alu instid0(VALU_DEP_2) | instskip(NEXT) | instid1(VALU_DEP_2)
	v_add_f64_e32 v[2:3], v[2:3], v[12:13]
	v_add_f64_e32 v[4:5], v[4:5], v[8:9]
.LBB115_22:
	s_or_b32 exec_lo, exec_lo, s65
	v_mov_b32_e32 v7, 0
	ds_load_b128 v[8:11], v7 offset:32
	s_wait_dscnt 0x0
	v_mul_f64_e32 v[120:121], v[2:3], v[10:11]
	v_mul_f64_e32 v[12:13], v[4:5], v[10:11]
	s_delay_alu instid0(VALU_DEP_2) | instskip(NEXT) | instid1(VALU_DEP_2)
	v_fma_f64 v[10:11], v[4:5], v[8:9], -v[120:121]
	v_fmac_f64_e32 v[12:13], v[2:3], v[8:9]
	scratch_store_b128 off, v[10:13], off offset:32
.LBB115_23:
	s_wait_xcnt 0x0
	s_or_b32 exec_lo, exec_lo, s3
	s_wait_storecnt 0x0
	s_barrier_signal -1
	s_barrier_wait -1
	scratch_load_b128 v[2:5], off, s14
	v_add_nc_u32_e32 v7, -1, v1
	s_mov_b32 s2, exec_lo
	s_wait_loadcnt 0x0
	ds_store_b128 v6, v[2:5]
	s_wait_dscnt 0x0
	s_barrier_signal -1
	s_barrier_wait -1
	v_cmpx_gt_u32_e32 3, v1
	s_cbranch_execz .LBB115_27
; %bb.24:
	v_dual_mov_b32 v10, v14 :: v_dual_add_nc_u32 v8, -1, v1
	v_mov_b64_e32 v[2:3], 0
	v_mov_b64_e32 v[4:5], 0
	v_add_nc_u32_e32 v9, 0x340, v14
	s_delay_alu instid0(VALU_DEP_4)
	v_or_b32_e32 v10, 8, v10
	s_mov_b32 s3, 0
.LBB115_25:                             ; =>This Inner Loop Header: Depth=1
	scratch_load_b128 v[120:123], v10, off offset:-8
	ds_load_b128 v[124:127], v9
	v_dual_add_nc_u32 v8, 1, v8 :: v_dual_add_nc_u32 v9, 16, v9
	s_wait_xcnt 0x0
	v_add_nc_u32_e32 v10, 16, v10
	s_delay_alu instid0(VALU_DEP_2) | instskip(SKIP_4) | instid1(VALU_DEP_2)
	v_cmp_lt_u32_e32 vcc_lo, 1, v8
	s_or_b32 s3, vcc_lo, s3
	s_wait_loadcnt_dscnt 0x0
	v_mul_f64_e32 v[12:13], v[126:127], v[122:123]
	v_mul_f64_e32 v[122:123], v[124:125], v[122:123]
	v_fma_f64 v[12:13], v[124:125], v[120:121], -v[12:13]
	s_delay_alu instid0(VALU_DEP_2) | instskip(NEXT) | instid1(VALU_DEP_2)
	v_fmac_f64_e32 v[122:123], v[126:127], v[120:121]
	v_add_f64_e32 v[4:5], v[4:5], v[12:13]
	s_delay_alu instid0(VALU_DEP_2)
	v_add_f64_e32 v[2:3], v[2:3], v[122:123]
	s_and_not1_b32 exec_lo, exec_lo, s3
	s_cbranch_execnz .LBB115_25
; %bb.26:
	s_or_b32 exec_lo, exec_lo, s3
	v_mov_b32_e32 v8, 0
	ds_load_b128 v[8:11], v8 offset:48
	s_wait_dscnt 0x0
	v_mul_f64_e32 v[120:121], v[2:3], v[10:11]
	v_mul_f64_e32 v[12:13], v[4:5], v[10:11]
	s_delay_alu instid0(VALU_DEP_2) | instskip(NEXT) | instid1(VALU_DEP_2)
	v_fma_f64 v[10:11], v[4:5], v[8:9], -v[120:121]
	v_fmac_f64_e32 v[12:13], v[2:3], v[8:9]
	scratch_store_b128 off, v[10:13], off offset:48
.LBB115_27:
	s_wait_xcnt 0x0
	s_or_b32 exec_lo, exec_lo, s2
	s_wait_storecnt 0x0
	s_barrier_signal -1
	s_barrier_wait -1
	scratch_load_b128 v[2:5], off, s12
	s_mov_b32 s2, exec_lo
	s_wait_loadcnt 0x0
	ds_store_b128 v6, v[2:5]
	s_wait_dscnt 0x0
	s_barrier_signal -1
	s_barrier_wait -1
	v_cmpx_gt_u32_e32 4, v1
	s_cbranch_execz .LBB115_31
; %bb.28:
	v_dual_mov_b32 v10, v14 :: v_dual_add_nc_u32 v8, -1, v1
	v_mov_b64_e32 v[2:3], 0
	v_mov_b64_e32 v[4:5], 0
	v_add_nc_u32_e32 v9, 0x340, v14
	s_delay_alu instid0(VALU_DEP_4)
	v_or_b32_e32 v10, 8, v10
	s_mov_b32 s3, 0
.LBB115_29:                             ; =>This Inner Loop Header: Depth=1
	scratch_load_b128 v[120:123], v10, off offset:-8
	ds_load_b128 v[124:127], v9
	v_dual_add_nc_u32 v8, 1, v8 :: v_dual_add_nc_u32 v9, 16, v9
	s_wait_xcnt 0x0
	v_add_nc_u32_e32 v10, 16, v10
	s_delay_alu instid0(VALU_DEP_2) | instskip(SKIP_4) | instid1(VALU_DEP_2)
	v_cmp_lt_u32_e32 vcc_lo, 2, v8
	s_or_b32 s3, vcc_lo, s3
	s_wait_loadcnt_dscnt 0x0
	v_mul_f64_e32 v[12:13], v[126:127], v[122:123]
	v_mul_f64_e32 v[122:123], v[124:125], v[122:123]
	v_fma_f64 v[12:13], v[124:125], v[120:121], -v[12:13]
	s_delay_alu instid0(VALU_DEP_2) | instskip(NEXT) | instid1(VALU_DEP_2)
	v_fmac_f64_e32 v[122:123], v[126:127], v[120:121]
	v_add_f64_e32 v[4:5], v[4:5], v[12:13]
	s_delay_alu instid0(VALU_DEP_2)
	v_add_f64_e32 v[2:3], v[2:3], v[122:123]
	s_and_not1_b32 exec_lo, exec_lo, s3
	s_cbranch_execnz .LBB115_29
; %bb.30:
	s_or_b32 exec_lo, exec_lo, s3
	v_mov_b32_e32 v8, 0
	ds_load_b128 v[8:11], v8 offset:64
	s_wait_dscnt 0x0
	v_mul_f64_e32 v[120:121], v[2:3], v[10:11]
	v_mul_f64_e32 v[12:13], v[4:5], v[10:11]
	s_delay_alu instid0(VALU_DEP_2) | instskip(NEXT) | instid1(VALU_DEP_2)
	v_fma_f64 v[10:11], v[4:5], v[8:9], -v[120:121]
	v_fmac_f64_e32 v[12:13], v[2:3], v[8:9]
	scratch_store_b128 off, v[10:13], off offset:64
.LBB115_31:
	s_wait_xcnt 0x0
	s_or_b32 exec_lo, exec_lo, s2
	s_wait_storecnt 0x0
	s_barrier_signal -1
	s_barrier_wait -1
	scratch_load_b128 v[2:5], off, s63
	;; [unrolled: 54-line block ×19, first 2 shown]
	s_mov_b32 s2, exec_lo
	s_wait_loadcnt 0x0
	ds_store_b128 v6, v[2:5]
	s_wait_dscnt 0x0
	s_barrier_signal -1
	s_barrier_wait -1
	v_cmpx_gt_u32_e32 22, v1
	s_cbranch_execz .LBB115_103
; %bb.100:
	v_dual_mov_b32 v10, v14 :: v_dual_add_nc_u32 v8, -1, v1
	v_mov_b64_e32 v[2:3], 0
	v_mov_b64_e32 v[4:5], 0
	v_add_nc_u32_e32 v9, 0x340, v14
	s_delay_alu instid0(VALU_DEP_4)
	v_or_b32_e32 v10, 8, v10
	s_mov_b32 s3, 0
.LBB115_101:                            ; =>This Inner Loop Header: Depth=1
	scratch_load_b128 v[120:123], v10, off offset:-8
	ds_load_b128 v[124:127], v9
	v_dual_add_nc_u32 v8, 1, v8 :: v_dual_add_nc_u32 v9, 16, v9
	s_wait_xcnt 0x0
	v_add_nc_u32_e32 v10, 16, v10
	s_delay_alu instid0(VALU_DEP_2) | instskip(SKIP_4) | instid1(VALU_DEP_2)
	v_cmp_lt_u32_e32 vcc_lo, 20, v8
	s_or_b32 s3, vcc_lo, s3
	s_wait_loadcnt_dscnt 0x0
	v_mul_f64_e32 v[12:13], v[126:127], v[122:123]
	v_mul_f64_e32 v[122:123], v[124:125], v[122:123]
	v_fma_f64 v[12:13], v[124:125], v[120:121], -v[12:13]
	s_delay_alu instid0(VALU_DEP_2) | instskip(NEXT) | instid1(VALU_DEP_2)
	v_fmac_f64_e32 v[122:123], v[126:127], v[120:121]
	v_add_f64_e32 v[4:5], v[4:5], v[12:13]
	s_delay_alu instid0(VALU_DEP_2)
	v_add_f64_e32 v[2:3], v[2:3], v[122:123]
	s_and_not1_b32 exec_lo, exec_lo, s3
	s_cbranch_execnz .LBB115_101
; %bb.102:
	s_or_b32 exec_lo, exec_lo, s3
	v_mov_b32_e32 v8, 0
	ds_load_b128 v[8:11], v8 offset:352
	s_wait_dscnt 0x0
	v_mul_f64_e32 v[120:121], v[2:3], v[10:11]
	v_mul_f64_e32 v[12:13], v[4:5], v[10:11]
	s_delay_alu instid0(VALU_DEP_2) | instskip(NEXT) | instid1(VALU_DEP_2)
	v_fma_f64 v[10:11], v[4:5], v[8:9], -v[120:121]
	v_fmac_f64_e32 v[12:13], v[2:3], v[8:9]
	scratch_store_b128 off, v[10:13], off offset:352
.LBB115_103:
	s_wait_xcnt 0x0
	s_or_b32 exec_lo, exec_lo, s2
	s_wait_storecnt 0x0
	s_barrier_signal -1
	s_barrier_wait -1
	scratch_load_b128 v[2:5], off, s45
	s_mov_b32 s2, exec_lo
	s_wait_loadcnt 0x0
	ds_store_b128 v6, v[2:5]
	s_wait_dscnt 0x0
	s_barrier_signal -1
	s_barrier_wait -1
	v_cmpx_gt_u32_e32 23, v1
	s_cbranch_execz .LBB115_107
; %bb.104:
	v_dual_mov_b32 v10, v14 :: v_dual_add_nc_u32 v8, -1, v1
	v_mov_b64_e32 v[2:3], 0
	v_mov_b64_e32 v[4:5], 0
	v_add_nc_u32_e32 v9, 0x340, v14
	s_delay_alu instid0(VALU_DEP_4)
	v_or_b32_e32 v10, 8, v10
	s_mov_b32 s3, 0
.LBB115_105:                            ; =>This Inner Loop Header: Depth=1
	scratch_load_b128 v[120:123], v10, off offset:-8
	ds_load_b128 v[124:127], v9
	v_dual_add_nc_u32 v8, 1, v8 :: v_dual_add_nc_u32 v9, 16, v9
	s_wait_xcnt 0x0
	v_add_nc_u32_e32 v10, 16, v10
	s_delay_alu instid0(VALU_DEP_2) | instskip(SKIP_4) | instid1(VALU_DEP_2)
	v_cmp_lt_u32_e32 vcc_lo, 21, v8
	s_or_b32 s3, vcc_lo, s3
	s_wait_loadcnt_dscnt 0x0
	v_mul_f64_e32 v[12:13], v[126:127], v[122:123]
	v_mul_f64_e32 v[122:123], v[124:125], v[122:123]
	v_fma_f64 v[12:13], v[124:125], v[120:121], -v[12:13]
	s_delay_alu instid0(VALU_DEP_2) | instskip(NEXT) | instid1(VALU_DEP_2)
	v_fmac_f64_e32 v[122:123], v[126:127], v[120:121]
	v_add_f64_e32 v[4:5], v[4:5], v[12:13]
	s_delay_alu instid0(VALU_DEP_2)
	v_add_f64_e32 v[2:3], v[2:3], v[122:123]
	s_and_not1_b32 exec_lo, exec_lo, s3
	s_cbranch_execnz .LBB115_105
; %bb.106:
	s_or_b32 exec_lo, exec_lo, s3
	v_mov_b32_e32 v8, 0
	ds_load_b128 v[8:11], v8 offset:368
	s_wait_dscnt 0x0
	v_mul_f64_e32 v[120:121], v[2:3], v[10:11]
	v_mul_f64_e32 v[12:13], v[4:5], v[10:11]
	s_delay_alu instid0(VALU_DEP_2) | instskip(NEXT) | instid1(VALU_DEP_2)
	v_fma_f64 v[10:11], v[4:5], v[8:9], -v[120:121]
	v_fmac_f64_e32 v[12:13], v[2:3], v[8:9]
	scratch_store_b128 off, v[10:13], off offset:368
.LBB115_107:
	s_wait_xcnt 0x0
	s_or_b32 exec_lo, exec_lo, s2
	s_wait_storecnt 0x0
	s_barrier_signal -1
	s_barrier_wait -1
	scratch_load_b128 v[2:5], off, s44
	;; [unrolled: 54-line block ×29, first 2 shown]
	s_mov_b32 s2, exec_lo
	s_wait_loadcnt 0x0
	ds_store_b128 v6, v[2:5]
	s_wait_dscnt 0x0
	s_barrier_signal -1
	s_barrier_wait -1
	v_cmpx_ne_u32_e32 51, v1
	s_cbranch_execz .LBB115_219
; %bb.216:
	v_mov_b32_e32 v8, v14
	v_mov_b64_e32 v[2:3], 0
	v_mov_b64_e32 v[4:5], 0
	s_mov_b32 s3, 0
	s_delay_alu instid0(VALU_DEP_3)
	v_or_b32_e32 v8, 8, v8
.LBB115_217:                            ; =>This Inner Loop Header: Depth=1
	scratch_load_b128 v[10:13], v8, off offset:-8
	ds_load_b128 v[120:123], v6
	v_dual_add_nc_u32 v7, 1, v7 :: v_dual_add_nc_u32 v6, 16, v6
	s_wait_xcnt 0x0
	v_add_nc_u32_e32 v8, 16, v8
	s_delay_alu instid0(VALU_DEP_2) | instskip(SKIP_4) | instid1(VALU_DEP_2)
	v_cmp_lt_u32_e32 vcc_lo, 49, v7
	s_or_b32 s3, vcc_lo, s3
	s_wait_loadcnt_dscnt 0x0
	v_mul_f64_e32 v[14:15], v[122:123], v[12:13]
	v_mul_f64_e32 v[12:13], v[120:121], v[12:13]
	v_fma_f64 v[14:15], v[120:121], v[10:11], -v[14:15]
	s_delay_alu instid0(VALU_DEP_2) | instskip(NEXT) | instid1(VALU_DEP_2)
	v_fmac_f64_e32 v[12:13], v[122:123], v[10:11]
	v_add_f64_e32 v[4:5], v[4:5], v[14:15]
	s_delay_alu instid0(VALU_DEP_2)
	v_add_f64_e32 v[2:3], v[2:3], v[12:13]
	s_and_not1_b32 exec_lo, exec_lo, s3
	s_cbranch_execnz .LBB115_217
; %bb.218:
	s_or_b32 exec_lo, exec_lo, s3
	v_mov_b32_e32 v6, 0
	ds_load_b128 v[6:9], v6 offset:816
	s_wait_dscnt 0x0
	v_mul_f64_e32 v[12:13], v[2:3], v[8:9]
	v_mul_f64_e32 v[10:11], v[4:5], v[8:9]
	s_delay_alu instid0(VALU_DEP_2) | instskip(NEXT) | instid1(VALU_DEP_2)
	v_fma_f64 v[8:9], v[4:5], v[6:7], -v[12:13]
	v_fmac_f64_e32 v[10:11], v[2:3], v[6:7]
	scratch_store_b128 off, v[8:11], off offset:816
.LBB115_219:
	s_wait_xcnt 0x0
	s_or_b32 exec_lo, exec_lo, s2
	s_mov_b32 s3, -1
	s_wait_storecnt 0x0
	s_barrier_signal -1
	s_barrier_wait -1
.LBB115_220:
	s_and_b32 vcc_lo, exec_lo, s3
	s_cbranch_vccz .LBB115_222
; %bb.221:
	s_wait_xcnt 0x0
	v_mov_b32_e32 v2, 0
	s_lshl_b64 s[2:3], s[10:11], 2
	s_delay_alu instid0(SALU_CYCLE_1)
	s_add_nc_u64 s[2:3], s[6:7], s[2:3]
	global_load_b32 v2, v2, s[2:3]
	s_wait_loadcnt 0x0
	v_cmp_ne_u32_e32 vcc_lo, 0, v2
	s_cbranch_vccz .LBB115_223
.LBB115_222:
	s_sendmsg sendmsg(MSG_DEALLOC_VGPRS)
	s_endpgm
.LBB115_223:
	v_lshl_add_u32 v120, v1, 4, 0x340
	s_wait_xcnt 0x0
	s_mov_b32 s2, exec_lo
	v_cmpx_eq_u32_e32 51, v1
	s_cbranch_execz .LBB115_225
; %bb.224:
	scratch_load_b128 v[2:5], off, s15
	v_mov_b32_e32 v6, 0
	s_delay_alu instid0(VALU_DEP_1)
	v_dual_mov_b32 v7, v6 :: v_dual_mov_b32 v8, v6
	v_mov_b32_e32 v9, v6
	scratch_store_b128 off, v[6:9], off offset:800
	s_wait_loadcnt 0x0
	ds_store_b128 v120, v[2:5]
.LBB115_225:
	s_wait_xcnt 0x0
	s_or_b32 exec_lo, exec_lo, s2
	s_wait_storecnt_dscnt 0x0
	s_barrier_signal -1
	s_barrier_wait -1
	s_clause 0x1
	scratch_load_b128 v[4:7], off, off offset:816
	scratch_load_b128 v[8:11], off, off offset:800
	v_mov_b32_e32 v2, 0
	s_mov_b32 s2, exec_lo
	ds_load_b128 v[12:15], v2 offset:1648
	s_wait_loadcnt_dscnt 0x100
	v_mul_f64_e32 v[122:123], v[14:15], v[6:7]
	v_mul_f64_e32 v[6:7], v[12:13], v[6:7]
	s_delay_alu instid0(VALU_DEP_2) | instskip(NEXT) | instid1(VALU_DEP_2)
	v_fma_f64 v[12:13], v[12:13], v[4:5], -v[122:123]
	v_fmac_f64_e32 v[6:7], v[14:15], v[4:5]
	s_delay_alu instid0(VALU_DEP_2) | instskip(NEXT) | instid1(VALU_DEP_2)
	v_add_f64_e32 v[4:5], 0, v[12:13]
	v_add_f64_e32 v[6:7], 0, v[6:7]
	s_wait_loadcnt 0x0
	s_delay_alu instid0(VALU_DEP_2) | instskip(NEXT) | instid1(VALU_DEP_2)
	v_add_f64_e64 v[4:5], v[8:9], -v[4:5]
	v_add_f64_e64 v[6:7], v[10:11], -v[6:7]
	scratch_store_b128 off, v[4:7], off offset:800
	s_wait_xcnt 0x0
	v_cmpx_lt_u32_e32 49, v1
	s_cbranch_execz .LBB115_227
; %bb.226:
	scratch_load_b128 v[6:9], off, s17
	v_dual_mov_b32 v3, v2 :: v_dual_mov_b32 v4, v2
	v_mov_b32_e32 v5, v2
	scratch_store_b128 off, v[2:5], off offset:784
	s_wait_loadcnt 0x0
	ds_store_b128 v120, v[6:9]
.LBB115_227:
	s_wait_xcnt 0x0
	s_or_b32 exec_lo, exec_lo, s2
	s_wait_storecnt_dscnt 0x0
	s_barrier_signal -1
	s_barrier_wait -1
	s_clause 0x2
	scratch_load_b128 v[4:7], off, off offset:800
	scratch_load_b128 v[8:11], off, off offset:816
	;; [unrolled: 1-line block ×3, first 2 shown]
	ds_load_b128 v[122:125], v2 offset:1632
	ds_load_b128 v[126:129], v2 offset:1648
	s_mov_b32 s2, exec_lo
	s_wait_loadcnt_dscnt 0x201
	v_mul_f64_e32 v[2:3], v[124:125], v[6:7]
	v_mul_f64_e32 v[6:7], v[122:123], v[6:7]
	s_wait_loadcnt_dscnt 0x100
	v_mul_f64_e32 v[130:131], v[126:127], v[10:11]
	v_mul_f64_e32 v[10:11], v[128:129], v[10:11]
	s_delay_alu instid0(VALU_DEP_4) | instskip(NEXT) | instid1(VALU_DEP_4)
	v_fma_f64 v[2:3], v[122:123], v[4:5], -v[2:3]
	v_fmac_f64_e32 v[6:7], v[124:125], v[4:5]
	s_delay_alu instid0(VALU_DEP_4) | instskip(NEXT) | instid1(VALU_DEP_4)
	v_fmac_f64_e32 v[130:131], v[128:129], v[8:9]
	v_fma_f64 v[4:5], v[126:127], v[8:9], -v[10:11]
	s_delay_alu instid0(VALU_DEP_4) | instskip(NEXT) | instid1(VALU_DEP_4)
	v_add_f64_e32 v[2:3], 0, v[2:3]
	v_add_f64_e32 v[6:7], 0, v[6:7]
	s_delay_alu instid0(VALU_DEP_2) | instskip(NEXT) | instid1(VALU_DEP_2)
	v_add_f64_e32 v[2:3], v[2:3], v[4:5]
	v_add_f64_e32 v[4:5], v[6:7], v[130:131]
	s_wait_loadcnt 0x0
	s_delay_alu instid0(VALU_DEP_2) | instskip(NEXT) | instid1(VALU_DEP_2)
	v_add_f64_e64 v[2:3], v[12:13], -v[2:3]
	v_add_f64_e64 v[4:5], v[14:15], -v[4:5]
	scratch_store_b128 off, v[2:5], off offset:784
	s_wait_xcnt 0x0
	v_cmpx_lt_u32_e32 48, v1
	s_cbranch_execz .LBB115_229
; %bb.228:
	scratch_load_b128 v[2:5], off, s19
	v_mov_b32_e32 v6, 0
	s_delay_alu instid0(VALU_DEP_1)
	v_dual_mov_b32 v7, v6 :: v_dual_mov_b32 v8, v6
	v_mov_b32_e32 v9, v6
	scratch_store_b128 off, v[6:9], off offset:768
	s_wait_loadcnt 0x0
	ds_store_b128 v120, v[2:5]
.LBB115_229:
	s_wait_xcnt 0x0
	s_or_b32 exec_lo, exec_lo, s2
	s_wait_storecnt_dscnt 0x0
	s_barrier_signal -1
	s_barrier_wait -1
	s_clause 0x3
	scratch_load_b128 v[4:7], off, off offset:784
	scratch_load_b128 v[8:11], off, off offset:800
	;; [unrolled: 1-line block ×4, first 2 shown]
	v_mov_b32_e32 v2, 0
	ds_load_b128 v[126:129], v2 offset:1616
	ds_load_b128 v[130:133], v2 offset:1632
	s_mov_b32 s2, exec_lo
	s_wait_loadcnt_dscnt 0x301
	v_mul_f64_e32 v[134:135], v[128:129], v[6:7]
	v_mul_f64_e32 v[136:137], v[126:127], v[6:7]
	s_wait_loadcnt_dscnt 0x200
	v_mul_f64_e32 v[138:139], v[130:131], v[10:11]
	v_mul_f64_e32 v[10:11], v[132:133], v[10:11]
	s_delay_alu instid0(VALU_DEP_4) | instskip(NEXT) | instid1(VALU_DEP_4)
	v_fma_f64 v[126:127], v[126:127], v[4:5], -v[134:135]
	v_fmac_f64_e32 v[136:137], v[128:129], v[4:5]
	ds_load_b128 v[4:7], v2 offset:1648
	v_fmac_f64_e32 v[138:139], v[132:133], v[8:9]
	v_fma_f64 v[8:9], v[130:131], v[8:9], -v[10:11]
	s_wait_loadcnt_dscnt 0x100
	v_mul_f64_e32 v[128:129], v[4:5], v[14:15]
	v_mul_f64_e32 v[14:15], v[6:7], v[14:15]
	v_add_f64_e32 v[10:11], 0, v[126:127]
	v_add_f64_e32 v[126:127], 0, v[136:137]
	s_delay_alu instid0(VALU_DEP_4) | instskip(NEXT) | instid1(VALU_DEP_4)
	v_fmac_f64_e32 v[128:129], v[6:7], v[12:13]
	v_fma_f64 v[4:5], v[4:5], v[12:13], -v[14:15]
	s_delay_alu instid0(VALU_DEP_4) | instskip(NEXT) | instid1(VALU_DEP_4)
	v_add_f64_e32 v[6:7], v[10:11], v[8:9]
	v_add_f64_e32 v[8:9], v[126:127], v[138:139]
	s_delay_alu instid0(VALU_DEP_2) | instskip(NEXT) | instid1(VALU_DEP_2)
	v_add_f64_e32 v[4:5], v[6:7], v[4:5]
	v_add_f64_e32 v[6:7], v[8:9], v[128:129]
	s_wait_loadcnt 0x0
	s_delay_alu instid0(VALU_DEP_2) | instskip(NEXT) | instid1(VALU_DEP_2)
	v_add_f64_e64 v[4:5], v[122:123], -v[4:5]
	v_add_f64_e64 v[6:7], v[124:125], -v[6:7]
	scratch_store_b128 off, v[4:7], off offset:768
	s_wait_xcnt 0x0
	v_cmpx_lt_u32_e32 47, v1
	s_cbranch_execz .LBB115_231
; %bb.230:
	scratch_load_b128 v[6:9], off, s20
	v_dual_mov_b32 v3, v2 :: v_dual_mov_b32 v4, v2
	v_mov_b32_e32 v5, v2
	scratch_store_b128 off, v[2:5], off offset:752
	s_wait_loadcnt 0x0
	ds_store_b128 v120, v[6:9]
.LBB115_231:
	s_wait_xcnt 0x0
	s_or_b32 exec_lo, exec_lo, s2
	s_wait_storecnt_dscnt 0x0
	s_barrier_signal -1
	s_barrier_wait -1
	s_clause 0x4
	scratch_load_b128 v[4:7], off, off offset:768
	scratch_load_b128 v[8:11], off, off offset:784
	;; [unrolled: 1-line block ×5, first 2 shown]
	ds_load_b128 v[130:133], v2 offset:1600
	ds_load_b128 v[134:137], v2 offset:1616
	s_mov_b32 s2, exec_lo
	s_wait_loadcnt_dscnt 0x401
	v_mul_f64_e32 v[138:139], v[132:133], v[6:7]
	v_mul_f64_e32 v[140:141], v[130:131], v[6:7]
	s_wait_loadcnt_dscnt 0x300
	v_mul_f64_e32 v[142:143], v[134:135], v[10:11]
	v_mul_f64_e32 v[10:11], v[136:137], v[10:11]
	s_delay_alu instid0(VALU_DEP_4) | instskip(NEXT) | instid1(VALU_DEP_4)
	v_fma_f64 v[138:139], v[130:131], v[4:5], -v[138:139]
	v_fmac_f64_e32 v[140:141], v[132:133], v[4:5]
	ds_load_b128 v[4:7], v2 offset:1632
	ds_load_b128 v[130:133], v2 offset:1648
	v_fmac_f64_e32 v[142:143], v[136:137], v[8:9]
	v_fma_f64 v[8:9], v[134:135], v[8:9], -v[10:11]
	s_wait_loadcnt_dscnt 0x201
	v_mul_f64_e32 v[2:3], v[4:5], v[14:15]
	v_mul_f64_e32 v[14:15], v[6:7], v[14:15]
	s_wait_loadcnt_dscnt 0x100
	v_mul_f64_e32 v[136:137], v[130:131], v[124:125]
	v_mul_f64_e32 v[124:125], v[132:133], v[124:125]
	v_add_f64_e32 v[10:11], 0, v[138:139]
	v_add_f64_e32 v[134:135], 0, v[140:141]
	v_fmac_f64_e32 v[2:3], v[6:7], v[12:13]
	v_fma_f64 v[4:5], v[4:5], v[12:13], -v[14:15]
	v_fmac_f64_e32 v[136:137], v[132:133], v[122:123]
	v_add_f64_e32 v[6:7], v[10:11], v[8:9]
	v_add_f64_e32 v[8:9], v[134:135], v[142:143]
	v_fma_f64 v[10:11], v[130:131], v[122:123], -v[124:125]
	s_delay_alu instid0(VALU_DEP_3) | instskip(NEXT) | instid1(VALU_DEP_3)
	v_add_f64_e32 v[4:5], v[6:7], v[4:5]
	v_add_f64_e32 v[2:3], v[8:9], v[2:3]
	s_delay_alu instid0(VALU_DEP_2) | instskip(NEXT) | instid1(VALU_DEP_2)
	v_add_f64_e32 v[4:5], v[4:5], v[10:11]
	v_add_f64_e32 v[6:7], v[2:3], v[136:137]
	s_wait_loadcnt 0x0
	s_delay_alu instid0(VALU_DEP_2) | instskip(NEXT) | instid1(VALU_DEP_2)
	v_add_f64_e64 v[2:3], v[126:127], -v[4:5]
	v_add_f64_e64 v[4:5], v[128:129], -v[6:7]
	scratch_store_b128 off, v[2:5], off offset:752
	s_wait_xcnt 0x0
	v_cmpx_lt_u32_e32 46, v1
	s_cbranch_execz .LBB115_233
; %bb.232:
	scratch_load_b128 v[2:5], off, s21
	v_mov_b32_e32 v6, 0
	s_delay_alu instid0(VALU_DEP_1)
	v_dual_mov_b32 v7, v6 :: v_dual_mov_b32 v8, v6
	v_mov_b32_e32 v9, v6
	scratch_store_b128 off, v[6:9], off offset:736
	s_wait_loadcnt 0x0
	ds_store_b128 v120, v[2:5]
.LBB115_233:
	s_wait_xcnt 0x0
	s_or_b32 exec_lo, exec_lo, s2
	s_wait_storecnt_dscnt 0x0
	s_barrier_signal -1
	s_barrier_wait -1
	s_clause 0x5
	scratch_load_b128 v[4:7], off, off offset:752
	scratch_load_b128 v[8:11], off, off offset:768
	;; [unrolled: 1-line block ×6, first 2 shown]
	v_mov_b32_e32 v2, 0
	ds_load_b128 v[134:137], v2 offset:1584
	ds_load_b128 v[138:141], v2 offset:1600
	s_mov_b32 s2, exec_lo
	s_wait_loadcnt_dscnt 0x501
	v_mul_f64_e32 v[142:143], v[136:137], v[6:7]
	v_mul_f64_e32 v[144:145], v[134:135], v[6:7]
	s_wait_loadcnt_dscnt 0x400
	v_mul_f64_e32 v[146:147], v[138:139], v[10:11]
	v_mul_f64_e32 v[10:11], v[140:141], v[10:11]
	s_delay_alu instid0(VALU_DEP_4) | instskip(NEXT) | instid1(VALU_DEP_4)
	v_fma_f64 v[142:143], v[134:135], v[4:5], -v[142:143]
	v_fmac_f64_e32 v[144:145], v[136:137], v[4:5]
	ds_load_b128 v[4:7], v2 offset:1616
	ds_load_b128 v[134:137], v2 offset:1632
	v_fmac_f64_e32 v[146:147], v[140:141], v[8:9]
	v_fma_f64 v[8:9], v[138:139], v[8:9], -v[10:11]
	s_wait_loadcnt_dscnt 0x301
	v_mul_f64_e32 v[148:149], v[4:5], v[14:15]
	v_mul_f64_e32 v[14:15], v[6:7], v[14:15]
	s_wait_loadcnt_dscnt 0x200
	v_mul_f64_e32 v[140:141], v[134:135], v[124:125]
	v_mul_f64_e32 v[124:125], v[136:137], v[124:125]
	v_add_f64_e32 v[10:11], 0, v[142:143]
	v_add_f64_e32 v[138:139], 0, v[144:145]
	v_fmac_f64_e32 v[148:149], v[6:7], v[12:13]
	v_fma_f64 v[12:13], v[4:5], v[12:13], -v[14:15]
	ds_load_b128 v[4:7], v2 offset:1648
	v_fmac_f64_e32 v[140:141], v[136:137], v[122:123]
	v_fma_f64 v[122:123], v[134:135], v[122:123], -v[124:125]
	v_add_f64_e32 v[8:9], v[10:11], v[8:9]
	v_add_f64_e32 v[10:11], v[138:139], v[146:147]
	s_wait_loadcnt_dscnt 0x100
	v_mul_f64_e32 v[14:15], v[4:5], v[128:129]
	v_mul_f64_e32 v[128:129], v[6:7], v[128:129]
	s_delay_alu instid0(VALU_DEP_4) | instskip(NEXT) | instid1(VALU_DEP_4)
	v_add_f64_e32 v[8:9], v[8:9], v[12:13]
	v_add_f64_e32 v[10:11], v[10:11], v[148:149]
	s_delay_alu instid0(VALU_DEP_4) | instskip(NEXT) | instid1(VALU_DEP_4)
	v_fmac_f64_e32 v[14:15], v[6:7], v[126:127]
	v_fma_f64 v[4:5], v[4:5], v[126:127], -v[128:129]
	s_delay_alu instid0(VALU_DEP_4) | instskip(NEXT) | instid1(VALU_DEP_4)
	v_add_f64_e32 v[6:7], v[8:9], v[122:123]
	v_add_f64_e32 v[8:9], v[10:11], v[140:141]
	s_delay_alu instid0(VALU_DEP_2) | instskip(NEXT) | instid1(VALU_DEP_2)
	v_add_f64_e32 v[4:5], v[6:7], v[4:5]
	v_add_f64_e32 v[6:7], v[8:9], v[14:15]
	s_wait_loadcnt 0x0
	s_delay_alu instid0(VALU_DEP_2) | instskip(NEXT) | instid1(VALU_DEP_2)
	v_add_f64_e64 v[4:5], v[130:131], -v[4:5]
	v_add_f64_e64 v[6:7], v[132:133], -v[6:7]
	scratch_store_b128 off, v[4:7], off offset:736
	s_wait_xcnt 0x0
	v_cmpx_lt_u32_e32 45, v1
	s_cbranch_execz .LBB115_235
; %bb.234:
	scratch_load_b128 v[6:9], off, s22
	v_dual_mov_b32 v3, v2 :: v_dual_mov_b32 v4, v2
	v_mov_b32_e32 v5, v2
	scratch_store_b128 off, v[2:5], off offset:720
	s_wait_loadcnt 0x0
	ds_store_b128 v120, v[6:9]
.LBB115_235:
	s_wait_xcnt 0x0
	s_or_b32 exec_lo, exec_lo, s2
	s_wait_storecnt_dscnt 0x0
	s_barrier_signal -1
	s_barrier_wait -1
	s_clause 0x6
	scratch_load_b128 v[4:7], off, off offset:736
	scratch_load_b128 v[8:11], off, off offset:752
	;; [unrolled: 1-line block ×7, first 2 shown]
	ds_load_b128 v[138:141], v2 offset:1568
	ds_load_b128 v[142:145], v2 offset:1584
	s_mov_b32 s2, exec_lo
	s_wait_loadcnt_dscnt 0x601
	v_mul_f64_e32 v[146:147], v[140:141], v[6:7]
	v_mul_f64_e32 v[148:149], v[138:139], v[6:7]
	s_wait_loadcnt_dscnt 0x500
	v_mul_f64_e32 v[150:151], v[142:143], v[10:11]
	v_mul_f64_e32 v[10:11], v[144:145], v[10:11]
	s_delay_alu instid0(VALU_DEP_4) | instskip(NEXT) | instid1(VALU_DEP_4)
	v_fma_f64 v[146:147], v[138:139], v[4:5], -v[146:147]
	v_fmac_f64_e32 v[148:149], v[140:141], v[4:5]
	ds_load_b128 v[4:7], v2 offset:1600
	ds_load_b128 v[138:141], v2 offset:1616
	v_fmac_f64_e32 v[150:151], v[144:145], v[8:9]
	v_fma_f64 v[8:9], v[142:143], v[8:9], -v[10:11]
	s_wait_loadcnt_dscnt 0x401
	v_mul_f64_e32 v[152:153], v[4:5], v[14:15]
	v_mul_f64_e32 v[14:15], v[6:7], v[14:15]
	s_wait_loadcnt_dscnt 0x300
	v_mul_f64_e32 v[144:145], v[138:139], v[124:125]
	v_mul_f64_e32 v[124:125], v[140:141], v[124:125]
	v_add_f64_e32 v[10:11], 0, v[146:147]
	v_add_f64_e32 v[142:143], 0, v[148:149]
	v_fmac_f64_e32 v[152:153], v[6:7], v[12:13]
	v_fma_f64 v[12:13], v[4:5], v[12:13], -v[14:15]
	v_fmac_f64_e32 v[144:145], v[140:141], v[122:123]
	v_fma_f64 v[122:123], v[138:139], v[122:123], -v[124:125]
	v_add_f64_e32 v[14:15], v[10:11], v[8:9]
	v_add_f64_e32 v[142:143], v[142:143], v[150:151]
	ds_load_b128 v[4:7], v2 offset:1632
	ds_load_b128 v[8:11], v2 offset:1648
	s_wait_loadcnt_dscnt 0x201
	v_mul_f64_e32 v[2:3], v[4:5], v[128:129]
	v_mul_f64_e32 v[128:129], v[6:7], v[128:129]
	s_wait_loadcnt_dscnt 0x100
	v_mul_f64_e32 v[124:125], v[8:9], v[132:133]
	v_mul_f64_e32 v[132:133], v[10:11], v[132:133]
	v_add_f64_e32 v[12:13], v[14:15], v[12:13]
	v_add_f64_e32 v[14:15], v[142:143], v[152:153]
	v_fmac_f64_e32 v[2:3], v[6:7], v[126:127]
	v_fma_f64 v[4:5], v[4:5], v[126:127], -v[128:129]
	v_fmac_f64_e32 v[124:125], v[10:11], v[130:131]
	v_fma_f64 v[8:9], v[8:9], v[130:131], -v[132:133]
	v_add_f64_e32 v[6:7], v[12:13], v[122:123]
	v_add_f64_e32 v[12:13], v[14:15], v[144:145]
	s_delay_alu instid0(VALU_DEP_2) | instskip(NEXT) | instid1(VALU_DEP_2)
	v_add_f64_e32 v[4:5], v[6:7], v[4:5]
	v_add_f64_e32 v[2:3], v[12:13], v[2:3]
	s_delay_alu instid0(VALU_DEP_2) | instskip(NEXT) | instid1(VALU_DEP_2)
	v_add_f64_e32 v[4:5], v[4:5], v[8:9]
	v_add_f64_e32 v[6:7], v[2:3], v[124:125]
	s_wait_loadcnt 0x0
	s_delay_alu instid0(VALU_DEP_2) | instskip(NEXT) | instid1(VALU_DEP_2)
	v_add_f64_e64 v[2:3], v[134:135], -v[4:5]
	v_add_f64_e64 v[4:5], v[136:137], -v[6:7]
	scratch_store_b128 off, v[2:5], off offset:720
	s_wait_xcnt 0x0
	v_cmpx_lt_u32_e32 44, v1
	s_cbranch_execz .LBB115_237
; %bb.236:
	scratch_load_b128 v[2:5], off, s23
	v_mov_b32_e32 v6, 0
	s_delay_alu instid0(VALU_DEP_1)
	v_dual_mov_b32 v7, v6 :: v_dual_mov_b32 v8, v6
	v_mov_b32_e32 v9, v6
	scratch_store_b128 off, v[6:9], off offset:704
	s_wait_loadcnt 0x0
	ds_store_b128 v120, v[2:5]
.LBB115_237:
	s_wait_xcnt 0x0
	s_or_b32 exec_lo, exec_lo, s2
	s_wait_storecnt_dscnt 0x0
	s_barrier_signal -1
	s_barrier_wait -1
	s_clause 0x7
	scratch_load_b128 v[4:7], off, off offset:720
	scratch_load_b128 v[8:11], off, off offset:736
	;; [unrolled: 1-line block ×8, first 2 shown]
	v_mov_b32_e32 v2, 0
	ds_load_b128 v[142:145], v2 offset:1552
	ds_load_b128 v[146:149], v2 offset:1568
	s_mov_b32 s2, exec_lo
	s_wait_loadcnt_dscnt 0x701
	v_mul_f64_e32 v[150:151], v[144:145], v[6:7]
	v_mul_f64_e32 v[152:153], v[142:143], v[6:7]
	s_wait_loadcnt_dscnt 0x600
	v_mul_f64_e32 v[154:155], v[146:147], v[10:11]
	v_mul_f64_e32 v[10:11], v[148:149], v[10:11]
	s_delay_alu instid0(VALU_DEP_4) | instskip(NEXT) | instid1(VALU_DEP_4)
	v_fma_f64 v[150:151], v[142:143], v[4:5], -v[150:151]
	v_fmac_f64_e32 v[152:153], v[144:145], v[4:5]
	ds_load_b128 v[4:7], v2 offset:1584
	ds_load_b128 v[142:145], v2 offset:1600
	v_fmac_f64_e32 v[154:155], v[148:149], v[8:9]
	v_fma_f64 v[8:9], v[146:147], v[8:9], -v[10:11]
	s_wait_loadcnt_dscnt 0x501
	v_mul_f64_e32 v[156:157], v[4:5], v[14:15]
	v_mul_f64_e32 v[14:15], v[6:7], v[14:15]
	s_wait_loadcnt_dscnt 0x400
	v_mul_f64_e32 v[148:149], v[142:143], v[124:125]
	v_mul_f64_e32 v[124:125], v[144:145], v[124:125]
	v_add_f64_e32 v[10:11], 0, v[150:151]
	v_add_f64_e32 v[146:147], 0, v[152:153]
	v_fmac_f64_e32 v[156:157], v[6:7], v[12:13]
	v_fma_f64 v[12:13], v[4:5], v[12:13], -v[14:15]
	v_fmac_f64_e32 v[148:149], v[144:145], v[122:123]
	v_fma_f64 v[122:123], v[142:143], v[122:123], -v[124:125]
	v_add_f64_e32 v[14:15], v[10:11], v[8:9]
	v_add_f64_e32 v[146:147], v[146:147], v[154:155]
	ds_load_b128 v[4:7], v2 offset:1616
	ds_load_b128 v[8:11], v2 offset:1632
	s_wait_loadcnt_dscnt 0x301
	v_mul_f64_e32 v[150:151], v[4:5], v[128:129]
	v_mul_f64_e32 v[128:129], v[6:7], v[128:129]
	s_wait_loadcnt_dscnt 0x200
	v_mul_f64_e32 v[124:125], v[8:9], v[132:133]
	v_mul_f64_e32 v[132:133], v[10:11], v[132:133]
	v_add_f64_e32 v[12:13], v[14:15], v[12:13]
	v_add_f64_e32 v[14:15], v[146:147], v[156:157]
	v_fmac_f64_e32 v[150:151], v[6:7], v[126:127]
	v_fma_f64 v[126:127], v[4:5], v[126:127], -v[128:129]
	ds_load_b128 v[4:7], v2 offset:1648
	v_fmac_f64_e32 v[124:125], v[10:11], v[130:131]
	v_fma_f64 v[8:9], v[8:9], v[130:131], -v[132:133]
	v_add_f64_e32 v[12:13], v[12:13], v[122:123]
	v_add_f64_e32 v[14:15], v[14:15], v[148:149]
	s_wait_loadcnt_dscnt 0x100
	v_mul_f64_e32 v[122:123], v[4:5], v[136:137]
	v_mul_f64_e32 v[128:129], v[6:7], v[136:137]
	s_delay_alu instid0(VALU_DEP_4) | instskip(NEXT) | instid1(VALU_DEP_4)
	v_add_f64_e32 v[10:11], v[12:13], v[126:127]
	v_add_f64_e32 v[12:13], v[14:15], v[150:151]
	s_delay_alu instid0(VALU_DEP_4) | instskip(NEXT) | instid1(VALU_DEP_4)
	v_fmac_f64_e32 v[122:123], v[6:7], v[134:135]
	v_fma_f64 v[4:5], v[4:5], v[134:135], -v[128:129]
	s_delay_alu instid0(VALU_DEP_4) | instskip(NEXT) | instid1(VALU_DEP_4)
	v_add_f64_e32 v[6:7], v[10:11], v[8:9]
	v_add_f64_e32 v[8:9], v[12:13], v[124:125]
	s_delay_alu instid0(VALU_DEP_2) | instskip(NEXT) | instid1(VALU_DEP_2)
	v_add_f64_e32 v[4:5], v[6:7], v[4:5]
	v_add_f64_e32 v[6:7], v[8:9], v[122:123]
	s_wait_loadcnt 0x0
	s_delay_alu instid0(VALU_DEP_2) | instskip(NEXT) | instid1(VALU_DEP_2)
	v_add_f64_e64 v[4:5], v[138:139], -v[4:5]
	v_add_f64_e64 v[6:7], v[140:141], -v[6:7]
	scratch_store_b128 off, v[4:7], off offset:704
	s_wait_xcnt 0x0
	v_cmpx_lt_u32_e32 43, v1
	s_cbranch_execz .LBB115_239
; %bb.238:
	scratch_load_b128 v[6:9], off, s24
	v_dual_mov_b32 v3, v2 :: v_dual_mov_b32 v4, v2
	v_mov_b32_e32 v5, v2
	scratch_store_b128 off, v[2:5], off offset:688
	s_wait_loadcnt 0x0
	ds_store_b128 v120, v[6:9]
.LBB115_239:
	s_wait_xcnt 0x0
	s_or_b32 exec_lo, exec_lo, s2
	s_wait_storecnt_dscnt 0x0
	s_barrier_signal -1
	s_barrier_wait -1
	s_clause 0x7
	scratch_load_b128 v[4:7], off, off offset:704
	scratch_load_b128 v[8:11], off, off offset:720
	;; [unrolled: 1-line block ×8, first 2 shown]
	ds_load_b128 v[142:145], v2 offset:1536
	ds_load_b128 v[146:149], v2 offset:1552
	scratch_load_b128 v[150:153], off, off offset:688
	s_mov_b32 s2, exec_lo
	s_wait_loadcnt_dscnt 0x801
	v_mul_f64_e32 v[154:155], v[144:145], v[6:7]
	v_mul_f64_e32 v[156:157], v[142:143], v[6:7]
	s_wait_loadcnt_dscnt 0x700
	v_mul_f64_e32 v[158:159], v[146:147], v[10:11]
	v_mul_f64_e32 v[10:11], v[148:149], v[10:11]
	s_delay_alu instid0(VALU_DEP_4) | instskip(NEXT) | instid1(VALU_DEP_4)
	v_fma_f64 v[154:155], v[142:143], v[4:5], -v[154:155]
	v_fmac_f64_e32 v[156:157], v[144:145], v[4:5]
	ds_load_b128 v[4:7], v2 offset:1568
	ds_load_b128 v[142:145], v2 offset:1584
	v_fmac_f64_e32 v[158:159], v[148:149], v[8:9]
	v_fma_f64 v[8:9], v[146:147], v[8:9], -v[10:11]
	s_wait_loadcnt_dscnt 0x601
	v_mul_f64_e32 v[160:161], v[4:5], v[14:15]
	v_mul_f64_e32 v[14:15], v[6:7], v[14:15]
	s_wait_loadcnt_dscnt 0x500
	v_mul_f64_e32 v[148:149], v[142:143], v[124:125]
	v_mul_f64_e32 v[124:125], v[144:145], v[124:125]
	v_add_f64_e32 v[10:11], 0, v[154:155]
	v_add_f64_e32 v[146:147], 0, v[156:157]
	v_fmac_f64_e32 v[160:161], v[6:7], v[12:13]
	v_fma_f64 v[12:13], v[4:5], v[12:13], -v[14:15]
	v_fmac_f64_e32 v[148:149], v[144:145], v[122:123]
	v_fma_f64 v[122:123], v[142:143], v[122:123], -v[124:125]
	v_add_f64_e32 v[14:15], v[10:11], v[8:9]
	v_add_f64_e32 v[146:147], v[146:147], v[158:159]
	ds_load_b128 v[4:7], v2 offset:1600
	ds_load_b128 v[8:11], v2 offset:1616
	s_wait_loadcnt_dscnt 0x401
	v_mul_f64_e32 v[154:155], v[4:5], v[128:129]
	v_mul_f64_e32 v[128:129], v[6:7], v[128:129]
	s_wait_loadcnt_dscnt 0x300
	v_mul_f64_e32 v[124:125], v[8:9], v[132:133]
	v_mul_f64_e32 v[132:133], v[10:11], v[132:133]
	v_add_f64_e32 v[12:13], v[14:15], v[12:13]
	v_add_f64_e32 v[14:15], v[146:147], v[160:161]
	v_fmac_f64_e32 v[154:155], v[6:7], v[126:127]
	v_fma_f64 v[126:127], v[4:5], v[126:127], -v[128:129]
	v_fmac_f64_e32 v[124:125], v[10:11], v[130:131]
	v_fma_f64 v[8:9], v[8:9], v[130:131], -v[132:133]
	v_add_f64_e32 v[122:123], v[12:13], v[122:123]
	v_add_f64_e32 v[128:129], v[14:15], v[148:149]
	ds_load_b128 v[4:7], v2 offset:1632
	ds_load_b128 v[12:15], v2 offset:1648
	s_wait_loadcnt_dscnt 0x201
	v_mul_f64_e32 v[2:3], v[4:5], v[136:137]
	v_mul_f64_e32 v[136:137], v[6:7], v[136:137]
	v_add_f64_e32 v[10:11], v[122:123], v[126:127]
	v_add_f64_e32 v[122:123], v[128:129], v[154:155]
	s_wait_loadcnt_dscnt 0x100
	v_mul_f64_e32 v[126:127], v[12:13], v[140:141]
	v_mul_f64_e32 v[128:129], v[14:15], v[140:141]
	v_fmac_f64_e32 v[2:3], v[6:7], v[134:135]
	v_fma_f64 v[4:5], v[4:5], v[134:135], -v[136:137]
	v_add_f64_e32 v[6:7], v[10:11], v[8:9]
	v_add_f64_e32 v[8:9], v[122:123], v[124:125]
	v_fmac_f64_e32 v[126:127], v[14:15], v[138:139]
	v_fma_f64 v[10:11], v[12:13], v[138:139], -v[128:129]
	s_delay_alu instid0(VALU_DEP_4) | instskip(NEXT) | instid1(VALU_DEP_4)
	v_add_f64_e32 v[4:5], v[6:7], v[4:5]
	v_add_f64_e32 v[2:3], v[8:9], v[2:3]
	s_delay_alu instid0(VALU_DEP_2) | instskip(NEXT) | instid1(VALU_DEP_2)
	v_add_f64_e32 v[4:5], v[4:5], v[10:11]
	v_add_f64_e32 v[6:7], v[2:3], v[126:127]
	s_wait_loadcnt 0x0
	s_delay_alu instid0(VALU_DEP_2) | instskip(NEXT) | instid1(VALU_DEP_2)
	v_add_f64_e64 v[2:3], v[150:151], -v[4:5]
	v_add_f64_e64 v[4:5], v[152:153], -v[6:7]
	scratch_store_b128 off, v[2:5], off offset:688
	s_wait_xcnt 0x0
	v_cmpx_lt_u32_e32 42, v1
	s_cbranch_execz .LBB115_241
; %bb.240:
	scratch_load_b128 v[2:5], off, s25
	v_mov_b32_e32 v6, 0
	s_delay_alu instid0(VALU_DEP_1)
	v_dual_mov_b32 v7, v6 :: v_dual_mov_b32 v8, v6
	v_mov_b32_e32 v9, v6
	scratch_store_b128 off, v[6:9], off offset:672
	s_wait_loadcnt 0x0
	ds_store_b128 v120, v[2:5]
.LBB115_241:
	s_wait_xcnt 0x0
	s_or_b32 exec_lo, exec_lo, s2
	s_wait_storecnt_dscnt 0x0
	s_barrier_signal -1
	s_barrier_wait -1
	s_clause 0x8
	scratch_load_b128 v[4:7], off, off offset:688
	scratch_load_b128 v[8:11], off, off offset:704
	;; [unrolled: 1-line block ×9, first 2 shown]
	v_mov_b32_e32 v2, 0
	scratch_load_b128 v[150:153], off, off offset:672
	s_mov_b32 s2, exec_lo
	ds_load_b128 v[146:149], v2 offset:1520
	ds_load_b128 v[154:157], v2 offset:1536
	s_wait_loadcnt_dscnt 0x901
	v_mul_f64_e32 v[158:159], v[148:149], v[6:7]
	v_mul_f64_e32 v[160:161], v[146:147], v[6:7]
	s_wait_loadcnt_dscnt 0x800
	v_mul_f64_e32 v[162:163], v[154:155], v[10:11]
	v_mul_f64_e32 v[10:11], v[156:157], v[10:11]
	s_delay_alu instid0(VALU_DEP_4) | instskip(NEXT) | instid1(VALU_DEP_4)
	v_fma_f64 v[158:159], v[146:147], v[4:5], -v[158:159]
	v_fmac_f64_e32 v[160:161], v[148:149], v[4:5]
	ds_load_b128 v[4:7], v2 offset:1552
	ds_load_b128 v[146:149], v2 offset:1568
	v_fmac_f64_e32 v[162:163], v[156:157], v[8:9]
	v_fma_f64 v[8:9], v[154:155], v[8:9], -v[10:11]
	s_wait_loadcnt_dscnt 0x701
	v_mul_f64_e32 v[164:165], v[4:5], v[14:15]
	v_mul_f64_e32 v[14:15], v[6:7], v[14:15]
	s_wait_loadcnt_dscnt 0x600
	v_mul_f64_e32 v[156:157], v[146:147], v[124:125]
	v_mul_f64_e32 v[124:125], v[148:149], v[124:125]
	v_add_f64_e32 v[10:11], 0, v[158:159]
	v_add_f64_e32 v[154:155], 0, v[160:161]
	v_fmac_f64_e32 v[164:165], v[6:7], v[12:13]
	v_fma_f64 v[12:13], v[4:5], v[12:13], -v[14:15]
	v_fmac_f64_e32 v[156:157], v[148:149], v[122:123]
	v_fma_f64 v[122:123], v[146:147], v[122:123], -v[124:125]
	v_add_f64_e32 v[14:15], v[10:11], v[8:9]
	v_add_f64_e32 v[154:155], v[154:155], v[162:163]
	ds_load_b128 v[4:7], v2 offset:1584
	ds_load_b128 v[8:11], v2 offset:1600
	s_wait_loadcnt_dscnt 0x501
	v_mul_f64_e32 v[158:159], v[4:5], v[128:129]
	v_mul_f64_e32 v[128:129], v[6:7], v[128:129]
	s_wait_loadcnt_dscnt 0x400
	v_mul_f64_e32 v[124:125], v[8:9], v[132:133]
	v_mul_f64_e32 v[132:133], v[10:11], v[132:133]
	v_add_f64_e32 v[12:13], v[14:15], v[12:13]
	v_add_f64_e32 v[14:15], v[154:155], v[164:165]
	v_fmac_f64_e32 v[158:159], v[6:7], v[126:127]
	v_fma_f64 v[126:127], v[4:5], v[126:127], -v[128:129]
	v_fmac_f64_e32 v[124:125], v[10:11], v[130:131]
	v_fma_f64 v[8:9], v[8:9], v[130:131], -v[132:133]
	v_add_f64_e32 v[122:123], v[12:13], v[122:123]
	v_add_f64_e32 v[128:129], v[14:15], v[156:157]
	ds_load_b128 v[4:7], v2 offset:1616
	ds_load_b128 v[12:15], v2 offset:1632
	s_wait_loadcnt_dscnt 0x301
	v_mul_f64_e32 v[146:147], v[4:5], v[136:137]
	v_mul_f64_e32 v[136:137], v[6:7], v[136:137]
	v_add_f64_e32 v[10:11], v[122:123], v[126:127]
	v_add_f64_e32 v[122:123], v[128:129], v[158:159]
	s_wait_loadcnt_dscnt 0x200
	v_mul_f64_e32 v[126:127], v[12:13], v[140:141]
	v_mul_f64_e32 v[128:129], v[14:15], v[140:141]
	v_fmac_f64_e32 v[146:147], v[6:7], v[134:135]
	v_fma_f64 v[130:131], v[4:5], v[134:135], -v[136:137]
	ds_load_b128 v[4:7], v2 offset:1648
	v_add_f64_e32 v[8:9], v[10:11], v[8:9]
	v_add_f64_e32 v[10:11], v[122:123], v[124:125]
	v_fmac_f64_e32 v[126:127], v[14:15], v[138:139]
	v_fma_f64 v[12:13], v[12:13], v[138:139], -v[128:129]
	s_wait_loadcnt_dscnt 0x100
	v_mul_f64_e32 v[122:123], v[4:5], v[144:145]
	v_mul_f64_e32 v[124:125], v[6:7], v[144:145]
	v_add_f64_e32 v[8:9], v[8:9], v[130:131]
	v_add_f64_e32 v[10:11], v[10:11], v[146:147]
	s_delay_alu instid0(VALU_DEP_4) | instskip(NEXT) | instid1(VALU_DEP_4)
	v_fmac_f64_e32 v[122:123], v[6:7], v[142:143]
	v_fma_f64 v[4:5], v[4:5], v[142:143], -v[124:125]
	s_delay_alu instid0(VALU_DEP_4) | instskip(NEXT) | instid1(VALU_DEP_4)
	v_add_f64_e32 v[6:7], v[8:9], v[12:13]
	v_add_f64_e32 v[8:9], v[10:11], v[126:127]
	s_delay_alu instid0(VALU_DEP_2) | instskip(NEXT) | instid1(VALU_DEP_2)
	v_add_f64_e32 v[4:5], v[6:7], v[4:5]
	v_add_f64_e32 v[6:7], v[8:9], v[122:123]
	s_wait_loadcnt 0x0
	s_delay_alu instid0(VALU_DEP_2) | instskip(NEXT) | instid1(VALU_DEP_2)
	v_add_f64_e64 v[4:5], v[150:151], -v[4:5]
	v_add_f64_e64 v[6:7], v[152:153], -v[6:7]
	scratch_store_b128 off, v[4:7], off offset:672
	s_wait_xcnt 0x0
	v_cmpx_lt_u32_e32 41, v1
	s_cbranch_execz .LBB115_243
; %bb.242:
	scratch_load_b128 v[6:9], off, s26
	v_dual_mov_b32 v3, v2 :: v_dual_mov_b32 v4, v2
	v_mov_b32_e32 v5, v2
	scratch_store_b128 off, v[2:5], off offset:656
	s_wait_loadcnt 0x0
	ds_store_b128 v120, v[6:9]
.LBB115_243:
	s_wait_xcnt 0x0
	s_or_b32 exec_lo, exec_lo, s2
	s_wait_storecnt_dscnt 0x0
	s_barrier_signal -1
	s_barrier_wait -1
	s_clause 0x9
	scratch_load_b128 v[4:7], off, off offset:672
	scratch_load_b128 v[8:11], off, off offset:688
	;; [unrolled: 1-line block ×10, first 2 shown]
	ds_load_b128 v[150:153], v2 offset:1504
	ds_load_b128 v[154:157], v2 offset:1520
	scratch_load_b128 v[158:161], off, off offset:656
	s_mov_b32 s2, exec_lo
	s_wait_loadcnt_dscnt 0xa01
	v_mul_f64_e32 v[162:163], v[152:153], v[6:7]
	v_mul_f64_e32 v[164:165], v[150:151], v[6:7]
	s_wait_loadcnt_dscnt 0x900
	v_mul_f64_e32 v[166:167], v[154:155], v[10:11]
	v_mul_f64_e32 v[10:11], v[156:157], v[10:11]
	s_delay_alu instid0(VALU_DEP_4) | instskip(NEXT) | instid1(VALU_DEP_4)
	v_fma_f64 v[162:163], v[150:151], v[4:5], -v[162:163]
	v_fmac_f64_e32 v[164:165], v[152:153], v[4:5]
	ds_load_b128 v[4:7], v2 offset:1536
	ds_load_b128 v[150:153], v2 offset:1552
	v_fmac_f64_e32 v[166:167], v[156:157], v[8:9]
	v_fma_f64 v[8:9], v[154:155], v[8:9], -v[10:11]
	s_wait_loadcnt_dscnt 0x801
	v_mul_f64_e32 v[168:169], v[4:5], v[14:15]
	v_mul_f64_e32 v[14:15], v[6:7], v[14:15]
	s_wait_loadcnt_dscnt 0x700
	v_mul_f64_e32 v[156:157], v[150:151], v[124:125]
	v_mul_f64_e32 v[124:125], v[152:153], v[124:125]
	v_add_f64_e32 v[10:11], 0, v[162:163]
	v_add_f64_e32 v[154:155], 0, v[164:165]
	v_fmac_f64_e32 v[168:169], v[6:7], v[12:13]
	v_fma_f64 v[12:13], v[4:5], v[12:13], -v[14:15]
	v_fmac_f64_e32 v[156:157], v[152:153], v[122:123]
	v_fma_f64 v[122:123], v[150:151], v[122:123], -v[124:125]
	v_add_f64_e32 v[14:15], v[10:11], v[8:9]
	v_add_f64_e32 v[154:155], v[154:155], v[166:167]
	ds_load_b128 v[4:7], v2 offset:1568
	ds_load_b128 v[8:11], v2 offset:1584
	s_wait_loadcnt_dscnt 0x601
	v_mul_f64_e32 v[162:163], v[4:5], v[128:129]
	v_mul_f64_e32 v[128:129], v[6:7], v[128:129]
	s_wait_loadcnt_dscnt 0x500
	v_mul_f64_e32 v[124:125], v[8:9], v[132:133]
	v_mul_f64_e32 v[132:133], v[10:11], v[132:133]
	v_add_f64_e32 v[12:13], v[14:15], v[12:13]
	v_add_f64_e32 v[14:15], v[154:155], v[168:169]
	v_fmac_f64_e32 v[162:163], v[6:7], v[126:127]
	v_fma_f64 v[126:127], v[4:5], v[126:127], -v[128:129]
	v_fmac_f64_e32 v[124:125], v[10:11], v[130:131]
	v_fma_f64 v[8:9], v[8:9], v[130:131], -v[132:133]
	v_add_f64_e32 v[122:123], v[12:13], v[122:123]
	v_add_f64_e32 v[128:129], v[14:15], v[156:157]
	ds_load_b128 v[4:7], v2 offset:1600
	ds_load_b128 v[12:15], v2 offset:1616
	s_wait_loadcnt_dscnt 0x401
	v_mul_f64_e32 v[150:151], v[4:5], v[136:137]
	v_mul_f64_e32 v[136:137], v[6:7], v[136:137]
	v_add_f64_e32 v[10:11], v[122:123], v[126:127]
	v_add_f64_e32 v[122:123], v[128:129], v[162:163]
	s_wait_loadcnt_dscnt 0x300
	v_mul_f64_e32 v[126:127], v[12:13], v[140:141]
	v_mul_f64_e32 v[128:129], v[14:15], v[140:141]
	v_fmac_f64_e32 v[150:151], v[6:7], v[134:135]
	v_fma_f64 v[130:131], v[4:5], v[134:135], -v[136:137]
	v_add_f64_e32 v[132:133], v[10:11], v[8:9]
	v_add_f64_e32 v[122:123], v[122:123], v[124:125]
	ds_load_b128 v[4:7], v2 offset:1632
	ds_load_b128 v[8:11], v2 offset:1648
	v_fmac_f64_e32 v[126:127], v[14:15], v[138:139]
	v_fma_f64 v[12:13], v[12:13], v[138:139], -v[128:129]
	s_wait_loadcnt_dscnt 0x201
	v_mul_f64_e32 v[2:3], v[4:5], v[144:145]
	v_mul_f64_e32 v[124:125], v[6:7], v[144:145]
	s_wait_loadcnt_dscnt 0x100
	v_mul_f64_e32 v[128:129], v[8:9], v[148:149]
	v_add_f64_e32 v[14:15], v[132:133], v[130:131]
	v_add_f64_e32 v[122:123], v[122:123], v[150:151]
	v_mul_f64_e32 v[130:131], v[10:11], v[148:149]
	v_fmac_f64_e32 v[2:3], v[6:7], v[142:143]
	v_fma_f64 v[4:5], v[4:5], v[142:143], -v[124:125]
	v_fmac_f64_e32 v[128:129], v[10:11], v[146:147]
	v_add_f64_e32 v[6:7], v[14:15], v[12:13]
	v_add_f64_e32 v[12:13], v[122:123], v[126:127]
	v_fma_f64 v[8:9], v[8:9], v[146:147], -v[130:131]
	s_delay_alu instid0(VALU_DEP_3) | instskip(NEXT) | instid1(VALU_DEP_3)
	v_add_f64_e32 v[4:5], v[6:7], v[4:5]
	v_add_f64_e32 v[2:3], v[12:13], v[2:3]
	s_delay_alu instid0(VALU_DEP_2) | instskip(NEXT) | instid1(VALU_DEP_2)
	v_add_f64_e32 v[4:5], v[4:5], v[8:9]
	v_add_f64_e32 v[6:7], v[2:3], v[128:129]
	s_wait_loadcnt 0x0
	s_delay_alu instid0(VALU_DEP_2) | instskip(NEXT) | instid1(VALU_DEP_2)
	v_add_f64_e64 v[2:3], v[158:159], -v[4:5]
	v_add_f64_e64 v[4:5], v[160:161], -v[6:7]
	scratch_store_b128 off, v[2:5], off offset:656
	s_wait_xcnt 0x0
	v_cmpx_lt_u32_e32 40, v1
	s_cbranch_execz .LBB115_245
; %bb.244:
	scratch_load_b128 v[2:5], off, s27
	v_mov_b32_e32 v6, 0
	s_delay_alu instid0(VALU_DEP_1)
	v_dual_mov_b32 v7, v6 :: v_dual_mov_b32 v8, v6
	v_mov_b32_e32 v9, v6
	scratch_store_b128 off, v[6:9], off offset:640
	s_wait_loadcnt 0x0
	ds_store_b128 v120, v[2:5]
.LBB115_245:
	s_wait_xcnt 0x0
	s_or_b32 exec_lo, exec_lo, s2
	s_wait_storecnt_dscnt 0x0
	s_barrier_signal -1
	s_barrier_wait -1
	s_clause 0x9
	scratch_load_b128 v[4:7], off, off offset:656
	scratch_load_b128 v[8:11], off, off offset:672
	;; [unrolled: 1-line block ×10, first 2 shown]
	v_mov_b32_e32 v2, 0
	s_mov_b32 s2, exec_lo
	ds_load_b128 v[150:153], v2 offset:1488
	s_clause 0x1
	scratch_load_b128 v[154:157], off, off offset:816
	scratch_load_b128 v[158:161], off, off offset:640
	s_wait_loadcnt_dscnt 0xb00
	v_mul_f64_e32 v[166:167], v[152:153], v[6:7]
	v_mul_f64_e32 v[168:169], v[150:151], v[6:7]
	ds_load_b128 v[162:165], v2 offset:1504
	s_wait_loadcnt_dscnt 0xa00
	v_mul_f64_e32 v[170:171], v[162:163], v[10:11]
	v_mul_f64_e32 v[10:11], v[164:165], v[10:11]
	v_fma_f64 v[166:167], v[150:151], v[4:5], -v[166:167]
	v_fmac_f64_e32 v[168:169], v[152:153], v[4:5]
	ds_load_b128 v[4:7], v2 offset:1520
	ds_load_b128 v[150:153], v2 offset:1536
	s_wait_loadcnt_dscnt 0x901
	v_mul_f64_e32 v[172:173], v[4:5], v[14:15]
	v_mul_f64_e32 v[14:15], v[6:7], v[14:15]
	v_fmac_f64_e32 v[170:171], v[164:165], v[8:9]
	v_fma_f64 v[8:9], v[162:163], v[8:9], -v[10:11]
	s_wait_loadcnt_dscnt 0x800
	v_mul_f64_e32 v[164:165], v[150:151], v[124:125]
	v_mul_f64_e32 v[124:125], v[152:153], v[124:125]
	v_add_f64_e32 v[10:11], 0, v[166:167]
	v_add_f64_e32 v[162:163], 0, v[168:169]
	v_fmac_f64_e32 v[172:173], v[6:7], v[12:13]
	v_fma_f64 v[12:13], v[4:5], v[12:13], -v[14:15]
	v_fmac_f64_e32 v[164:165], v[152:153], v[122:123]
	v_fma_f64 v[122:123], v[150:151], v[122:123], -v[124:125]
	v_add_f64_e32 v[14:15], v[10:11], v[8:9]
	v_add_f64_e32 v[162:163], v[162:163], v[170:171]
	ds_load_b128 v[4:7], v2 offset:1552
	ds_load_b128 v[8:11], v2 offset:1568
	s_wait_loadcnt_dscnt 0x701
	v_mul_f64_e32 v[166:167], v[4:5], v[128:129]
	v_mul_f64_e32 v[128:129], v[6:7], v[128:129]
	s_wait_loadcnt_dscnt 0x600
	v_mul_f64_e32 v[124:125], v[8:9], v[132:133]
	v_mul_f64_e32 v[132:133], v[10:11], v[132:133]
	v_add_f64_e32 v[12:13], v[14:15], v[12:13]
	v_add_f64_e32 v[14:15], v[162:163], v[172:173]
	v_fmac_f64_e32 v[166:167], v[6:7], v[126:127]
	v_fma_f64 v[126:127], v[4:5], v[126:127], -v[128:129]
	v_fmac_f64_e32 v[124:125], v[10:11], v[130:131]
	v_fma_f64 v[8:9], v[8:9], v[130:131], -v[132:133]
	v_add_f64_e32 v[122:123], v[12:13], v[122:123]
	v_add_f64_e32 v[128:129], v[14:15], v[164:165]
	ds_load_b128 v[4:7], v2 offset:1584
	ds_load_b128 v[12:15], v2 offset:1600
	s_wait_loadcnt_dscnt 0x501
	v_mul_f64_e32 v[150:151], v[4:5], v[136:137]
	v_mul_f64_e32 v[136:137], v[6:7], v[136:137]
	v_add_f64_e32 v[10:11], v[122:123], v[126:127]
	v_add_f64_e32 v[122:123], v[128:129], v[166:167]
	s_wait_loadcnt_dscnt 0x400
	v_mul_f64_e32 v[126:127], v[12:13], v[140:141]
	v_mul_f64_e32 v[128:129], v[14:15], v[140:141]
	v_fmac_f64_e32 v[150:151], v[6:7], v[134:135]
	v_fma_f64 v[130:131], v[4:5], v[134:135], -v[136:137]
	v_add_f64_e32 v[132:133], v[10:11], v[8:9]
	v_add_f64_e32 v[122:123], v[122:123], v[124:125]
	ds_load_b128 v[4:7], v2 offset:1616
	ds_load_b128 v[8:11], v2 offset:1632
	v_fmac_f64_e32 v[126:127], v[14:15], v[138:139]
	v_fma_f64 v[12:13], v[12:13], v[138:139], -v[128:129]
	s_wait_loadcnt_dscnt 0x301
	v_mul_f64_e32 v[124:125], v[4:5], v[144:145]
	v_mul_f64_e32 v[134:135], v[6:7], v[144:145]
	s_wait_loadcnt_dscnt 0x200
	v_mul_f64_e32 v[128:129], v[8:9], v[148:149]
	v_add_f64_e32 v[14:15], v[132:133], v[130:131]
	v_add_f64_e32 v[122:123], v[122:123], v[150:151]
	v_mul_f64_e32 v[130:131], v[10:11], v[148:149]
	v_fmac_f64_e32 v[124:125], v[6:7], v[142:143]
	v_fma_f64 v[132:133], v[4:5], v[142:143], -v[134:135]
	ds_load_b128 v[4:7], v2 offset:1648
	v_fmac_f64_e32 v[128:129], v[10:11], v[146:147]
	v_add_f64_e32 v[12:13], v[14:15], v[12:13]
	v_add_f64_e32 v[14:15], v[122:123], v[126:127]
	v_fma_f64 v[8:9], v[8:9], v[146:147], -v[130:131]
	s_wait_loadcnt_dscnt 0x100
	v_mul_f64_e32 v[122:123], v[4:5], v[156:157]
	v_mul_f64_e32 v[126:127], v[6:7], v[156:157]
	v_add_f64_e32 v[10:11], v[12:13], v[132:133]
	v_add_f64_e32 v[12:13], v[14:15], v[124:125]
	s_delay_alu instid0(VALU_DEP_4) | instskip(NEXT) | instid1(VALU_DEP_4)
	v_fmac_f64_e32 v[122:123], v[6:7], v[154:155]
	v_fma_f64 v[4:5], v[4:5], v[154:155], -v[126:127]
	s_delay_alu instid0(VALU_DEP_4) | instskip(NEXT) | instid1(VALU_DEP_4)
	v_add_f64_e32 v[6:7], v[10:11], v[8:9]
	v_add_f64_e32 v[8:9], v[12:13], v[128:129]
	s_delay_alu instid0(VALU_DEP_2) | instskip(NEXT) | instid1(VALU_DEP_2)
	v_add_f64_e32 v[4:5], v[6:7], v[4:5]
	v_add_f64_e32 v[6:7], v[8:9], v[122:123]
	s_wait_loadcnt 0x0
	s_delay_alu instid0(VALU_DEP_2) | instskip(NEXT) | instid1(VALU_DEP_2)
	v_add_f64_e64 v[4:5], v[158:159], -v[4:5]
	v_add_f64_e64 v[6:7], v[160:161], -v[6:7]
	scratch_store_b128 off, v[4:7], off offset:640
	s_wait_xcnt 0x0
	v_cmpx_lt_u32_e32 39, v1
	s_cbranch_execz .LBB115_247
; %bb.246:
	scratch_load_b128 v[6:9], off, s28
	v_dual_mov_b32 v3, v2 :: v_dual_mov_b32 v4, v2
	v_mov_b32_e32 v5, v2
	scratch_store_b128 off, v[2:5], off offset:624
	s_wait_loadcnt 0x0
	ds_store_b128 v120, v[6:9]
.LBB115_247:
	s_wait_xcnt 0x0
	s_or_b32 exec_lo, exec_lo, s2
	s_wait_storecnt_dscnt 0x0
	s_barrier_signal -1
	s_barrier_wait -1
	s_clause 0x9
	scratch_load_b128 v[4:7], off, off offset:640
	scratch_load_b128 v[8:11], off, off offset:656
	;; [unrolled: 1-line block ×10, first 2 shown]
	ds_load_b128 v[150:153], v2 offset:1472
	ds_load_b128 v[158:161], v2 offset:1488
	s_clause 0x2
	scratch_load_b128 v[154:157], off, off offset:800
	scratch_load_b128 v[162:165], off, off offset:624
	;; [unrolled: 1-line block ×3, first 2 shown]
	s_mov_b32 s2, exec_lo
	s_wait_loadcnt_dscnt 0xc01
	v_mul_f64_e32 v[170:171], v[152:153], v[6:7]
	v_mul_f64_e32 v[172:173], v[150:151], v[6:7]
	s_wait_loadcnt_dscnt 0xb00
	v_mul_f64_e32 v[174:175], v[158:159], v[10:11]
	v_mul_f64_e32 v[10:11], v[160:161], v[10:11]
	s_delay_alu instid0(VALU_DEP_4) | instskip(NEXT) | instid1(VALU_DEP_4)
	v_fma_f64 v[170:171], v[150:151], v[4:5], -v[170:171]
	v_fmac_f64_e32 v[172:173], v[152:153], v[4:5]
	ds_load_b128 v[4:7], v2 offset:1504
	ds_load_b128 v[150:153], v2 offset:1520
	v_fmac_f64_e32 v[174:175], v[160:161], v[8:9]
	v_fma_f64 v[8:9], v[158:159], v[8:9], -v[10:11]
	s_wait_loadcnt_dscnt 0xa01
	v_mul_f64_e32 v[176:177], v[4:5], v[14:15]
	v_mul_f64_e32 v[14:15], v[6:7], v[14:15]
	s_wait_loadcnt_dscnt 0x900
	v_mul_f64_e32 v[160:161], v[150:151], v[124:125]
	v_mul_f64_e32 v[124:125], v[152:153], v[124:125]
	v_add_f64_e32 v[10:11], 0, v[170:171]
	v_add_f64_e32 v[158:159], 0, v[172:173]
	v_fmac_f64_e32 v[176:177], v[6:7], v[12:13]
	v_fma_f64 v[12:13], v[4:5], v[12:13], -v[14:15]
	v_fmac_f64_e32 v[160:161], v[152:153], v[122:123]
	v_fma_f64 v[122:123], v[150:151], v[122:123], -v[124:125]
	v_add_f64_e32 v[14:15], v[10:11], v[8:9]
	v_add_f64_e32 v[158:159], v[158:159], v[174:175]
	ds_load_b128 v[4:7], v2 offset:1536
	ds_load_b128 v[8:11], v2 offset:1552
	s_wait_loadcnt_dscnt 0x801
	v_mul_f64_e32 v[170:171], v[4:5], v[128:129]
	v_mul_f64_e32 v[128:129], v[6:7], v[128:129]
	s_wait_loadcnt_dscnt 0x700
	v_mul_f64_e32 v[124:125], v[8:9], v[132:133]
	v_mul_f64_e32 v[132:133], v[10:11], v[132:133]
	v_add_f64_e32 v[12:13], v[14:15], v[12:13]
	v_add_f64_e32 v[14:15], v[158:159], v[176:177]
	v_fmac_f64_e32 v[170:171], v[6:7], v[126:127]
	v_fma_f64 v[126:127], v[4:5], v[126:127], -v[128:129]
	v_fmac_f64_e32 v[124:125], v[10:11], v[130:131]
	v_fma_f64 v[8:9], v[8:9], v[130:131], -v[132:133]
	v_add_f64_e32 v[122:123], v[12:13], v[122:123]
	v_add_f64_e32 v[128:129], v[14:15], v[160:161]
	ds_load_b128 v[4:7], v2 offset:1568
	ds_load_b128 v[12:15], v2 offset:1584
	s_wait_loadcnt_dscnt 0x601
	v_mul_f64_e32 v[150:151], v[4:5], v[136:137]
	v_mul_f64_e32 v[136:137], v[6:7], v[136:137]
	v_add_f64_e32 v[10:11], v[122:123], v[126:127]
	v_add_f64_e32 v[122:123], v[128:129], v[170:171]
	s_wait_loadcnt_dscnt 0x500
	v_mul_f64_e32 v[126:127], v[12:13], v[140:141]
	v_mul_f64_e32 v[128:129], v[14:15], v[140:141]
	v_fmac_f64_e32 v[150:151], v[6:7], v[134:135]
	v_fma_f64 v[130:131], v[4:5], v[134:135], -v[136:137]
	v_add_f64_e32 v[132:133], v[10:11], v[8:9]
	v_add_f64_e32 v[122:123], v[122:123], v[124:125]
	ds_load_b128 v[4:7], v2 offset:1600
	ds_load_b128 v[8:11], v2 offset:1616
	v_fmac_f64_e32 v[126:127], v[14:15], v[138:139]
	v_fma_f64 v[12:13], v[12:13], v[138:139], -v[128:129]
	s_wait_loadcnt_dscnt 0x401
	v_mul_f64_e32 v[124:125], v[4:5], v[144:145]
	v_mul_f64_e32 v[134:135], v[6:7], v[144:145]
	s_wait_loadcnt_dscnt 0x300
	v_mul_f64_e32 v[128:129], v[8:9], v[148:149]
	v_add_f64_e32 v[14:15], v[132:133], v[130:131]
	v_add_f64_e32 v[122:123], v[122:123], v[150:151]
	v_mul_f64_e32 v[130:131], v[10:11], v[148:149]
	v_fmac_f64_e32 v[124:125], v[6:7], v[142:143]
	v_fma_f64 v[132:133], v[4:5], v[142:143], -v[134:135]
	v_fmac_f64_e32 v[128:129], v[10:11], v[146:147]
	v_add_f64_e32 v[134:135], v[14:15], v[12:13]
	v_add_f64_e32 v[122:123], v[122:123], v[126:127]
	ds_load_b128 v[4:7], v2 offset:1632
	ds_load_b128 v[12:15], v2 offset:1648
	v_fma_f64 v[8:9], v[8:9], v[146:147], -v[130:131]
	s_wait_loadcnt_dscnt 0x201
	v_mul_f64_e32 v[2:3], v[4:5], v[156:157]
	v_mul_f64_e32 v[126:127], v[6:7], v[156:157]
	s_wait_loadcnt_dscnt 0x0
	v_mul_f64_e32 v[130:131], v[14:15], v[168:169]
	v_add_f64_e32 v[10:11], v[134:135], v[132:133]
	v_add_f64_e32 v[122:123], v[122:123], v[124:125]
	v_mul_f64_e32 v[124:125], v[12:13], v[168:169]
	v_fmac_f64_e32 v[2:3], v[6:7], v[154:155]
	v_fma_f64 v[4:5], v[4:5], v[154:155], -v[126:127]
	v_add_f64_e32 v[6:7], v[10:11], v[8:9]
	v_add_f64_e32 v[8:9], v[122:123], v[128:129]
	v_fmac_f64_e32 v[124:125], v[14:15], v[166:167]
	v_fma_f64 v[10:11], v[12:13], v[166:167], -v[130:131]
	s_delay_alu instid0(VALU_DEP_4) | instskip(NEXT) | instid1(VALU_DEP_4)
	v_add_f64_e32 v[4:5], v[6:7], v[4:5]
	v_add_f64_e32 v[2:3], v[8:9], v[2:3]
	s_delay_alu instid0(VALU_DEP_2) | instskip(NEXT) | instid1(VALU_DEP_2)
	v_add_f64_e32 v[4:5], v[4:5], v[10:11]
	v_add_f64_e32 v[6:7], v[2:3], v[124:125]
	s_delay_alu instid0(VALU_DEP_2) | instskip(NEXT) | instid1(VALU_DEP_2)
	v_add_f64_e64 v[2:3], v[162:163], -v[4:5]
	v_add_f64_e64 v[4:5], v[164:165], -v[6:7]
	scratch_store_b128 off, v[2:5], off offset:624
	s_wait_xcnt 0x0
	v_cmpx_lt_u32_e32 38, v1
	s_cbranch_execz .LBB115_249
; %bb.248:
	scratch_load_b128 v[2:5], off, s29
	v_mov_b32_e32 v6, 0
	s_delay_alu instid0(VALU_DEP_1)
	v_dual_mov_b32 v7, v6 :: v_dual_mov_b32 v8, v6
	v_mov_b32_e32 v9, v6
	scratch_store_b128 off, v[6:9], off offset:608
	s_wait_loadcnt 0x0
	ds_store_b128 v120, v[2:5]
.LBB115_249:
	s_wait_xcnt 0x0
	s_or_b32 exec_lo, exec_lo, s2
	s_wait_storecnt_dscnt 0x0
	s_barrier_signal -1
	s_barrier_wait -1
	s_clause 0x9
	scratch_load_b128 v[4:7], off, off offset:624
	scratch_load_b128 v[8:11], off, off offset:640
	scratch_load_b128 v[12:15], off, off offset:656
	scratch_load_b128 v[122:125], off, off offset:672
	scratch_load_b128 v[126:129], off, off offset:688
	scratch_load_b128 v[130:133], off, off offset:704
	scratch_load_b128 v[134:137], off, off offset:720
	scratch_load_b128 v[138:141], off, off offset:736
	scratch_load_b128 v[142:145], off, off offset:752
	scratch_load_b128 v[146:149], off, off offset:768
	v_mov_b32_e32 v2, 0
	s_mov_b32 s2, exec_lo
	ds_load_b128 v[150:153], v2 offset:1456
	s_clause 0x2
	scratch_load_b128 v[154:157], off, off offset:784
	scratch_load_b128 v[158:161], off, off offset:608
	;; [unrolled: 1-line block ×3, first 2 shown]
	s_wait_loadcnt_dscnt 0xc00
	v_mul_f64_e32 v[170:171], v[152:153], v[6:7]
	v_mul_f64_e32 v[174:175], v[150:151], v[6:7]
	ds_load_b128 v[162:165], v2 offset:1472
	v_fma_f64 v[178:179], v[150:151], v[4:5], -v[170:171]
	v_fmac_f64_e32 v[174:175], v[152:153], v[4:5]
	ds_load_b128 v[4:7], v2 offset:1488
	s_wait_loadcnt_dscnt 0xb01
	v_mul_f64_e32 v[176:177], v[162:163], v[10:11]
	v_mul_f64_e32 v[10:11], v[164:165], v[10:11]
	scratch_load_b128 v[150:153], off, off offset:816
	ds_load_b128 v[170:173], v2 offset:1504
	s_wait_loadcnt_dscnt 0xb01
	v_mul_f64_e32 v[180:181], v[4:5], v[14:15]
	v_mul_f64_e32 v[14:15], v[6:7], v[14:15]
	v_fmac_f64_e32 v[176:177], v[164:165], v[8:9]
	v_fma_f64 v[8:9], v[162:163], v[8:9], -v[10:11]
	v_add_f64_e32 v[10:11], 0, v[178:179]
	v_add_f64_e32 v[162:163], 0, v[174:175]
	s_wait_loadcnt_dscnt 0xa00
	v_mul_f64_e32 v[164:165], v[170:171], v[124:125]
	v_mul_f64_e32 v[124:125], v[172:173], v[124:125]
	v_fmac_f64_e32 v[180:181], v[6:7], v[12:13]
	v_fma_f64 v[12:13], v[4:5], v[12:13], -v[14:15]
	v_add_f64_e32 v[14:15], v[10:11], v[8:9]
	v_add_f64_e32 v[162:163], v[162:163], v[176:177]
	ds_load_b128 v[4:7], v2 offset:1520
	ds_load_b128 v[8:11], v2 offset:1536
	v_fmac_f64_e32 v[164:165], v[172:173], v[122:123]
	v_fma_f64 v[122:123], v[170:171], v[122:123], -v[124:125]
	s_wait_loadcnt_dscnt 0x901
	v_mul_f64_e32 v[174:175], v[4:5], v[128:129]
	v_mul_f64_e32 v[128:129], v[6:7], v[128:129]
	s_wait_loadcnt_dscnt 0x800
	v_mul_f64_e32 v[124:125], v[8:9], v[132:133]
	v_mul_f64_e32 v[132:133], v[10:11], v[132:133]
	v_add_f64_e32 v[12:13], v[14:15], v[12:13]
	v_add_f64_e32 v[14:15], v[162:163], v[180:181]
	v_fmac_f64_e32 v[174:175], v[6:7], v[126:127]
	v_fma_f64 v[126:127], v[4:5], v[126:127], -v[128:129]
	v_fmac_f64_e32 v[124:125], v[10:11], v[130:131]
	v_fma_f64 v[8:9], v[8:9], v[130:131], -v[132:133]
	v_add_f64_e32 v[122:123], v[12:13], v[122:123]
	v_add_f64_e32 v[128:129], v[14:15], v[164:165]
	ds_load_b128 v[4:7], v2 offset:1552
	ds_load_b128 v[12:15], v2 offset:1568
	s_wait_loadcnt_dscnt 0x701
	v_mul_f64_e32 v[162:163], v[4:5], v[136:137]
	v_mul_f64_e32 v[136:137], v[6:7], v[136:137]
	v_add_f64_e32 v[10:11], v[122:123], v[126:127]
	v_add_f64_e32 v[122:123], v[128:129], v[174:175]
	s_wait_loadcnt_dscnt 0x600
	v_mul_f64_e32 v[126:127], v[12:13], v[140:141]
	v_mul_f64_e32 v[128:129], v[14:15], v[140:141]
	v_fmac_f64_e32 v[162:163], v[6:7], v[134:135]
	v_fma_f64 v[130:131], v[4:5], v[134:135], -v[136:137]
	v_add_f64_e32 v[132:133], v[10:11], v[8:9]
	v_add_f64_e32 v[122:123], v[122:123], v[124:125]
	ds_load_b128 v[4:7], v2 offset:1584
	ds_load_b128 v[8:11], v2 offset:1600
	v_fmac_f64_e32 v[126:127], v[14:15], v[138:139]
	v_fma_f64 v[12:13], v[12:13], v[138:139], -v[128:129]
	s_wait_loadcnt_dscnt 0x501
	v_mul_f64_e32 v[124:125], v[4:5], v[144:145]
	v_mul_f64_e32 v[134:135], v[6:7], v[144:145]
	s_wait_loadcnt_dscnt 0x400
	v_mul_f64_e32 v[128:129], v[8:9], v[148:149]
	v_add_f64_e32 v[14:15], v[132:133], v[130:131]
	v_add_f64_e32 v[122:123], v[122:123], v[162:163]
	v_mul_f64_e32 v[130:131], v[10:11], v[148:149]
	v_fmac_f64_e32 v[124:125], v[6:7], v[142:143]
	v_fma_f64 v[132:133], v[4:5], v[142:143], -v[134:135]
	v_fmac_f64_e32 v[128:129], v[10:11], v[146:147]
	v_add_f64_e32 v[134:135], v[14:15], v[12:13]
	v_add_f64_e32 v[122:123], v[122:123], v[126:127]
	ds_load_b128 v[4:7], v2 offset:1616
	ds_load_b128 v[12:15], v2 offset:1632
	v_fma_f64 v[8:9], v[8:9], v[146:147], -v[130:131]
	s_wait_loadcnt_dscnt 0x301
	v_mul_f64_e32 v[126:127], v[4:5], v[156:157]
	v_mul_f64_e32 v[136:137], v[6:7], v[156:157]
	s_wait_loadcnt_dscnt 0x100
	v_mul_f64_e32 v[130:131], v[14:15], v[168:169]
	v_add_f64_e32 v[10:11], v[134:135], v[132:133]
	v_add_f64_e32 v[122:123], v[122:123], v[124:125]
	v_mul_f64_e32 v[124:125], v[12:13], v[168:169]
	v_fmac_f64_e32 v[126:127], v[6:7], v[154:155]
	v_fma_f64 v[132:133], v[4:5], v[154:155], -v[136:137]
	ds_load_b128 v[4:7], v2 offset:1648
	v_fma_f64 v[12:13], v[12:13], v[166:167], -v[130:131]
	v_add_f64_e32 v[8:9], v[10:11], v[8:9]
	v_add_f64_e32 v[10:11], v[122:123], v[128:129]
	v_fmac_f64_e32 v[124:125], v[14:15], v[166:167]
	s_wait_loadcnt_dscnt 0x0
	v_mul_f64_e32 v[122:123], v[4:5], v[152:153]
	v_mul_f64_e32 v[128:129], v[6:7], v[152:153]
	v_add_f64_e32 v[8:9], v[8:9], v[132:133]
	v_add_f64_e32 v[10:11], v[10:11], v[126:127]
	s_delay_alu instid0(VALU_DEP_4) | instskip(NEXT) | instid1(VALU_DEP_4)
	v_fmac_f64_e32 v[122:123], v[6:7], v[150:151]
	v_fma_f64 v[4:5], v[4:5], v[150:151], -v[128:129]
	s_delay_alu instid0(VALU_DEP_4) | instskip(NEXT) | instid1(VALU_DEP_4)
	v_add_f64_e32 v[6:7], v[8:9], v[12:13]
	v_add_f64_e32 v[8:9], v[10:11], v[124:125]
	s_delay_alu instid0(VALU_DEP_2) | instskip(NEXT) | instid1(VALU_DEP_2)
	v_add_f64_e32 v[4:5], v[6:7], v[4:5]
	v_add_f64_e32 v[6:7], v[8:9], v[122:123]
	s_delay_alu instid0(VALU_DEP_2) | instskip(NEXT) | instid1(VALU_DEP_2)
	v_add_f64_e64 v[4:5], v[158:159], -v[4:5]
	v_add_f64_e64 v[6:7], v[160:161], -v[6:7]
	scratch_store_b128 off, v[4:7], off offset:608
	s_wait_xcnt 0x0
	v_cmpx_lt_u32_e32 37, v1
	s_cbranch_execz .LBB115_251
; %bb.250:
	scratch_load_b128 v[6:9], off, s30
	v_dual_mov_b32 v3, v2 :: v_dual_mov_b32 v4, v2
	v_mov_b32_e32 v5, v2
	scratch_store_b128 off, v[2:5], off offset:592
	s_wait_loadcnt 0x0
	ds_store_b128 v120, v[6:9]
.LBB115_251:
	s_wait_xcnt 0x0
	s_or_b32 exec_lo, exec_lo, s2
	s_wait_storecnt_dscnt 0x0
	s_barrier_signal -1
	s_barrier_wait -1
	s_clause 0x9
	scratch_load_b128 v[4:7], off, off offset:608
	scratch_load_b128 v[8:11], off, off offset:624
	;; [unrolled: 1-line block ×10, first 2 shown]
	ds_load_b128 v[150:153], v2 offset:1440
	ds_load_b128 v[158:161], v2 offset:1456
	s_clause 0x2
	scratch_load_b128 v[154:157], off, off offset:768
	scratch_load_b128 v[162:165], off, off offset:592
	;; [unrolled: 1-line block ×3, first 2 shown]
	s_mov_b32 s2, exec_lo
	s_wait_loadcnt_dscnt 0xc01
	v_mul_f64_e32 v[170:171], v[152:153], v[6:7]
	v_mul_f64_e32 v[174:175], v[150:151], v[6:7]
	s_wait_loadcnt_dscnt 0xb00
	v_mul_f64_e32 v[176:177], v[158:159], v[10:11]
	v_mul_f64_e32 v[10:11], v[160:161], v[10:11]
	s_delay_alu instid0(VALU_DEP_4) | instskip(NEXT) | instid1(VALU_DEP_4)
	v_fma_f64 v[178:179], v[150:151], v[4:5], -v[170:171]
	v_fmac_f64_e32 v[174:175], v[152:153], v[4:5]
	ds_load_b128 v[4:7], v2 offset:1472
	ds_load_b128 v[150:153], v2 offset:1488
	scratch_load_b128 v[170:173], off, off offset:800
	v_fmac_f64_e32 v[176:177], v[160:161], v[8:9]
	v_fma_f64 v[158:159], v[158:159], v[8:9], -v[10:11]
	scratch_load_b128 v[8:11], off, off offset:816
	s_wait_loadcnt_dscnt 0xc01
	v_mul_f64_e32 v[180:181], v[4:5], v[14:15]
	v_mul_f64_e32 v[14:15], v[6:7], v[14:15]
	v_add_f64_e32 v[160:161], 0, v[178:179]
	v_add_f64_e32 v[174:175], 0, v[174:175]
	s_wait_loadcnt_dscnt 0xb00
	v_mul_f64_e32 v[178:179], v[150:151], v[124:125]
	v_mul_f64_e32 v[124:125], v[152:153], v[124:125]
	v_fmac_f64_e32 v[180:181], v[6:7], v[12:13]
	v_fma_f64 v[182:183], v[4:5], v[12:13], -v[14:15]
	ds_load_b128 v[4:7], v2 offset:1504
	ds_load_b128 v[12:15], v2 offset:1520
	v_add_f64_e32 v[158:159], v[160:161], v[158:159]
	v_add_f64_e32 v[160:161], v[174:175], v[176:177]
	v_fmac_f64_e32 v[178:179], v[152:153], v[122:123]
	v_fma_f64 v[122:123], v[150:151], v[122:123], -v[124:125]
	s_wait_loadcnt_dscnt 0xa01
	v_mul_f64_e32 v[174:175], v[4:5], v[128:129]
	v_mul_f64_e32 v[128:129], v[6:7], v[128:129]
	s_wait_loadcnt_dscnt 0x900
	v_mul_f64_e32 v[152:153], v[12:13], v[132:133]
	v_mul_f64_e32 v[132:133], v[14:15], v[132:133]
	v_add_f64_e32 v[124:125], v[158:159], v[182:183]
	v_add_f64_e32 v[150:151], v[160:161], v[180:181]
	v_fmac_f64_e32 v[174:175], v[6:7], v[126:127]
	v_fma_f64 v[126:127], v[4:5], v[126:127], -v[128:129]
	v_fmac_f64_e32 v[152:153], v[14:15], v[130:131]
	v_fma_f64 v[12:13], v[12:13], v[130:131], -v[132:133]
	v_add_f64_e32 v[128:129], v[124:125], v[122:123]
	v_add_f64_e32 v[150:151], v[150:151], v[178:179]
	ds_load_b128 v[4:7], v2 offset:1536
	ds_load_b128 v[122:125], v2 offset:1552
	s_wait_loadcnt_dscnt 0x801
	v_mul_f64_e32 v[158:159], v[4:5], v[136:137]
	v_mul_f64_e32 v[136:137], v[6:7], v[136:137]
	s_wait_loadcnt_dscnt 0x700
	v_mul_f64_e32 v[130:131], v[124:125], v[140:141]
	v_add_f64_e32 v[14:15], v[128:129], v[126:127]
	v_add_f64_e32 v[126:127], v[150:151], v[174:175]
	v_mul_f64_e32 v[128:129], v[122:123], v[140:141]
	v_fmac_f64_e32 v[158:159], v[6:7], v[134:135]
	v_fma_f64 v[132:133], v[4:5], v[134:135], -v[136:137]
	v_fma_f64 v[122:123], v[122:123], v[138:139], -v[130:131]
	v_add_f64_e32 v[134:135], v[14:15], v[12:13]
	v_add_f64_e32 v[126:127], v[126:127], v[152:153]
	ds_load_b128 v[4:7], v2 offset:1568
	ds_load_b128 v[12:15], v2 offset:1584
	v_fmac_f64_e32 v[128:129], v[124:125], v[138:139]
	s_wait_loadcnt_dscnt 0x601
	v_mul_f64_e32 v[136:137], v[4:5], v[144:145]
	v_mul_f64_e32 v[140:141], v[6:7], v[144:145]
	s_wait_loadcnt_dscnt 0x500
	v_mul_f64_e32 v[130:131], v[12:13], v[148:149]
	v_add_f64_e32 v[124:125], v[134:135], v[132:133]
	v_add_f64_e32 v[126:127], v[126:127], v[158:159]
	v_mul_f64_e32 v[132:133], v[14:15], v[148:149]
	v_fmac_f64_e32 v[136:137], v[6:7], v[142:143]
	v_fma_f64 v[134:135], v[4:5], v[142:143], -v[140:141]
	v_fmac_f64_e32 v[130:131], v[14:15], v[146:147]
	v_add_f64_e32 v[138:139], v[124:125], v[122:123]
	v_add_f64_e32 v[126:127], v[126:127], v[128:129]
	ds_load_b128 v[4:7], v2 offset:1600
	ds_load_b128 v[122:125], v2 offset:1616
	v_fma_f64 v[12:13], v[12:13], v[146:147], -v[132:133]
	s_wait_loadcnt_dscnt 0x401
	v_mul_f64_e32 v[128:129], v[4:5], v[156:157]
	v_mul_f64_e32 v[140:141], v[6:7], v[156:157]
	s_wait_loadcnt_dscnt 0x200
	v_mul_f64_e32 v[132:133], v[122:123], v[168:169]
	v_add_f64_e32 v[14:15], v[138:139], v[134:135]
	v_add_f64_e32 v[126:127], v[126:127], v[136:137]
	v_mul_f64_e32 v[134:135], v[124:125], v[168:169]
	v_fmac_f64_e32 v[128:129], v[6:7], v[154:155]
	v_fma_f64 v[136:137], v[4:5], v[154:155], -v[140:141]
	v_fmac_f64_e32 v[132:133], v[124:125], v[166:167]
	v_add_f64_e32 v[138:139], v[14:15], v[12:13]
	v_add_f64_e32 v[126:127], v[126:127], v[130:131]
	ds_load_b128 v[4:7], v2 offset:1632
	ds_load_b128 v[12:15], v2 offset:1648
	v_fma_f64 v[122:123], v[122:123], v[166:167], -v[134:135]
	s_wait_loadcnt_dscnt 0x101
	v_mul_f64_e32 v[2:3], v[4:5], v[172:173]
	v_mul_f64_e32 v[130:131], v[6:7], v[172:173]
	v_add_f64_e32 v[124:125], v[138:139], v[136:137]
	v_add_f64_e32 v[126:127], v[126:127], v[128:129]
	s_wait_loadcnt_dscnt 0x0
	v_mul_f64_e32 v[128:129], v[12:13], v[10:11]
	v_mul_f64_e32 v[10:11], v[14:15], v[10:11]
	v_fmac_f64_e32 v[2:3], v[6:7], v[170:171]
	v_fma_f64 v[4:5], v[4:5], v[170:171], -v[130:131]
	v_add_f64_e32 v[6:7], v[124:125], v[122:123]
	v_add_f64_e32 v[122:123], v[126:127], v[132:133]
	v_fmac_f64_e32 v[128:129], v[14:15], v[8:9]
	v_fma_f64 v[8:9], v[12:13], v[8:9], -v[10:11]
	s_delay_alu instid0(VALU_DEP_4) | instskip(NEXT) | instid1(VALU_DEP_4)
	v_add_f64_e32 v[4:5], v[6:7], v[4:5]
	v_add_f64_e32 v[2:3], v[122:123], v[2:3]
	s_delay_alu instid0(VALU_DEP_2) | instskip(NEXT) | instid1(VALU_DEP_2)
	v_add_f64_e32 v[4:5], v[4:5], v[8:9]
	v_add_f64_e32 v[6:7], v[2:3], v[128:129]
	s_delay_alu instid0(VALU_DEP_2) | instskip(NEXT) | instid1(VALU_DEP_2)
	v_add_f64_e64 v[2:3], v[162:163], -v[4:5]
	v_add_f64_e64 v[4:5], v[164:165], -v[6:7]
	scratch_store_b128 off, v[2:5], off offset:592
	s_wait_xcnt 0x0
	v_cmpx_lt_u32_e32 36, v1
	s_cbranch_execz .LBB115_253
; %bb.252:
	scratch_load_b128 v[2:5], off, s31
	v_mov_b32_e32 v6, 0
	s_delay_alu instid0(VALU_DEP_1)
	v_dual_mov_b32 v7, v6 :: v_dual_mov_b32 v8, v6
	v_mov_b32_e32 v9, v6
	scratch_store_b128 off, v[6:9], off offset:576
	s_wait_loadcnt 0x0
	ds_store_b128 v120, v[2:5]
.LBB115_253:
	s_wait_xcnt 0x0
	s_or_b32 exec_lo, exec_lo, s2
	s_wait_storecnt_dscnt 0x0
	s_barrier_signal -1
	s_barrier_wait -1
	s_clause 0x9
	scratch_load_b128 v[4:7], off, off offset:592
	scratch_load_b128 v[8:11], off, off offset:608
	;; [unrolled: 1-line block ×10, first 2 shown]
	v_mov_b32_e32 v2, 0
	s_mov_b32 s2, exec_lo
	ds_load_b128 v[150:153], v2 offset:1424
	s_clause 0x2
	scratch_load_b128 v[154:157], off, off offset:752
	scratch_load_b128 v[158:161], off, off offset:576
	;; [unrolled: 1-line block ×3, first 2 shown]
	s_wait_loadcnt_dscnt 0xc00
	v_mul_f64_e32 v[170:171], v[152:153], v[6:7]
	v_mul_f64_e32 v[174:175], v[150:151], v[6:7]
	ds_load_b128 v[162:165], v2 offset:1440
	v_fma_f64 v[178:179], v[150:151], v[4:5], -v[170:171]
	v_fmac_f64_e32 v[174:175], v[152:153], v[4:5]
	ds_load_b128 v[4:7], v2 offset:1456
	s_wait_loadcnt_dscnt 0xb01
	v_mul_f64_e32 v[176:177], v[162:163], v[10:11]
	v_mul_f64_e32 v[10:11], v[164:165], v[10:11]
	scratch_load_b128 v[150:153], off, off offset:784
	ds_load_b128 v[170:173], v2 offset:1472
	s_wait_loadcnt_dscnt 0xb01
	v_mul_f64_e32 v[180:181], v[4:5], v[14:15]
	v_mul_f64_e32 v[14:15], v[6:7], v[14:15]
	v_add_f64_e32 v[174:175], 0, v[174:175]
	v_fmac_f64_e32 v[176:177], v[164:165], v[8:9]
	v_fma_f64 v[162:163], v[162:163], v[8:9], -v[10:11]
	v_add_f64_e32 v[164:165], 0, v[178:179]
	scratch_load_b128 v[8:11], off, off offset:800
	v_fmac_f64_e32 v[180:181], v[6:7], v[12:13]
	v_fma_f64 v[182:183], v[4:5], v[12:13], -v[14:15]
	ds_load_b128 v[4:7], v2 offset:1488
	s_wait_loadcnt_dscnt 0xb01
	v_mul_f64_e32 v[178:179], v[170:171], v[124:125]
	v_mul_f64_e32 v[124:125], v[172:173], v[124:125]
	scratch_load_b128 v[12:15], off, off offset:816
	v_add_f64_e32 v[174:175], v[174:175], v[176:177]
	v_add_f64_e32 v[184:185], v[164:165], v[162:163]
	ds_load_b128 v[162:165], v2 offset:1504
	s_wait_loadcnt_dscnt 0xb01
	v_mul_f64_e32 v[176:177], v[4:5], v[128:129]
	v_mul_f64_e32 v[128:129], v[6:7], v[128:129]
	v_fmac_f64_e32 v[178:179], v[172:173], v[122:123]
	v_fma_f64 v[122:123], v[170:171], v[122:123], -v[124:125]
	s_wait_loadcnt_dscnt 0xa00
	v_mul_f64_e32 v[172:173], v[162:163], v[132:133]
	v_mul_f64_e32 v[132:133], v[164:165], v[132:133]
	v_add_f64_e32 v[170:171], v[174:175], v[180:181]
	v_add_f64_e32 v[124:125], v[184:185], v[182:183]
	v_fmac_f64_e32 v[176:177], v[6:7], v[126:127]
	v_fma_f64 v[126:127], v[4:5], v[126:127], -v[128:129]
	v_fmac_f64_e32 v[172:173], v[164:165], v[130:131]
	v_fma_f64 v[130:131], v[162:163], v[130:131], -v[132:133]
	v_add_f64_e32 v[170:171], v[170:171], v[178:179]
	v_add_f64_e32 v[128:129], v[124:125], v[122:123]
	ds_load_b128 v[4:7], v2 offset:1520
	ds_load_b128 v[122:125], v2 offset:1536
	s_wait_loadcnt_dscnt 0x901
	v_mul_f64_e32 v[174:175], v[4:5], v[136:137]
	v_mul_f64_e32 v[136:137], v[6:7], v[136:137]
	s_wait_loadcnt_dscnt 0x800
	v_mul_f64_e32 v[132:133], v[122:123], v[140:141]
	v_mul_f64_e32 v[140:141], v[124:125], v[140:141]
	v_add_f64_e32 v[126:127], v[128:129], v[126:127]
	v_add_f64_e32 v[128:129], v[170:171], v[176:177]
	v_fmac_f64_e32 v[174:175], v[6:7], v[134:135]
	v_fma_f64 v[134:135], v[4:5], v[134:135], -v[136:137]
	v_fmac_f64_e32 v[132:133], v[124:125], v[138:139]
	v_fma_f64 v[122:123], v[122:123], v[138:139], -v[140:141]
	v_add_f64_e32 v[130:131], v[126:127], v[130:131]
	v_add_f64_e32 v[136:137], v[128:129], v[172:173]
	ds_load_b128 v[4:7], v2 offset:1552
	ds_load_b128 v[126:129], v2 offset:1568
	s_wait_loadcnt_dscnt 0x701
	v_mul_f64_e32 v[162:163], v[4:5], v[144:145]
	v_mul_f64_e32 v[144:145], v[6:7], v[144:145]
	v_add_f64_e32 v[124:125], v[130:131], v[134:135]
	v_add_f64_e32 v[130:131], v[136:137], v[174:175]
	s_wait_loadcnt_dscnt 0x600
	v_mul_f64_e32 v[134:135], v[126:127], v[148:149]
	v_mul_f64_e32 v[136:137], v[128:129], v[148:149]
	v_fmac_f64_e32 v[162:163], v[6:7], v[142:143]
	v_fma_f64 v[138:139], v[4:5], v[142:143], -v[144:145]
	v_add_f64_e32 v[140:141], v[124:125], v[122:123]
	v_add_f64_e32 v[130:131], v[130:131], v[132:133]
	ds_load_b128 v[4:7], v2 offset:1584
	ds_load_b128 v[122:125], v2 offset:1600
	v_fmac_f64_e32 v[134:135], v[128:129], v[146:147]
	v_fma_f64 v[126:127], v[126:127], v[146:147], -v[136:137]
	s_wait_loadcnt_dscnt 0x501
	v_mul_f64_e32 v[132:133], v[4:5], v[156:157]
	v_mul_f64_e32 v[142:143], v[6:7], v[156:157]
	s_wait_loadcnt_dscnt 0x300
	v_mul_f64_e32 v[136:137], v[122:123], v[168:169]
	v_add_f64_e32 v[128:129], v[140:141], v[138:139]
	v_add_f64_e32 v[130:131], v[130:131], v[162:163]
	v_mul_f64_e32 v[138:139], v[124:125], v[168:169]
	v_fmac_f64_e32 v[132:133], v[6:7], v[154:155]
	v_fma_f64 v[140:141], v[4:5], v[154:155], -v[142:143]
	v_fmac_f64_e32 v[136:137], v[124:125], v[166:167]
	v_add_f64_e32 v[142:143], v[128:129], v[126:127]
	v_add_f64_e32 v[130:131], v[130:131], v[134:135]
	ds_load_b128 v[4:7], v2 offset:1616
	ds_load_b128 v[126:129], v2 offset:1632
	v_fma_f64 v[122:123], v[122:123], v[166:167], -v[138:139]
	s_wait_loadcnt_dscnt 0x201
	v_mul_f64_e32 v[134:135], v[4:5], v[152:153]
	v_mul_f64_e32 v[144:145], v[6:7], v[152:153]
	v_add_f64_e32 v[124:125], v[142:143], v[140:141]
	v_add_f64_e32 v[130:131], v[130:131], v[132:133]
	s_wait_loadcnt_dscnt 0x100
	v_mul_f64_e32 v[132:133], v[126:127], v[10:11]
	v_mul_f64_e32 v[10:11], v[128:129], v[10:11]
	v_fmac_f64_e32 v[134:135], v[6:7], v[150:151]
	v_fma_f64 v[138:139], v[4:5], v[150:151], -v[144:145]
	ds_load_b128 v[4:7], v2 offset:1648
	v_add_f64_e32 v[122:123], v[124:125], v[122:123]
	v_add_f64_e32 v[124:125], v[130:131], v[136:137]
	v_fmac_f64_e32 v[132:133], v[128:129], v[8:9]
	v_fma_f64 v[8:9], v[126:127], v[8:9], -v[10:11]
	s_wait_loadcnt_dscnt 0x0
	v_mul_f64_e32 v[130:131], v[4:5], v[14:15]
	v_mul_f64_e32 v[14:15], v[6:7], v[14:15]
	v_add_f64_e32 v[10:11], v[122:123], v[138:139]
	v_add_f64_e32 v[122:123], v[124:125], v[134:135]
	s_delay_alu instid0(VALU_DEP_4) | instskip(NEXT) | instid1(VALU_DEP_4)
	v_fmac_f64_e32 v[130:131], v[6:7], v[12:13]
	v_fma_f64 v[4:5], v[4:5], v[12:13], -v[14:15]
	s_delay_alu instid0(VALU_DEP_4) | instskip(NEXT) | instid1(VALU_DEP_4)
	v_add_f64_e32 v[6:7], v[10:11], v[8:9]
	v_add_f64_e32 v[8:9], v[122:123], v[132:133]
	s_delay_alu instid0(VALU_DEP_2) | instskip(NEXT) | instid1(VALU_DEP_2)
	v_add_f64_e32 v[4:5], v[6:7], v[4:5]
	v_add_f64_e32 v[6:7], v[8:9], v[130:131]
	s_delay_alu instid0(VALU_DEP_2) | instskip(NEXT) | instid1(VALU_DEP_2)
	v_add_f64_e64 v[4:5], v[158:159], -v[4:5]
	v_add_f64_e64 v[6:7], v[160:161], -v[6:7]
	scratch_store_b128 off, v[4:7], off offset:576
	s_wait_xcnt 0x0
	v_cmpx_lt_u32_e32 35, v1
	s_cbranch_execz .LBB115_255
; %bb.254:
	scratch_load_b128 v[6:9], off, s33
	v_dual_mov_b32 v3, v2 :: v_dual_mov_b32 v4, v2
	v_mov_b32_e32 v5, v2
	scratch_store_b128 off, v[2:5], off offset:560
	s_wait_loadcnt 0x0
	ds_store_b128 v120, v[6:9]
.LBB115_255:
	s_wait_xcnt 0x0
	s_or_b32 exec_lo, exec_lo, s2
	s_wait_storecnt_dscnt 0x0
	s_barrier_signal -1
	s_barrier_wait -1
	s_clause 0x9
	scratch_load_b128 v[4:7], off, off offset:576
	scratch_load_b128 v[8:11], off, off offset:592
	;; [unrolled: 1-line block ×10, first 2 shown]
	ds_load_b128 v[150:153], v2 offset:1408
	ds_load_b128 v[158:161], v2 offset:1424
	s_clause 0x2
	scratch_load_b128 v[154:157], off, off offset:736
	scratch_load_b128 v[162:165], off, off offset:560
	;; [unrolled: 1-line block ×3, first 2 shown]
	s_mov_b32 s2, exec_lo
	s_wait_loadcnt_dscnt 0xc01
	v_mul_f64_e32 v[170:171], v[152:153], v[6:7]
	v_mul_f64_e32 v[174:175], v[150:151], v[6:7]
	s_wait_loadcnt_dscnt 0xb00
	v_mul_f64_e32 v[176:177], v[158:159], v[10:11]
	v_mul_f64_e32 v[10:11], v[160:161], v[10:11]
	s_delay_alu instid0(VALU_DEP_4) | instskip(NEXT) | instid1(VALU_DEP_4)
	v_fma_f64 v[178:179], v[150:151], v[4:5], -v[170:171]
	v_fmac_f64_e32 v[174:175], v[152:153], v[4:5]
	ds_load_b128 v[4:7], v2 offset:1440
	ds_load_b128 v[150:153], v2 offset:1456
	scratch_load_b128 v[170:173], off, off offset:768
	v_fmac_f64_e32 v[176:177], v[160:161], v[8:9]
	v_fma_f64 v[158:159], v[158:159], v[8:9], -v[10:11]
	scratch_load_b128 v[8:11], off, off offset:784
	s_wait_loadcnt_dscnt 0xc01
	v_mul_f64_e32 v[180:181], v[4:5], v[14:15]
	v_mul_f64_e32 v[14:15], v[6:7], v[14:15]
	v_add_f64_e32 v[160:161], 0, v[178:179]
	v_add_f64_e32 v[174:175], 0, v[174:175]
	s_wait_loadcnt_dscnt 0xb00
	v_mul_f64_e32 v[178:179], v[150:151], v[124:125]
	v_mul_f64_e32 v[124:125], v[152:153], v[124:125]
	v_fmac_f64_e32 v[180:181], v[6:7], v[12:13]
	v_fma_f64 v[182:183], v[4:5], v[12:13], -v[14:15]
	ds_load_b128 v[4:7], v2 offset:1472
	ds_load_b128 v[12:15], v2 offset:1488
	v_add_f64_e32 v[184:185], v[160:161], v[158:159]
	v_add_f64_e32 v[174:175], v[174:175], v[176:177]
	scratch_load_b128 v[158:161], off, off offset:800
	v_fmac_f64_e32 v[178:179], v[152:153], v[122:123]
	v_fma_f64 v[150:151], v[150:151], v[122:123], -v[124:125]
	scratch_load_b128 v[122:125], off, off offset:816
	s_wait_loadcnt_dscnt 0xc01
	v_mul_f64_e32 v[176:177], v[4:5], v[128:129]
	v_mul_f64_e32 v[128:129], v[6:7], v[128:129]
	v_add_f64_e32 v[152:153], v[184:185], v[182:183]
	v_add_f64_e32 v[174:175], v[174:175], v[180:181]
	s_wait_loadcnt_dscnt 0xb00
	v_mul_f64_e32 v[180:181], v[12:13], v[132:133]
	v_mul_f64_e32 v[132:133], v[14:15], v[132:133]
	v_fmac_f64_e32 v[176:177], v[6:7], v[126:127]
	v_fma_f64 v[182:183], v[4:5], v[126:127], -v[128:129]
	ds_load_b128 v[4:7], v2 offset:1504
	ds_load_b128 v[126:129], v2 offset:1520
	v_add_f64_e32 v[150:151], v[152:153], v[150:151]
	v_add_f64_e32 v[152:153], v[174:175], v[178:179]
	s_wait_loadcnt_dscnt 0xa01
	v_mul_f64_e32 v[174:175], v[4:5], v[136:137]
	v_mul_f64_e32 v[136:137], v[6:7], v[136:137]
	v_fmac_f64_e32 v[180:181], v[14:15], v[130:131]
	v_fma_f64 v[12:13], v[12:13], v[130:131], -v[132:133]
	s_wait_loadcnt_dscnt 0x900
	v_mul_f64_e32 v[132:133], v[126:127], v[140:141]
	v_mul_f64_e32 v[140:141], v[128:129], v[140:141]
	v_add_f64_e32 v[14:15], v[150:151], v[182:183]
	v_add_f64_e32 v[130:131], v[152:153], v[176:177]
	v_fmac_f64_e32 v[174:175], v[6:7], v[134:135]
	v_fma_f64 v[134:135], v[4:5], v[134:135], -v[136:137]
	v_fmac_f64_e32 v[132:133], v[128:129], v[138:139]
	v_fma_f64 v[126:127], v[126:127], v[138:139], -v[140:141]
	v_add_f64_e32 v[136:137], v[14:15], v[12:13]
	v_add_f64_e32 v[130:131], v[130:131], v[180:181]
	ds_load_b128 v[4:7], v2 offset:1536
	ds_load_b128 v[12:15], v2 offset:1552
	s_wait_loadcnt_dscnt 0x801
	v_mul_f64_e32 v[150:151], v[4:5], v[144:145]
	v_mul_f64_e32 v[144:145], v[6:7], v[144:145]
	v_add_f64_e32 v[128:129], v[136:137], v[134:135]
	v_add_f64_e32 v[130:131], v[130:131], v[174:175]
	s_wait_loadcnt_dscnt 0x700
	v_mul_f64_e32 v[134:135], v[12:13], v[148:149]
	v_mul_f64_e32 v[136:137], v[14:15], v[148:149]
	v_fmac_f64_e32 v[150:151], v[6:7], v[142:143]
	v_fma_f64 v[138:139], v[4:5], v[142:143], -v[144:145]
	v_add_f64_e32 v[140:141], v[128:129], v[126:127]
	v_add_f64_e32 v[130:131], v[130:131], v[132:133]
	ds_load_b128 v[4:7], v2 offset:1568
	ds_load_b128 v[126:129], v2 offset:1584
	v_fmac_f64_e32 v[134:135], v[14:15], v[146:147]
	v_fma_f64 v[12:13], v[12:13], v[146:147], -v[136:137]
	s_wait_loadcnt_dscnt 0x601
	v_mul_f64_e32 v[132:133], v[4:5], v[156:157]
	v_mul_f64_e32 v[142:143], v[6:7], v[156:157]
	s_wait_loadcnt_dscnt 0x400
	v_mul_f64_e32 v[136:137], v[126:127], v[168:169]
	v_add_f64_e32 v[14:15], v[140:141], v[138:139]
	v_add_f64_e32 v[130:131], v[130:131], v[150:151]
	v_mul_f64_e32 v[138:139], v[128:129], v[168:169]
	v_fmac_f64_e32 v[132:133], v[6:7], v[154:155]
	v_fma_f64 v[140:141], v[4:5], v[154:155], -v[142:143]
	v_fmac_f64_e32 v[136:137], v[128:129], v[166:167]
	v_add_f64_e32 v[142:143], v[14:15], v[12:13]
	v_add_f64_e32 v[130:131], v[130:131], v[134:135]
	ds_load_b128 v[4:7], v2 offset:1600
	ds_load_b128 v[12:15], v2 offset:1616
	v_fma_f64 v[126:127], v[126:127], v[166:167], -v[138:139]
	s_wait_loadcnt_dscnt 0x301
	v_mul_f64_e32 v[134:135], v[4:5], v[172:173]
	v_mul_f64_e32 v[144:145], v[6:7], v[172:173]
	v_add_f64_e32 v[128:129], v[142:143], v[140:141]
	v_add_f64_e32 v[130:131], v[130:131], v[132:133]
	s_wait_loadcnt_dscnt 0x200
	v_mul_f64_e32 v[132:133], v[12:13], v[10:11]
	v_mul_f64_e32 v[10:11], v[14:15], v[10:11]
	v_fmac_f64_e32 v[134:135], v[6:7], v[170:171]
	v_fma_f64 v[138:139], v[4:5], v[170:171], -v[144:145]
	v_add_f64_e32 v[140:141], v[128:129], v[126:127]
	v_add_f64_e32 v[130:131], v[130:131], v[136:137]
	ds_load_b128 v[4:7], v2 offset:1632
	ds_load_b128 v[126:129], v2 offset:1648
	v_fmac_f64_e32 v[132:133], v[14:15], v[8:9]
	v_fma_f64 v[8:9], v[12:13], v[8:9], -v[10:11]
	s_wait_loadcnt_dscnt 0x101
	v_mul_f64_e32 v[2:3], v[4:5], v[160:161]
	v_mul_f64_e32 v[136:137], v[6:7], v[160:161]
	s_wait_loadcnt_dscnt 0x0
	v_mul_f64_e32 v[14:15], v[126:127], v[124:125]
	v_mul_f64_e32 v[124:125], v[128:129], v[124:125]
	v_add_f64_e32 v[10:11], v[140:141], v[138:139]
	v_add_f64_e32 v[12:13], v[130:131], v[134:135]
	v_fmac_f64_e32 v[2:3], v[6:7], v[158:159]
	v_fma_f64 v[4:5], v[4:5], v[158:159], -v[136:137]
	v_fmac_f64_e32 v[14:15], v[128:129], v[122:123]
	v_add_f64_e32 v[6:7], v[10:11], v[8:9]
	v_add_f64_e32 v[8:9], v[12:13], v[132:133]
	v_fma_f64 v[10:11], v[126:127], v[122:123], -v[124:125]
	s_delay_alu instid0(VALU_DEP_3) | instskip(NEXT) | instid1(VALU_DEP_3)
	v_add_f64_e32 v[4:5], v[6:7], v[4:5]
	v_add_f64_e32 v[2:3], v[8:9], v[2:3]
	s_delay_alu instid0(VALU_DEP_2) | instskip(NEXT) | instid1(VALU_DEP_2)
	v_add_f64_e32 v[4:5], v[4:5], v[10:11]
	v_add_f64_e32 v[6:7], v[2:3], v[14:15]
	s_delay_alu instid0(VALU_DEP_2) | instskip(NEXT) | instid1(VALU_DEP_2)
	v_add_f64_e64 v[2:3], v[162:163], -v[4:5]
	v_add_f64_e64 v[4:5], v[164:165], -v[6:7]
	scratch_store_b128 off, v[2:5], off offset:560
	s_wait_xcnt 0x0
	v_cmpx_lt_u32_e32 34, v1
	s_cbranch_execz .LBB115_257
; %bb.256:
	scratch_load_b128 v[2:5], off, s34
	v_mov_b32_e32 v6, 0
	s_delay_alu instid0(VALU_DEP_1)
	v_dual_mov_b32 v7, v6 :: v_dual_mov_b32 v8, v6
	v_mov_b32_e32 v9, v6
	scratch_store_b128 off, v[6:9], off offset:544
	s_wait_loadcnt 0x0
	ds_store_b128 v120, v[2:5]
.LBB115_257:
	s_wait_xcnt 0x0
	s_or_b32 exec_lo, exec_lo, s2
	s_wait_storecnt_dscnt 0x0
	s_barrier_signal -1
	s_barrier_wait -1
	s_clause 0x9
	scratch_load_b128 v[4:7], off, off offset:560
	scratch_load_b128 v[8:11], off, off offset:576
	;; [unrolled: 1-line block ×10, first 2 shown]
	v_mov_b32_e32 v2, 0
	s_mov_b32 s2, exec_lo
	ds_load_b128 v[150:153], v2 offset:1392
	s_clause 0x2
	scratch_load_b128 v[154:157], off, off offset:720
	scratch_load_b128 v[158:161], off, off offset:544
	;; [unrolled: 1-line block ×3, first 2 shown]
	s_wait_loadcnt_dscnt 0xc00
	v_mul_f64_e32 v[170:171], v[152:153], v[6:7]
	v_mul_f64_e32 v[174:175], v[150:151], v[6:7]
	ds_load_b128 v[162:165], v2 offset:1408
	v_fma_f64 v[178:179], v[150:151], v[4:5], -v[170:171]
	v_fmac_f64_e32 v[174:175], v[152:153], v[4:5]
	ds_load_b128 v[4:7], v2 offset:1424
	s_wait_loadcnt_dscnt 0xb01
	v_mul_f64_e32 v[176:177], v[162:163], v[10:11]
	v_mul_f64_e32 v[10:11], v[164:165], v[10:11]
	scratch_load_b128 v[150:153], off, off offset:752
	ds_load_b128 v[170:173], v2 offset:1440
	s_wait_loadcnt_dscnt 0xb01
	v_mul_f64_e32 v[180:181], v[4:5], v[14:15]
	v_mul_f64_e32 v[14:15], v[6:7], v[14:15]
	v_add_f64_e32 v[174:175], 0, v[174:175]
	v_fmac_f64_e32 v[176:177], v[164:165], v[8:9]
	v_fma_f64 v[162:163], v[162:163], v[8:9], -v[10:11]
	v_add_f64_e32 v[164:165], 0, v[178:179]
	scratch_load_b128 v[8:11], off, off offset:768
	v_fmac_f64_e32 v[180:181], v[6:7], v[12:13]
	v_fma_f64 v[182:183], v[4:5], v[12:13], -v[14:15]
	ds_load_b128 v[4:7], v2 offset:1456
	s_wait_loadcnt_dscnt 0xb01
	v_mul_f64_e32 v[178:179], v[170:171], v[124:125]
	v_mul_f64_e32 v[124:125], v[172:173], v[124:125]
	scratch_load_b128 v[12:15], off, off offset:784
	v_add_f64_e32 v[174:175], v[174:175], v[176:177]
	v_add_f64_e32 v[184:185], v[164:165], v[162:163]
	ds_load_b128 v[162:165], v2 offset:1472
	s_wait_loadcnt_dscnt 0xb01
	v_mul_f64_e32 v[176:177], v[4:5], v[128:129]
	v_mul_f64_e32 v[128:129], v[6:7], v[128:129]
	v_fmac_f64_e32 v[178:179], v[172:173], v[122:123]
	v_fma_f64 v[170:171], v[170:171], v[122:123], -v[124:125]
	scratch_load_b128 v[122:125], off, off offset:800
	v_add_f64_e32 v[174:175], v[174:175], v[180:181]
	v_add_f64_e32 v[172:173], v[184:185], v[182:183]
	v_fmac_f64_e32 v[176:177], v[6:7], v[126:127]
	v_fma_f64 v[182:183], v[4:5], v[126:127], -v[128:129]
	ds_load_b128 v[4:7], v2 offset:1488
	s_wait_loadcnt_dscnt 0xb01
	v_mul_f64_e32 v[180:181], v[162:163], v[132:133]
	v_mul_f64_e32 v[132:133], v[164:165], v[132:133]
	scratch_load_b128 v[126:129], off, off offset:816
	v_add_f64_e32 v[174:175], v[174:175], v[178:179]
	s_wait_loadcnt_dscnt 0xb00
	v_mul_f64_e32 v[178:179], v[4:5], v[136:137]
	v_add_f64_e32 v[184:185], v[172:173], v[170:171]
	v_mul_f64_e32 v[136:137], v[6:7], v[136:137]
	ds_load_b128 v[170:173], v2 offset:1504
	v_fmac_f64_e32 v[180:181], v[164:165], v[130:131]
	v_fma_f64 v[130:131], v[162:163], v[130:131], -v[132:133]
	s_wait_loadcnt_dscnt 0xa00
	v_mul_f64_e32 v[164:165], v[170:171], v[140:141]
	v_mul_f64_e32 v[140:141], v[172:173], v[140:141]
	v_add_f64_e32 v[162:163], v[174:175], v[176:177]
	v_fmac_f64_e32 v[178:179], v[6:7], v[134:135]
	v_add_f64_e32 v[132:133], v[184:185], v[182:183]
	v_fma_f64 v[134:135], v[4:5], v[134:135], -v[136:137]
	v_fmac_f64_e32 v[164:165], v[172:173], v[138:139]
	v_fma_f64 v[138:139], v[170:171], v[138:139], -v[140:141]
	v_add_f64_e32 v[162:163], v[162:163], v[180:181]
	v_add_f64_e32 v[136:137], v[132:133], v[130:131]
	ds_load_b128 v[4:7], v2 offset:1520
	ds_load_b128 v[130:133], v2 offset:1536
	s_wait_loadcnt_dscnt 0x901
	v_mul_f64_e32 v[174:175], v[4:5], v[144:145]
	v_mul_f64_e32 v[144:145], v[6:7], v[144:145]
	s_wait_loadcnt_dscnt 0x800
	v_mul_f64_e32 v[140:141], v[130:131], v[148:149]
	v_mul_f64_e32 v[148:149], v[132:133], v[148:149]
	v_add_f64_e32 v[134:135], v[136:137], v[134:135]
	v_add_f64_e32 v[136:137], v[162:163], v[178:179]
	v_fmac_f64_e32 v[174:175], v[6:7], v[142:143]
	v_fma_f64 v[142:143], v[4:5], v[142:143], -v[144:145]
	v_fmac_f64_e32 v[140:141], v[132:133], v[146:147]
	v_fma_f64 v[130:131], v[130:131], v[146:147], -v[148:149]
	v_add_f64_e32 v[138:139], v[134:135], v[138:139]
	v_add_f64_e32 v[144:145], v[136:137], v[164:165]
	ds_load_b128 v[4:7], v2 offset:1552
	ds_load_b128 v[134:137], v2 offset:1568
	s_wait_loadcnt_dscnt 0x701
	v_mul_f64_e32 v[162:163], v[4:5], v[156:157]
	v_mul_f64_e32 v[156:157], v[6:7], v[156:157]
	v_add_f64_e32 v[132:133], v[138:139], v[142:143]
	v_add_f64_e32 v[138:139], v[144:145], v[174:175]
	s_wait_loadcnt_dscnt 0x500
	v_mul_f64_e32 v[142:143], v[134:135], v[168:169]
	v_mul_f64_e32 v[144:145], v[136:137], v[168:169]
	v_fmac_f64_e32 v[162:163], v[6:7], v[154:155]
	v_fma_f64 v[146:147], v[4:5], v[154:155], -v[156:157]
	v_add_f64_e32 v[148:149], v[132:133], v[130:131]
	v_add_f64_e32 v[138:139], v[138:139], v[140:141]
	ds_load_b128 v[4:7], v2 offset:1584
	ds_load_b128 v[130:133], v2 offset:1600
	v_fmac_f64_e32 v[142:143], v[136:137], v[166:167]
	v_fma_f64 v[134:135], v[134:135], v[166:167], -v[144:145]
	s_wait_loadcnt_dscnt 0x401
	v_mul_f64_e32 v[140:141], v[4:5], v[152:153]
	v_mul_f64_e32 v[152:153], v[6:7], v[152:153]
	v_add_f64_e32 v[136:137], v[148:149], v[146:147]
	v_add_f64_e32 v[138:139], v[138:139], v[162:163]
	s_wait_loadcnt_dscnt 0x300
	v_mul_f64_e32 v[144:145], v[130:131], v[10:11]
	v_mul_f64_e32 v[10:11], v[132:133], v[10:11]
	v_fmac_f64_e32 v[140:141], v[6:7], v[150:151]
	v_fma_f64 v[146:147], v[4:5], v[150:151], -v[152:153]
	v_add_f64_e32 v[148:149], v[136:137], v[134:135]
	v_add_f64_e32 v[138:139], v[138:139], v[142:143]
	ds_load_b128 v[4:7], v2 offset:1616
	ds_load_b128 v[134:137], v2 offset:1632
	v_fmac_f64_e32 v[144:145], v[132:133], v[8:9]
	v_fma_f64 v[8:9], v[130:131], v[8:9], -v[10:11]
	s_wait_loadcnt_dscnt 0x201
	v_mul_f64_e32 v[142:143], v[4:5], v[14:15]
	v_mul_f64_e32 v[14:15], v[6:7], v[14:15]
	s_wait_loadcnt_dscnt 0x100
	v_mul_f64_e32 v[132:133], v[134:135], v[124:125]
	v_mul_f64_e32 v[124:125], v[136:137], v[124:125]
	v_add_f64_e32 v[10:11], v[148:149], v[146:147]
	v_add_f64_e32 v[130:131], v[138:139], v[140:141]
	v_fmac_f64_e32 v[142:143], v[6:7], v[12:13]
	v_fma_f64 v[12:13], v[4:5], v[12:13], -v[14:15]
	ds_load_b128 v[4:7], v2 offset:1648
	v_fmac_f64_e32 v[132:133], v[136:137], v[122:123]
	v_fma_f64 v[122:123], v[134:135], v[122:123], -v[124:125]
	v_add_f64_e32 v[8:9], v[10:11], v[8:9]
	v_add_f64_e32 v[10:11], v[130:131], v[144:145]
	s_wait_loadcnt_dscnt 0x0
	v_mul_f64_e32 v[14:15], v[4:5], v[128:129]
	v_mul_f64_e32 v[128:129], v[6:7], v[128:129]
	s_delay_alu instid0(VALU_DEP_4) | instskip(NEXT) | instid1(VALU_DEP_4)
	v_add_f64_e32 v[8:9], v[8:9], v[12:13]
	v_add_f64_e32 v[10:11], v[10:11], v[142:143]
	s_delay_alu instid0(VALU_DEP_4) | instskip(NEXT) | instid1(VALU_DEP_4)
	v_fmac_f64_e32 v[14:15], v[6:7], v[126:127]
	v_fma_f64 v[4:5], v[4:5], v[126:127], -v[128:129]
	s_delay_alu instid0(VALU_DEP_4) | instskip(NEXT) | instid1(VALU_DEP_4)
	v_add_f64_e32 v[6:7], v[8:9], v[122:123]
	v_add_f64_e32 v[8:9], v[10:11], v[132:133]
	s_delay_alu instid0(VALU_DEP_2) | instskip(NEXT) | instid1(VALU_DEP_2)
	v_add_f64_e32 v[4:5], v[6:7], v[4:5]
	v_add_f64_e32 v[6:7], v[8:9], v[14:15]
	s_delay_alu instid0(VALU_DEP_2) | instskip(NEXT) | instid1(VALU_DEP_2)
	v_add_f64_e64 v[4:5], v[158:159], -v[4:5]
	v_add_f64_e64 v[6:7], v[160:161], -v[6:7]
	scratch_store_b128 off, v[4:7], off offset:544
	s_wait_xcnt 0x0
	v_cmpx_lt_u32_e32 33, v1
	s_cbranch_execz .LBB115_259
; %bb.258:
	scratch_load_b128 v[6:9], off, s35
	v_dual_mov_b32 v3, v2 :: v_dual_mov_b32 v4, v2
	v_mov_b32_e32 v5, v2
	scratch_store_b128 off, v[2:5], off offset:528
	s_wait_loadcnt 0x0
	ds_store_b128 v120, v[6:9]
.LBB115_259:
	s_wait_xcnt 0x0
	s_or_b32 exec_lo, exec_lo, s2
	s_wait_storecnt_dscnt 0x0
	s_barrier_signal -1
	s_barrier_wait -1
	s_clause 0x9
	scratch_load_b128 v[4:7], off, off offset:544
	scratch_load_b128 v[8:11], off, off offset:560
	;; [unrolled: 1-line block ×10, first 2 shown]
	ds_load_b128 v[150:153], v2 offset:1376
	ds_load_b128 v[158:161], v2 offset:1392
	s_clause 0x2
	scratch_load_b128 v[154:157], off, off offset:704
	scratch_load_b128 v[162:165], off, off offset:528
	;; [unrolled: 1-line block ×3, first 2 shown]
	s_mov_b32 s2, exec_lo
	s_wait_loadcnt_dscnt 0xc01
	v_mul_f64_e32 v[170:171], v[152:153], v[6:7]
	v_mul_f64_e32 v[174:175], v[150:151], v[6:7]
	s_wait_loadcnt_dscnt 0xb00
	v_mul_f64_e32 v[176:177], v[158:159], v[10:11]
	v_mul_f64_e32 v[10:11], v[160:161], v[10:11]
	s_delay_alu instid0(VALU_DEP_4) | instskip(NEXT) | instid1(VALU_DEP_4)
	v_fma_f64 v[178:179], v[150:151], v[4:5], -v[170:171]
	v_fmac_f64_e32 v[174:175], v[152:153], v[4:5]
	ds_load_b128 v[4:7], v2 offset:1408
	ds_load_b128 v[150:153], v2 offset:1424
	scratch_load_b128 v[170:173], off, off offset:736
	v_fmac_f64_e32 v[176:177], v[160:161], v[8:9]
	v_fma_f64 v[158:159], v[158:159], v[8:9], -v[10:11]
	scratch_load_b128 v[8:11], off, off offset:752
	s_wait_loadcnt_dscnt 0xc01
	v_mul_f64_e32 v[180:181], v[4:5], v[14:15]
	v_mul_f64_e32 v[14:15], v[6:7], v[14:15]
	v_add_f64_e32 v[160:161], 0, v[178:179]
	v_add_f64_e32 v[174:175], 0, v[174:175]
	s_wait_loadcnt_dscnt 0xb00
	v_mul_f64_e32 v[178:179], v[150:151], v[124:125]
	v_mul_f64_e32 v[124:125], v[152:153], v[124:125]
	v_fmac_f64_e32 v[180:181], v[6:7], v[12:13]
	v_fma_f64 v[182:183], v[4:5], v[12:13], -v[14:15]
	ds_load_b128 v[4:7], v2 offset:1440
	ds_load_b128 v[12:15], v2 offset:1456
	v_add_f64_e32 v[184:185], v[160:161], v[158:159]
	v_add_f64_e32 v[174:175], v[174:175], v[176:177]
	scratch_load_b128 v[158:161], off, off offset:768
	v_fmac_f64_e32 v[178:179], v[152:153], v[122:123]
	v_fma_f64 v[150:151], v[150:151], v[122:123], -v[124:125]
	scratch_load_b128 v[122:125], off, off offset:784
	s_wait_loadcnt_dscnt 0xc01
	v_mul_f64_e32 v[176:177], v[4:5], v[128:129]
	v_mul_f64_e32 v[128:129], v[6:7], v[128:129]
	v_add_f64_e32 v[152:153], v[184:185], v[182:183]
	v_add_f64_e32 v[174:175], v[174:175], v[180:181]
	s_wait_loadcnt_dscnt 0xb00
	v_mul_f64_e32 v[180:181], v[12:13], v[132:133]
	v_mul_f64_e32 v[132:133], v[14:15], v[132:133]
	v_fmac_f64_e32 v[176:177], v[6:7], v[126:127]
	v_fma_f64 v[182:183], v[4:5], v[126:127], -v[128:129]
	ds_load_b128 v[4:7], v2 offset:1472
	ds_load_b128 v[126:129], v2 offset:1488
	v_add_f64_e32 v[184:185], v[152:153], v[150:151]
	v_add_f64_e32 v[174:175], v[174:175], v[178:179]
	scratch_load_b128 v[150:153], off, off offset:800
	s_wait_loadcnt_dscnt 0xb01
	v_mul_f64_e32 v[178:179], v[4:5], v[136:137]
	v_mul_f64_e32 v[136:137], v[6:7], v[136:137]
	v_fmac_f64_e32 v[180:181], v[14:15], v[130:131]
	v_fma_f64 v[130:131], v[12:13], v[130:131], -v[132:133]
	scratch_load_b128 v[12:15], off, off offset:816
	v_add_f64_e32 v[132:133], v[184:185], v[182:183]
	v_add_f64_e32 v[174:175], v[174:175], v[176:177]
	s_wait_loadcnt_dscnt 0xb00
	v_mul_f64_e32 v[176:177], v[126:127], v[140:141]
	v_mul_f64_e32 v[140:141], v[128:129], v[140:141]
	v_fmac_f64_e32 v[178:179], v[6:7], v[134:135]
	v_fma_f64 v[134:135], v[4:5], v[134:135], -v[136:137]
	v_add_f64_e32 v[136:137], v[132:133], v[130:131]
	v_add_f64_e32 v[174:175], v[174:175], v[180:181]
	ds_load_b128 v[4:7], v2 offset:1504
	ds_load_b128 v[130:133], v2 offset:1520
	v_fmac_f64_e32 v[176:177], v[128:129], v[138:139]
	v_fma_f64 v[126:127], v[126:127], v[138:139], -v[140:141]
	s_wait_loadcnt_dscnt 0xa01
	v_mul_f64_e32 v[180:181], v[4:5], v[144:145]
	v_mul_f64_e32 v[144:145], v[6:7], v[144:145]
	s_wait_loadcnt_dscnt 0x900
	v_mul_f64_e32 v[138:139], v[132:133], v[148:149]
	v_add_f64_e32 v[128:129], v[136:137], v[134:135]
	v_add_f64_e32 v[134:135], v[174:175], v[178:179]
	v_mul_f64_e32 v[136:137], v[130:131], v[148:149]
	v_fmac_f64_e32 v[180:181], v[6:7], v[142:143]
	v_fma_f64 v[140:141], v[4:5], v[142:143], -v[144:145]
	v_fma_f64 v[130:131], v[130:131], v[146:147], -v[138:139]
	v_add_f64_e32 v[142:143], v[128:129], v[126:127]
	v_add_f64_e32 v[134:135], v[134:135], v[176:177]
	ds_load_b128 v[4:7], v2 offset:1536
	ds_load_b128 v[126:129], v2 offset:1552
	v_fmac_f64_e32 v[136:137], v[132:133], v[146:147]
	s_wait_loadcnt_dscnt 0x801
	v_mul_f64_e32 v[144:145], v[4:5], v[156:157]
	v_mul_f64_e32 v[148:149], v[6:7], v[156:157]
	s_wait_loadcnt_dscnt 0x600
	v_mul_f64_e32 v[138:139], v[126:127], v[168:169]
	v_add_f64_e32 v[132:133], v[142:143], v[140:141]
	v_add_f64_e32 v[134:135], v[134:135], v[180:181]
	v_mul_f64_e32 v[140:141], v[128:129], v[168:169]
	v_fmac_f64_e32 v[144:145], v[6:7], v[154:155]
	v_fma_f64 v[142:143], v[4:5], v[154:155], -v[148:149]
	v_fmac_f64_e32 v[138:139], v[128:129], v[166:167]
	v_add_f64_e32 v[146:147], v[132:133], v[130:131]
	v_add_f64_e32 v[134:135], v[134:135], v[136:137]
	ds_load_b128 v[4:7], v2 offset:1568
	ds_load_b128 v[130:133], v2 offset:1584
	v_fma_f64 v[126:127], v[126:127], v[166:167], -v[140:141]
	s_wait_loadcnt_dscnt 0x501
	v_mul_f64_e32 v[136:137], v[4:5], v[172:173]
	v_mul_f64_e32 v[148:149], v[6:7], v[172:173]
	s_wait_loadcnt_dscnt 0x400
	v_mul_f64_e32 v[140:141], v[130:131], v[10:11]
	v_mul_f64_e32 v[10:11], v[132:133], v[10:11]
	v_add_f64_e32 v[128:129], v[146:147], v[142:143]
	v_add_f64_e32 v[134:135], v[134:135], v[144:145]
	v_fmac_f64_e32 v[136:137], v[6:7], v[170:171]
	v_fma_f64 v[142:143], v[4:5], v[170:171], -v[148:149]
	v_fmac_f64_e32 v[140:141], v[132:133], v[8:9]
	v_fma_f64 v[8:9], v[130:131], v[8:9], -v[10:11]
	v_add_f64_e32 v[144:145], v[128:129], v[126:127]
	v_add_f64_e32 v[134:135], v[134:135], v[138:139]
	ds_load_b128 v[4:7], v2 offset:1600
	ds_load_b128 v[126:129], v2 offset:1616
	s_wait_loadcnt_dscnt 0x301
	v_mul_f64_e32 v[138:139], v[4:5], v[160:161]
	v_mul_f64_e32 v[146:147], v[6:7], v[160:161]
	s_wait_loadcnt_dscnt 0x200
	v_mul_f64_e32 v[132:133], v[126:127], v[124:125]
	v_mul_f64_e32 v[124:125], v[128:129], v[124:125]
	v_add_f64_e32 v[10:11], v[144:145], v[142:143]
	v_add_f64_e32 v[130:131], v[134:135], v[136:137]
	v_fmac_f64_e32 v[138:139], v[6:7], v[158:159]
	v_fma_f64 v[134:135], v[4:5], v[158:159], -v[146:147]
	v_fmac_f64_e32 v[132:133], v[128:129], v[122:123]
	v_fma_f64 v[122:123], v[126:127], v[122:123], -v[124:125]
	v_add_f64_e32 v[136:137], v[10:11], v[8:9]
	v_add_f64_e32 v[130:131], v[130:131], v[140:141]
	ds_load_b128 v[4:7], v2 offset:1632
	ds_load_b128 v[8:11], v2 offset:1648
	s_wait_loadcnt_dscnt 0x101
	v_mul_f64_e32 v[2:3], v[4:5], v[152:153]
	v_mul_f64_e32 v[140:141], v[6:7], v[152:153]
	s_wait_loadcnt_dscnt 0x0
	v_mul_f64_e32 v[128:129], v[8:9], v[14:15]
	v_mul_f64_e32 v[14:15], v[10:11], v[14:15]
	v_add_f64_e32 v[124:125], v[136:137], v[134:135]
	v_add_f64_e32 v[126:127], v[130:131], v[138:139]
	v_fmac_f64_e32 v[2:3], v[6:7], v[150:151]
	v_fma_f64 v[4:5], v[4:5], v[150:151], -v[140:141]
	v_fmac_f64_e32 v[128:129], v[10:11], v[12:13]
	v_fma_f64 v[8:9], v[8:9], v[12:13], -v[14:15]
	v_add_f64_e32 v[6:7], v[124:125], v[122:123]
	v_add_f64_e32 v[122:123], v[126:127], v[132:133]
	s_delay_alu instid0(VALU_DEP_2) | instskip(NEXT) | instid1(VALU_DEP_2)
	v_add_f64_e32 v[4:5], v[6:7], v[4:5]
	v_add_f64_e32 v[2:3], v[122:123], v[2:3]
	s_delay_alu instid0(VALU_DEP_2) | instskip(NEXT) | instid1(VALU_DEP_2)
	;; [unrolled: 3-line block ×3, first 2 shown]
	v_add_f64_e64 v[2:3], v[162:163], -v[4:5]
	v_add_f64_e64 v[4:5], v[164:165], -v[6:7]
	scratch_store_b128 off, v[2:5], off offset:528
	s_wait_xcnt 0x0
	v_cmpx_lt_u32_e32 32, v1
	s_cbranch_execz .LBB115_261
; %bb.260:
	scratch_load_b128 v[2:5], off, s36
	v_mov_b32_e32 v6, 0
	s_delay_alu instid0(VALU_DEP_1)
	v_dual_mov_b32 v7, v6 :: v_dual_mov_b32 v8, v6
	v_mov_b32_e32 v9, v6
	scratch_store_b128 off, v[6:9], off offset:512
	s_wait_loadcnt 0x0
	ds_store_b128 v120, v[2:5]
.LBB115_261:
	s_wait_xcnt 0x0
	s_or_b32 exec_lo, exec_lo, s2
	s_wait_storecnt_dscnt 0x0
	s_barrier_signal -1
	s_barrier_wait -1
	s_clause 0x9
	scratch_load_b128 v[4:7], off, off offset:528
	scratch_load_b128 v[8:11], off, off offset:544
	;; [unrolled: 1-line block ×10, first 2 shown]
	v_mov_b32_e32 v2, 0
	s_mov_b32 s2, exec_lo
	ds_load_b128 v[150:153], v2 offset:1360
	s_clause 0x2
	scratch_load_b128 v[154:157], off, off offset:688
	scratch_load_b128 v[158:161], off, off offset:512
	;; [unrolled: 1-line block ×3, first 2 shown]
	s_wait_loadcnt_dscnt 0xc00
	v_mul_f64_e32 v[170:171], v[152:153], v[6:7]
	v_mul_f64_e32 v[174:175], v[150:151], v[6:7]
	ds_load_b128 v[162:165], v2 offset:1376
	v_fma_f64 v[178:179], v[150:151], v[4:5], -v[170:171]
	v_fmac_f64_e32 v[174:175], v[152:153], v[4:5]
	ds_load_b128 v[4:7], v2 offset:1392
	s_wait_loadcnt_dscnt 0xb01
	v_mul_f64_e32 v[176:177], v[162:163], v[10:11]
	v_mul_f64_e32 v[10:11], v[164:165], v[10:11]
	scratch_load_b128 v[150:153], off, off offset:720
	ds_load_b128 v[170:173], v2 offset:1408
	s_wait_loadcnt_dscnt 0xb01
	v_mul_f64_e32 v[180:181], v[4:5], v[14:15]
	v_mul_f64_e32 v[14:15], v[6:7], v[14:15]
	v_add_f64_e32 v[174:175], 0, v[174:175]
	v_fmac_f64_e32 v[176:177], v[164:165], v[8:9]
	v_fma_f64 v[162:163], v[162:163], v[8:9], -v[10:11]
	v_add_f64_e32 v[164:165], 0, v[178:179]
	scratch_load_b128 v[8:11], off, off offset:736
	v_fmac_f64_e32 v[180:181], v[6:7], v[12:13]
	v_fma_f64 v[182:183], v[4:5], v[12:13], -v[14:15]
	ds_load_b128 v[4:7], v2 offset:1424
	s_wait_loadcnt_dscnt 0xb01
	v_mul_f64_e32 v[178:179], v[170:171], v[124:125]
	v_mul_f64_e32 v[124:125], v[172:173], v[124:125]
	scratch_load_b128 v[12:15], off, off offset:752
	v_add_f64_e32 v[174:175], v[174:175], v[176:177]
	v_add_f64_e32 v[184:185], v[164:165], v[162:163]
	ds_load_b128 v[162:165], v2 offset:1440
	s_wait_loadcnt_dscnt 0xb01
	v_mul_f64_e32 v[176:177], v[4:5], v[128:129]
	v_mul_f64_e32 v[128:129], v[6:7], v[128:129]
	v_fmac_f64_e32 v[178:179], v[172:173], v[122:123]
	v_fma_f64 v[170:171], v[170:171], v[122:123], -v[124:125]
	scratch_load_b128 v[122:125], off, off offset:768
	v_add_f64_e32 v[174:175], v[174:175], v[180:181]
	v_add_f64_e32 v[172:173], v[184:185], v[182:183]
	v_fmac_f64_e32 v[176:177], v[6:7], v[126:127]
	v_fma_f64 v[182:183], v[4:5], v[126:127], -v[128:129]
	ds_load_b128 v[4:7], v2 offset:1456
	s_wait_loadcnt_dscnt 0xb01
	v_mul_f64_e32 v[180:181], v[162:163], v[132:133]
	v_mul_f64_e32 v[132:133], v[164:165], v[132:133]
	scratch_load_b128 v[126:129], off, off offset:784
	v_add_f64_e32 v[174:175], v[174:175], v[178:179]
	s_wait_loadcnt_dscnt 0xb00
	v_mul_f64_e32 v[178:179], v[4:5], v[136:137]
	v_add_f64_e32 v[184:185], v[172:173], v[170:171]
	v_mul_f64_e32 v[136:137], v[6:7], v[136:137]
	ds_load_b128 v[170:173], v2 offset:1472
	v_fmac_f64_e32 v[180:181], v[164:165], v[130:131]
	v_fma_f64 v[162:163], v[162:163], v[130:131], -v[132:133]
	scratch_load_b128 v[130:133], off, off offset:800
	v_add_f64_e32 v[174:175], v[174:175], v[176:177]
	v_fmac_f64_e32 v[178:179], v[6:7], v[134:135]
	v_add_f64_e32 v[164:165], v[184:185], v[182:183]
	v_fma_f64 v[182:183], v[4:5], v[134:135], -v[136:137]
	ds_load_b128 v[4:7], v2 offset:1488
	s_wait_loadcnt_dscnt 0xb01
	v_mul_f64_e32 v[176:177], v[170:171], v[140:141]
	v_mul_f64_e32 v[140:141], v[172:173], v[140:141]
	scratch_load_b128 v[134:137], off, off offset:816
	v_add_f64_e32 v[174:175], v[174:175], v[180:181]
	s_wait_loadcnt_dscnt 0xb00
	v_mul_f64_e32 v[180:181], v[4:5], v[144:145]
	v_add_f64_e32 v[184:185], v[164:165], v[162:163]
	v_mul_f64_e32 v[144:145], v[6:7], v[144:145]
	ds_load_b128 v[162:165], v2 offset:1504
	v_fmac_f64_e32 v[176:177], v[172:173], v[138:139]
	v_fma_f64 v[138:139], v[170:171], v[138:139], -v[140:141]
	s_wait_loadcnt_dscnt 0xa00
	v_mul_f64_e32 v[172:173], v[162:163], v[148:149]
	v_mul_f64_e32 v[148:149], v[164:165], v[148:149]
	v_add_f64_e32 v[170:171], v[174:175], v[178:179]
	v_fmac_f64_e32 v[180:181], v[6:7], v[142:143]
	v_add_f64_e32 v[140:141], v[184:185], v[182:183]
	v_fma_f64 v[142:143], v[4:5], v[142:143], -v[144:145]
	v_fmac_f64_e32 v[172:173], v[164:165], v[146:147]
	v_fma_f64 v[146:147], v[162:163], v[146:147], -v[148:149]
	v_add_f64_e32 v[170:171], v[170:171], v[176:177]
	v_add_f64_e32 v[144:145], v[140:141], v[138:139]
	ds_load_b128 v[4:7], v2 offset:1520
	ds_load_b128 v[138:141], v2 offset:1536
	s_wait_loadcnt_dscnt 0x901
	v_mul_f64_e32 v[174:175], v[4:5], v[156:157]
	v_mul_f64_e32 v[156:157], v[6:7], v[156:157]
	s_wait_loadcnt_dscnt 0x700
	v_mul_f64_e32 v[148:149], v[138:139], v[168:169]
	v_mul_f64_e32 v[162:163], v[140:141], v[168:169]
	v_add_f64_e32 v[142:143], v[144:145], v[142:143]
	v_add_f64_e32 v[144:145], v[170:171], v[180:181]
	v_fmac_f64_e32 v[174:175], v[6:7], v[154:155]
	v_fma_f64 v[154:155], v[4:5], v[154:155], -v[156:157]
	v_fmac_f64_e32 v[148:149], v[140:141], v[166:167]
	v_fma_f64 v[138:139], v[138:139], v[166:167], -v[162:163]
	v_add_f64_e32 v[146:147], v[142:143], v[146:147]
	v_add_f64_e32 v[156:157], v[144:145], v[172:173]
	ds_load_b128 v[4:7], v2 offset:1552
	ds_load_b128 v[142:145], v2 offset:1568
	s_wait_loadcnt_dscnt 0x601
	v_mul_f64_e32 v[164:165], v[4:5], v[152:153]
	v_mul_f64_e32 v[152:153], v[6:7], v[152:153]
	v_add_f64_e32 v[140:141], v[146:147], v[154:155]
	v_add_f64_e32 v[146:147], v[156:157], v[174:175]
	s_wait_loadcnt_dscnt 0x500
	v_mul_f64_e32 v[154:155], v[142:143], v[10:11]
	v_mul_f64_e32 v[10:11], v[144:145], v[10:11]
	v_fmac_f64_e32 v[164:165], v[6:7], v[150:151]
	v_fma_f64 v[150:151], v[4:5], v[150:151], -v[152:153]
	v_add_f64_e32 v[152:153], v[140:141], v[138:139]
	v_add_f64_e32 v[146:147], v[146:147], v[148:149]
	ds_load_b128 v[4:7], v2 offset:1584
	ds_load_b128 v[138:141], v2 offset:1600
	v_fmac_f64_e32 v[154:155], v[144:145], v[8:9]
	v_fma_f64 v[8:9], v[142:143], v[8:9], -v[10:11]
	s_wait_loadcnt_dscnt 0x401
	v_mul_f64_e32 v[148:149], v[4:5], v[14:15]
	v_mul_f64_e32 v[14:15], v[6:7], v[14:15]
	s_wait_loadcnt_dscnt 0x300
	v_mul_f64_e32 v[144:145], v[138:139], v[124:125]
	v_mul_f64_e32 v[124:125], v[140:141], v[124:125]
	v_add_f64_e32 v[10:11], v[152:153], v[150:151]
	v_add_f64_e32 v[142:143], v[146:147], v[164:165]
	v_fmac_f64_e32 v[148:149], v[6:7], v[12:13]
	v_fma_f64 v[12:13], v[4:5], v[12:13], -v[14:15]
	v_fmac_f64_e32 v[144:145], v[140:141], v[122:123]
	v_fma_f64 v[122:123], v[138:139], v[122:123], -v[124:125]
	v_add_f64_e32 v[14:15], v[10:11], v[8:9]
	v_add_f64_e32 v[142:143], v[142:143], v[154:155]
	ds_load_b128 v[4:7], v2 offset:1616
	ds_load_b128 v[8:11], v2 offset:1632
	s_wait_loadcnt_dscnt 0x201
	v_mul_f64_e32 v[146:147], v[4:5], v[128:129]
	v_mul_f64_e32 v[128:129], v[6:7], v[128:129]
	s_wait_loadcnt_dscnt 0x100
	v_mul_f64_e32 v[124:125], v[8:9], v[132:133]
	v_mul_f64_e32 v[132:133], v[10:11], v[132:133]
	v_add_f64_e32 v[12:13], v[14:15], v[12:13]
	v_add_f64_e32 v[14:15], v[142:143], v[148:149]
	v_fmac_f64_e32 v[146:147], v[6:7], v[126:127]
	v_fma_f64 v[126:127], v[4:5], v[126:127], -v[128:129]
	ds_load_b128 v[4:7], v2 offset:1648
	v_fmac_f64_e32 v[124:125], v[10:11], v[130:131]
	v_fma_f64 v[8:9], v[8:9], v[130:131], -v[132:133]
	v_add_f64_e32 v[12:13], v[12:13], v[122:123]
	v_add_f64_e32 v[14:15], v[14:15], v[144:145]
	s_wait_loadcnt_dscnt 0x0
	v_mul_f64_e32 v[122:123], v[4:5], v[136:137]
	v_mul_f64_e32 v[128:129], v[6:7], v[136:137]
	s_delay_alu instid0(VALU_DEP_4) | instskip(NEXT) | instid1(VALU_DEP_4)
	v_add_f64_e32 v[10:11], v[12:13], v[126:127]
	v_add_f64_e32 v[12:13], v[14:15], v[146:147]
	s_delay_alu instid0(VALU_DEP_4) | instskip(NEXT) | instid1(VALU_DEP_4)
	v_fmac_f64_e32 v[122:123], v[6:7], v[134:135]
	v_fma_f64 v[4:5], v[4:5], v[134:135], -v[128:129]
	s_delay_alu instid0(VALU_DEP_4) | instskip(NEXT) | instid1(VALU_DEP_4)
	v_add_f64_e32 v[6:7], v[10:11], v[8:9]
	v_add_f64_e32 v[8:9], v[12:13], v[124:125]
	s_delay_alu instid0(VALU_DEP_2) | instskip(NEXT) | instid1(VALU_DEP_2)
	v_add_f64_e32 v[4:5], v[6:7], v[4:5]
	v_add_f64_e32 v[6:7], v[8:9], v[122:123]
	s_delay_alu instid0(VALU_DEP_2) | instskip(NEXT) | instid1(VALU_DEP_2)
	v_add_f64_e64 v[4:5], v[158:159], -v[4:5]
	v_add_f64_e64 v[6:7], v[160:161], -v[6:7]
	scratch_store_b128 off, v[4:7], off offset:512
	s_wait_xcnt 0x0
	v_cmpx_lt_u32_e32 31, v1
	s_cbranch_execz .LBB115_263
; %bb.262:
	scratch_load_b128 v[6:9], off, s37
	v_dual_mov_b32 v3, v2 :: v_dual_mov_b32 v4, v2
	v_mov_b32_e32 v5, v2
	scratch_store_b128 off, v[2:5], off offset:496
	s_wait_loadcnt 0x0
	ds_store_b128 v120, v[6:9]
.LBB115_263:
	s_wait_xcnt 0x0
	s_or_b32 exec_lo, exec_lo, s2
	s_wait_storecnt_dscnt 0x0
	s_barrier_signal -1
	s_barrier_wait -1
	s_clause 0x9
	scratch_load_b128 v[4:7], off, off offset:512
	scratch_load_b128 v[8:11], off, off offset:528
	;; [unrolled: 1-line block ×10, first 2 shown]
	ds_load_b128 v[150:153], v2 offset:1344
	ds_load_b128 v[158:161], v2 offset:1360
	s_clause 0x2
	scratch_load_b128 v[154:157], off, off offset:672
	scratch_load_b128 v[162:165], off, off offset:496
	;; [unrolled: 1-line block ×3, first 2 shown]
	s_mov_b32 s2, exec_lo
	s_wait_loadcnt_dscnt 0xc01
	v_mul_f64_e32 v[170:171], v[152:153], v[6:7]
	v_mul_f64_e32 v[174:175], v[150:151], v[6:7]
	s_wait_loadcnt_dscnt 0xb00
	v_mul_f64_e32 v[176:177], v[158:159], v[10:11]
	v_mul_f64_e32 v[10:11], v[160:161], v[10:11]
	s_delay_alu instid0(VALU_DEP_4) | instskip(NEXT) | instid1(VALU_DEP_4)
	v_fma_f64 v[178:179], v[150:151], v[4:5], -v[170:171]
	v_fmac_f64_e32 v[174:175], v[152:153], v[4:5]
	ds_load_b128 v[4:7], v2 offset:1376
	ds_load_b128 v[150:153], v2 offset:1392
	scratch_load_b128 v[170:173], off, off offset:704
	v_fmac_f64_e32 v[176:177], v[160:161], v[8:9]
	v_fma_f64 v[158:159], v[158:159], v[8:9], -v[10:11]
	scratch_load_b128 v[8:11], off, off offset:720
	s_wait_loadcnt_dscnt 0xc01
	v_mul_f64_e32 v[180:181], v[4:5], v[14:15]
	v_mul_f64_e32 v[14:15], v[6:7], v[14:15]
	v_add_f64_e32 v[160:161], 0, v[178:179]
	v_add_f64_e32 v[174:175], 0, v[174:175]
	s_wait_loadcnt_dscnt 0xb00
	v_mul_f64_e32 v[178:179], v[150:151], v[124:125]
	v_mul_f64_e32 v[124:125], v[152:153], v[124:125]
	v_fmac_f64_e32 v[180:181], v[6:7], v[12:13]
	v_fma_f64 v[182:183], v[4:5], v[12:13], -v[14:15]
	ds_load_b128 v[4:7], v2 offset:1408
	ds_load_b128 v[12:15], v2 offset:1424
	v_add_f64_e32 v[184:185], v[160:161], v[158:159]
	v_add_f64_e32 v[174:175], v[174:175], v[176:177]
	scratch_load_b128 v[158:161], off, off offset:736
	v_fmac_f64_e32 v[178:179], v[152:153], v[122:123]
	v_fma_f64 v[150:151], v[150:151], v[122:123], -v[124:125]
	scratch_load_b128 v[122:125], off, off offset:752
	s_wait_loadcnt_dscnt 0xc01
	v_mul_f64_e32 v[176:177], v[4:5], v[128:129]
	v_mul_f64_e32 v[128:129], v[6:7], v[128:129]
	v_add_f64_e32 v[152:153], v[184:185], v[182:183]
	v_add_f64_e32 v[174:175], v[174:175], v[180:181]
	s_wait_loadcnt_dscnt 0xb00
	v_mul_f64_e32 v[180:181], v[12:13], v[132:133]
	v_mul_f64_e32 v[132:133], v[14:15], v[132:133]
	v_fmac_f64_e32 v[176:177], v[6:7], v[126:127]
	v_fma_f64 v[182:183], v[4:5], v[126:127], -v[128:129]
	ds_load_b128 v[4:7], v2 offset:1440
	ds_load_b128 v[126:129], v2 offset:1456
	v_add_f64_e32 v[184:185], v[152:153], v[150:151]
	v_add_f64_e32 v[174:175], v[174:175], v[178:179]
	scratch_load_b128 v[150:153], off, off offset:768
	s_wait_loadcnt_dscnt 0xb01
	v_mul_f64_e32 v[178:179], v[4:5], v[136:137]
	v_mul_f64_e32 v[136:137], v[6:7], v[136:137]
	v_fmac_f64_e32 v[180:181], v[14:15], v[130:131]
	v_fma_f64 v[130:131], v[12:13], v[130:131], -v[132:133]
	scratch_load_b128 v[12:15], off, off offset:784
	v_add_f64_e32 v[132:133], v[184:185], v[182:183]
	v_add_f64_e32 v[174:175], v[174:175], v[176:177]
	s_wait_loadcnt_dscnt 0xb00
	v_mul_f64_e32 v[176:177], v[126:127], v[140:141]
	v_mul_f64_e32 v[140:141], v[128:129], v[140:141]
	v_fmac_f64_e32 v[178:179], v[6:7], v[134:135]
	v_fma_f64 v[182:183], v[4:5], v[134:135], -v[136:137]
	v_add_f64_e32 v[184:185], v[132:133], v[130:131]
	v_add_f64_e32 v[174:175], v[174:175], v[180:181]
	ds_load_b128 v[4:7], v2 offset:1472
	ds_load_b128 v[130:133], v2 offset:1488
	scratch_load_b128 v[134:137], off, off offset:800
	v_fmac_f64_e32 v[176:177], v[128:129], v[138:139]
	v_fma_f64 v[138:139], v[126:127], v[138:139], -v[140:141]
	scratch_load_b128 v[126:129], off, off offset:816
	s_wait_loadcnt_dscnt 0xc01
	v_mul_f64_e32 v[180:181], v[4:5], v[144:145]
	v_mul_f64_e32 v[144:145], v[6:7], v[144:145]
	v_add_f64_e32 v[140:141], v[184:185], v[182:183]
	v_add_f64_e32 v[174:175], v[174:175], v[178:179]
	s_wait_loadcnt_dscnt 0xb00
	v_mul_f64_e32 v[178:179], v[130:131], v[148:149]
	v_mul_f64_e32 v[148:149], v[132:133], v[148:149]
	v_fmac_f64_e32 v[180:181], v[6:7], v[142:143]
	v_fma_f64 v[142:143], v[4:5], v[142:143], -v[144:145]
	v_add_f64_e32 v[144:145], v[140:141], v[138:139]
	v_add_f64_e32 v[174:175], v[174:175], v[176:177]
	ds_load_b128 v[4:7], v2 offset:1504
	ds_load_b128 v[138:141], v2 offset:1520
	v_fmac_f64_e32 v[178:179], v[132:133], v[146:147]
	v_fma_f64 v[130:131], v[130:131], v[146:147], -v[148:149]
	s_wait_loadcnt_dscnt 0xa01
	v_mul_f64_e32 v[176:177], v[4:5], v[156:157]
	v_mul_f64_e32 v[156:157], v[6:7], v[156:157]
	s_wait_loadcnt_dscnt 0x800
	v_mul_f64_e32 v[146:147], v[140:141], v[168:169]
	v_add_f64_e32 v[132:133], v[144:145], v[142:143]
	v_add_f64_e32 v[142:143], v[174:175], v[180:181]
	v_mul_f64_e32 v[144:145], v[138:139], v[168:169]
	v_fmac_f64_e32 v[176:177], v[6:7], v[154:155]
	v_fma_f64 v[148:149], v[4:5], v[154:155], -v[156:157]
	v_fma_f64 v[138:139], v[138:139], v[166:167], -v[146:147]
	v_add_f64_e32 v[154:155], v[132:133], v[130:131]
	v_add_f64_e32 v[142:143], v[142:143], v[178:179]
	ds_load_b128 v[4:7], v2 offset:1536
	ds_load_b128 v[130:133], v2 offset:1552
	v_fmac_f64_e32 v[144:145], v[140:141], v[166:167]
	s_wait_loadcnt_dscnt 0x701
	v_mul_f64_e32 v[156:157], v[4:5], v[172:173]
	v_mul_f64_e32 v[168:169], v[6:7], v[172:173]
	s_wait_loadcnt_dscnt 0x600
	v_mul_f64_e32 v[146:147], v[130:131], v[10:11]
	v_mul_f64_e32 v[10:11], v[132:133], v[10:11]
	v_add_f64_e32 v[140:141], v[154:155], v[148:149]
	v_add_f64_e32 v[142:143], v[142:143], v[176:177]
	v_fmac_f64_e32 v[156:157], v[6:7], v[170:171]
	v_fma_f64 v[148:149], v[4:5], v[170:171], -v[168:169]
	v_fmac_f64_e32 v[146:147], v[132:133], v[8:9]
	v_fma_f64 v[8:9], v[130:131], v[8:9], -v[10:11]
	v_add_f64_e32 v[154:155], v[140:141], v[138:139]
	v_add_f64_e32 v[142:143], v[142:143], v[144:145]
	ds_load_b128 v[4:7], v2 offset:1568
	ds_load_b128 v[138:141], v2 offset:1584
	s_wait_loadcnt_dscnt 0x501
	v_mul_f64_e32 v[144:145], v[4:5], v[160:161]
	v_mul_f64_e32 v[160:161], v[6:7], v[160:161]
	s_wait_loadcnt_dscnt 0x400
	v_mul_f64_e32 v[132:133], v[138:139], v[124:125]
	v_mul_f64_e32 v[124:125], v[140:141], v[124:125]
	v_add_f64_e32 v[10:11], v[154:155], v[148:149]
	v_add_f64_e32 v[130:131], v[142:143], v[156:157]
	v_fmac_f64_e32 v[144:145], v[6:7], v[158:159]
	v_fma_f64 v[142:143], v[4:5], v[158:159], -v[160:161]
	v_fmac_f64_e32 v[132:133], v[140:141], v[122:123]
	v_fma_f64 v[122:123], v[138:139], v[122:123], -v[124:125]
	v_add_f64_e32 v[148:149], v[10:11], v[8:9]
	v_add_f64_e32 v[130:131], v[130:131], v[146:147]
	ds_load_b128 v[4:7], v2 offset:1600
	ds_load_b128 v[8:11], v2 offset:1616
	s_wait_loadcnt_dscnt 0x301
	v_mul_f64_e32 v[146:147], v[4:5], v[152:153]
	v_mul_f64_e32 v[152:153], v[6:7], v[152:153]
	s_wait_loadcnt_dscnt 0x200
	v_mul_f64_e32 v[138:139], v[8:9], v[14:15]
	v_mul_f64_e32 v[14:15], v[10:11], v[14:15]
	v_add_f64_e32 v[124:125], v[148:149], v[142:143]
	v_add_f64_e32 v[130:131], v[130:131], v[144:145]
	v_fmac_f64_e32 v[146:147], v[6:7], v[150:151]
	v_fma_f64 v[140:141], v[4:5], v[150:151], -v[152:153]
	v_fmac_f64_e32 v[138:139], v[10:11], v[12:13]
	v_fma_f64 v[8:9], v[8:9], v[12:13], -v[14:15]
	v_add_f64_e32 v[142:143], v[124:125], v[122:123]
	v_add_f64_e32 v[130:131], v[130:131], v[132:133]
	ds_load_b128 v[4:7], v2 offset:1632
	ds_load_b128 v[122:125], v2 offset:1648
	s_wait_loadcnt_dscnt 0x101
	v_mul_f64_e32 v[2:3], v[4:5], v[136:137]
	v_mul_f64_e32 v[132:133], v[6:7], v[136:137]
	s_wait_loadcnt_dscnt 0x0
	v_mul_f64_e32 v[14:15], v[122:123], v[128:129]
	v_mul_f64_e32 v[128:129], v[124:125], v[128:129]
	v_add_f64_e32 v[10:11], v[142:143], v[140:141]
	v_add_f64_e32 v[12:13], v[130:131], v[146:147]
	v_fmac_f64_e32 v[2:3], v[6:7], v[134:135]
	v_fma_f64 v[4:5], v[4:5], v[134:135], -v[132:133]
	v_fmac_f64_e32 v[14:15], v[124:125], v[126:127]
	v_add_f64_e32 v[6:7], v[10:11], v[8:9]
	v_add_f64_e32 v[8:9], v[12:13], v[138:139]
	v_fma_f64 v[10:11], v[122:123], v[126:127], -v[128:129]
	s_delay_alu instid0(VALU_DEP_3) | instskip(NEXT) | instid1(VALU_DEP_3)
	v_add_f64_e32 v[4:5], v[6:7], v[4:5]
	v_add_f64_e32 v[2:3], v[8:9], v[2:3]
	s_delay_alu instid0(VALU_DEP_2) | instskip(NEXT) | instid1(VALU_DEP_2)
	v_add_f64_e32 v[4:5], v[4:5], v[10:11]
	v_add_f64_e32 v[6:7], v[2:3], v[14:15]
	s_delay_alu instid0(VALU_DEP_2) | instskip(NEXT) | instid1(VALU_DEP_2)
	v_add_f64_e64 v[2:3], v[162:163], -v[4:5]
	v_add_f64_e64 v[4:5], v[164:165], -v[6:7]
	scratch_store_b128 off, v[2:5], off offset:496
	s_wait_xcnt 0x0
	v_cmpx_lt_u32_e32 30, v1
	s_cbranch_execz .LBB115_265
; %bb.264:
	scratch_load_b128 v[2:5], off, s38
	v_mov_b32_e32 v6, 0
	s_delay_alu instid0(VALU_DEP_1)
	v_dual_mov_b32 v7, v6 :: v_dual_mov_b32 v8, v6
	v_mov_b32_e32 v9, v6
	scratch_store_b128 off, v[6:9], off offset:480
	s_wait_loadcnt 0x0
	ds_store_b128 v120, v[2:5]
.LBB115_265:
	s_wait_xcnt 0x0
	s_or_b32 exec_lo, exec_lo, s2
	s_wait_storecnt_dscnt 0x0
	s_barrier_signal -1
	s_barrier_wait -1
	s_clause 0x9
	scratch_load_b128 v[4:7], off, off offset:496
	scratch_load_b128 v[8:11], off, off offset:512
	;; [unrolled: 1-line block ×10, first 2 shown]
	v_mov_b32_e32 v2, 0
	s_mov_b32 s2, exec_lo
	ds_load_b128 v[150:153], v2 offset:1328
	s_clause 0x2
	scratch_load_b128 v[154:157], off, off offset:656
	scratch_load_b128 v[158:161], off, off offset:480
	scratch_load_b128 v[166:169], off, off offset:672
	s_wait_loadcnt_dscnt 0xc00
	v_mul_f64_e32 v[170:171], v[152:153], v[6:7]
	v_mul_f64_e32 v[174:175], v[150:151], v[6:7]
	ds_load_b128 v[162:165], v2 offset:1344
	v_fma_f64 v[178:179], v[150:151], v[4:5], -v[170:171]
	v_fmac_f64_e32 v[174:175], v[152:153], v[4:5]
	ds_load_b128 v[4:7], v2 offset:1360
	s_wait_loadcnt_dscnt 0xb01
	v_mul_f64_e32 v[176:177], v[162:163], v[10:11]
	v_mul_f64_e32 v[10:11], v[164:165], v[10:11]
	scratch_load_b128 v[150:153], off, off offset:688
	ds_load_b128 v[170:173], v2 offset:1376
	s_wait_loadcnt_dscnt 0xb01
	v_mul_f64_e32 v[180:181], v[4:5], v[14:15]
	v_mul_f64_e32 v[14:15], v[6:7], v[14:15]
	v_add_f64_e32 v[174:175], 0, v[174:175]
	v_fmac_f64_e32 v[176:177], v[164:165], v[8:9]
	v_fma_f64 v[162:163], v[162:163], v[8:9], -v[10:11]
	v_add_f64_e32 v[164:165], 0, v[178:179]
	scratch_load_b128 v[8:11], off, off offset:704
	v_fmac_f64_e32 v[180:181], v[6:7], v[12:13]
	v_fma_f64 v[182:183], v[4:5], v[12:13], -v[14:15]
	ds_load_b128 v[4:7], v2 offset:1392
	s_wait_loadcnt_dscnt 0xb01
	v_mul_f64_e32 v[178:179], v[170:171], v[124:125]
	v_mul_f64_e32 v[124:125], v[172:173], v[124:125]
	scratch_load_b128 v[12:15], off, off offset:720
	v_add_f64_e32 v[174:175], v[174:175], v[176:177]
	v_add_f64_e32 v[184:185], v[164:165], v[162:163]
	ds_load_b128 v[162:165], v2 offset:1408
	s_wait_loadcnt_dscnt 0xb01
	v_mul_f64_e32 v[176:177], v[4:5], v[128:129]
	v_mul_f64_e32 v[128:129], v[6:7], v[128:129]
	v_fmac_f64_e32 v[178:179], v[172:173], v[122:123]
	v_fma_f64 v[170:171], v[170:171], v[122:123], -v[124:125]
	scratch_load_b128 v[122:125], off, off offset:736
	v_add_f64_e32 v[174:175], v[174:175], v[180:181]
	v_add_f64_e32 v[172:173], v[184:185], v[182:183]
	v_fmac_f64_e32 v[176:177], v[6:7], v[126:127]
	v_fma_f64 v[182:183], v[4:5], v[126:127], -v[128:129]
	ds_load_b128 v[4:7], v2 offset:1424
	s_wait_loadcnt_dscnt 0xb01
	v_mul_f64_e32 v[180:181], v[162:163], v[132:133]
	v_mul_f64_e32 v[132:133], v[164:165], v[132:133]
	scratch_load_b128 v[126:129], off, off offset:752
	v_add_f64_e32 v[174:175], v[174:175], v[178:179]
	s_wait_loadcnt_dscnt 0xb00
	v_mul_f64_e32 v[178:179], v[4:5], v[136:137]
	v_add_f64_e32 v[184:185], v[172:173], v[170:171]
	v_mul_f64_e32 v[136:137], v[6:7], v[136:137]
	ds_load_b128 v[170:173], v2 offset:1440
	v_fmac_f64_e32 v[180:181], v[164:165], v[130:131]
	v_fma_f64 v[162:163], v[162:163], v[130:131], -v[132:133]
	scratch_load_b128 v[130:133], off, off offset:768
	v_add_f64_e32 v[174:175], v[174:175], v[176:177]
	v_fmac_f64_e32 v[178:179], v[6:7], v[134:135]
	v_add_f64_e32 v[164:165], v[184:185], v[182:183]
	v_fma_f64 v[182:183], v[4:5], v[134:135], -v[136:137]
	ds_load_b128 v[4:7], v2 offset:1456
	s_wait_loadcnt_dscnt 0xb01
	v_mul_f64_e32 v[176:177], v[170:171], v[140:141]
	v_mul_f64_e32 v[140:141], v[172:173], v[140:141]
	scratch_load_b128 v[134:137], off, off offset:784
	v_add_f64_e32 v[174:175], v[174:175], v[180:181]
	s_wait_loadcnt_dscnt 0xb00
	v_mul_f64_e32 v[180:181], v[4:5], v[144:145]
	v_add_f64_e32 v[184:185], v[164:165], v[162:163]
	v_mul_f64_e32 v[144:145], v[6:7], v[144:145]
	ds_load_b128 v[162:165], v2 offset:1472
	v_fmac_f64_e32 v[176:177], v[172:173], v[138:139]
	v_fma_f64 v[170:171], v[170:171], v[138:139], -v[140:141]
	scratch_load_b128 v[138:141], off, off offset:800
	v_add_f64_e32 v[174:175], v[174:175], v[178:179]
	v_fmac_f64_e32 v[180:181], v[6:7], v[142:143]
	v_add_f64_e32 v[172:173], v[184:185], v[182:183]
	v_fma_f64 v[182:183], v[4:5], v[142:143], -v[144:145]
	ds_load_b128 v[4:7], v2 offset:1488
	s_wait_loadcnt_dscnt 0xb01
	v_mul_f64_e32 v[178:179], v[162:163], v[148:149]
	v_mul_f64_e32 v[148:149], v[164:165], v[148:149]
	scratch_load_b128 v[142:145], off, off offset:816
	v_add_f64_e32 v[174:175], v[174:175], v[176:177]
	s_wait_loadcnt_dscnt 0xb00
	v_mul_f64_e32 v[176:177], v[4:5], v[156:157]
	v_add_f64_e32 v[184:185], v[172:173], v[170:171]
	v_mul_f64_e32 v[156:157], v[6:7], v[156:157]
	ds_load_b128 v[170:173], v2 offset:1504
	v_fmac_f64_e32 v[178:179], v[164:165], v[146:147]
	v_fma_f64 v[146:147], v[162:163], v[146:147], -v[148:149]
	s_wait_loadcnt_dscnt 0x900
	v_mul_f64_e32 v[164:165], v[170:171], v[168:169]
	v_mul_f64_e32 v[168:169], v[172:173], v[168:169]
	v_add_f64_e32 v[162:163], v[174:175], v[180:181]
	v_fmac_f64_e32 v[176:177], v[6:7], v[154:155]
	v_add_f64_e32 v[148:149], v[184:185], v[182:183]
	v_fma_f64 v[154:155], v[4:5], v[154:155], -v[156:157]
	v_fmac_f64_e32 v[164:165], v[172:173], v[166:167]
	v_fma_f64 v[166:167], v[170:171], v[166:167], -v[168:169]
	v_add_f64_e32 v[162:163], v[162:163], v[178:179]
	v_add_f64_e32 v[156:157], v[148:149], v[146:147]
	ds_load_b128 v[4:7], v2 offset:1520
	ds_load_b128 v[146:149], v2 offset:1536
	s_wait_loadcnt_dscnt 0x801
	v_mul_f64_e32 v[174:175], v[4:5], v[152:153]
	v_mul_f64_e32 v[152:153], v[6:7], v[152:153]
	v_add_f64_e32 v[154:155], v[156:157], v[154:155]
	v_add_f64_e32 v[156:157], v[162:163], v[176:177]
	s_wait_loadcnt_dscnt 0x700
	v_mul_f64_e32 v[162:163], v[146:147], v[10:11]
	v_mul_f64_e32 v[10:11], v[148:149], v[10:11]
	v_fmac_f64_e32 v[174:175], v[6:7], v[150:151]
	v_fma_f64 v[168:169], v[4:5], v[150:151], -v[152:153]
	ds_load_b128 v[4:7], v2 offset:1552
	ds_load_b128 v[150:153], v2 offset:1568
	v_add_f64_e32 v[154:155], v[154:155], v[166:167]
	v_add_f64_e32 v[156:157], v[156:157], v[164:165]
	v_fmac_f64_e32 v[162:163], v[148:149], v[8:9]
	v_fma_f64 v[8:9], v[146:147], v[8:9], -v[10:11]
	s_wait_loadcnt_dscnt 0x601
	v_mul_f64_e32 v[164:165], v[4:5], v[14:15]
	v_mul_f64_e32 v[14:15], v[6:7], v[14:15]
	s_wait_loadcnt_dscnt 0x500
	v_mul_f64_e32 v[148:149], v[150:151], v[124:125]
	v_mul_f64_e32 v[124:125], v[152:153], v[124:125]
	v_add_f64_e32 v[10:11], v[154:155], v[168:169]
	v_add_f64_e32 v[146:147], v[156:157], v[174:175]
	v_fmac_f64_e32 v[164:165], v[6:7], v[12:13]
	v_fma_f64 v[12:13], v[4:5], v[12:13], -v[14:15]
	v_fmac_f64_e32 v[148:149], v[152:153], v[122:123]
	v_fma_f64 v[122:123], v[150:151], v[122:123], -v[124:125]
	v_add_f64_e32 v[14:15], v[10:11], v[8:9]
	v_add_f64_e32 v[146:147], v[146:147], v[162:163]
	ds_load_b128 v[4:7], v2 offset:1584
	ds_load_b128 v[8:11], v2 offset:1600
	s_wait_loadcnt_dscnt 0x401
	v_mul_f64_e32 v[154:155], v[4:5], v[128:129]
	v_mul_f64_e32 v[128:129], v[6:7], v[128:129]
	s_wait_loadcnt_dscnt 0x300
	v_mul_f64_e32 v[124:125], v[8:9], v[132:133]
	v_mul_f64_e32 v[132:133], v[10:11], v[132:133]
	v_add_f64_e32 v[12:13], v[14:15], v[12:13]
	v_add_f64_e32 v[14:15], v[146:147], v[164:165]
	v_fmac_f64_e32 v[154:155], v[6:7], v[126:127]
	v_fma_f64 v[126:127], v[4:5], v[126:127], -v[128:129]
	v_fmac_f64_e32 v[124:125], v[10:11], v[130:131]
	v_fma_f64 v[8:9], v[8:9], v[130:131], -v[132:133]
	v_add_f64_e32 v[122:123], v[12:13], v[122:123]
	v_add_f64_e32 v[128:129], v[14:15], v[148:149]
	ds_load_b128 v[4:7], v2 offset:1616
	ds_load_b128 v[12:15], v2 offset:1632
	s_wait_loadcnt_dscnt 0x201
	v_mul_f64_e32 v[146:147], v[4:5], v[136:137]
	v_mul_f64_e32 v[136:137], v[6:7], v[136:137]
	v_add_f64_e32 v[10:11], v[122:123], v[126:127]
	v_add_f64_e32 v[122:123], v[128:129], v[154:155]
	s_wait_loadcnt_dscnt 0x100
	v_mul_f64_e32 v[126:127], v[12:13], v[140:141]
	v_mul_f64_e32 v[128:129], v[14:15], v[140:141]
	v_fmac_f64_e32 v[146:147], v[6:7], v[134:135]
	v_fma_f64 v[130:131], v[4:5], v[134:135], -v[136:137]
	ds_load_b128 v[4:7], v2 offset:1648
	v_add_f64_e32 v[8:9], v[10:11], v[8:9]
	v_add_f64_e32 v[10:11], v[122:123], v[124:125]
	v_fmac_f64_e32 v[126:127], v[14:15], v[138:139]
	v_fma_f64 v[12:13], v[12:13], v[138:139], -v[128:129]
	s_wait_loadcnt_dscnt 0x0
	v_mul_f64_e32 v[122:123], v[4:5], v[144:145]
	v_mul_f64_e32 v[124:125], v[6:7], v[144:145]
	v_add_f64_e32 v[8:9], v[8:9], v[130:131]
	v_add_f64_e32 v[10:11], v[10:11], v[146:147]
	s_delay_alu instid0(VALU_DEP_4) | instskip(NEXT) | instid1(VALU_DEP_4)
	v_fmac_f64_e32 v[122:123], v[6:7], v[142:143]
	v_fma_f64 v[4:5], v[4:5], v[142:143], -v[124:125]
	s_delay_alu instid0(VALU_DEP_4) | instskip(NEXT) | instid1(VALU_DEP_4)
	v_add_f64_e32 v[6:7], v[8:9], v[12:13]
	v_add_f64_e32 v[8:9], v[10:11], v[126:127]
	s_delay_alu instid0(VALU_DEP_2) | instskip(NEXT) | instid1(VALU_DEP_2)
	v_add_f64_e32 v[4:5], v[6:7], v[4:5]
	v_add_f64_e32 v[6:7], v[8:9], v[122:123]
	s_delay_alu instid0(VALU_DEP_2) | instskip(NEXT) | instid1(VALU_DEP_2)
	v_add_f64_e64 v[4:5], v[158:159], -v[4:5]
	v_add_f64_e64 v[6:7], v[160:161], -v[6:7]
	scratch_store_b128 off, v[4:7], off offset:480
	s_wait_xcnt 0x0
	v_cmpx_lt_u32_e32 29, v1
	s_cbranch_execz .LBB115_267
; %bb.266:
	scratch_load_b128 v[6:9], off, s39
	v_dual_mov_b32 v3, v2 :: v_dual_mov_b32 v4, v2
	v_mov_b32_e32 v5, v2
	scratch_store_b128 off, v[2:5], off offset:464
	s_wait_loadcnt 0x0
	ds_store_b128 v120, v[6:9]
.LBB115_267:
	s_wait_xcnt 0x0
	s_or_b32 exec_lo, exec_lo, s2
	s_wait_storecnt_dscnt 0x0
	s_barrier_signal -1
	s_barrier_wait -1
	s_clause 0x9
	scratch_load_b128 v[4:7], off, off offset:480
	scratch_load_b128 v[8:11], off, off offset:496
	;; [unrolled: 1-line block ×10, first 2 shown]
	ds_load_b128 v[150:153], v2 offset:1312
	ds_load_b128 v[158:161], v2 offset:1328
	s_clause 0x2
	scratch_load_b128 v[154:157], off, off offset:640
	scratch_load_b128 v[162:165], off, off offset:464
	;; [unrolled: 1-line block ×3, first 2 shown]
	s_mov_b32 s2, exec_lo
	s_wait_loadcnt_dscnt 0xc01
	v_mul_f64_e32 v[170:171], v[152:153], v[6:7]
	v_mul_f64_e32 v[174:175], v[150:151], v[6:7]
	s_wait_loadcnt_dscnt 0xb00
	v_mul_f64_e32 v[176:177], v[158:159], v[10:11]
	v_mul_f64_e32 v[10:11], v[160:161], v[10:11]
	s_delay_alu instid0(VALU_DEP_4) | instskip(NEXT) | instid1(VALU_DEP_4)
	v_fma_f64 v[178:179], v[150:151], v[4:5], -v[170:171]
	v_fmac_f64_e32 v[174:175], v[152:153], v[4:5]
	ds_load_b128 v[4:7], v2 offset:1344
	ds_load_b128 v[150:153], v2 offset:1360
	scratch_load_b128 v[170:173], off, off offset:672
	v_fmac_f64_e32 v[176:177], v[160:161], v[8:9]
	v_fma_f64 v[158:159], v[158:159], v[8:9], -v[10:11]
	scratch_load_b128 v[8:11], off, off offset:688
	s_wait_loadcnt_dscnt 0xc01
	v_mul_f64_e32 v[180:181], v[4:5], v[14:15]
	v_mul_f64_e32 v[14:15], v[6:7], v[14:15]
	v_add_f64_e32 v[160:161], 0, v[178:179]
	v_add_f64_e32 v[174:175], 0, v[174:175]
	s_wait_loadcnt_dscnt 0xb00
	v_mul_f64_e32 v[178:179], v[150:151], v[124:125]
	v_mul_f64_e32 v[124:125], v[152:153], v[124:125]
	v_fmac_f64_e32 v[180:181], v[6:7], v[12:13]
	v_fma_f64 v[182:183], v[4:5], v[12:13], -v[14:15]
	ds_load_b128 v[4:7], v2 offset:1376
	ds_load_b128 v[12:15], v2 offset:1392
	v_add_f64_e32 v[184:185], v[160:161], v[158:159]
	v_add_f64_e32 v[174:175], v[174:175], v[176:177]
	scratch_load_b128 v[158:161], off, off offset:704
	v_fmac_f64_e32 v[178:179], v[152:153], v[122:123]
	v_fma_f64 v[150:151], v[150:151], v[122:123], -v[124:125]
	scratch_load_b128 v[122:125], off, off offset:720
	s_wait_loadcnt_dscnt 0xc01
	v_mul_f64_e32 v[176:177], v[4:5], v[128:129]
	v_mul_f64_e32 v[128:129], v[6:7], v[128:129]
	v_add_f64_e32 v[152:153], v[184:185], v[182:183]
	v_add_f64_e32 v[174:175], v[174:175], v[180:181]
	s_wait_loadcnt_dscnt 0xb00
	v_mul_f64_e32 v[180:181], v[12:13], v[132:133]
	v_mul_f64_e32 v[132:133], v[14:15], v[132:133]
	v_fmac_f64_e32 v[176:177], v[6:7], v[126:127]
	v_fma_f64 v[182:183], v[4:5], v[126:127], -v[128:129]
	ds_load_b128 v[4:7], v2 offset:1408
	ds_load_b128 v[126:129], v2 offset:1424
	v_add_f64_e32 v[184:185], v[152:153], v[150:151]
	v_add_f64_e32 v[174:175], v[174:175], v[178:179]
	scratch_load_b128 v[150:153], off, off offset:736
	s_wait_loadcnt_dscnt 0xb01
	v_mul_f64_e32 v[178:179], v[4:5], v[136:137]
	v_mul_f64_e32 v[136:137], v[6:7], v[136:137]
	v_fmac_f64_e32 v[180:181], v[14:15], v[130:131]
	v_fma_f64 v[130:131], v[12:13], v[130:131], -v[132:133]
	scratch_load_b128 v[12:15], off, off offset:752
	v_add_f64_e32 v[132:133], v[184:185], v[182:183]
	v_add_f64_e32 v[174:175], v[174:175], v[176:177]
	s_wait_loadcnt_dscnt 0xb00
	v_mul_f64_e32 v[176:177], v[126:127], v[140:141]
	v_mul_f64_e32 v[140:141], v[128:129], v[140:141]
	v_fmac_f64_e32 v[178:179], v[6:7], v[134:135]
	v_fma_f64 v[182:183], v[4:5], v[134:135], -v[136:137]
	v_add_f64_e32 v[184:185], v[132:133], v[130:131]
	v_add_f64_e32 v[174:175], v[174:175], v[180:181]
	ds_load_b128 v[4:7], v2 offset:1440
	ds_load_b128 v[130:133], v2 offset:1456
	scratch_load_b128 v[134:137], off, off offset:768
	v_fmac_f64_e32 v[176:177], v[128:129], v[138:139]
	v_fma_f64 v[138:139], v[126:127], v[138:139], -v[140:141]
	scratch_load_b128 v[126:129], off, off offset:784
	s_wait_loadcnt_dscnt 0xc01
	v_mul_f64_e32 v[180:181], v[4:5], v[144:145]
	v_mul_f64_e32 v[144:145], v[6:7], v[144:145]
	v_add_f64_e32 v[140:141], v[184:185], v[182:183]
	v_add_f64_e32 v[174:175], v[174:175], v[178:179]
	s_wait_loadcnt_dscnt 0xb00
	v_mul_f64_e32 v[178:179], v[130:131], v[148:149]
	v_mul_f64_e32 v[148:149], v[132:133], v[148:149]
	v_fmac_f64_e32 v[180:181], v[6:7], v[142:143]
	v_fma_f64 v[182:183], v[4:5], v[142:143], -v[144:145]
	v_add_f64_e32 v[184:185], v[140:141], v[138:139]
	v_add_f64_e32 v[174:175], v[174:175], v[176:177]
	ds_load_b128 v[4:7], v2 offset:1472
	ds_load_b128 v[138:141], v2 offset:1488
	scratch_load_b128 v[142:145], off, off offset:800
	v_fmac_f64_e32 v[178:179], v[132:133], v[146:147]
	v_fma_f64 v[146:147], v[130:131], v[146:147], -v[148:149]
	scratch_load_b128 v[130:133], off, off offset:816
	s_wait_loadcnt_dscnt 0xc01
	v_mul_f64_e32 v[176:177], v[4:5], v[156:157]
	v_mul_f64_e32 v[156:157], v[6:7], v[156:157]
	v_add_f64_e32 v[148:149], v[184:185], v[182:183]
	v_add_f64_e32 v[174:175], v[174:175], v[180:181]
	s_wait_loadcnt_dscnt 0xa00
	v_mul_f64_e32 v[180:181], v[138:139], v[168:169]
	v_mul_f64_e32 v[168:169], v[140:141], v[168:169]
	v_fmac_f64_e32 v[176:177], v[6:7], v[154:155]
	v_fma_f64 v[154:155], v[4:5], v[154:155], -v[156:157]
	v_add_f64_e32 v[156:157], v[148:149], v[146:147]
	v_add_f64_e32 v[174:175], v[174:175], v[178:179]
	ds_load_b128 v[4:7], v2 offset:1504
	ds_load_b128 v[146:149], v2 offset:1520
	v_fmac_f64_e32 v[180:181], v[140:141], v[166:167]
	v_fma_f64 v[138:139], v[138:139], v[166:167], -v[168:169]
	s_wait_loadcnt_dscnt 0x901
	v_mul_f64_e32 v[178:179], v[4:5], v[172:173]
	v_mul_f64_e32 v[172:173], v[6:7], v[172:173]
	v_add_f64_e32 v[140:141], v[156:157], v[154:155]
	v_add_f64_e32 v[154:155], v[174:175], v[176:177]
	s_wait_loadcnt_dscnt 0x800
	v_mul_f64_e32 v[156:157], v[146:147], v[10:11]
	v_mul_f64_e32 v[10:11], v[148:149], v[10:11]
	v_fmac_f64_e32 v[178:179], v[6:7], v[170:171]
	v_fma_f64 v[166:167], v[4:5], v[170:171], -v[172:173]
	v_add_f64_e32 v[168:169], v[140:141], v[138:139]
	v_add_f64_e32 v[154:155], v[154:155], v[180:181]
	ds_load_b128 v[4:7], v2 offset:1536
	ds_load_b128 v[138:141], v2 offset:1552
	v_fmac_f64_e32 v[156:157], v[148:149], v[8:9]
	v_fma_f64 v[8:9], v[146:147], v[8:9], -v[10:11]
	s_wait_loadcnt_dscnt 0x701
	v_mul_f64_e32 v[170:171], v[4:5], v[160:161]
	v_mul_f64_e32 v[160:161], v[6:7], v[160:161]
	s_wait_loadcnt_dscnt 0x600
	v_mul_f64_e32 v[148:149], v[138:139], v[124:125]
	v_mul_f64_e32 v[124:125], v[140:141], v[124:125]
	v_add_f64_e32 v[10:11], v[168:169], v[166:167]
	v_add_f64_e32 v[146:147], v[154:155], v[178:179]
	v_fmac_f64_e32 v[170:171], v[6:7], v[158:159]
	v_fma_f64 v[154:155], v[4:5], v[158:159], -v[160:161]
	v_fmac_f64_e32 v[148:149], v[140:141], v[122:123]
	v_fma_f64 v[122:123], v[138:139], v[122:123], -v[124:125]
	v_add_f64_e32 v[158:159], v[10:11], v[8:9]
	v_add_f64_e32 v[146:147], v[146:147], v[156:157]
	ds_load_b128 v[4:7], v2 offset:1568
	ds_load_b128 v[8:11], v2 offset:1584
	s_wait_loadcnt_dscnt 0x501
	v_mul_f64_e32 v[156:157], v[4:5], v[152:153]
	v_mul_f64_e32 v[152:153], v[6:7], v[152:153]
	s_wait_loadcnt_dscnt 0x400
	v_mul_f64_e32 v[140:141], v[8:9], v[14:15]
	v_mul_f64_e32 v[14:15], v[10:11], v[14:15]
	v_add_f64_e32 v[124:125], v[158:159], v[154:155]
	v_add_f64_e32 v[138:139], v[146:147], v[170:171]
	v_fmac_f64_e32 v[156:157], v[6:7], v[150:151]
	v_fma_f64 v[146:147], v[4:5], v[150:151], -v[152:153]
	v_fmac_f64_e32 v[140:141], v[10:11], v[12:13]
	v_fma_f64 v[8:9], v[8:9], v[12:13], -v[14:15]
	v_add_f64_e32 v[150:151], v[124:125], v[122:123]
	v_add_f64_e32 v[138:139], v[138:139], v[148:149]
	ds_load_b128 v[4:7], v2 offset:1600
	ds_load_b128 v[122:125], v2 offset:1616
	;; [unrolled: 16-line block ×3, first 2 shown]
	s_wait_loadcnt_dscnt 0x101
	v_mul_f64_e32 v[2:3], v[4:5], v[144:145]
	v_mul_f64_e32 v[138:139], v[6:7], v[144:145]
	s_wait_loadcnt_dscnt 0x0
	v_mul_f64_e32 v[126:127], v[8:9], v[132:133]
	v_mul_f64_e32 v[128:129], v[10:11], v[132:133]
	v_add_f64_e32 v[124:125], v[136:137], v[134:135]
	v_add_f64_e32 v[12:13], v[12:13], v[148:149]
	v_fmac_f64_e32 v[2:3], v[6:7], v[142:143]
	v_fma_f64 v[4:5], v[4:5], v[142:143], -v[138:139]
	v_fmac_f64_e32 v[126:127], v[10:11], v[130:131]
	v_fma_f64 v[8:9], v[8:9], v[130:131], -v[128:129]
	v_add_f64_e32 v[6:7], v[124:125], v[122:123]
	v_add_f64_e32 v[12:13], v[12:13], v[14:15]
	s_delay_alu instid0(VALU_DEP_2) | instskip(NEXT) | instid1(VALU_DEP_2)
	v_add_f64_e32 v[4:5], v[6:7], v[4:5]
	v_add_f64_e32 v[2:3], v[12:13], v[2:3]
	s_delay_alu instid0(VALU_DEP_2) | instskip(NEXT) | instid1(VALU_DEP_2)
	;; [unrolled: 3-line block ×3, first 2 shown]
	v_add_f64_e64 v[2:3], v[162:163], -v[4:5]
	v_add_f64_e64 v[4:5], v[164:165], -v[6:7]
	scratch_store_b128 off, v[2:5], off offset:464
	s_wait_xcnt 0x0
	v_cmpx_lt_u32_e32 28, v1
	s_cbranch_execz .LBB115_269
; %bb.268:
	scratch_load_b128 v[2:5], off, s40
	v_mov_b32_e32 v6, 0
	s_delay_alu instid0(VALU_DEP_1)
	v_dual_mov_b32 v7, v6 :: v_dual_mov_b32 v8, v6
	v_mov_b32_e32 v9, v6
	scratch_store_b128 off, v[6:9], off offset:448
	s_wait_loadcnt 0x0
	ds_store_b128 v120, v[2:5]
.LBB115_269:
	s_wait_xcnt 0x0
	s_or_b32 exec_lo, exec_lo, s2
	s_wait_storecnt_dscnt 0x0
	s_barrier_signal -1
	s_barrier_wait -1
	s_clause 0x9
	scratch_load_b128 v[4:7], off, off offset:464
	scratch_load_b128 v[8:11], off, off offset:480
	scratch_load_b128 v[12:15], off, off offset:496
	scratch_load_b128 v[122:125], off, off offset:512
	scratch_load_b128 v[126:129], off, off offset:528
	scratch_load_b128 v[130:133], off, off offset:544
	scratch_load_b128 v[134:137], off, off offset:560
	scratch_load_b128 v[138:141], off, off offset:576
	scratch_load_b128 v[142:145], off, off offset:592
	scratch_load_b128 v[146:149], off, off offset:608
	v_mov_b32_e32 v2, 0
	s_mov_b32 s2, exec_lo
	ds_load_b128 v[150:153], v2 offset:1296
	s_clause 0x2
	scratch_load_b128 v[154:157], off, off offset:624
	scratch_load_b128 v[158:161], off, off offset:448
	;; [unrolled: 1-line block ×3, first 2 shown]
	s_wait_loadcnt_dscnt 0xc00
	v_mul_f64_e32 v[170:171], v[152:153], v[6:7]
	v_mul_f64_e32 v[174:175], v[150:151], v[6:7]
	ds_load_b128 v[162:165], v2 offset:1312
	v_fma_f64 v[178:179], v[150:151], v[4:5], -v[170:171]
	v_fmac_f64_e32 v[174:175], v[152:153], v[4:5]
	ds_load_b128 v[4:7], v2 offset:1328
	s_wait_loadcnt_dscnt 0xb01
	v_mul_f64_e32 v[176:177], v[162:163], v[10:11]
	v_mul_f64_e32 v[10:11], v[164:165], v[10:11]
	scratch_load_b128 v[150:153], off, off offset:656
	ds_load_b128 v[170:173], v2 offset:1344
	s_wait_loadcnt_dscnt 0xb01
	v_mul_f64_e32 v[180:181], v[4:5], v[14:15]
	v_mul_f64_e32 v[14:15], v[6:7], v[14:15]
	v_add_f64_e32 v[174:175], 0, v[174:175]
	v_fmac_f64_e32 v[176:177], v[164:165], v[8:9]
	v_fma_f64 v[162:163], v[162:163], v[8:9], -v[10:11]
	v_add_f64_e32 v[164:165], 0, v[178:179]
	scratch_load_b128 v[8:11], off, off offset:672
	v_fmac_f64_e32 v[180:181], v[6:7], v[12:13]
	v_fma_f64 v[182:183], v[4:5], v[12:13], -v[14:15]
	ds_load_b128 v[4:7], v2 offset:1360
	s_wait_loadcnt_dscnt 0xb01
	v_mul_f64_e32 v[178:179], v[170:171], v[124:125]
	v_mul_f64_e32 v[124:125], v[172:173], v[124:125]
	scratch_load_b128 v[12:15], off, off offset:688
	v_add_f64_e32 v[174:175], v[174:175], v[176:177]
	v_add_f64_e32 v[184:185], v[164:165], v[162:163]
	ds_load_b128 v[162:165], v2 offset:1376
	s_wait_loadcnt_dscnt 0xb01
	v_mul_f64_e32 v[176:177], v[4:5], v[128:129]
	v_mul_f64_e32 v[128:129], v[6:7], v[128:129]
	v_fmac_f64_e32 v[178:179], v[172:173], v[122:123]
	v_fma_f64 v[170:171], v[170:171], v[122:123], -v[124:125]
	scratch_load_b128 v[122:125], off, off offset:704
	v_add_f64_e32 v[174:175], v[174:175], v[180:181]
	v_add_f64_e32 v[172:173], v[184:185], v[182:183]
	v_fmac_f64_e32 v[176:177], v[6:7], v[126:127]
	v_fma_f64 v[182:183], v[4:5], v[126:127], -v[128:129]
	ds_load_b128 v[4:7], v2 offset:1392
	s_wait_loadcnt_dscnt 0xb01
	v_mul_f64_e32 v[180:181], v[162:163], v[132:133]
	v_mul_f64_e32 v[132:133], v[164:165], v[132:133]
	scratch_load_b128 v[126:129], off, off offset:720
	v_add_f64_e32 v[174:175], v[174:175], v[178:179]
	s_wait_loadcnt_dscnt 0xb00
	v_mul_f64_e32 v[178:179], v[4:5], v[136:137]
	v_add_f64_e32 v[184:185], v[172:173], v[170:171]
	v_mul_f64_e32 v[136:137], v[6:7], v[136:137]
	ds_load_b128 v[170:173], v2 offset:1408
	v_fmac_f64_e32 v[180:181], v[164:165], v[130:131]
	v_fma_f64 v[162:163], v[162:163], v[130:131], -v[132:133]
	scratch_load_b128 v[130:133], off, off offset:736
	v_add_f64_e32 v[174:175], v[174:175], v[176:177]
	v_fmac_f64_e32 v[178:179], v[6:7], v[134:135]
	v_add_f64_e32 v[164:165], v[184:185], v[182:183]
	v_fma_f64 v[182:183], v[4:5], v[134:135], -v[136:137]
	ds_load_b128 v[4:7], v2 offset:1424
	s_wait_loadcnt_dscnt 0xb01
	v_mul_f64_e32 v[176:177], v[170:171], v[140:141]
	v_mul_f64_e32 v[140:141], v[172:173], v[140:141]
	scratch_load_b128 v[134:137], off, off offset:752
	v_add_f64_e32 v[174:175], v[174:175], v[180:181]
	s_wait_loadcnt_dscnt 0xb00
	v_mul_f64_e32 v[180:181], v[4:5], v[144:145]
	v_add_f64_e32 v[184:185], v[164:165], v[162:163]
	v_mul_f64_e32 v[144:145], v[6:7], v[144:145]
	ds_load_b128 v[162:165], v2 offset:1440
	v_fmac_f64_e32 v[176:177], v[172:173], v[138:139]
	v_fma_f64 v[170:171], v[170:171], v[138:139], -v[140:141]
	scratch_load_b128 v[138:141], off, off offset:768
	v_add_f64_e32 v[174:175], v[174:175], v[178:179]
	v_fmac_f64_e32 v[180:181], v[6:7], v[142:143]
	v_add_f64_e32 v[172:173], v[184:185], v[182:183]
	;; [unrolled: 18-line block ×3, first 2 shown]
	v_fma_f64 v[182:183], v[4:5], v[154:155], -v[156:157]
	ds_load_b128 v[4:7], v2 offset:1488
	s_wait_loadcnt_dscnt 0xa01
	v_mul_f64_e32 v[180:181], v[170:171], v[168:169]
	v_mul_f64_e32 v[168:169], v[172:173], v[168:169]
	scratch_load_b128 v[154:157], off, off offset:816
	v_add_f64_e32 v[174:175], v[174:175], v[178:179]
	v_add_f64_e32 v[184:185], v[164:165], v[162:163]
	s_wait_loadcnt_dscnt 0xa00
	v_mul_f64_e32 v[178:179], v[4:5], v[152:153]
	v_mul_f64_e32 v[152:153], v[6:7], v[152:153]
	v_fmac_f64_e32 v[180:181], v[172:173], v[166:167]
	v_fma_f64 v[166:167], v[170:171], v[166:167], -v[168:169]
	ds_load_b128 v[162:165], v2 offset:1504
	v_add_f64_e32 v[170:171], v[174:175], v[176:177]
	v_add_f64_e32 v[168:169], v[184:185], v[182:183]
	s_wait_loadcnt_dscnt 0x900
	v_mul_f64_e32 v[172:173], v[162:163], v[10:11]
	v_mul_f64_e32 v[10:11], v[164:165], v[10:11]
	v_fmac_f64_e32 v[178:179], v[6:7], v[150:151]
	v_fma_f64 v[174:175], v[4:5], v[150:151], -v[152:153]
	ds_load_b128 v[4:7], v2 offset:1520
	ds_load_b128 v[150:153], v2 offset:1536
	v_add_f64_e32 v[166:167], v[168:169], v[166:167]
	v_add_f64_e32 v[168:169], v[170:171], v[180:181]
	s_wait_loadcnt_dscnt 0x801
	v_mul_f64_e32 v[170:171], v[4:5], v[14:15]
	v_mul_f64_e32 v[14:15], v[6:7], v[14:15]
	v_fmac_f64_e32 v[172:173], v[164:165], v[8:9]
	v_fma_f64 v[8:9], v[162:163], v[8:9], -v[10:11]
	s_wait_loadcnt_dscnt 0x700
	v_mul_f64_e32 v[164:165], v[150:151], v[124:125]
	v_mul_f64_e32 v[124:125], v[152:153], v[124:125]
	v_add_f64_e32 v[10:11], v[166:167], v[174:175]
	v_add_f64_e32 v[162:163], v[168:169], v[178:179]
	v_fmac_f64_e32 v[170:171], v[6:7], v[12:13]
	v_fma_f64 v[12:13], v[4:5], v[12:13], -v[14:15]
	v_fmac_f64_e32 v[164:165], v[152:153], v[122:123]
	v_fma_f64 v[122:123], v[150:151], v[122:123], -v[124:125]
	v_add_f64_e32 v[14:15], v[10:11], v[8:9]
	v_add_f64_e32 v[162:163], v[162:163], v[172:173]
	ds_load_b128 v[4:7], v2 offset:1552
	ds_load_b128 v[8:11], v2 offset:1568
	s_wait_loadcnt_dscnt 0x601
	v_mul_f64_e32 v[166:167], v[4:5], v[128:129]
	v_mul_f64_e32 v[128:129], v[6:7], v[128:129]
	s_wait_loadcnt_dscnt 0x500
	v_mul_f64_e32 v[124:125], v[8:9], v[132:133]
	v_mul_f64_e32 v[132:133], v[10:11], v[132:133]
	v_add_f64_e32 v[12:13], v[14:15], v[12:13]
	v_add_f64_e32 v[14:15], v[162:163], v[170:171]
	v_fmac_f64_e32 v[166:167], v[6:7], v[126:127]
	v_fma_f64 v[126:127], v[4:5], v[126:127], -v[128:129]
	v_fmac_f64_e32 v[124:125], v[10:11], v[130:131]
	v_fma_f64 v[8:9], v[8:9], v[130:131], -v[132:133]
	v_add_f64_e32 v[122:123], v[12:13], v[122:123]
	v_add_f64_e32 v[128:129], v[14:15], v[164:165]
	ds_load_b128 v[4:7], v2 offset:1584
	ds_load_b128 v[12:15], v2 offset:1600
	s_wait_loadcnt_dscnt 0x401
	v_mul_f64_e32 v[150:151], v[4:5], v[136:137]
	v_mul_f64_e32 v[136:137], v[6:7], v[136:137]
	v_add_f64_e32 v[10:11], v[122:123], v[126:127]
	v_add_f64_e32 v[122:123], v[128:129], v[166:167]
	s_wait_loadcnt_dscnt 0x300
	v_mul_f64_e32 v[126:127], v[12:13], v[140:141]
	v_mul_f64_e32 v[128:129], v[14:15], v[140:141]
	v_fmac_f64_e32 v[150:151], v[6:7], v[134:135]
	v_fma_f64 v[130:131], v[4:5], v[134:135], -v[136:137]
	v_add_f64_e32 v[132:133], v[10:11], v[8:9]
	v_add_f64_e32 v[122:123], v[122:123], v[124:125]
	ds_load_b128 v[4:7], v2 offset:1616
	ds_load_b128 v[8:11], v2 offset:1632
	v_fmac_f64_e32 v[126:127], v[14:15], v[138:139]
	v_fma_f64 v[12:13], v[12:13], v[138:139], -v[128:129]
	s_wait_loadcnt_dscnt 0x201
	v_mul_f64_e32 v[124:125], v[4:5], v[144:145]
	v_mul_f64_e32 v[134:135], v[6:7], v[144:145]
	s_wait_loadcnt_dscnt 0x100
	v_mul_f64_e32 v[128:129], v[8:9], v[148:149]
	v_add_f64_e32 v[14:15], v[132:133], v[130:131]
	v_add_f64_e32 v[122:123], v[122:123], v[150:151]
	v_mul_f64_e32 v[130:131], v[10:11], v[148:149]
	v_fmac_f64_e32 v[124:125], v[6:7], v[142:143]
	v_fma_f64 v[132:133], v[4:5], v[142:143], -v[134:135]
	ds_load_b128 v[4:7], v2 offset:1648
	v_fmac_f64_e32 v[128:129], v[10:11], v[146:147]
	v_add_f64_e32 v[12:13], v[14:15], v[12:13]
	v_add_f64_e32 v[14:15], v[122:123], v[126:127]
	v_fma_f64 v[8:9], v[8:9], v[146:147], -v[130:131]
	s_wait_loadcnt_dscnt 0x0
	v_mul_f64_e32 v[122:123], v[4:5], v[156:157]
	v_mul_f64_e32 v[126:127], v[6:7], v[156:157]
	v_add_f64_e32 v[10:11], v[12:13], v[132:133]
	v_add_f64_e32 v[12:13], v[14:15], v[124:125]
	s_delay_alu instid0(VALU_DEP_4) | instskip(NEXT) | instid1(VALU_DEP_4)
	v_fmac_f64_e32 v[122:123], v[6:7], v[154:155]
	v_fma_f64 v[4:5], v[4:5], v[154:155], -v[126:127]
	s_delay_alu instid0(VALU_DEP_4) | instskip(NEXT) | instid1(VALU_DEP_4)
	v_add_f64_e32 v[6:7], v[10:11], v[8:9]
	v_add_f64_e32 v[8:9], v[12:13], v[128:129]
	s_delay_alu instid0(VALU_DEP_2) | instskip(NEXT) | instid1(VALU_DEP_2)
	v_add_f64_e32 v[4:5], v[6:7], v[4:5]
	v_add_f64_e32 v[6:7], v[8:9], v[122:123]
	s_delay_alu instid0(VALU_DEP_2) | instskip(NEXT) | instid1(VALU_DEP_2)
	v_add_f64_e64 v[4:5], v[158:159], -v[4:5]
	v_add_f64_e64 v[6:7], v[160:161], -v[6:7]
	scratch_store_b128 off, v[4:7], off offset:448
	s_wait_xcnt 0x0
	v_cmpx_lt_u32_e32 27, v1
	s_cbranch_execz .LBB115_271
; %bb.270:
	scratch_load_b128 v[6:9], off, s41
	v_dual_mov_b32 v3, v2 :: v_dual_mov_b32 v4, v2
	v_mov_b32_e32 v5, v2
	scratch_store_b128 off, v[2:5], off offset:432
	s_wait_loadcnt 0x0
	ds_store_b128 v120, v[6:9]
.LBB115_271:
	s_wait_xcnt 0x0
	s_or_b32 exec_lo, exec_lo, s2
	s_wait_storecnt_dscnt 0x0
	s_barrier_signal -1
	s_barrier_wait -1
	s_clause 0x9
	scratch_load_b128 v[4:7], off, off offset:448
	scratch_load_b128 v[8:11], off, off offset:464
	;; [unrolled: 1-line block ×10, first 2 shown]
	ds_load_b128 v[150:153], v2 offset:1280
	ds_load_b128 v[158:161], v2 offset:1296
	s_clause 0x2
	scratch_load_b128 v[154:157], off, off offset:608
	scratch_load_b128 v[162:165], off, off offset:432
	;; [unrolled: 1-line block ×3, first 2 shown]
	s_mov_b32 s2, exec_lo
	s_wait_loadcnt_dscnt 0xc01
	v_mul_f64_e32 v[170:171], v[152:153], v[6:7]
	v_mul_f64_e32 v[174:175], v[150:151], v[6:7]
	s_wait_loadcnt_dscnt 0xb00
	v_mul_f64_e32 v[176:177], v[158:159], v[10:11]
	v_mul_f64_e32 v[10:11], v[160:161], v[10:11]
	s_delay_alu instid0(VALU_DEP_4) | instskip(NEXT) | instid1(VALU_DEP_4)
	v_fma_f64 v[178:179], v[150:151], v[4:5], -v[170:171]
	v_fmac_f64_e32 v[174:175], v[152:153], v[4:5]
	ds_load_b128 v[4:7], v2 offset:1312
	ds_load_b128 v[150:153], v2 offset:1328
	scratch_load_b128 v[170:173], off, off offset:640
	v_fmac_f64_e32 v[176:177], v[160:161], v[8:9]
	v_fma_f64 v[158:159], v[158:159], v[8:9], -v[10:11]
	scratch_load_b128 v[8:11], off, off offset:656
	s_wait_loadcnt_dscnt 0xc01
	v_mul_f64_e32 v[180:181], v[4:5], v[14:15]
	v_mul_f64_e32 v[14:15], v[6:7], v[14:15]
	v_add_f64_e32 v[160:161], 0, v[178:179]
	v_add_f64_e32 v[174:175], 0, v[174:175]
	s_wait_loadcnt_dscnt 0xb00
	v_mul_f64_e32 v[178:179], v[150:151], v[124:125]
	v_mul_f64_e32 v[124:125], v[152:153], v[124:125]
	v_fmac_f64_e32 v[180:181], v[6:7], v[12:13]
	v_fma_f64 v[182:183], v[4:5], v[12:13], -v[14:15]
	ds_load_b128 v[4:7], v2 offset:1344
	ds_load_b128 v[12:15], v2 offset:1360
	v_add_f64_e32 v[184:185], v[160:161], v[158:159]
	v_add_f64_e32 v[174:175], v[174:175], v[176:177]
	scratch_load_b128 v[158:161], off, off offset:672
	v_fmac_f64_e32 v[178:179], v[152:153], v[122:123]
	v_fma_f64 v[150:151], v[150:151], v[122:123], -v[124:125]
	scratch_load_b128 v[122:125], off, off offset:688
	s_wait_loadcnt_dscnt 0xc01
	v_mul_f64_e32 v[176:177], v[4:5], v[128:129]
	v_mul_f64_e32 v[128:129], v[6:7], v[128:129]
	v_add_f64_e32 v[152:153], v[184:185], v[182:183]
	v_add_f64_e32 v[174:175], v[174:175], v[180:181]
	s_wait_loadcnt_dscnt 0xb00
	v_mul_f64_e32 v[180:181], v[12:13], v[132:133]
	v_mul_f64_e32 v[132:133], v[14:15], v[132:133]
	v_fmac_f64_e32 v[176:177], v[6:7], v[126:127]
	v_fma_f64 v[182:183], v[4:5], v[126:127], -v[128:129]
	ds_load_b128 v[4:7], v2 offset:1376
	ds_load_b128 v[126:129], v2 offset:1392
	v_add_f64_e32 v[184:185], v[152:153], v[150:151]
	v_add_f64_e32 v[174:175], v[174:175], v[178:179]
	scratch_load_b128 v[150:153], off, off offset:704
	s_wait_loadcnt_dscnt 0xb01
	v_mul_f64_e32 v[178:179], v[4:5], v[136:137]
	v_mul_f64_e32 v[136:137], v[6:7], v[136:137]
	v_fmac_f64_e32 v[180:181], v[14:15], v[130:131]
	v_fma_f64 v[130:131], v[12:13], v[130:131], -v[132:133]
	scratch_load_b128 v[12:15], off, off offset:720
	v_add_f64_e32 v[132:133], v[184:185], v[182:183]
	v_add_f64_e32 v[174:175], v[174:175], v[176:177]
	s_wait_loadcnt_dscnt 0xb00
	v_mul_f64_e32 v[176:177], v[126:127], v[140:141]
	v_mul_f64_e32 v[140:141], v[128:129], v[140:141]
	v_fmac_f64_e32 v[178:179], v[6:7], v[134:135]
	v_fma_f64 v[182:183], v[4:5], v[134:135], -v[136:137]
	v_add_f64_e32 v[184:185], v[132:133], v[130:131]
	v_add_f64_e32 v[174:175], v[174:175], v[180:181]
	ds_load_b128 v[4:7], v2 offset:1408
	ds_load_b128 v[130:133], v2 offset:1424
	scratch_load_b128 v[134:137], off, off offset:736
	v_fmac_f64_e32 v[176:177], v[128:129], v[138:139]
	v_fma_f64 v[138:139], v[126:127], v[138:139], -v[140:141]
	scratch_load_b128 v[126:129], off, off offset:752
	s_wait_loadcnt_dscnt 0xc01
	v_mul_f64_e32 v[180:181], v[4:5], v[144:145]
	v_mul_f64_e32 v[144:145], v[6:7], v[144:145]
	v_add_f64_e32 v[140:141], v[184:185], v[182:183]
	v_add_f64_e32 v[174:175], v[174:175], v[178:179]
	s_wait_loadcnt_dscnt 0xb00
	v_mul_f64_e32 v[178:179], v[130:131], v[148:149]
	v_mul_f64_e32 v[148:149], v[132:133], v[148:149]
	v_fmac_f64_e32 v[180:181], v[6:7], v[142:143]
	v_fma_f64 v[182:183], v[4:5], v[142:143], -v[144:145]
	v_add_f64_e32 v[184:185], v[140:141], v[138:139]
	v_add_f64_e32 v[174:175], v[174:175], v[176:177]
	ds_load_b128 v[4:7], v2 offset:1440
	ds_load_b128 v[138:141], v2 offset:1456
	scratch_load_b128 v[142:145], off, off offset:768
	v_fmac_f64_e32 v[178:179], v[132:133], v[146:147]
	v_fma_f64 v[146:147], v[130:131], v[146:147], -v[148:149]
	scratch_load_b128 v[130:133], off, off offset:784
	s_wait_loadcnt_dscnt 0xc01
	v_mul_f64_e32 v[176:177], v[4:5], v[156:157]
	v_mul_f64_e32 v[156:157], v[6:7], v[156:157]
	;; [unrolled: 18-line block ×3, first 2 shown]
	v_add_f64_e32 v[168:169], v[184:185], v[182:183]
	v_add_f64_e32 v[174:175], v[174:175], v[176:177]
	s_wait_loadcnt_dscnt 0xa00
	v_mul_f64_e32 v[176:177], v[146:147], v[10:11]
	v_mul_f64_e32 v[10:11], v[148:149], v[10:11]
	v_fmac_f64_e32 v[178:179], v[6:7], v[170:171]
	v_fma_f64 v[170:171], v[4:5], v[170:171], -v[172:173]
	v_add_f64_e32 v[172:173], v[168:169], v[166:167]
	v_add_f64_e32 v[174:175], v[174:175], v[180:181]
	ds_load_b128 v[4:7], v2 offset:1504
	ds_load_b128 v[166:169], v2 offset:1520
	v_fmac_f64_e32 v[176:177], v[148:149], v[8:9]
	v_fma_f64 v[8:9], v[146:147], v[8:9], -v[10:11]
	s_wait_loadcnt_dscnt 0x901
	v_mul_f64_e32 v[180:181], v[4:5], v[160:161]
	v_mul_f64_e32 v[160:161], v[6:7], v[160:161]
	s_wait_loadcnt_dscnt 0x800
	v_mul_f64_e32 v[148:149], v[166:167], v[124:125]
	v_mul_f64_e32 v[124:125], v[168:169], v[124:125]
	v_add_f64_e32 v[10:11], v[172:173], v[170:171]
	v_add_f64_e32 v[146:147], v[174:175], v[178:179]
	v_fmac_f64_e32 v[180:181], v[6:7], v[158:159]
	v_fma_f64 v[158:159], v[4:5], v[158:159], -v[160:161]
	v_fmac_f64_e32 v[148:149], v[168:169], v[122:123]
	v_fma_f64 v[122:123], v[166:167], v[122:123], -v[124:125]
	v_add_f64_e32 v[160:161], v[10:11], v[8:9]
	v_add_f64_e32 v[146:147], v[146:147], v[176:177]
	ds_load_b128 v[4:7], v2 offset:1536
	ds_load_b128 v[8:11], v2 offset:1552
	s_wait_loadcnt_dscnt 0x701
	v_mul_f64_e32 v[170:171], v[4:5], v[152:153]
	v_mul_f64_e32 v[152:153], v[6:7], v[152:153]
	v_add_f64_e32 v[124:125], v[160:161], v[158:159]
	v_add_f64_e32 v[146:147], v[146:147], v[180:181]
	s_wait_loadcnt_dscnt 0x600
	v_mul_f64_e32 v[158:159], v[8:9], v[14:15]
	v_mul_f64_e32 v[14:15], v[10:11], v[14:15]
	v_fmac_f64_e32 v[170:171], v[6:7], v[150:151]
	v_fma_f64 v[150:151], v[4:5], v[150:151], -v[152:153]
	v_add_f64_e32 v[152:153], v[124:125], v[122:123]
	v_add_f64_e32 v[146:147], v[146:147], v[148:149]
	ds_load_b128 v[4:7], v2 offset:1568
	ds_load_b128 v[122:125], v2 offset:1584
	v_fmac_f64_e32 v[158:159], v[10:11], v[12:13]
	v_fma_f64 v[8:9], v[8:9], v[12:13], -v[14:15]
	s_wait_loadcnt_dscnt 0x501
	v_mul_f64_e32 v[148:149], v[4:5], v[136:137]
	v_mul_f64_e32 v[136:137], v[6:7], v[136:137]
	s_wait_loadcnt_dscnt 0x400
	v_mul_f64_e32 v[14:15], v[122:123], v[128:129]
	v_mul_f64_e32 v[128:129], v[124:125], v[128:129]
	v_add_f64_e32 v[10:11], v[152:153], v[150:151]
	v_add_f64_e32 v[12:13], v[146:147], v[170:171]
	v_fmac_f64_e32 v[148:149], v[6:7], v[134:135]
	v_fma_f64 v[134:135], v[4:5], v[134:135], -v[136:137]
	v_fmac_f64_e32 v[14:15], v[124:125], v[126:127]
	v_fma_f64 v[122:123], v[122:123], v[126:127], -v[128:129]
	v_add_f64_e32 v[136:137], v[10:11], v[8:9]
	v_add_f64_e32 v[12:13], v[12:13], v[158:159]
	ds_load_b128 v[4:7], v2 offset:1600
	ds_load_b128 v[8:11], v2 offset:1616
	s_wait_loadcnt_dscnt 0x301
	v_mul_f64_e32 v[146:147], v[4:5], v[144:145]
	v_mul_f64_e32 v[144:145], v[6:7], v[144:145]
	s_wait_loadcnt_dscnt 0x200
	v_mul_f64_e32 v[126:127], v[8:9], v[132:133]
	v_mul_f64_e32 v[128:129], v[10:11], v[132:133]
	v_add_f64_e32 v[124:125], v[136:137], v[134:135]
	v_add_f64_e32 v[12:13], v[12:13], v[148:149]
	v_fmac_f64_e32 v[146:147], v[6:7], v[142:143]
	v_fma_f64 v[132:133], v[4:5], v[142:143], -v[144:145]
	v_fmac_f64_e32 v[126:127], v[10:11], v[130:131]
	v_fma_f64 v[8:9], v[8:9], v[130:131], -v[128:129]
	v_add_f64_e32 v[122:123], v[124:125], v[122:123]
	v_add_f64_e32 v[124:125], v[12:13], v[14:15]
	ds_load_b128 v[4:7], v2 offset:1632
	ds_load_b128 v[12:15], v2 offset:1648
	s_wait_loadcnt_dscnt 0x101
	v_mul_f64_e32 v[2:3], v[4:5], v[156:157]
	v_mul_f64_e32 v[134:135], v[6:7], v[156:157]
	s_wait_loadcnt_dscnt 0x0
	v_mul_f64_e32 v[128:129], v[14:15], v[140:141]
	v_add_f64_e32 v[10:11], v[122:123], v[132:133]
	v_add_f64_e32 v[122:123], v[124:125], v[146:147]
	v_mul_f64_e32 v[124:125], v[12:13], v[140:141]
	v_fmac_f64_e32 v[2:3], v[6:7], v[154:155]
	v_fma_f64 v[4:5], v[4:5], v[154:155], -v[134:135]
	v_add_f64_e32 v[6:7], v[10:11], v[8:9]
	v_add_f64_e32 v[8:9], v[122:123], v[126:127]
	v_fmac_f64_e32 v[124:125], v[14:15], v[138:139]
	v_fma_f64 v[10:11], v[12:13], v[138:139], -v[128:129]
	s_delay_alu instid0(VALU_DEP_4) | instskip(NEXT) | instid1(VALU_DEP_4)
	v_add_f64_e32 v[4:5], v[6:7], v[4:5]
	v_add_f64_e32 v[2:3], v[8:9], v[2:3]
	s_delay_alu instid0(VALU_DEP_2) | instskip(NEXT) | instid1(VALU_DEP_2)
	v_add_f64_e32 v[4:5], v[4:5], v[10:11]
	v_add_f64_e32 v[6:7], v[2:3], v[124:125]
	s_delay_alu instid0(VALU_DEP_2) | instskip(NEXT) | instid1(VALU_DEP_2)
	v_add_f64_e64 v[2:3], v[162:163], -v[4:5]
	v_add_f64_e64 v[4:5], v[164:165], -v[6:7]
	scratch_store_b128 off, v[2:5], off offset:432
	s_wait_xcnt 0x0
	v_cmpx_lt_u32_e32 26, v1
	s_cbranch_execz .LBB115_273
; %bb.272:
	scratch_load_b128 v[2:5], off, s42
	v_mov_b32_e32 v6, 0
	s_delay_alu instid0(VALU_DEP_1)
	v_dual_mov_b32 v7, v6 :: v_dual_mov_b32 v8, v6
	v_mov_b32_e32 v9, v6
	scratch_store_b128 off, v[6:9], off offset:416
	s_wait_loadcnt 0x0
	ds_store_b128 v120, v[2:5]
.LBB115_273:
	s_wait_xcnt 0x0
	s_or_b32 exec_lo, exec_lo, s2
	s_wait_storecnt_dscnt 0x0
	s_barrier_signal -1
	s_barrier_wait -1
	s_clause 0x9
	scratch_load_b128 v[4:7], off, off offset:432
	scratch_load_b128 v[8:11], off, off offset:448
	;; [unrolled: 1-line block ×10, first 2 shown]
	v_mov_b32_e32 v2, 0
	s_mov_b32 s2, exec_lo
	ds_load_b128 v[150:153], v2 offset:1264
	s_clause 0x2
	scratch_load_b128 v[154:157], off, off offset:592
	scratch_load_b128 v[158:161], off, off offset:416
	;; [unrolled: 1-line block ×3, first 2 shown]
	s_wait_loadcnt_dscnt 0xc00
	v_mul_f64_e32 v[170:171], v[152:153], v[6:7]
	v_mul_f64_e32 v[174:175], v[150:151], v[6:7]
	ds_load_b128 v[162:165], v2 offset:1280
	v_fma_f64 v[178:179], v[150:151], v[4:5], -v[170:171]
	v_fmac_f64_e32 v[174:175], v[152:153], v[4:5]
	ds_load_b128 v[4:7], v2 offset:1296
	s_wait_loadcnt_dscnt 0xb01
	v_mul_f64_e32 v[176:177], v[162:163], v[10:11]
	v_mul_f64_e32 v[10:11], v[164:165], v[10:11]
	scratch_load_b128 v[150:153], off, off offset:624
	ds_load_b128 v[170:173], v2 offset:1312
	s_wait_loadcnt_dscnt 0xb01
	v_mul_f64_e32 v[180:181], v[4:5], v[14:15]
	v_mul_f64_e32 v[14:15], v[6:7], v[14:15]
	v_add_f64_e32 v[174:175], 0, v[174:175]
	v_fmac_f64_e32 v[176:177], v[164:165], v[8:9]
	v_fma_f64 v[162:163], v[162:163], v[8:9], -v[10:11]
	v_add_f64_e32 v[164:165], 0, v[178:179]
	scratch_load_b128 v[8:11], off, off offset:640
	v_fmac_f64_e32 v[180:181], v[6:7], v[12:13]
	v_fma_f64 v[182:183], v[4:5], v[12:13], -v[14:15]
	ds_load_b128 v[4:7], v2 offset:1328
	s_wait_loadcnt_dscnt 0xb01
	v_mul_f64_e32 v[178:179], v[170:171], v[124:125]
	v_mul_f64_e32 v[124:125], v[172:173], v[124:125]
	scratch_load_b128 v[12:15], off, off offset:656
	v_add_f64_e32 v[174:175], v[174:175], v[176:177]
	v_add_f64_e32 v[184:185], v[164:165], v[162:163]
	ds_load_b128 v[162:165], v2 offset:1344
	s_wait_loadcnt_dscnt 0xb01
	v_mul_f64_e32 v[176:177], v[4:5], v[128:129]
	v_mul_f64_e32 v[128:129], v[6:7], v[128:129]
	v_fmac_f64_e32 v[178:179], v[172:173], v[122:123]
	v_fma_f64 v[170:171], v[170:171], v[122:123], -v[124:125]
	scratch_load_b128 v[122:125], off, off offset:672
	v_add_f64_e32 v[174:175], v[174:175], v[180:181]
	v_add_f64_e32 v[172:173], v[184:185], v[182:183]
	v_fmac_f64_e32 v[176:177], v[6:7], v[126:127]
	v_fma_f64 v[182:183], v[4:5], v[126:127], -v[128:129]
	ds_load_b128 v[4:7], v2 offset:1360
	s_wait_loadcnt_dscnt 0xb01
	v_mul_f64_e32 v[180:181], v[162:163], v[132:133]
	v_mul_f64_e32 v[132:133], v[164:165], v[132:133]
	scratch_load_b128 v[126:129], off, off offset:688
	v_add_f64_e32 v[174:175], v[174:175], v[178:179]
	s_wait_loadcnt_dscnt 0xb00
	v_mul_f64_e32 v[178:179], v[4:5], v[136:137]
	v_add_f64_e32 v[184:185], v[172:173], v[170:171]
	v_mul_f64_e32 v[136:137], v[6:7], v[136:137]
	ds_load_b128 v[170:173], v2 offset:1376
	v_fmac_f64_e32 v[180:181], v[164:165], v[130:131]
	v_fma_f64 v[162:163], v[162:163], v[130:131], -v[132:133]
	scratch_load_b128 v[130:133], off, off offset:704
	v_add_f64_e32 v[174:175], v[174:175], v[176:177]
	v_fmac_f64_e32 v[178:179], v[6:7], v[134:135]
	v_add_f64_e32 v[164:165], v[184:185], v[182:183]
	v_fma_f64 v[182:183], v[4:5], v[134:135], -v[136:137]
	ds_load_b128 v[4:7], v2 offset:1392
	s_wait_loadcnt_dscnt 0xb01
	v_mul_f64_e32 v[176:177], v[170:171], v[140:141]
	v_mul_f64_e32 v[140:141], v[172:173], v[140:141]
	scratch_load_b128 v[134:137], off, off offset:720
	v_add_f64_e32 v[174:175], v[174:175], v[180:181]
	s_wait_loadcnt_dscnt 0xb00
	v_mul_f64_e32 v[180:181], v[4:5], v[144:145]
	v_add_f64_e32 v[184:185], v[164:165], v[162:163]
	v_mul_f64_e32 v[144:145], v[6:7], v[144:145]
	ds_load_b128 v[162:165], v2 offset:1408
	v_fmac_f64_e32 v[176:177], v[172:173], v[138:139]
	v_fma_f64 v[170:171], v[170:171], v[138:139], -v[140:141]
	scratch_load_b128 v[138:141], off, off offset:736
	v_add_f64_e32 v[174:175], v[174:175], v[178:179]
	v_fmac_f64_e32 v[180:181], v[6:7], v[142:143]
	v_add_f64_e32 v[172:173], v[184:185], v[182:183]
	;; [unrolled: 18-line block ×3, first 2 shown]
	v_fma_f64 v[182:183], v[4:5], v[154:155], -v[156:157]
	ds_load_b128 v[4:7], v2 offset:1456
	s_wait_loadcnt_dscnt 0xa01
	v_mul_f64_e32 v[180:181], v[170:171], v[168:169]
	v_mul_f64_e32 v[168:169], v[172:173], v[168:169]
	scratch_load_b128 v[154:157], off, off offset:784
	v_add_f64_e32 v[174:175], v[174:175], v[178:179]
	v_add_f64_e32 v[184:185], v[164:165], v[162:163]
	s_wait_loadcnt_dscnt 0xa00
	v_mul_f64_e32 v[178:179], v[4:5], v[152:153]
	v_mul_f64_e32 v[152:153], v[6:7], v[152:153]
	v_fmac_f64_e32 v[180:181], v[172:173], v[166:167]
	v_fma_f64 v[170:171], v[170:171], v[166:167], -v[168:169]
	ds_load_b128 v[162:165], v2 offset:1472
	scratch_load_b128 v[166:169], off, off offset:800
	v_add_f64_e32 v[174:175], v[174:175], v[176:177]
	v_add_f64_e32 v[172:173], v[184:185], v[182:183]
	v_fmac_f64_e32 v[178:179], v[6:7], v[150:151]
	v_fma_f64 v[182:183], v[4:5], v[150:151], -v[152:153]
	ds_load_b128 v[4:7], v2 offset:1488
	s_wait_loadcnt_dscnt 0xa01
	v_mul_f64_e32 v[176:177], v[162:163], v[10:11]
	v_mul_f64_e32 v[10:11], v[164:165], v[10:11]
	scratch_load_b128 v[150:153], off, off offset:816
	v_add_f64_e32 v[174:175], v[174:175], v[180:181]
	s_wait_loadcnt_dscnt 0xa00
	v_mul_f64_e32 v[180:181], v[4:5], v[14:15]
	v_add_f64_e32 v[184:185], v[172:173], v[170:171]
	v_mul_f64_e32 v[14:15], v[6:7], v[14:15]
	ds_load_b128 v[170:173], v2 offset:1504
	v_fmac_f64_e32 v[176:177], v[164:165], v[8:9]
	v_fma_f64 v[8:9], v[162:163], v[8:9], -v[10:11]
	s_wait_loadcnt_dscnt 0x900
	v_mul_f64_e32 v[164:165], v[170:171], v[124:125]
	v_mul_f64_e32 v[124:125], v[172:173], v[124:125]
	v_add_f64_e32 v[162:163], v[174:175], v[178:179]
	v_fmac_f64_e32 v[180:181], v[6:7], v[12:13]
	v_add_f64_e32 v[10:11], v[184:185], v[182:183]
	v_fma_f64 v[12:13], v[4:5], v[12:13], -v[14:15]
	v_fmac_f64_e32 v[164:165], v[172:173], v[122:123]
	v_fma_f64 v[122:123], v[170:171], v[122:123], -v[124:125]
	v_add_f64_e32 v[162:163], v[162:163], v[176:177]
	v_add_f64_e32 v[14:15], v[10:11], v[8:9]
	ds_load_b128 v[4:7], v2 offset:1520
	ds_load_b128 v[8:11], v2 offset:1536
	s_wait_loadcnt_dscnt 0x801
	v_mul_f64_e32 v[174:175], v[4:5], v[128:129]
	v_mul_f64_e32 v[128:129], v[6:7], v[128:129]
	s_wait_loadcnt_dscnt 0x700
	v_mul_f64_e32 v[124:125], v[8:9], v[132:133]
	v_mul_f64_e32 v[132:133], v[10:11], v[132:133]
	v_add_f64_e32 v[12:13], v[14:15], v[12:13]
	v_add_f64_e32 v[14:15], v[162:163], v[180:181]
	v_fmac_f64_e32 v[174:175], v[6:7], v[126:127]
	v_fma_f64 v[126:127], v[4:5], v[126:127], -v[128:129]
	v_fmac_f64_e32 v[124:125], v[10:11], v[130:131]
	v_fma_f64 v[8:9], v[8:9], v[130:131], -v[132:133]
	v_add_f64_e32 v[122:123], v[12:13], v[122:123]
	v_add_f64_e32 v[128:129], v[14:15], v[164:165]
	ds_load_b128 v[4:7], v2 offset:1552
	ds_load_b128 v[12:15], v2 offset:1568
	s_wait_loadcnt_dscnt 0x601
	v_mul_f64_e32 v[162:163], v[4:5], v[136:137]
	v_mul_f64_e32 v[136:137], v[6:7], v[136:137]
	v_add_f64_e32 v[10:11], v[122:123], v[126:127]
	v_add_f64_e32 v[122:123], v[128:129], v[174:175]
	s_wait_loadcnt_dscnt 0x500
	v_mul_f64_e32 v[126:127], v[12:13], v[140:141]
	v_mul_f64_e32 v[128:129], v[14:15], v[140:141]
	v_fmac_f64_e32 v[162:163], v[6:7], v[134:135]
	v_fma_f64 v[130:131], v[4:5], v[134:135], -v[136:137]
	v_add_f64_e32 v[132:133], v[10:11], v[8:9]
	v_add_f64_e32 v[122:123], v[122:123], v[124:125]
	ds_load_b128 v[4:7], v2 offset:1584
	ds_load_b128 v[8:11], v2 offset:1600
	v_fmac_f64_e32 v[126:127], v[14:15], v[138:139]
	v_fma_f64 v[12:13], v[12:13], v[138:139], -v[128:129]
	s_wait_loadcnt_dscnt 0x401
	v_mul_f64_e32 v[124:125], v[4:5], v[144:145]
	v_mul_f64_e32 v[134:135], v[6:7], v[144:145]
	s_wait_loadcnt_dscnt 0x300
	v_mul_f64_e32 v[128:129], v[8:9], v[148:149]
	v_add_f64_e32 v[14:15], v[132:133], v[130:131]
	v_add_f64_e32 v[122:123], v[122:123], v[162:163]
	v_mul_f64_e32 v[130:131], v[10:11], v[148:149]
	v_fmac_f64_e32 v[124:125], v[6:7], v[142:143]
	v_fma_f64 v[132:133], v[4:5], v[142:143], -v[134:135]
	v_fmac_f64_e32 v[128:129], v[10:11], v[146:147]
	v_add_f64_e32 v[134:135], v[14:15], v[12:13]
	v_add_f64_e32 v[122:123], v[122:123], v[126:127]
	ds_load_b128 v[4:7], v2 offset:1616
	ds_load_b128 v[12:15], v2 offset:1632
	v_fma_f64 v[8:9], v[8:9], v[146:147], -v[130:131]
	s_wait_loadcnt_dscnt 0x201
	v_mul_f64_e32 v[126:127], v[4:5], v[156:157]
	v_mul_f64_e32 v[136:137], v[6:7], v[156:157]
	s_wait_loadcnt_dscnt 0x100
	v_mul_f64_e32 v[130:131], v[14:15], v[168:169]
	v_add_f64_e32 v[10:11], v[134:135], v[132:133]
	v_add_f64_e32 v[122:123], v[122:123], v[124:125]
	v_mul_f64_e32 v[124:125], v[12:13], v[168:169]
	v_fmac_f64_e32 v[126:127], v[6:7], v[154:155]
	v_fma_f64 v[132:133], v[4:5], v[154:155], -v[136:137]
	ds_load_b128 v[4:7], v2 offset:1648
	v_fma_f64 v[12:13], v[12:13], v[166:167], -v[130:131]
	v_add_f64_e32 v[8:9], v[10:11], v[8:9]
	v_add_f64_e32 v[10:11], v[122:123], v[128:129]
	v_fmac_f64_e32 v[124:125], v[14:15], v[166:167]
	s_wait_loadcnt_dscnt 0x0
	v_mul_f64_e32 v[122:123], v[4:5], v[152:153]
	v_mul_f64_e32 v[128:129], v[6:7], v[152:153]
	v_add_f64_e32 v[8:9], v[8:9], v[132:133]
	v_add_f64_e32 v[10:11], v[10:11], v[126:127]
	s_delay_alu instid0(VALU_DEP_4) | instskip(NEXT) | instid1(VALU_DEP_4)
	v_fmac_f64_e32 v[122:123], v[6:7], v[150:151]
	v_fma_f64 v[4:5], v[4:5], v[150:151], -v[128:129]
	s_delay_alu instid0(VALU_DEP_4) | instskip(NEXT) | instid1(VALU_DEP_4)
	v_add_f64_e32 v[6:7], v[8:9], v[12:13]
	v_add_f64_e32 v[8:9], v[10:11], v[124:125]
	s_delay_alu instid0(VALU_DEP_2) | instskip(NEXT) | instid1(VALU_DEP_2)
	v_add_f64_e32 v[4:5], v[6:7], v[4:5]
	v_add_f64_e32 v[6:7], v[8:9], v[122:123]
	s_delay_alu instid0(VALU_DEP_2) | instskip(NEXT) | instid1(VALU_DEP_2)
	v_add_f64_e64 v[4:5], v[158:159], -v[4:5]
	v_add_f64_e64 v[6:7], v[160:161], -v[6:7]
	scratch_store_b128 off, v[4:7], off offset:416
	s_wait_xcnt 0x0
	v_cmpx_lt_u32_e32 25, v1
	s_cbranch_execz .LBB115_275
; %bb.274:
	scratch_load_b128 v[6:9], off, s43
	v_dual_mov_b32 v3, v2 :: v_dual_mov_b32 v4, v2
	v_mov_b32_e32 v5, v2
	scratch_store_b128 off, v[2:5], off offset:400
	s_wait_loadcnt 0x0
	ds_store_b128 v120, v[6:9]
.LBB115_275:
	s_wait_xcnt 0x0
	s_or_b32 exec_lo, exec_lo, s2
	s_wait_storecnt_dscnt 0x0
	s_barrier_signal -1
	s_barrier_wait -1
	s_clause 0x9
	scratch_load_b128 v[4:7], off, off offset:416
	scratch_load_b128 v[8:11], off, off offset:432
	;; [unrolled: 1-line block ×10, first 2 shown]
	ds_load_b128 v[150:153], v2 offset:1248
	ds_load_b128 v[158:161], v2 offset:1264
	s_clause 0x2
	scratch_load_b128 v[154:157], off, off offset:576
	scratch_load_b128 v[162:165], off, off offset:400
	;; [unrolled: 1-line block ×3, first 2 shown]
	s_mov_b32 s2, exec_lo
	s_wait_loadcnt_dscnt 0xc01
	v_mul_f64_e32 v[170:171], v[152:153], v[6:7]
	v_mul_f64_e32 v[174:175], v[150:151], v[6:7]
	s_wait_loadcnt_dscnt 0xb00
	v_mul_f64_e32 v[176:177], v[158:159], v[10:11]
	v_mul_f64_e32 v[10:11], v[160:161], v[10:11]
	s_delay_alu instid0(VALU_DEP_4) | instskip(NEXT) | instid1(VALU_DEP_4)
	v_fma_f64 v[178:179], v[150:151], v[4:5], -v[170:171]
	v_fmac_f64_e32 v[174:175], v[152:153], v[4:5]
	ds_load_b128 v[4:7], v2 offset:1280
	ds_load_b128 v[150:153], v2 offset:1296
	scratch_load_b128 v[170:173], off, off offset:608
	v_fmac_f64_e32 v[176:177], v[160:161], v[8:9]
	v_fma_f64 v[158:159], v[158:159], v[8:9], -v[10:11]
	scratch_load_b128 v[8:11], off, off offset:624
	s_wait_loadcnt_dscnt 0xc01
	v_mul_f64_e32 v[180:181], v[4:5], v[14:15]
	v_mul_f64_e32 v[14:15], v[6:7], v[14:15]
	v_add_f64_e32 v[160:161], 0, v[178:179]
	v_add_f64_e32 v[174:175], 0, v[174:175]
	s_wait_loadcnt_dscnt 0xb00
	v_mul_f64_e32 v[178:179], v[150:151], v[124:125]
	v_mul_f64_e32 v[124:125], v[152:153], v[124:125]
	v_fmac_f64_e32 v[180:181], v[6:7], v[12:13]
	v_fma_f64 v[182:183], v[4:5], v[12:13], -v[14:15]
	ds_load_b128 v[4:7], v2 offset:1312
	ds_load_b128 v[12:15], v2 offset:1328
	v_add_f64_e32 v[184:185], v[160:161], v[158:159]
	v_add_f64_e32 v[174:175], v[174:175], v[176:177]
	scratch_load_b128 v[158:161], off, off offset:640
	v_fmac_f64_e32 v[178:179], v[152:153], v[122:123]
	v_fma_f64 v[150:151], v[150:151], v[122:123], -v[124:125]
	scratch_load_b128 v[122:125], off, off offset:656
	s_wait_loadcnt_dscnt 0xc01
	v_mul_f64_e32 v[176:177], v[4:5], v[128:129]
	v_mul_f64_e32 v[128:129], v[6:7], v[128:129]
	v_add_f64_e32 v[152:153], v[184:185], v[182:183]
	v_add_f64_e32 v[174:175], v[174:175], v[180:181]
	s_wait_loadcnt_dscnt 0xb00
	v_mul_f64_e32 v[180:181], v[12:13], v[132:133]
	v_mul_f64_e32 v[132:133], v[14:15], v[132:133]
	v_fmac_f64_e32 v[176:177], v[6:7], v[126:127]
	v_fma_f64 v[182:183], v[4:5], v[126:127], -v[128:129]
	ds_load_b128 v[4:7], v2 offset:1344
	ds_load_b128 v[126:129], v2 offset:1360
	v_add_f64_e32 v[184:185], v[152:153], v[150:151]
	v_add_f64_e32 v[174:175], v[174:175], v[178:179]
	scratch_load_b128 v[150:153], off, off offset:672
	s_wait_loadcnt_dscnt 0xb01
	v_mul_f64_e32 v[178:179], v[4:5], v[136:137]
	v_mul_f64_e32 v[136:137], v[6:7], v[136:137]
	v_fmac_f64_e32 v[180:181], v[14:15], v[130:131]
	v_fma_f64 v[130:131], v[12:13], v[130:131], -v[132:133]
	scratch_load_b128 v[12:15], off, off offset:688
	v_add_f64_e32 v[132:133], v[184:185], v[182:183]
	v_add_f64_e32 v[174:175], v[174:175], v[176:177]
	s_wait_loadcnt_dscnt 0xb00
	v_mul_f64_e32 v[176:177], v[126:127], v[140:141]
	v_mul_f64_e32 v[140:141], v[128:129], v[140:141]
	v_fmac_f64_e32 v[178:179], v[6:7], v[134:135]
	v_fma_f64 v[182:183], v[4:5], v[134:135], -v[136:137]
	v_add_f64_e32 v[184:185], v[132:133], v[130:131]
	v_add_f64_e32 v[174:175], v[174:175], v[180:181]
	ds_load_b128 v[4:7], v2 offset:1376
	ds_load_b128 v[130:133], v2 offset:1392
	scratch_load_b128 v[134:137], off, off offset:704
	v_fmac_f64_e32 v[176:177], v[128:129], v[138:139]
	v_fma_f64 v[138:139], v[126:127], v[138:139], -v[140:141]
	scratch_load_b128 v[126:129], off, off offset:720
	s_wait_loadcnt_dscnt 0xc01
	v_mul_f64_e32 v[180:181], v[4:5], v[144:145]
	v_mul_f64_e32 v[144:145], v[6:7], v[144:145]
	v_add_f64_e32 v[140:141], v[184:185], v[182:183]
	v_add_f64_e32 v[174:175], v[174:175], v[178:179]
	s_wait_loadcnt_dscnt 0xb00
	v_mul_f64_e32 v[178:179], v[130:131], v[148:149]
	v_mul_f64_e32 v[148:149], v[132:133], v[148:149]
	v_fmac_f64_e32 v[180:181], v[6:7], v[142:143]
	v_fma_f64 v[182:183], v[4:5], v[142:143], -v[144:145]
	v_add_f64_e32 v[184:185], v[140:141], v[138:139]
	v_add_f64_e32 v[174:175], v[174:175], v[176:177]
	ds_load_b128 v[4:7], v2 offset:1408
	ds_load_b128 v[138:141], v2 offset:1424
	scratch_load_b128 v[142:145], off, off offset:736
	v_fmac_f64_e32 v[178:179], v[132:133], v[146:147]
	v_fma_f64 v[146:147], v[130:131], v[146:147], -v[148:149]
	scratch_load_b128 v[130:133], off, off offset:752
	s_wait_loadcnt_dscnt 0xc01
	v_mul_f64_e32 v[176:177], v[4:5], v[156:157]
	v_mul_f64_e32 v[156:157], v[6:7], v[156:157]
	;; [unrolled: 18-line block ×4, first 2 shown]
	v_add_f64_e32 v[148:149], v[184:185], v[182:183]
	v_add_f64_e32 v[174:175], v[174:175], v[178:179]
	s_wait_loadcnt_dscnt 0xa00
	v_mul_f64_e32 v[178:179], v[166:167], v[124:125]
	v_mul_f64_e32 v[124:125], v[168:169], v[124:125]
	v_fmac_f64_e32 v[180:181], v[6:7], v[158:159]
	v_fma_f64 v[158:159], v[4:5], v[158:159], -v[160:161]
	v_add_f64_e32 v[160:161], v[148:149], v[146:147]
	v_add_f64_e32 v[174:175], v[174:175], v[176:177]
	ds_load_b128 v[4:7], v2 offset:1504
	ds_load_b128 v[146:149], v2 offset:1520
	v_fmac_f64_e32 v[178:179], v[168:169], v[122:123]
	v_fma_f64 v[122:123], v[166:167], v[122:123], -v[124:125]
	s_wait_loadcnt_dscnt 0x901
	v_mul_f64_e32 v[176:177], v[4:5], v[152:153]
	v_mul_f64_e32 v[152:153], v[6:7], v[152:153]
	v_add_f64_e32 v[124:125], v[160:161], v[158:159]
	v_add_f64_e32 v[158:159], v[174:175], v[180:181]
	s_wait_loadcnt_dscnt 0x800
	v_mul_f64_e32 v[160:161], v[146:147], v[14:15]
	v_mul_f64_e32 v[14:15], v[148:149], v[14:15]
	v_fmac_f64_e32 v[176:177], v[6:7], v[150:151]
	v_fma_f64 v[150:151], v[4:5], v[150:151], -v[152:153]
	v_add_f64_e32 v[152:153], v[124:125], v[122:123]
	v_add_f64_e32 v[158:159], v[158:159], v[178:179]
	ds_load_b128 v[4:7], v2 offset:1536
	ds_load_b128 v[122:125], v2 offset:1552
	v_fmac_f64_e32 v[160:161], v[148:149], v[12:13]
	v_fma_f64 v[12:13], v[146:147], v[12:13], -v[14:15]
	s_wait_loadcnt_dscnt 0x701
	v_mul_f64_e32 v[166:167], v[4:5], v[136:137]
	v_mul_f64_e32 v[136:137], v[6:7], v[136:137]
	s_wait_loadcnt_dscnt 0x600
	v_mul_f64_e32 v[148:149], v[122:123], v[128:129]
	v_mul_f64_e32 v[128:129], v[124:125], v[128:129]
	v_add_f64_e32 v[14:15], v[152:153], v[150:151]
	v_add_f64_e32 v[146:147], v[158:159], v[176:177]
	v_fmac_f64_e32 v[166:167], v[6:7], v[134:135]
	v_fma_f64 v[134:135], v[4:5], v[134:135], -v[136:137]
	v_fmac_f64_e32 v[148:149], v[124:125], v[126:127]
	v_fma_f64 v[122:123], v[122:123], v[126:127], -v[128:129]
	v_add_f64_e32 v[136:137], v[14:15], v[12:13]
	v_add_f64_e32 v[146:147], v[146:147], v[160:161]
	ds_load_b128 v[4:7], v2 offset:1568
	ds_load_b128 v[12:15], v2 offset:1584
	s_wait_loadcnt_dscnt 0x501
	v_mul_f64_e32 v[150:151], v[4:5], v[144:145]
	v_mul_f64_e32 v[144:145], v[6:7], v[144:145]
	s_wait_loadcnt_dscnt 0x400
	v_mul_f64_e32 v[128:129], v[12:13], v[132:133]
	v_mul_f64_e32 v[132:133], v[14:15], v[132:133]
	v_add_f64_e32 v[124:125], v[136:137], v[134:135]
	v_add_f64_e32 v[126:127], v[146:147], v[166:167]
	v_fmac_f64_e32 v[150:151], v[6:7], v[142:143]
	v_fma_f64 v[134:135], v[4:5], v[142:143], -v[144:145]
	v_fmac_f64_e32 v[128:129], v[14:15], v[130:131]
	v_fma_f64 v[12:13], v[12:13], v[130:131], -v[132:133]
	v_add_f64_e32 v[136:137], v[124:125], v[122:123]
	v_add_f64_e32 v[126:127], v[126:127], v[148:149]
	ds_load_b128 v[4:7], v2 offset:1600
	ds_load_b128 v[122:125], v2 offset:1616
	;; [unrolled: 16-line block ×3, first 2 shown]
	s_wait_loadcnt_dscnt 0x101
	v_mul_f64_e32 v[2:3], v[4:5], v[172:173]
	v_mul_f64_e32 v[128:129], v[6:7], v[172:173]
	s_wait_loadcnt_dscnt 0x0
	v_mul_f64_e32 v[132:133], v[12:13], v[10:11]
	v_mul_f64_e32 v[10:11], v[14:15], v[10:11]
	v_add_f64_e32 v[124:125], v[136:137], v[134:135]
	v_add_f64_e32 v[126:127], v[126:127], v[142:143]
	v_fmac_f64_e32 v[2:3], v[6:7], v[170:171]
	v_fma_f64 v[4:5], v[4:5], v[170:171], -v[128:129]
	v_fmac_f64_e32 v[132:133], v[14:15], v[8:9]
	v_fma_f64 v[8:9], v[12:13], v[8:9], -v[10:11]
	v_add_f64_e32 v[6:7], v[124:125], v[122:123]
	v_add_f64_e32 v[122:123], v[126:127], v[130:131]
	s_delay_alu instid0(VALU_DEP_2) | instskip(NEXT) | instid1(VALU_DEP_2)
	v_add_f64_e32 v[4:5], v[6:7], v[4:5]
	v_add_f64_e32 v[2:3], v[122:123], v[2:3]
	s_delay_alu instid0(VALU_DEP_2) | instskip(NEXT) | instid1(VALU_DEP_2)
	;; [unrolled: 3-line block ×3, first 2 shown]
	v_add_f64_e64 v[2:3], v[162:163], -v[4:5]
	v_add_f64_e64 v[4:5], v[164:165], -v[6:7]
	scratch_store_b128 off, v[2:5], off offset:400
	s_wait_xcnt 0x0
	v_cmpx_lt_u32_e32 24, v1
	s_cbranch_execz .LBB115_277
; %bb.276:
	scratch_load_b128 v[2:5], off, s44
	v_mov_b32_e32 v6, 0
	s_delay_alu instid0(VALU_DEP_1)
	v_dual_mov_b32 v7, v6 :: v_dual_mov_b32 v8, v6
	v_mov_b32_e32 v9, v6
	scratch_store_b128 off, v[6:9], off offset:384
	s_wait_loadcnt 0x0
	ds_store_b128 v120, v[2:5]
.LBB115_277:
	s_wait_xcnt 0x0
	s_or_b32 exec_lo, exec_lo, s2
	s_wait_storecnt_dscnt 0x0
	s_barrier_signal -1
	s_barrier_wait -1
	s_clause 0x9
	scratch_load_b128 v[4:7], off, off offset:400
	scratch_load_b128 v[8:11], off, off offset:416
	;; [unrolled: 1-line block ×10, first 2 shown]
	v_mov_b32_e32 v2, 0
	s_mov_b32 s2, exec_lo
	ds_load_b128 v[150:153], v2 offset:1232
	s_clause 0x2
	scratch_load_b128 v[154:157], off, off offset:560
	scratch_load_b128 v[158:161], off, off offset:384
	;; [unrolled: 1-line block ×3, first 2 shown]
	s_wait_loadcnt_dscnt 0xc00
	v_mul_f64_e32 v[170:171], v[152:153], v[6:7]
	v_mul_f64_e32 v[174:175], v[150:151], v[6:7]
	ds_load_b128 v[162:165], v2 offset:1248
	v_fma_f64 v[178:179], v[150:151], v[4:5], -v[170:171]
	v_fmac_f64_e32 v[174:175], v[152:153], v[4:5]
	ds_load_b128 v[4:7], v2 offset:1264
	s_wait_loadcnt_dscnt 0xb01
	v_mul_f64_e32 v[176:177], v[162:163], v[10:11]
	v_mul_f64_e32 v[10:11], v[164:165], v[10:11]
	scratch_load_b128 v[150:153], off, off offset:592
	ds_load_b128 v[170:173], v2 offset:1280
	s_wait_loadcnt_dscnt 0xb01
	v_mul_f64_e32 v[180:181], v[4:5], v[14:15]
	v_mul_f64_e32 v[14:15], v[6:7], v[14:15]
	v_add_f64_e32 v[174:175], 0, v[174:175]
	v_fmac_f64_e32 v[176:177], v[164:165], v[8:9]
	v_fma_f64 v[162:163], v[162:163], v[8:9], -v[10:11]
	v_add_f64_e32 v[164:165], 0, v[178:179]
	scratch_load_b128 v[8:11], off, off offset:608
	v_fmac_f64_e32 v[180:181], v[6:7], v[12:13]
	v_fma_f64 v[182:183], v[4:5], v[12:13], -v[14:15]
	ds_load_b128 v[4:7], v2 offset:1296
	s_wait_loadcnt_dscnt 0xb01
	v_mul_f64_e32 v[178:179], v[170:171], v[124:125]
	v_mul_f64_e32 v[124:125], v[172:173], v[124:125]
	scratch_load_b128 v[12:15], off, off offset:624
	v_add_f64_e32 v[174:175], v[174:175], v[176:177]
	v_add_f64_e32 v[184:185], v[164:165], v[162:163]
	ds_load_b128 v[162:165], v2 offset:1312
	s_wait_loadcnt_dscnt 0xb01
	v_mul_f64_e32 v[176:177], v[4:5], v[128:129]
	v_mul_f64_e32 v[128:129], v[6:7], v[128:129]
	v_fmac_f64_e32 v[178:179], v[172:173], v[122:123]
	v_fma_f64 v[170:171], v[170:171], v[122:123], -v[124:125]
	scratch_load_b128 v[122:125], off, off offset:640
	v_add_f64_e32 v[174:175], v[174:175], v[180:181]
	v_add_f64_e32 v[172:173], v[184:185], v[182:183]
	v_fmac_f64_e32 v[176:177], v[6:7], v[126:127]
	v_fma_f64 v[182:183], v[4:5], v[126:127], -v[128:129]
	ds_load_b128 v[4:7], v2 offset:1328
	s_wait_loadcnt_dscnt 0xb01
	v_mul_f64_e32 v[180:181], v[162:163], v[132:133]
	v_mul_f64_e32 v[132:133], v[164:165], v[132:133]
	scratch_load_b128 v[126:129], off, off offset:656
	v_add_f64_e32 v[174:175], v[174:175], v[178:179]
	s_wait_loadcnt_dscnt 0xb00
	v_mul_f64_e32 v[178:179], v[4:5], v[136:137]
	v_add_f64_e32 v[184:185], v[172:173], v[170:171]
	v_mul_f64_e32 v[136:137], v[6:7], v[136:137]
	ds_load_b128 v[170:173], v2 offset:1344
	v_fmac_f64_e32 v[180:181], v[164:165], v[130:131]
	v_fma_f64 v[162:163], v[162:163], v[130:131], -v[132:133]
	scratch_load_b128 v[130:133], off, off offset:672
	v_add_f64_e32 v[174:175], v[174:175], v[176:177]
	v_fmac_f64_e32 v[178:179], v[6:7], v[134:135]
	v_add_f64_e32 v[164:165], v[184:185], v[182:183]
	v_fma_f64 v[182:183], v[4:5], v[134:135], -v[136:137]
	ds_load_b128 v[4:7], v2 offset:1360
	s_wait_loadcnt_dscnt 0xb01
	v_mul_f64_e32 v[176:177], v[170:171], v[140:141]
	v_mul_f64_e32 v[140:141], v[172:173], v[140:141]
	scratch_load_b128 v[134:137], off, off offset:688
	v_add_f64_e32 v[174:175], v[174:175], v[180:181]
	s_wait_loadcnt_dscnt 0xb00
	v_mul_f64_e32 v[180:181], v[4:5], v[144:145]
	v_add_f64_e32 v[184:185], v[164:165], v[162:163]
	v_mul_f64_e32 v[144:145], v[6:7], v[144:145]
	ds_load_b128 v[162:165], v2 offset:1376
	v_fmac_f64_e32 v[176:177], v[172:173], v[138:139]
	v_fma_f64 v[170:171], v[170:171], v[138:139], -v[140:141]
	scratch_load_b128 v[138:141], off, off offset:704
	v_add_f64_e32 v[174:175], v[174:175], v[178:179]
	v_fmac_f64_e32 v[180:181], v[6:7], v[142:143]
	v_add_f64_e32 v[172:173], v[184:185], v[182:183]
	;; [unrolled: 18-line block ×3, first 2 shown]
	v_fma_f64 v[182:183], v[4:5], v[154:155], -v[156:157]
	ds_load_b128 v[4:7], v2 offset:1424
	s_wait_loadcnt_dscnt 0xa01
	v_mul_f64_e32 v[180:181], v[170:171], v[168:169]
	v_mul_f64_e32 v[168:169], v[172:173], v[168:169]
	scratch_load_b128 v[154:157], off, off offset:752
	v_add_f64_e32 v[174:175], v[174:175], v[178:179]
	v_add_f64_e32 v[184:185], v[164:165], v[162:163]
	s_wait_loadcnt_dscnt 0xa00
	v_mul_f64_e32 v[178:179], v[4:5], v[152:153]
	v_mul_f64_e32 v[152:153], v[6:7], v[152:153]
	v_fmac_f64_e32 v[180:181], v[172:173], v[166:167]
	v_fma_f64 v[170:171], v[170:171], v[166:167], -v[168:169]
	ds_load_b128 v[162:165], v2 offset:1440
	scratch_load_b128 v[166:169], off, off offset:768
	v_add_f64_e32 v[174:175], v[174:175], v[176:177]
	v_add_f64_e32 v[172:173], v[184:185], v[182:183]
	v_fmac_f64_e32 v[178:179], v[6:7], v[150:151]
	v_fma_f64 v[182:183], v[4:5], v[150:151], -v[152:153]
	ds_load_b128 v[4:7], v2 offset:1456
	s_wait_loadcnt_dscnt 0xa01
	v_mul_f64_e32 v[176:177], v[162:163], v[10:11]
	v_mul_f64_e32 v[10:11], v[164:165], v[10:11]
	scratch_load_b128 v[150:153], off, off offset:784
	v_add_f64_e32 v[174:175], v[174:175], v[180:181]
	s_wait_loadcnt_dscnt 0xa00
	v_mul_f64_e32 v[180:181], v[4:5], v[14:15]
	v_add_f64_e32 v[184:185], v[172:173], v[170:171]
	v_mul_f64_e32 v[14:15], v[6:7], v[14:15]
	ds_load_b128 v[170:173], v2 offset:1472
	v_fmac_f64_e32 v[176:177], v[164:165], v[8:9]
	v_fma_f64 v[162:163], v[162:163], v[8:9], -v[10:11]
	scratch_load_b128 v[8:11], off, off offset:800
	v_add_f64_e32 v[174:175], v[174:175], v[178:179]
	v_fmac_f64_e32 v[180:181], v[6:7], v[12:13]
	v_add_f64_e32 v[164:165], v[184:185], v[182:183]
	v_fma_f64 v[182:183], v[4:5], v[12:13], -v[14:15]
	ds_load_b128 v[4:7], v2 offset:1488
	s_wait_loadcnt_dscnt 0xa01
	v_mul_f64_e32 v[178:179], v[170:171], v[124:125]
	v_mul_f64_e32 v[124:125], v[172:173], v[124:125]
	scratch_load_b128 v[12:15], off, off offset:816
	v_add_f64_e32 v[174:175], v[174:175], v[176:177]
	s_wait_loadcnt_dscnt 0xa00
	v_mul_f64_e32 v[176:177], v[4:5], v[128:129]
	v_add_f64_e32 v[184:185], v[164:165], v[162:163]
	v_mul_f64_e32 v[128:129], v[6:7], v[128:129]
	ds_load_b128 v[162:165], v2 offset:1504
	v_fmac_f64_e32 v[178:179], v[172:173], v[122:123]
	v_fma_f64 v[122:123], v[170:171], v[122:123], -v[124:125]
	s_wait_loadcnt_dscnt 0x900
	v_mul_f64_e32 v[172:173], v[162:163], v[132:133]
	v_mul_f64_e32 v[132:133], v[164:165], v[132:133]
	v_add_f64_e32 v[170:171], v[174:175], v[180:181]
	v_fmac_f64_e32 v[176:177], v[6:7], v[126:127]
	v_add_f64_e32 v[124:125], v[184:185], v[182:183]
	v_fma_f64 v[126:127], v[4:5], v[126:127], -v[128:129]
	v_fmac_f64_e32 v[172:173], v[164:165], v[130:131]
	v_fma_f64 v[130:131], v[162:163], v[130:131], -v[132:133]
	v_add_f64_e32 v[170:171], v[170:171], v[178:179]
	v_add_f64_e32 v[128:129], v[124:125], v[122:123]
	ds_load_b128 v[4:7], v2 offset:1520
	ds_load_b128 v[122:125], v2 offset:1536
	s_wait_loadcnt_dscnt 0x801
	v_mul_f64_e32 v[174:175], v[4:5], v[136:137]
	v_mul_f64_e32 v[136:137], v[6:7], v[136:137]
	s_wait_loadcnt_dscnt 0x700
	v_mul_f64_e32 v[132:133], v[122:123], v[140:141]
	v_mul_f64_e32 v[140:141], v[124:125], v[140:141]
	v_add_f64_e32 v[126:127], v[128:129], v[126:127]
	v_add_f64_e32 v[128:129], v[170:171], v[176:177]
	v_fmac_f64_e32 v[174:175], v[6:7], v[134:135]
	v_fma_f64 v[134:135], v[4:5], v[134:135], -v[136:137]
	v_fmac_f64_e32 v[132:133], v[124:125], v[138:139]
	v_fma_f64 v[122:123], v[122:123], v[138:139], -v[140:141]
	v_add_f64_e32 v[130:131], v[126:127], v[130:131]
	v_add_f64_e32 v[136:137], v[128:129], v[172:173]
	ds_load_b128 v[4:7], v2 offset:1552
	ds_load_b128 v[126:129], v2 offset:1568
	s_wait_loadcnt_dscnt 0x601
	v_mul_f64_e32 v[162:163], v[4:5], v[144:145]
	v_mul_f64_e32 v[144:145], v[6:7], v[144:145]
	v_add_f64_e32 v[124:125], v[130:131], v[134:135]
	v_add_f64_e32 v[130:131], v[136:137], v[174:175]
	s_wait_loadcnt_dscnt 0x500
	v_mul_f64_e32 v[134:135], v[126:127], v[148:149]
	v_mul_f64_e32 v[136:137], v[128:129], v[148:149]
	v_fmac_f64_e32 v[162:163], v[6:7], v[142:143]
	v_fma_f64 v[138:139], v[4:5], v[142:143], -v[144:145]
	v_add_f64_e32 v[140:141], v[124:125], v[122:123]
	v_add_f64_e32 v[130:131], v[130:131], v[132:133]
	ds_load_b128 v[4:7], v2 offset:1584
	ds_load_b128 v[122:125], v2 offset:1600
	v_fmac_f64_e32 v[134:135], v[128:129], v[146:147]
	v_fma_f64 v[126:127], v[126:127], v[146:147], -v[136:137]
	s_wait_loadcnt_dscnt 0x401
	v_mul_f64_e32 v[132:133], v[4:5], v[156:157]
	v_mul_f64_e32 v[142:143], v[6:7], v[156:157]
	s_wait_loadcnt_dscnt 0x300
	v_mul_f64_e32 v[136:137], v[122:123], v[168:169]
	v_add_f64_e32 v[128:129], v[140:141], v[138:139]
	v_add_f64_e32 v[130:131], v[130:131], v[162:163]
	v_mul_f64_e32 v[138:139], v[124:125], v[168:169]
	v_fmac_f64_e32 v[132:133], v[6:7], v[154:155]
	v_fma_f64 v[140:141], v[4:5], v[154:155], -v[142:143]
	v_fmac_f64_e32 v[136:137], v[124:125], v[166:167]
	v_add_f64_e32 v[142:143], v[128:129], v[126:127]
	v_add_f64_e32 v[130:131], v[130:131], v[134:135]
	ds_load_b128 v[4:7], v2 offset:1616
	ds_load_b128 v[126:129], v2 offset:1632
	v_fma_f64 v[122:123], v[122:123], v[166:167], -v[138:139]
	s_wait_loadcnt_dscnt 0x201
	v_mul_f64_e32 v[134:135], v[4:5], v[152:153]
	v_mul_f64_e32 v[144:145], v[6:7], v[152:153]
	v_add_f64_e32 v[124:125], v[142:143], v[140:141]
	v_add_f64_e32 v[130:131], v[130:131], v[132:133]
	s_wait_loadcnt_dscnt 0x100
	v_mul_f64_e32 v[132:133], v[126:127], v[10:11]
	v_mul_f64_e32 v[10:11], v[128:129], v[10:11]
	v_fmac_f64_e32 v[134:135], v[6:7], v[150:151]
	v_fma_f64 v[138:139], v[4:5], v[150:151], -v[144:145]
	ds_load_b128 v[4:7], v2 offset:1648
	v_add_f64_e32 v[122:123], v[124:125], v[122:123]
	v_add_f64_e32 v[124:125], v[130:131], v[136:137]
	v_fmac_f64_e32 v[132:133], v[128:129], v[8:9]
	v_fma_f64 v[8:9], v[126:127], v[8:9], -v[10:11]
	s_wait_loadcnt_dscnt 0x0
	v_mul_f64_e32 v[130:131], v[4:5], v[14:15]
	v_mul_f64_e32 v[14:15], v[6:7], v[14:15]
	v_add_f64_e32 v[10:11], v[122:123], v[138:139]
	v_add_f64_e32 v[122:123], v[124:125], v[134:135]
	s_delay_alu instid0(VALU_DEP_4) | instskip(NEXT) | instid1(VALU_DEP_4)
	v_fmac_f64_e32 v[130:131], v[6:7], v[12:13]
	v_fma_f64 v[4:5], v[4:5], v[12:13], -v[14:15]
	s_delay_alu instid0(VALU_DEP_4) | instskip(NEXT) | instid1(VALU_DEP_4)
	v_add_f64_e32 v[6:7], v[10:11], v[8:9]
	v_add_f64_e32 v[8:9], v[122:123], v[132:133]
	s_delay_alu instid0(VALU_DEP_2) | instskip(NEXT) | instid1(VALU_DEP_2)
	v_add_f64_e32 v[4:5], v[6:7], v[4:5]
	v_add_f64_e32 v[6:7], v[8:9], v[130:131]
	s_delay_alu instid0(VALU_DEP_2) | instskip(NEXT) | instid1(VALU_DEP_2)
	v_add_f64_e64 v[4:5], v[158:159], -v[4:5]
	v_add_f64_e64 v[6:7], v[160:161], -v[6:7]
	scratch_store_b128 off, v[4:7], off offset:384
	s_wait_xcnt 0x0
	v_cmpx_lt_u32_e32 23, v1
	s_cbranch_execz .LBB115_279
; %bb.278:
	scratch_load_b128 v[6:9], off, s45
	v_dual_mov_b32 v3, v2 :: v_dual_mov_b32 v4, v2
	v_mov_b32_e32 v5, v2
	scratch_store_b128 off, v[2:5], off offset:368
	s_wait_loadcnt 0x0
	ds_store_b128 v120, v[6:9]
.LBB115_279:
	s_wait_xcnt 0x0
	s_or_b32 exec_lo, exec_lo, s2
	s_wait_storecnt_dscnt 0x0
	s_barrier_signal -1
	s_barrier_wait -1
	s_clause 0x9
	scratch_load_b128 v[4:7], off, off offset:384
	scratch_load_b128 v[8:11], off, off offset:400
	scratch_load_b128 v[12:15], off, off offset:416
	scratch_load_b128 v[122:125], off, off offset:432
	scratch_load_b128 v[126:129], off, off offset:448
	scratch_load_b128 v[130:133], off, off offset:464
	scratch_load_b128 v[134:137], off, off offset:480
	scratch_load_b128 v[138:141], off, off offset:496
	scratch_load_b128 v[142:145], off, off offset:512
	scratch_load_b128 v[146:149], off, off offset:528
	ds_load_b128 v[150:153], v2 offset:1216
	ds_load_b128 v[158:161], v2 offset:1232
	s_clause 0x2
	scratch_load_b128 v[154:157], off, off offset:544
	scratch_load_b128 v[162:165], off, off offset:368
	;; [unrolled: 1-line block ×3, first 2 shown]
	s_mov_b32 s2, exec_lo
	s_wait_loadcnt_dscnt 0xc01
	v_mul_f64_e32 v[170:171], v[152:153], v[6:7]
	v_mul_f64_e32 v[174:175], v[150:151], v[6:7]
	s_wait_loadcnt_dscnt 0xb00
	v_mul_f64_e32 v[176:177], v[158:159], v[10:11]
	v_mul_f64_e32 v[10:11], v[160:161], v[10:11]
	s_delay_alu instid0(VALU_DEP_4) | instskip(NEXT) | instid1(VALU_DEP_4)
	v_fma_f64 v[178:179], v[150:151], v[4:5], -v[170:171]
	v_fmac_f64_e32 v[174:175], v[152:153], v[4:5]
	ds_load_b128 v[4:7], v2 offset:1248
	ds_load_b128 v[150:153], v2 offset:1264
	scratch_load_b128 v[170:173], off, off offset:576
	v_fmac_f64_e32 v[176:177], v[160:161], v[8:9]
	v_fma_f64 v[158:159], v[158:159], v[8:9], -v[10:11]
	scratch_load_b128 v[8:11], off, off offset:592
	s_wait_loadcnt_dscnt 0xc01
	v_mul_f64_e32 v[180:181], v[4:5], v[14:15]
	v_mul_f64_e32 v[14:15], v[6:7], v[14:15]
	v_add_f64_e32 v[160:161], 0, v[178:179]
	v_add_f64_e32 v[174:175], 0, v[174:175]
	s_wait_loadcnt_dscnt 0xb00
	v_mul_f64_e32 v[178:179], v[150:151], v[124:125]
	v_mul_f64_e32 v[124:125], v[152:153], v[124:125]
	v_fmac_f64_e32 v[180:181], v[6:7], v[12:13]
	v_fma_f64 v[182:183], v[4:5], v[12:13], -v[14:15]
	ds_load_b128 v[4:7], v2 offset:1280
	ds_load_b128 v[12:15], v2 offset:1296
	v_add_f64_e32 v[184:185], v[160:161], v[158:159]
	v_add_f64_e32 v[174:175], v[174:175], v[176:177]
	scratch_load_b128 v[158:161], off, off offset:608
	v_fmac_f64_e32 v[178:179], v[152:153], v[122:123]
	v_fma_f64 v[150:151], v[150:151], v[122:123], -v[124:125]
	scratch_load_b128 v[122:125], off, off offset:624
	s_wait_loadcnt_dscnt 0xc01
	v_mul_f64_e32 v[176:177], v[4:5], v[128:129]
	v_mul_f64_e32 v[128:129], v[6:7], v[128:129]
	v_add_f64_e32 v[152:153], v[184:185], v[182:183]
	v_add_f64_e32 v[174:175], v[174:175], v[180:181]
	s_wait_loadcnt_dscnt 0xb00
	v_mul_f64_e32 v[180:181], v[12:13], v[132:133]
	v_mul_f64_e32 v[132:133], v[14:15], v[132:133]
	v_fmac_f64_e32 v[176:177], v[6:7], v[126:127]
	v_fma_f64 v[182:183], v[4:5], v[126:127], -v[128:129]
	ds_load_b128 v[4:7], v2 offset:1312
	ds_load_b128 v[126:129], v2 offset:1328
	v_add_f64_e32 v[184:185], v[152:153], v[150:151]
	v_add_f64_e32 v[174:175], v[174:175], v[178:179]
	scratch_load_b128 v[150:153], off, off offset:640
	s_wait_loadcnt_dscnt 0xb01
	v_mul_f64_e32 v[178:179], v[4:5], v[136:137]
	v_mul_f64_e32 v[136:137], v[6:7], v[136:137]
	v_fmac_f64_e32 v[180:181], v[14:15], v[130:131]
	v_fma_f64 v[130:131], v[12:13], v[130:131], -v[132:133]
	scratch_load_b128 v[12:15], off, off offset:656
	v_add_f64_e32 v[132:133], v[184:185], v[182:183]
	v_add_f64_e32 v[174:175], v[174:175], v[176:177]
	s_wait_loadcnt_dscnt 0xb00
	v_mul_f64_e32 v[176:177], v[126:127], v[140:141]
	v_mul_f64_e32 v[140:141], v[128:129], v[140:141]
	v_fmac_f64_e32 v[178:179], v[6:7], v[134:135]
	v_fma_f64 v[182:183], v[4:5], v[134:135], -v[136:137]
	v_add_f64_e32 v[184:185], v[132:133], v[130:131]
	v_add_f64_e32 v[174:175], v[174:175], v[180:181]
	ds_load_b128 v[4:7], v2 offset:1344
	ds_load_b128 v[130:133], v2 offset:1360
	scratch_load_b128 v[134:137], off, off offset:672
	v_fmac_f64_e32 v[176:177], v[128:129], v[138:139]
	v_fma_f64 v[138:139], v[126:127], v[138:139], -v[140:141]
	scratch_load_b128 v[126:129], off, off offset:688
	s_wait_loadcnt_dscnt 0xc01
	v_mul_f64_e32 v[180:181], v[4:5], v[144:145]
	v_mul_f64_e32 v[144:145], v[6:7], v[144:145]
	v_add_f64_e32 v[140:141], v[184:185], v[182:183]
	v_add_f64_e32 v[174:175], v[174:175], v[178:179]
	s_wait_loadcnt_dscnt 0xb00
	v_mul_f64_e32 v[178:179], v[130:131], v[148:149]
	v_mul_f64_e32 v[148:149], v[132:133], v[148:149]
	v_fmac_f64_e32 v[180:181], v[6:7], v[142:143]
	v_fma_f64 v[182:183], v[4:5], v[142:143], -v[144:145]
	v_add_f64_e32 v[184:185], v[140:141], v[138:139]
	v_add_f64_e32 v[174:175], v[174:175], v[176:177]
	ds_load_b128 v[4:7], v2 offset:1376
	ds_load_b128 v[138:141], v2 offset:1392
	scratch_load_b128 v[142:145], off, off offset:704
	v_fmac_f64_e32 v[178:179], v[132:133], v[146:147]
	v_fma_f64 v[146:147], v[130:131], v[146:147], -v[148:149]
	scratch_load_b128 v[130:133], off, off offset:720
	s_wait_loadcnt_dscnt 0xc01
	v_mul_f64_e32 v[176:177], v[4:5], v[156:157]
	v_mul_f64_e32 v[156:157], v[6:7], v[156:157]
	v_add_f64_e32 v[148:149], v[184:185], v[182:183]
	v_add_f64_e32 v[174:175], v[174:175], v[180:181]
	s_wait_loadcnt_dscnt 0xa00
	v_mul_f64_e32 v[180:181], v[138:139], v[168:169]
	v_mul_f64_e32 v[168:169], v[140:141], v[168:169]
	v_fmac_f64_e32 v[176:177], v[6:7], v[154:155]
	v_fma_f64 v[182:183], v[4:5], v[154:155], -v[156:157]
	v_add_f64_e32 v[184:185], v[148:149], v[146:147]
	v_add_f64_e32 v[174:175], v[174:175], v[178:179]
	ds_load_b128 v[4:7], v2 offset:1408
	ds_load_b128 v[146:149], v2 offset:1424
	scratch_load_b128 v[154:157], off, off offset:736
	v_fmac_f64_e32 v[180:181], v[140:141], v[166:167]
	v_fma_f64 v[166:167], v[138:139], v[166:167], -v[168:169]
	scratch_load_b128 v[138:141], off, off offset:752
	s_wait_loadcnt_dscnt 0xb01
	v_mul_f64_e32 v[178:179], v[4:5], v[172:173]
	v_mul_f64_e32 v[172:173], v[6:7], v[172:173]
	v_add_f64_e32 v[168:169], v[184:185], v[182:183]
	v_add_f64_e32 v[174:175], v[174:175], v[176:177]
	s_wait_loadcnt_dscnt 0xa00
	v_mul_f64_e32 v[176:177], v[146:147], v[10:11]
	v_mul_f64_e32 v[10:11], v[148:149], v[10:11]
	v_fmac_f64_e32 v[178:179], v[6:7], v[170:171]
	v_fma_f64 v[182:183], v[4:5], v[170:171], -v[172:173]
	v_add_f64_e32 v[184:185], v[168:169], v[166:167]
	v_add_f64_e32 v[174:175], v[174:175], v[180:181]
	ds_load_b128 v[4:7], v2 offset:1440
	ds_load_b128 v[166:169], v2 offset:1456
	scratch_load_b128 v[170:173], off, off offset:768
	v_fmac_f64_e32 v[176:177], v[148:149], v[8:9]
	v_fma_f64 v[146:147], v[146:147], v[8:9], -v[10:11]
	scratch_load_b128 v[8:11], off, off offset:784
	s_wait_loadcnt_dscnt 0xb01
	v_mul_f64_e32 v[180:181], v[4:5], v[160:161]
	v_mul_f64_e32 v[160:161], v[6:7], v[160:161]
	v_add_f64_e32 v[148:149], v[184:185], v[182:183]
	v_add_f64_e32 v[174:175], v[174:175], v[178:179]
	s_wait_loadcnt_dscnt 0xa00
	v_mul_f64_e32 v[178:179], v[166:167], v[124:125]
	v_mul_f64_e32 v[124:125], v[168:169], v[124:125]
	v_fmac_f64_e32 v[180:181], v[6:7], v[158:159]
	v_fma_f64 v[182:183], v[4:5], v[158:159], -v[160:161]
	v_add_f64_e32 v[184:185], v[148:149], v[146:147]
	v_add_f64_e32 v[174:175], v[174:175], v[176:177]
	ds_load_b128 v[4:7], v2 offset:1472
	ds_load_b128 v[146:149], v2 offset:1488
	scratch_load_b128 v[158:161], off, off offset:800
	v_fmac_f64_e32 v[178:179], v[168:169], v[122:123]
	v_fma_f64 v[166:167], v[166:167], v[122:123], -v[124:125]
	scratch_load_b128 v[122:125], off, off offset:816
	s_wait_loadcnt_dscnt 0xb01
	v_mul_f64_e32 v[176:177], v[4:5], v[152:153]
	v_mul_f64_e32 v[152:153], v[6:7], v[152:153]
	v_add_f64_e32 v[168:169], v[184:185], v[182:183]
	v_add_f64_e32 v[174:175], v[174:175], v[180:181]
	s_wait_loadcnt_dscnt 0xa00
	v_mul_f64_e32 v[180:181], v[146:147], v[14:15]
	v_mul_f64_e32 v[14:15], v[148:149], v[14:15]
	v_fmac_f64_e32 v[176:177], v[6:7], v[150:151]
	v_fma_f64 v[182:183], v[4:5], v[150:151], -v[152:153]
	ds_load_b128 v[4:7], v2 offset:1504
	ds_load_b128 v[150:153], v2 offset:1520
	v_add_f64_e32 v[166:167], v[168:169], v[166:167]
	v_add_f64_e32 v[168:169], v[174:175], v[178:179]
	v_fmac_f64_e32 v[180:181], v[148:149], v[12:13]
	v_fma_f64 v[12:13], v[146:147], v[12:13], -v[14:15]
	s_wait_loadcnt_dscnt 0x901
	v_mul_f64_e32 v[174:175], v[4:5], v[136:137]
	v_mul_f64_e32 v[136:137], v[6:7], v[136:137]
	s_wait_loadcnt_dscnt 0x800
	v_mul_f64_e32 v[148:149], v[150:151], v[128:129]
	v_mul_f64_e32 v[128:129], v[152:153], v[128:129]
	v_add_f64_e32 v[14:15], v[166:167], v[182:183]
	v_add_f64_e32 v[146:147], v[168:169], v[176:177]
	v_fmac_f64_e32 v[174:175], v[6:7], v[134:135]
	v_fma_f64 v[134:135], v[4:5], v[134:135], -v[136:137]
	v_fmac_f64_e32 v[148:149], v[152:153], v[126:127]
	v_fma_f64 v[126:127], v[150:151], v[126:127], -v[128:129]
	v_add_f64_e32 v[136:137], v[14:15], v[12:13]
	v_add_f64_e32 v[146:147], v[146:147], v[180:181]
	ds_load_b128 v[4:7], v2 offset:1536
	ds_load_b128 v[12:15], v2 offset:1552
	s_wait_loadcnt_dscnt 0x701
	v_mul_f64_e32 v[166:167], v[4:5], v[144:145]
	v_mul_f64_e32 v[144:145], v[6:7], v[144:145]
	v_add_f64_e32 v[128:129], v[136:137], v[134:135]
	v_add_f64_e32 v[134:135], v[146:147], v[174:175]
	s_wait_loadcnt_dscnt 0x600
	v_mul_f64_e32 v[136:137], v[12:13], v[132:133]
	v_mul_f64_e32 v[132:133], v[14:15], v[132:133]
	v_fmac_f64_e32 v[166:167], v[6:7], v[142:143]
	v_fma_f64 v[142:143], v[4:5], v[142:143], -v[144:145]
	v_add_f64_e32 v[144:145], v[128:129], v[126:127]
	v_add_f64_e32 v[134:135], v[134:135], v[148:149]
	ds_load_b128 v[4:7], v2 offset:1568
	ds_load_b128 v[126:129], v2 offset:1584
	v_fmac_f64_e32 v[136:137], v[14:15], v[130:131]
	v_fma_f64 v[12:13], v[12:13], v[130:131], -v[132:133]
	s_wait_loadcnt_dscnt 0x501
	v_mul_f64_e32 v[146:147], v[4:5], v[156:157]
	v_mul_f64_e32 v[148:149], v[6:7], v[156:157]
	s_wait_loadcnt_dscnt 0x400
	v_mul_f64_e32 v[132:133], v[126:127], v[140:141]
	v_add_f64_e32 v[14:15], v[144:145], v[142:143]
	v_add_f64_e32 v[130:131], v[134:135], v[166:167]
	v_mul_f64_e32 v[134:135], v[128:129], v[140:141]
	v_fmac_f64_e32 v[146:147], v[6:7], v[154:155]
	v_fma_f64 v[140:141], v[4:5], v[154:155], -v[148:149]
	v_fmac_f64_e32 v[132:133], v[128:129], v[138:139]
	v_add_f64_e32 v[142:143], v[14:15], v[12:13]
	v_add_f64_e32 v[130:131], v[130:131], v[136:137]
	ds_load_b128 v[4:7], v2 offset:1600
	ds_load_b128 v[12:15], v2 offset:1616
	v_fma_f64 v[126:127], v[126:127], v[138:139], -v[134:135]
	s_wait_loadcnt_dscnt 0x301
	v_mul_f64_e32 v[136:137], v[4:5], v[172:173]
	v_mul_f64_e32 v[144:145], v[6:7], v[172:173]
	s_wait_loadcnt_dscnt 0x200
	v_mul_f64_e32 v[134:135], v[12:13], v[10:11]
	v_mul_f64_e32 v[10:11], v[14:15], v[10:11]
	v_add_f64_e32 v[128:129], v[142:143], v[140:141]
	v_add_f64_e32 v[130:131], v[130:131], v[146:147]
	v_fmac_f64_e32 v[136:137], v[6:7], v[170:171]
	v_fma_f64 v[138:139], v[4:5], v[170:171], -v[144:145]
	v_fmac_f64_e32 v[134:135], v[14:15], v[8:9]
	v_fma_f64 v[8:9], v[12:13], v[8:9], -v[10:11]
	v_add_f64_e32 v[140:141], v[128:129], v[126:127]
	v_add_f64_e32 v[130:131], v[130:131], v[132:133]
	ds_load_b128 v[4:7], v2 offset:1632
	ds_load_b128 v[126:129], v2 offset:1648
	s_wait_loadcnt_dscnt 0x101
	v_mul_f64_e32 v[2:3], v[4:5], v[160:161]
	v_mul_f64_e32 v[132:133], v[6:7], v[160:161]
	s_wait_loadcnt_dscnt 0x0
	v_mul_f64_e32 v[14:15], v[126:127], v[124:125]
	v_mul_f64_e32 v[124:125], v[128:129], v[124:125]
	v_add_f64_e32 v[10:11], v[140:141], v[138:139]
	v_add_f64_e32 v[12:13], v[130:131], v[136:137]
	v_fmac_f64_e32 v[2:3], v[6:7], v[158:159]
	v_fma_f64 v[4:5], v[4:5], v[158:159], -v[132:133]
	v_fmac_f64_e32 v[14:15], v[128:129], v[122:123]
	v_add_f64_e32 v[6:7], v[10:11], v[8:9]
	v_add_f64_e32 v[8:9], v[12:13], v[134:135]
	v_fma_f64 v[10:11], v[126:127], v[122:123], -v[124:125]
	s_delay_alu instid0(VALU_DEP_3) | instskip(NEXT) | instid1(VALU_DEP_3)
	v_add_f64_e32 v[4:5], v[6:7], v[4:5]
	v_add_f64_e32 v[2:3], v[8:9], v[2:3]
	s_delay_alu instid0(VALU_DEP_2) | instskip(NEXT) | instid1(VALU_DEP_2)
	v_add_f64_e32 v[4:5], v[4:5], v[10:11]
	v_add_f64_e32 v[6:7], v[2:3], v[14:15]
	s_delay_alu instid0(VALU_DEP_2) | instskip(NEXT) | instid1(VALU_DEP_2)
	v_add_f64_e64 v[2:3], v[162:163], -v[4:5]
	v_add_f64_e64 v[4:5], v[164:165], -v[6:7]
	scratch_store_b128 off, v[2:5], off offset:368
	s_wait_xcnt 0x0
	v_cmpx_lt_u32_e32 22, v1
	s_cbranch_execz .LBB115_281
; %bb.280:
	scratch_load_b128 v[2:5], off, s46
	v_mov_b32_e32 v6, 0
	s_delay_alu instid0(VALU_DEP_1)
	v_dual_mov_b32 v7, v6 :: v_dual_mov_b32 v8, v6
	v_mov_b32_e32 v9, v6
	scratch_store_b128 off, v[6:9], off offset:352
	s_wait_loadcnt 0x0
	ds_store_b128 v120, v[2:5]
.LBB115_281:
	s_wait_xcnt 0x0
	s_or_b32 exec_lo, exec_lo, s2
	s_wait_storecnt_dscnt 0x0
	s_barrier_signal -1
	s_barrier_wait -1
	s_clause 0x9
	scratch_load_b128 v[4:7], off, off offset:368
	scratch_load_b128 v[8:11], off, off offset:384
	;; [unrolled: 1-line block ×10, first 2 shown]
	v_mov_b32_e32 v2, 0
	s_mov_b32 s2, exec_lo
	ds_load_b128 v[150:153], v2 offset:1200
	s_clause 0x2
	scratch_load_b128 v[154:157], off, off offset:528
	scratch_load_b128 v[158:161], off, off offset:352
	;; [unrolled: 1-line block ×3, first 2 shown]
	s_wait_loadcnt_dscnt 0xc00
	v_mul_f64_e32 v[170:171], v[152:153], v[6:7]
	v_mul_f64_e32 v[174:175], v[150:151], v[6:7]
	ds_load_b128 v[162:165], v2 offset:1216
	v_fma_f64 v[178:179], v[150:151], v[4:5], -v[170:171]
	v_fmac_f64_e32 v[174:175], v[152:153], v[4:5]
	ds_load_b128 v[4:7], v2 offset:1232
	s_wait_loadcnt_dscnt 0xb01
	v_mul_f64_e32 v[176:177], v[162:163], v[10:11]
	v_mul_f64_e32 v[10:11], v[164:165], v[10:11]
	scratch_load_b128 v[150:153], off, off offset:560
	ds_load_b128 v[170:173], v2 offset:1248
	s_wait_loadcnt_dscnt 0xb01
	v_mul_f64_e32 v[180:181], v[4:5], v[14:15]
	v_mul_f64_e32 v[14:15], v[6:7], v[14:15]
	v_add_f64_e32 v[174:175], 0, v[174:175]
	v_fmac_f64_e32 v[176:177], v[164:165], v[8:9]
	v_fma_f64 v[162:163], v[162:163], v[8:9], -v[10:11]
	v_add_f64_e32 v[164:165], 0, v[178:179]
	scratch_load_b128 v[8:11], off, off offset:576
	v_fmac_f64_e32 v[180:181], v[6:7], v[12:13]
	v_fma_f64 v[182:183], v[4:5], v[12:13], -v[14:15]
	ds_load_b128 v[4:7], v2 offset:1264
	s_wait_loadcnt_dscnt 0xb01
	v_mul_f64_e32 v[178:179], v[170:171], v[124:125]
	v_mul_f64_e32 v[124:125], v[172:173], v[124:125]
	scratch_load_b128 v[12:15], off, off offset:592
	v_add_f64_e32 v[174:175], v[174:175], v[176:177]
	v_add_f64_e32 v[184:185], v[164:165], v[162:163]
	ds_load_b128 v[162:165], v2 offset:1280
	s_wait_loadcnt_dscnt 0xb01
	v_mul_f64_e32 v[176:177], v[4:5], v[128:129]
	v_mul_f64_e32 v[128:129], v[6:7], v[128:129]
	v_fmac_f64_e32 v[178:179], v[172:173], v[122:123]
	v_fma_f64 v[170:171], v[170:171], v[122:123], -v[124:125]
	scratch_load_b128 v[122:125], off, off offset:608
	v_add_f64_e32 v[174:175], v[174:175], v[180:181]
	v_add_f64_e32 v[172:173], v[184:185], v[182:183]
	v_fmac_f64_e32 v[176:177], v[6:7], v[126:127]
	v_fma_f64 v[182:183], v[4:5], v[126:127], -v[128:129]
	ds_load_b128 v[4:7], v2 offset:1296
	s_wait_loadcnt_dscnt 0xb01
	v_mul_f64_e32 v[180:181], v[162:163], v[132:133]
	v_mul_f64_e32 v[132:133], v[164:165], v[132:133]
	scratch_load_b128 v[126:129], off, off offset:624
	v_add_f64_e32 v[174:175], v[174:175], v[178:179]
	s_wait_loadcnt_dscnt 0xb00
	v_mul_f64_e32 v[178:179], v[4:5], v[136:137]
	v_add_f64_e32 v[184:185], v[172:173], v[170:171]
	v_mul_f64_e32 v[136:137], v[6:7], v[136:137]
	ds_load_b128 v[170:173], v2 offset:1312
	v_fmac_f64_e32 v[180:181], v[164:165], v[130:131]
	v_fma_f64 v[162:163], v[162:163], v[130:131], -v[132:133]
	scratch_load_b128 v[130:133], off, off offset:640
	v_add_f64_e32 v[174:175], v[174:175], v[176:177]
	v_fmac_f64_e32 v[178:179], v[6:7], v[134:135]
	v_add_f64_e32 v[164:165], v[184:185], v[182:183]
	v_fma_f64 v[182:183], v[4:5], v[134:135], -v[136:137]
	ds_load_b128 v[4:7], v2 offset:1328
	s_wait_loadcnt_dscnt 0xb01
	v_mul_f64_e32 v[176:177], v[170:171], v[140:141]
	v_mul_f64_e32 v[140:141], v[172:173], v[140:141]
	scratch_load_b128 v[134:137], off, off offset:656
	v_add_f64_e32 v[174:175], v[174:175], v[180:181]
	s_wait_loadcnt_dscnt 0xb00
	v_mul_f64_e32 v[180:181], v[4:5], v[144:145]
	v_add_f64_e32 v[184:185], v[164:165], v[162:163]
	v_mul_f64_e32 v[144:145], v[6:7], v[144:145]
	ds_load_b128 v[162:165], v2 offset:1344
	v_fmac_f64_e32 v[176:177], v[172:173], v[138:139]
	v_fma_f64 v[170:171], v[170:171], v[138:139], -v[140:141]
	scratch_load_b128 v[138:141], off, off offset:672
	v_add_f64_e32 v[174:175], v[174:175], v[178:179]
	v_fmac_f64_e32 v[180:181], v[6:7], v[142:143]
	v_add_f64_e32 v[172:173], v[184:185], v[182:183]
	v_fma_f64 v[182:183], v[4:5], v[142:143], -v[144:145]
	ds_load_b128 v[4:7], v2 offset:1360
	s_wait_loadcnt_dscnt 0xb01
	v_mul_f64_e32 v[178:179], v[162:163], v[148:149]
	v_mul_f64_e32 v[148:149], v[164:165], v[148:149]
	scratch_load_b128 v[142:145], off, off offset:688
	v_add_f64_e32 v[174:175], v[174:175], v[176:177]
	s_wait_loadcnt_dscnt 0xb00
	v_mul_f64_e32 v[176:177], v[4:5], v[156:157]
	v_add_f64_e32 v[184:185], v[172:173], v[170:171]
	v_mul_f64_e32 v[156:157], v[6:7], v[156:157]
	ds_load_b128 v[170:173], v2 offset:1376
	v_fmac_f64_e32 v[178:179], v[164:165], v[146:147]
	v_fma_f64 v[162:163], v[162:163], v[146:147], -v[148:149]
	scratch_load_b128 v[146:149], off, off offset:704
	v_add_f64_e32 v[174:175], v[174:175], v[180:181]
	v_fmac_f64_e32 v[176:177], v[6:7], v[154:155]
	v_add_f64_e32 v[164:165], v[184:185], v[182:183]
	v_fma_f64 v[182:183], v[4:5], v[154:155], -v[156:157]
	ds_load_b128 v[4:7], v2 offset:1392
	s_wait_loadcnt_dscnt 0xa01
	v_mul_f64_e32 v[180:181], v[170:171], v[168:169]
	v_mul_f64_e32 v[168:169], v[172:173], v[168:169]
	scratch_load_b128 v[154:157], off, off offset:720
	v_add_f64_e32 v[174:175], v[174:175], v[178:179]
	v_add_f64_e32 v[184:185], v[164:165], v[162:163]
	s_wait_loadcnt_dscnt 0xa00
	v_mul_f64_e32 v[178:179], v[4:5], v[152:153]
	v_mul_f64_e32 v[152:153], v[6:7], v[152:153]
	v_fmac_f64_e32 v[180:181], v[172:173], v[166:167]
	v_fma_f64 v[170:171], v[170:171], v[166:167], -v[168:169]
	ds_load_b128 v[162:165], v2 offset:1408
	scratch_load_b128 v[166:169], off, off offset:736
	v_add_f64_e32 v[174:175], v[174:175], v[176:177]
	v_add_f64_e32 v[172:173], v[184:185], v[182:183]
	v_fmac_f64_e32 v[178:179], v[6:7], v[150:151]
	v_fma_f64 v[182:183], v[4:5], v[150:151], -v[152:153]
	ds_load_b128 v[4:7], v2 offset:1424
	s_wait_loadcnt_dscnt 0xa01
	v_mul_f64_e32 v[176:177], v[162:163], v[10:11]
	v_mul_f64_e32 v[10:11], v[164:165], v[10:11]
	scratch_load_b128 v[150:153], off, off offset:752
	v_add_f64_e32 v[174:175], v[174:175], v[180:181]
	s_wait_loadcnt_dscnt 0xa00
	v_mul_f64_e32 v[180:181], v[4:5], v[14:15]
	v_add_f64_e32 v[184:185], v[172:173], v[170:171]
	v_mul_f64_e32 v[14:15], v[6:7], v[14:15]
	ds_load_b128 v[170:173], v2 offset:1440
	v_fmac_f64_e32 v[176:177], v[164:165], v[8:9]
	v_fma_f64 v[162:163], v[162:163], v[8:9], -v[10:11]
	scratch_load_b128 v[8:11], off, off offset:768
	v_add_f64_e32 v[174:175], v[174:175], v[178:179]
	v_fmac_f64_e32 v[180:181], v[6:7], v[12:13]
	v_add_f64_e32 v[164:165], v[184:185], v[182:183]
	v_fma_f64 v[182:183], v[4:5], v[12:13], -v[14:15]
	ds_load_b128 v[4:7], v2 offset:1456
	s_wait_loadcnt_dscnt 0xa01
	v_mul_f64_e32 v[178:179], v[170:171], v[124:125]
	v_mul_f64_e32 v[124:125], v[172:173], v[124:125]
	scratch_load_b128 v[12:15], off, off offset:784
	v_add_f64_e32 v[174:175], v[174:175], v[176:177]
	s_wait_loadcnt_dscnt 0xa00
	v_mul_f64_e32 v[176:177], v[4:5], v[128:129]
	v_add_f64_e32 v[184:185], v[164:165], v[162:163]
	v_mul_f64_e32 v[128:129], v[6:7], v[128:129]
	ds_load_b128 v[162:165], v2 offset:1472
	v_fmac_f64_e32 v[178:179], v[172:173], v[122:123]
	v_fma_f64 v[170:171], v[170:171], v[122:123], -v[124:125]
	scratch_load_b128 v[122:125], off, off offset:800
	v_add_f64_e32 v[174:175], v[174:175], v[180:181]
	v_fmac_f64_e32 v[176:177], v[6:7], v[126:127]
	v_add_f64_e32 v[172:173], v[184:185], v[182:183]
	v_fma_f64 v[182:183], v[4:5], v[126:127], -v[128:129]
	ds_load_b128 v[4:7], v2 offset:1488
	s_wait_loadcnt_dscnt 0xa01
	v_mul_f64_e32 v[180:181], v[162:163], v[132:133]
	v_mul_f64_e32 v[132:133], v[164:165], v[132:133]
	scratch_load_b128 v[126:129], off, off offset:816
	v_add_f64_e32 v[174:175], v[174:175], v[178:179]
	s_wait_loadcnt_dscnt 0xa00
	v_mul_f64_e32 v[178:179], v[4:5], v[136:137]
	v_add_f64_e32 v[184:185], v[172:173], v[170:171]
	v_mul_f64_e32 v[136:137], v[6:7], v[136:137]
	ds_load_b128 v[170:173], v2 offset:1504
	v_fmac_f64_e32 v[180:181], v[164:165], v[130:131]
	v_fma_f64 v[130:131], v[162:163], v[130:131], -v[132:133]
	s_wait_loadcnt_dscnt 0x900
	v_mul_f64_e32 v[164:165], v[170:171], v[140:141]
	v_mul_f64_e32 v[140:141], v[172:173], v[140:141]
	v_add_f64_e32 v[162:163], v[174:175], v[176:177]
	v_fmac_f64_e32 v[178:179], v[6:7], v[134:135]
	v_add_f64_e32 v[132:133], v[184:185], v[182:183]
	v_fma_f64 v[134:135], v[4:5], v[134:135], -v[136:137]
	v_fmac_f64_e32 v[164:165], v[172:173], v[138:139]
	v_fma_f64 v[138:139], v[170:171], v[138:139], -v[140:141]
	v_add_f64_e32 v[162:163], v[162:163], v[180:181]
	v_add_f64_e32 v[136:137], v[132:133], v[130:131]
	ds_load_b128 v[4:7], v2 offset:1520
	ds_load_b128 v[130:133], v2 offset:1536
	s_wait_loadcnt_dscnt 0x801
	v_mul_f64_e32 v[174:175], v[4:5], v[144:145]
	v_mul_f64_e32 v[144:145], v[6:7], v[144:145]
	s_wait_loadcnt_dscnt 0x700
	v_mul_f64_e32 v[140:141], v[130:131], v[148:149]
	v_mul_f64_e32 v[148:149], v[132:133], v[148:149]
	v_add_f64_e32 v[134:135], v[136:137], v[134:135]
	v_add_f64_e32 v[136:137], v[162:163], v[178:179]
	v_fmac_f64_e32 v[174:175], v[6:7], v[142:143]
	v_fma_f64 v[142:143], v[4:5], v[142:143], -v[144:145]
	v_fmac_f64_e32 v[140:141], v[132:133], v[146:147]
	v_fma_f64 v[130:131], v[130:131], v[146:147], -v[148:149]
	v_add_f64_e32 v[138:139], v[134:135], v[138:139]
	v_add_f64_e32 v[144:145], v[136:137], v[164:165]
	ds_load_b128 v[4:7], v2 offset:1552
	ds_load_b128 v[134:137], v2 offset:1568
	s_wait_loadcnt_dscnt 0x601
	v_mul_f64_e32 v[162:163], v[4:5], v[156:157]
	v_mul_f64_e32 v[156:157], v[6:7], v[156:157]
	v_add_f64_e32 v[132:133], v[138:139], v[142:143]
	v_add_f64_e32 v[138:139], v[144:145], v[174:175]
	s_wait_loadcnt_dscnt 0x500
	v_mul_f64_e32 v[142:143], v[134:135], v[168:169]
	v_mul_f64_e32 v[144:145], v[136:137], v[168:169]
	v_fmac_f64_e32 v[162:163], v[6:7], v[154:155]
	v_fma_f64 v[146:147], v[4:5], v[154:155], -v[156:157]
	v_add_f64_e32 v[148:149], v[132:133], v[130:131]
	v_add_f64_e32 v[138:139], v[138:139], v[140:141]
	ds_load_b128 v[4:7], v2 offset:1584
	ds_load_b128 v[130:133], v2 offset:1600
	v_fmac_f64_e32 v[142:143], v[136:137], v[166:167]
	v_fma_f64 v[134:135], v[134:135], v[166:167], -v[144:145]
	s_wait_loadcnt_dscnt 0x401
	v_mul_f64_e32 v[140:141], v[4:5], v[152:153]
	v_mul_f64_e32 v[152:153], v[6:7], v[152:153]
	s_wait_loadcnt_dscnt 0x300
	v_mul_f64_e32 v[144:145], v[130:131], v[10:11]
	v_mul_f64_e32 v[10:11], v[132:133], v[10:11]
	v_add_f64_e32 v[136:137], v[148:149], v[146:147]
	v_add_f64_e32 v[138:139], v[138:139], v[162:163]
	v_fmac_f64_e32 v[140:141], v[6:7], v[150:151]
	v_fma_f64 v[146:147], v[4:5], v[150:151], -v[152:153]
	v_fmac_f64_e32 v[144:145], v[132:133], v[8:9]
	v_fma_f64 v[8:9], v[130:131], v[8:9], -v[10:11]
	v_add_f64_e32 v[148:149], v[136:137], v[134:135]
	v_add_f64_e32 v[138:139], v[138:139], v[142:143]
	ds_load_b128 v[4:7], v2 offset:1616
	ds_load_b128 v[134:137], v2 offset:1632
	s_wait_loadcnt_dscnt 0x201
	v_mul_f64_e32 v[142:143], v[4:5], v[14:15]
	v_mul_f64_e32 v[14:15], v[6:7], v[14:15]
	s_wait_loadcnt_dscnt 0x100
	v_mul_f64_e32 v[132:133], v[134:135], v[124:125]
	v_mul_f64_e32 v[124:125], v[136:137], v[124:125]
	v_add_f64_e32 v[10:11], v[148:149], v[146:147]
	v_add_f64_e32 v[130:131], v[138:139], v[140:141]
	v_fmac_f64_e32 v[142:143], v[6:7], v[12:13]
	v_fma_f64 v[12:13], v[4:5], v[12:13], -v[14:15]
	ds_load_b128 v[4:7], v2 offset:1648
	v_fmac_f64_e32 v[132:133], v[136:137], v[122:123]
	v_fma_f64 v[122:123], v[134:135], v[122:123], -v[124:125]
	v_add_f64_e32 v[8:9], v[10:11], v[8:9]
	v_add_f64_e32 v[10:11], v[130:131], v[144:145]
	s_wait_loadcnt_dscnt 0x0
	v_mul_f64_e32 v[14:15], v[4:5], v[128:129]
	v_mul_f64_e32 v[128:129], v[6:7], v[128:129]
	s_delay_alu instid0(VALU_DEP_4) | instskip(NEXT) | instid1(VALU_DEP_4)
	v_add_f64_e32 v[8:9], v[8:9], v[12:13]
	v_add_f64_e32 v[10:11], v[10:11], v[142:143]
	s_delay_alu instid0(VALU_DEP_4) | instskip(NEXT) | instid1(VALU_DEP_4)
	v_fmac_f64_e32 v[14:15], v[6:7], v[126:127]
	v_fma_f64 v[4:5], v[4:5], v[126:127], -v[128:129]
	s_delay_alu instid0(VALU_DEP_4) | instskip(NEXT) | instid1(VALU_DEP_4)
	v_add_f64_e32 v[6:7], v[8:9], v[122:123]
	v_add_f64_e32 v[8:9], v[10:11], v[132:133]
	s_delay_alu instid0(VALU_DEP_2) | instskip(NEXT) | instid1(VALU_DEP_2)
	v_add_f64_e32 v[4:5], v[6:7], v[4:5]
	v_add_f64_e32 v[6:7], v[8:9], v[14:15]
	s_delay_alu instid0(VALU_DEP_2) | instskip(NEXT) | instid1(VALU_DEP_2)
	v_add_f64_e64 v[4:5], v[158:159], -v[4:5]
	v_add_f64_e64 v[6:7], v[160:161], -v[6:7]
	scratch_store_b128 off, v[4:7], off offset:352
	s_wait_xcnt 0x0
	v_cmpx_lt_u32_e32 21, v1
	s_cbranch_execz .LBB115_283
; %bb.282:
	scratch_load_b128 v[6:9], off, s47
	v_dual_mov_b32 v3, v2 :: v_dual_mov_b32 v4, v2
	v_mov_b32_e32 v5, v2
	scratch_store_b128 off, v[2:5], off offset:336
	s_wait_loadcnt 0x0
	ds_store_b128 v120, v[6:9]
.LBB115_283:
	s_wait_xcnt 0x0
	s_or_b32 exec_lo, exec_lo, s2
	s_wait_storecnt_dscnt 0x0
	s_barrier_signal -1
	s_barrier_wait -1
	s_clause 0x9
	scratch_load_b128 v[4:7], off, off offset:352
	scratch_load_b128 v[8:11], off, off offset:368
	scratch_load_b128 v[12:15], off, off offset:384
	scratch_load_b128 v[122:125], off, off offset:400
	scratch_load_b128 v[126:129], off, off offset:416
	scratch_load_b128 v[130:133], off, off offset:432
	scratch_load_b128 v[134:137], off, off offset:448
	scratch_load_b128 v[138:141], off, off offset:464
	scratch_load_b128 v[142:145], off, off offset:480
	scratch_load_b128 v[146:149], off, off offset:496
	ds_load_b128 v[150:153], v2 offset:1184
	ds_load_b128 v[158:161], v2 offset:1200
	s_clause 0x2
	scratch_load_b128 v[154:157], off, off offset:512
	scratch_load_b128 v[162:165], off, off offset:336
	;; [unrolled: 1-line block ×3, first 2 shown]
	s_mov_b32 s2, exec_lo
	s_wait_loadcnt_dscnt 0xc01
	v_mul_f64_e32 v[170:171], v[152:153], v[6:7]
	v_mul_f64_e32 v[174:175], v[150:151], v[6:7]
	s_wait_loadcnt_dscnt 0xb00
	v_mul_f64_e32 v[176:177], v[158:159], v[10:11]
	v_mul_f64_e32 v[10:11], v[160:161], v[10:11]
	s_delay_alu instid0(VALU_DEP_4) | instskip(NEXT) | instid1(VALU_DEP_4)
	v_fma_f64 v[178:179], v[150:151], v[4:5], -v[170:171]
	v_fmac_f64_e32 v[174:175], v[152:153], v[4:5]
	ds_load_b128 v[4:7], v2 offset:1216
	ds_load_b128 v[150:153], v2 offset:1232
	scratch_load_b128 v[170:173], off, off offset:544
	v_fmac_f64_e32 v[176:177], v[160:161], v[8:9]
	v_fma_f64 v[158:159], v[158:159], v[8:9], -v[10:11]
	scratch_load_b128 v[8:11], off, off offset:560
	s_wait_loadcnt_dscnt 0xc01
	v_mul_f64_e32 v[180:181], v[4:5], v[14:15]
	v_mul_f64_e32 v[14:15], v[6:7], v[14:15]
	v_add_f64_e32 v[160:161], 0, v[178:179]
	v_add_f64_e32 v[174:175], 0, v[174:175]
	s_wait_loadcnt_dscnt 0xb00
	v_mul_f64_e32 v[178:179], v[150:151], v[124:125]
	v_mul_f64_e32 v[124:125], v[152:153], v[124:125]
	v_fmac_f64_e32 v[180:181], v[6:7], v[12:13]
	v_fma_f64 v[182:183], v[4:5], v[12:13], -v[14:15]
	ds_load_b128 v[4:7], v2 offset:1248
	ds_load_b128 v[12:15], v2 offset:1264
	v_add_f64_e32 v[184:185], v[160:161], v[158:159]
	v_add_f64_e32 v[174:175], v[174:175], v[176:177]
	scratch_load_b128 v[158:161], off, off offset:576
	v_fmac_f64_e32 v[178:179], v[152:153], v[122:123]
	v_fma_f64 v[150:151], v[150:151], v[122:123], -v[124:125]
	scratch_load_b128 v[122:125], off, off offset:592
	s_wait_loadcnt_dscnt 0xc01
	v_mul_f64_e32 v[176:177], v[4:5], v[128:129]
	v_mul_f64_e32 v[128:129], v[6:7], v[128:129]
	v_add_f64_e32 v[152:153], v[184:185], v[182:183]
	v_add_f64_e32 v[174:175], v[174:175], v[180:181]
	s_wait_loadcnt_dscnt 0xb00
	v_mul_f64_e32 v[180:181], v[12:13], v[132:133]
	v_mul_f64_e32 v[132:133], v[14:15], v[132:133]
	v_fmac_f64_e32 v[176:177], v[6:7], v[126:127]
	v_fma_f64 v[182:183], v[4:5], v[126:127], -v[128:129]
	ds_load_b128 v[4:7], v2 offset:1280
	ds_load_b128 v[126:129], v2 offset:1296
	v_add_f64_e32 v[184:185], v[152:153], v[150:151]
	v_add_f64_e32 v[174:175], v[174:175], v[178:179]
	scratch_load_b128 v[150:153], off, off offset:608
	s_wait_loadcnt_dscnt 0xb01
	v_mul_f64_e32 v[178:179], v[4:5], v[136:137]
	v_mul_f64_e32 v[136:137], v[6:7], v[136:137]
	v_fmac_f64_e32 v[180:181], v[14:15], v[130:131]
	v_fma_f64 v[130:131], v[12:13], v[130:131], -v[132:133]
	scratch_load_b128 v[12:15], off, off offset:624
	v_add_f64_e32 v[132:133], v[184:185], v[182:183]
	v_add_f64_e32 v[174:175], v[174:175], v[176:177]
	s_wait_loadcnt_dscnt 0xb00
	v_mul_f64_e32 v[176:177], v[126:127], v[140:141]
	v_mul_f64_e32 v[140:141], v[128:129], v[140:141]
	v_fmac_f64_e32 v[178:179], v[6:7], v[134:135]
	v_fma_f64 v[182:183], v[4:5], v[134:135], -v[136:137]
	v_add_f64_e32 v[184:185], v[132:133], v[130:131]
	v_add_f64_e32 v[174:175], v[174:175], v[180:181]
	ds_load_b128 v[4:7], v2 offset:1312
	ds_load_b128 v[130:133], v2 offset:1328
	scratch_load_b128 v[134:137], off, off offset:640
	v_fmac_f64_e32 v[176:177], v[128:129], v[138:139]
	v_fma_f64 v[138:139], v[126:127], v[138:139], -v[140:141]
	scratch_load_b128 v[126:129], off, off offset:656
	s_wait_loadcnt_dscnt 0xc01
	v_mul_f64_e32 v[180:181], v[4:5], v[144:145]
	v_mul_f64_e32 v[144:145], v[6:7], v[144:145]
	v_add_f64_e32 v[140:141], v[184:185], v[182:183]
	v_add_f64_e32 v[174:175], v[174:175], v[178:179]
	s_wait_loadcnt_dscnt 0xb00
	v_mul_f64_e32 v[178:179], v[130:131], v[148:149]
	v_mul_f64_e32 v[148:149], v[132:133], v[148:149]
	v_fmac_f64_e32 v[180:181], v[6:7], v[142:143]
	v_fma_f64 v[182:183], v[4:5], v[142:143], -v[144:145]
	v_add_f64_e32 v[184:185], v[140:141], v[138:139]
	v_add_f64_e32 v[174:175], v[174:175], v[176:177]
	ds_load_b128 v[4:7], v2 offset:1344
	ds_load_b128 v[138:141], v2 offset:1360
	scratch_load_b128 v[142:145], off, off offset:672
	v_fmac_f64_e32 v[178:179], v[132:133], v[146:147]
	v_fma_f64 v[146:147], v[130:131], v[146:147], -v[148:149]
	scratch_load_b128 v[130:133], off, off offset:688
	s_wait_loadcnt_dscnt 0xc01
	v_mul_f64_e32 v[176:177], v[4:5], v[156:157]
	v_mul_f64_e32 v[156:157], v[6:7], v[156:157]
	v_add_f64_e32 v[148:149], v[184:185], v[182:183]
	v_add_f64_e32 v[174:175], v[174:175], v[180:181]
	s_wait_loadcnt_dscnt 0xa00
	v_mul_f64_e32 v[180:181], v[138:139], v[168:169]
	v_mul_f64_e32 v[168:169], v[140:141], v[168:169]
	v_fmac_f64_e32 v[176:177], v[6:7], v[154:155]
	v_fma_f64 v[182:183], v[4:5], v[154:155], -v[156:157]
	v_add_f64_e32 v[184:185], v[148:149], v[146:147]
	v_add_f64_e32 v[174:175], v[174:175], v[178:179]
	ds_load_b128 v[4:7], v2 offset:1376
	ds_load_b128 v[146:149], v2 offset:1392
	scratch_load_b128 v[154:157], off, off offset:704
	v_fmac_f64_e32 v[180:181], v[140:141], v[166:167]
	v_fma_f64 v[166:167], v[138:139], v[166:167], -v[168:169]
	scratch_load_b128 v[138:141], off, off offset:720
	s_wait_loadcnt_dscnt 0xb01
	v_mul_f64_e32 v[178:179], v[4:5], v[172:173]
	v_mul_f64_e32 v[172:173], v[6:7], v[172:173]
	v_add_f64_e32 v[168:169], v[184:185], v[182:183]
	v_add_f64_e32 v[174:175], v[174:175], v[176:177]
	s_wait_loadcnt_dscnt 0xa00
	v_mul_f64_e32 v[176:177], v[146:147], v[10:11]
	v_mul_f64_e32 v[10:11], v[148:149], v[10:11]
	v_fmac_f64_e32 v[178:179], v[6:7], v[170:171]
	v_fma_f64 v[182:183], v[4:5], v[170:171], -v[172:173]
	v_add_f64_e32 v[184:185], v[168:169], v[166:167]
	v_add_f64_e32 v[174:175], v[174:175], v[180:181]
	ds_load_b128 v[4:7], v2 offset:1408
	ds_load_b128 v[166:169], v2 offset:1424
	scratch_load_b128 v[170:173], off, off offset:736
	v_fmac_f64_e32 v[176:177], v[148:149], v[8:9]
	v_fma_f64 v[146:147], v[146:147], v[8:9], -v[10:11]
	scratch_load_b128 v[8:11], off, off offset:752
	s_wait_loadcnt_dscnt 0xb01
	v_mul_f64_e32 v[180:181], v[4:5], v[160:161]
	v_mul_f64_e32 v[160:161], v[6:7], v[160:161]
	v_add_f64_e32 v[148:149], v[184:185], v[182:183]
	v_add_f64_e32 v[174:175], v[174:175], v[178:179]
	s_wait_loadcnt_dscnt 0xa00
	v_mul_f64_e32 v[178:179], v[166:167], v[124:125]
	v_mul_f64_e32 v[124:125], v[168:169], v[124:125]
	v_fmac_f64_e32 v[180:181], v[6:7], v[158:159]
	v_fma_f64 v[182:183], v[4:5], v[158:159], -v[160:161]
	v_add_f64_e32 v[184:185], v[148:149], v[146:147]
	v_add_f64_e32 v[174:175], v[174:175], v[176:177]
	ds_load_b128 v[4:7], v2 offset:1440
	ds_load_b128 v[146:149], v2 offset:1456
	scratch_load_b128 v[158:161], off, off offset:768
	v_fmac_f64_e32 v[178:179], v[168:169], v[122:123]
	v_fma_f64 v[166:167], v[166:167], v[122:123], -v[124:125]
	scratch_load_b128 v[122:125], off, off offset:784
	s_wait_loadcnt_dscnt 0xb01
	v_mul_f64_e32 v[176:177], v[4:5], v[152:153]
	v_mul_f64_e32 v[152:153], v[6:7], v[152:153]
	v_add_f64_e32 v[168:169], v[184:185], v[182:183]
	v_add_f64_e32 v[174:175], v[174:175], v[180:181]
	s_wait_loadcnt_dscnt 0xa00
	v_mul_f64_e32 v[180:181], v[146:147], v[14:15]
	v_mul_f64_e32 v[14:15], v[148:149], v[14:15]
	v_fmac_f64_e32 v[176:177], v[6:7], v[150:151]
	v_fma_f64 v[182:183], v[4:5], v[150:151], -v[152:153]
	ds_load_b128 v[4:7], v2 offset:1472
	ds_load_b128 v[150:153], v2 offset:1488
	v_add_f64_e32 v[184:185], v[168:169], v[166:167]
	v_add_f64_e32 v[174:175], v[174:175], v[178:179]
	scratch_load_b128 v[166:169], off, off offset:800
	v_fmac_f64_e32 v[180:181], v[148:149], v[12:13]
	v_fma_f64 v[146:147], v[146:147], v[12:13], -v[14:15]
	scratch_load_b128 v[12:15], off, off offset:816
	s_wait_loadcnt_dscnt 0xb01
	v_mul_f64_e32 v[178:179], v[4:5], v[136:137]
	v_mul_f64_e32 v[136:137], v[6:7], v[136:137]
	v_add_f64_e32 v[148:149], v[184:185], v[182:183]
	v_add_f64_e32 v[174:175], v[174:175], v[176:177]
	s_wait_loadcnt_dscnt 0xa00
	v_mul_f64_e32 v[176:177], v[150:151], v[128:129]
	v_mul_f64_e32 v[128:129], v[152:153], v[128:129]
	v_fmac_f64_e32 v[178:179], v[6:7], v[134:135]
	v_fma_f64 v[182:183], v[4:5], v[134:135], -v[136:137]
	ds_load_b128 v[4:7], v2 offset:1504
	ds_load_b128 v[134:137], v2 offset:1520
	v_add_f64_e32 v[146:147], v[148:149], v[146:147]
	v_add_f64_e32 v[148:149], v[174:175], v[180:181]
	v_fmac_f64_e32 v[176:177], v[152:153], v[126:127]
	s_wait_loadcnt_dscnt 0x901
	v_mul_f64_e32 v[174:175], v[4:5], v[144:145]
	v_mul_f64_e32 v[144:145], v[6:7], v[144:145]
	v_fma_f64 v[126:127], v[150:151], v[126:127], -v[128:129]
	v_add_f64_e32 v[128:129], v[146:147], v[182:183]
	v_add_f64_e32 v[146:147], v[148:149], v[178:179]
	s_wait_loadcnt_dscnt 0x800
	v_mul_f64_e32 v[148:149], v[134:135], v[132:133]
	v_mul_f64_e32 v[132:133], v[136:137], v[132:133]
	v_fmac_f64_e32 v[174:175], v[6:7], v[142:143]
	v_fma_f64 v[142:143], v[4:5], v[142:143], -v[144:145]
	v_add_f64_e32 v[144:145], v[128:129], v[126:127]
	v_add_f64_e32 v[146:147], v[146:147], v[176:177]
	ds_load_b128 v[4:7], v2 offset:1536
	ds_load_b128 v[126:129], v2 offset:1552
	v_fmac_f64_e32 v[148:149], v[136:137], v[130:131]
	v_fma_f64 v[130:131], v[134:135], v[130:131], -v[132:133]
	s_wait_loadcnt_dscnt 0x701
	v_mul_f64_e32 v[150:151], v[4:5], v[156:157]
	v_mul_f64_e32 v[152:153], v[6:7], v[156:157]
	s_wait_loadcnt_dscnt 0x600
	v_mul_f64_e32 v[136:137], v[126:127], v[140:141]
	v_mul_f64_e32 v[140:141], v[128:129], v[140:141]
	v_add_f64_e32 v[132:133], v[144:145], v[142:143]
	v_add_f64_e32 v[134:135], v[146:147], v[174:175]
	v_fmac_f64_e32 v[150:151], v[6:7], v[154:155]
	v_fma_f64 v[142:143], v[4:5], v[154:155], -v[152:153]
	v_fmac_f64_e32 v[136:137], v[128:129], v[138:139]
	v_fma_f64 v[126:127], v[126:127], v[138:139], -v[140:141]
	v_add_f64_e32 v[144:145], v[132:133], v[130:131]
	v_add_f64_e32 v[134:135], v[134:135], v[148:149]
	ds_load_b128 v[4:7], v2 offset:1568
	ds_load_b128 v[130:133], v2 offset:1584
	s_wait_loadcnt_dscnt 0x501
	v_mul_f64_e32 v[146:147], v[4:5], v[172:173]
	v_mul_f64_e32 v[148:149], v[6:7], v[172:173]
	s_wait_loadcnt_dscnt 0x400
	v_mul_f64_e32 v[138:139], v[130:131], v[10:11]
	v_mul_f64_e32 v[10:11], v[132:133], v[10:11]
	v_add_f64_e32 v[128:129], v[144:145], v[142:143]
	v_add_f64_e32 v[134:135], v[134:135], v[150:151]
	v_fmac_f64_e32 v[146:147], v[6:7], v[170:171]
	v_fma_f64 v[140:141], v[4:5], v[170:171], -v[148:149]
	v_fmac_f64_e32 v[138:139], v[132:133], v[8:9]
	v_fma_f64 v[8:9], v[130:131], v[8:9], -v[10:11]
	v_add_f64_e32 v[142:143], v[128:129], v[126:127]
	v_add_f64_e32 v[134:135], v[134:135], v[136:137]
	ds_load_b128 v[4:7], v2 offset:1600
	ds_load_b128 v[126:129], v2 offset:1616
	;; [unrolled: 16-line block ×3, first 2 shown]
	s_wait_loadcnt_dscnt 0x101
	v_mul_f64_e32 v[2:3], v[4:5], v[168:169]
	v_mul_f64_e32 v[138:139], v[6:7], v[168:169]
	s_wait_loadcnt_dscnt 0x0
	v_mul_f64_e32 v[128:129], v[8:9], v[14:15]
	v_mul_f64_e32 v[14:15], v[10:11], v[14:15]
	v_add_f64_e32 v[124:125], v[140:141], v[134:135]
	v_add_f64_e32 v[126:127], v[130:131], v[136:137]
	v_fmac_f64_e32 v[2:3], v[6:7], v[166:167]
	v_fma_f64 v[4:5], v[4:5], v[166:167], -v[138:139]
	v_fmac_f64_e32 v[128:129], v[10:11], v[12:13]
	v_fma_f64 v[8:9], v[8:9], v[12:13], -v[14:15]
	v_add_f64_e32 v[6:7], v[124:125], v[122:123]
	v_add_f64_e32 v[122:123], v[126:127], v[132:133]
	s_delay_alu instid0(VALU_DEP_2) | instskip(NEXT) | instid1(VALU_DEP_2)
	v_add_f64_e32 v[4:5], v[6:7], v[4:5]
	v_add_f64_e32 v[2:3], v[122:123], v[2:3]
	s_delay_alu instid0(VALU_DEP_2) | instskip(NEXT) | instid1(VALU_DEP_2)
	;; [unrolled: 3-line block ×3, first 2 shown]
	v_add_f64_e64 v[2:3], v[162:163], -v[4:5]
	v_add_f64_e64 v[4:5], v[164:165], -v[6:7]
	scratch_store_b128 off, v[2:5], off offset:336
	s_wait_xcnt 0x0
	v_cmpx_lt_u32_e32 20, v1
	s_cbranch_execz .LBB115_285
; %bb.284:
	scratch_load_b128 v[2:5], off, s48
	v_mov_b32_e32 v6, 0
	s_delay_alu instid0(VALU_DEP_1)
	v_dual_mov_b32 v7, v6 :: v_dual_mov_b32 v8, v6
	v_mov_b32_e32 v9, v6
	scratch_store_b128 off, v[6:9], off offset:320
	s_wait_loadcnt 0x0
	ds_store_b128 v120, v[2:5]
.LBB115_285:
	s_wait_xcnt 0x0
	s_or_b32 exec_lo, exec_lo, s2
	s_wait_storecnt_dscnt 0x0
	s_barrier_signal -1
	s_barrier_wait -1
	s_clause 0x9
	scratch_load_b128 v[4:7], off, off offset:336
	scratch_load_b128 v[8:11], off, off offset:352
	scratch_load_b128 v[12:15], off, off offset:368
	scratch_load_b128 v[122:125], off, off offset:384
	scratch_load_b128 v[126:129], off, off offset:400
	scratch_load_b128 v[130:133], off, off offset:416
	scratch_load_b128 v[134:137], off, off offset:432
	scratch_load_b128 v[138:141], off, off offset:448
	scratch_load_b128 v[142:145], off, off offset:464
	scratch_load_b128 v[146:149], off, off offset:480
	v_mov_b32_e32 v2, 0
	s_mov_b32 s2, exec_lo
	ds_load_b128 v[150:153], v2 offset:1168
	s_clause 0x2
	scratch_load_b128 v[154:157], off, off offset:496
	scratch_load_b128 v[158:161], off, off offset:320
	;; [unrolled: 1-line block ×3, first 2 shown]
	s_wait_loadcnt_dscnt 0xc00
	v_mul_f64_e32 v[170:171], v[152:153], v[6:7]
	v_mul_f64_e32 v[174:175], v[150:151], v[6:7]
	ds_load_b128 v[162:165], v2 offset:1184
	v_fma_f64 v[178:179], v[150:151], v[4:5], -v[170:171]
	v_fmac_f64_e32 v[174:175], v[152:153], v[4:5]
	ds_load_b128 v[4:7], v2 offset:1200
	s_wait_loadcnt_dscnt 0xb01
	v_mul_f64_e32 v[176:177], v[162:163], v[10:11]
	v_mul_f64_e32 v[10:11], v[164:165], v[10:11]
	scratch_load_b128 v[150:153], off, off offset:528
	ds_load_b128 v[170:173], v2 offset:1216
	s_wait_loadcnt_dscnt 0xb01
	v_mul_f64_e32 v[180:181], v[4:5], v[14:15]
	v_mul_f64_e32 v[14:15], v[6:7], v[14:15]
	v_add_f64_e32 v[174:175], 0, v[174:175]
	v_fmac_f64_e32 v[176:177], v[164:165], v[8:9]
	v_fma_f64 v[162:163], v[162:163], v[8:9], -v[10:11]
	v_add_f64_e32 v[164:165], 0, v[178:179]
	scratch_load_b128 v[8:11], off, off offset:544
	v_fmac_f64_e32 v[180:181], v[6:7], v[12:13]
	v_fma_f64 v[182:183], v[4:5], v[12:13], -v[14:15]
	ds_load_b128 v[4:7], v2 offset:1232
	s_wait_loadcnt_dscnt 0xb01
	v_mul_f64_e32 v[178:179], v[170:171], v[124:125]
	v_mul_f64_e32 v[124:125], v[172:173], v[124:125]
	scratch_load_b128 v[12:15], off, off offset:560
	v_add_f64_e32 v[174:175], v[174:175], v[176:177]
	v_add_f64_e32 v[184:185], v[164:165], v[162:163]
	ds_load_b128 v[162:165], v2 offset:1248
	s_wait_loadcnt_dscnt 0xb01
	v_mul_f64_e32 v[176:177], v[4:5], v[128:129]
	v_mul_f64_e32 v[128:129], v[6:7], v[128:129]
	v_fmac_f64_e32 v[178:179], v[172:173], v[122:123]
	v_fma_f64 v[170:171], v[170:171], v[122:123], -v[124:125]
	scratch_load_b128 v[122:125], off, off offset:576
	v_add_f64_e32 v[174:175], v[174:175], v[180:181]
	v_add_f64_e32 v[172:173], v[184:185], v[182:183]
	v_fmac_f64_e32 v[176:177], v[6:7], v[126:127]
	v_fma_f64 v[182:183], v[4:5], v[126:127], -v[128:129]
	ds_load_b128 v[4:7], v2 offset:1264
	s_wait_loadcnt_dscnt 0xb01
	v_mul_f64_e32 v[180:181], v[162:163], v[132:133]
	v_mul_f64_e32 v[132:133], v[164:165], v[132:133]
	scratch_load_b128 v[126:129], off, off offset:592
	v_add_f64_e32 v[174:175], v[174:175], v[178:179]
	s_wait_loadcnt_dscnt 0xb00
	v_mul_f64_e32 v[178:179], v[4:5], v[136:137]
	v_add_f64_e32 v[184:185], v[172:173], v[170:171]
	v_mul_f64_e32 v[136:137], v[6:7], v[136:137]
	ds_load_b128 v[170:173], v2 offset:1280
	v_fmac_f64_e32 v[180:181], v[164:165], v[130:131]
	v_fma_f64 v[162:163], v[162:163], v[130:131], -v[132:133]
	scratch_load_b128 v[130:133], off, off offset:608
	v_add_f64_e32 v[174:175], v[174:175], v[176:177]
	v_fmac_f64_e32 v[178:179], v[6:7], v[134:135]
	v_add_f64_e32 v[164:165], v[184:185], v[182:183]
	v_fma_f64 v[182:183], v[4:5], v[134:135], -v[136:137]
	ds_load_b128 v[4:7], v2 offset:1296
	s_wait_loadcnt_dscnt 0xb01
	v_mul_f64_e32 v[176:177], v[170:171], v[140:141]
	v_mul_f64_e32 v[140:141], v[172:173], v[140:141]
	scratch_load_b128 v[134:137], off, off offset:624
	v_add_f64_e32 v[174:175], v[174:175], v[180:181]
	s_wait_loadcnt_dscnt 0xb00
	v_mul_f64_e32 v[180:181], v[4:5], v[144:145]
	v_add_f64_e32 v[184:185], v[164:165], v[162:163]
	v_mul_f64_e32 v[144:145], v[6:7], v[144:145]
	ds_load_b128 v[162:165], v2 offset:1312
	v_fmac_f64_e32 v[176:177], v[172:173], v[138:139]
	v_fma_f64 v[170:171], v[170:171], v[138:139], -v[140:141]
	scratch_load_b128 v[138:141], off, off offset:640
	v_add_f64_e32 v[174:175], v[174:175], v[178:179]
	v_fmac_f64_e32 v[180:181], v[6:7], v[142:143]
	v_add_f64_e32 v[172:173], v[184:185], v[182:183]
	;; [unrolled: 18-line block ×3, first 2 shown]
	v_fma_f64 v[182:183], v[4:5], v[154:155], -v[156:157]
	ds_load_b128 v[4:7], v2 offset:1360
	s_wait_loadcnt_dscnt 0xa01
	v_mul_f64_e32 v[180:181], v[170:171], v[168:169]
	v_mul_f64_e32 v[168:169], v[172:173], v[168:169]
	scratch_load_b128 v[154:157], off, off offset:688
	v_add_f64_e32 v[174:175], v[174:175], v[178:179]
	v_add_f64_e32 v[184:185], v[164:165], v[162:163]
	s_wait_loadcnt_dscnt 0xa00
	v_mul_f64_e32 v[178:179], v[4:5], v[152:153]
	v_mul_f64_e32 v[152:153], v[6:7], v[152:153]
	v_fmac_f64_e32 v[180:181], v[172:173], v[166:167]
	v_fma_f64 v[170:171], v[170:171], v[166:167], -v[168:169]
	ds_load_b128 v[162:165], v2 offset:1376
	scratch_load_b128 v[166:169], off, off offset:704
	v_add_f64_e32 v[174:175], v[174:175], v[176:177]
	v_add_f64_e32 v[172:173], v[184:185], v[182:183]
	v_fmac_f64_e32 v[178:179], v[6:7], v[150:151]
	v_fma_f64 v[182:183], v[4:5], v[150:151], -v[152:153]
	ds_load_b128 v[4:7], v2 offset:1392
	s_wait_loadcnt_dscnt 0xa01
	v_mul_f64_e32 v[176:177], v[162:163], v[10:11]
	v_mul_f64_e32 v[10:11], v[164:165], v[10:11]
	scratch_load_b128 v[150:153], off, off offset:720
	v_add_f64_e32 v[174:175], v[174:175], v[180:181]
	s_wait_loadcnt_dscnt 0xa00
	v_mul_f64_e32 v[180:181], v[4:5], v[14:15]
	v_add_f64_e32 v[184:185], v[172:173], v[170:171]
	v_mul_f64_e32 v[14:15], v[6:7], v[14:15]
	ds_load_b128 v[170:173], v2 offset:1408
	v_fmac_f64_e32 v[176:177], v[164:165], v[8:9]
	v_fma_f64 v[162:163], v[162:163], v[8:9], -v[10:11]
	scratch_load_b128 v[8:11], off, off offset:736
	v_add_f64_e32 v[174:175], v[174:175], v[178:179]
	v_fmac_f64_e32 v[180:181], v[6:7], v[12:13]
	v_add_f64_e32 v[164:165], v[184:185], v[182:183]
	v_fma_f64 v[182:183], v[4:5], v[12:13], -v[14:15]
	ds_load_b128 v[4:7], v2 offset:1424
	s_wait_loadcnt_dscnt 0xa01
	v_mul_f64_e32 v[178:179], v[170:171], v[124:125]
	v_mul_f64_e32 v[124:125], v[172:173], v[124:125]
	scratch_load_b128 v[12:15], off, off offset:752
	v_add_f64_e32 v[174:175], v[174:175], v[176:177]
	s_wait_loadcnt_dscnt 0xa00
	v_mul_f64_e32 v[176:177], v[4:5], v[128:129]
	v_add_f64_e32 v[184:185], v[164:165], v[162:163]
	v_mul_f64_e32 v[128:129], v[6:7], v[128:129]
	ds_load_b128 v[162:165], v2 offset:1440
	v_fmac_f64_e32 v[178:179], v[172:173], v[122:123]
	v_fma_f64 v[170:171], v[170:171], v[122:123], -v[124:125]
	scratch_load_b128 v[122:125], off, off offset:768
	v_add_f64_e32 v[174:175], v[174:175], v[180:181]
	v_fmac_f64_e32 v[176:177], v[6:7], v[126:127]
	v_add_f64_e32 v[172:173], v[184:185], v[182:183]
	;; [unrolled: 18-line block ×3, first 2 shown]
	v_fma_f64 v[182:183], v[4:5], v[134:135], -v[136:137]
	ds_load_b128 v[4:7], v2 offset:1488
	s_wait_loadcnt_dscnt 0xa01
	v_mul_f64_e32 v[176:177], v[170:171], v[140:141]
	v_mul_f64_e32 v[140:141], v[172:173], v[140:141]
	scratch_load_b128 v[134:137], off, off offset:816
	v_add_f64_e32 v[174:175], v[174:175], v[180:181]
	s_wait_loadcnt_dscnt 0xa00
	v_mul_f64_e32 v[180:181], v[4:5], v[144:145]
	v_add_f64_e32 v[184:185], v[164:165], v[162:163]
	v_mul_f64_e32 v[144:145], v[6:7], v[144:145]
	ds_load_b128 v[162:165], v2 offset:1504
	v_fmac_f64_e32 v[176:177], v[172:173], v[138:139]
	v_fma_f64 v[138:139], v[170:171], v[138:139], -v[140:141]
	s_wait_loadcnt_dscnt 0x900
	v_mul_f64_e32 v[172:173], v[162:163], v[148:149]
	v_mul_f64_e32 v[148:149], v[164:165], v[148:149]
	v_add_f64_e32 v[170:171], v[174:175], v[178:179]
	v_fmac_f64_e32 v[180:181], v[6:7], v[142:143]
	v_add_f64_e32 v[140:141], v[184:185], v[182:183]
	v_fma_f64 v[142:143], v[4:5], v[142:143], -v[144:145]
	v_fmac_f64_e32 v[172:173], v[164:165], v[146:147]
	v_fma_f64 v[146:147], v[162:163], v[146:147], -v[148:149]
	v_add_f64_e32 v[170:171], v[170:171], v[176:177]
	v_add_f64_e32 v[144:145], v[140:141], v[138:139]
	ds_load_b128 v[4:7], v2 offset:1520
	ds_load_b128 v[138:141], v2 offset:1536
	s_wait_loadcnt_dscnt 0x801
	v_mul_f64_e32 v[174:175], v[4:5], v[156:157]
	v_mul_f64_e32 v[156:157], v[6:7], v[156:157]
	s_wait_loadcnt_dscnt 0x700
	v_mul_f64_e32 v[148:149], v[138:139], v[168:169]
	v_mul_f64_e32 v[162:163], v[140:141], v[168:169]
	v_add_f64_e32 v[142:143], v[144:145], v[142:143]
	v_add_f64_e32 v[144:145], v[170:171], v[180:181]
	v_fmac_f64_e32 v[174:175], v[6:7], v[154:155]
	v_fma_f64 v[154:155], v[4:5], v[154:155], -v[156:157]
	v_fmac_f64_e32 v[148:149], v[140:141], v[166:167]
	v_fma_f64 v[138:139], v[138:139], v[166:167], -v[162:163]
	v_add_f64_e32 v[146:147], v[142:143], v[146:147]
	v_add_f64_e32 v[156:157], v[144:145], v[172:173]
	ds_load_b128 v[4:7], v2 offset:1552
	ds_load_b128 v[142:145], v2 offset:1568
	s_wait_loadcnt_dscnt 0x601
	v_mul_f64_e32 v[164:165], v[4:5], v[152:153]
	v_mul_f64_e32 v[152:153], v[6:7], v[152:153]
	v_add_f64_e32 v[140:141], v[146:147], v[154:155]
	v_add_f64_e32 v[146:147], v[156:157], v[174:175]
	s_wait_loadcnt_dscnt 0x500
	v_mul_f64_e32 v[154:155], v[142:143], v[10:11]
	v_mul_f64_e32 v[10:11], v[144:145], v[10:11]
	v_fmac_f64_e32 v[164:165], v[6:7], v[150:151]
	v_fma_f64 v[150:151], v[4:5], v[150:151], -v[152:153]
	v_add_f64_e32 v[152:153], v[140:141], v[138:139]
	v_add_f64_e32 v[146:147], v[146:147], v[148:149]
	ds_load_b128 v[4:7], v2 offset:1584
	ds_load_b128 v[138:141], v2 offset:1600
	v_fmac_f64_e32 v[154:155], v[144:145], v[8:9]
	v_fma_f64 v[8:9], v[142:143], v[8:9], -v[10:11]
	s_wait_loadcnt_dscnt 0x401
	v_mul_f64_e32 v[148:149], v[4:5], v[14:15]
	v_mul_f64_e32 v[14:15], v[6:7], v[14:15]
	s_wait_loadcnt_dscnt 0x300
	v_mul_f64_e32 v[144:145], v[138:139], v[124:125]
	v_mul_f64_e32 v[124:125], v[140:141], v[124:125]
	v_add_f64_e32 v[10:11], v[152:153], v[150:151]
	v_add_f64_e32 v[142:143], v[146:147], v[164:165]
	v_fmac_f64_e32 v[148:149], v[6:7], v[12:13]
	v_fma_f64 v[12:13], v[4:5], v[12:13], -v[14:15]
	v_fmac_f64_e32 v[144:145], v[140:141], v[122:123]
	v_fma_f64 v[122:123], v[138:139], v[122:123], -v[124:125]
	v_add_f64_e32 v[14:15], v[10:11], v[8:9]
	v_add_f64_e32 v[142:143], v[142:143], v[154:155]
	ds_load_b128 v[4:7], v2 offset:1616
	ds_load_b128 v[8:11], v2 offset:1632
	s_wait_loadcnt_dscnt 0x201
	v_mul_f64_e32 v[146:147], v[4:5], v[128:129]
	v_mul_f64_e32 v[128:129], v[6:7], v[128:129]
	s_wait_loadcnt_dscnt 0x100
	v_mul_f64_e32 v[124:125], v[8:9], v[132:133]
	v_mul_f64_e32 v[132:133], v[10:11], v[132:133]
	v_add_f64_e32 v[12:13], v[14:15], v[12:13]
	v_add_f64_e32 v[14:15], v[142:143], v[148:149]
	v_fmac_f64_e32 v[146:147], v[6:7], v[126:127]
	v_fma_f64 v[126:127], v[4:5], v[126:127], -v[128:129]
	ds_load_b128 v[4:7], v2 offset:1648
	v_fmac_f64_e32 v[124:125], v[10:11], v[130:131]
	v_fma_f64 v[8:9], v[8:9], v[130:131], -v[132:133]
	v_add_f64_e32 v[12:13], v[12:13], v[122:123]
	v_add_f64_e32 v[14:15], v[14:15], v[144:145]
	s_wait_loadcnt_dscnt 0x0
	v_mul_f64_e32 v[122:123], v[4:5], v[136:137]
	v_mul_f64_e32 v[128:129], v[6:7], v[136:137]
	s_delay_alu instid0(VALU_DEP_4) | instskip(NEXT) | instid1(VALU_DEP_4)
	v_add_f64_e32 v[10:11], v[12:13], v[126:127]
	v_add_f64_e32 v[12:13], v[14:15], v[146:147]
	s_delay_alu instid0(VALU_DEP_4) | instskip(NEXT) | instid1(VALU_DEP_4)
	v_fmac_f64_e32 v[122:123], v[6:7], v[134:135]
	v_fma_f64 v[4:5], v[4:5], v[134:135], -v[128:129]
	s_delay_alu instid0(VALU_DEP_4) | instskip(NEXT) | instid1(VALU_DEP_4)
	v_add_f64_e32 v[6:7], v[10:11], v[8:9]
	v_add_f64_e32 v[8:9], v[12:13], v[124:125]
	s_delay_alu instid0(VALU_DEP_2) | instskip(NEXT) | instid1(VALU_DEP_2)
	v_add_f64_e32 v[4:5], v[6:7], v[4:5]
	v_add_f64_e32 v[6:7], v[8:9], v[122:123]
	s_delay_alu instid0(VALU_DEP_2) | instskip(NEXT) | instid1(VALU_DEP_2)
	v_add_f64_e64 v[4:5], v[158:159], -v[4:5]
	v_add_f64_e64 v[6:7], v[160:161], -v[6:7]
	scratch_store_b128 off, v[4:7], off offset:320
	s_wait_xcnt 0x0
	v_cmpx_lt_u32_e32 19, v1
	s_cbranch_execz .LBB115_287
; %bb.286:
	scratch_load_b128 v[6:9], off, s49
	v_dual_mov_b32 v3, v2 :: v_dual_mov_b32 v4, v2
	v_mov_b32_e32 v5, v2
	scratch_store_b128 off, v[2:5], off offset:304
	s_wait_loadcnt 0x0
	ds_store_b128 v120, v[6:9]
.LBB115_287:
	s_wait_xcnt 0x0
	s_or_b32 exec_lo, exec_lo, s2
	s_wait_storecnt_dscnt 0x0
	s_barrier_signal -1
	s_barrier_wait -1
	s_clause 0x9
	scratch_load_b128 v[4:7], off, off offset:320
	scratch_load_b128 v[8:11], off, off offset:336
	;; [unrolled: 1-line block ×10, first 2 shown]
	ds_load_b128 v[150:153], v2 offset:1152
	ds_load_b128 v[158:161], v2 offset:1168
	s_clause 0x2
	scratch_load_b128 v[154:157], off, off offset:480
	scratch_load_b128 v[162:165], off, off offset:304
	;; [unrolled: 1-line block ×3, first 2 shown]
	s_mov_b32 s2, exec_lo
	s_wait_loadcnt_dscnt 0xc01
	v_mul_f64_e32 v[170:171], v[152:153], v[6:7]
	v_mul_f64_e32 v[174:175], v[150:151], v[6:7]
	s_wait_loadcnt_dscnt 0xb00
	v_mul_f64_e32 v[176:177], v[158:159], v[10:11]
	v_mul_f64_e32 v[10:11], v[160:161], v[10:11]
	s_delay_alu instid0(VALU_DEP_4) | instskip(NEXT) | instid1(VALU_DEP_4)
	v_fma_f64 v[178:179], v[150:151], v[4:5], -v[170:171]
	v_fmac_f64_e32 v[174:175], v[152:153], v[4:5]
	ds_load_b128 v[4:7], v2 offset:1184
	ds_load_b128 v[150:153], v2 offset:1200
	scratch_load_b128 v[170:173], off, off offset:512
	v_fmac_f64_e32 v[176:177], v[160:161], v[8:9]
	v_fma_f64 v[158:159], v[158:159], v[8:9], -v[10:11]
	scratch_load_b128 v[8:11], off, off offset:528
	s_wait_loadcnt_dscnt 0xc01
	v_mul_f64_e32 v[180:181], v[4:5], v[14:15]
	v_mul_f64_e32 v[14:15], v[6:7], v[14:15]
	v_add_f64_e32 v[160:161], 0, v[178:179]
	v_add_f64_e32 v[174:175], 0, v[174:175]
	s_wait_loadcnt_dscnt 0xb00
	v_mul_f64_e32 v[178:179], v[150:151], v[124:125]
	v_mul_f64_e32 v[124:125], v[152:153], v[124:125]
	v_fmac_f64_e32 v[180:181], v[6:7], v[12:13]
	v_fma_f64 v[182:183], v[4:5], v[12:13], -v[14:15]
	ds_load_b128 v[4:7], v2 offset:1216
	ds_load_b128 v[12:15], v2 offset:1232
	v_add_f64_e32 v[184:185], v[160:161], v[158:159]
	v_add_f64_e32 v[174:175], v[174:175], v[176:177]
	scratch_load_b128 v[158:161], off, off offset:544
	v_fmac_f64_e32 v[178:179], v[152:153], v[122:123]
	v_fma_f64 v[150:151], v[150:151], v[122:123], -v[124:125]
	scratch_load_b128 v[122:125], off, off offset:560
	s_wait_loadcnt_dscnt 0xc01
	v_mul_f64_e32 v[176:177], v[4:5], v[128:129]
	v_mul_f64_e32 v[128:129], v[6:7], v[128:129]
	v_add_f64_e32 v[152:153], v[184:185], v[182:183]
	v_add_f64_e32 v[174:175], v[174:175], v[180:181]
	s_wait_loadcnt_dscnt 0xb00
	v_mul_f64_e32 v[180:181], v[12:13], v[132:133]
	v_mul_f64_e32 v[132:133], v[14:15], v[132:133]
	v_fmac_f64_e32 v[176:177], v[6:7], v[126:127]
	v_fma_f64 v[182:183], v[4:5], v[126:127], -v[128:129]
	ds_load_b128 v[4:7], v2 offset:1248
	ds_load_b128 v[126:129], v2 offset:1264
	v_add_f64_e32 v[184:185], v[152:153], v[150:151]
	v_add_f64_e32 v[174:175], v[174:175], v[178:179]
	scratch_load_b128 v[150:153], off, off offset:576
	s_wait_loadcnt_dscnt 0xb01
	v_mul_f64_e32 v[178:179], v[4:5], v[136:137]
	v_mul_f64_e32 v[136:137], v[6:7], v[136:137]
	v_fmac_f64_e32 v[180:181], v[14:15], v[130:131]
	v_fma_f64 v[130:131], v[12:13], v[130:131], -v[132:133]
	scratch_load_b128 v[12:15], off, off offset:592
	v_add_f64_e32 v[132:133], v[184:185], v[182:183]
	v_add_f64_e32 v[174:175], v[174:175], v[176:177]
	s_wait_loadcnt_dscnt 0xb00
	v_mul_f64_e32 v[176:177], v[126:127], v[140:141]
	v_mul_f64_e32 v[140:141], v[128:129], v[140:141]
	v_fmac_f64_e32 v[178:179], v[6:7], v[134:135]
	v_fma_f64 v[182:183], v[4:5], v[134:135], -v[136:137]
	v_add_f64_e32 v[184:185], v[132:133], v[130:131]
	v_add_f64_e32 v[174:175], v[174:175], v[180:181]
	ds_load_b128 v[4:7], v2 offset:1280
	ds_load_b128 v[130:133], v2 offset:1296
	scratch_load_b128 v[134:137], off, off offset:608
	v_fmac_f64_e32 v[176:177], v[128:129], v[138:139]
	v_fma_f64 v[138:139], v[126:127], v[138:139], -v[140:141]
	scratch_load_b128 v[126:129], off, off offset:624
	s_wait_loadcnt_dscnt 0xc01
	v_mul_f64_e32 v[180:181], v[4:5], v[144:145]
	v_mul_f64_e32 v[144:145], v[6:7], v[144:145]
	v_add_f64_e32 v[140:141], v[184:185], v[182:183]
	v_add_f64_e32 v[174:175], v[174:175], v[178:179]
	s_wait_loadcnt_dscnt 0xb00
	v_mul_f64_e32 v[178:179], v[130:131], v[148:149]
	v_mul_f64_e32 v[148:149], v[132:133], v[148:149]
	v_fmac_f64_e32 v[180:181], v[6:7], v[142:143]
	v_fma_f64 v[182:183], v[4:5], v[142:143], -v[144:145]
	v_add_f64_e32 v[184:185], v[140:141], v[138:139]
	v_add_f64_e32 v[174:175], v[174:175], v[176:177]
	ds_load_b128 v[4:7], v2 offset:1312
	ds_load_b128 v[138:141], v2 offset:1328
	scratch_load_b128 v[142:145], off, off offset:640
	v_fmac_f64_e32 v[178:179], v[132:133], v[146:147]
	v_fma_f64 v[146:147], v[130:131], v[146:147], -v[148:149]
	scratch_load_b128 v[130:133], off, off offset:656
	s_wait_loadcnt_dscnt 0xc01
	v_mul_f64_e32 v[176:177], v[4:5], v[156:157]
	v_mul_f64_e32 v[156:157], v[6:7], v[156:157]
	;; [unrolled: 18-line block ×5, first 2 shown]
	v_add_f64_e32 v[168:169], v[184:185], v[182:183]
	v_add_f64_e32 v[174:175], v[174:175], v[180:181]
	s_wait_loadcnt_dscnt 0xa00
	v_mul_f64_e32 v[180:181], v[146:147], v[14:15]
	v_mul_f64_e32 v[14:15], v[148:149], v[14:15]
	v_fmac_f64_e32 v[176:177], v[6:7], v[150:151]
	v_fma_f64 v[182:183], v[4:5], v[150:151], -v[152:153]
	ds_load_b128 v[4:7], v2 offset:1440
	ds_load_b128 v[150:153], v2 offset:1456
	v_add_f64_e32 v[184:185], v[168:169], v[166:167]
	v_add_f64_e32 v[174:175], v[174:175], v[178:179]
	scratch_load_b128 v[166:169], off, off offset:768
	v_fmac_f64_e32 v[180:181], v[148:149], v[12:13]
	v_fma_f64 v[146:147], v[146:147], v[12:13], -v[14:15]
	scratch_load_b128 v[12:15], off, off offset:784
	s_wait_loadcnt_dscnt 0xb01
	v_mul_f64_e32 v[178:179], v[4:5], v[136:137]
	v_mul_f64_e32 v[136:137], v[6:7], v[136:137]
	v_add_f64_e32 v[148:149], v[184:185], v[182:183]
	v_add_f64_e32 v[174:175], v[174:175], v[176:177]
	s_wait_loadcnt_dscnt 0xa00
	v_mul_f64_e32 v[176:177], v[150:151], v[128:129]
	v_mul_f64_e32 v[128:129], v[152:153], v[128:129]
	v_fmac_f64_e32 v[178:179], v[6:7], v[134:135]
	v_fma_f64 v[182:183], v[4:5], v[134:135], -v[136:137]
	ds_load_b128 v[4:7], v2 offset:1472
	ds_load_b128 v[134:137], v2 offset:1488
	v_add_f64_e32 v[184:185], v[148:149], v[146:147]
	v_add_f64_e32 v[174:175], v[174:175], v[180:181]
	scratch_load_b128 v[146:149], off, off offset:800
	s_wait_loadcnt_dscnt 0xa01
	v_mul_f64_e32 v[180:181], v[4:5], v[144:145]
	v_mul_f64_e32 v[144:145], v[6:7], v[144:145]
	v_fmac_f64_e32 v[176:177], v[152:153], v[126:127]
	v_fma_f64 v[150:151], v[150:151], v[126:127], -v[128:129]
	scratch_load_b128 v[126:129], off, off offset:816
	v_add_f64_e32 v[152:153], v[184:185], v[182:183]
	v_add_f64_e32 v[174:175], v[174:175], v[178:179]
	s_wait_loadcnt_dscnt 0xa00
	v_mul_f64_e32 v[178:179], v[134:135], v[132:133]
	v_mul_f64_e32 v[132:133], v[136:137], v[132:133]
	v_fmac_f64_e32 v[180:181], v[6:7], v[142:143]
	v_fma_f64 v[182:183], v[4:5], v[142:143], -v[144:145]
	ds_load_b128 v[4:7], v2 offset:1504
	ds_load_b128 v[142:145], v2 offset:1520
	v_add_f64_e32 v[150:151], v[152:153], v[150:151]
	v_add_f64_e32 v[152:153], v[174:175], v[176:177]
	v_fmac_f64_e32 v[178:179], v[136:137], v[130:131]
	s_wait_loadcnt_dscnt 0x901
	v_mul_f64_e32 v[174:175], v[4:5], v[156:157]
	v_mul_f64_e32 v[156:157], v[6:7], v[156:157]
	v_fma_f64 v[130:131], v[134:135], v[130:131], -v[132:133]
	s_wait_loadcnt_dscnt 0x800
	v_mul_f64_e32 v[136:137], v[142:143], v[140:141]
	v_mul_f64_e32 v[140:141], v[144:145], v[140:141]
	v_add_f64_e32 v[132:133], v[150:151], v[182:183]
	v_add_f64_e32 v[134:135], v[152:153], v[180:181]
	v_fmac_f64_e32 v[174:175], v[6:7], v[154:155]
	v_fma_f64 v[150:151], v[4:5], v[154:155], -v[156:157]
	v_fmac_f64_e32 v[136:137], v[144:145], v[138:139]
	v_fma_f64 v[138:139], v[142:143], v[138:139], -v[140:141]
	v_add_f64_e32 v[152:153], v[132:133], v[130:131]
	v_add_f64_e32 v[134:135], v[134:135], v[178:179]
	ds_load_b128 v[4:7], v2 offset:1536
	ds_load_b128 v[130:133], v2 offset:1552
	s_wait_loadcnt_dscnt 0x701
	v_mul_f64_e32 v[154:155], v[4:5], v[172:173]
	v_mul_f64_e32 v[156:157], v[6:7], v[172:173]
	s_wait_loadcnt_dscnt 0x600
	v_mul_f64_e32 v[142:143], v[130:131], v[10:11]
	v_mul_f64_e32 v[10:11], v[132:133], v[10:11]
	v_add_f64_e32 v[140:141], v[152:153], v[150:151]
	v_add_f64_e32 v[134:135], v[134:135], v[174:175]
	v_fmac_f64_e32 v[154:155], v[6:7], v[170:171]
	v_fma_f64 v[144:145], v[4:5], v[170:171], -v[156:157]
	v_fmac_f64_e32 v[142:143], v[132:133], v[8:9]
	v_fma_f64 v[8:9], v[130:131], v[8:9], -v[10:11]
	v_add_f64_e32 v[138:139], v[140:141], v[138:139]
	v_add_f64_e32 v[140:141], v[134:135], v[136:137]
	ds_load_b128 v[4:7], v2 offset:1568
	ds_load_b128 v[134:137], v2 offset:1584
	s_wait_loadcnt_dscnt 0x501
	v_mul_f64_e32 v[150:151], v[4:5], v[160:161]
	v_mul_f64_e32 v[152:153], v[6:7], v[160:161]
	;; [unrolled: 16-line block ×4, first 2 shown]
	s_wait_loadcnt_dscnt 0x0
	v_mul_f64_e32 v[14:15], v[122:123], v[128:129]
	v_mul_f64_e32 v[128:129], v[124:125], v[128:129]
	v_add_f64_e32 v[10:11], v[138:139], v[136:137]
	v_add_f64_e32 v[12:13], v[130:131], v[142:143]
	v_fmac_f64_e32 v[2:3], v[6:7], v[146:147]
	v_fma_f64 v[4:5], v[4:5], v[146:147], -v[132:133]
	v_fmac_f64_e32 v[14:15], v[124:125], v[126:127]
	v_add_f64_e32 v[6:7], v[10:11], v[8:9]
	v_add_f64_e32 v[8:9], v[12:13], v[134:135]
	v_fma_f64 v[10:11], v[122:123], v[126:127], -v[128:129]
	s_delay_alu instid0(VALU_DEP_3) | instskip(NEXT) | instid1(VALU_DEP_3)
	v_add_f64_e32 v[4:5], v[6:7], v[4:5]
	v_add_f64_e32 v[2:3], v[8:9], v[2:3]
	s_delay_alu instid0(VALU_DEP_2) | instskip(NEXT) | instid1(VALU_DEP_2)
	v_add_f64_e32 v[4:5], v[4:5], v[10:11]
	v_add_f64_e32 v[6:7], v[2:3], v[14:15]
	s_delay_alu instid0(VALU_DEP_2) | instskip(NEXT) | instid1(VALU_DEP_2)
	v_add_f64_e64 v[2:3], v[162:163], -v[4:5]
	v_add_f64_e64 v[4:5], v[164:165], -v[6:7]
	scratch_store_b128 off, v[2:5], off offset:304
	s_wait_xcnt 0x0
	v_cmpx_lt_u32_e32 18, v1
	s_cbranch_execz .LBB115_289
; %bb.288:
	scratch_load_b128 v[2:5], off, s50
	v_mov_b32_e32 v6, 0
	s_delay_alu instid0(VALU_DEP_1)
	v_dual_mov_b32 v7, v6 :: v_dual_mov_b32 v8, v6
	v_mov_b32_e32 v9, v6
	scratch_store_b128 off, v[6:9], off offset:288
	s_wait_loadcnt 0x0
	ds_store_b128 v120, v[2:5]
.LBB115_289:
	s_wait_xcnt 0x0
	s_or_b32 exec_lo, exec_lo, s2
	s_wait_storecnt_dscnt 0x0
	s_barrier_signal -1
	s_barrier_wait -1
	s_clause 0x9
	scratch_load_b128 v[4:7], off, off offset:304
	scratch_load_b128 v[8:11], off, off offset:320
	;; [unrolled: 1-line block ×10, first 2 shown]
	v_mov_b32_e32 v2, 0
	s_mov_b32 s2, exec_lo
	ds_load_b128 v[150:153], v2 offset:1136
	s_clause 0x2
	scratch_load_b128 v[154:157], off, off offset:464
	scratch_load_b128 v[158:161], off, off offset:288
	;; [unrolled: 1-line block ×3, first 2 shown]
	s_wait_loadcnt_dscnt 0xc00
	v_mul_f64_e32 v[170:171], v[152:153], v[6:7]
	v_mul_f64_e32 v[174:175], v[150:151], v[6:7]
	ds_load_b128 v[162:165], v2 offset:1152
	v_fma_f64 v[178:179], v[150:151], v[4:5], -v[170:171]
	v_fmac_f64_e32 v[174:175], v[152:153], v[4:5]
	ds_load_b128 v[4:7], v2 offset:1168
	s_wait_loadcnt_dscnt 0xb01
	v_mul_f64_e32 v[176:177], v[162:163], v[10:11]
	v_mul_f64_e32 v[10:11], v[164:165], v[10:11]
	scratch_load_b128 v[150:153], off, off offset:496
	ds_load_b128 v[170:173], v2 offset:1184
	s_wait_loadcnt_dscnt 0xb01
	v_mul_f64_e32 v[180:181], v[4:5], v[14:15]
	v_mul_f64_e32 v[14:15], v[6:7], v[14:15]
	v_add_f64_e32 v[174:175], 0, v[174:175]
	v_fmac_f64_e32 v[176:177], v[164:165], v[8:9]
	v_fma_f64 v[162:163], v[162:163], v[8:9], -v[10:11]
	v_add_f64_e32 v[164:165], 0, v[178:179]
	scratch_load_b128 v[8:11], off, off offset:512
	v_fmac_f64_e32 v[180:181], v[6:7], v[12:13]
	v_fma_f64 v[182:183], v[4:5], v[12:13], -v[14:15]
	ds_load_b128 v[4:7], v2 offset:1200
	s_wait_loadcnt_dscnt 0xb01
	v_mul_f64_e32 v[178:179], v[170:171], v[124:125]
	v_mul_f64_e32 v[124:125], v[172:173], v[124:125]
	scratch_load_b128 v[12:15], off, off offset:528
	v_add_f64_e32 v[174:175], v[174:175], v[176:177]
	v_add_f64_e32 v[184:185], v[164:165], v[162:163]
	ds_load_b128 v[162:165], v2 offset:1216
	s_wait_loadcnt_dscnt 0xb01
	v_mul_f64_e32 v[176:177], v[4:5], v[128:129]
	v_mul_f64_e32 v[128:129], v[6:7], v[128:129]
	v_fmac_f64_e32 v[178:179], v[172:173], v[122:123]
	v_fma_f64 v[170:171], v[170:171], v[122:123], -v[124:125]
	scratch_load_b128 v[122:125], off, off offset:544
	v_add_f64_e32 v[174:175], v[174:175], v[180:181]
	v_add_f64_e32 v[172:173], v[184:185], v[182:183]
	v_fmac_f64_e32 v[176:177], v[6:7], v[126:127]
	v_fma_f64 v[182:183], v[4:5], v[126:127], -v[128:129]
	ds_load_b128 v[4:7], v2 offset:1232
	s_wait_loadcnt_dscnt 0xb01
	v_mul_f64_e32 v[180:181], v[162:163], v[132:133]
	v_mul_f64_e32 v[132:133], v[164:165], v[132:133]
	scratch_load_b128 v[126:129], off, off offset:560
	v_add_f64_e32 v[174:175], v[174:175], v[178:179]
	s_wait_loadcnt_dscnt 0xb00
	v_mul_f64_e32 v[178:179], v[4:5], v[136:137]
	v_add_f64_e32 v[184:185], v[172:173], v[170:171]
	v_mul_f64_e32 v[136:137], v[6:7], v[136:137]
	ds_load_b128 v[170:173], v2 offset:1248
	v_fmac_f64_e32 v[180:181], v[164:165], v[130:131]
	v_fma_f64 v[162:163], v[162:163], v[130:131], -v[132:133]
	scratch_load_b128 v[130:133], off, off offset:576
	v_add_f64_e32 v[174:175], v[174:175], v[176:177]
	v_fmac_f64_e32 v[178:179], v[6:7], v[134:135]
	v_add_f64_e32 v[164:165], v[184:185], v[182:183]
	v_fma_f64 v[182:183], v[4:5], v[134:135], -v[136:137]
	ds_load_b128 v[4:7], v2 offset:1264
	s_wait_loadcnt_dscnt 0xb01
	v_mul_f64_e32 v[176:177], v[170:171], v[140:141]
	v_mul_f64_e32 v[140:141], v[172:173], v[140:141]
	scratch_load_b128 v[134:137], off, off offset:592
	v_add_f64_e32 v[174:175], v[174:175], v[180:181]
	s_wait_loadcnt_dscnt 0xb00
	v_mul_f64_e32 v[180:181], v[4:5], v[144:145]
	v_add_f64_e32 v[184:185], v[164:165], v[162:163]
	v_mul_f64_e32 v[144:145], v[6:7], v[144:145]
	ds_load_b128 v[162:165], v2 offset:1280
	v_fmac_f64_e32 v[176:177], v[172:173], v[138:139]
	v_fma_f64 v[170:171], v[170:171], v[138:139], -v[140:141]
	scratch_load_b128 v[138:141], off, off offset:608
	v_add_f64_e32 v[174:175], v[174:175], v[178:179]
	v_fmac_f64_e32 v[180:181], v[6:7], v[142:143]
	v_add_f64_e32 v[172:173], v[184:185], v[182:183]
	;; [unrolled: 18-line block ×3, first 2 shown]
	v_fma_f64 v[182:183], v[4:5], v[154:155], -v[156:157]
	ds_load_b128 v[4:7], v2 offset:1328
	s_wait_loadcnt_dscnt 0xa01
	v_mul_f64_e32 v[180:181], v[170:171], v[168:169]
	v_mul_f64_e32 v[168:169], v[172:173], v[168:169]
	scratch_load_b128 v[154:157], off, off offset:656
	v_add_f64_e32 v[174:175], v[174:175], v[178:179]
	v_add_f64_e32 v[184:185], v[164:165], v[162:163]
	s_wait_loadcnt_dscnt 0xa00
	v_mul_f64_e32 v[178:179], v[4:5], v[152:153]
	v_mul_f64_e32 v[152:153], v[6:7], v[152:153]
	v_fmac_f64_e32 v[180:181], v[172:173], v[166:167]
	v_fma_f64 v[170:171], v[170:171], v[166:167], -v[168:169]
	ds_load_b128 v[162:165], v2 offset:1344
	scratch_load_b128 v[166:169], off, off offset:672
	v_add_f64_e32 v[174:175], v[174:175], v[176:177]
	v_add_f64_e32 v[172:173], v[184:185], v[182:183]
	v_fmac_f64_e32 v[178:179], v[6:7], v[150:151]
	v_fma_f64 v[182:183], v[4:5], v[150:151], -v[152:153]
	ds_load_b128 v[4:7], v2 offset:1360
	s_wait_loadcnt_dscnt 0xa01
	v_mul_f64_e32 v[176:177], v[162:163], v[10:11]
	v_mul_f64_e32 v[10:11], v[164:165], v[10:11]
	scratch_load_b128 v[150:153], off, off offset:688
	v_add_f64_e32 v[174:175], v[174:175], v[180:181]
	s_wait_loadcnt_dscnt 0xa00
	v_mul_f64_e32 v[180:181], v[4:5], v[14:15]
	v_add_f64_e32 v[184:185], v[172:173], v[170:171]
	v_mul_f64_e32 v[14:15], v[6:7], v[14:15]
	ds_load_b128 v[170:173], v2 offset:1376
	v_fmac_f64_e32 v[176:177], v[164:165], v[8:9]
	v_fma_f64 v[162:163], v[162:163], v[8:9], -v[10:11]
	scratch_load_b128 v[8:11], off, off offset:704
	v_add_f64_e32 v[174:175], v[174:175], v[178:179]
	v_fmac_f64_e32 v[180:181], v[6:7], v[12:13]
	v_add_f64_e32 v[164:165], v[184:185], v[182:183]
	v_fma_f64 v[182:183], v[4:5], v[12:13], -v[14:15]
	ds_load_b128 v[4:7], v2 offset:1392
	s_wait_loadcnt_dscnt 0xa01
	v_mul_f64_e32 v[178:179], v[170:171], v[124:125]
	v_mul_f64_e32 v[124:125], v[172:173], v[124:125]
	scratch_load_b128 v[12:15], off, off offset:720
	v_add_f64_e32 v[174:175], v[174:175], v[176:177]
	s_wait_loadcnt_dscnt 0xa00
	v_mul_f64_e32 v[176:177], v[4:5], v[128:129]
	v_add_f64_e32 v[184:185], v[164:165], v[162:163]
	v_mul_f64_e32 v[128:129], v[6:7], v[128:129]
	ds_load_b128 v[162:165], v2 offset:1408
	v_fmac_f64_e32 v[178:179], v[172:173], v[122:123]
	v_fma_f64 v[170:171], v[170:171], v[122:123], -v[124:125]
	scratch_load_b128 v[122:125], off, off offset:736
	v_add_f64_e32 v[174:175], v[174:175], v[180:181]
	v_fmac_f64_e32 v[176:177], v[6:7], v[126:127]
	v_add_f64_e32 v[172:173], v[184:185], v[182:183]
	;; [unrolled: 18-line block ×4, first 2 shown]
	v_fma_f64 v[182:183], v[4:5], v[142:143], -v[144:145]
	ds_load_b128 v[4:7], v2 offset:1488
	s_wait_loadcnt_dscnt 0xa01
	v_mul_f64_e32 v[178:179], v[162:163], v[148:149]
	v_mul_f64_e32 v[148:149], v[164:165], v[148:149]
	scratch_load_b128 v[142:145], off, off offset:816
	v_add_f64_e32 v[174:175], v[174:175], v[176:177]
	s_wait_loadcnt_dscnt 0xa00
	v_mul_f64_e32 v[176:177], v[4:5], v[156:157]
	v_add_f64_e32 v[184:185], v[172:173], v[170:171]
	v_mul_f64_e32 v[156:157], v[6:7], v[156:157]
	ds_load_b128 v[170:173], v2 offset:1504
	v_fmac_f64_e32 v[178:179], v[164:165], v[146:147]
	v_fma_f64 v[146:147], v[162:163], v[146:147], -v[148:149]
	s_wait_loadcnt_dscnt 0x900
	v_mul_f64_e32 v[164:165], v[170:171], v[168:169]
	v_mul_f64_e32 v[168:169], v[172:173], v[168:169]
	v_add_f64_e32 v[162:163], v[174:175], v[180:181]
	v_fmac_f64_e32 v[176:177], v[6:7], v[154:155]
	v_add_f64_e32 v[148:149], v[184:185], v[182:183]
	v_fma_f64 v[154:155], v[4:5], v[154:155], -v[156:157]
	v_fmac_f64_e32 v[164:165], v[172:173], v[166:167]
	v_fma_f64 v[166:167], v[170:171], v[166:167], -v[168:169]
	v_add_f64_e32 v[162:163], v[162:163], v[178:179]
	v_add_f64_e32 v[156:157], v[148:149], v[146:147]
	ds_load_b128 v[4:7], v2 offset:1520
	ds_load_b128 v[146:149], v2 offset:1536
	s_wait_loadcnt_dscnt 0x801
	v_mul_f64_e32 v[174:175], v[4:5], v[152:153]
	v_mul_f64_e32 v[152:153], v[6:7], v[152:153]
	v_add_f64_e32 v[154:155], v[156:157], v[154:155]
	v_add_f64_e32 v[156:157], v[162:163], v[176:177]
	s_wait_loadcnt_dscnt 0x700
	v_mul_f64_e32 v[162:163], v[146:147], v[10:11]
	v_mul_f64_e32 v[10:11], v[148:149], v[10:11]
	v_fmac_f64_e32 v[174:175], v[6:7], v[150:151]
	v_fma_f64 v[168:169], v[4:5], v[150:151], -v[152:153]
	ds_load_b128 v[4:7], v2 offset:1552
	ds_load_b128 v[150:153], v2 offset:1568
	v_add_f64_e32 v[154:155], v[154:155], v[166:167]
	v_add_f64_e32 v[156:157], v[156:157], v[164:165]
	v_fmac_f64_e32 v[162:163], v[148:149], v[8:9]
	v_fma_f64 v[8:9], v[146:147], v[8:9], -v[10:11]
	s_wait_loadcnt_dscnt 0x601
	v_mul_f64_e32 v[164:165], v[4:5], v[14:15]
	v_mul_f64_e32 v[14:15], v[6:7], v[14:15]
	s_wait_loadcnt_dscnt 0x500
	v_mul_f64_e32 v[148:149], v[150:151], v[124:125]
	v_mul_f64_e32 v[124:125], v[152:153], v[124:125]
	v_add_f64_e32 v[10:11], v[154:155], v[168:169]
	v_add_f64_e32 v[146:147], v[156:157], v[174:175]
	v_fmac_f64_e32 v[164:165], v[6:7], v[12:13]
	v_fma_f64 v[12:13], v[4:5], v[12:13], -v[14:15]
	v_fmac_f64_e32 v[148:149], v[152:153], v[122:123]
	v_fma_f64 v[122:123], v[150:151], v[122:123], -v[124:125]
	v_add_f64_e32 v[14:15], v[10:11], v[8:9]
	v_add_f64_e32 v[146:147], v[146:147], v[162:163]
	ds_load_b128 v[4:7], v2 offset:1584
	ds_load_b128 v[8:11], v2 offset:1600
	s_wait_loadcnt_dscnt 0x401
	v_mul_f64_e32 v[154:155], v[4:5], v[128:129]
	v_mul_f64_e32 v[128:129], v[6:7], v[128:129]
	s_wait_loadcnt_dscnt 0x300
	v_mul_f64_e32 v[124:125], v[8:9], v[132:133]
	v_mul_f64_e32 v[132:133], v[10:11], v[132:133]
	v_add_f64_e32 v[12:13], v[14:15], v[12:13]
	v_add_f64_e32 v[14:15], v[146:147], v[164:165]
	v_fmac_f64_e32 v[154:155], v[6:7], v[126:127]
	v_fma_f64 v[126:127], v[4:5], v[126:127], -v[128:129]
	v_fmac_f64_e32 v[124:125], v[10:11], v[130:131]
	v_fma_f64 v[8:9], v[8:9], v[130:131], -v[132:133]
	v_add_f64_e32 v[122:123], v[12:13], v[122:123]
	v_add_f64_e32 v[128:129], v[14:15], v[148:149]
	ds_load_b128 v[4:7], v2 offset:1616
	ds_load_b128 v[12:15], v2 offset:1632
	s_wait_loadcnt_dscnt 0x201
	v_mul_f64_e32 v[146:147], v[4:5], v[136:137]
	v_mul_f64_e32 v[136:137], v[6:7], v[136:137]
	v_add_f64_e32 v[10:11], v[122:123], v[126:127]
	v_add_f64_e32 v[122:123], v[128:129], v[154:155]
	s_wait_loadcnt_dscnt 0x100
	v_mul_f64_e32 v[126:127], v[12:13], v[140:141]
	v_mul_f64_e32 v[128:129], v[14:15], v[140:141]
	v_fmac_f64_e32 v[146:147], v[6:7], v[134:135]
	v_fma_f64 v[130:131], v[4:5], v[134:135], -v[136:137]
	ds_load_b128 v[4:7], v2 offset:1648
	v_add_f64_e32 v[8:9], v[10:11], v[8:9]
	v_add_f64_e32 v[10:11], v[122:123], v[124:125]
	v_fmac_f64_e32 v[126:127], v[14:15], v[138:139]
	v_fma_f64 v[12:13], v[12:13], v[138:139], -v[128:129]
	s_wait_loadcnt_dscnt 0x0
	v_mul_f64_e32 v[122:123], v[4:5], v[144:145]
	v_mul_f64_e32 v[124:125], v[6:7], v[144:145]
	v_add_f64_e32 v[8:9], v[8:9], v[130:131]
	v_add_f64_e32 v[10:11], v[10:11], v[146:147]
	s_delay_alu instid0(VALU_DEP_4) | instskip(NEXT) | instid1(VALU_DEP_4)
	v_fmac_f64_e32 v[122:123], v[6:7], v[142:143]
	v_fma_f64 v[4:5], v[4:5], v[142:143], -v[124:125]
	s_delay_alu instid0(VALU_DEP_4) | instskip(NEXT) | instid1(VALU_DEP_4)
	v_add_f64_e32 v[6:7], v[8:9], v[12:13]
	v_add_f64_e32 v[8:9], v[10:11], v[126:127]
	s_delay_alu instid0(VALU_DEP_2) | instskip(NEXT) | instid1(VALU_DEP_2)
	v_add_f64_e32 v[4:5], v[6:7], v[4:5]
	v_add_f64_e32 v[6:7], v[8:9], v[122:123]
	s_delay_alu instid0(VALU_DEP_2) | instskip(NEXT) | instid1(VALU_DEP_2)
	v_add_f64_e64 v[4:5], v[158:159], -v[4:5]
	v_add_f64_e64 v[6:7], v[160:161], -v[6:7]
	scratch_store_b128 off, v[4:7], off offset:288
	s_wait_xcnt 0x0
	v_cmpx_lt_u32_e32 17, v1
	s_cbranch_execz .LBB115_291
; %bb.290:
	scratch_load_b128 v[6:9], off, s51
	v_dual_mov_b32 v3, v2 :: v_dual_mov_b32 v4, v2
	v_mov_b32_e32 v5, v2
	scratch_store_b128 off, v[2:5], off offset:272
	s_wait_loadcnt 0x0
	ds_store_b128 v120, v[6:9]
.LBB115_291:
	s_wait_xcnt 0x0
	s_or_b32 exec_lo, exec_lo, s2
	s_wait_storecnt_dscnt 0x0
	s_barrier_signal -1
	s_barrier_wait -1
	s_clause 0x9
	scratch_load_b128 v[4:7], off, off offset:288
	scratch_load_b128 v[8:11], off, off offset:304
	scratch_load_b128 v[12:15], off, off offset:320
	scratch_load_b128 v[122:125], off, off offset:336
	scratch_load_b128 v[126:129], off, off offset:352
	scratch_load_b128 v[130:133], off, off offset:368
	scratch_load_b128 v[134:137], off, off offset:384
	scratch_load_b128 v[138:141], off, off offset:400
	scratch_load_b128 v[142:145], off, off offset:416
	scratch_load_b128 v[146:149], off, off offset:432
	ds_load_b128 v[150:153], v2 offset:1120
	ds_load_b128 v[158:161], v2 offset:1136
	s_clause 0x2
	scratch_load_b128 v[154:157], off, off offset:448
	scratch_load_b128 v[162:165], off, off offset:272
	;; [unrolled: 1-line block ×3, first 2 shown]
	s_mov_b32 s2, exec_lo
	s_wait_loadcnt_dscnt 0xc01
	v_mul_f64_e32 v[170:171], v[152:153], v[6:7]
	v_mul_f64_e32 v[174:175], v[150:151], v[6:7]
	s_wait_loadcnt_dscnt 0xb00
	v_mul_f64_e32 v[176:177], v[158:159], v[10:11]
	v_mul_f64_e32 v[10:11], v[160:161], v[10:11]
	s_delay_alu instid0(VALU_DEP_4) | instskip(NEXT) | instid1(VALU_DEP_4)
	v_fma_f64 v[178:179], v[150:151], v[4:5], -v[170:171]
	v_fmac_f64_e32 v[174:175], v[152:153], v[4:5]
	ds_load_b128 v[4:7], v2 offset:1152
	ds_load_b128 v[150:153], v2 offset:1168
	scratch_load_b128 v[170:173], off, off offset:480
	v_fmac_f64_e32 v[176:177], v[160:161], v[8:9]
	v_fma_f64 v[158:159], v[158:159], v[8:9], -v[10:11]
	scratch_load_b128 v[8:11], off, off offset:496
	s_wait_loadcnt_dscnt 0xc01
	v_mul_f64_e32 v[180:181], v[4:5], v[14:15]
	v_mul_f64_e32 v[14:15], v[6:7], v[14:15]
	v_add_f64_e32 v[160:161], 0, v[178:179]
	v_add_f64_e32 v[174:175], 0, v[174:175]
	s_wait_loadcnt_dscnt 0xb00
	v_mul_f64_e32 v[178:179], v[150:151], v[124:125]
	v_mul_f64_e32 v[124:125], v[152:153], v[124:125]
	v_fmac_f64_e32 v[180:181], v[6:7], v[12:13]
	v_fma_f64 v[182:183], v[4:5], v[12:13], -v[14:15]
	ds_load_b128 v[4:7], v2 offset:1184
	ds_load_b128 v[12:15], v2 offset:1200
	v_add_f64_e32 v[184:185], v[160:161], v[158:159]
	v_add_f64_e32 v[174:175], v[174:175], v[176:177]
	scratch_load_b128 v[158:161], off, off offset:512
	v_fmac_f64_e32 v[178:179], v[152:153], v[122:123]
	v_fma_f64 v[150:151], v[150:151], v[122:123], -v[124:125]
	scratch_load_b128 v[122:125], off, off offset:528
	s_wait_loadcnt_dscnt 0xc01
	v_mul_f64_e32 v[176:177], v[4:5], v[128:129]
	v_mul_f64_e32 v[128:129], v[6:7], v[128:129]
	v_add_f64_e32 v[152:153], v[184:185], v[182:183]
	v_add_f64_e32 v[174:175], v[174:175], v[180:181]
	s_wait_loadcnt_dscnt 0xb00
	v_mul_f64_e32 v[180:181], v[12:13], v[132:133]
	v_mul_f64_e32 v[132:133], v[14:15], v[132:133]
	v_fmac_f64_e32 v[176:177], v[6:7], v[126:127]
	v_fma_f64 v[182:183], v[4:5], v[126:127], -v[128:129]
	ds_load_b128 v[4:7], v2 offset:1216
	ds_load_b128 v[126:129], v2 offset:1232
	v_add_f64_e32 v[184:185], v[152:153], v[150:151]
	v_add_f64_e32 v[174:175], v[174:175], v[178:179]
	scratch_load_b128 v[150:153], off, off offset:544
	s_wait_loadcnt_dscnt 0xb01
	v_mul_f64_e32 v[178:179], v[4:5], v[136:137]
	v_mul_f64_e32 v[136:137], v[6:7], v[136:137]
	v_fmac_f64_e32 v[180:181], v[14:15], v[130:131]
	v_fma_f64 v[130:131], v[12:13], v[130:131], -v[132:133]
	scratch_load_b128 v[12:15], off, off offset:560
	v_add_f64_e32 v[132:133], v[184:185], v[182:183]
	v_add_f64_e32 v[174:175], v[174:175], v[176:177]
	s_wait_loadcnt_dscnt 0xb00
	v_mul_f64_e32 v[176:177], v[126:127], v[140:141]
	v_mul_f64_e32 v[140:141], v[128:129], v[140:141]
	v_fmac_f64_e32 v[178:179], v[6:7], v[134:135]
	v_fma_f64 v[182:183], v[4:5], v[134:135], -v[136:137]
	v_add_f64_e32 v[184:185], v[132:133], v[130:131]
	v_add_f64_e32 v[174:175], v[174:175], v[180:181]
	ds_load_b128 v[4:7], v2 offset:1248
	ds_load_b128 v[130:133], v2 offset:1264
	scratch_load_b128 v[134:137], off, off offset:576
	v_fmac_f64_e32 v[176:177], v[128:129], v[138:139]
	v_fma_f64 v[138:139], v[126:127], v[138:139], -v[140:141]
	scratch_load_b128 v[126:129], off, off offset:592
	s_wait_loadcnt_dscnt 0xc01
	v_mul_f64_e32 v[180:181], v[4:5], v[144:145]
	v_mul_f64_e32 v[144:145], v[6:7], v[144:145]
	v_add_f64_e32 v[140:141], v[184:185], v[182:183]
	v_add_f64_e32 v[174:175], v[174:175], v[178:179]
	s_wait_loadcnt_dscnt 0xb00
	v_mul_f64_e32 v[178:179], v[130:131], v[148:149]
	v_mul_f64_e32 v[148:149], v[132:133], v[148:149]
	v_fmac_f64_e32 v[180:181], v[6:7], v[142:143]
	v_fma_f64 v[182:183], v[4:5], v[142:143], -v[144:145]
	v_add_f64_e32 v[184:185], v[140:141], v[138:139]
	v_add_f64_e32 v[174:175], v[174:175], v[176:177]
	ds_load_b128 v[4:7], v2 offset:1280
	ds_load_b128 v[138:141], v2 offset:1296
	scratch_load_b128 v[142:145], off, off offset:608
	v_fmac_f64_e32 v[178:179], v[132:133], v[146:147]
	v_fma_f64 v[146:147], v[130:131], v[146:147], -v[148:149]
	scratch_load_b128 v[130:133], off, off offset:624
	s_wait_loadcnt_dscnt 0xc01
	v_mul_f64_e32 v[176:177], v[4:5], v[156:157]
	v_mul_f64_e32 v[156:157], v[6:7], v[156:157]
	;; [unrolled: 18-line block ×5, first 2 shown]
	v_add_f64_e32 v[168:169], v[184:185], v[182:183]
	v_add_f64_e32 v[174:175], v[174:175], v[180:181]
	s_wait_loadcnt_dscnt 0xa00
	v_mul_f64_e32 v[180:181], v[146:147], v[14:15]
	v_mul_f64_e32 v[14:15], v[148:149], v[14:15]
	v_fmac_f64_e32 v[176:177], v[6:7], v[150:151]
	v_fma_f64 v[182:183], v[4:5], v[150:151], -v[152:153]
	ds_load_b128 v[4:7], v2 offset:1408
	ds_load_b128 v[150:153], v2 offset:1424
	v_add_f64_e32 v[184:185], v[168:169], v[166:167]
	v_add_f64_e32 v[174:175], v[174:175], v[178:179]
	scratch_load_b128 v[166:169], off, off offset:736
	v_fmac_f64_e32 v[180:181], v[148:149], v[12:13]
	v_fma_f64 v[146:147], v[146:147], v[12:13], -v[14:15]
	scratch_load_b128 v[12:15], off, off offset:752
	s_wait_loadcnt_dscnt 0xb01
	v_mul_f64_e32 v[178:179], v[4:5], v[136:137]
	v_mul_f64_e32 v[136:137], v[6:7], v[136:137]
	v_add_f64_e32 v[148:149], v[184:185], v[182:183]
	v_add_f64_e32 v[174:175], v[174:175], v[176:177]
	s_wait_loadcnt_dscnt 0xa00
	v_mul_f64_e32 v[176:177], v[150:151], v[128:129]
	v_mul_f64_e32 v[128:129], v[152:153], v[128:129]
	v_fmac_f64_e32 v[178:179], v[6:7], v[134:135]
	v_fma_f64 v[182:183], v[4:5], v[134:135], -v[136:137]
	ds_load_b128 v[4:7], v2 offset:1440
	ds_load_b128 v[134:137], v2 offset:1456
	v_add_f64_e32 v[184:185], v[148:149], v[146:147]
	v_add_f64_e32 v[174:175], v[174:175], v[180:181]
	scratch_load_b128 v[146:149], off, off offset:768
	s_wait_loadcnt_dscnt 0xa01
	v_mul_f64_e32 v[180:181], v[4:5], v[144:145]
	v_mul_f64_e32 v[144:145], v[6:7], v[144:145]
	v_fmac_f64_e32 v[176:177], v[152:153], v[126:127]
	v_fma_f64 v[150:151], v[150:151], v[126:127], -v[128:129]
	scratch_load_b128 v[126:129], off, off offset:784
	v_add_f64_e32 v[152:153], v[184:185], v[182:183]
	v_add_f64_e32 v[174:175], v[174:175], v[178:179]
	s_wait_loadcnt_dscnt 0xa00
	v_mul_f64_e32 v[178:179], v[134:135], v[132:133]
	v_mul_f64_e32 v[132:133], v[136:137], v[132:133]
	v_fmac_f64_e32 v[180:181], v[6:7], v[142:143]
	v_fma_f64 v[182:183], v[4:5], v[142:143], -v[144:145]
	ds_load_b128 v[4:7], v2 offset:1472
	ds_load_b128 v[142:145], v2 offset:1488
	v_add_f64_e32 v[184:185], v[152:153], v[150:151]
	v_add_f64_e32 v[174:175], v[174:175], v[176:177]
	scratch_load_b128 v[150:153], off, off offset:800
	s_wait_loadcnt_dscnt 0xa01
	v_mul_f64_e32 v[176:177], v[4:5], v[156:157]
	v_mul_f64_e32 v[156:157], v[6:7], v[156:157]
	v_fmac_f64_e32 v[178:179], v[136:137], v[130:131]
	v_fma_f64 v[134:135], v[134:135], v[130:131], -v[132:133]
	scratch_load_b128 v[130:133], off, off offset:816
	v_add_f64_e32 v[136:137], v[184:185], v[182:183]
	v_add_f64_e32 v[174:175], v[174:175], v[180:181]
	s_wait_loadcnt_dscnt 0xa00
	v_mul_f64_e32 v[180:181], v[142:143], v[140:141]
	v_mul_f64_e32 v[140:141], v[144:145], v[140:141]
	v_fmac_f64_e32 v[176:177], v[6:7], v[154:155]
	v_fma_f64 v[154:155], v[4:5], v[154:155], -v[156:157]
	v_add_f64_e32 v[156:157], v[136:137], v[134:135]
	v_add_f64_e32 v[174:175], v[174:175], v[178:179]
	ds_load_b128 v[4:7], v2 offset:1504
	ds_load_b128 v[134:137], v2 offset:1520
	v_fmac_f64_e32 v[180:181], v[144:145], v[138:139]
	v_fma_f64 v[138:139], v[142:143], v[138:139], -v[140:141]
	s_wait_loadcnt_dscnt 0x901
	v_mul_f64_e32 v[178:179], v[4:5], v[172:173]
	v_mul_f64_e32 v[172:173], v[6:7], v[172:173]
	s_wait_loadcnt_dscnt 0x800
	v_mul_f64_e32 v[144:145], v[134:135], v[10:11]
	v_mul_f64_e32 v[10:11], v[136:137], v[10:11]
	v_add_f64_e32 v[140:141], v[156:157], v[154:155]
	v_add_f64_e32 v[142:143], v[174:175], v[176:177]
	v_fmac_f64_e32 v[178:179], v[6:7], v[170:171]
	v_fma_f64 v[154:155], v[4:5], v[170:171], -v[172:173]
	v_fmac_f64_e32 v[144:145], v[136:137], v[8:9]
	v_fma_f64 v[8:9], v[134:135], v[8:9], -v[10:11]
	v_add_f64_e32 v[156:157], v[140:141], v[138:139]
	v_add_f64_e32 v[142:143], v[142:143], v[180:181]
	ds_load_b128 v[4:7], v2 offset:1536
	ds_load_b128 v[138:141], v2 offset:1552
	s_wait_loadcnt_dscnt 0x701
	v_mul_f64_e32 v[170:171], v[4:5], v[160:161]
	v_mul_f64_e32 v[160:161], v[6:7], v[160:161]
	s_wait_loadcnt_dscnt 0x600
	v_mul_f64_e32 v[136:137], v[138:139], v[124:125]
	v_mul_f64_e32 v[124:125], v[140:141], v[124:125]
	v_add_f64_e32 v[10:11], v[156:157], v[154:155]
	v_add_f64_e32 v[134:135], v[142:143], v[178:179]
	v_fmac_f64_e32 v[170:171], v[6:7], v[158:159]
	v_fma_f64 v[142:143], v[4:5], v[158:159], -v[160:161]
	v_fmac_f64_e32 v[136:137], v[140:141], v[122:123]
	v_fma_f64 v[122:123], v[138:139], v[122:123], -v[124:125]
	v_add_f64_e32 v[154:155], v[10:11], v[8:9]
	v_add_f64_e32 v[134:135], v[134:135], v[144:145]
	ds_load_b128 v[4:7], v2 offset:1568
	ds_load_b128 v[8:11], v2 offset:1584
	;; [unrolled: 16-line block ×4, first 2 shown]
	s_wait_loadcnt_dscnt 0x101
	v_mul_f64_e32 v[2:3], v[4:5], v[152:153]
	v_mul_f64_e32 v[138:139], v[6:7], v[152:153]
	s_wait_loadcnt_dscnt 0x0
	v_mul_f64_e32 v[126:127], v[8:9], v[132:133]
	v_mul_f64_e32 v[128:129], v[10:11], v[132:133]
	v_add_f64_e32 v[124:125], v[140:141], v[134:135]
	v_add_f64_e32 v[12:13], v[12:13], v[136:137]
	v_fmac_f64_e32 v[2:3], v[6:7], v[150:151]
	v_fma_f64 v[4:5], v[4:5], v[150:151], -v[138:139]
	v_fmac_f64_e32 v[126:127], v[10:11], v[130:131]
	v_fma_f64 v[8:9], v[8:9], v[130:131], -v[128:129]
	v_add_f64_e32 v[6:7], v[124:125], v[122:123]
	v_add_f64_e32 v[12:13], v[12:13], v[14:15]
	s_delay_alu instid0(VALU_DEP_2) | instskip(NEXT) | instid1(VALU_DEP_2)
	v_add_f64_e32 v[4:5], v[6:7], v[4:5]
	v_add_f64_e32 v[2:3], v[12:13], v[2:3]
	s_delay_alu instid0(VALU_DEP_2) | instskip(NEXT) | instid1(VALU_DEP_2)
	;; [unrolled: 3-line block ×3, first 2 shown]
	v_add_f64_e64 v[2:3], v[162:163], -v[4:5]
	v_add_f64_e64 v[4:5], v[164:165], -v[6:7]
	scratch_store_b128 off, v[2:5], off offset:272
	s_wait_xcnt 0x0
	v_cmpx_lt_u32_e32 16, v1
	s_cbranch_execz .LBB115_293
; %bb.292:
	scratch_load_b128 v[2:5], off, s52
	v_mov_b32_e32 v6, 0
	s_delay_alu instid0(VALU_DEP_1)
	v_dual_mov_b32 v7, v6 :: v_dual_mov_b32 v8, v6
	v_mov_b32_e32 v9, v6
	scratch_store_b128 off, v[6:9], off offset:256
	s_wait_loadcnt 0x0
	ds_store_b128 v120, v[2:5]
.LBB115_293:
	s_wait_xcnt 0x0
	s_or_b32 exec_lo, exec_lo, s2
	s_wait_storecnt_dscnt 0x0
	s_barrier_signal -1
	s_barrier_wait -1
	s_clause 0x9
	scratch_load_b128 v[4:7], off, off offset:272
	scratch_load_b128 v[8:11], off, off offset:288
	;; [unrolled: 1-line block ×10, first 2 shown]
	v_mov_b32_e32 v2, 0
	s_mov_b32 s2, exec_lo
	ds_load_b128 v[150:153], v2 offset:1104
	s_clause 0x2
	scratch_load_b128 v[154:157], off, off offset:432
	scratch_load_b128 v[158:161], off, off offset:256
	;; [unrolled: 1-line block ×3, first 2 shown]
	s_wait_loadcnt_dscnt 0xc00
	v_mul_f64_e32 v[170:171], v[152:153], v[6:7]
	v_mul_f64_e32 v[174:175], v[150:151], v[6:7]
	ds_load_b128 v[162:165], v2 offset:1120
	v_fma_f64 v[178:179], v[150:151], v[4:5], -v[170:171]
	v_fmac_f64_e32 v[174:175], v[152:153], v[4:5]
	ds_load_b128 v[4:7], v2 offset:1136
	s_wait_loadcnt_dscnt 0xb01
	v_mul_f64_e32 v[176:177], v[162:163], v[10:11]
	v_mul_f64_e32 v[10:11], v[164:165], v[10:11]
	scratch_load_b128 v[150:153], off, off offset:464
	ds_load_b128 v[170:173], v2 offset:1152
	s_wait_loadcnt_dscnt 0xb01
	v_mul_f64_e32 v[180:181], v[4:5], v[14:15]
	v_mul_f64_e32 v[14:15], v[6:7], v[14:15]
	v_add_f64_e32 v[174:175], 0, v[174:175]
	v_fmac_f64_e32 v[176:177], v[164:165], v[8:9]
	v_fma_f64 v[162:163], v[162:163], v[8:9], -v[10:11]
	v_add_f64_e32 v[164:165], 0, v[178:179]
	scratch_load_b128 v[8:11], off, off offset:480
	v_fmac_f64_e32 v[180:181], v[6:7], v[12:13]
	v_fma_f64 v[182:183], v[4:5], v[12:13], -v[14:15]
	ds_load_b128 v[4:7], v2 offset:1168
	s_wait_loadcnt_dscnt 0xb01
	v_mul_f64_e32 v[178:179], v[170:171], v[124:125]
	v_mul_f64_e32 v[124:125], v[172:173], v[124:125]
	scratch_load_b128 v[12:15], off, off offset:496
	v_add_f64_e32 v[174:175], v[174:175], v[176:177]
	v_add_f64_e32 v[184:185], v[164:165], v[162:163]
	ds_load_b128 v[162:165], v2 offset:1184
	s_wait_loadcnt_dscnt 0xb01
	v_mul_f64_e32 v[176:177], v[4:5], v[128:129]
	v_mul_f64_e32 v[128:129], v[6:7], v[128:129]
	v_fmac_f64_e32 v[178:179], v[172:173], v[122:123]
	v_fma_f64 v[170:171], v[170:171], v[122:123], -v[124:125]
	scratch_load_b128 v[122:125], off, off offset:512
	v_add_f64_e32 v[174:175], v[174:175], v[180:181]
	v_add_f64_e32 v[172:173], v[184:185], v[182:183]
	v_fmac_f64_e32 v[176:177], v[6:7], v[126:127]
	v_fma_f64 v[182:183], v[4:5], v[126:127], -v[128:129]
	ds_load_b128 v[4:7], v2 offset:1200
	s_wait_loadcnt_dscnt 0xb01
	v_mul_f64_e32 v[180:181], v[162:163], v[132:133]
	v_mul_f64_e32 v[132:133], v[164:165], v[132:133]
	scratch_load_b128 v[126:129], off, off offset:528
	v_add_f64_e32 v[174:175], v[174:175], v[178:179]
	s_wait_loadcnt_dscnt 0xb00
	v_mul_f64_e32 v[178:179], v[4:5], v[136:137]
	v_add_f64_e32 v[184:185], v[172:173], v[170:171]
	v_mul_f64_e32 v[136:137], v[6:7], v[136:137]
	ds_load_b128 v[170:173], v2 offset:1216
	v_fmac_f64_e32 v[180:181], v[164:165], v[130:131]
	v_fma_f64 v[162:163], v[162:163], v[130:131], -v[132:133]
	scratch_load_b128 v[130:133], off, off offset:544
	v_add_f64_e32 v[174:175], v[174:175], v[176:177]
	v_fmac_f64_e32 v[178:179], v[6:7], v[134:135]
	v_add_f64_e32 v[164:165], v[184:185], v[182:183]
	v_fma_f64 v[182:183], v[4:5], v[134:135], -v[136:137]
	ds_load_b128 v[4:7], v2 offset:1232
	s_wait_loadcnt_dscnt 0xb01
	v_mul_f64_e32 v[176:177], v[170:171], v[140:141]
	v_mul_f64_e32 v[140:141], v[172:173], v[140:141]
	scratch_load_b128 v[134:137], off, off offset:560
	v_add_f64_e32 v[174:175], v[174:175], v[180:181]
	s_wait_loadcnt_dscnt 0xb00
	v_mul_f64_e32 v[180:181], v[4:5], v[144:145]
	v_add_f64_e32 v[184:185], v[164:165], v[162:163]
	v_mul_f64_e32 v[144:145], v[6:7], v[144:145]
	ds_load_b128 v[162:165], v2 offset:1248
	v_fmac_f64_e32 v[176:177], v[172:173], v[138:139]
	v_fma_f64 v[170:171], v[170:171], v[138:139], -v[140:141]
	scratch_load_b128 v[138:141], off, off offset:576
	v_add_f64_e32 v[174:175], v[174:175], v[178:179]
	v_fmac_f64_e32 v[180:181], v[6:7], v[142:143]
	v_add_f64_e32 v[172:173], v[184:185], v[182:183]
	;; [unrolled: 18-line block ×3, first 2 shown]
	v_fma_f64 v[182:183], v[4:5], v[154:155], -v[156:157]
	ds_load_b128 v[4:7], v2 offset:1296
	s_wait_loadcnt_dscnt 0xa01
	v_mul_f64_e32 v[180:181], v[170:171], v[168:169]
	v_mul_f64_e32 v[168:169], v[172:173], v[168:169]
	scratch_load_b128 v[154:157], off, off offset:624
	v_add_f64_e32 v[174:175], v[174:175], v[178:179]
	v_add_f64_e32 v[184:185], v[164:165], v[162:163]
	s_wait_loadcnt_dscnt 0xa00
	v_mul_f64_e32 v[178:179], v[4:5], v[152:153]
	v_mul_f64_e32 v[152:153], v[6:7], v[152:153]
	v_fmac_f64_e32 v[180:181], v[172:173], v[166:167]
	v_fma_f64 v[170:171], v[170:171], v[166:167], -v[168:169]
	ds_load_b128 v[162:165], v2 offset:1312
	scratch_load_b128 v[166:169], off, off offset:640
	v_add_f64_e32 v[174:175], v[174:175], v[176:177]
	v_add_f64_e32 v[172:173], v[184:185], v[182:183]
	v_fmac_f64_e32 v[178:179], v[6:7], v[150:151]
	v_fma_f64 v[182:183], v[4:5], v[150:151], -v[152:153]
	ds_load_b128 v[4:7], v2 offset:1328
	s_wait_loadcnt_dscnt 0xa01
	v_mul_f64_e32 v[176:177], v[162:163], v[10:11]
	v_mul_f64_e32 v[10:11], v[164:165], v[10:11]
	scratch_load_b128 v[150:153], off, off offset:656
	v_add_f64_e32 v[174:175], v[174:175], v[180:181]
	s_wait_loadcnt_dscnt 0xa00
	v_mul_f64_e32 v[180:181], v[4:5], v[14:15]
	v_add_f64_e32 v[184:185], v[172:173], v[170:171]
	v_mul_f64_e32 v[14:15], v[6:7], v[14:15]
	ds_load_b128 v[170:173], v2 offset:1344
	v_fmac_f64_e32 v[176:177], v[164:165], v[8:9]
	v_fma_f64 v[162:163], v[162:163], v[8:9], -v[10:11]
	scratch_load_b128 v[8:11], off, off offset:672
	v_add_f64_e32 v[174:175], v[174:175], v[178:179]
	v_fmac_f64_e32 v[180:181], v[6:7], v[12:13]
	v_add_f64_e32 v[164:165], v[184:185], v[182:183]
	v_fma_f64 v[182:183], v[4:5], v[12:13], -v[14:15]
	ds_load_b128 v[4:7], v2 offset:1360
	s_wait_loadcnt_dscnt 0xa01
	v_mul_f64_e32 v[178:179], v[170:171], v[124:125]
	v_mul_f64_e32 v[124:125], v[172:173], v[124:125]
	scratch_load_b128 v[12:15], off, off offset:688
	v_add_f64_e32 v[174:175], v[174:175], v[176:177]
	s_wait_loadcnt_dscnt 0xa00
	v_mul_f64_e32 v[176:177], v[4:5], v[128:129]
	v_add_f64_e32 v[184:185], v[164:165], v[162:163]
	v_mul_f64_e32 v[128:129], v[6:7], v[128:129]
	ds_load_b128 v[162:165], v2 offset:1376
	v_fmac_f64_e32 v[178:179], v[172:173], v[122:123]
	v_fma_f64 v[170:171], v[170:171], v[122:123], -v[124:125]
	scratch_load_b128 v[122:125], off, off offset:704
	v_add_f64_e32 v[174:175], v[174:175], v[180:181]
	v_fmac_f64_e32 v[176:177], v[6:7], v[126:127]
	v_add_f64_e32 v[172:173], v[184:185], v[182:183]
	;; [unrolled: 18-line block ×5, first 2 shown]
	v_fma_f64 v[182:183], v[4:5], v[154:155], -v[156:157]
	ds_load_b128 v[4:7], v2 offset:1488
	s_wait_loadcnt_dscnt 0xa01
	v_mul_f64_e32 v[180:181], v[170:171], v[168:169]
	v_mul_f64_e32 v[168:169], v[172:173], v[168:169]
	scratch_load_b128 v[154:157], off, off offset:816
	v_add_f64_e32 v[174:175], v[174:175], v[178:179]
	s_wait_loadcnt_dscnt 0xa00
	v_mul_f64_e32 v[178:179], v[4:5], v[152:153]
	v_add_f64_e32 v[184:185], v[164:165], v[162:163]
	v_mul_f64_e32 v[152:153], v[6:7], v[152:153]
	ds_load_b128 v[162:165], v2 offset:1504
	v_fmac_f64_e32 v[180:181], v[172:173], v[166:167]
	v_fma_f64 v[166:167], v[170:171], v[166:167], -v[168:169]
	s_wait_loadcnt_dscnt 0x900
	v_mul_f64_e32 v[172:173], v[162:163], v[10:11]
	v_mul_f64_e32 v[10:11], v[164:165], v[10:11]
	v_add_f64_e32 v[170:171], v[174:175], v[176:177]
	v_fmac_f64_e32 v[178:179], v[6:7], v[150:151]
	v_add_f64_e32 v[168:169], v[184:185], v[182:183]
	v_fma_f64 v[174:175], v[4:5], v[150:151], -v[152:153]
	ds_load_b128 v[4:7], v2 offset:1520
	ds_load_b128 v[150:153], v2 offset:1536
	v_fmac_f64_e32 v[172:173], v[164:165], v[8:9]
	v_fma_f64 v[8:9], v[162:163], v[8:9], -v[10:11]
	v_add_f64_e32 v[166:167], v[168:169], v[166:167]
	v_add_f64_e32 v[168:169], v[170:171], v[180:181]
	s_wait_loadcnt_dscnt 0x801
	v_mul_f64_e32 v[170:171], v[4:5], v[14:15]
	v_mul_f64_e32 v[14:15], v[6:7], v[14:15]
	s_wait_loadcnt_dscnt 0x700
	v_mul_f64_e32 v[164:165], v[150:151], v[124:125]
	v_mul_f64_e32 v[124:125], v[152:153], v[124:125]
	v_add_f64_e32 v[10:11], v[166:167], v[174:175]
	v_add_f64_e32 v[162:163], v[168:169], v[178:179]
	v_fmac_f64_e32 v[170:171], v[6:7], v[12:13]
	v_fma_f64 v[12:13], v[4:5], v[12:13], -v[14:15]
	v_fmac_f64_e32 v[164:165], v[152:153], v[122:123]
	v_fma_f64 v[122:123], v[150:151], v[122:123], -v[124:125]
	v_add_f64_e32 v[14:15], v[10:11], v[8:9]
	v_add_f64_e32 v[162:163], v[162:163], v[172:173]
	ds_load_b128 v[4:7], v2 offset:1552
	ds_load_b128 v[8:11], v2 offset:1568
	s_wait_loadcnt_dscnt 0x601
	v_mul_f64_e32 v[166:167], v[4:5], v[128:129]
	v_mul_f64_e32 v[128:129], v[6:7], v[128:129]
	s_wait_loadcnt_dscnt 0x500
	v_mul_f64_e32 v[124:125], v[8:9], v[132:133]
	v_mul_f64_e32 v[132:133], v[10:11], v[132:133]
	v_add_f64_e32 v[12:13], v[14:15], v[12:13]
	v_add_f64_e32 v[14:15], v[162:163], v[170:171]
	v_fmac_f64_e32 v[166:167], v[6:7], v[126:127]
	v_fma_f64 v[126:127], v[4:5], v[126:127], -v[128:129]
	v_fmac_f64_e32 v[124:125], v[10:11], v[130:131]
	v_fma_f64 v[8:9], v[8:9], v[130:131], -v[132:133]
	v_add_f64_e32 v[122:123], v[12:13], v[122:123]
	v_add_f64_e32 v[128:129], v[14:15], v[164:165]
	ds_load_b128 v[4:7], v2 offset:1584
	ds_load_b128 v[12:15], v2 offset:1600
	s_wait_loadcnt_dscnt 0x401
	v_mul_f64_e32 v[150:151], v[4:5], v[136:137]
	v_mul_f64_e32 v[136:137], v[6:7], v[136:137]
	v_add_f64_e32 v[10:11], v[122:123], v[126:127]
	v_add_f64_e32 v[122:123], v[128:129], v[166:167]
	s_wait_loadcnt_dscnt 0x300
	v_mul_f64_e32 v[126:127], v[12:13], v[140:141]
	v_mul_f64_e32 v[128:129], v[14:15], v[140:141]
	v_fmac_f64_e32 v[150:151], v[6:7], v[134:135]
	v_fma_f64 v[130:131], v[4:5], v[134:135], -v[136:137]
	v_add_f64_e32 v[132:133], v[10:11], v[8:9]
	v_add_f64_e32 v[122:123], v[122:123], v[124:125]
	ds_load_b128 v[4:7], v2 offset:1616
	ds_load_b128 v[8:11], v2 offset:1632
	v_fmac_f64_e32 v[126:127], v[14:15], v[138:139]
	v_fma_f64 v[12:13], v[12:13], v[138:139], -v[128:129]
	s_wait_loadcnt_dscnt 0x201
	v_mul_f64_e32 v[124:125], v[4:5], v[144:145]
	v_mul_f64_e32 v[134:135], v[6:7], v[144:145]
	s_wait_loadcnt_dscnt 0x100
	v_mul_f64_e32 v[128:129], v[8:9], v[148:149]
	v_add_f64_e32 v[14:15], v[132:133], v[130:131]
	v_add_f64_e32 v[122:123], v[122:123], v[150:151]
	v_mul_f64_e32 v[130:131], v[10:11], v[148:149]
	v_fmac_f64_e32 v[124:125], v[6:7], v[142:143]
	v_fma_f64 v[132:133], v[4:5], v[142:143], -v[134:135]
	ds_load_b128 v[4:7], v2 offset:1648
	v_fmac_f64_e32 v[128:129], v[10:11], v[146:147]
	v_add_f64_e32 v[12:13], v[14:15], v[12:13]
	v_add_f64_e32 v[14:15], v[122:123], v[126:127]
	v_fma_f64 v[8:9], v[8:9], v[146:147], -v[130:131]
	s_wait_loadcnt_dscnt 0x0
	v_mul_f64_e32 v[122:123], v[4:5], v[156:157]
	v_mul_f64_e32 v[126:127], v[6:7], v[156:157]
	v_add_f64_e32 v[10:11], v[12:13], v[132:133]
	v_add_f64_e32 v[12:13], v[14:15], v[124:125]
	s_delay_alu instid0(VALU_DEP_4) | instskip(NEXT) | instid1(VALU_DEP_4)
	v_fmac_f64_e32 v[122:123], v[6:7], v[154:155]
	v_fma_f64 v[4:5], v[4:5], v[154:155], -v[126:127]
	s_delay_alu instid0(VALU_DEP_4) | instskip(NEXT) | instid1(VALU_DEP_4)
	v_add_f64_e32 v[6:7], v[10:11], v[8:9]
	v_add_f64_e32 v[8:9], v[12:13], v[128:129]
	s_delay_alu instid0(VALU_DEP_2) | instskip(NEXT) | instid1(VALU_DEP_2)
	v_add_f64_e32 v[4:5], v[6:7], v[4:5]
	v_add_f64_e32 v[6:7], v[8:9], v[122:123]
	s_delay_alu instid0(VALU_DEP_2) | instskip(NEXT) | instid1(VALU_DEP_2)
	v_add_f64_e64 v[4:5], v[158:159], -v[4:5]
	v_add_f64_e64 v[6:7], v[160:161], -v[6:7]
	scratch_store_b128 off, v[4:7], off offset:256
	s_wait_xcnt 0x0
	v_cmpx_lt_u32_e32 15, v1
	s_cbranch_execz .LBB115_295
; %bb.294:
	scratch_load_b128 v[6:9], off, s53
	v_dual_mov_b32 v3, v2 :: v_dual_mov_b32 v4, v2
	v_mov_b32_e32 v5, v2
	scratch_store_b128 off, v[2:5], off offset:240
	s_wait_loadcnt 0x0
	ds_store_b128 v120, v[6:9]
.LBB115_295:
	s_wait_xcnt 0x0
	s_or_b32 exec_lo, exec_lo, s2
	s_wait_storecnt_dscnt 0x0
	s_barrier_signal -1
	s_barrier_wait -1
	s_clause 0x9
	scratch_load_b128 v[4:7], off, off offset:256
	scratch_load_b128 v[8:11], off, off offset:272
	;; [unrolled: 1-line block ×10, first 2 shown]
	ds_load_b128 v[150:153], v2 offset:1088
	ds_load_b128 v[158:161], v2 offset:1104
	s_clause 0x2
	scratch_load_b128 v[154:157], off, off offset:416
	scratch_load_b128 v[162:165], off, off offset:240
	;; [unrolled: 1-line block ×3, first 2 shown]
	s_mov_b32 s2, exec_lo
	s_wait_loadcnt_dscnt 0xc01
	v_mul_f64_e32 v[170:171], v[152:153], v[6:7]
	v_mul_f64_e32 v[174:175], v[150:151], v[6:7]
	s_wait_loadcnt_dscnt 0xb00
	v_mul_f64_e32 v[176:177], v[158:159], v[10:11]
	v_mul_f64_e32 v[10:11], v[160:161], v[10:11]
	s_delay_alu instid0(VALU_DEP_4) | instskip(NEXT) | instid1(VALU_DEP_4)
	v_fma_f64 v[178:179], v[150:151], v[4:5], -v[170:171]
	v_fmac_f64_e32 v[174:175], v[152:153], v[4:5]
	ds_load_b128 v[4:7], v2 offset:1120
	ds_load_b128 v[150:153], v2 offset:1136
	scratch_load_b128 v[170:173], off, off offset:448
	v_fmac_f64_e32 v[176:177], v[160:161], v[8:9]
	v_fma_f64 v[158:159], v[158:159], v[8:9], -v[10:11]
	scratch_load_b128 v[8:11], off, off offset:464
	s_wait_loadcnt_dscnt 0xc01
	v_mul_f64_e32 v[180:181], v[4:5], v[14:15]
	v_mul_f64_e32 v[14:15], v[6:7], v[14:15]
	v_add_f64_e32 v[160:161], 0, v[178:179]
	v_add_f64_e32 v[174:175], 0, v[174:175]
	s_wait_loadcnt_dscnt 0xb00
	v_mul_f64_e32 v[178:179], v[150:151], v[124:125]
	v_mul_f64_e32 v[124:125], v[152:153], v[124:125]
	v_fmac_f64_e32 v[180:181], v[6:7], v[12:13]
	v_fma_f64 v[182:183], v[4:5], v[12:13], -v[14:15]
	ds_load_b128 v[4:7], v2 offset:1152
	ds_load_b128 v[12:15], v2 offset:1168
	v_add_f64_e32 v[184:185], v[160:161], v[158:159]
	v_add_f64_e32 v[174:175], v[174:175], v[176:177]
	scratch_load_b128 v[158:161], off, off offset:480
	v_fmac_f64_e32 v[178:179], v[152:153], v[122:123]
	v_fma_f64 v[150:151], v[150:151], v[122:123], -v[124:125]
	scratch_load_b128 v[122:125], off, off offset:496
	s_wait_loadcnt_dscnt 0xc01
	v_mul_f64_e32 v[176:177], v[4:5], v[128:129]
	v_mul_f64_e32 v[128:129], v[6:7], v[128:129]
	v_add_f64_e32 v[152:153], v[184:185], v[182:183]
	v_add_f64_e32 v[174:175], v[174:175], v[180:181]
	s_wait_loadcnt_dscnt 0xb00
	v_mul_f64_e32 v[180:181], v[12:13], v[132:133]
	v_mul_f64_e32 v[132:133], v[14:15], v[132:133]
	v_fmac_f64_e32 v[176:177], v[6:7], v[126:127]
	v_fma_f64 v[182:183], v[4:5], v[126:127], -v[128:129]
	ds_load_b128 v[4:7], v2 offset:1184
	ds_load_b128 v[126:129], v2 offset:1200
	v_add_f64_e32 v[184:185], v[152:153], v[150:151]
	v_add_f64_e32 v[174:175], v[174:175], v[178:179]
	scratch_load_b128 v[150:153], off, off offset:512
	s_wait_loadcnt_dscnt 0xb01
	v_mul_f64_e32 v[178:179], v[4:5], v[136:137]
	v_mul_f64_e32 v[136:137], v[6:7], v[136:137]
	v_fmac_f64_e32 v[180:181], v[14:15], v[130:131]
	v_fma_f64 v[130:131], v[12:13], v[130:131], -v[132:133]
	scratch_load_b128 v[12:15], off, off offset:528
	v_add_f64_e32 v[132:133], v[184:185], v[182:183]
	v_add_f64_e32 v[174:175], v[174:175], v[176:177]
	s_wait_loadcnt_dscnt 0xb00
	v_mul_f64_e32 v[176:177], v[126:127], v[140:141]
	v_mul_f64_e32 v[140:141], v[128:129], v[140:141]
	v_fmac_f64_e32 v[178:179], v[6:7], v[134:135]
	v_fma_f64 v[182:183], v[4:5], v[134:135], -v[136:137]
	v_add_f64_e32 v[184:185], v[132:133], v[130:131]
	v_add_f64_e32 v[174:175], v[174:175], v[180:181]
	ds_load_b128 v[4:7], v2 offset:1216
	ds_load_b128 v[130:133], v2 offset:1232
	scratch_load_b128 v[134:137], off, off offset:544
	v_fmac_f64_e32 v[176:177], v[128:129], v[138:139]
	v_fma_f64 v[138:139], v[126:127], v[138:139], -v[140:141]
	scratch_load_b128 v[126:129], off, off offset:560
	s_wait_loadcnt_dscnt 0xc01
	v_mul_f64_e32 v[180:181], v[4:5], v[144:145]
	v_mul_f64_e32 v[144:145], v[6:7], v[144:145]
	v_add_f64_e32 v[140:141], v[184:185], v[182:183]
	v_add_f64_e32 v[174:175], v[174:175], v[178:179]
	s_wait_loadcnt_dscnt 0xb00
	v_mul_f64_e32 v[178:179], v[130:131], v[148:149]
	v_mul_f64_e32 v[148:149], v[132:133], v[148:149]
	v_fmac_f64_e32 v[180:181], v[6:7], v[142:143]
	v_fma_f64 v[182:183], v[4:5], v[142:143], -v[144:145]
	v_add_f64_e32 v[184:185], v[140:141], v[138:139]
	v_add_f64_e32 v[174:175], v[174:175], v[176:177]
	ds_load_b128 v[4:7], v2 offset:1248
	ds_load_b128 v[138:141], v2 offset:1264
	scratch_load_b128 v[142:145], off, off offset:576
	v_fmac_f64_e32 v[178:179], v[132:133], v[146:147]
	v_fma_f64 v[146:147], v[130:131], v[146:147], -v[148:149]
	scratch_load_b128 v[130:133], off, off offset:592
	s_wait_loadcnt_dscnt 0xc01
	v_mul_f64_e32 v[176:177], v[4:5], v[156:157]
	v_mul_f64_e32 v[156:157], v[6:7], v[156:157]
	;; [unrolled: 18-line block ×5, first 2 shown]
	v_add_f64_e32 v[168:169], v[184:185], v[182:183]
	v_add_f64_e32 v[174:175], v[174:175], v[180:181]
	s_wait_loadcnt_dscnt 0xa00
	v_mul_f64_e32 v[180:181], v[146:147], v[14:15]
	v_mul_f64_e32 v[14:15], v[148:149], v[14:15]
	v_fmac_f64_e32 v[176:177], v[6:7], v[150:151]
	v_fma_f64 v[182:183], v[4:5], v[150:151], -v[152:153]
	ds_load_b128 v[4:7], v2 offset:1376
	ds_load_b128 v[150:153], v2 offset:1392
	v_add_f64_e32 v[184:185], v[168:169], v[166:167]
	v_add_f64_e32 v[174:175], v[174:175], v[178:179]
	scratch_load_b128 v[166:169], off, off offset:704
	v_fmac_f64_e32 v[180:181], v[148:149], v[12:13]
	v_fma_f64 v[146:147], v[146:147], v[12:13], -v[14:15]
	scratch_load_b128 v[12:15], off, off offset:720
	s_wait_loadcnt_dscnt 0xb01
	v_mul_f64_e32 v[178:179], v[4:5], v[136:137]
	v_mul_f64_e32 v[136:137], v[6:7], v[136:137]
	v_add_f64_e32 v[148:149], v[184:185], v[182:183]
	v_add_f64_e32 v[174:175], v[174:175], v[176:177]
	s_wait_loadcnt_dscnt 0xa00
	v_mul_f64_e32 v[176:177], v[150:151], v[128:129]
	v_mul_f64_e32 v[128:129], v[152:153], v[128:129]
	v_fmac_f64_e32 v[178:179], v[6:7], v[134:135]
	v_fma_f64 v[182:183], v[4:5], v[134:135], -v[136:137]
	ds_load_b128 v[4:7], v2 offset:1408
	ds_load_b128 v[134:137], v2 offset:1424
	v_add_f64_e32 v[184:185], v[148:149], v[146:147]
	v_add_f64_e32 v[174:175], v[174:175], v[180:181]
	scratch_load_b128 v[146:149], off, off offset:736
	s_wait_loadcnt_dscnt 0xa01
	v_mul_f64_e32 v[180:181], v[4:5], v[144:145]
	v_mul_f64_e32 v[144:145], v[6:7], v[144:145]
	v_fmac_f64_e32 v[176:177], v[152:153], v[126:127]
	v_fma_f64 v[150:151], v[150:151], v[126:127], -v[128:129]
	scratch_load_b128 v[126:129], off, off offset:752
	v_add_f64_e32 v[152:153], v[184:185], v[182:183]
	v_add_f64_e32 v[174:175], v[174:175], v[178:179]
	s_wait_loadcnt_dscnt 0xa00
	v_mul_f64_e32 v[178:179], v[134:135], v[132:133]
	v_mul_f64_e32 v[132:133], v[136:137], v[132:133]
	v_fmac_f64_e32 v[180:181], v[6:7], v[142:143]
	v_fma_f64 v[182:183], v[4:5], v[142:143], -v[144:145]
	ds_load_b128 v[4:7], v2 offset:1440
	ds_load_b128 v[142:145], v2 offset:1456
	v_add_f64_e32 v[184:185], v[152:153], v[150:151]
	v_add_f64_e32 v[174:175], v[174:175], v[176:177]
	scratch_load_b128 v[150:153], off, off offset:768
	s_wait_loadcnt_dscnt 0xa01
	v_mul_f64_e32 v[176:177], v[4:5], v[156:157]
	v_mul_f64_e32 v[156:157], v[6:7], v[156:157]
	v_fmac_f64_e32 v[178:179], v[136:137], v[130:131]
	v_fma_f64 v[134:135], v[134:135], v[130:131], -v[132:133]
	scratch_load_b128 v[130:133], off, off offset:784
	v_add_f64_e32 v[136:137], v[184:185], v[182:183]
	v_add_f64_e32 v[174:175], v[174:175], v[180:181]
	s_wait_loadcnt_dscnt 0xa00
	v_mul_f64_e32 v[180:181], v[142:143], v[140:141]
	v_mul_f64_e32 v[140:141], v[144:145], v[140:141]
	v_fmac_f64_e32 v[176:177], v[6:7], v[154:155]
	v_fma_f64 v[182:183], v[4:5], v[154:155], -v[156:157]
	v_add_f64_e32 v[184:185], v[136:137], v[134:135]
	v_add_f64_e32 v[174:175], v[174:175], v[178:179]
	ds_load_b128 v[4:7], v2 offset:1472
	ds_load_b128 v[134:137], v2 offset:1488
	scratch_load_b128 v[154:157], off, off offset:800
	v_fmac_f64_e32 v[180:181], v[144:145], v[138:139]
	v_fma_f64 v[142:143], v[142:143], v[138:139], -v[140:141]
	scratch_load_b128 v[138:141], off, off offset:816
	s_wait_loadcnt_dscnt 0xb01
	v_mul_f64_e32 v[178:179], v[4:5], v[172:173]
	v_mul_f64_e32 v[172:173], v[6:7], v[172:173]
	v_add_f64_e32 v[144:145], v[184:185], v[182:183]
	v_add_f64_e32 v[174:175], v[174:175], v[176:177]
	s_wait_loadcnt_dscnt 0xa00
	v_mul_f64_e32 v[176:177], v[134:135], v[10:11]
	v_mul_f64_e32 v[10:11], v[136:137], v[10:11]
	v_fmac_f64_e32 v[178:179], v[6:7], v[170:171]
	v_fma_f64 v[170:171], v[4:5], v[170:171], -v[172:173]
	v_add_f64_e32 v[172:173], v[144:145], v[142:143]
	v_add_f64_e32 v[174:175], v[174:175], v[180:181]
	ds_load_b128 v[4:7], v2 offset:1504
	ds_load_b128 v[142:145], v2 offset:1520
	v_fmac_f64_e32 v[176:177], v[136:137], v[8:9]
	v_fma_f64 v[8:9], v[134:135], v[8:9], -v[10:11]
	s_wait_loadcnt_dscnt 0x901
	v_mul_f64_e32 v[180:181], v[4:5], v[160:161]
	v_mul_f64_e32 v[160:161], v[6:7], v[160:161]
	s_wait_loadcnt_dscnt 0x800
	v_mul_f64_e32 v[136:137], v[142:143], v[124:125]
	v_mul_f64_e32 v[124:125], v[144:145], v[124:125]
	v_add_f64_e32 v[10:11], v[172:173], v[170:171]
	v_add_f64_e32 v[134:135], v[174:175], v[178:179]
	v_fmac_f64_e32 v[180:181], v[6:7], v[158:159]
	v_fma_f64 v[158:159], v[4:5], v[158:159], -v[160:161]
	v_fmac_f64_e32 v[136:137], v[144:145], v[122:123]
	v_fma_f64 v[122:123], v[142:143], v[122:123], -v[124:125]
	v_add_f64_e32 v[160:161], v[10:11], v[8:9]
	v_add_f64_e32 v[134:135], v[134:135], v[176:177]
	ds_load_b128 v[4:7], v2 offset:1536
	ds_load_b128 v[8:11], v2 offset:1552
	s_wait_loadcnt_dscnt 0x701
	v_mul_f64_e32 v[170:171], v[4:5], v[168:169]
	v_mul_f64_e32 v[168:169], v[6:7], v[168:169]
	s_wait_loadcnt_dscnt 0x600
	v_mul_f64_e32 v[142:143], v[8:9], v[14:15]
	v_mul_f64_e32 v[14:15], v[10:11], v[14:15]
	v_add_f64_e32 v[124:125], v[160:161], v[158:159]
	v_add_f64_e32 v[134:135], v[134:135], v[180:181]
	v_fmac_f64_e32 v[170:171], v[6:7], v[166:167]
	v_fma_f64 v[144:145], v[4:5], v[166:167], -v[168:169]
	v_fmac_f64_e32 v[142:143], v[10:11], v[12:13]
	v_fma_f64 v[8:9], v[8:9], v[12:13], -v[14:15]
	v_add_f64_e32 v[158:159], v[124:125], v[122:123]
	v_add_f64_e32 v[134:135], v[134:135], v[136:137]
	ds_load_b128 v[4:7], v2 offset:1568
	ds_load_b128 v[122:125], v2 offset:1584
	;; [unrolled: 16-line block ×4, first 2 shown]
	s_wait_loadcnt_dscnt 0x101
	v_mul_f64_e32 v[2:3], v[4:5], v[156:157]
	v_mul_f64_e32 v[134:135], v[6:7], v[156:157]
	s_wait_loadcnt_dscnt 0x0
	v_mul_f64_e32 v[128:129], v[14:15], v[140:141]
	v_add_f64_e32 v[10:11], v[122:123], v[132:133]
	v_add_f64_e32 v[122:123], v[124:125], v[142:143]
	v_mul_f64_e32 v[124:125], v[12:13], v[140:141]
	v_fmac_f64_e32 v[2:3], v[6:7], v[154:155]
	v_fma_f64 v[4:5], v[4:5], v[154:155], -v[134:135]
	v_add_f64_e32 v[6:7], v[10:11], v[8:9]
	v_add_f64_e32 v[8:9], v[122:123], v[126:127]
	v_fmac_f64_e32 v[124:125], v[14:15], v[138:139]
	v_fma_f64 v[10:11], v[12:13], v[138:139], -v[128:129]
	s_delay_alu instid0(VALU_DEP_4) | instskip(NEXT) | instid1(VALU_DEP_4)
	v_add_f64_e32 v[4:5], v[6:7], v[4:5]
	v_add_f64_e32 v[2:3], v[8:9], v[2:3]
	s_delay_alu instid0(VALU_DEP_2) | instskip(NEXT) | instid1(VALU_DEP_2)
	v_add_f64_e32 v[4:5], v[4:5], v[10:11]
	v_add_f64_e32 v[6:7], v[2:3], v[124:125]
	s_delay_alu instid0(VALU_DEP_2) | instskip(NEXT) | instid1(VALU_DEP_2)
	v_add_f64_e64 v[2:3], v[162:163], -v[4:5]
	v_add_f64_e64 v[4:5], v[164:165], -v[6:7]
	scratch_store_b128 off, v[2:5], off offset:240
	s_wait_xcnt 0x0
	v_cmpx_lt_u32_e32 14, v1
	s_cbranch_execz .LBB115_297
; %bb.296:
	scratch_load_b128 v[2:5], off, s54
	v_mov_b32_e32 v6, 0
	s_delay_alu instid0(VALU_DEP_1)
	v_dual_mov_b32 v7, v6 :: v_dual_mov_b32 v8, v6
	v_mov_b32_e32 v9, v6
	scratch_store_b128 off, v[6:9], off offset:224
	s_wait_loadcnt 0x0
	ds_store_b128 v120, v[2:5]
.LBB115_297:
	s_wait_xcnt 0x0
	s_or_b32 exec_lo, exec_lo, s2
	s_wait_storecnt_dscnt 0x0
	s_barrier_signal -1
	s_barrier_wait -1
	s_clause 0x9
	scratch_load_b128 v[4:7], off, off offset:240
	scratch_load_b128 v[8:11], off, off offset:256
	;; [unrolled: 1-line block ×10, first 2 shown]
	v_mov_b32_e32 v2, 0
	s_mov_b32 s2, exec_lo
	ds_load_b128 v[150:153], v2 offset:1072
	s_clause 0x2
	scratch_load_b128 v[154:157], off, off offset:400
	scratch_load_b128 v[158:161], off, off offset:224
	;; [unrolled: 1-line block ×3, first 2 shown]
	s_wait_loadcnt_dscnt 0xc00
	v_mul_f64_e32 v[170:171], v[152:153], v[6:7]
	v_mul_f64_e32 v[174:175], v[150:151], v[6:7]
	ds_load_b128 v[162:165], v2 offset:1088
	v_fma_f64 v[178:179], v[150:151], v[4:5], -v[170:171]
	v_fmac_f64_e32 v[174:175], v[152:153], v[4:5]
	ds_load_b128 v[4:7], v2 offset:1104
	s_wait_loadcnt_dscnt 0xb01
	v_mul_f64_e32 v[176:177], v[162:163], v[10:11]
	v_mul_f64_e32 v[10:11], v[164:165], v[10:11]
	scratch_load_b128 v[150:153], off, off offset:432
	ds_load_b128 v[170:173], v2 offset:1120
	s_wait_loadcnt_dscnt 0xb01
	v_mul_f64_e32 v[180:181], v[4:5], v[14:15]
	v_mul_f64_e32 v[14:15], v[6:7], v[14:15]
	v_add_f64_e32 v[174:175], 0, v[174:175]
	v_fmac_f64_e32 v[176:177], v[164:165], v[8:9]
	v_fma_f64 v[162:163], v[162:163], v[8:9], -v[10:11]
	v_add_f64_e32 v[164:165], 0, v[178:179]
	scratch_load_b128 v[8:11], off, off offset:448
	v_fmac_f64_e32 v[180:181], v[6:7], v[12:13]
	v_fma_f64 v[182:183], v[4:5], v[12:13], -v[14:15]
	ds_load_b128 v[4:7], v2 offset:1136
	s_wait_loadcnt_dscnt 0xb01
	v_mul_f64_e32 v[178:179], v[170:171], v[124:125]
	v_mul_f64_e32 v[124:125], v[172:173], v[124:125]
	scratch_load_b128 v[12:15], off, off offset:464
	v_add_f64_e32 v[174:175], v[174:175], v[176:177]
	v_add_f64_e32 v[184:185], v[164:165], v[162:163]
	ds_load_b128 v[162:165], v2 offset:1152
	s_wait_loadcnt_dscnt 0xb01
	v_mul_f64_e32 v[176:177], v[4:5], v[128:129]
	v_mul_f64_e32 v[128:129], v[6:7], v[128:129]
	v_fmac_f64_e32 v[178:179], v[172:173], v[122:123]
	v_fma_f64 v[170:171], v[170:171], v[122:123], -v[124:125]
	scratch_load_b128 v[122:125], off, off offset:480
	v_add_f64_e32 v[174:175], v[174:175], v[180:181]
	v_add_f64_e32 v[172:173], v[184:185], v[182:183]
	v_fmac_f64_e32 v[176:177], v[6:7], v[126:127]
	v_fma_f64 v[182:183], v[4:5], v[126:127], -v[128:129]
	ds_load_b128 v[4:7], v2 offset:1168
	s_wait_loadcnt_dscnt 0xb01
	v_mul_f64_e32 v[180:181], v[162:163], v[132:133]
	v_mul_f64_e32 v[132:133], v[164:165], v[132:133]
	scratch_load_b128 v[126:129], off, off offset:496
	v_add_f64_e32 v[174:175], v[174:175], v[178:179]
	s_wait_loadcnt_dscnt 0xb00
	v_mul_f64_e32 v[178:179], v[4:5], v[136:137]
	v_add_f64_e32 v[184:185], v[172:173], v[170:171]
	v_mul_f64_e32 v[136:137], v[6:7], v[136:137]
	ds_load_b128 v[170:173], v2 offset:1184
	v_fmac_f64_e32 v[180:181], v[164:165], v[130:131]
	v_fma_f64 v[162:163], v[162:163], v[130:131], -v[132:133]
	scratch_load_b128 v[130:133], off, off offset:512
	v_add_f64_e32 v[174:175], v[174:175], v[176:177]
	v_fmac_f64_e32 v[178:179], v[6:7], v[134:135]
	v_add_f64_e32 v[164:165], v[184:185], v[182:183]
	v_fma_f64 v[182:183], v[4:5], v[134:135], -v[136:137]
	ds_load_b128 v[4:7], v2 offset:1200
	s_wait_loadcnt_dscnt 0xb01
	v_mul_f64_e32 v[176:177], v[170:171], v[140:141]
	v_mul_f64_e32 v[140:141], v[172:173], v[140:141]
	scratch_load_b128 v[134:137], off, off offset:528
	v_add_f64_e32 v[174:175], v[174:175], v[180:181]
	s_wait_loadcnt_dscnt 0xb00
	v_mul_f64_e32 v[180:181], v[4:5], v[144:145]
	v_add_f64_e32 v[184:185], v[164:165], v[162:163]
	v_mul_f64_e32 v[144:145], v[6:7], v[144:145]
	ds_load_b128 v[162:165], v2 offset:1216
	v_fmac_f64_e32 v[176:177], v[172:173], v[138:139]
	v_fma_f64 v[170:171], v[170:171], v[138:139], -v[140:141]
	scratch_load_b128 v[138:141], off, off offset:544
	v_add_f64_e32 v[174:175], v[174:175], v[178:179]
	v_fmac_f64_e32 v[180:181], v[6:7], v[142:143]
	v_add_f64_e32 v[172:173], v[184:185], v[182:183]
	;; [unrolled: 18-line block ×3, first 2 shown]
	v_fma_f64 v[182:183], v[4:5], v[154:155], -v[156:157]
	ds_load_b128 v[4:7], v2 offset:1264
	s_wait_loadcnt_dscnt 0xa01
	v_mul_f64_e32 v[180:181], v[170:171], v[168:169]
	v_mul_f64_e32 v[168:169], v[172:173], v[168:169]
	scratch_load_b128 v[154:157], off, off offset:592
	v_add_f64_e32 v[174:175], v[174:175], v[178:179]
	v_add_f64_e32 v[184:185], v[164:165], v[162:163]
	s_wait_loadcnt_dscnt 0xa00
	v_mul_f64_e32 v[178:179], v[4:5], v[152:153]
	v_mul_f64_e32 v[152:153], v[6:7], v[152:153]
	v_fmac_f64_e32 v[180:181], v[172:173], v[166:167]
	v_fma_f64 v[170:171], v[170:171], v[166:167], -v[168:169]
	ds_load_b128 v[162:165], v2 offset:1280
	scratch_load_b128 v[166:169], off, off offset:608
	v_add_f64_e32 v[174:175], v[174:175], v[176:177]
	v_add_f64_e32 v[172:173], v[184:185], v[182:183]
	v_fmac_f64_e32 v[178:179], v[6:7], v[150:151]
	v_fma_f64 v[182:183], v[4:5], v[150:151], -v[152:153]
	ds_load_b128 v[4:7], v2 offset:1296
	s_wait_loadcnt_dscnt 0xa01
	v_mul_f64_e32 v[176:177], v[162:163], v[10:11]
	v_mul_f64_e32 v[10:11], v[164:165], v[10:11]
	scratch_load_b128 v[150:153], off, off offset:624
	v_add_f64_e32 v[174:175], v[174:175], v[180:181]
	s_wait_loadcnt_dscnt 0xa00
	v_mul_f64_e32 v[180:181], v[4:5], v[14:15]
	v_add_f64_e32 v[184:185], v[172:173], v[170:171]
	v_mul_f64_e32 v[14:15], v[6:7], v[14:15]
	ds_load_b128 v[170:173], v2 offset:1312
	v_fmac_f64_e32 v[176:177], v[164:165], v[8:9]
	v_fma_f64 v[162:163], v[162:163], v[8:9], -v[10:11]
	scratch_load_b128 v[8:11], off, off offset:640
	v_add_f64_e32 v[174:175], v[174:175], v[178:179]
	v_fmac_f64_e32 v[180:181], v[6:7], v[12:13]
	v_add_f64_e32 v[164:165], v[184:185], v[182:183]
	v_fma_f64 v[182:183], v[4:5], v[12:13], -v[14:15]
	ds_load_b128 v[4:7], v2 offset:1328
	s_wait_loadcnt_dscnt 0xa01
	v_mul_f64_e32 v[178:179], v[170:171], v[124:125]
	v_mul_f64_e32 v[124:125], v[172:173], v[124:125]
	scratch_load_b128 v[12:15], off, off offset:656
	v_add_f64_e32 v[174:175], v[174:175], v[176:177]
	s_wait_loadcnt_dscnt 0xa00
	v_mul_f64_e32 v[176:177], v[4:5], v[128:129]
	v_add_f64_e32 v[184:185], v[164:165], v[162:163]
	v_mul_f64_e32 v[128:129], v[6:7], v[128:129]
	ds_load_b128 v[162:165], v2 offset:1344
	v_fmac_f64_e32 v[178:179], v[172:173], v[122:123]
	v_fma_f64 v[170:171], v[170:171], v[122:123], -v[124:125]
	scratch_load_b128 v[122:125], off, off offset:672
	v_add_f64_e32 v[174:175], v[174:175], v[180:181]
	v_fmac_f64_e32 v[176:177], v[6:7], v[126:127]
	v_add_f64_e32 v[172:173], v[184:185], v[182:183]
	;; [unrolled: 18-line block ×6, first 2 shown]
	v_fma_f64 v[182:183], v[4:5], v[150:151], -v[152:153]
	ds_load_b128 v[4:7], v2 offset:1488
	s_wait_loadcnt_dscnt 0xa01
	v_mul_f64_e32 v[176:177], v[162:163], v[10:11]
	v_mul_f64_e32 v[10:11], v[164:165], v[10:11]
	scratch_load_b128 v[150:153], off, off offset:816
	v_add_f64_e32 v[174:175], v[174:175], v[180:181]
	s_wait_loadcnt_dscnt 0xa00
	v_mul_f64_e32 v[180:181], v[4:5], v[14:15]
	v_add_f64_e32 v[184:185], v[172:173], v[170:171]
	v_mul_f64_e32 v[14:15], v[6:7], v[14:15]
	ds_load_b128 v[170:173], v2 offset:1504
	v_fmac_f64_e32 v[176:177], v[164:165], v[8:9]
	v_fma_f64 v[8:9], v[162:163], v[8:9], -v[10:11]
	s_wait_loadcnt_dscnt 0x900
	v_mul_f64_e32 v[164:165], v[170:171], v[124:125]
	v_mul_f64_e32 v[124:125], v[172:173], v[124:125]
	v_add_f64_e32 v[162:163], v[174:175], v[178:179]
	v_fmac_f64_e32 v[180:181], v[6:7], v[12:13]
	v_add_f64_e32 v[10:11], v[184:185], v[182:183]
	v_fma_f64 v[12:13], v[4:5], v[12:13], -v[14:15]
	v_fmac_f64_e32 v[164:165], v[172:173], v[122:123]
	v_fma_f64 v[122:123], v[170:171], v[122:123], -v[124:125]
	v_add_f64_e32 v[162:163], v[162:163], v[176:177]
	v_add_f64_e32 v[14:15], v[10:11], v[8:9]
	ds_load_b128 v[4:7], v2 offset:1520
	ds_load_b128 v[8:11], v2 offset:1536
	s_wait_loadcnt_dscnt 0x801
	v_mul_f64_e32 v[174:175], v[4:5], v[128:129]
	v_mul_f64_e32 v[128:129], v[6:7], v[128:129]
	s_wait_loadcnt_dscnt 0x700
	v_mul_f64_e32 v[124:125], v[8:9], v[132:133]
	v_mul_f64_e32 v[132:133], v[10:11], v[132:133]
	v_add_f64_e32 v[12:13], v[14:15], v[12:13]
	v_add_f64_e32 v[14:15], v[162:163], v[180:181]
	v_fmac_f64_e32 v[174:175], v[6:7], v[126:127]
	v_fma_f64 v[126:127], v[4:5], v[126:127], -v[128:129]
	v_fmac_f64_e32 v[124:125], v[10:11], v[130:131]
	v_fma_f64 v[8:9], v[8:9], v[130:131], -v[132:133]
	v_add_f64_e32 v[122:123], v[12:13], v[122:123]
	v_add_f64_e32 v[128:129], v[14:15], v[164:165]
	ds_load_b128 v[4:7], v2 offset:1552
	ds_load_b128 v[12:15], v2 offset:1568
	s_wait_loadcnt_dscnt 0x601
	v_mul_f64_e32 v[162:163], v[4:5], v[136:137]
	v_mul_f64_e32 v[136:137], v[6:7], v[136:137]
	v_add_f64_e32 v[10:11], v[122:123], v[126:127]
	v_add_f64_e32 v[122:123], v[128:129], v[174:175]
	s_wait_loadcnt_dscnt 0x500
	v_mul_f64_e32 v[126:127], v[12:13], v[140:141]
	v_mul_f64_e32 v[128:129], v[14:15], v[140:141]
	v_fmac_f64_e32 v[162:163], v[6:7], v[134:135]
	v_fma_f64 v[130:131], v[4:5], v[134:135], -v[136:137]
	v_add_f64_e32 v[132:133], v[10:11], v[8:9]
	v_add_f64_e32 v[122:123], v[122:123], v[124:125]
	ds_load_b128 v[4:7], v2 offset:1584
	ds_load_b128 v[8:11], v2 offset:1600
	v_fmac_f64_e32 v[126:127], v[14:15], v[138:139]
	v_fma_f64 v[12:13], v[12:13], v[138:139], -v[128:129]
	s_wait_loadcnt_dscnt 0x401
	v_mul_f64_e32 v[124:125], v[4:5], v[144:145]
	v_mul_f64_e32 v[134:135], v[6:7], v[144:145]
	s_wait_loadcnt_dscnt 0x300
	v_mul_f64_e32 v[128:129], v[8:9], v[148:149]
	v_add_f64_e32 v[14:15], v[132:133], v[130:131]
	v_add_f64_e32 v[122:123], v[122:123], v[162:163]
	v_mul_f64_e32 v[130:131], v[10:11], v[148:149]
	v_fmac_f64_e32 v[124:125], v[6:7], v[142:143]
	v_fma_f64 v[132:133], v[4:5], v[142:143], -v[134:135]
	v_fmac_f64_e32 v[128:129], v[10:11], v[146:147]
	v_add_f64_e32 v[134:135], v[14:15], v[12:13]
	v_add_f64_e32 v[122:123], v[122:123], v[126:127]
	ds_load_b128 v[4:7], v2 offset:1616
	ds_load_b128 v[12:15], v2 offset:1632
	v_fma_f64 v[8:9], v[8:9], v[146:147], -v[130:131]
	s_wait_loadcnt_dscnt 0x201
	v_mul_f64_e32 v[126:127], v[4:5], v[156:157]
	v_mul_f64_e32 v[136:137], v[6:7], v[156:157]
	s_wait_loadcnt_dscnt 0x100
	v_mul_f64_e32 v[130:131], v[14:15], v[168:169]
	v_add_f64_e32 v[10:11], v[134:135], v[132:133]
	v_add_f64_e32 v[122:123], v[122:123], v[124:125]
	v_mul_f64_e32 v[124:125], v[12:13], v[168:169]
	v_fmac_f64_e32 v[126:127], v[6:7], v[154:155]
	v_fma_f64 v[132:133], v[4:5], v[154:155], -v[136:137]
	ds_load_b128 v[4:7], v2 offset:1648
	v_fma_f64 v[12:13], v[12:13], v[166:167], -v[130:131]
	v_add_f64_e32 v[8:9], v[10:11], v[8:9]
	v_add_f64_e32 v[10:11], v[122:123], v[128:129]
	v_fmac_f64_e32 v[124:125], v[14:15], v[166:167]
	s_wait_loadcnt_dscnt 0x0
	v_mul_f64_e32 v[122:123], v[4:5], v[152:153]
	v_mul_f64_e32 v[128:129], v[6:7], v[152:153]
	v_add_f64_e32 v[8:9], v[8:9], v[132:133]
	v_add_f64_e32 v[10:11], v[10:11], v[126:127]
	s_delay_alu instid0(VALU_DEP_4) | instskip(NEXT) | instid1(VALU_DEP_4)
	v_fmac_f64_e32 v[122:123], v[6:7], v[150:151]
	v_fma_f64 v[4:5], v[4:5], v[150:151], -v[128:129]
	s_delay_alu instid0(VALU_DEP_4) | instskip(NEXT) | instid1(VALU_DEP_4)
	v_add_f64_e32 v[6:7], v[8:9], v[12:13]
	v_add_f64_e32 v[8:9], v[10:11], v[124:125]
	s_delay_alu instid0(VALU_DEP_2) | instskip(NEXT) | instid1(VALU_DEP_2)
	v_add_f64_e32 v[4:5], v[6:7], v[4:5]
	v_add_f64_e32 v[6:7], v[8:9], v[122:123]
	s_delay_alu instid0(VALU_DEP_2) | instskip(NEXT) | instid1(VALU_DEP_2)
	v_add_f64_e64 v[4:5], v[158:159], -v[4:5]
	v_add_f64_e64 v[6:7], v[160:161], -v[6:7]
	scratch_store_b128 off, v[4:7], off offset:224
	s_wait_xcnt 0x0
	v_cmpx_lt_u32_e32 13, v1
	s_cbranch_execz .LBB115_299
; %bb.298:
	scratch_load_b128 v[6:9], off, s55
	v_dual_mov_b32 v3, v2 :: v_dual_mov_b32 v4, v2
	v_mov_b32_e32 v5, v2
	scratch_store_b128 off, v[2:5], off offset:208
	s_wait_loadcnt 0x0
	ds_store_b128 v120, v[6:9]
.LBB115_299:
	s_wait_xcnt 0x0
	s_or_b32 exec_lo, exec_lo, s2
	s_wait_storecnt_dscnt 0x0
	s_barrier_signal -1
	s_barrier_wait -1
	s_clause 0x9
	scratch_load_b128 v[4:7], off, off offset:224
	scratch_load_b128 v[8:11], off, off offset:240
	;; [unrolled: 1-line block ×10, first 2 shown]
	ds_load_b128 v[150:153], v2 offset:1056
	ds_load_b128 v[158:161], v2 offset:1072
	s_clause 0x2
	scratch_load_b128 v[154:157], off, off offset:384
	scratch_load_b128 v[162:165], off, off offset:208
	;; [unrolled: 1-line block ×3, first 2 shown]
	s_mov_b32 s2, exec_lo
	s_wait_loadcnt_dscnt 0xc01
	v_mul_f64_e32 v[170:171], v[152:153], v[6:7]
	v_mul_f64_e32 v[174:175], v[150:151], v[6:7]
	s_wait_loadcnt_dscnt 0xb00
	v_mul_f64_e32 v[176:177], v[158:159], v[10:11]
	v_mul_f64_e32 v[10:11], v[160:161], v[10:11]
	s_delay_alu instid0(VALU_DEP_4) | instskip(NEXT) | instid1(VALU_DEP_4)
	v_fma_f64 v[178:179], v[150:151], v[4:5], -v[170:171]
	v_fmac_f64_e32 v[174:175], v[152:153], v[4:5]
	ds_load_b128 v[4:7], v2 offset:1088
	ds_load_b128 v[150:153], v2 offset:1104
	scratch_load_b128 v[170:173], off, off offset:416
	v_fmac_f64_e32 v[176:177], v[160:161], v[8:9]
	v_fma_f64 v[158:159], v[158:159], v[8:9], -v[10:11]
	scratch_load_b128 v[8:11], off, off offset:432
	s_wait_loadcnt_dscnt 0xc01
	v_mul_f64_e32 v[180:181], v[4:5], v[14:15]
	v_mul_f64_e32 v[14:15], v[6:7], v[14:15]
	v_add_f64_e32 v[160:161], 0, v[178:179]
	v_add_f64_e32 v[174:175], 0, v[174:175]
	s_wait_loadcnt_dscnt 0xb00
	v_mul_f64_e32 v[178:179], v[150:151], v[124:125]
	v_mul_f64_e32 v[124:125], v[152:153], v[124:125]
	v_fmac_f64_e32 v[180:181], v[6:7], v[12:13]
	v_fma_f64 v[182:183], v[4:5], v[12:13], -v[14:15]
	ds_load_b128 v[4:7], v2 offset:1120
	ds_load_b128 v[12:15], v2 offset:1136
	v_add_f64_e32 v[184:185], v[160:161], v[158:159]
	v_add_f64_e32 v[174:175], v[174:175], v[176:177]
	scratch_load_b128 v[158:161], off, off offset:448
	v_fmac_f64_e32 v[178:179], v[152:153], v[122:123]
	v_fma_f64 v[150:151], v[150:151], v[122:123], -v[124:125]
	scratch_load_b128 v[122:125], off, off offset:464
	s_wait_loadcnt_dscnt 0xc01
	v_mul_f64_e32 v[176:177], v[4:5], v[128:129]
	v_mul_f64_e32 v[128:129], v[6:7], v[128:129]
	v_add_f64_e32 v[152:153], v[184:185], v[182:183]
	v_add_f64_e32 v[174:175], v[174:175], v[180:181]
	s_wait_loadcnt_dscnt 0xb00
	v_mul_f64_e32 v[180:181], v[12:13], v[132:133]
	v_mul_f64_e32 v[132:133], v[14:15], v[132:133]
	v_fmac_f64_e32 v[176:177], v[6:7], v[126:127]
	v_fma_f64 v[182:183], v[4:5], v[126:127], -v[128:129]
	ds_load_b128 v[4:7], v2 offset:1152
	ds_load_b128 v[126:129], v2 offset:1168
	v_add_f64_e32 v[184:185], v[152:153], v[150:151]
	v_add_f64_e32 v[174:175], v[174:175], v[178:179]
	scratch_load_b128 v[150:153], off, off offset:480
	s_wait_loadcnt_dscnt 0xb01
	v_mul_f64_e32 v[178:179], v[4:5], v[136:137]
	v_mul_f64_e32 v[136:137], v[6:7], v[136:137]
	v_fmac_f64_e32 v[180:181], v[14:15], v[130:131]
	v_fma_f64 v[130:131], v[12:13], v[130:131], -v[132:133]
	scratch_load_b128 v[12:15], off, off offset:496
	v_add_f64_e32 v[132:133], v[184:185], v[182:183]
	v_add_f64_e32 v[174:175], v[174:175], v[176:177]
	s_wait_loadcnt_dscnt 0xb00
	v_mul_f64_e32 v[176:177], v[126:127], v[140:141]
	v_mul_f64_e32 v[140:141], v[128:129], v[140:141]
	v_fmac_f64_e32 v[178:179], v[6:7], v[134:135]
	v_fma_f64 v[182:183], v[4:5], v[134:135], -v[136:137]
	v_add_f64_e32 v[184:185], v[132:133], v[130:131]
	v_add_f64_e32 v[174:175], v[174:175], v[180:181]
	ds_load_b128 v[4:7], v2 offset:1184
	ds_load_b128 v[130:133], v2 offset:1200
	scratch_load_b128 v[134:137], off, off offset:512
	v_fmac_f64_e32 v[176:177], v[128:129], v[138:139]
	v_fma_f64 v[138:139], v[126:127], v[138:139], -v[140:141]
	scratch_load_b128 v[126:129], off, off offset:528
	s_wait_loadcnt_dscnt 0xc01
	v_mul_f64_e32 v[180:181], v[4:5], v[144:145]
	v_mul_f64_e32 v[144:145], v[6:7], v[144:145]
	v_add_f64_e32 v[140:141], v[184:185], v[182:183]
	v_add_f64_e32 v[174:175], v[174:175], v[178:179]
	s_wait_loadcnt_dscnt 0xb00
	v_mul_f64_e32 v[178:179], v[130:131], v[148:149]
	v_mul_f64_e32 v[148:149], v[132:133], v[148:149]
	v_fmac_f64_e32 v[180:181], v[6:7], v[142:143]
	v_fma_f64 v[182:183], v[4:5], v[142:143], -v[144:145]
	v_add_f64_e32 v[184:185], v[140:141], v[138:139]
	v_add_f64_e32 v[174:175], v[174:175], v[176:177]
	ds_load_b128 v[4:7], v2 offset:1216
	ds_load_b128 v[138:141], v2 offset:1232
	scratch_load_b128 v[142:145], off, off offset:544
	v_fmac_f64_e32 v[178:179], v[132:133], v[146:147]
	v_fma_f64 v[146:147], v[130:131], v[146:147], -v[148:149]
	scratch_load_b128 v[130:133], off, off offset:560
	s_wait_loadcnt_dscnt 0xc01
	v_mul_f64_e32 v[176:177], v[4:5], v[156:157]
	v_mul_f64_e32 v[156:157], v[6:7], v[156:157]
	;; [unrolled: 18-line block ×5, first 2 shown]
	v_add_f64_e32 v[168:169], v[184:185], v[182:183]
	v_add_f64_e32 v[174:175], v[174:175], v[180:181]
	s_wait_loadcnt_dscnt 0xa00
	v_mul_f64_e32 v[180:181], v[146:147], v[14:15]
	v_mul_f64_e32 v[14:15], v[148:149], v[14:15]
	v_fmac_f64_e32 v[176:177], v[6:7], v[150:151]
	v_fma_f64 v[182:183], v[4:5], v[150:151], -v[152:153]
	ds_load_b128 v[4:7], v2 offset:1344
	ds_load_b128 v[150:153], v2 offset:1360
	v_add_f64_e32 v[184:185], v[168:169], v[166:167]
	v_add_f64_e32 v[174:175], v[174:175], v[178:179]
	scratch_load_b128 v[166:169], off, off offset:672
	v_fmac_f64_e32 v[180:181], v[148:149], v[12:13]
	v_fma_f64 v[146:147], v[146:147], v[12:13], -v[14:15]
	scratch_load_b128 v[12:15], off, off offset:688
	s_wait_loadcnt_dscnt 0xb01
	v_mul_f64_e32 v[178:179], v[4:5], v[136:137]
	v_mul_f64_e32 v[136:137], v[6:7], v[136:137]
	v_add_f64_e32 v[148:149], v[184:185], v[182:183]
	v_add_f64_e32 v[174:175], v[174:175], v[176:177]
	s_wait_loadcnt_dscnt 0xa00
	v_mul_f64_e32 v[176:177], v[150:151], v[128:129]
	v_mul_f64_e32 v[128:129], v[152:153], v[128:129]
	v_fmac_f64_e32 v[178:179], v[6:7], v[134:135]
	v_fma_f64 v[182:183], v[4:5], v[134:135], -v[136:137]
	ds_load_b128 v[4:7], v2 offset:1376
	ds_load_b128 v[134:137], v2 offset:1392
	v_add_f64_e32 v[184:185], v[148:149], v[146:147]
	v_add_f64_e32 v[174:175], v[174:175], v[180:181]
	scratch_load_b128 v[146:149], off, off offset:704
	s_wait_loadcnt_dscnt 0xa01
	v_mul_f64_e32 v[180:181], v[4:5], v[144:145]
	v_mul_f64_e32 v[144:145], v[6:7], v[144:145]
	v_fmac_f64_e32 v[176:177], v[152:153], v[126:127]
	v_fma_f64 v[150:151], v[150:151], v[126:127], -v[128:129]
	scratch_load_b128 v[126:129], off, off offset:720
	v_add_f64_e32 v[152:153], v[184:185], v[182:183]
	v_add_f64_e32 v[174:175], v[174:175], v[178:179]
	s_wait_loadcnt_dscnt 0xa00
	v_mul_f64_e32 v[178:179], v[134:135], v[132:133]
	v_mul_f64_e32 v[132:133], v[136:137], v[132:133]
	v_fmac_f64_e32 v[180:181], v[6:7], v[142:143]
	v_fma_f64 v[182:183], v[4:5], v[142:143], -v[144:145]
	ds_load_b128 v[4:7], v2 offset:1408
	ds_load_b128 v[142:145], v2 offset:1424
	v_add_f64_e32 v[184:185], v[152:153], v[150:151]
	v_add_f64_e32 v[174:175], v[174:175], v[176:177]
	scratch_load_b128 v[150:153], off, off offset:736
	s_wait_loadcnt_dscnt 0xa01
	v_mul_f64_e32 v[176:177], v[4:5], v[156:157]
	v_mul_f64_e32 v[156:157], v[6:7], v[156:157]
	v_fmac_f64_e32 v[178:179], v[136:137], v[130:131]
	v_fma_f64 v[134:135], v[134:135], v[130:131], -v[132:133]
	scratch_load_b128 v[130:133], off, off offset:752
	v_add_f64_e32 v[136:137], v[184:185], v[182:183]
	v_add_f64_e32 v[174:175], v[174:175], v[180:181]
	s_wait_loadcnt_dscnt 0xa00
	v_mul_f64_e32 v[180:181], v[142:143], v[140:141]
	v_mul_f64_e32 v[140:141], v[144:145], v[140:141]
	v_fmac_f64_e32 v[176:177], v[6:7], v[154:155]
	v_fma_f64 v[182:183], v[4:5], v[154:155], -v[156:157]
	v_add_f64_e32 v[184:185], v[136:137], v[134:135]
	v_add_f64_e32 v[174:175], v[174:175], v[178:179]
	ds_load_b128 v[4:7], v2 offset:1440
	ds_load_b128 v[134:137], v2 offset:1456
	scratch_load_b128 v[154:157], off, off offset:768
	v_fmac_f64_e32 v[180:181], v[144:145], v[138:139]
	v_fma_f64 v[142:143], v[142:143], v[138:139], -v[140:141]
	scratch_load_b128 v[138:141], off, off offset:784
	s_wait_loadcnt_dscnt 0xb01
	v_mul_f64_e32 v[178:179], v[4:5], v[172:173]
	v_mul_f64_e32 v[172:173], v[6:7], v[172:173]
	v_add_f64_e32 v[144:145], v[184:185], v[182:183]
	v_add_f64_e32 v[174:175], v[174:175], v[176:177]
	s_wait_loadcnt_dscnt 0xa00
	v_mul_f64_e32 v[176:177], v[134:135], v[10:11]
	v_mul_f64_e32 v[10:11], v[136:137], v[10:11]
	v_fmac_f64_e32 v[178:179], v[6:7], v[170:171]
	v_fma_f64 v[182:183], v[4:5], v[170:171], -v[172:173]
	v_add_f64_e32 v[184:185], v[144:145], v[142:143]
	v_add_f64_e32 v[174:175], v[174:175], v[180:181]
	ds_load_b128 v[4:7], v2 offset:1472
	ds_load_b128 v[142:145], v2 offset:1488
	scratch_load_b128 v[170:173], off, off offset:800
	v_fmac_f64_e32 v[176:177], v[136:137], v[8:9]
	v_fma_f64 v[134:135], v[134:135], v[8:9], -v[10:11]
	scratch_load_b128 v[8:11], off, off offset:816
	s_wait_loadcnt_dscnt 0xb01
	v_mul_f64_e32 v[180:181], v[4:5], v[160:161]
	v_mul_f64_e32 v[160:161], v[6:7], v[160:161]
	v_add_f64_e32 v[136:137], v[184:185], v[182:183]
	v_add_f64_e32 v[174:175], v[174:175], v[178:179]
	s_wait_loadcnt_dscnt 0xa00
	v_mul_f64_e32 v[178:179], v[142:143], v[124:125]
	v_mul_f64_e32 v[124:125], v[144:145], v[124:125]
	v_fmac_f64_e32 v[180:181], v[6:7], v[158:159]
	v_fma_f64 v[158:159], v[4:5], v[158:159], -v[160:161]
	v_add_f64_e32 v[160:161], v[136:137], v[134:135]
	v_add_f64_e32 v[174:175], v[174:175], v[176:177]
	ds_load_b128 v[4:7], v2 offset:1504
	ds_load_b128 v[134:137], v2 offset:1520
	v_fmac_f64_e32 v[178:179], v[144:145], v[122:123]
	v_fma_f64 v[122:123], v[142:143], v[122:123], -v[124:125]
	s_wait_loadcnt_dscnt 0x901
	v_mul_f64_e32 v[176:177], v[4:5], v[168:169]
	v_mul_f64_e32 v[168:169], v[6:7], v[168:169]
	s_wait_loadcnt_dscnt 0x800
	v_mul_f64_e32 v[144:145], v[134:135], v[14:15]
	v_mul_f64_e32 v[14:15], v[136:137], v[14:15]
	v_add_f64_e32 v[124:125], v[160:161], v[158:159]
	v_add_f64_e32 v[142:143], v[174:175], v[180:181]
	v_fmac_f64_e32 v[176:177], v[6:7], v[166:167]
	v_fma_f64 v[158:159], v[4:5], v[166:167], -v[168:169]
	v_fmac_f64_e32 v[144:145], v[136:137], v[12:13]
	v_fma_f64 v[12:13], v[134:135], v[12:13], -v[14:15]
	v_add_f64_e32 v[160:161], v[124:125], v[122:123]
	v_add_f64_e32 v[142:143], v[142:143], v[178:179]
	ds_load_b128 v[4:7], v2 offset:1536
	ds_load_b128 v[122:125], v2 offset:1552
	s_wait_loadcnt_dscnt 0x701
	v_mul_f64_e32 v[166:167], v[4:5], v[148:149]
	v_mul_f64_e32 v[148:149], v[6:7], v[148:149]
	s_wait_loadcnt_dscnt 0x600
	v_mul_f64_e32 v[136:137], v[122:123], v[128:129]
	v_mul_f64_e32 v[128:129], v[124:125], v[128:129]
	v_add_f64_e32 v[14:15], v[160:161], v[158:159]
	v_add_f64_e32 v[134:135], v[142:143], v[176:177]
	v_fmac_f64_e32 v[166:167], v[6:7], v[146:147]
	v_fma_f64 v[142:143], v[4:5], v[146:147], -v[148:149]
	v_fmac_f64_e32 v[136:137], v[124:125], v[126:127]
	v_fma_f64 v[122:123], v[122:123], v[126:127], -v[128:129]
	v_add_f64_e32 v[146:147], v[14:15], v[12:13]
	v_add_f64_e32 v[134:135], v[134:135], v[144:145]
	ds_load_b128 v[4:7], v2 offset:1568
	ds_load_b128 v[12:15], v2 offset:1584
	;; [unrolled: 16-line block ×4, first 2 shown]
	s_wait_loadcnt_dscnt 0x101
	v_mul_f64_e32 v[2:3], v[4:5], v[172:173]
	v_mul_f64_e32 v[128:129], v[6:7], v[172:173]
	s_wait_loadcnt_dscnt 0x0
	v_mul_f64_e32 v[132:133], v[12:13], v[10:11]
	v_mul_f64_e32 v[10:11], v[14:15], v[10:11]
	v_add_f64_e32 v[124:125], v[140:141], v[134:135]
	v_add_f64_e32 v[126:127], v[126:127], v[136:137]
	v_fmac_f64_e32 v[2:3], v[6:7], v[170:171]
	v_fma_f64 v[4:5], v[4:5], v[170:171], -v[128:129]
	v_fmac_f64_e32 v[132:133], v[14:15], v[8:9]
	v_fma_f64 v[8:9], v[12:13], v[8:9], -v[10:11]
	v_add_f64_e32 v[6:7], v[124:125], v[122:123]
	v_add_f64_e32 v[122:123], v[126:127], v[130:131]
	s_delay_alu instid0(VALU_DEP_2) | instskip(NEXT) | instid1(VALU_DEP_2)
	v_add_f64_e32 v[4:5], v[6:7], v[4:5]
	v_add_f64_e32 v[2:3], v[122:123], v[2:3]
	s_delay_alu instid0(VALU_DEP_2) | instskip(NEXT) | instid1(VALU_DEP_2)
	;; [unrolled: 3-line block ×3, first 2 shown]
	v_add_f64_e64 v[2:3], v[162:163], -v[4:5]
	v_add_f64_e64 v[4:5], v[164:165], -v[6:7]
	scratch_store_b128 off, v[2:5], off offset:208
	s_wait_xcnt 0x0
	v_cmpx_lt_u32_e32 12, v1
	s_cbranch_execz .LBB115_301
; %bb.300:
	scratch_load_b128 v[2:5], off, s56
	v_mov_b32_e32 v6, 0
	s_delay_alu instid0(VALU_DEP_1)
	v_dual_mov_b32 v7, v6 :: v_dual_mov_b32 v8, v6
	v_mov_b32_e32 v9, v6
	scratch_store_b128 off, v[6:9], off offset:192
	s_wait_loadcnt 0x0
	ds_store_b128 v120, v[2:5]
.LBB115_301:
	s_wait_xcnt 0x0
	s_or_b32 exec_lo, exec_lo, s2
	s_wait_storecnt_dscnt 0x0
	s_barrier_signal -1
	s_barrier_wait -1
	s_clause 0x9
	scratch_load_b128 v[4:7], off, off offset:208
	scratch_load_b128 v[8:11], off, off offset:224
	;; [unrolled: 1-line block ×10, first 2 shown]
	v_mov_b32_e32 v2, 0
	s_mov_b32 s2, exec_lo
	ds_load_b128 v[150:153], v2 offset:1040
	s_clause 0x2
	scratch_load_b128 v[154:157], off, off offset:368
	scratch_load_b128 v[158:161], off, off offset:192
	;; [unrolled: 1-line block ×3, first 2 shown]
	s_wait_loadcnt_dscnt 0xc00
	v_mul_f64_e32 v[170:171], v[152:153], v[6:7]
	v_mul_f64_e32 v[174:175], v[150:151], v[6:7]
	ds_load_b128 v[162:165], v2 offset:1056
	v_fma_f64 v[178:179], v[150:151], v[4:5], -v[170:171]
	v_fmac_f64_e32 v[174:175], v[152:153], v[4:5]
	ds_load_b128 v[4:7], v2 offset:1072
	s_wait_loadcnt_dscnt 0xb01
	v_mul_f64_e32 v[176:177], v[162:163], v[10:11]
	v_mul_f64_e32 v[10:11], v[164:165], v[10:11]
	scratch_load_b128 v[150:153], off, off offset:400
	ds_load_b128 v[170:173], v2 offset:1088
	s_wait_loadcnt_dscnt 0xb01
	v_mul_f64_e32 v[180:181], v[4:5], v[14:15]
	v_mul_f64_e32 v[14:15], v[6:7], v[14:15]
	v_add_f64_e32 v[174:175], 0, v[174:175]
	v_fmac_f64_e32 v[176:177], v[164:165], v[8:9]
	v_fma_f64 v[162:163], v[162:163], v[8:9], -v[10:11]
	v_add_f64_e32 v[164:165], 0, v[178:179]
	scratch_load_b128 v[8:11], off, off offset:416
	v_fmac_f64_e32 v[180:181], v[6:7], v[12:13]
	v_fma_f64 v[182:183], v[4:5], v[12:13], -v[14:15]
	ds_load_b128 v[4:7], v2 offset:1104
	s_wait_loadcnt_dscnt 0xb01
	v_mul_f64_e32 v[178:179], v[170:171], v[124:125]
	v_mul_f64_e32 v[124:125], v[172:173], v[124:125]
	scratch_load_b128 v[12:15], off, off offset:432
	v_add_f64_e32 v[174:175], v[174:175], v[176:177]
	v_add_f64_e32 v[184:185], v[164:165], v[162:163]
	ds_load_b128 v[162:165], v2 offset:1120
	s_wait_loadcnt_dscnt 0xb01
	v_mul_f64_e32 v[176:177], v[4:5], v[128:129]
	v_mul_f64_e32 v[128:129], v[6:7], v[128:129]
	v_fmac_f64_e32 v[178:179], v[172:173], v[122:123]
	v_fma_f64 v[170:171], v[170:171], v[122:123], -v[124:125]
	scratch_load_b128 v[122:125], off, off offset:448
	v_add_f64_e32 v[174:175], v[174:175], v[180:181]
	v_add_f64_e32 v[172:173], v[184:185], v[182:183]
	v_fmac_f64_e32 v[176:177], v[6:7], v[126:127]
	v_fma_f64 v[182:183], v[4:5], v[126:127], -v[128:129]
	ds_load_b128 v[4:7], v2 offset:1136
	s_wait_loadcnt_dscnt 0xb01
	v_mul_f64_e32 v[180:181], v[162:163], v[132:133]
	v_mul_f64_e32 v[132:133], v[164:165], v[132:133]
	scratch_load_b128 v[126:129], off, off offset:464
	v_add_f64_e32 v[174:175], v[174:175], v[178:179]
	s_wait_loadcnt_dscnt 0xb00
	v_mul_f64_e32 v[178:179], v[4:5], v[136:137]
	v_add_f64_e32 v[184:185], v[172:173], v[170:171]
	v_mul_f64_e32 v[136:137], v[6:7], v[136:137]
	ds_load_b128 v[170:173], v2 offset:1152
	v_fmac_f64_e32 v[180:181], v[164:165], v[130:131]
	v_fma_f64 v[162:163], v[162:163], v[130:131], -v[132:133]
	scratch_load_b128 v[130:133], off, off offset:480
	v_add_f64_e32 v[174:175], v[174:175], v[176:177]
	v_fmac_f64_e32 v[178:179], v[6:7], v[134:135]
	v_add_f64_e32 v[164:165], v[184:185], v[182:183]
	v_fma_f64 v[182:183], v[4:5], v[134:135], -v[136:137]
	ds_load_b128 v[4:7], v2 offset:1168
	s_wait_loadcnt_dscnt 0xb01
	v_mul_f64_e32 v[176:177], v[170:171], v[140:141]
	v_mul_f64_e32 v[140:141], v[172:173], v[140:141]
	scratch_load_b128 v[134:137], off, off offset:496
	v_add_f64_e32 v[174:175], v[174:175], v[180:181]
	s_wait_loadcnt_dscnt 0xb00
	v_mul_f64_e32 v[180:181], v[4:5], v[144:145]
	v_add_f64_e32 v[184:185], v[164:165], v[162:163]
	v_mul_f64_e32 v[144:145], v[6:7], v[144:145]
	ds_load_b128 v[162:165], v2 offset:1184
	v_fmac_f64_e32 v[176:177], v[172:173], v[138:139]
	v_fma_f64 v[170:171], v[170:171], v[138:139], -v[140:141]
	scratch_load_b128 v[138:141], off, off offset:512
	v_add_f64_e32 v[174:175], v[174:175], v[178:179]
	v_fmac_f64_e32 v[180:181], v[6:7], v[142:143]
	v_add_f64_e32 v[172:173], v[184:185], v[182:183]
	;; [unrolled: 18-line block ×3, first 2 shown]
	v_fma_f64 v[182:183], v[4:5], v[154:155], -v[156:157]
	ds_load_b128 v[4:7], v2 offset:1232
	s_wait_loadcnt_dscnt 0xa01
	v_mul_f64_e32 v[180:181], v[170:171], v[168:169]
	v_mul_f64_e32 v[168:169], v[172:173], v[168:169]
	scratch_load_b128 v[154:157], off, off offset:560
	v_add_f64_e32 v[174:175], v[174:175], v[178:179]
	v_add_f64_e32 v[184:185], v[164:165], v[162:163]
	s_wait_loadcnt_dscnt 0xa00
	v_mul_f64_e32 v[178:179], v[4:5], v[152:153]
	v_mul_f64_e32 v[152:153], v[6:7], v[152:153]
	v_fmac_f64_e32 v[180:181], v[172:173], v[166:167]
	v_fma_f64 v[170:171], v[170:171], v[166:167], -v[168:169]
	ds_load_b128 v[162:165], v2 offset:1248
	scratch_load_b128 v[166:169], off, off offset:576
	v_add_f64_e32 v[174:175], v[174:175], v[176:177]
	v_add_f64_e32 v[172:173], v[184:185], v[182:183]
	v_fmac_f64_e32 v[178:179], v[6:7], v[150:151]
	v_fma_f64 v[182:183], v[4:5], v[150:151], -v[152:153]
	ds_load_b128 v[4:7], v2 offset:1264
	s_wait_loadcnt_dscnt 0xa01
	v_mul_f64_e32 v[176:177], v[162:163], v[10:11]
	v_mul_f64_e32 v[10:11], v[164:165], v[10:11]
	scratch_load_b128 v[150:153], off, off offset:592
	v_add_f64_e32 v[174:175], v[174:175], v[180:181]
	s_wait_loadcnt_dscnt 0xa00
	v_mul_f64_e32 v[180:181], v[4:5], v[14:15]
	v_add_f64_e32 v[184:185], v[172:173], v[170:171]
	v_mul_f64_e32 v[14:15], v[6:7], v[14:15]
	ds_load_b128 v[170:173], v2 offset:1280
	v_fmac_f64_e32 v[176:177], v[164:165], v[8:9]
	v_fma_f64 v[162:163], v[162:163], v[8:9], -v[10:11]
	scratch_load_b128 v[8:11], off, off offset:608
	v_add_f64_e32 v[174:175], v[174:175], v[178:179]
	v_fmac_f64_e32 v[180:181], v[6:7], v[12:13]
	v_add_f64_e32 v[164:165], v[184:185], v[182:183]
	v_fma_f64 v[182:183], v[4:5], v[12:13], -v[14:15]
	ds_load_b128 v[4:7], v2 offset:1296
	s_wait_loadcnt_dscnt 0xa01
	v_mul_f64_e32 v[178:179], v[170:171], v[124:125]
	v_mul_f64_e32 v[124:125], v[172:173], v[124:125]
	scratch_load_b128 v[12:15], off, off offset:624
	v_add_f64_e32 v[174:175], v[174:175], v[176:177]
	s_wait_loadcnt_dscnt 0xa00
	v_mul_f64_e32 v[176:177], v[4:5], v[128:129]
	v_add_f64_e32 v[184:185], v[164:165], v[162:163]
	v_mul_f64_e32 v[128:129], v[6:7], v[128:129]
	ds_load_b128 v[162:165], v2 offset:1312
	v_fmac_f64_e32 v[178:179], v[172:173], v[122:123]
	v_fma_f64 v[170:171], v[170:171], v[122:123], -v[124:125]
	scratch_load_b128 v[122:125], off, off offset:640
	v_add_f64_e32 v[174:175], v[174:175], v[180:181]
	v_fmac_f64_e32 v[176:177], v[6:7], v[126:127]
	v_add_f64_e32 v[172:173], v[184:185], v[182:183]
	;; [unrolled: 18-line block ×7, first 2 shown]
	v_fma_f64 v[182:183], v[4:5], v[12:13], -v[14:15]
	ds_load_b128 v[4:7], v2 offset:1488
	s_wait_loadcnt_dscnt 0xa01
	v_mul_f64_e32 v[178:179], v[170:171], v[124:125]
	v_mul_f64_e32 v[124:125], v[172:173], v[124:125]
	scratch_load_b128 v[12:15], off, off offset:816
	v_add_f64_e32 v[174:175], v[174:175], v[176:177]
	s_wait_loadcnt_dscnt 0xa00
	v_mul_f64_e32 v[176:177], v[4:5], v[128:129]
	v_add_f64_e32 v[184:185], v[164:165], v[162:163]
	v_mul_f64_e32 v[128:129], v[6:7], v[128:129]
	ds_load_b128 v[162:165], v2 offset:1504
	v_fmac_f64_e32 v[178:179], v[172:173], v[122:123]
	v_fma_f64 v[122:123], v[170:171], v[122:123], -v[124:125]
	s_wait_loadcnt_dscnt 0x900
	v_mul_f64_e32 v[172:173], v[162:163], v[132:133]
	v_mul_f64_e32 v[132:133], v[164:165], v[132:133]
	v_add_f64_e32 v[170:171], v[174:175], v[180:181]
	v_fmac_f64_e32 v[176:177], v[6:7], v[126:127]
	v_add_f64_e32 v[124:125], v[184:185], v[182:183]
	v_fma_f64 v[126:127], v[4:5], v[126:127], -v[128:129]
	v_fmac_f64_e32 v[172:173], v[164:165], v[130:131]
	v_fma_f64 v[130:131], v[162:163], v[130:131], -v[132:133]
	v_add_f64_e32 v[170:171], v[170:171], v[178:179]
	v_add_f64_e32 v[128:129], v[124:125], v[122:123]
	ds_load_b128 v[4:7], v2 offset:1520
	ds_load_b128 v[122:125], v2 offset:1536
	s_wait_loadcnt_dscnt 0x801
	v_mul_f64_e32 v[174:175], v[4:5], v[136:137]
	v_mul_f64_e32 v[136:137], v[6:7], v[136:137]
	s_wait_loadcnt_dscnt 0x700
	v_mul_f64_e32 v[132:133], v[122:123], v[140:141]
	v_mul_f64_e32 v[140:141], v[124:125], v[140:141]
	v_add_f64_e32 v[126:127], v[128:129], v[126:127]
	v_add_f64_e32 v[128:129], v[170:171], v[176:177]
	v_fmac_f64_e32 v[174:175], v[6:7], v[134:135]
	v_fma_f64 v[134:135], v[4:5], v[134:135], -v[136:137]
	v_fmac_f64_e32 v[132:133], v[124:125], v[138:139]
	v_fma_f64 v[122:123], v[122:123], v[138:139], -v[140:141]
	v_add_f64_e32 v[130:131], v[126:127], v[130:131]
	v_add_f64_e32 v[136:137], v[128:129], v[172:173]
	ds_load_b128 v[4:7], v2 offset:1552
	ds_load_b128 v[126:129], v2 offset:1568
	s_wait_loadcnt_dscnt 0x601
	v_mul_f64_e32 v[162:163], v[4:5], v[144:145]
	v_mul_f64_e32 v[144:145], v[6:7], v[144:145]
	v_add_f64_e32 v[124:125], v[130:131], v[134:135]
	v_add_f64_e32 v[130:131], v[136:137], v[174:175]
	s_wait_loadcnt_dscnt 0x500
	v_mul_f64_e32 v[134:135], v[126:127], v[148:149]
	v_mul_f64_e32 v[136:137], v[128:129], v[148:149]
	v_fmac_f64_e32 v[162:163], v[6:7], v[142:143]
	v_fma_f64 v[138:139], v[4:5], v[142:143], -v[144:145]
	v_add_f64_e32 v[140:141], v[124:125], v[122:123]
	v_add_f64_e32 v[130:131], v[130:131], v[132:133]
	ds_load_b128 v[4:7], v2 offset:1584
	ds_load_b128 v[122:125], v2 offset:1600
	v_fmac_f64_e32 v[134:135], v[128:129], v[146:147]
	v_fma_f64 v[126:127], v[126:127], v[146:147], -v[136:137]
	s_wait_loadcnt_dscnt 0x401
	v_mul_f64_e32 v[132:133], v[4:5], v[156:157]
	v_mul_f64_e32 v[142:143], v[6:7], v[156:157]
	s_wait_loadcnt_dscnt 0x300
	v_mul_f64_e32 v[136:137], v[122:123], v[168:169]
	v_add_f64_e32 v[128:129], v[140:141], v[138:139]
	v_add_f64_e32 v[130:131], v[130:131], v[162:163]
	v_mul_f64_e32 v[138:139], v[124:125], v[168:169]
	v_fmac_f64_e32 v[132:133], v[6:7], v[154:155]
	v_fma_f64 v[140:141], v[4:5], v[154:155], -v[142:143]
	v_fmac_f64_e32 v[136:137], v[124:125], v[166:167]
	v_add_f64_e32 v[142:143], v[128:129], v[126:127]
	v_add_f64_e32 v[130:131], v[130:131], v[134:135]
	ds_load_b128 v[4:7], v2 offset:1616
	ds_load_b128 v[126:129], v2 offset:1632
	v_fma_f64 v[122:123], v[122:123], v[166:167], -v[138:139]
	s_wait_loadcnt_dscnt 0x201
	v_mul_f64_e32 v[134:135], v[4:5], v[152:153]
	v_mul_f64_e32 v[144:145], v[6:7], v[152:153]
	v_add_f64_e32 v[124:125], v[142:143], v[140:141]
	v_add_f64_e32 v[130:131], v[130:131], v[132:133]
	s_wait_loadcnt_dscnt 0x100
	v_mul_f64_e32 v[132:133], v[126:127], v[10:11]
	v_mul_f64_e32 v[10:11], v[128:129], v[10:11]
	v_fmac_f64_e32 v[134:135], v[6:7], v[150:151]
	v_fma_f64 v[138:139], v[4:5], v[150:151], -v[144:145]
	ds_load_b128 v[4:7], v2 offset:1648
	v_add_f64_e32 v[122:123], v[124:125], v[122:123]
	v_add_f64_e32 v[124:125], v[130:131], v[136:137]
	v_fmac_f64_e32 v[132:133], v[128:129], v[8:9]
	v_fma_f64 v[8:9], v[126:127], v[8:9], -v[10:11]
	s_wait_loadcnt_dscnt 0x0
	v_mul_f64_e32 v[130:131], v[4:5], v[14:15]
	v_mul_f64_e32 v[14:15], v[6:7], v[14:15]
	v_add_f64_e32 v[10:11], v[122:123], v[138:139]
	v_add_f64_e32 v[122:123], v[124:125], v[134:135]
	s_delay_alu instid0(VALU_DEP_4) | instskip(NEXT) | instid1(VALU_DEP_4)
	v_fmac_f64_e32 v[130:131], v[6:7], v[12:13]
	v_fma_f64 v[4:5], v[4:5], v[12:13], -v[14:15]
	s_delay_alu instid0(VALU_DEP_4) | instskip(NEXT) | instid1(VALU_DEP_4)
	v_add_f64_e32 v[6:7], v[10:11], v[8:9]
	v_add_f64_e32 v[8:9], v[122:123], v[132:133]
	s_delay_alu instid0(VALU_DEP_2) | instskip(NEXT) | instid1(VALU_DEP_2)
	v_add_f64_e32 v[4:5], v[6:7], v[4:5]
	v_add_f64_e32 v[6:7], v[8:9], v[130:131]
	s_delay_alu instid0(VALU_DEP_2) | instskip(NEXT) | instid1(VALU_DEP_2)
	v_add_f64_e64 v[4:5], v[158:159], -v[4:5]
	v_add_f64_e64 v[6:7], v[160:161], -v[6:7]
	scratch_store_b128 off, v[4:7], off offset:192
	s_wait_xcnt 0x0
	v_cmpx_lt_u32_e32 11, v1
	s_cbranch_execz .LBB115_303
; %bb.302:
	scratch_load_b128 v[6:9], off, s57
	v_dual_mov_b32 v3, v2 :: v_dual_mov_b32 v4, v2
	v_mov_b32_e32 v5, v2
	scratch_store_b128 off, v[2:5], off offset:176
	s_wait_loadcnt 0x0
	ds_store_b128 v120, v[6:9]
.LBB115_303:
	s_wait_xcnt 0x0
	s_or_b32 exec_lo, exec_lo, s2
	s_wait_storecnt_dscnt 0x0
	s_barrier_signal -1
	s_barrier_wait -1
	s_clause 0x9
	scratch_load_b128 v[4:7], off, off offset:192
	scratch_load_b128 v[8:11], off, off offset:208
	;; [unrolled: 1-line block ×10, first 2 shown]
	ds_load_b128 v[150:153], v2 offset:1024
	ds_load_b128 v[158:161], v2 offset:1040
	s_clause 0x2
	scratch_load_b128 v[154:157], off, off offset:352
	scratch_load_b128 v[162:165], off, off offset:176
	;; [unrolled: 1-line block ×3, first 2 shown]
	s_mov_b32 s2, exec_lo
	s_wait_loadcnt_dscnt 0xc01
	v_mul_f64_e32 v[170:171], v[152:153], v[6:7]
	v_mul_f64_e32 v[174:175], v[150:151], v[6:7]
	s_wait_loadcnt_dscnt 0xb00
	v_mul_f64_e32 v[176:177], v[158:159], v[10:11]
	v_mul_f64_e32 v[10:11], v[160:161], v[10:11]
	s_delay_alu instid0(VALU_DEP_4) | instskip(NEXT) | instid1(VALU_DEP_4)
	v_fma_f64 v[178:179], v[150:151], v[4:5], -v[170:171]
	v_fmac_f64_e32 v[174:175], v[152:153], v[4:5]
	ds_load_b128 v[4:7], v2 offset:1056
	ds_load_b128 v[150:153], v2 offset:1072
	scratch_load_b128 v[170:173], off, off offset:384
	v_fmac_f64_e32 v[176:177], v[160:161], v[8:9]
	v_fma_f64 v[158:159], v[158:159], v[8:9], -v[10:11]
	scratch_load_b128 v[8:11], off, off offset:400
	s_wait_loadcnt_dscnt 0xc01
	v_mul_f64_e32 v[180:181], v[4:5], v[14:15]
	v_mul_f64_e32 v[14:15], v[6:7], v[14:15]
	v_add_f64_e32 v[160:161], 0, v[178:179]
	v_add_f64_e32 v[174:175], 0, v[174:175]
	s_wait_loadcnt_dscnt 0xb00
	v_mul_f64_e32 v[178:179], v[150:151], v[124:125]
	v_mul_f64_e32 v[124:125], v[152:153], v[124:125]
	v_fmac_f64_e32 v[180:181], v[6:7], v[12:13]
	v_fma_f64 v[182:183], v[4:5], v[12:13], -v[14:15]
	ds_load_b128 v[4:7], v2 offset:1088
	ds_load_b128 v[12:15], v2 offset:1104
	v_add_f64_e32 v[184:185], v[160:161], v[158:159]
	v_add_f64_e32 v[174:175], v[174:175], v[176:177]
	scratch_load_b128 v[158:161], off, off offset:416
	v_fmac_f64_e32 v[178:179], v[152:153], v[122:123]
	v_fma_f64 v[150:151], v[150:151], v[122:123], -v[124:125]
	scratch_load_b128 v[122:125], off, off offset:432
	s_wait_loadcnt_dscnt 0xc01
	v_mul_f64_e32 v[176:177], v[4:5], v[128:129]
	v_mul_f64_e32 v[128:129], v[6:7], v[128:129]
	v_add_f64_e32 v[152:153], v[184:185], v[182:183]
	v_add_f64_e32 v[174:175], v[174:175], v[180:181]
	s_wait_loadcnt_dscnt 0xb00
	v_mul_f64_e32 v[180:181], v[12:13], v[132:133]
	v_mul_f64_e32 v[132:133], v[14:15], v[132:133]
	v_fmac_f64_e32 v[176:177], v[6:7], v[126:127]
	v_fma_f64 v[182:183], v[4:5], v[126:127], -v[128:129]
	ds_load_b128 v[4:7], v2 offset:1120
	ds_load_b128 v[126:129], v2 offset:1136
	v_add_f64_e32 v[184:185], v[152:153], v[150:151]
	v_add_f64_e32 v[174:175], v[174:175], v[178:179]
	scratch_load_b128 v[150:153], off, off offset:448
	s_wait_loadcnt_dscnt 0xb01
	v_mul_f64_e32 v[178:179], v[4:5], v[136:137]
	v_mul_f64_e32 v[136:137], v[6:7], v[136:137]
	v_fmac_f64_e32 v[180:181], v[14:15], v[130:131]
	v_fma_f64 v[130:131], v[12:13], v[130:131], -v[132:133]
	scratch_load_b128 v[12:15], off, off offset:464
	v_add_f64_e32 v[132:133], v[184:185], v[182:183]
	v_add_f64_e32 v[174:175], v[174:175], v[176:177]
	s_wait_loadcnt_dscnt 0xb00
	v_mul_f64_e32 v[176:177], v[126:127], v[140:141]
	v_mul_f64_e32 v[140:141], v[128:129], v[140:141]
	v_fmac_f64_e32 v[178:179], v[6:7], v[134:135]
	v_fma_f64 v[182:183], v[4:5], v[134:135], -v[136:137]
	v_add_f64_e32 v[184:185], v[132:133], v[130:131]
	v_add_f64_e32 v[174:175], v[174:175], v[180:181]
	ds_load_b128 v[4:7], v2 offset:1152
	ds_load_b128 v[130:133], v2 offset:1168
	scratch_load_b128 v[134:137], off, off offset:480
	v_fmac_f64_e32 v[176:177], v[128:129], v[138:139]
	v_fma_f64 v[138:139], v[126:127], v[138:139], -v[140:141]
	scratch_load_b128 v[126:129], off, off offset:496
	s_wait_loadcnt_dscnt 0xc01
	v_mul_f64_e32 v[180:181], v[4:5], v[144:145]
	v_mul_f64_e32 v[144:145], v[6:7], v[144:145]
	v_add_f64_e32 v[140:141], v[184:185], v[182:183]
	v_add_f64_e32 v[174:175], v[174:175], v[178:179]
	s_wait_loadcnt_dscnt 0xb00
	v_mul_f64_e32 v[178:179], v[130:131], v[148:149]
	v_mul_f64_e32 v[148:149], v[132:133], v[148:149]
	v_fmac_f64_e32 v[180:181], v[6:7], v[142:143]
	v_fma_f64 v[182:183], v[4:5], v[142:143], -v[144:145]
	v_add_f64_e32 v[184:185], v[140:141], v[138:139]
	v_add_f64_e32 v[174:175], v[174:175], v[176:177]
	ds_load_b128 v[4:7], v2 offset:1184
	ds_load_b128 v[138:141], v2 offset:1200
	scratch_load_b128 v[142:145], off, off offset:512
	v_fmac_f64_e32 v[178:179], v[132:133], v[146:147]
	v_fma_f64 v[146:147], v[130:131], v[146:147], -v[148:149]
	scratch_load_b128 v[130:133], off, off offset:528
	s_wait_loadcnt_dscnt 0xc01
	v_mul_f64_e32 v[176:177], v[4:5], v[156:157]
	v_mul_f64_e32 v[156:157], v[6:7], v[156:157]
	;; [unrolled: 18-line block ×5, first 2 shown]
	v_add_f64_e32 v[168:169], v[184:185], v[182:183]
	v_add_f64_e32 v[174:175], v[174:175], v[180:181]
	s_wait_loadcnt_dscnt 0xa00
	v_mul_f64_e32 v[180:181], v[146:147], v[14:15]
	v_mul_f64_e32 v[14:15], v[148:149], v[14:15]
	v_fmac_f64_e32 v[176:177], v[6:7], v[150:151]
	v_fma_f64 v[182:183], v[4:5], v[150:151], -v[152:153]
	ds_load_b128 v[4:7], v2 offset:1312
	ds_load_b128 v[150:153], v2 offset:1328
	v_add_f64_e32 v[184:185], v[168:169], v[166:167]
	v_add_f64_e32 v[174:175], v[174:175], v[178:179]
	scratch_load_b128 v[166:169], off, off offset:640
	v_fmac_f64_e32 v[180:181], v[148:149], v[12:13]
	v_fma_f64 v[146:147], v[146:147], v[12:13], -v[14:15]
	scratch_load_b128 v[12:15], off, off offset:656
	s_wait_loadcnt_dscnt 0xb01
	v_mul_f64_e32 v[178:179], v[4:5], v[136:137]
	v_mul_f64_e32 v[136:137], v[6:7], v[136:137]
	v_add_f64_e32 v[148:149], v[184:185], v[182:183]
	v_add_f64_e32 v[174:175], v[174:175], v[176:177]
	s_wait_loadcnt_dscnt 0xa00
	v_mul_f64_e32 v[176:177], v[150:151], v[128:129]
	v_mul_f64_e32 v[128:129], v[152:153], v[128:129]
	v_fmac_f64_e32 v[178:179], v[6:7], v[134:135]
	v_fma_f64 v[182:183], v[4:5], v[134:135], -v[136:137]
	ds_load_b128 v[4:7], v2 offset:1344
	ds_load_b128 v[134:137], v2 offset:1360
	v_add_f64_e32 v[184:185], v[148:149], v[146:147]
	v_add_f64_e32 v[174:175], v[174:175], v[180:181]
	scratch_load_b128 v[146:149], off, off offset:672
	s_wait_loadcnt_dscnt 0xa01
	v_mul_f64_e32 v[180:181], v[4:5], v[144:145]
	v_mul_f64_e32 v[144:145], v[6:7], v[144:145]
	v_fmac_f64_e32 v[176:177], v[152:153], v[126:127]
	v_fma_f64 v[150:151], v[150:151], v[126:127], -v[128:129]
	scratch_load_b128 v[126:129], off, off offset:688
	v_add_f64_e32 v[152:153], v[184:185], v[182:183]
	v_add_f64_e32 v[174:175], v[174:175], v[178:179]
	s_wait_loadcnt_dscnt 0xa00
	v_mul_f64_e32 v[178:179], v[134:135], v[132:133]
	v_mul_f64_e32 v[132:133], v[136:137], v[132:133]
	v_fmac_f64_e32 v[180:181], v[6:7], v[142:143]
	v_fma_f64 v[182:183], v[4:5], v[142:143], -v[144:145]
	ds_load_b128 v[4:7], v2 offset:1376
	ds_load_b128 v[142:145], v2 offset:1392
	v_add_f64_e32 v[184:185], v[152:153], v[150:151]
	v_add_f64_e32 v[174:175], v[174:175], v[176:177]
	scratch_load_b128 v[150:153], off, off offset:704
	s_wait_loadcnt_dscnt 0xa01
	v_mul_f64_e32 v[176:177], v[4:5], v[156:157]
	v_mul_f64_e32 v[156:157], v[6:7], v[156:157]
	v_fmac_f64_e32 v[178:179], v[136:137], v[130:131]
	v_fma_f64 v[134:135], v[134:135], v[130:131], -v[132:133]
	scratch_load_b128 v[130:133], off, off offset:720
	v_add_f64_e32 v[136:137], v[184:185], v[182:183]
	v_add_f64_e32 v[174:175], v[174:175], v[180:181]
	s_wait_loadcnt_dscnt 0xa00
	v_mul_f64_e32 v[180:181], v[142:143], v[140:141]
	v_mul_f64_e32 v[140:141], v[144:145], v[140:141]
	v_fmac_f64_e32 v[176:177], v[6:7], v[154:155]
	v_fma_f64 v[182:183], v[4:5], v[154:155], -v[156:157]
	v_add_f64_e32 v[184:185], v[136:137], v[134:135]
	v_add_f64_e32 v[174:175], v[174:175], v[178:179]
	ds_load_b128 v[4:7], v2 offset:1408
	ds_load_b128 v[134:137], v2 offset:1424
	scratch_load_b128 v[154:157], off, off offset:736
	v_fmac_f64_e32 v[180:181], v[144:145], v[138:139]
	v_fma_f64 v[142:143], v[142:143], v[138:139], -v[140:141]
	scratch_load_b128 v[138:141], off, off offset:752
	s_wait_loadcnt_dscnt 0xb01
	v_mul_f64_e32 v[178:179], v[4:5], v[172:173]
	v_mul_f64_e32 v[172:173], v[6:7], v[172:173]
	v_add_f64_e32 v[144:145], v[184:185], v[182:183]
	v_add_f64_e32 v[174:175], v[174:175], v[176:177]
	s_wait_loadcnt_dscnt 0xa00
	v_mul_f64_e32 v[176:177], v[134:135], v[10:11]
	v_mul_f64_e32 v[10:11], v[136:137], v[10:11]
	v_fmac_f64_e32 v[178:179], v[6:7], v[170:171]
	v_fma_f64 v[182:183], v[4:5], v[170:171], -v[172:173]
	v_add_f64_e32 v[184:185], v[144:145], v[142:143]
	v_add_f64_e32 v[174:175], v[174:175], v[180:181]
	ds_load_b128 v[4:7], v2 offset:1440
	ds_load_b128 v[142:145], v2 offset:1456
	scratch_load_b128 v[170:173], off, off offset:768
	v_fmac_f64_e32 v[176:177], v[136:137], v[8:9]
	v_fma_f64 v[134:135], v[134:135], v[8:9], -v[10:11]
	scratch_load_b128 v[8:11], off, off offset:784
	s_wait_loadcnt_dscnt 0xb01
	v_mul_f64_e32 v[180:181], v[4:5], v[160:161]
	v_mul_f64_e32 v[160:161], v[6:7], v[160:161]
	;; [unrolled: 18-line block ×3, first 2 shown]
	v_add_f64_e32 v[144:145], v[184:185], v[182:183]
	v_add_f64_e32 v[174:175], v[174:175], v[180:181]
	s_wait_loadcnt_dscnt 0xa00
	v_mul_f64_e32 v[180:181], v[134:135], v[14:15]
	v_mul_f64_e32 v[14:15], v[136:137], v[14:15]
	v_fmac_f64_e32 v[176:177], v[6:7], v[166:167]
	v_fma_f64 v[166:167], v[4:5], v[166:167], -v[168:169]
	v_add_f64_e32 v[168:169], v[144:145], v[142:143]
	v_add_f64_e32 v[174:175], v[174:175], v[178:179]
	ds_load_b128 v[4:7], v2 offset:1504
	ds_load_b128 v[142:145], v2 offset:1520
	v_fmac_f64_e32 v[180:181], v[136:137], v[12:13]
	v_fma_f64 v[12:13], v[134:135], v[12:13], -v[14:15]
	s_wait_loadcnt_dscnt 0x901
	v_mul_f64_e32 v[178:179], v[4:5], v[148:149]
	v_mul_f64_e32 v[148:149], v[6:7], v[148:149]
	s_wait_loadcnt_dscnt 0x800
	v_mul_f64_e32 v[136:137], v[142:143], v[128:129]
	v_mul_f64_e32 v[128:129], v[144:145], v[128:129]
	v_add_f64_e32 v[14:15], v[168:169], v[166:167]
	v_add_f64_e32 v[134:135], v[174:175], v[176:177]
	v_fmac_f64_e32 v[178:179], v[6:7], v[146:147]
	v_fma_f64 v[146:147], v[4:5], v[146:147], -v[148:149]
	v_fmac_f64_e32 v[136:137], v[144:145], v[126:127]
	v_fma_f64 v[126:127], v[142:143], v[126:127], -v[128:129]
	v_add_f64_e32 v[148:149], v[14:15], v[12:13]
	v_add_f64_e32 v[134:135], v[134:135], v[180:181]
	ds_load_b128 v[4:7], v2 offset:1536
	ds_load_b128 v[12:15], v2 offset:1552
	s_wait_loadcnt_dscnt 0x701
	v_mul_f64_e32 v[166:167], v[4:5], v[152:153]
	v_mul_f64_e32 v[152:153], v[6:7], v[152:153]
	s_wait_loadcnt_dscnt 0x600
	v_mul_f64_e32 v[142:143], v[12:13], v[132:133]
	v_mul_f64_e32 v[132:133], v[14:15], v[132:133]
	v_add_f64_e32 v[128:129], v[148:149], v[146:147]
	v_add_f64_e32 v[134:135], v[134:135], v[178:179]
	v_fmac_f64_e32 v[166:167], v[6:7], v[150:151]
	v_fma_f64 v[144:145], v[4:5], v[150:151], -v[152:153]
	v_fmac_f64_e32 v[142:143], v[14:15], v[130:131]
	v_fma_f64 v[12:13], v[12:13], v[130:131], -v[132:133]
	v_add_f64_e32 v[146:147], v[128:129], v[126:127]
	v_add_f64_e32 v[134:135], v[134:135], v[136:137]
	ds_load_b128 v[4:7], v2 offset:1568
	ds_load_b128 v[126:129], v2 offset:1584
	s_wait_loadcnt_dscnt 0x501
	v_mul_f64_e32 v[136:137], v[4:5], v[156:157]
	v_mul_f64_e32 v[148:149], v[6:7], v[156:157]
	s_wait_loadcnt_dscnt 0x400
	v_mul_f64_e32 v[132:133], v[126:127], v[140:141]
	v_add_f64_e32 v[14:15], v[146:147], v[144:145]
	v_add_f64_e32 v[130:131], v[134:135], v[166:167]
	v_mul_f64_e32 v[134:135], v[128:129], v[140:141]
	v_fmac_f64_e32 v[136:137], v[6:7], v[154:155]
	v_fma_f64 v[140:141], v[4:5], v[154:155], -v[148:149]
	v_fmac_f64_e32 v[132:133], v[128:129], v[138:139]
	v_add_f64_e32 v[144:145], v[14:15], v[12:13]
	v_add_f64_e32 v[130:131], v[130:131], v[142:143]
	ds_load_b128 v[4:7], v2 offset:1600
	ds_load_b128 v[12:15], v2 offset:1616
	v_fma_f64 v[126:127], v[126:127], v[138:139], -v[134:135]
	s_wait_loadcnt_dscnt 0x301
	v_mul_f64_e32 v[142:143], v[4:5], v[172:173]
	v_mul_f64_e32 v[146:147], v[6:7], v[172:173]
	s_wait_loadcnt_dscnt 0x200
	v_mul_f64_e32 v[134:135], v[12:13], v[10:11]
	v_mul_f64_e32 v[10:11], v[14:15], v[10:11]
	v_add_f64_e32 v[128:129], v[144:145], v[140:141]
	v_add_f64_e32 v[130:131], v[130:131], v[136:137]
	v_fmac_f64_e32 v[142:143], v[6:7], v[170:171]
	v_fma_f64 v[136:137], v[4:5], v[170:171], -v[146:147]
	v_fmac_f64_e32 v[134:135], v[14:15], v[8:9]
	v_fma_f64 v[8:9], v[12:13], v[8:9], -v[10:11]
	v_add_f64_e32 v[138:139], v[128:129], v[126:127]
	v_add_f64_e32 v[130:131], v[130:131], v[132:133]
	ds_load_b128 v[4:7], v2 offset:1632
	ds_load_b128 v[126:129], v2 offset:1648
	s_wait_loadcnt_dscnt 0x101
	v_mul_f64_e32 v[2:3], v[4:5], v[160:161]
	v_mul_f64_e32 v[132:133], v[6:7], v[160:161]
	s_wait_loadcnt_dscnt 0x0
	v_mul_f64_e32 v[14:15], v[126:127], v[124:125]
	v_mul_f64_e32 v[124:125], v[128:129], v[124:125]
	v_add_f64_e32 v[10:11], v[138:139], v[136:137]
	v_add_f64_e32 v[12:13], v[130:131], v[142:143]
	v_fmac_f64_e32 v[2:3], v[6:7], v[158:159]
	v_fma_f64 v[4:5], v[4:5], v[158:159], -v[132:133]
	v_fmac_f64_e32 v[14:15], v[128:129], v[122:123]
	v_add_f64_e32 v[6:7], v[10:11], v[8:9]
	v_add_f64_e32 v[8:9], v[12:13], v[134:135]
	v_fma_f64 v[10:11], v[126:127], v[122:123], -v[124:125]
	s_delay_alu instid0(VALU_DEP_3) | instskip(NEXT) | instid1(VALU_DEP_3)
	v_add_f64_e32 v[4:5], v[6:7], v[4:5]
	v_add_f64_e32 v[2:3], v[8:9], v[2:3]
	s_delay_alu instid0(VALU_DEP_2) | instskip(NEXT) | instid1(VALU_DEP_2)
	v_add_f64_e32 v[4:5], v[4:5], v[10:11]
	v_add_f64_e32 v[6:7], v[2:3], v[14:15]
	s_delay_alu instid0(VALU_DEP_2) | instskip(NEXT) | instid1(VALU_DEP_2)
	v_add_f64_e64 v[2:3], v[162:163], -v[4:5]
	v_add_f64_e64 v[4:5], v[164:165], -v[6:7]
	scratch_store_b128 off, v[2:5], off offset:176
	s_wait_xcnt 0x0
	v_cmpx_lt_u32_e32 10, v1
	s_cbranch_execz .LBB115_305
; %bb.304:
	scratch_load_b128 v[2:5], off, s58
	v_mov_b32_e32 v6, 0
	s_delay_alu instid0(VALU_DEP_1)
	v_dual_mov_b32 v7, v6 :: v_dual_mov_b32 v8, v6
	v_mov_b32_e32 v9, v6
	scratch_store_b128 off, v[6:9], off offset:160
	s_wait_loadcnt 0x0
	ds_store_b128 v120, v[2:5]
.LBB115_305:
	s_wait_xcnt 0x0
	s_or_b32 exec_lo, exec_lo, s2
	s_wait_storecnt_dscnt 0x0
	s_barrier_signal -1
	s_barrier_wait -1
	s_clause 0x9
	scratch_load_b128 v[4:7], off, off offset:176
	scratch_load_b128 v[8:11], off, off offset:192
	;; [unrolled: 1-line block ×10, first 2 shown]
	v_mov_b32_e32 v2, 0
	s_mov_b32 s2, exec_lo
	ds_load_b128 v[150:153], v2 offset:1008
	s_clause 0x2
	scratch_load_b128 v[154:157], off, off offset:336
	scratch_load_b128 v[158:161], off, off offset:160
	scratch_load_b128 v[166:169], off, off offset:352
	s_wait_loadcnt_dscnt 0xc00
	v_mul_f64_e32 v[170:171], v[152:153], v[6:7]
	v_mul_f64_e32 v[174:175], v[150:151], v[6:7]
	ds_load_b128 v[162:165], v2 offset:1024
	v_fma_f64 v[178:179], v[150:151], v[4:5], -v[170:171]
	v_fmac_f64_e32 v[174:175], v[152:153], v[4:5]
	ds_load_b128 v[4:7], v2 offset:1040
	s_wait_loadcnt_dscnt 0xb01
	v_mul_f64_e32 v[176:177], v[162:163], v[10:11]
	v_mul_f64_e32 v[10:11], v[164:165], v[10:11]
	scratch_load_b128 v[150:153], off, off offset:368
	ds_load_b128 v[170:173], v2 offset:1056
	s_wait_loadcnt_dscnt 0xb01
	v_mul_f64_e32 v[180:181], v[4:5], v[14:15]
	v_mul_f64_e32 v[14:15], v[6:7], v[14:15]
	v_add_f64_e32 v[174:175], 0, v[174:175]
	v_fmac_f64_e32 v[176:177], v[164:165], v[8:9]
	v_fma_f64 v[162:163], v[162:163], v[8:9], -v[10:11]
	v_add_f64_e32 v[164:165], 0, v[178:179]
	scratch_load_b128 v[8:11], off, off offset:384
	v_fmac_f64_e32 v[180:181], v[6:7], v[12:13]
	v_fma_f64 v[182:183], v[4:5], v[12:13], -v[14:15]
	ds_load_b128 v[4:7], v2 offset:1072
	s_wait_loadcnt_dscnt 0xb01
	v_mul_f64_e32 v[178:179], v[170:171], v[124:125]
	v_mul_f64_e32 v[124:125], v[172:173], v[124:125]
	scratch_load_b128 v[12:15], off, off offset:400
	v_add_f64_e32 v[174:175], v[174:175], v[176:177]
	v_add_f64_e32 v[184:185], v[164:165], v[162:163]
	ds_load_b128 v[162:165], v2 offset:1088
	s_wait_loadcnt_dscnt 0xb01
	v_mul_f64_e32 v[176:177], v[4:5], v[128:129]
	v_mul_f64_e32 v[128:129], v[6:7], v[128:129]
	v_fmac_f64_e32 v[178:179], v[172:173], v[122:123]
	v_fma_f64 v[170:171], v[170:171], v[122:123], -v[124:125]
	scratch_load_b128 v[122:125], off, off offset:416
	v_add_f64_e32 v[174:175], v[174:175], v[180:181]
	v_add_f64_e32 v[172:173], v[184:185], v[182:183]
	v_fmac_f64_e32 v[176:177], v[6:7], v[126:127]
	v_fma_f64 v[182:183], v[4:5], v[126:127], -v[128:129]
	ds_load_b128 v[4:7], v2 offset:1104
	s_wait_loadcnt_dscnt 0xb01
	v_mul_f64_e32 v[180:181], v[162:163], v[132:133]
	v_mul_f64_e32 v[132:133], v[164:165], v[132:133]
	scratch_load_b128 v[126:129], off, off offset:432
	v_add_f64_e32 v[174:175], v[174:175], v[178:179]
	s_wait_loadcnt_dscnt 0xb00
	v_mul_f64_e32 v[178:179], v[4:5], v[136:137]
	v_add_f64_e32 v[184:185], v[172:173], v[170:171]
	v_mul_f64_e32 v[136:137], v[6:7], v[136:137]
	ds_load_b128 v[170:173], v2 offset:1120
	v_fmac_f64_e32 v[180:181], v[164:165], v[130:131]
	v_fma_f64 v[162:163], v[162:163], v[130:131], -v[132:133]
	scratch_load_b128 v[130:133], off, off offset:448
	v_add_f64_e32 v[174:175], v[174:175], v[176:177]
	v_fmac_f64_e32 v[178:179], v[6:7], v[134:135]
	v_add_f64_e32 v[164:165], v[184:185], v[182:183]
	v_fma_f64 v[182:183], v[4:5], v[134:135], -v[136:137]
	ds_load_b128 v[4:7], v2 offset:1136
	s_wait_loadcnt_dscnt 0xb01
	v_mul_f64_e32 v[176:177], v[170:171], v[140:141]
	v_mul_f64_e32 v[140:141], v[172:173], v[140:141]
	scratch_load_b128 v[134:137], off, off offset:464
	v_add_f64_e32 v[174:175], v[174:175], v[180:181]
	s_wait_loadcnt_dscnt 0xb00
	v_mul_f64_e32 v[180:181], v[4:5], v[144:145]
	v_add_f64_e32 v[184:185], v[164:165], v[162:163]
	v_mul_f64_e32 v[144:145], v[6:7], v[144:145]
	ds_load_b128 v[162:165], v2 offset:1152
	v_fmac_f64_e32 v[176:177], v[172:173], v[138:139]
	v_fma_f64 v[170:171], v[170:171], v[138:139], -v[140:141]
	scratch_load_b128 v[138:141], off, off offset:480
	v_add_f64_e32 v[174:175], v[174:175], v[178:179]
	v_fmac_f64_e32 v[180:181], v[6:7], v[142:143]
	v_add_f64_e32 v[172:173], v[184:185], v[182:183]
	;; [unrolled: 18-line block ×3, first 2 shown]
	v_fma_f64 v[182:183], v[4:5], v[154:155], -v[156:157]
	ds_load_b128 v[4:7], v2 offset:1200
	s_wait_loadcnt_dscnt 0xa01
	v_mul_f64_e32 v[180:181], v[170:171], v[168:169]
	v_mul_f64_e32 v[168:169], v[172:173], v[168:169]
	scratch_load_b128 v[154:157], off, off offset:528
	v_add_f64_e32 v[174:175], v[174:175], v[178:179]
	v_add_f64_e32 v[184:185], v[164:165], v[162:163]
	s_wait_loadcnt_dscnt 0xa00
	v_mul_f64_e32 v[178:179], v[4:5], v[152:153]
	v_mul_f64_e32 v[152:153], v[6:7], v[152:153]
	v_fmac_f64_e32 v[180:181], v[172:173], v[166:167]
	v_fma_f64 v[170:171], v[170:171], v[166:167], -v[168:169]
	ds_load_b128 v[162:165], v2 offset:1216
	scratch_load_b128 v[166:169], off, off offset:544
	v_add_f64_e32 v[174:175], v[174:175], v[176:177]
	v_add_f64_e32 v[172:173], v[184:185], v[182:183]
	v_fmac_f64_e32 v[178:179], v[6:7], v[150:151]
	v_fma_f64 v[182:183], v[4:5], v[150:151], -v[152:153]
	ds_load_b128 v[4:7], v2 offset:1232
	s_wait_loadcnt_dscnt 0xa01
	v_mul_f64_e32 v[176:177], v[162:163], v[10:11]
	v_mul_f64_e32 v[10:11], v[164:165], v[10:11]
	scratch_load_b128 v[150:153], off, off offset:560
	v_add_f64_e32 v[174:175], v[174:175], v[180:181]
	s_wait_loadcnt_dscnt 0xa00
	v_mul_f64_e32 v[180:181], v[4:5], v[14:15]
	v_add_f64_e32 v[184:185], v[172:173], v[170:171]
	v_mul_f64_e32 v[14:15], v[6:7], v[14:15]
	ds_load_b128 v[170:173], v2 offset:1248
	v_fmac_f64_e32 v[176:177], v[164:165], v[8:9]
	v_fma_f64 v[162:163], v[162:163], v[8:9], -v[10:11]
	scratch_load_b128 v[8:11], off, off offset:576
	v_add_f64_e32 v[174:175], v[174:175], v[178:179]
	v_fmac_f64_e32 v[180:181], v[6:7], v[12:13]
	v_add_f64_e32 v[164:165], v[184:185], v[182:183]
	v_fma_f64 v[182:183], v[4:5], v[12:13], -v[14:15]
	ds_load_b128 v[4:7], v2 offset:1264
	s_wait_loadcnt_dscnt 0xa01
	v_mul_f64_e32 v[178:179], v[170:171], v[124:125]
	v_mul_f64_e32 v[124:125], v[172:173], v[124:125]
	scratch_load_b128 v[12:15], off, off offset:592
	v_add_f64_e32 v[174:175], v[174:175], v[176:177]
	s_wait_loadcnt_dscnt 0xa00
	v_mul_f64_e32 v[176:177], v[4:5], v[128:129]
	v_add_f64_e32 v[184:185], v[164:165], v[162:163]
	v_mul_f64_e32 v[128:129], v[6:7], v[128:129]
	ds_load_b128 v[162:165], v2 offset:1280
	v_fmac_f64_e32 v[178:179], v[172:173], v[122:123]
	v_fma_f64 v[170:171], v[170:171], v[122:123], -v[124:125]
	scratch_load_b128 v[122:125], off, off offset:608
	v_add_f64_e32 v[174:175], v[174:175], v[180:181]
	v_fmac_f64_e32 v[176:177], v[6:7], v[126:127]
	v_add_f64_e32 v[172:173], v[184:185], v[182:183]
	;; [unrolled: 18-line block ×8, first 2 shown]
	v_fma_f64 v[182:183], v[4:5], v[126:127], -v[128:129]
	ds_load_b128 v[4:7], v2 offset:1488
	s_wait_loadcnt_dscnt 0xa01
	v_mul_f64_e32 v[180:181], v[162:163], v[132:133]
	v_mul_f64_e32 v[132:133], v[164:165], v[132:133]
	scratch_load_b128 v[126:129], off, off offset:816
	v_add_f64_e32 v[174:175], v[174:175], v[178:179]
	s_wait_loadcnt_dscnt 0xa00
	v_mul_f64_e32 v[178:179], v[4:5], v[136:137]
	v_add_f64_e32 v[184:185], v[172:173], v[170:171]
	v_mul_f64_e32 v[136:137], v[6:7], v[136:137]
	ds_load_b128 v[170:173], v2 offset:1504
	v_fmac_f64_e32 v[180:181], v[164:165], v[130:131]
	v_fma_f64 v[130:131], v[162:163], v[130:131], -v[132:133]
	s_wait_loadcnt_dscnt 0x900
	v_mul_f64_e32 v[164:165], v[170:171], v[140:141]
	v_mul_f64_e32 v[140:141], v[172:173], v[140:141]
	v_add_f64_e32 v[162:163], v[174:175], v[176:177]
	v_fmac_f64_e32 v[178:179], v[6:7], v[134:135]
	v_add_f64_e32 v[132:133], v[184:185], v[182:183]
	v_fma_f64 v[134:135], v[4:5], v[134:135], -v[136:137]
	v_fmac_f64_e32 v[164:165], v[172:173], v[138:139]
	v_fma_f64 v[138:139], v[170:171], v[138:139], -v[140:141]
	v_add_f64_e32 v[162:163], v[162:163], v[180:181]
	v_add_f64_e32 v[136:137], v[132:133], v[130:131]
	ds_load_b128 v[4:7], v2 offset:1520
	ds_load_b128 v[130:133], v2 offset:1536
	s_wait_loadcnt_dscnt 0x801
	v_mul_f64_e32 v[174:175], v[4:5], v[144:145]
	v_mul_f64_e32 v[144:145], v[6:7], v[144:145]
	s_wait_loadcnt_dscnt 0x700
	v_mul_f64_e32 v[140:141], v[130:131], v[148:149]
	v_mul_f64_e32 v[148:149], v[132:133], v[148:149]
	v_add_f64_e32 v[134:135], v[136:137], v[134:135]
	v_add_f64_e32 v[136:137], v[162:163], v[178:179]
	v_fmac_f64_e32 v[174:175], v[6:7], v[142:143]
	v_fma_f64 v[142:143], v[4:5], v[142:143], -v[144:145]
	v_fmac_f64_e32 v[140:141], v[132:133], v[146:147]
	v_fma_f64 v[130:131], v[130:131], v[146:147], -v[148:149]
	v_add_f64_e32 v[138:139], v[134:135], v[138:139]
	v_add_f64_e32 v[144:145], v[136:137], v[164:165]
	ds_load_b128 v[4:7], v2 offset:1552
	ds_load_b128 v[134:137], v2 offset:1568
	s_wait_loadcnt_dscnt 0x601
	v_mul_f64_e32 v[162:163], v[4:5], v[156:157]
	v_mul_f64_e32 v[156:157], v[6:7], v[156:157]
	v_add_f64_e32 v[132:133], v[138:139], v[142:143]
	v_add_f64_e32 v[138:139], v[144:145], v[174:175]
	s_wait_loadcnt_dscnt 0x500
	v_mul_f64_e32 v[142:143], v[134:135], v[168:169]
	v_mul_f64_e32 v[144:145], v[136:137], v[168:169]
	v_fmac_f64_e32 v[162:163], v[6:7], v[154:155]
	v_fma_f64 v[146:147], v[4:5], v[154:155], -v[156:157]
	v_add_f64_e32 v[148:149], v[132:133], v[130:131]
	v_add_f64_e32 v[138:139], v[138:139], v[140:141]
	ds_load_b128 v[4:7], v2 offset:1584
	ds_load_b128 v[130:133], v2 offset:1600
	v_fmac_f64_e32 v[142:143], v[136:137], v[166:167]
	v_fma_f64 v[134:135], v[134:135], v[166:167], -v[144:145]
	s_wait_loadcnt_dscnt 0x401
	v_mul_f64_e32 v[140:141], v[4:5], v[152:153]
	v_mul_f64_e32 v[152:153], v[6:7], v[152:153]
	s_wait_loadcnt_dscnt 0x300
	v_mul_f64_e32 v[144:145], v[130:131], v[10:11]
	v_mul_f64_e32 v[10:11], v[132:133], v[10:11]
	v_add_f64_e32 v[136:137], v[148:149], v[146:147]
	v_add_f64_e32 v[138:139], v[138:139], v[162:163]
	v_fmac_f64_e32 v[140:141], v[6:7], v[150:151]
	v_fma_f64 v[146:147], v[4:5], v[150:151], -v[152:153]
	v_fmac_f64_e32 v[144:145], v[132:133], v[8:9]
	v_fma_f64 v[8:9], v[130:131], v[8:9], -v[10:11]
	v_add_f64_e32 v[148:149], v[136:137], v[134:135]
	v_add_f64_e32 v[138:139], v[138:139], v[142:143]
	ds_load_b128 v[4:7], v2 offset:1616
	ds_load_b128 v[134:137], v2 offset:1632
	s_wait_loadcnt_dscnt 0x201
	v_mul_f64_e32 v[142:143], v[4:5], v[14:15]
	v_mul_f64_e32 v[14:15], v[6:7], v[14:15]
	s_wait_loadcnt_dscnt 0x100
	v_mul_f64_e32 v[132:133], v[134:135], v[124:125]
	v_mul_f64_e32 v[124:125], v[136:137], v[124:125]
	v_add_f64_e32 v[10:11], v[148:149], v[146:147]
	v_add_f64_e32 v[130:131], v[138:139], v[140:141]
	v_fmac_f64_e32 v[142:143], v[6:7], v[12:13]
	v_fma_f64 v[12:13], v[4:5], v[12:13], -v[14:15]
	ds_load_b128 v[4:7], v2 offset:1648
	v_fmac_f64_e32 v[132:133], v[136:137], v[122:123]
	v_fma_f64 v[122:123], v[134:135], v[122:123], -v[124:125]
	v_add_f64_e32 v[8:9], v[10:11], v[8:9]
	v_add_f64_e32 v[10:11], v[130:131], v[144:145]
	s_wait_loadcnt_dscnt 0x0
	v_mul_f64_e32 v[14:15], v[4:5], v[128:129]
	v_mul_f64_e32 v[128:129], v[6:7], v[128:129]
	s_delay_alu instid0(VALU_DEP_4) | instskip(NEXT) | instid1(VALU_DEP_4)
	v_add_f64_e32 v[8:9], v[8:9], v[12:13]
	v_add_f64_e32 v[10:11], v[10:11], v[142:143]
	s_delay_alu instid0(VALU_DEP_4) | instskip(NEXT) | instid1(VALU_DEP_4)
	v_fmac_f64_e32 v[14:15], v[6:7], v[126:127]
	v_fma_f64 v[4:5], v[4:5], v[126:127], -v[128:129]
	s_delay_alu instid0(VALU_DEP_4) | instskip(NEXT) | instid1(VALU_DEP_4)
	v_add_f64_e32 v[6:7], v[8:9], v[122:123]
	v_add_f64_e32 v[8:9], v[10:11], v[132:133]
	s_delay_alu instid0(VALU_DEP_2) | instskip(NEXT) | instid1(VALU_DEP_2)
	v_add_f64_e32 v[4:5], v[6:7], v[4:5]
	v_add_f64_e32 v[6:7], v[8:9], v[14:15]
	s_delay_alu instid0(VALU_DEP_2) | instskip(NEXT) | instid1(VALU_DEP_2)
	v_add_f64_e64 v[4:5], v[158:159], -v[4:5]
	v_add_f64_e64 v[6:7], v[160:161], -v[6:7]
	scratch_store_b128 off, v[4:7], off offset:160
	s_wait_xcnt 0x0
	v_cmpx_lt_u32_e32 9, v1
	s_cbranch_execz .LBB115_307
; %bb.306:
	scratch_load_b128 v[6:9], off, s59
	v_dual_mov_b32 v3, v2 :: v_dual_mov_b32 v4, v2
	v_mov_b32_e32 v5, v2
	scratch_store_b128 off, v[2:5], off offset:144
	s_wait_loadcnt 0x0
	ds_store_b128 v120, v[6:9]
.LBB115_307:
	s_wait_xcnt 0x0
	s_or_b32 exec_lo, exec_lo, s2
	s_wait_storecnt_dscnt 0x0
	s_barrier_signal -1
	s_barrier_wait -1
	s_clause 0x9
	scratch_load_b128 v[4:7], off, off offset:160
	scratch_load_b128 v[8:11], off, off offset:176
	;; [unrolled: 1-line block ×10, first 2 shown]
	ds_load_b128 v[150:153], v2 offset:992
	ds_load_b128 v[158:161], v2 offset:1008
	s_clause 0x2
	scratch_load_b128 v[154:157], off, off offset:320
	scratch_load_b128 v[162:165], off, off offset:144
	;; [unrolled: 1-line block ×3, first 2 shown]
	s_mov_b32 s2, exec_lo
	s_wait_loadcnt_dscnt 0xc01
	v_mul_f64_e32 v[170:171], v[152:153], v[6:7]
	v_mul_f64_e32 v[174:175], v[150:151], v[6:7]
	s_wait_loadcnt_dscnt 0xb00
	v_mul_f64_e32 v[176:177], v[158:159], v[10:11]
	v_mul_f64_e32 v[10:11], v[160:161], v[10:11]
	s_delay_alu instid0(VALU_DEP_4) | instskip(NEXT) | instid1(VALU_DEP_4)
	v_fma_f64 v[178:179], v[150:151], v[4:5], -v[170:171]
	v_fmac_f64_e32 v[174:175], v[152:153], v[4:5]
	ds_load_b128 v[4:7], v2 offset:1024
	ds_load_b128 v[150:153], v2 offset:1040
	scratch_load_b128 v[170:173], off, off offset:352
	v_fmac_f64_e32 v[176:177], v[160:161], v[8:9]
	v_fma_f64 v[158:159], v[158:159], v[8:9], -v[10:11]
	scratch_load_b128 v[8:11], off, off offset:368
	s_wait_loadcnt_dscnt 0xc01
	v_mul_f64_e32 v[180:181], v[4:5], v[14:15]
	v_mul_f64_e32 v[14:15], v[6:7], v[14:15]
	v_add_f64_e32 v[160:161], 0, v[178:179]
	v_add_f64_e32 v[174:175], 0, v[174:175]
	s_wait_loadcnt_dscnt 0xb00
	v_mul_f64_e32 v[178:179], v[150:151], v[124:125]
	v_mul_f64_e32 v[124:125], v[152:153], v[124:125]
	v_fmac_f64_e32 v[180:181], v[6:7], v[12:13]
	v_fma_f64 v[182:183], v[4:5], v[12:13], -v[14:15]
	ds_load_b128 v[4:7], v2 offset:1056
	ds_load_b128 v[12:15], v2 offset:1072
	v_add_f64_e32 v[184:185], v[160:161], v[158:159]
	v_add_f64_e32 v[174:175], v[174:175], v[176:177]
	scratch_load_b128 v[158:161], off, off offset:384
	v_fmac_f64_e32 v[178:179], v[152:153], v[122:123]
	v_fma_f64 v[150:151], v[150:151], v[122:123], -v[124:125]
	scratch_load_b128 v[122:125], off, off offset:400
	s_wait_loadcnt_dscnt 0xc01
	v_mul_f64_e32 v[176:177], v[4:5], v[128:129]
	v_mul_f64_e32 v[128:129], v[6:7], v[128:129]
	v_add_f64_e32 v[152:153], v[184:185], v[182:183]
	v_add_f64_e32 v[174:175], v[174:175], v[180:181]
	s_wait_loadcnt_dscnt 0xb00
	v_mul_f64_e32 v[180:181], v[12:13], v[132:133]
	v_mul_f64_e32 v[132:133], v[14:15], v[132:133]
	v_fmac_f64_e32 v[176:177], v[6:7], v[126:127]
	v_fma_f64 v[182:183], v[4:5], v[126:127], -v[128:129]
	ds_load_b128 v[4:7], v2 offset:1088
	ds_load_b128 v[126:129], v2 offset:1104
	v_add_f64_e32 v[184:185], v[152:153], v[150:151]
	v_add_f64_e32 v[174:175], v[174:175], v[178:179]
	scratch_load_b128 v[150:153], off, off offset:416
	s_wait_loadcnt_dscnt 0xb01
	v_mul_f64_e32 v[178:179], v[4:5], v[136:137]
	v_mul_f64_e32 v[136:137], v[6:7], v[136:137]
	v_fmac_f64_e32 v[180:181], v[14:15], v[130:131]
	v_fma_f64 v[130:131], v[12:13], v[130:131], -v[132:133]
	scratch_load_b128 v[12:15], off, off offset:432
	v_add_f64_e32 v[132:133], v[184:185], v[182:183]
	v_add_f64_e32 v[174:175], v[174:175], v[176:177]
	s_wait_loadcnt_dscnt 0xb00
	v_mul_f64_e32 v[176:177], v[126:127], v[140:141]
	v_mul_f64_e32 v[140:141], v[128:129], v[140:141]
	v_fmac_f64_e32 v[178:179], v[6:7], v[134:135]
	v_fma_f64 v[182:183], v[4:5], v[134:135], -v[136:137]
	v_add_f64_e32 v[184:185], v[132:133], v[130:131]
	v_add_f64_e32 v[174:175], v[174:175], v[180:181]
	ds_load_b128 v[4:7], v2 offset:1120
	ds_load_b128 v[130:133], v2 offset:1136
	scratch_load_b128 v[134:137], off, off offset:448
	v_fmac_f64_e32 v[176:177], v[128:129], v[138:139]
	v_fma_f64 v[138:139], v[126:127], v[138:139], -v[140:141]
	scratch_load_b128 v[126:129], off, off offset:464
	s_wait_loadcnt_dscnt 0xc01
	v_mul_f64_e32 v[180:181], v[4:5], v[144:145]
	v_mul_f64_e32 v[144:145], v[6:7], v[144:145]
	v_add_f64_e32 v[140:141], v[184:185], v[182:183]
	v_add_f64_e32 v[174:175], v[174:175], v[178:179]
	s_wait_loadcnt_dscnt 0xb00
	v_mul_f64_e32 v[178:179], v[130:131], v[148:149]
	v_mul_f64_e32 v[148:149], v[132:133], v[148:149]
	v_fmac_f64_e32 v[180:181], v[6:7], v[142:143]
	v_fma_f64 v[182:183], v[4:5], v[142:143], -v[144:145]
	v_add_f64_e32 v[184:185], v[140:141], v[138:139]
	v_add_f64_e32 v[174:175], v[174:175], v[176:177]
	ds_load_b128 v[4:7], v2 offset:1152
	ds_load_b128 v[138:141], v2 offset:1168
	scratch_load_b128 v[142:145], off, off offset:480
	v_fmac_f64_e32 v[178:179], v[132:133], v[146:147]
	v_fma_f64 v[146:147], v[130:131], v[146:147], -v[148:149]
	scratch_load_b128 v[130:133], off, off offset:496
	s_wait_loadcnt_dscnt 0xc01
	v_mul_f64_e32 v[176:177], v[4:5], v[156:157]
	v_mul_f64_e32 v[156:157], v[6:7], v[156:157]
	;; [unrolled: 18-line block ×5, first 2 shown]
	v_add_f64_e32 v[168:169], v[184:185], v[182:183]
	v_add_f64_e32 v[174:175], v[174:175], v[180:181]
	s_wait_loadcnt_dscnt 0xa00
	v_mul_f64_e32 v[180:181], v[146:147], v[14:15]
	v_mul_f64_e32 v[14:15], v[148:149], v[14:15]
	v_fmac_f64_e32 v[176:177], v[6:7], v[150:151]
	v_fma_f64 v[182:183], v[4:5], v[150:151], -v[152:153]
	ds_load_b128 v[4:7], v2 offset:1280
	ds_load_b128 v[150:153], v2 offset:1296
	v_add_f64_e32 v[184:185], v[168:169], v[166:167]
	v_add_f64_e32 v[174:175], v[174:175], v[178:179]
	scratch_load_b128 v[166:169], off, off offset:608
	v_fmac_f64_e32 v[180:181], v[148:149], v[12:13]
	v_fma_f64 v[146:147], v[146:147], v[12:13], -v[14:15]
	scratch_load_b128 v[12:15], off, off offset:624
	s_wait_loadcnt_dscnt 0xb01
	v_mul_f64_e32 v[178:179], v[4:5], v[136:137]
	v_mul_f64_e32 v[136:137], v[6:7], v[136:137]
	v_add_f64_e32 v[148:149], v[184:185], v[182:183]
	v_add_f64_e32 v[174:175], v[174:175], v[176:177]
	s_wait_loadcnt_dscnt 0xa00
	v_mul_f64_e32 v[176:177], v[150:151], v[128:129]
	v_mul_f64_e32 v[128:129], v[152:153], v[128:129]
	v_fmac_f64_e32 v[178:179], v[6:7], v[134:135]
	v_fma_f64 v[182:183], v[4:5], v[134:135], -v[136:137]
	ds_load_b128 v[4:7], v2 offset:1312
	ds_load_b128 v[134:137], v2 offset:1328
	v_add_f64_e32 v[184:185], v[148:149], v[146:147]
	v_add_f64_e32 v[174:175], v[174:175], v[180:181]
	scratch_load_b128 v[146:149], off, off offset:640
	s_wait_loadcnt_dscnt 0xa01
	v_mul_f64_e32 v[180:181], v[4:5], v[144:145]
	v_mul_f64_e32 v[144:145], v[6:7], v[144:145]
	v_fmac_f64_e32 v[176:177], v[152:153], v[126:127]
	v_fma_f64 v[150:151], v[150:151], v[126:127], -v[128:129]
	scratch_load_b128 v[126:129], off, off offset:656
	v_add_f64_e32 v[152:153], v[184:185], v[182:183]
	v_add_f64_e32 v[174:175], v[174:175], v[178:179]
	s_wait_loadcnt_dscnt 0xa00
	v_mul_f64_e32 v[178:179], v[134:135], v[132:133]
	v_mul_f64_e32 v[132:133], v[136:137], v[132:133]
	v_fmac_f64_e32 v[180:181], v[6:7], v[142:143]
	v_fma_f64 v[182:183], v[4:5], v[142:143], -v[144:145]
	ds_load_b128 v[4:7], v2 offset:1344
	ds_load_b128 v[142:145], v2 offset:1360
	v_add_f64_e32 v[184:185], v[152:153], v[150:151]
	v_add_f64_e32 v[174:175], v[174:175], v[176:177]
	scratch_load_b128 v[150:153], off, off offset:672
	s_wait_loadcnt_dscnt 0xa01
	v_mul_f64_e32 v[176:177], v[4:5], v[156:157]
	v_mul_f64_e32 v[156:157], v[6:7], v[156:157]
	v_fmac_f64_e32 v[178:179], v[136:137], v[130:131]
	v_fma_f64 v[134:135], v[134:135], v[130:131], -v[132:133]
	scratch_load_b128 v[130:133], off, off offset:688
	v_add_f64_e32 v[136:137], v[184:185], v[182:183]
	v_add_f64_e32 v[174:175], v[174:175], v[180:181]
	s_wait_loadcnt_dscnt 0xa00
	v_mul_f64_e32 v[180:181], v[142:143], v[140:141]
	v_mul_f64_e32 v[140:141], v[144:145], v[140:141]
	v_fmac_f64_e32 v[176:177], v[6:7], v[154:155]
	v_fma_f64 v[182:183], v[4:5], v[154:155], -v[156:157]
	v_add_f64_e32 v[184:185], v[136:137], v[134:135]
	v_add_f64_e32 v[174:175], v[174:175], v[178:179]
	ds_load_b128 v[4:7], v2 offset:1376
	ds_load_b128 v[134:137], v2 offset:1392
	scratch_load_b128 v[154:157], off, off offset:704
	v_fmac_f64_e32 v[180:181], v[144:145], v[138:139]
	v_fma_f64 v[142:143], v[142:143], v[138:139], -v[140:141]
	scratch_load_b128 v[138:141], off, off offset:720
	s_wait_loadcnt_dscnt 0xb01
	v_mul_f64_e32 v[178:179], v[4:5], v[172:173]
	v_mul_f64_e32 v[172:173], v[6:7], v[172:173]
	v_add_f64_e32 v[144:145], v[184:185], v[182:183]
	v_add_f64_e32 v[174:175], v[174:175], v[176:177]
	s_wait_loadcnt_dscnt 0xa00
	v_mul_f64_e32 v[176:177], v[134:135], v[10:11]
	v_mul_f64_e32 v[10:11], v[136:137], v[10:11]
	v_fmac_f64_e32 v[178:179], v[6:7], v[170:171]
	v_fma_f64 v[182:183], v[4:5], v[170:171], -v[172:173]
	v_add_f64_e32 v[184:185], v[144:145], v[142:143]
	v_add_f64_e32 v[174:175], v[174:175], v[180:181]
	ds_load_b128 v[4:7], v2 offset:1408
	ds_load_b128 v[142:145], v2 offset:1424
	scratch_load_b128 v[170:173], off, off offset:736
	v_fmac_f64_e32 v[176:177], v[136:137], v[8:9]
	v_fma_f64 v[134:135], v[134:135], v[8:9], -v[10:11]
	scratch_load_b128 v[8:11], off, off offset:752
	s_wait_loadcnt_dscnt 0xb01
	v_mul_f64_e32 v[180:181], v[4:5], v[160:161]
	v_mul_f64_e32 v[160:161], v[6:7], v[160:161]
	;; [unrolled: 18-line block ×4, first 2 shown]
	v_add_f64_e32 v[136:137], v[184:185], v[182:183]
	v_add_f64_e32 v[174:175], v[174:175], v[176:177]
	s_wait_loadcnt_dscnt 0xa00
	v_mul_f64_e32 v[176:177], v[142:143], v[128:129]
	v_mul_f64_e32 v[128:129], v[144:145], v[128:129]
	v_fmac_f64_e32 v[178:179], v[6:7], v[146:147]
	v_fma_f64 v[146:147], v[4:5], v[146:147], -v[148:149]
	v_add_f64_e32 v[148:149], v[136:137], v[134:135]
	v_add_f64_e32 v[174:175], v[174:175], v[180:181]
	ds_load_b128 v[4:7], v2 offset:1504
	ds_load_b128 v[134:137], v2 offset:1520
	v_fmac_f64_e32 v[176:177], v[144:145], v[126:127]
	v_fma_f64 v[126:127], v[142:143], v[126:127], -v[128:129]
	s_wait_loadcnt_dscnt 0x901
	v_mul_f64_e32 v[180:181], v[4:5], v[152:153]
	v_mul_f64_e32 v[152:153], v[6:7], v[152:153]
	s_wait_loadcnt_dscnt 0x800
	v_mul_f64_e32 v[144:145], v[134:135], v[132:133]
	v_mul_f64_e32 v[132:133], v[136:137], v[132:133]
	v_add_f64_e32 v[128:129], v[148:149], v[146:147]
	v_add_f64_e32 v[142:143], v[174:175], v[178:179]
	v_fmac_f64_e32 v[180:181], v[6:7], v[150:151]
	v_fma_f64 v[146:147], v[4:5], v[150:151], -v[152:153]
	v_fmac_f64_e32 v[144:145], v[136:137], v[130:131]
	v_fma_f64 v[130:131], v[134:135], v[130:131], -v[132:133]
	v_add_f64_e32 v[148:149], v[128:129], v[126:127]
	v_add_f64_e32 v[142:143], v[142:143], v[176:177]
	ds_load_b128 v[4:7], v2 offset:1536
	ds_load_b128 v[126:129], v2 offset:1552
	s_wait_loadcnt_dscnt 0x701
	v_mul_f64_e32 v[150:151], v[4:5], v[156:157]
	v_mul_f64_e32 v[152:153], v[6:7], v[156:157]
	s_wait_loadcnt_dscnt 0x600
	v_mul_f64_e32 v[136:137], v[126:127], v[140:141]
	v_mul_f64_e32 v[140:141], v[128:129], v[140:141]
	v_add_f64_e32 v[132:133], v[148:149], v[146:147]
	v_add_f64_e32 v[134:135], v[142:143], v[180:181]
	v_fmac_f64_e32 v[150:151], v[6:7], v[154:155]
	v_fma_f64 v[142:143], v[4:5], v[154:155], -v[152:153]
	v_fmac_f64_e32 v[136:137], v[128:129], v[138:139]
	v_fma_f64 v[126:127], v[126:127], v[138:139], -v[140:141]
	v_add_f64_e32 v[146:147], v[132:133], v[130:131]
	v_add_f64_e32 v[134:135], v[134:135], v[144:145]
	ds_load_b128 v[4:7], v2 offset:1568
	ds_load_b128 v[130:133], v2 offset:1584
	;; [unrolled: 16-line block ×4, first 2 shown]
	s_wait_loadcnt_dscnt 0x101
	v_mul_f64_e32 v[2:3], v[4:5], v[168:169]
	v_mul_f64_e32 v[138:139], v[6:7], v[168:169]
	s_wait_loadcnt_dscnt 0x0
	v_mul_f64_e32 v[128:129], v[8:9], v[14:15]
	v_mul_f64_e32 v[14:15], v[10:11], v[14:15]
	v_add_f64_e32 v[124:125], v[140:141], v[134:135]
	v_add_f64_e32 v[126:127], v[130:131], v[136:137]
	v_fmac_f64_e32 v[2:3], v[6:7], v[166:167]
	v_fma_f64 v[4:5], v[4:5], v[166:167], -v[138:139]
	v_fmac_f64_e32 v[128:129], v[10:11], v[12:13]
	v_fma_f64 v[8:9], v[8:9], v[12:13], -v[14:15]
	v_add_f64_e32 v[6:7], v[124:125], v[122:123]
	v_add_f64_e32 v[122:123], v[126:127], v[132:133]
	s_delay_alu instid0(VALU_DEP_2) | instskip(NEXT) | instid1(VALU_DEP_2)
	v_add_f64_e32 v[4:5], v[6:7], v[4:5]
	v_add_f64_e32 v[2:3], v[122:123], v[2:3]
	s_delay_alu instid0(VALU_DEP_2) | instskip(NEXT) | instid1(VALU_DEP_2)
	;; [unrolled: 3-line block ×3, first 2 shown]
	v_add_f64_e64 v[2:3], v[162:163], -v[4:5]
	v_add_f64_e64 v[4:5], v[164:165], -v[6:7]
	scratch_store_b128 off, v[2:5], off offset:144
	s_wait_xcnt 0x0
	v_cmpx_lt_u32_e32 8, v1
	s_cbranch_execz .LBB115_309
; %bb.308:
	scratch_load_b128 v[2:5], off, s60
	v_mov_b32_e32 v6, 0
	s_delay_alu instid0(VALU_DEP_1)
	v_dual_mov_b32 v7, v6 :: v_dual_mov_b32 v8, v6
	v_mov_b32_e32 v9, v6
	scratch_store_b128 off, v[6:9], off offset:128
	s_wait_loadcnt 0x0
	ds_store_b128 v120, v[2:5]
.LBB115_309:
	s_wait_xcnt 0x0
	s_or_b32 exec_lo, exec_lo, s2
	s_wait_storecnt_dscnt 0x0
	s_barrier_signal -1
	s_barrier_wait -1
	s_clause 0x9
	scratch_load_b128 v[4:7], off, off offset:144
	scratch_load_b128 v[8:11], off, off offset:160
	scratch_load_b128 v[12:15], off, off offset:176
	scratch_load_b128 v[122:125], off, off offset:192
	scratch_load_b128 v[126:129], off, off offset:208
	scratch_load_b128 v[130:133], off, off offset:224
	scratch_load_b128 v[134:137], off, off offset:240
	scratch_load_b128 v[138:141], off, off offset:256
	scratch_load_b128 v[142:145], off, off offset:272
	scratch_load_b128 v[146:149], off, off offset:288
	v_mov_b32_e32 v2, 0
	s_mov_b32 s2, exec_lo
	ds_load_b128 v[150:153], v2 offset:976
	s_clause 0x2
	scratch_load_b128 v[154:157], off, off offset:304
	scratch_load_b128 v[158:161], off, off offset:128
	;; [unrolled: 1-line block ×3, first 2 shown]
	s_wait_loadcnt_dscnt 0xc00
	v_mul_f64_e32 v[170:171], v[152:153], v[6:7]
	v_mul_f64_e32 v[174:175], v[150:151], v[6:7]
	ds_load_b128 v[162:165], v2 offset:992
	v_fma_f64 v[178:179], v[150:151], v[4:5], -v[170:171]
	v_fmac_f64_e32 v[174:175], v[152:153], v[4:5]
	ds_load_b128 v[4:7], v2 offset:1008
	s_wait_loadcnt_dscnt 0xb01
	v_mul_f64_e32 v[176:177], v[162:163], v[10:11]
	v_mul_f64_e32 v[10:11], v[164:165], v[10:11]
	scratch_load_b128 v[150:153], off, off offset:336
	ds_load_b128 v[170:173], v2 offset:1024
	s_wait_loadcnt_dscnt 0xb01
	v_mul_f64_e32 v[180:181], v[4:5], v[14:15]
	v_mul_f64_e32 v[14:15], v[6:7], v[14:15]
	v_add_f64_e32 v[174:175], 0, v[174:175]
	v_fmac_f64_e32 v[176:177], v[164:165], v[8:9]
	v_fma_f64 v[162:163], v[162:163], v[8:9], -v[10:11]
	v_add_f64_e32 v[164:165], 0, v[178:179]
	scratch_load_b128 v[8:11], off, off offset:352
	v_fmac_f64_e32 v[180:181], v[6:7], v[12:13]
	v_fma_f64 v[182:183], v[4:5], v[12:13], -v[14:15]
	ds_load_b128 v[4:7], v2 offset:1040
	s_wait_loadcnt_dscnt 0xb01
	v_mul_f64_e32 v[178:179], v[170:171], v[124:125]
	v_mul_f64_e32 v[124:125], v[172:173], v[124:125]
	scratch_load_b128 v[12:15], off, off offset:368
	v_add_f64_e32 v[174:175], v[174:175], v[176:177]
	v_add_f64_e32 v[184:185], v[164:165], v[162:163]
	ds_load_b128 v[162:165], v2 offset:1056
	s_wait_loadcnt_dscnt 0xb01
	v_mul_f64_e32 v[176:177], v[4:5], v[128:129]
	v_mul_f64_e32 v[128:129], v[6:7], v[128:129]
	v_fmac_f64_e32 v[178:179], v[172:173], v[122:123]
	v_fma_f64 v[170:171], v[170:171], v[122:123], -v[124:125]
	scratch_load_b128 v[122:125], off, off offset:384
	v_add_f64_e32 v[174:175], v[174:175], v[180:181]
	v_add_f64_e32 v[172:173], v[184:185], v[182:183]
	v_fmac_f64_e32 v[176:177], v[6:7], v[126:127]
	v_fma_f64 v[182:183], v[4:5], v[126:127], -v[128:129]
	ds_load_b128 v[4:7], v2 offset:1072
	s_wait_loadcnt_dscnt 0xb01
	v_mul_f64_e32 v[180:181], v[162:163], v[132:133]
	v_mul_f64_e32 v[132:133], v[164:165], v[132:133]
	scratch_load_b128 v[126:129], off, off offset:400
	v_add_f64_e32 v[174:175], v[174:175], v[178:179]
	s_wait_loadcnt_dscnt 0xb00
	v_mul_f64_e32 v[178:179], v[4:5], v[136:137]
	v_add_f64_e32 v[184:185], v[172:173], v[170:171]
	v_mul_f64_e32 v[136:137], v[6:7], v[136:137]
	ds_load_b128 v[170:173], v2 offset:1088
	v_fmac_f64_e32 v[180:181], v[164:165], v[130:131]
	v_fma_f64 v[162:163], v[162:163], v[130:131], -v[132:133]
	scratch_load_b128 v[130:133], off, off offset:416
	v_add_f64_e32 v[174:175], v[174:175], v[176:177]
	v_fmac_f64_e32 v[178:179], v[6:7], v[134:135]
	v_add_f64_e32 v[164:165], v[184:185], v[182:183]
	v_fma_f64 v[182:183], v[4:5], v[134:135], -v[136:137]
	ds_load_b128 v[4:7], v2 offset:1104
	s_wait_loadcnt_dscnt 0xb01
	v_mul_f64_e32 v[176:177], v[170:171], v[140:141]
	v_mul_f64_e32 v[140:141], v[172:173], v[140:141]
	scratch_load_b128 v[134:137], off, off offset:432
	v_add_f64_e32 v[174:175], v[174:175], v[180:181]
	s_wait_loadcnt_dscnt 0xb00
	v_mul_f64_e32 v[180:181], v[4:5], v[144:145]
	v_add_f64_e32 v[184:185], v[164:165], v[162:163]
	v_mul_f64_e32 v[144:145], v[6:7], v[144:145]
	ds_load_b128 v[162:165], v2 offset:1120
	v_fmac_f64_e32 v[176:177], v[172:173], v[138:139]
	v_fma_f64 v[170:171], v[170:171], v[138:139], -v[140:141]
	scratch_load_b128 v[138:141], off, off offset:448
	v_add_f64_e32 v[174:175], v[174:175], v[178:179]
	v_fmac_f64_e32 v[180:181], v[6:7], v[142:143]
	v_add_f64_e32 v[172:173], v[184:185], v[182:183]
	v_fma_f64 v[182:183], v[4:5], v[142:143], -v[144:145]
	ds_load_b128 v[4:7], v2 offset:1136
	s_wait_loadcnt_dscnt 0xb01
	v_mul_f64_e32 v[178:179], v[162:163], v[148:149]
	v_mul_f64_e32 v[148:149], v[164:165], v[148:149]
	scratch_load_b128 v[142:145], off, off offset:464
	v_add_f64_e32 v[174:175], v[174:175], v[176:177]
	s_wait_loadcnt_dscnt 0xb00
	v_mul_f64_e32 v[176:177], v[4:5], v[156:157]
	v_add_f64_e32 v[184:185], v[172:173], v[170:171]
	v_mul_f64_e32 v[156:157], v[6:7], v[156:157]
	ds_load_b128 v[170:173], v2 offset:1152
	v_fmac_f64_e32 v[178:179], v[164:165], v[146:147]
	v_fma_f64 v[162:163], v[162:163], v[146:147], -v[148:149]
	scratch_load_b128 v[146:149], off, off offset:480
	v_add_f64_e32 v[174:175], v[174:175], v[180:181]
	v_fmac_f64_e32 v[176:177], v[6:7], v[154:155]
	v_add_f64_e32 v[164:165], v[184:185], v[182:183]
	v_fma_f64 v[182:183], v[4:5], v[154:155], -v[156:157]
	ds_load_b128 v[4:7], v2 offset:1168
	s_wait_loadcnt_dscnt 0xa01
	v_mul_f64_e32 v[180:181], v[170:171], v[168:169]
	v_mul_f64_e32 v[168:169], v[172:173], v[168:169]
	scratch_load_b128 v[154:157], off, off offset:496
	v_add_f64_e32 v[174:175], v[174:175], v[178:179]
	v_add_f64_e32 v[184:185], v[164:165], v[162:163]
	s_wait_loadcnt_dscnt 0xa00
	v_mul_f64_e32 v[178:179], v[4:5], v[152:153]
	v_mul_f64_e32 v[152:153], v[6:7], v[152:153]
	v_fmac_f64_e32 v[180:181], v[172:173], v[166:167]
	v_fma_f64 v[170:171], v[170:171], v[166:167], -v[168:169]
	ds_load_b128 v[162:165], v2 offset:1184
	scratch_load_b128 v[166:169], off, off offset:512
	v_add_f64_e32 v[174:175], v[174:175], v[176:177]
	v_add_f64_e32 v[172:173], v[184:185], v[182:183]
	v_fmac_f64_e32 v[178:179], v[6:7], v[150:151]
	v_fma_f64 v[182:183], v[4:5], v[150:151], -v[152:153]
	ds_load_b128 v[4:7], v2 offset:1200
	s_wait_loadcnt_dscnt 0xa01
	v_mul_f64_e32 v[176:177], v[162:163], v[10:11]
	v_mul_f64_e32 v[10:11], v[164:165], v[10:11]
	scratch_load_b128 v[150:153], off, off offset:528
	v_add_f64_e32 v[174:175], v[174:175], v[180:181]
	s_wait_loadcnt_dscnt 0xa00
	v_mul_f64_e32 v[180:181], v[4:5], v[14:15]
	v_add_f64_e32 v[184:185], v[172:173], v[170:171]
	v_mul_f64_e32 v[14:15], v[6:7], v[14:15]
	ds_load_b128 v[170:173], v2 offset:1216
	v_fmac_f64_e32 v[176:177], v[164:165], v[8:9]
	v_fma_f64 v[162:163], v[162:163], v[8:9], -v[10:11]
	scratch_load_b128 v[8:11], off, off offset:544
	v_add_f64_e32 v[174:175], v[174:175], v[178:179]
	v_fmac_f64_e32 v[180:181], v[6:7], v[12:13]
	v_add_f64_e32 v[164:165], v[184:185], v[182:183]
	v_fma_f64 v[182:183], v[4:5], v[12:13], -v[14:15]
	ds_load_b128 v[4:7], v2 offset:1232
	s_wait_loadcnt_dscnt 0xa01
	v_mul_f64_e32 v[178:179], v[170:171], v[124:125]
	v_mul_f64_e32 v[124:125], v[172:173], v[124:125]
	scratch_load_b128 v[12:15], off, off offset:560
	v_add_f64_e32 v[174:175], v[174:175], v[176:177]
	s_wait_loadcnt_dscnt 0xa00
	v_mul_f64_e32 v[176:177], v[4:5], v[128:129]
	v_add_f64_e32 v[184:185], v[164:165], v[162:163]
	v_mul_f64_e32 v[128:129], v[6:7], v[128:129]
	ds_load_b128 v[162:165], v2 offset:1248
	v_fmac_f64_e32 v[178:179], v[172:173], v[122:123]
	v_fma_f64 v[170:171], v[170:171], v[122:123], -v[124:125]
	scratch_load_b128 v[122:125], off, off offset:576
	v_add_f64_e32 v[174:175], v[174:175], v[180:181]
	v_fmac_f64_e32 v[176:177], v[6:7], v[126:127]
	v_add_f64_e32 v[172:173], v[184:185], v[182:183]
	;; [unrolled: 18-line block ×9, first 2 shown]
	v_fma_f64 v[182:183], v[4:5], v[134:135], -v[136:137]
	ds_load_b128 v[4:7], v2 offset:1488
	s_wait_loadcnt_dscnt 0xa01
	v_mul_f64_e32 v[176:177], v[170:171], v[140:141]
	v_mul_f64_e32 v[140:141], v[172:173], v[140:141]
	scratch_load_b128 v[134:137], off, off offset:816
	v_add_f64_e32 v[174:175], v[174:175], v[180:181]
	s_wait_loadcnt_dscnt 0xa00
	v_mul_f64_e32 v[180:181], v[4:5], v[144:145]
	v_add_f64_e32 v[184:185], v[164:165], v[162:163]
	v_mul_f64_e32 v[144:145], v[6:7], v[144:145]
	ds_load_b128 v[162:165], v2 offset:1504
	v_fmac_f64_e32 v[176:177], v[172:173], v[138:139]
	v_fma_f64 v[138:139], v[170:171], v[138:139], -v[140:141]
	s_wait_loadcnt_dscnt 0x900
	v_mul_f64_e32 v[172:173], v[162:163], v[148:149]
	v_mul_f64_e32 v[148:149], v[164:165], v[148:149]
	v_add_f64_e32 v[170:171], v[174:175], v[178:179]
	v_fmac_f64_e32 v[180:181], v[6:7], v[142:143]
	v_add_f64_e32 v[140:141], v[184:185], v[182:183]
	v_fma_f64 v[142:143], v[4:5], v[142:143], -v[144:145]
	v_fmac_f64_e32 v[172:173], v[164:165], v[146:147]
	v_fma_f64 v[146:147], v[162:163], v[146:147], -v[148:149]
	v_add_f64_e32 v[170:171], v[170:171], v[176:177]
	v_add_f64_e32 v[144:145], v[140:141], v[138:139]
	ds_load_b128 v[4:7], v2 offset:1520
	ds_load_b128 v[138:141], v2 offset:1536
	s_wait_loadcnt_dscnt 0x801
	v_mul_f64_e32 v[174:175], v[4:5], v[156:157]
	v_mul_f64_e32 v[156:157], v[6:7], v[156:157]
	s_wait_loadcnt_dscnt 0x700
	v_mul_f64_e32 v[148:149], v[138:139], v[168:169]
	v_mul_f64_e32 v[162:163], v[140:141], v[168:169]
	v_add_f64_e32 v[142:143], v[144:145], v[142:143]
	v_add_f64_e32 v[144:145], v[170:171], v[180:181]
	v_fmac_f64_e32 v[174:175], v[6:7], v[154:155]
	v_fma_f64 v[154:155], v[4:5], v[154:155], -v[156:157]
	v_fmac_f64_e32 v[148:149], v[140:141], v[166:167]
	v_fma_f64 v[138:139], v[138:139], v[166:167], -v[162:163]
	v_add_f64_e32 v[146:147], v[142:143], v[146:147]
	v_add_f64_e32 v[156:157], v[144:145], v[172:173]
	ds_load_b128 v[4:7], v2 offset:1552
	ds_load_b128 v[142:145], v2 offset:1568
	s_wait_loadcnt_dscnt 0x601
	v_mul_f64_e32 v[164:165], v[4:5], v[152:153]
	v_mul_f64_e32 v[152:153], v[6:7], v[152:153]
	v_add_f64_e32 v[140:141], v[146:147], v[154:155]
	v_add_f64_e32 v[146:147], v[156:157], v[174:175]
	s_wait_loadcnt_dscnt 0x500
	v_mul_f64_e32 v[154:155], v[142:143], v[10:11]
	v_mul_f64_e32 v[10:11], v[144:145], v[10:11]
	v_fmac_f64_e32 v[164:165], v[6:7], v[150:151]
	v_fma_f64 v[150:151], v[4:5], v[150:151], -v[152:153]
	v_add_f64_e32 v[152:153], v[140:141], v[138:139]
	v_add_f64_e32 v[146:147], v[146:147], v[148:149]
	ds_load_b128 v[4:7], v2 offset:1584
	ds_load_b128 v[138:141], v2 offset:1600
	v_fmac_f64_e32 v[154:155], v[144:145], v[8:9]
	v_fma_f64 v[8:9], v[142:143], v[8:9], -v[10:11]
	s_wait_loadcnt_dscnt 0x401
	v_mul_f64_e32 v[148:149], v[4:5], v[14:15]
	v_mul_f64_e32 v[14:15], v[6:7], v[14:15]
	s_wait_loadcnt_dscnt 0x300
	v_mul_f64_e32 v[144:145], v[138:139], v[124:125]
	v_mul_f64_e32 v[124:125], v[140:141], v[124:125]
	v_add_f64_e32 v[10:11], v[152:153], v[150:151]
	v_add_f64_e32 v[142:143], v[146:147], v[164:165]
	v_fmac_f64_e32 v[148:149], v[6:7], v[12:13]
	v_fma_f64 v[12:13], v[4:5], v[12:13], -v[14:15]
	v_fmac_f64_e32 v[144:145], v[140:141], v[122:123]
	v_fma_f64 v[122:123], v[138:139], v[122:123], -v[124:125]
	v_add_f64_e32 v[14:15], v[10:11], v[8:9]
	v_add_f64_e32 v[142:143], v[142:143], v[154:155]
	ds_load_b128 v[4:7], v2 offset:1616
	ds_load_b128 v[8:11], v2 offset:1632
	s_wait_loadcnt_dscnt 0x201
	v_mul_f64_e32 v[146:147], v[4:5], v[128:129]
	v_mul_f64_e32 v[128:129], v[6:7], v[128:129]
	s_wait_loadcnt_dscnt 0x100
	v_mul_f64_e32 v[124:125], v[8:9], v[132:133]
	v_mul_f64_e32 v[132:133], v[10:11], v[132:133]
	v_add_f64_e32 v[12:13], v[14:15], v[12:13]
	v_add_f64_e32 v[14:15], v[142:143], v[148:149]
	v_fmac_f64_e32 v[146:147], v[6:7], v[126:127]
	v_fma_f64 v[126:127], v[4:5], v[126:127], -v[128:129]
	ds_load_b128 v[4:7], v2 offset:1648
	v_fmac_f64_e32 v[124:125], v[10:11], v[130:131]
	v_fma_f64 v[8:9], v[8:9], v[130:131], -v[132:133]
	v_add_f64_e32 v[12:13], v[12:13], v[122:123]
	v_add_f64_e32 v[14:15], v[14:15], v[144:145]
	s_wait_loadcnt_dscnt 0x0
	v_mul_f64_e32 v[122:123], v[4:5], v[136:137]
	v_mul_f64_e32 v[128:129], v[6:7], v[136:137]
	s_delay_alu instid0(VALU_DEP_4) | instskip(NEXT) | instid1(VALU_DEP_4)
	v_add_f64_e32 v[10:11], v[12:13], v[126:127]
	v_add_f64_e32 v[12:13], v[14:15], v[146:147]
	s_delay_alu instid0(VALU_DEP_4) | instskip(NEXT) | instid1(VALU_DEP_4)
	v_fmac_f64_e32 v[122:123], v[6:7], v[134:135]
	v_fma_f64 v[4:5], v[4:5], v[134:135], -v[128:129]
	s_delay_alu instid0(VALU_DEP_4) | instskip(NEXT) | instid1(VALU_DEP_4)
	v_add_f64_e32 v[6:7], v[10:11], v[8:9]
	v_add_f64_e32 v[8:9], v[12:13], v[124:125]
	s_delay_alu instid0(VALU_DEP_2) | instskip(NEXT) | instid1(VALU_DEP_2)
	v_add_f64_e32 v[4:5], v[6:7], v[4:5]
	v_add_f64_e32 v[6:7], v[8:9], v[122:123]
	s_delay_alu instid0(VALU_DEP_2) | instskip(NEXT) | instid1(VALU_DEP_2)
	v_add_f64_e64 v[4:5], v[158:159], -v[4:5]
	v_add_f64_e64 v[6:7], v[160:161], -v[6:7]
	scratch_store_b128 off, v[4:7], off offset:128
	s_wait_xcnt 0x0
	v_cmpx_lt_u32_e32 7, v1
	s_cbranch_execz .LBB115_311
; %bb.310:
	scratch_load_b128 v[6:9], off, s61
	v_dual_mov_b32 v3, v2 :: v_dual_mov_b32 v4, v2
	v_mov_b32_e32 v5, v2
	scratch_store_b128 off, v[2:5], off offset:112
	s_wait_loadcnt 0x0
	ds_store_b128 v120, v[6:9]
.LBB115_311:
	s_wait_xcnt 0x0
	s_or_b32 exec_lo, exec_lo, s2
	s_wait_storecnt_dscnt 0x0
	s_barrier_signal -1
	s_barrier_wait -1
	s_clause 0x9
	scratch_load_b128 v[4:7], off, off offset:128
	scratch_load_b128 v[8:11], off, off offset:144
	;; [unrolled: 1-line block ×10, first 2 shown]
	ds_load_b128 v[150:153], v2 offset:960
	ds_load_b128 v[158:161], v2 offset:976
	s_clause 0x2
	scratch_load_b128 v[154:157], off, off offset:288
	scratch_load_b128 v[162:165], off, off offset:112
	;; [unrolled: 1-line block ×3, first 2 shown]
	s_mov_b32 s2, exec_lo
	s_wait_loadcnt_dscnt 0xc01
	v_mul_f64_e32 v[170:171], v[152:153], v[6:7]
	v_mul_f64_e32 v[174:175], v[150:151], v[6:7]
	s_wait_loadcnt_dscnt 0xb00
	v_mul_f64_e32 v[176:177], v[158:159], v[10:11]
	v_mul_f64_e32 v[10:11], v[160:161], v[10:11]
	s_delay_alu instid0(VALU_DEP_4) | instskip(NEXT) | instid1(VALU_DEP_4)
	v_fma_f64 v[178:179], v[150:151], v[4:5], -v[170:171]
	v_fmac_f64_e32 v[174:175], v[152:153], v[4:5]
	ds_load_b128 v[4:7], v2 offset:992
	ds_load_b128 v[150:153], v2 offset:1008
	scratch_load_b128 v[170:173], off, off offset:320
	v_fmac_f64_e32 v[176:177], v[160:161], v[8:9]
	v_fma_f64 v[158:159], v[158:159], v[8:9], -v[10:11]
	scratch_load_b128 v[8:11], off, off offset:336
	s_wait_loadcnt_dscnt 0xc01
	v_mul_f64_e32 v[180:181], v[4:5], v[14:15]
	v_mul_f64_e32 v[14:15], v[6:7], v[14:15]
	v_add_f64_e32 v[160:161], 0, v[178:179]
	v_add_f64_e32 v[174:175], 0, v[174:175]
	s_wait_loadcnt_dscnt 0xb00
	v_mul_f64_e32 v[178:179], v[150:151], v[124:125]
	v_mul_f64_e32 v[124:125], v[152:153], v[124:125]
	v_fmac_f64_e32 v[180:181], v[6:7], v[12:13]
	v_fma_f64 v[182:183], v[4:5], v[12:13], -v[14:15]
	ds_load_b128 v[4:7], v2 offset:1024
	ds_load_b128 v[12:15], v2 offset:1040
	v_add_f64_e32 v[184:185], v[160:161], v[158:159]
	v_add_f64_e32 v[174:175], v[174:175], v[176:177]
	scratch_load_b128 v[158:161], off, off offset:352
	v_fmac_f64_e32 v[178:179], v[152:153], v[122:123]
	v_fma_f64 v[150:151], v[150:151], v[122:123], -v[124:125]
	scratch_load_b128 v[122:125], off, off offset:368
	s_wait_loadcnt_dscnt 0xc01
	v_mul_f64_e32 v[176:177], v[4:5], v[128:129]
	v_mul_f64_e32 v[128:129], v[6:7], v[128:129]
	v_add_f64_e32 v[152:153], v[184:185], v[182:183]
	v_add_f64_e32 v[174:175], v[174:175], v[180:181]
	s_wait_loadcnt_dscnt 0xb00
	v_mul_f64_e32 v[180:181], v[12:13], v[132:133]
	v_mul_f64_e32 v[132:133], v[14:15], v[132:133]
	v_fmac_f64_e32 v[176:177], v[6:7], v[126:127]
	v_fma_f64 v[182:183], v[4:5], v[126:127], -v[128:129]
	ds_load_b128 v[4:7], v2 offset:1056
	ds_load_b128 v[126:129], v2 offset:1072
	v_add_f64_e32 v[184:185], v[152:153], v[150:151]
	v_add_f64_e32 v[174:175], v[174:175], v[178:179]
	scratch_load_b128 v[150:153], off, off offset:384
	s_wait_loadcnt_dscnt 0xb01
	v_mul_f64_e32 v[178:179], v[4:5], v[136:137]
	v_mul_f64_e32 v[136:137], v[6:7], v[136:137]
	v_fmac_f64_e32 v[180:181], v[14:15], v[130:131]
	v_fma_f64 v[130:131], v[12:13], v[130:131], -v[132:133]
	scratch_load_b128 v[12:15], off, off offset:400
	v_add_f64_e32 v[132:133], v[184:185], v[182:183]
	v_add_f64_e32 v[174:175], v[174:175], v[176:177]
	s_wait_loadcnt_dscnt 0xb00
	v_mul_f64_e32 v[176:177], v[126:127], v[140:141]
	v_mul_f64_e32 v[140:141], v[128:129], v[140:141]
	v_fmac_f64_e32 v[178:179], v[6:7], v[134:135]
	v_fma_f64 v[182:183], v[4:5], v[134:135], -v[136:137]
	v_add_f64_e32 v[184:185], v[132:133], v[130:131]
	v_add_f64_e32 v[174:175], v[174:175], v[180:181]
	ds_load_b128 v[4:7], v2 offset:1088
	ds_load_b128 v[130:133], v2 offset:1104
	scratch_load_b128 v[134:137], off, off offset:416
	v_fmac_f64_e32 v[176:177], v[128:129], v[138:139]
	v_fma_f64 v[138:139], v[126:127], v[138:139], -v[140:141]
	scratch_load_b128 v[126:129], off, off offset:432
	s_wait_loadcnt_dscnt 0xc01
	v_mul_f64_e32 v[180:181], v[4:5], v[144:145]
	v_mul_f64_e32 v[144:145], v[6:7], v[144:145]
	v_add_f64_e32 v[140:141], v[184:185], v[182:183]
	v_add_f64_e32 v[174:175], v[174:175], v[178:179]
	s_wait_loadcnt_dscnt 0xb00
	v_mul_f64_e32 v[178:179], v[130:131], v[148:149]
	v_mul_f64_e32 v[148:149], v[132:133], v[148:149]
	v_fmac_f64_e32 v[180:181], v[6:7], v[142:143]
	v_fma_f64 v[182:183], v[4:5], v[142:143], -v[144:145]
	v_add_f64_e32 v[184:185], v[140:141], v[138:139]
	v_add_f64_e32 v[174:175], v[174:175], v[176:177]
	ds_load_b128 v[4:7], v2 offset:1120
	ds_load_b128 v[138:141], v2 offset:1136
	scratch_load_b128 v[142:145], off, off offset:448
	v_fmac_f64_e32 v[178:179], v[132:133], v[146:147]
	v_fma_f64 v[146:147], v[130:131], v[146:147], -v[148:149]
	scratch_load_b128 v[130:133], off, off offset:464
	s_wait_loadcnt_dscnt 0xc01
	v_mul_f64_e32 v[176:177], v[4:5], v[156:157]
	v_mul_f64_e32 v[156:157], v[6:7], v[156:157]
	;; [unrolled: 18-line block ×5, first 2 shown]
	v_add_f64_e32 v[168:169], v[184:185], v[182:183]
	v_add_f64_e32 v[174:175], v[174:175], v[180:181]
	s_wait_loadcnt_dscnt 0xa00
	v_mul_f64_e32 v[180:181], v[146:147], v[14:15]
	v_mul_f64_e32 v[14:15], v[148:149], v[14:15]
	v_fmac_f64_e32 v[176:177], v[6:7], v[150:151]
	v_fma_f64 v[182:183], v[4:5], v[150:151], -v[152:153]
	ds_load_b128 v[4:7], v2 offset:1248
	ds_load_b128 v[150:153], v2 offset:1264
	v_add_f64_e32 v[184:185], v[168:169], v[166:167]
	v_add_f64_e32 v[174:175], v[174:175], v[178:179]
	scratch_load_b128 v[166:169], off, off offset:576
	v_fmac_f64_e32 v[180:181], v[148:149], v[12:13]
	v_fma_f64 v[146:147], v[146:147], v[12:13], -v[14:15]
	scratch_load_b128 v[12:15], off, off offset:592
	s_wait_loadcnt_dscnt 0xb01
	v_mul_f64_e32 v[178:179], v[4:5], v[136:137]
	v_mul_f64_e32 v[136:137], v[6:7], v[136:137]
	v_add_f64_e32 v[148:149], v[184:185], v[182:183]
	v_add_f64_e32 v[174:175], v[174:175], v[176:177]
	s_wait_loadcnt_dscnt 0xa00
	v_mul_f64_e32 v[176:177], v[150:151], v[128:129]
	v_mul_f64_e32 v[128:129], v[152:153], v[128:129]
	v_fmac_f64_e32 v[178:179], v[6:7], v[134:135]
	v_fma_f64 v[182:183], v[4:5], v[134:135], -v[136:137]
	ds_load_b128 v[4:7], v2 offset:1280
	ds_load_b128 v[134:137], v2 offset:1296
	v_add_f64_e32 v[184:185], v[148:149], v[146:147]
	v_add_f64_e32 v[174:175], v[174:175], v[180:181]
	scratch_load_b128 v[146:149], off, off offset:608
	s_wait_loadcnt_dscnt 0xa01
	v_mul_f64_e32 v[180:181], v[4:5], v[144:145]
	v_mul_f64_e32 v[144:145], v[6:7], v[144:145]
	v_fmac_f64_e32 v[176:177], v[152:153], v[126:127]
	v_fma_f64 v[150:151], v[150:151], v[126:127], -v[128:129]
	scratch_load_b128 v[126:129], off, off offset:624
	v_add_f64_e32 v[152:153], v[184:185], v[182:183]
	v_add_f64_e32 v[174:175], v[174:175], v[178:179]
	s_wait_loadcnt_dscnt 0xa00
	v_mul_f64_e32 v[178:179], v[134:135], v[132:133]
	v_mul_f64_e32 v[132:133], v[136:137], v[132:133]
	v_fmac_f64_e32 v[180:181], v[6:7], v[142:143]
	v_fma_f64 v[182:183], v[4:5], v[142:143], -v[144:145]
	ds_load_b128 v[4:7], v2 offset:1312
	ds_load_b128 v[142:145], v2 offset:1328
	v_add_f64_e32 v[184:185], v[152:153], v[150:151]
	v_add_f64_e32 v[174:175], v[174:175], v[176:177]
	scratch_load_b128 v[150:153], off, off offset:640
	s_wait_loadcnt_dscnt 0xa01
	v_mul_f64_e32 v[176:177], v[4:5], v[156:157]
	v_mul_f64_e32 v[156:157], v[6:7], v[156:157]
	v_fmac_f64_e32 v[178:179], v[136:137], v[130:131]
	v_fma_f64 v[134:135], v[134:135], v[130:131], -v[132:133]
	scratch_load_b128 v[130:133], off, off offset:656
	v_add_f64_e32 v[136:137], v[184:185], v[182:183]
	v_add_f64_e32 v[174:175], v[174:175], v[180:181]
	s_wait_loadcnt_dscnt 0xa00
	v_mul_f64_e32 v[180:181], v[142:143], v[140:141]
	v_mul_f64_e32 v[140:141], v[144:145], v[140:141]
	v_fmac_f64_e32 v[176:177], v[6:7], v[154:155]
	v_fma_f64 v[182:183], v[4:5], v[154:155], -v[156:157]
	v_add_f64_e32 v[184:185], v[136:137], v[134:135]
	v_add_f64_e32 v[174:175], v[174:175], v[178:179]
	ds_load_b128 v[4:7], v2 offset:1344
	ds_load_b128 v[134:137], v2 offset:1360
	scratch_load_b128 v[154:157], off, off offset:672
	v_fmac_f64_e32 v[180:181], v[144:145], v[138:139]
	v_fma_f64 v[142:143], v[142:143], v[138:139], -v[140:141]
	scratch_load_b128 v[138:141], off, off offset:688
	s_wait_loadcnt_dscnt 0xb01
	v_mul_f64_e32 v[178:179], v[4:5], v[172:173]
	v_mul_f64_e32 v[172:173], v[6:7], v[172:173]
	v_add_f64_e32 v[144:145], v[184:185], v[182:183]
	v_add_f64_e32 v[174:175], v[174:175], v[176:177]
	s_wait_loadcnt_dscnt 0xa00
	v_mul_f64_e32 v[176:177], v[134:135], v[10:11]
	v_mul_f64_e32 v[10:11], v[136:137], v[10:11]
	v_fmac_f64_e32 v[178:179], v[6:7], v[170:171]
	v_fma_f64 v[182:183], v[4:5], v[170:171], -v[172:173]
	v_add_f64_e32 v[184:185], v[144:145], v[142:143]
	v_add_f64_e32 v[174:175], v[174:175], v[180:181]
	ds_load_b128 v[4:7], v2 offset:1376
	ds_load_b128 v[142:145], v2 offset:1392
	scratch_load_b128 v[170:173], off, off offset:704
	v_fmac_f64_e32 v[176:177], v[136:137], v[8:9]
	v_fma_f64 v[134:135], v[134:135], v[8:9], -v[10:11]
	scratch_load_b128 v[8:11], off, off offset:720
	s_wait_loadcnt_dscnt 0xb01
	v_mul_f64_e32 v[180:181], v[4:5], v[160:161]
	v_mul_f64_e32 v[160:161], v[6:7], v[160:161]
	;; [unrolled: 18-line block ×5, first 2 shown]
	v_add_f64_e32 v[144:145], v[184:185], v[182:183]
	v_add_f64_e32 v[174:175], v[174:175], v[178:179]
	s_wait_loadcnt_dscnt 0xa00
	v_mul_f64_e32 v[178:179], v[134:135], v[132:133]
	v_mul_f64_e32 v[132:133], v[136:137], v[132:133]
	v_fmac_f64_e32 v[180:181], v[6:7], v[150:151]
	v_fma_f64 v[150:151], v[4:5], v[150:151], -v[152:153]
	v_add_f64_e32 v[152:153], v[144:145], v[142:143]
	v_add_f64_e32 v[174:175], v[174:175], v[176:177]
	ds_load_b128 v[4:7], v2 offset:1504
	ds_load_b128 v[142:145], v2 offset:1520
	v_fmac_f64_e32 v[178:179], v[136:137], v[130:131]
	v_fma_f64 v[130:131], v[134:135], v[130:131], -v[132:133]
	s_wait_loadcnt_dscnt 0x901
	v_mul_f64_e32 v[176:177], v[4:5], v[156:157]
	v_mul_f64_e32 v[156:157], v[6:7], v[156:157]
	s_wait_loadcnt_dscnt 0x800
	v_mul_f64_e32 v[136:137], v[142:143], v[140:141]
	v_mul_f64_e32 v[140:141], v[144:145], v[140:141]
	v_add_f64_e32 v[132:133], v[152:153], v[150:151]
	v_add_f64_e32 v[134:135], v[174:175], v[180:181]
	v_fmac_f64_e32 v[176:177], v[6:7], v[154:155]
	v_fma_f64 v[150:151], v[4:5], v[154:155], -v[156:157]
	v_fmac_f64_e32 v[136:137], v[144:145], v[138:139]
	v_fma_f64 v[138:139], v[142:143], v[138:139], -v[140:141]
	v_add_f64_e32 v[152:153], v[132:133], v[130:131]
	v_add_f64_e32 v[134:135], v[134:135], v[178:179]
	ds_load_b128 v[4:7], v2 offset:1536
	ds_load_b128 v[130:133], v2 offset:1552
	s_wait_loadcnt_dscnt 0x701
	v_mul_f64_e32 v[154:155], v[4:5], v[172:173]
	v_mul_f64_e32 v[156:157], v[6:7], v[172:173]
	s_wait_loadcnt_dscnt 0x600
	v_mul_f64_e32 v[142:143], v[130:131], v[10:11]
	v_mul_f64_e32 v[10:11], v[132:133], v[10:11]
	v_add_f64_e32 v[140:141], v[152:153], v[150:151]
	v_add_f64_e32 v[134:135], v[134:135], v[176:177]
	v_fmac_f64_e32 v[154:155], v[6:7], v[170:171]
	v_fma_f64 v[144:145], v[4:5], v[170:171], -v[156:157]
	v_fmac_f64_e32 v[142:143], v[132:133], v[8:9]
	v_fma_f64 v[8:9], v[130:131], v[8:9], -v[10:11]
	v_add_f64_e32 v[138:139], v[140:141], v[138:139]
	v_add_f64_e32 v[140:141], v[134:135], v[136:137]
	ds_load_b128 v[4:7], v2 offset:1568
	ds_load_b128 v[134:137], v2 offset:1584
	;; [unrolled: 16-line block ×4, first 2 shown]
	s_wait_loadcnt_dscnt 0x101
	v_mul_f64_e32 v[2:3], v[4:5], v[148:149]
	v_mul_f64_e32 v[132:133], v[6:7], v[148:149]
	s_wait_loadcnt_dscnt 0x0
	v_mul_f64_e32 v[14:15], v[122:123], v[128:129]
	v_mul_f64_e32 v[128:129], v[124:125], v[128:129]
	v_add_f64_e32 v[10:11], v[138:139], v[136:137]
	v_add_f64_e32 v[12:13], v[130:131], v[142:143]
	v_fmac_f64_e32 v[2:3], v[6:7], v[146:147]
	v_fma_f64 v[4:5], v[4:5], v[146:147], -v[132:133]
	v_fmac_f64_e32 v[14:15], v[124:125], v[126:127]
	v_add_f64_e32 v[6:7], v[10:11], v[8:9]
	v_add_f64_e32 v[8:9], v[12:13], v[134:135]
	v_fma_f64 v[10:11], v[122:123], v[126:127], -v[128:129]
	s_delay_alu instid0(VALU_DEP_3) | instskip(NEXT) | instid1(VALU_DEP_3)
	v_add_f64_e32 v[4:5], v[6:7], v[4:5]
	v_add_f64_e32 v[2:3], v[8:9], v[2:3]
	s_delay_alu instid0(VALU_DEP_2) | instskip(NEXT) | instid1(VALU_DEP_2)
	v_add_f64_e32 v[4:5], v[4:5], v[10:11]
	v_add_f64_e32 v[6:7], v[2:3], v[14:15]
	s_delay_alu instid0(VALU_DEP_2) | instskip(NEXT) | instid1(VALU_DEP_2)
	v_add_f64_e64 v[2:3], v[162:163], -v[4:5]
	v_add_f64_e64 v[4:5], v[164:165], -v[6:7]
	scratch_store_b128 off, v[2:5], off offset:112
	s_wait_xcnt 0x0
	v_cmpx_lt_u32_e32 6, v1
	s_cbranch_execz .LBB115_313
; %bb.312:
	scratch_load_b128 v[2:5], off, s62
	v_mov_b32_e32 v6, 0
	s_delay_alu instid0(VALU_DEP_1)
	v_dual_mov_b32 v7, v6 :: v_dual_mov_b32 v8, v6
	v_mov_b32_e32 v9, v6
	scratch_store_b128 off, v[6:9], off offset:96
	s_wait_loadcnt 0x0
	ds_store_b128 v120, v[2:5]
.LBB115_313:
	s_wait_xcnt 0x0
	s_or_b32 exec_lo, exec_lo, s2
	s_wait_storecnt_dscnt 0x0
	s_barrier_signal -1
	s_barrier_wait -1
	s_clause 0x9
	scratch_load_b128 v[4:7], off, off offset:112
	scratch_load_b128 v[8:11], off, off offset:128
	;; [unrolled: 1-line block ×10, first 2 shown]
	v_mov_b32_e32 v2, 0
	s_mov_b32 s2, exec_lo
	ds_load_b128 v[150:153], v2 offset:944
	s_clause 0x2
	scratch_load_b128 v[154:157], off, off offset:272
	scratch_load_b128 v[158:161], off, off offset:96
	;; [unrolled: 1-line block ×3, first 2 shown]
	s_wait_loadcnt_dscnt 0xc00
	v_mul_f64_e32 v[170:171], v[152:153], v[6:7]
	v_mul_f64_e32 v[174:175], v[150:151], v[6:7]
	ds_load_b128 v[162:165], v2 offset:960
	v_fma_f64 v[178:179], v[150:151], v[4:5], -v[170:171]
	v_fmac_f64_e32 v[174:175], v[152:153], v[4:5]
	ds_load_b128 v[4:7], v2 offset:976
	s_wait_loadcnt_dscnt 0xb01
	v_mul_f64_e32 v[176:177], v[162:163], v[10:11]
	v_mul_f64_e32 v[10:11], v[164:165], v[10:11]
	scratch_load_b128 v[150:153], off, off offset:304
	ds_load_b128 v[170:173], v2 offset:992
	s_wait_loadcnt_dscnt 0xb01
	v_mul_f64_e32 v[180:181], v[4:5], v[14:15]
	v_mul_f64_e32 v[14:15], v[6:7], v[14:15]
	v_add_f64_e32 v[174:175], 0, v[174:175]
	v_fmac_f64_e32 v[176:177], v[164:165], v[8:9]
	v_fma_f64 v[162:163], v[162:163], v[8:9], -v[10:11]
	v_add_f64_e32 v[164:165], 0, v[178:179]
	scratch_load_b128 v[8:11], off, off offset:320
	v_fmac_f64_e32 v[180:181], v[6:7], v[12:13]
	v_fma_f64 v[182:183], v[4:5], v[12:13], -v[14:15]
	ds_load_b128 v[4:7], v2 offset:1008
	s_wait_loadcnt_dscnt 0xb01
	v_mul_f64_e32 v[178:179], v[170:171], v[124:125]
	v_mul_f64_e32 v[124:125], v[172:173], v[124:125]
	scratch_load_b128 v[12:15], off, off offset:336
	v_add_f64_e32 v[174:175], v[174:175], v[176:177]
	v_add_f64_e32 v[184:185], v[164:165], v[162:163]
	ds_load_b128 v[162:165], v2 offset:1024
	s_wait_loadcnt_dscnt 0xb01
	v_mul_f64_e32 v[176:177], v[4:5], v[128:129]
	v_mul_f64_e32 v[128:129], v[6:7], v[128:129]
	v_fmac_f64_e32 v[178:179], v[172:173], v[122:123]
	v_fma_f64 v[170:171], v[170:171], v[122:123], -v[124:125]
	scratch_load_b128 v[122:125], off, off offset:352
	v_add_f64_e32 v[174:175], v[174:175], v[180:181]
	v_add_f64_e32 v[172:173], v[184:185], v[182:183]
	v_fmac_f64_e32 v[176:177], v[6:7], v[126:127]
	v_fma_f64 v[182:183], v[4:5], v[126:127], -v[128:129]
	ds_load_b128 v[4:7], v2 offset:1040
	s_wait_loadcnt_dscnt 0xb01
	v_mul_f64_e32 v[180:181], v[162:163], v[132:133]
	v_mul_f64_e32 v[132:133], v[164:165], v[132:133]
	scratch_load_b128 v[126:129], off, off offset:368
	v_add_f64_e32 v[174:175], v[174:175], v[178:179]
	s_wait_loadcnt_dscnt 0xb00
	v_mul_f64_e32 v[178:179], v[4:5], v[136:137]
	v_add_f64_e32 v[184:185], v[172:173], v[170:171]
	v_mul_f64_e32 v[136:137], v[6:7], v[136:137]
	ds_load_b128 v[170:173], v2 offset:1056
	v_fmac_f64_e32 v[180:181], v[164:165], v[130:131]
	v_fma_f64 v[162:163], v[162:163], v[130:131], -v[132:133]
	scratch_load_b128 v[130:133], off, off offset:384
	v_add_f64_e32 v[174:175], v[174:175], v[176:177]
	v_fmac_f64_e32 v[178:179], v[6:7], v[134:135]
	v_add_f64_e32 v[164:165], v[184:185], v[182:183]
	v_fma_f64 v[182:183], v[4:5], v[134:135], -v[136:137]
	ds_load_b128 v[4:7], v2 offset:1072
	s_wait_loadcnt_dscnt 0xb01
	v_mul_f64_e32 v[176:177], v[170:171], v[140:141]
	v_mul_f64_e32 v[140:141], v[172:173], v[140:141]
	scratch_load_b128 v[134:137], off, off offset:400
	v_add_f64_e32 v[174:175], v[174:175], v[180:181]
	s_wait_loadcnt_dscnt 0xb00
	v_mul_f64_e32 v[180:181], v[4:5], v[144:145]
	v_add_f64_e32 v[184:185], v[164:165], v[162:163]
	v_mul_f64_e32 v[144:145], v[6:7], v[144:145]
	ds_load_b128 v[162:165], v2 offset:1088
	v_fmac_f64_e32 v[176:177], v[172:173], v[138:139]
	v_fma_f64 v[170:171], v[170:171], v[138:139], -v[140:141]
	scratch_load_b128 v[138:141], off, off offset:416
	v_add_f64_e32 v[174:175], v[174:175], v[178:179]
	v_fmac_f64_e32 v[180:181], v[6:7], v[142:143]
	v_add_f64_e32 v[172:173], v[184:185], v[182:183]
	;; [unrolled: 18-line block ×3, first 2 shown]
	v_fma_f64 v[182:183], v[4:5], v[154:155], -v[156:157]
	ds_load_b128 v[4:7], v2 offset:1136
	s_wait_loadcnt_dscnt 0xa01
	v_mul_f64_e32 v[180:181], v[170:171], v[168:169]
	v_mul_f64_e32 v[168:169], v[172:173], v[168:169]
	scratch_load_b128 v[154:157], off, off offset:464
	v_add_f64_e32 v[174:175], v[174:175], v[178:179]
	v_add_f64_e32 v[184:185], v[164:165], v[162:163]
	s_wait_loadcnt_dscnt 0xa00
	v_mul_f64_e32 v[178:179], v[4:5], v[152:153]
	v_mul_f64_e32 v[152:153], v[6:7], v[152:153]
	v_fmac_f64_e32 v[180:181], v[172:173], v[166:167]
	v_fma_f64 v[170:171], v[170:171], v[166:167], -v[168:169]
	ds_load_b128 v[162:165], v2 offset:1152
	scratch_load_b128 v[166:169], off, off offset:480
	v_add_f64_e32 v[174:175], v[174:175], v[176:177]
	v_add_f64_e32 v[172:173], v[184:185], v[182:183]
	v_fmac_f64_e32 v[178:179], v[6:7], v[150:151]
	v_fma_f64 v[182:183], v[4:5], v[150:151], -v[152:153]
	ds_load_b128 v[4:7], v2 offset:1168
	s_wait_loadcnt_dscnt 0xa01
	v_mul_f64_e32 v[176:177], v[162:163], v[10:11]
	v_mul_f64_e32 v[10:11], v[164:165], v[10:11]
	scratch_load_b128 v[150:153], off, off offset:496
	v_add_f64_e32 v[174:175], v[174:175], v[180:181]
	s_wait_loadcnt_dscnt 0xa00
	v_mul_f64_e32 v[180:181], v[4:5], v[14:15]
	v_add_f64_e32 v[184:185], v[172:173], v[170:171]
	v_mul_f64_e32 v[14:15], v[6:7], v[14:15]
	ds_load_b128 v[170:173], v2 offset:1184
	v_fmac_f64_e32 v[176:177], v[164:165], v[8:9]
	v_fma_f64 v[162:163], v[162:163], v[8:9], -v[10:11]
	scratch_load_b128 v[8:11], off, off offset:512
	v_add_f64_e32 v[174:175], v[174:175], v[178:179]
	v_fmac_f64_e32 v[180:181], v[6:7], v[12:13]
	v_add_f64_e32 v[164:165], v[184:185], v[182:183]
	v_fma_f64 v[182:183], v[4:5], v[12:13], -v[14:15]
	ds_load_b128 v[4:7], v2 offset:1200
	s_wait_loadcnt_dscnt 0xa01
	v_mul_f64_e32 v[178:179], v[170:171], v[124:125]
	v_mul_f64_e32 v[124:125], v[172:173], v[124:125]
	scratch_load_b128 v[12:15], off, off offset:528
	v_add_f64_e32 v[174:175], v[174:175], v[176:177]
	s_wait_loadcnt_dscnt 0xa00
	v_mul_f64_e32 v[176:177], v[4:5], v[128:129]
	v_add_f64_e32 v[184:185], v[164:165], v[162:163]
	v_mul_f64_e32 v[128:129], v[6:7], v[128:129]
	ds_load_b128 v[162:165], v2 offset:1216
	v_fmac_f64_e32 v[178:179], v[172:173], v[122:123]
	v_fma_f64 v[170:171], v[170:171], v[122:123], -v[124:125]
	scratch_load_b128 v[122:125], off, off offset:544
	v_add_f64_e32 v[174:175], v[174:175], v[180:181]
	v_fmac_f64_e32 v[176:177], v[6:7], v[126:127]
	v_add_f64_e32 v[172:173], v[184:185], v[182:183]
	v_fma_f64 v[182:183], v[4:5], v[126:127], -v[128:129]
	ds_load_b128 v[4:7], v2 offset:1232
	s_wait_loadcnt_dscnt 0xa01
	v_mul_f64_e32 v[180:181], v[162:163], v[132:133]
	v_mul_f64_e32 v[132:133], v[164:165], v[132:133]
	scratch_load_b128 v[126:129], off, off offset:560
	v_add_f64_e32 v[174:175], v[174:175], v[178:179]
	s_wait_loadcnt_dscnt 0xa00
	v_mul_f64_e32 v[178:179], v[4:5], v[136:137]
	v_add_f64_e32 v[184:185], v[172:173], v[170:171]
	v_mul_f64_e32 v[136:137], v[6:7], v[136:137]
	ds_load_b128 v[170:173], v2 offset:1248
	v_fmac_f64_e32 v[180:181], v[164:165], v[130:131]
	v_fma_f64 v[162:163], v[162:163], v[130:131], -v[132:133]
	scratch_load_b128 v[130:133], off, off offset:576
	v_add_f64_e32 v[174:175], v[174:175], v[176:177]
	v_fmac_f64_e32 v[178:179], v[6:7], v[134:135]
	v_add_f64_e32 v[164:165], v[184:185], v[182:183]
	v_fma_f64 v[182:183], v[4:5], v[134:135], -v[136:137]
	ds_load_b128 v[4:7], v2 offset:1264
	s_wait_loadcnt_dscnt 0xa01
	v_mul_f64_e32 v[176:177], v[170:171], v[140:141]
	v_mul_f64_e32 v[140:141], v[172:173], v[140:141]
	scratch_load_b128 v[134:137], off, off offset:592
	v_add_f64_e32 v[174:175], v[174:175], v[180:181]
	s_wait_loadcnt_dscnt 0xa00
	v_mul_f64_e32 v[180:181], v[4:5], v[144:145]
	v_add_f64_e32 v[184:185], v[164:165], v[162:163]
	v_mul_f64_e32 v[144:145], v[6:7], v[144:145]
	ds_load_b128 v[162:165], v2 offset:1280
	v_fmac_f64_e32 v[176:177], v[172:173], v[138:139]
	v_fma_f64 v[170:171], v[170:171], v[138:139], -v[140:141]
	scratch_load_b128 v[138:141], off, off offset:608
	v_add_f64_e32 v[174:175], v[174:175], v[178:179]
	v_fmac_f64_e32 v[180:181], v[6:7], v[142:143]
	v_add_f64_e32 v[172:173], v[184:185], v[182:183]
	v_fma_f64 v[182:183], v[4:5], v[142:143], -v[144:145]
	ds_load_b128 v[4:7], v2 offset:1296
	s_wait_loadcnt_dscnt 0xa01
	v_mul_f64_e32 v[178:179], v[162:163], v[148:149]
	v_mul_f64_e32 v[148:149], v[164:165], v[148:149]
	scratch_load_b128 v[142:145], off, off offset:624
	v_add_f64_e32 v[174:175], v[174:175], v[176:177]
	s_wait_loadcnt_dscnt 0xa00
	v_mul_f64_e32 v[176:177], v[4:5], v[156:157]
	v_add_f64_e32 v[184:185], v[172:173], v[170:171]
	v_mul_f64_e32 v[156:157], v[6:7], v[156:157]
	ds_load_b128 v[170:173], v2 offset:1312
	v_fmac_f64_e32 v[178:179], v[164:165], v[146:147]
	v_fma_f64 v[162:163], v[162:163], v[146:147], -v[148:149]
	scratch_load_b128 v[146:149], off, off offset:640
	v_add_f64_e32 v[174:175], v[174:175], v[180:181]
	v_fmac_f64_e32 v[176:177], v[6:7], v[154:155]
	v_add_f64_e32 v[164:165], v[184:185], v[182:183]
	v_fma_f64 v[182:183], v[4:5], v[154:155], -v[156:157]
	ds_load_b128 v[4:7], v2 offset:1328
	s_wait_loadcnt_dscnt 0xa01
	v_mul_f64_e32 v[180:181], v[170:171], v[168:169]
	v_mul_f64_e32 v[168:169], v[172:173], v[168:169]
	scratch_load_b128 v[154:157], off, off offset:656
	v_add_f64_e32 v[174:175], v[174:175], v[178:179]
	s_wait_loadcnt_dscnt 0xa00
	v_mul_f64_e32 v[178:179], v[4:5], v[152:153]
	v_add_f64_e32 v[184:185], v[164:165], v[162:163]
	v_mul_f64_e32 v[152:153], v[6:7], v[152:153]
	ds_load_b128 v[162:165], v2 offset:1344
	v_fmac_f64_e32 v[180:181], v[172:173], v[166:167]
	v_fma_f64 v[170:171], v[170:171], v[166:167], -v[168:169]
	scratch_load_b128 v[166:169], off, off offset:672
	v_add_f64_e32 v[174:175], v[174:175], v[176:177]
	v_fmac_f64_e32 v[178:179], v[6:7], v[150:151]
	v_add_f64_e32 v[172:173], v[184:185], v[182:183]
	v_fma_f64 v[182:183], v[4:5], v[150:151], -v[152:153]
	ds_load_b128 v[4:7], v2 offset:1360
	s_wait_loadcnt_dscnt 0xa01
	v_mul_f64_e32 v[176:177], v[162:163], v[10:11]
	v_mul_f64_e32 v[10:11], v[164:165], v[10:11]
	scratch_load_b128 v[150:153], off, off offset:688
	v_add_f64_e32 v[174:175], v[174:175], v[180:181]
	s_wait_loadcnt_dscnt 0xa00
	v_mul_f64_e32 v[180:181], v[4:5], v[14:15]
	v_add_f64_e32 v[184:185], v[172:173], v[170:171]
	v_mul_f64_e32 v[14:15], v[6:7], v[14:15]
	ds_load_b128 v[170:173], v2 offset:1376
	v_fmac_f64_e32 v[176:177], v[164:165], v[8:9]
	v_fma_f64 v[162:163], v[162:163], v[8:9], -v[10:11]
	scratch_load_b128 v[8:11], off, off offset:704
	v_add_f64_e32 v[174:175], v[174:175], v[178:179]
	v_fmac_f64_e32 v[180:181], v[6:7], v[12:13]
	v_add_f64_e32 v[164:165], v[184:185], v[182:183]
	v_fma_f64 v[182:183], v[4:5], v[12:13], -v[14:15]
	ds_load_b128 v[4:7], v2 offset:1392
	s_wait_loadcnt_dscnt 0xa01
	v_mul_f64_e32 v[178:179], v[170:171], v[124:125]
	v_mul_f64_e32 v[124:125], v[172:173], v[124:125]
	scratch_load_b128 v[12:15], off, off offset:720
	v_add_f64_e32 v[174:175], v[174:175], v[176:177]
	s_wait_loadcnt_dscnt 0xa00
	v_mul_f64_e32 v[176:177], v[4:5], v[128:129]
	v_add_f64_e32 v[184:185], v[164:165], v[162:163]
	v_mul_f64_e32 v[128:129], v[6:7], v[128:129]
	ds_load_b128 v[162:165], v2 offset:1408
	v_fmac_f64_e32 v[178:179], v[172:173], v[122:123]
	v_fma_f64 v[170:171], v[170:171], v[122:123], -v[124:125]
	scratch_load_b128 v[122:125], off, off offset:736
	v_add_f64_e32 v[174:175], v[174:175], v[180:181]
	v_fmac_f64_e32 v[176:177], v[6:7], v[126:127]
	v_add_f64_e32 v[172:173], v[184:185], v[182:183]
	v_fma_f64 v[182:183], v[4:5], v[126:127], -v[128:129]
	ds_load_b128 v[4:7], v2 offset:1424
	s_wait_loadcnt_dscnt 0xa01
	v_mul_f64_e32 v[180:181], v[162:163], v[132:133]
	v_mul_f64_e32 v[132:133], v[164:165], v[132:133]
	scratch_load_b128 v[126:129], off, off offset:752
	v_add_f64_e32 v[174:175], v[174:175], v[178:179]
	s_wait_loadcnt_dscnt 0xa00
	v_mul_f64_e32 v[178:179], v[4:5], v[136:137]
	v_add_f64_e32 v[184:185], v[172:173], v[170:171]
	v_mul_f64_e32 v[136:137], v[6:7], v[136:137]
	ds_load_b128 v[170:173], v2 offset:1440
	v_fmac_f64_e32 v[180:181], v[164:165], v[130:131]
	v_fma_f64 v[162:163], v[162:163], v[130:131], -v[132:133]
	scratch_load_b128 v[130:133], off, off offset:768
	v_add_f64_e32 v[174:175], v[174:175], v[176:177]
	v_fmac_f64_e32 v[178:179], v[6:7], v[134:135]
	v_add_f64_e32 v[164:165], v[184:185], v[182:183]
	v_fma_f64 v[182:183], v[4:5], v[134:135], -v[136:137]
	ds_load_b128 v[4:7], v2 offset:1456
	s_wait_loadcnt_dscnt 0xa01
	v_mul_f64_e32 v[176:177], v[170:171], v[140:141]
	v_mul_f64_e32 v[140:141], v[172:173], v[140:141]
	scratch_load_b128 v[134:137], off, off offset:784
	v_add_f64_e32 v[174:175], v[174:175], v[180:181]
	s_wait_loadcnt_dscnt 0xa00
	v_mul_f64_e32 v[180:181], v[4:5], v[144:145]
	v_add_f64_e32 v[184:185], v[164:165], v[162:163]
	v_mul_f64_e32 v[144:145], v[6:7], v[144:145]
	ds_load_b128 v[162:165], v2 offset:1472
	v_fmac_f64_e32 v[176:177], v[172:173], v[138:139]
	v_fma_f64 v[170:171], v[170:171], v[138:139], -v[140:141]
	scratch_load_b128 v[138:141], off, off offset:800
	v_add_f64_e32 v[174:175], v[174:175], v[178:179]
	v_fmac_f64_e32 v[180:181], v[6:7], v[142:143]
	v_add_f64_e32 v[172:173], v[184:185], v[182:183]
	v_fma_f64 v[182:183], v[4:5], v[142:143], -v[144:145]
	ds_load_b128 v[4:7], v2 offset:1488
	s_wait_loadcnt_dscnt 0xa01
	v_mul_f64_e32 v[178:179], v[162:163], v[148:149]
	v_mul_f64_e32 v[148:149], v[164:165], v[148:149]
	scratch_load_b128 v[142:145], off, off offset:816
	v_add_f64_e32 v[174:175], v[174:175], v[176:177]
	s_wait_loadcnt_dscnt 0xa00
	v_mul_f64_e32 v[176:177], v[4:5], v[156:157]
	v_add_f64_e32 v[184:185], v[172:173], v[170:171]
	v_mul_f64_e32 v[156:157], v[6:7], v[156:157]
	ds_load_b128 v[170:173], v2 offset:1504
	v_fmac_f64_e32 v[178:179], v[164:165], v[146:147]
	v_fma_f64 v[146:147], v[162:163], v[146:147], -v[148:149]
	s_wait_loadcnt_dscnt 0x900
	v_mul_f64_e32 v[164:165], v[170:171], v[168:169]
	v_mul_f64_e32 v[168:169], v[172:173], v[168:169]
	v_add_f64_e32 v[162:163], v[174:175], v[180:181]
	v_fmac_f64_e32 v[176:177], v[6:7], v[154:155]
	v_add_f64_e32 v[148:149], v[184:185], v[182:183]
	v_fma_f64 v[154:155], v[4:5], v[154:155], -v[156:157]
	v_fmac_f64_e32 v[164:165], v[172:173], v[166:167]
	v_fma_f64 v[166:167], v[170:171], v[166:167], -v[168:169]
	v_add_f64_e32 v[162:163], v[162:163], v[178:179]
	v_add_f64_e32 v[156:157], v[148:149], v[146:147]
	ds_load_b128 v[4:7], v2 offset:1520
	ds_load_b128 v[146:149], v2 offset:1536
	s_wait_loadcnt_dscnt 0x801
	v_mul_f64_e32 v[174:175], v[4:5], v[152:153]
	v_mul_f64_e32 v[152:153], v[6:7], v[152:153]
	v_add_f64_e32 v[154:155], v[156:157], v[154:155]
	v_add_f64_e32 v[156:157], v[162:163], v[176:177]
	s_wait_loadcnt_dscnt 0x700
	v_mul_f64_e32 v[162:163], v[146:147], v[10:11]
	v_mul_f64_e32 v[10:11], v[148:149], v[10:11]
	v_fmac_f64_e32 v[174:175], v[6:7], v[150:151]
	v_fma_f64 v[168:169], v[4:5], v[150:151], -v[152:153]
	ds_load_b128 v[4:7], v2 offset:1552
	ds_load_b128 v[150:153], v2 offset:1568
	v_add_f64_e32 v[154:155], v[154:155], v[166:167]
	v_add_f64_e32 v[156:157], v[156:157], v[164:165]
	v_fmac_f64_e32 v[162:163], v[148:149], v[8:9]
	v_fma_f64 v[8:9], v[146:147], v[8:9], -v[10:11]
	s_wait_loadcnt_dscnt 0x601
	v_mul_f64_e32 v[164:165], v[4:5], v[14:15]
	v_mul_f64_e32 v[14:15], v[6:7], v[14:15]
	s_wait_loadcnt_dscnt 0x500
	v_mul_f64_e32 v[148:149], v[150:151], v[124:125]
	v_mul_f64_e32 v[124:125], v[152:153], v[124:125]
	v_add_f64_e32 v[10:11], v[154:155], v[168:169]
	v_add_f64_e32 v[146:147], v[156:157], v[174:175]
	v_fmac_f64_e32 v[164:165], v[6:7], v[12:13]
	v_fma_f64 v[12:13], v[4:5], v[12:13], -v[14:15]
	v_fmac_f64_e32 v[148:149], v[152:153], v[122:123]
	v_fma_f64 v[122:123], v[150:151], v[122:123], -v[124:125]
	v_add_f64_e32 v[14:15], v[10:11], v[8:9]
	v_add_f64_e32 v[146:147], v[146:147], v[162:163]
	ds_load_b128 v[4:7], v2 offset:1584
	ds_load_b128 v[8:11], v2 offset:1600
	s_wait_loadcnt_dscnt 0x401
	v_mul_f64_e32 v[154:155], v[4:5], v[128:129]
	v_mul_f64_e32 v[128:129], v[6:7], v[128:129]
	s_wait_loadcnt_dscnt 0x300
	v_mul_f64_e32 v[124:125], v[8:9], v[132:133]
	v_mul_f64_e32 v[132:133], v[10:11], v[132:133]
	v_add_f64_e32 v[12:13], v[14:15], v[12:13]
	v_add_f64_e32 v[14:15], v[146:147], v[164:165]
	v_fmac_f64_e32 v[154:155], v[6:7], v[126:127]
	v_fma_f64 v[126:127], v[4:5], v[126:127], -v[128:129]
	v_fmac_f64_e32 v[124:125], v[10:11], v[130:131]
	v_fma_f64 v[8:9], v[8:9], v[130:131], -v[132:133]
	v_add_f64_e32 v[122:123], v[12:13], v[122:123]
	v_add_f64_e32 v[128:129], v[14:15], v[148:149]
	ds_load_b128 v[4:7], v2 offset:1616
	ds_load_b128 v[12:15], v2 offset:1632
	s_wait_loadcnt_dscnt 0x201
	v_mul_f64_e32 v[146:147], v[4:5], v[136:137]
	v_mul_f64_e32 v[136:137], v[6:7], v[136:137]
	v_add_f64_e32 v[10:11], v[122:123], v[126:127]
	v_add_f64_e32 v[122:123], v[128:129], v[154:155]
	s_wait_loadcnt_dscnt 0x100
	v_mul_f64_e32 v[126:127], v[12:13], v[140:141]
	v_mul_f64_e32 v[128:129], v[14:15], v[140:141]
	v_fmac_f64_e32 v[146:147], v[6:7], v[134:135]
	v_fma_f64 v[130:131], v[4:5], v[134:135], -v[136:137]
	ds_load_b128 v[4:7], v2 offset:1648
	v_add_f64_e32 v[8:9], v[10:11], v[8:9]
	v_add_f64_e32 v[10:11], v[122:123], v[124:125]
	v_fmac_f64_e32 v[126:127], v[14:15], v[138:139]
	v_fma_f64 v[12:13], v[12:13], v[138:139], -v[128:129]
	s_wait_loadcnt_dscnt 0x0
	v_mul_f64_e32 v[122:123], v[4:5], v[144:145]
	v_mul_f64_e32 v[124:125], v[6:7], v[144:145]
	v_add_f64_e32 v[8:9], v[8:9], v[130:131]
	v_add_f64_e32 v[10:11], v[10:11], v[146:147]
	s_delay_alu instid0(VALU_DEP_4) | instskip(NEXT) | instid1(VALU_DEP_4)
	v_fmac_f64_e32 v[122:123], v[6:7], v[142:143]
	v_fma_f64 v[4:5], v[4:5], v[142:143], -v[124:125]
	s_delay_alu instid0(VALU_DEP_4) | instskip(NEXT) | instid1(VALU_DEP_4)
	v_add_f64_e32 v[6:7], v[8:9], v[12:13]
	v_add_f64_e32 v[8:9], v[10:11], v[126:127]
	s_delay_alu instid0(VALU_DEP_2) | instskip(NEXT) | instid1(VALU_DEP_2)
	v_add_f64_e32 v[4:5], v[6:7], v[4:5]
	v_add_f64_e32 v[6:7], v[8:9], v[122:123]
	s_delay_alu instid0(VALU_DEP_2) | instskip(NEXT) | instid1(VALU_DEP_2)
	v_add_f64_e64 v[4:5], v[158:159], -v[4:5]
	v_add_f64_e64 v[6:7], v[160:161], -v[6:7]
	scratch_store_b128 off, v[4:7], off offset:96
	s_wait_xcnt 0x0
	v_cmpx_lt_u32_e32 5, v1
	s_cbranch_execz .LBB115_315
; %bb.314:
	scratch_load_b128 v[6:9], off, s63
	v_dual_mov_b32 v3, v2 :: v_dual_mov_b32 v4, v2
	v_mov_b32_e32 v5, v2
	scratch_store_b128 off, v[2:5], off offset:80
	s_wait_loadcnt 0x0
	ds_store_b128 v120, v[6:9]
.LBB115_315:
	s_wait_xcnt 0x0
	s_or_b32 exec_lo, exec_lo, s2
	s_wait_storecnt_dscnt 0x0
	s_barrier_signal -1
	s_barrier_wait -1
	s_clause 0x9
	scratch_load_b128 v[4:7], off, off offset:96
	scratch_load_b128 v[8:11], off, off offset:112
	;; [unrolled: 1-line block ×10, first 2 shown]
	ds_load_b128 v[150:153], v2 offset:928
	ds_load_b128 v[158:161], v2 offset:944
	s_clause 0x2
	scratch_load_b128 v[154:157], off, off offset:256
	scratch_load_b128 v[162:165], off, off offset:80
	;; [unrolled: 1-line block ×3, first 2 shown]
	s_mov_b32 s2, exec_lo
	s_wait_loadcnt_dscnt 0xc01
	v_mul_f64_e32 v[170:171], v[152:153], v[6:7]
	v_mul_f64_e32 v[174:175], v[150:151], v[6:7]
	s_wait_loadcnt_dscnt 0xb00
	v_mul_f64_e32 v[176:177], v[158:159], v[10:11]
	v_mul_f64_e32 v[10:11], v[160:161], v[10:11]
	s_delay_alu instid0(VALU_DEP_4) | instskip(NEXT) | instid1(VALU_DEP_4)
	v_fma_f64 v[178:179], v[150:151], v[4:5], -v[170:171]
	v_fmac_f64_e32 v[174:175], v[152:153], v[4:5]
	ds_load_b128 v[4:7], v2 offset:960
	ds_load_b128 v[150:153], v2 offset:976
	scratch_load_b128 v[170:173], off, off offset:288
	v_fmac_f64_e32 v[176:177], v[160:161], v[8:9]
	v_fma_f64 v[158:159], v[158:159], v[8:9], -v[10:11]
	scratch_load_b128 v[8:11], off, off offset:304
	s_wait_loadcnt_dscnt 0xc01
	v_mul_f64_e32 v[180:181], v[4:5], v[14:15]
	v_mul_f64_e32 v[14:15], v[6:7], v[14:15]
	v_add_f64_e32 v[160:161], 0, v[178:179]
	v_add_f64_e32 v[174:175], 0, v[174:175]
	s_wait_loadcnt_dscnt 0xb00
	v_mul_f64_e32 v[178:179], v[150:151], v[124:125]
	v_mul_f64_e32 v[124:125], v[152:153], v[124:125]
	v_fmac_f64_e32 v[180:181], v[6:7], v[12:13]
	v_fma_f64 v[182:183], v[4:5], v[12:13], -v[14:15]
	ds_load_b128 v[4:7], v2 offset:992
	ds_load_b128 v[12:15], v2 offset:1008
	v_add_f64_e32 v[184:185], v[160:161], v[158:159]
	v_add_f64_e32 v[174:175], v[174:175], v[176:177]
	scratch_load_b128 v[158:161], off, off offset:320
	v_fmac_f64_e32 v[178:179], v[152:153], v[122:123]
	v_fma_f64 v[150:151], v[150:151], v[122:123], -v[124:125]
	scratch_load_b128 v[122:125], off, off offset:336
	s_wait_loadcnt_dscnt 0xc01
	v_mul_f64_e32 v[176:177], v[4:5], v[128:129]
	v_mul_f64_e32 v[128:129], v[6:7], v[128:129]
	v_add_f64_e32 v[152:153], v[184:185], v[182:183]
	v_add_f64_e32 v[174:175], v[174:175], v[180:181]
	s_wait_loadcnt_dscnt 0xb00
	v_mul_f64_e32 v[180:181], v[12:13], v[132:133]
	v_mul_f64_e32 v[132:133], v[14:15], v[132:133]
	v_fmac_f64_e32 v[176:177], v[6:7], v[126:127]
	v_fma_f64 v[182:183], v[4:5], v[126:127], -v[128:129]
	ds_load_b128 v[4:7], v2 offset:1024
	ds_load_b128 v[126:129], v2 offset:1040
	v_add_f64_e32 v[184:185], v[152:153], v[150:151]
	v_add_f64_e32 v[174:175], v[174:175], v[178:179]
	scratch_load_b128 v[150:153], off, off offset:352
	s_wait_loadcnt_dscnt 0xb01
	v_mul_f64_e32 v[178:179], v[4:5], v[136:137]
	v_mul_f64_e32 v[136:137], v[6:7], v[136:137]
	v_fmac_f64_e32 v[180:181], v[14:15], v[130:131]
	v_fma_f64 v[130:131], v[12:13], v[130:131], -v[132:133]
	scratch_load_b128 v[12:15], off, off offset:368
	v_add_f64_e32 v[132:133], v[184:185], v[182:183]
	v_add_f64_e32 v[174:175], v[174:175], v[176:177]
	s_wait_loadcnt_dscnt 0xb00
	v_mul_f64_e32 v[176:177], v[126:127], v[140:141]
	v_mul_f64_e32 v[140:141], v[128:129], v[140:141]
	v_fmac_f64_e32 v[178:179], v[6:7], v[134:135]
	v_fma_f64 v[182:183], v[4:5], v[134:135], -v[136:137]
	v_add_f64_e32 v[184:185], v[132:133], v[130:131]
	v_add_f64_e32 v[174:175], v[174:175], v[180:181]
	ds_load_b128 v[4:7], v2 offset:1056
	ds_load_b128 v[130:133], v2 offset:1072
	scratch_load_b128 v[134:137], off, off offset:384
	v_fmac_f64_e32 v[176:177], v[128:129], v[138:139]
	v_fma_f64 v[138:139], v[126:127], v[138:139], -v[140:141]
	scratch_load_b128 v[126:129], off, off offset:400
	s_wait_loadcnt_dscnt 0xc01
	v_mul_f64_e32 v[180:181], v[4:5], v[144:145]
	v_mul_f64_e32 v[144:145], v[6:7], v[144:145]
	v_add_f64_e32 v[140:141], v[184:185], v[182:183]
	v_add_f64_e32 v[174:175], v[174:175], v[178:179]
	s_wait_loadcnt_dscnt 0xb00
	v_mul_f64_e32 v[178:179], v[130:131], v[148:149]
	v_mul_f64_e32 v[148:149], v[132:133], v[148:149]
	v_fmac_f64_e32 v[180:181], v[6:7], v[142:143]
	v_fma_f64 v[182:183], v[4:5], v[142:143], -v[144:145]
	v_add_f64_e32 v[184:185], v[140:141], v[138:139]
	v_add_f64_e32 v[174:175], v[174:175], v[176:177]
	ds_load_b128 v[4:7], v2 offset:1088
	ds_load_b128 v[138:141], v2 offset:1104
	scratch_load_b128 v[142:145], off, off offset:416
	v_fmac_f64_e32 v[178:179], v[132:133], v[146:147]
	v_fma_f64 v[146:147], v[130:131], v[146:147], -v[148:149]
	scratch_load_b128 v[130:133], off, off offset:432
	s_wait_loadcnt_dscnt 0xc01
	v_mul_f64_e32 v[176:177], v[4:5], v[156:157]
	v_mul_f64_e32 v[156:157], v[6:7], v[156:157]
	;; [unrolled: 18-line block ×5, first 2 shown]
	v_add_f64_e32 v[168:169], v[184:185], v[182:183]
	v_add_f64_e32 v[174:175], v[174:175], v[180:181]
	s_wait_loadcnt_dscnt 0xa00
	v_mul_f64_e32 v[180:181], v[146:147], v[14:15]
	v_mul_f64_e32 v[14:15], v[148:149], v[14:15]
	v_fmac_f64_e32 v[176:177], v[6:7], v[150:151]
	v_fma_f64 v[182:183], v[4:5], v[150:151], -v[152:153]
	ds_load_b128 v[4:7], v2 offset:1216
	ds_load_b128 v[150:153], v2 offset:1232
	v_add_f64_e32 v[184:185], v[168:169], v[166:167]
	v_add_f64_e32 v[174:175], v[174:175], v[178:179]
	scratch_load_b128 v[166:169], off, off offset:544
	v_fmac_f64_e32 v[180:181], v[148:149], v[12:13]
	v_fma_f64 v[146:147], v[146:147], v[12:13], -v[14:15]
	scratch_load_b128 v[12:15], off, off offset:560
	s_wait_loadcnt_dscnt 0xb01
	v_mul_f64_e32 v[178:179], v[4:5], v[136:137]
	v_mul_f64_e32 v[136:137], v[6:7], v[136:137]
	v_add_f64_e32 v[148:149], v[184:185], v[182:183]
	v_add_f64_e32 v[174:175], v[174:175], v[176:177]
	s_wait_loadcnt_dscnt 0xa00
	v_mul_f64_e32 v[176:177], v[150:151], v[128:129]
	v_mul_f64_e32 v[128:129], v[152:153], v[128:129]
	v_fmac_f64_e32 v[178:179], v[6:7], v[134:135]
	v_fma_f64 v[182:183], v[4:5], v[134:135], -v[136:137]
	ds_load_b128 v[4:7], v2 offset:1248
	ds_load_b128 v[134:137], v2 offset:1264
	v_add_f64_e32 v[184:185], v[148:149], v[146:147]
	v_add_f64_e32 v[174:175], v[174:175], v[180:181]
	scratch_load_b128 v[146:149], off, off offset:576
	s_wait_loadcnt_dscnt 0xa01
	v_mul_f64_e32 v[180:181], v[4:5], v[144:145]
	v_mul_f64_e32 v[144:145], v[6:7], v[144:145]
	v_fmac_f64_e32 v[176:177], v[152:153], v[126:127]
	v_fma_f64 v[150:151], v[150:151], v[126:127], -v[128:129]
	scratch_load_b128 v[126:129], off, off offset:592
	v_add_f64_e32 v[152:153], v[184:185], v[182:183]
	v_add_f64_e32 v[174:175], v[174:175], v[178:179]
	s_wait_loadcnt_dscnt 0xa00
	v_mul_f64_e32 v[178:179], v[134:135], v[132:133]
	v_mul_f64_e32 v[132:133], v[136:137], v[132:133]
	v_fmac_f64_e32 v[180:181], v[6:7], v[142:143]
	v_fma_f64 v[182:183], v[4:5], v[142:143], -v[144:145]
	ds_load_b128 v[4:7], v2 offset:1280
	ds_load_b128 v[142:145], v2 offset:1296
	v_add_f64_e32 v[184:185], v[152:153], v[150:151]
	v_add_f64_e32 v[174:175], v[174:175], v[176:177]
	scratch_load_b128 v[150:153], off, off offset:608
	s_wait_loadcnt_dscnt 0xa01
	v_mul_f64_e32 v[176:177], v[4:5], v[156:157]
	v_mul_f64_e32 v[156:157], v[6:7], v[156:157]
	v_fmac_f64_e32 v[178:179], v[136:137], v[130:131]
	v_fma_f64 v[134:135], v[134:135], v[130:131], -v[132:133]
	scratch_load_b128 v[130:133], off, off offset:624
	v_add_f64_e32 v[136:137], v[184:185], v[182:183]
	v_add_f64_e32 v[174:175], v[174:175], v[180:181]
	s_wait_loadcnt_dscnt 0xa00
	v_mul_f64_e32 v[180:181], v[142:143], v[140:141]
	v_mul_f64_e32 v[140:141], v[144:145], v[140:141]
	v_fmac_f64_e32 v[176:177], v[6:7], v[154:155]
	v_fma_f64 v[182:183], v[4:5], v[154:155], -v[156:157]
	v_add_f64_e32 v[184:185], v[136:137], v[134:135]
	v_add_f64_e32 v[174:175], v[174:175], v[178:179]
	ds_load_b128 v[4:7], v2 offset:1312
	ds_load_b128 v[134:137], v2 offset:1328
	scratch_load_b128 v[154:157], off, off offset:640
	v_fmac_f64_e32 v[180:181], v[144:145], v[138:139]
	v_fma_f64 v[142:143], v[142:143], v[138:139], -v[140:141]
	scratch_load_b128 v[138:141], off, off offset:656
	s_wait_loadcnt_dscnt 0xb01
	v_mul_f64_e32 v[178:179], v[4:5], v[172:173]
	v_mul_f64_e32 v[172:173], v[6:7], v[172:173]
	v_add_f64_e32 v[144:145], v[184:185], v[182:183]
	v_add_f64_e32 v[174:175], v[174:175], v[176:177]
	s_wait_loadcnt_dscnt 0xa00
	v_mul_f64_e32 v[176:177], v[134:135], v[10:11]
	v_mul_f64_e32 v[10:11], v[136:137], v[10:11]
	v_fmac_f64_e32 v[178:179], v[6:7], v[170:171]
	v_fma_f64 v[182:183], v[4:5], v[170:171], -v[172:173]
	v_add_f64_e32 v[184:185], v[144:145], v[142:143]
	v_add_f64_e32 v[174:175], v[174:175], v[180:181]
	ds_load_b128 v[4:7], v2 offset:1344
	ds_load_b128 v[142:145], v2 offset:1360
	scratch_load_b128 v[170:173], off, off offset:672
	v_fmac_f64_e32 v[176:177], v[136:137], v[8:9]
	v_fma_f64 v[134:135], v[134:135], v[8:9], -v[10:11]
	scratch_load_b128 v[8:11], off, off offset:688
	s_wait_loadcnt_dscnt 0xb01
	v_mul_f64_e32 v[180:181], v[4:5], v[160:161]
	v_mul_f64_e32 v[160:161], v[6:7], v[160:161]
	;; [unrolled: 18-line block ×6, first 2 shown]
	v_add_f64_e32 v[136:137], v[184:185], v[182:183]
	v_add_f64_e32 v[174:175], v[174:175], v[180:181]
	s_wait_loadcnt_dscnt 0xa00
	v_mul_f64_e32 v[180:181], v[142:143], v[140:141]
	v_mul_f64_e32 v[140:141], v[144:145], v[140:141]
	v_fmac_f64_e32 v[176:177], v[6:7], v[154:155]
	v_fma_f64 v[154:155], v[4:5], v[154:155], -v[156:157]
	v_add_f64_e32 v[156:157], v[136:137], v[134:135]
	v_add_f64_e32 v[174:175], v[174:175], v[178:179]
	ds_load_b128 v[4:7], v2 offset:1504
	ds_load_b128 v[134:137], v2 offset:1520
	v_fmac_f64_e32 v[180:181], v[144:145], v[138:139]
	v_fma_f64 v[138:139], v[142:143], v[138:139], -v[140:141]
	s_wait_loadcnt_dscnt 0x901
	v_mul_f64_e32 v[178:179], v[4:5], v[172:173]
	v_mul_f64_e32 v[172:173], v[6:7], v[172:173]
	s_wait_loadcnt_dscnt 0x800
	v_mul_f64_e32 v[144:145], v[134:135], v[10:11]
	v_mul_f64_e32 v[10:11], v[136:137], v[10:11]
	v_add_f64_e32 v[140:141], v[156:157], v[154:155]
	v_add_f64_e32 v[142:143], v[174:175], v[176:177]
	v_fmac_f64_e32 v[178:179], v[6:7], v[170:171]
	v_fma_f64 v[154:155], v[4:5], v[170:171], -v[172:173]
	v_fmac_f64_e32 v[144:145], v[136:137], v[8:9]
	v_fma_f64 v[8:9], v[134:135], v[8:9], -v[10:11]
	v_add_f64_e32 v[156:157], v[140:141], v[138:139]
	v_add_f64_e32 v[142:143], v[142:143], v[180:181]
	ds_load_b128 v[4:7], v2 offset:1536
	ds_load_b128 v[138:141], v2 offset:1552
	s_wait_loadcnt_dscnt 0x701
	v_mul_f64_e32 v[170:171], v[4:5], v[160:161]
	v_mul_f64_e32 v[160:161], v[6:7], v[160:161]
	s_wait_loadcnt_dscnt 0x600
	v_mul_f64_e32 v[136:137], v[138:139], v[124:125]
	v_mul_f64_e32 v[124:125], v[140:141], v[124:125]
	v_add_f64_e32 v[10:11], v[156:157], v[154:155]
	v_add_f64_e32 v[134:135], v[142:143], v[178:179]
	v_fmac_f64_e32 v[170:171], v[6:7], v[158:159]
	v_fma_f64 v[142:143], v[4:5], v[158:159], -v[160:161]
	v_fmac_f64_e32 v[136:137], v[140:141], v[122:123]
	v_fma_f64 v[122:123], v[138:139], v[122:123], -v[124:125]
	v_add_f64_e32 v[154:155], v[10:11], v[8:9]
	v_add_f64_e32 v[134:135], v[134:135], v[144:145]
	ds_load_b128 v[4:7], v2 offset:1568
	ds_load_b128 v[8:11], v2 offset:1584
	;; [unrolled: 16-line block ×4, first 2 shown]
	s_wait_loadcnt_dscnt 0x101
	v_mul_f64_e32 v[2:3], v[4:5], v[152:153]
	v_mul_f64_e32 v[138:139], v[6:7], v[152:153]
	s_wait_loadcnt_dscnt 0x0
	v_mul_f64_e32 v[126:127], v[8:9], v[132:133]
	v_mul_f64_e32 v[128:129], v[10:11], v[132:133]
	v_add_f64_e32 v[124:125], v[140:141], v[134:135]
	v_add_f64_e32 v[12:13], v[12:13], v[136:137]
	v_fmac_f64_e32 v[2:3], v[6:7], v[150:151]
	v_fma_f64 v[4:5], v[4:5], v[150:151], -v[138:139]
	v_fmac_f64_e32 v[126:127], v[10:11], v[130:131]
	v_fma_f64 v[8:9], v[8:9], v[130:131], -v[128:129]
	v_add_f64_e32 v[6:7], v[124:125], v[122:123]
	v_add_f64_e32 v[12:13], v[12:13], v[14:15]
	s_delay_alu instid0(VALU_DEP_2) | instskip(NEXT) | instid1(VALU_DEP_2)
	v_add_f64_e32 v[4:5], v[6:7], v[4:5]
	v_add_f64_e32 v[2:3], v[12:13], v[2:3]
	s_delay_alu instid0(VALU_DEP_2) | instskip(NEXT) | instid1(VALU_DEP_2)
	;; [unrolled: 3-line block ×3, first 2 shown]
	v_add_f64_e64 v[2:3], v[162:163], -v[4:5]
	v_add_f64_e64 v[4:5], v[164:165], -v[6:7]
	scratch_store_b128 off, v[2:5], off offset:80
	s_wait_xcnt 0x0
	v_cmpx_lt_u32_e32 4, v1
	s_cbranch_execz .LBB115_317
; %bb.316:
	scratch_load_b128 v[2:5], off, s12
	v_mov_b32_e32 v6, 0
	s_delay_alu instid0(VALU_DEP_1)
	v_dual_mov_b32 v7, v6 :: v_dual_mov_b32 v8, v6
	v_mov_b32_e32 v9, v6
	scratch_store_b128 off, v[6:9], off offset:64
	s_wait_loadcnt 0x0
	ds_store_b128 v120, v[2:5]
.LBB115_317:
	s_wait_xcnt 0x0
	s_or_b32 exec_lo, exec_lo, s2
	s_wait_storecnt_dscnt 0x0
	s_barrier_signal -1
	s_barrier_wait -1
	s_clause 0x9
	scratch_load_b128 v[4:7], off, off offset:80
	scratch_load_b128 v[8:11], off, off offset:96
	;; [unrolled: 1-line block ×10, first 2 shown]
	v_mov_b32_e32 v2, 0
	s_mov_b32 s2, exec_lo
	ds_load_b128 v[150:153], v2 offset:912
	s_clause 0x2
	scratch_load_b128 v[154:157], off, off offset:240
	scratch_load_b128 v[158:161], off, off offset:64
	;; [unrolled: 1-line block ×3, first 2 shown]
	s_wait_loadcnt_dscnt 0xc00
	v_mul_f64_e32 v[170:171], v[152:153], v[6:7]
	v_mul_f64_e32 v[174:175], v[150:151], v[6:7]
	ds_load_b128 v[162:165], v2 offset:928
	v_fma_f64 v[178:179], v[150:151], v[4:5], -v[170:171]
	v_fmac_f64_e32 v[174:175], v[152:153], v[4:5]
	ds_load_b128 v[4:7], v2 offset:944
	s_wait_loadcnt_dscnt 0xb01
	v_mul_f64_e32 v[176:177], v[162:163], v[10:11]
	v_mul_f64_e32 v[10:11], v[164:165], v[10:11]
	scratch_load_b128 v[150:153], off, off offset:272
	ds_load_b128 v[170:173], v2 offset:960
	s_wait_loadcnt_dscnt 0xb01
	v_mul_f64_e32 v[180:181], v[4:5], v[14:15]
	v_mul_f64_e32 v[14:15], v[6:7], v[14:15]
	v_add_f64_e32 v[174:175], 0, v[174:175]
	v_fmac_f64_e32 v[176:177], v[164:165], v[8:9]
	v_fma_f64 v[162:163], v[162:163], v[8:9], -v[10:11]
	v_add_f64_e32 v[164:165], 0, v[178:179]
	scratch_load_b128 v[8:11], off, off offset:288
	v_fmac_f64_e32 v[180:181], v[6:7], v[12:13]
	v_fma_f64 v[182:183], v[4:5], v[12:13], -v[14:15]
	ds_load_b128 v[4:7], v2 offset:976
	s_wait_loadcnt_dscnt 0xb01
	v_mul_f64_e32 v[178:179], v[170:171], v[124:125]
	v_mul_f64_e32 v[124:125], v[172:173], v[124:125]
	scratch_load_b128 v[12:15], off, off offset:304
	v_add_f64_e32 v[174:175], v[174:175], v[176:177]
	v_add_f64_e32 v[184:185], v[164:165], v[162:163]
	ds_load_b128 v[162:165], v2 offset:992
	s_wait_loadcnt_dscnt 0xb01
	v_mul_f64_e32 v[176:177], v[4:5], v[128:129]
	v_mul_f64_e32 v[128:129], v[6:7], v[128:129]
	v_fmac_f64_e32 v[178:179], v[172:173], v[122:123]
	v_fma_f64 v[170:171], v[170:171], v[122:123], -v[124:125]
	scratch_load_b128 v[122:125], off, off offset:320
	v_add_f64_e32 v[174:175], v[174:175], v[180:181]
	v_add_f64_e32 v[172:173], v[184:185], v[182:183]
	v_fmac_f64_e32 v[176:177], v[6:7], v[126:127]
	v_fma_f64 v[182:183], v[4:5], v[126:127], -v[128:129]
	ds_load_b128 v[4:7], v2 offset:1008
	s_wait_loadcnt_dscnt 0xb01
	v_mul_f64_e32 v[180:181], v[162:163], v[132:133]
	v_mul_f64_e32 v[132:133], v[164:165], v[132:133]
	scratch_load_b128 v[126:129], off, off offset:336
	v_add_f64_e32 v[174:175], v[174:175], v[178:179]
	s_wait_loadcnt_dscnt 0xb00
	v_mul_f64_e32 v[178:179], v[4:5], v[136:137]
	v_add_f64_e32 v[184:185], v[172:173], v[170:171]
	v_mul_f64_e32 v[136:137], v[6:7], v[136:137]
	ds_load_b128 v[170:173], v2 offset:1024
	v_fmac_f64_e32 v[180:181], v[164:165], v[130:131]
	v_fma_f64 v[162:163], v[162:163], v[130:131], -v[132:133]
	scratch_load_b128 v[130:133], off, off offset:352
	v_add_f64_e32 v[174:175], v[174:175], v[176:177]
	v_fmac_f64_e32 v[178:179], v[6:7], v[134:135]
	v_add_f64_e32 v[164:165], v[184:185], v[182:183]
	v_fma_f64 v[182:183], v[4:5], v[134:135], -v[136:137]
	ds_load_b128 v[4:7], v2 offset:1040
	s_wait_loadcnt_dscnt 0xb01
	v_mul_f64_e32 v[176:177], v[170:171], v[140:141]
	v_mul_f64_e32 v[140:141], v[172:173], v[140:141]
	scratch_load_b128 v[134:137], off, off offset:368
	v_add_f64_e32 v[174:175], v[174:175], v[180:181]
	s_wait_loadcnt_dscnt 0xb00
	v_mul_f64_e32 v[180:181], v[4:5], v[144:145]
	v_add_f64_e32 v[184:185], v[164:165], v[162:163]
	v_mul_f64_e32 v[144:145], v[6:7], v[144:145]
	ds_load_b128 v[162:165], v2 offset:1056
	v_fmac_f64_e32 v[176:177], v[172:173], v[138:139]
	v_fma_f64 v[170:171], v[170:171], v[138:139], -v[140:141]
	scratch_load_b128 v[138:141], off, off offset:384
	v_add_f64_e32 v[174:175], v[174:175], v[178:179]
	v_fmac_f64_e32 v[180:181], v[6:7], v[142:143]
	v_add_f64_e32 v[172:173], v[184:185], v[182:183]
	;; [unrolled: 18-line block ×3, first 2 shown]
	v_fma_f64 v[182:183], v[4:5], v[154:155], -v[156:157]
	ds_load_b128 v[4:7], v2 offset:1104
	s_wait_loadcnt_dscnt 0xa01
	v_mul_f64_e32 v[180:181], v[170:171], v[168:169]
	v_mul_f64_e32 v[168:169], v[172:173], v[168:169]
	scratch_load_b128 v[154:157], off, off offset:432
	v_add_f64_e32 v[174:175], v[174:175], v[178:179]
	v_add_f64_e32 v[184:185], v[164:165], v[162:163]
	s_wait_loadcnt_dscnt 0xa00
	v_mul_f64_e32 v[178:179], v[4:5], v[152:153]
	v_mul_f64_e32 v[152:153], v[6:7], v[152:153]
	v_fmac_f64_e32 v[180:181], v[172:173], v[166:167]
	v_fma_f64 v[170:171], v[170:171], v[166:167], -v[168:169]
	ds_load_b128 v[162:165], v2 offset:1120
	scratch_load_b128 v[166:169], off, off offset:448
	v_add_f64_e32 v[174:175], v[174:175], v[176:177]
	v_add_f64_e32 v[172:173], v[184:185], v[182:183]
	v_fmac_f64_e32 v[178:179], v[6:7], v[150:151]
	v_fma_f64 v[182:183], v[4:5], v[150:151], -v[152:153]
	ds_load_b128 v[4:7], v2 offset:1136
	s_wait_loadcnt_dscnt 0xa01
	v_mul_f64_e32 v[176:177], v[162:163], v[10:11]
	v_mul_f64_e32 v[10:11], v[164:165], v[10:11]
	scratch_load_b128 v[150:153], off, off offset:464
	v_add_f64_e32 v[174:175], v[174:175], v[180:181]
	s_wait_loadcnt_dscnt 0xa00
	v_mul_f64_e32 v[180:181], v[4:5], v[14:15]
	v_add_f64_e32 v[184:185], v[172:173], v[170:171]
	v_mul_f64_e32 v[14:15], v[6:7], v[14:15]
	ds_load_b128 v[170:173], v2 offset:1152
	v_fmac_f64_e32 v[176:177], v[164:165], v[8:9]
	v_fma_f64 v[162:163], v[162:163], v[8:9], -v[10:11]
	scratch_load_b128 v[8:11], off, off offset:480
	v_add_f64_e32 v[174:175], v[174:175], v[178:179]
	v_fmac_f64_e32 v[180:181], v[6:7], v[12:13]
	v_add_f64_e32 v[164:165], v[184:185], v[182:183]
	v_fma_f64 v[182:183], v[4:5], v[12:13], -v[14:15]
	ds_load_b128 v[4:7], v2 offset:1168
	s_wait_loadcnt_dscnt 0xa01
	v_mul_f64_e32 v[178:179], v[170:171], v[124:125]
	v_mul_f64_e32 v[124:125], v[172:173], v[124:125]
	scratch_load_b128 v[12:15], off, off offset:496
	v_add_f64_e32 v[174:175], v[174:175], v[176:177]
	s_wait_loadcnt_dscnt 0xa00
	v_mul_f64_e32 v[176:177], v[4:5], v[128:129]
	v_add_f64_e32 v[184:185], v[164:165], v[162:163]
	v_mul_f64_e32 v[128:129], v[6:7], v[128:129]
	ds_load_b128 v[162:165], v2 offset:1184
	v_fmac_f64_e32 v[178:179], v[172:173], v[122:123]
	v_fma_f64 v[170:171], v[170:171], v[122:123], -v[124:125]
	scratch_load_b128 v[122:125], off, off offset:512
	v_add_f64_e32 v[174:175], v[174:175], v[180:181]
	v_fmac_f64_e32 v[176:177], v[6:7], v[126:127]
	v_add_f64_e32 v[172:173], v[184:185], v[182:183]
	;; [unrolled: 18-line block ×11, first 2 shown]
	v_fma_f64 v[182:183], v[4:5], v[154:155], -v[156:157]
	ds_load_b128 v[4:7], v2 offset:1488
	s_wait_loadcnt_dscnt 0xa01
	v_mul_f64_e32 v[180:181], v[170:171], v[168:169]
	v_mul_f64_e32 v[168:169], v[172:173], v[168:169]
	scratch_load_b128 v[154:157], off, off offset:816
	v_add_f64_e32 v[174:175], v[174:175], v[178:179]
	s_wait_loadcnt_dscnt 0xa00
	v_mul_f64_e32 v[178:179], v[4:5], v[152:153]
	v_add_f64_e32 v[184:185], v[164:165], v[162:163]
	v_mul_f64_e32 v[152:153], v[6:7], v[152:153]
	ds_load_b128 v[162:165], v2 offset:1504
	v_fmac_f64_e32 v[180:181], v[172:173], v[166:167]
	v_fma_f64 v[166:167], v[170:171], v[166:167], -v[168:169]
	s_wait_loadcnt_dscnt 0x900
	v_mul_f64_e32 v[172:173], v[162:163], v[10:11]
	v_mul_f64_e32 v[10:11], v[164:165], v[10:11]
	v_add_f64_e32 v[170:171], v[174:175], v[176:177]
	v_fmac_f64_e32 v[178:179], v[6:7], v[150:151]
	v_add_f64_e32 v[168:169], v[184:185], v[182:183]
	v_fma_f64 v[174:175], v[4:5], v[150:151], -v[152:153]
	ds_load_b128 v[4:7], v2 offset:1520
	ds_load_b128 v[150:153], v2 offset:1536
	v_fmac_f64_e32 v[172:173], v[164:165], v[8:9]
	v_fma_f64 v[8:9], v[162:163], v[8:9], -v[10:11]
	v_add_f64_e32 v[166:167], v[168:169], v[166:167]
	v_add_f64_e32 v[168:169], v[170:171], v[180:181]
	s_wait_loadcnt_dscnt 0x801
	v_mul_f64_e32 v[170:171], v[4:5], v[14:15]
	v_mul_f64_e32 v[14:15], v[6:7], v[14:15]
	s_wait_loadcnt_dscnt 0x700
	v_mul_f64_e32 v[164:165], v[150:151], v[124:125]
	v_mul_f64_e32 v[124:125], v[152:153], v[124:125]
	v_add_f64_e32 v[10:11], v[166:167], v[174:175]
	v_add_f64_e32 v[162:163], v[168:169], v[178:179]
	v_fmac_f64_e32 v[170:171], v[6:7], v[12:13]
	v_fma_f64 v[12:13], v[4:5], v[12:13], -v[14:15]
	v_fmac_f64_e32 v[164:165], v[152:153], v[122:123]
	v_fma_f64 v[122:123], v[150:151], v[122:123], -v[124:125]
	v_add_f64_e32 v[14:15], v[10:11], v[8:9]
	v_add_f64_e32 v[162:163], v[162:163], v[172:173]
	ds_load_b128 v[4:7], v2 offset:1552
	ds_load_b128 v[8:11], v2 offset:1568
	s_wait_loadcnt_dscnt 0x601
	v_mul_f64_e32 v[166:167], v[4:5], v[128:129]
	v_mul_f64_e32 v[128:129], v[6:7], v[128:129]
	s_wait_loadcnt_dscnt 0x500
	v_mul_f64_e32 v[124:125], v[8:9], v[132:133]
	v_mul_f64_e32 v[132:133], v[10:11], v[132:133]
	v_add_f64_e32 v[12:13], v[14:15], v[12:13]
	v_add_f64_e32 v[14:15], v[162:163], v[170:171]
	v_fmac_f64_e32 v[166:167], v[6:7], v[126:127]
	v_fma_f64 v[126:127], v[4:5], v[126:127], -v[128:129]
	v_fmac_f64_e32 v[124:125], v[10:11], v[130:131]
	v_fma_f64 v[8:9], v[8:9], v[130:131], -v[132:133]
	v_add_f64_e32 v[122:123], v[12:13], v[122:123]
	v_add_f64_e32 v[128:129], v[14:15], v[164:165]
	ds_load_b128 v[4:7], v2 offset:1584
	ds_load_b128 v[12:15], v2 offset:1600
	s_wait_loadcnt_dscnt 0x401
	v_mul_f64_e32 v[150:151], v[4:5], v[136:137]
	v_mul_f64_e32 v[136:137], v[6:7], v[136:137]
	v_add_f64_e32 v[10:11], v[122:123], v[126:127]
	v_add_f64_e32 v[122:123], v[128:129], v[166:167]
	s_wait_loadcnt_dscnt 0x300
	v_mul_f64_e32 v[126:127], v[12:13], v[140:141]
	v_mul_f64_e32 v[128:129], v[14:15], v[140:141]
	v_fmac_f64_e32 v[150:151], v[6:7], v[134:135]
	v_fma_f64 v[130:131], v[4:5], v[134:135], -v[136:137]
	v_add_f64_e32 v[132:133], v[10:11], v[8:9]
	v_add_f64_e32 v[122:123], v[122:123], v[124:125]
	ds_load_b128 v[4:7], v2 offset:1616
	ds_load_b128 v[8:11], v2 offset:1632
	v_fmac_f64_e32 v[126:127], v[14:15], v[138:139]
	v_fma_f64 v[12:13], v[12:13], v[138:139], -v[128:129]
	s_wait_loadcnt_dscnt 0x201
	v_mul_f64_e32 v[124:125], v[4:5], v[144:145]
	v_mul_f64_e32 v[134:135], v[6:7], v[144:145]
	s_wait_loadcnt_dscnt 0x100
	v_mul_f64_e32 v[128:129], v[8:9], v[148:149]
	v_add_f64_e32 v[14:15], v[132:133], v[130:131]
	v_add_f64_e32 v[122:123], v[122:123], v[150:151]
	v_mul_f64_e32 v[130:131], v[10:11], v[148:149]
	v_fmac_f64_e32 v[124:125], v[6:7], v[142:143]
	v_fma_f64 v[132:133], v[4:5], v[142:143], -v[134:135]
	ds_load_b128 v[4:7], v2 offset:1648
	v_fmac_f64_e32 v[128:129], v[10:11], v[146:147]
	v_add_f64_e32 v[12:13], v[14:15], v[12:13]
	v_add_f64_e32 v[14:15], v[122:123], v[126:127]
	v_fma_f64 v[8:9], v[8:9], v[146:147], -v[130:131]
	s_wait_loadcnt_dscnt 0x0
	v_mul_f64_e32 v[122:123], v[4:5], v[156:157]
	v_mul_f64_e32 v[126:127], v[6:7], v[156:157]
	v_add_f64_e32 v[10:11], v[12:13], v[132:133]
	v_add_f64_e32 v[12:13], v[14:15], v[124:125]
	s_delay_alu instid0(VALU_DEP_4) | instskip(NEXT) | instid1(VALU_DEP_4)
	v_fmac_f64_e32 v[122:123], v[6:7], v[154:155]
	v_fma_f64 v[4:5], v[4:5], v[154:155], -v[126:127]
	s_delay_alu instid0(VALU_DEP_4) | instskip(NEXT) | instid1(VALU_DEP_4)
	v_add_f64_e32 v[6:7], v[10:11], v[8:9]
	v_add_f64_e32 v[8:9], v[12:13], v[128:129]
	s_delay_alu instid0(VALU_DEP_2) | instskip(NEXT) | instid1(VALU_DEP_2)
	v_add_f64_e32 v[4:5], v[6:7], v[4:5]
	v_add_f64_e32 v[6:7], v[8:9], v[122:123]
	s_delay_alu instid0(VALU_DEP_2) | instskip(NEXT) | instid1(VALU_DEP_2)
	v_add_f64_e64 v[4:5], v[158:159], -v[4:5]
	v_add_f64_e64 v[6:7], v[160:161], -v[6:7]
	scratch_store_b128 off, v[4:7], off offset:64
	s_wait_xcnt 0x0
	v_cmpx_lt_u32_e32 3, v1
	s_cbranch_execz .LBB115_319
; %bb.318:
	scratch_load_b128 v[6:9], off, s14
	v_dual_mov_b32 v3, v2 :: v_dual_mov_b32 v4, v2
	v_mov_b32_e32 v5, v2
	scratch_store_b128 off, v[2:5], off offset:48
	s_wait_loadcnt 0x0
	ds_store_b128 v120, v[6:9]
.LBB115_319:
	s_wait_xcnt 0x0
	s_or_b32 exec_lo, exec_lo, s2
	s_wait_storecnt_dscnt 0x0
	s_barrier_signal -1
	s_barrier_wait -1
	s_clause 0x9
	scratch_load_b128 v[4:7], off, off offset:64
	scratch_load_b128 v[8:11], off, off offset:80
	;; [unrolled: 1-line block ×10, first 2 shown]
	ds_load_b128 v[150:153], v2 offset:896
	ds_load_b128 v[158:161], v2 offset:912
	s_clause 0x2
	scratch_load_b128 v[154:157], off, off offset:224
	scratch_load_b128 v[162:165], off, off offset:48
	;; [unrolled: 1-line block ×3, first 2 shown]
	s_mov_b32 s2, exec_lo
	s_wait_loadcnt_dscnt 0xc01
	v_mul_f64_e32 v[170:171], v[152:153], v[6:7]
	v_mul_f64_e32 v[174:175], v[150:151], v[6:7]
	s_wait_loadcnt_dscnt 0xb00
	v_mul_f64_e32 v[176:177], v[158:159], v[10:11]
	v_mul_f64_e32 v[10:11], v[160:161], v[10:11]
	s_delay_alu instid0(VALU_DEP_4) | instskip(NEXT) | instid1(VALU_DEP_4)
	v_fma_f64 v[178:179], v[150:151], v[4:5], -v[170:171]
	v_fmac_f64_e32 v[174:175], v[152:153], v[4:5]
	ds_load_b128 v[4:7], v2 offset:928
	ds_load_b128 v[150:153], v2 offset:944
	scratch_load_b128 v[170:173], off, off offset:256
	v_fmac_f64_e32 v[176:177], v[160:161], v[8:9]
	v_fma_f64 v[158:159], v[158:159], v[8:9], -v[10:11]
	scratch_load_b128 v[8:11], off, off offset:272
	s_wait_loadcnt_dscnt 0xc01
	v_mul_f64_e32 v[180:181], v[4:5], v[14:15]
	v_mul_f64_e32 v[14:15], v[6:7], v[14:15]
	v_add_f64_e32 v[160:161], 0, v[178:179]
	v_add_f64_e32 v[174:175], 0, v[174:175]
	s_wait_loadcnt_dscnt 0xb00
	v_mul_f64_e32 v[178:179], v[150:151], v[124:125]
	v_mul_f64_e32 v[124:125], v[152:153], v[124:125]
	v_fmac_f64_e32 v[180:181], v[6:7], v[12:13]
	v_fma_f64 v[182:183], v[4:5], v[12:13], -v[14:15]
	ds_load_b128 v[4:7], v2 offset:960
	ds_load_b128 v[12:15], v2 offset:976
	v_add_f64_e32 v[184:185], v[160:161], v[158:159]
	v_add_f64_e32 v[174:175], v[174:175], v[176:177]
	scratch_load_b128 v[158:161], off, off offset:288
	v_fmac_f64_e32 v[178:179], v[152:153], v[122:123]
	v_fma_f64 v[150:151], v[150:151], v[122:123], -v[124:125]
	scratch_load_b128 v[122:125], off, off offset:304
	s_wait_loadcnt_dscnt 0xc01
	v_mul_f64_e32 v[176:177], v[4:5], v[128:129]
	v_mul_f64_e32 v[128:129], v[6:7], v[128:129]
	v_add_f64_e32 v[152:153], v[184:185], v[182:183]
	v_add_f64_e32 v[174:175], v[174:175], v[180:181]
	s_wait_loadcnt_dscnt 0xb00
	v_mul_f64_e32 v[180:181], v[12:13], v[132:133]
	v_mul_f64_e32 v[132:133], v[14:15], v[132:133]
	v_fmac_f64_e32 v[176:177], v[6:7], v[126:127]
	v_fma_f64 v[182:183], v[4:5], v[126:127], -v[128:129]
	ds_load_b128 v[4:7], v2 offset:992
	ds_load_b128 v[126:129], v2 offset:1008
	v_add_f64_e32 v[184:185], v[152:153], v[150:151]
	v_add_f64_e32 v[174:175], v[174:175], v[178:179]
	scratch_load_b128 v[150:153], off, off offset:320
	s_wait_loadcnt_dscnt 0xb01
	v_mul_f64_e32 v[178:179], v[4:5], v[136:137]
	v_mul_f64_e32 v[136:137], v[6:7], v[136:137]
	v_fmac_f64_e32 v[180:181], v[14:15], v[130:131]
	v_fma_f64 v[130:131], v[12:13], v[130:131], -v[132:133]
	scratch_load_b128 v[12:15], off, off offset:336
	v_add_f64_e32 v[132:133], v[184:185], v[182:183]
	v_add_f64_e32 v[174:175], v[174:175], v[176:177]
	s_wait_loadcnt_dscnt 0xb00
	v_mul_f64_e32 v[176:177], v[126:127], v[140:141]
	v_mul_f64_e32 v[140:141], v[128:129], v[140:141]
	v_fmac_f64_e32 v[178:179], v[6:7], v[134:135]
	v_fma_f64 v[182:183], v[4:5], v[134:135], -v[136:137]
	v_add_f64_e32 v[184:185], v[132:133], v[130:131]
	v_add_f64_e32 v[174:175], v[174:175], v[180:181]
	ds_load_b128 v[4:7], v2 offset:1024
	ds_load_b128 v[130:133], v2 offset:1040
	scratch_load_b128 v[134:137], off, off offset:352
	v_fmac_f64_e32 v[176:177], v[128:129], v[138:139]
	v_fma_f64 v[138:139], v[126:127], v[138:139], -v[140:141]
	scratch_load_b128 v[126:129], off, off offset:368
	s_wait_loadcnt_dscnt 0xc01
	v_mul_f64_e32 v[180:181], v[4:5], v[144:145]
	v_mul_f64_e32 v[144:145], v[6:7], v[144:145]
	v_add_f64_e32 v[140:141], v[184:185], v[182:183]
	v_add_f64_e32 v[174:175], v[174:175], v[178:179]
	s_wait_loadcnt_dscnt 0xb00
	v_mul_f64_e32 v[178:179], v[130:131], v[148:149]
	v_mul_f64_e32 v[148:149], v[132:133], v[148:149]
	v_fmac_f64_e32 v[180:181], v[6:7], v[142:143]
	v_fma_f64 v[182:183], v[4:5], v[142:143], -v[144:145]
	v_add_f64_e32 v[184:185], v[140:141], v[138:139]
	v_add_f64_e32 v[174:175], v[174:175], v[176:177]
	ds_load_b128 v[4:7], v2 offset:1056
	ds_load_b128 v[138:141], v2 offset:1072
	scratch_load_b128 v[142:145], off, off offset:384
	v_fmac_f64_e32 v[178:179], v[132:133], v[146:147]
	v_fma_f64 v[146:147], v[130:131], v[146:147], -v[148:149]
	scratch_load_b128 v[130:133], off, off offset:400
	s_wait_loadcnt_dscnt 0xc01
	v_mul_f64_e32 v[176:177], v[4:5], v[156:157]
	v_mul_f64_e32 v[156:157], v[6:7], v[156:157]
	;; [unrolled: 18-line block ×5, first 2 shown]
	v_add_f64_e32 v[168:169], v[184:185], v[182:183]
	v_add_f64_e32 v[174:175], v[174:175], v[180:181]
	s_wait_loadcnt_dscnt 0xa00
	v_mul_f64_e32 v[180:181], v[146:147], v[14:15]
	v_mul_f64_e32 v[14:15], v[148:149], v[14:15]
	v_fmac_f64_e32 v[176:177], v[6:7], v[150:151]
	v_fma_f64 v[182:183], v[4:5], v[150:151], -v[152:153]
	ds_load_b128 v[4:7], v2 offset:1184
	ds_load_b128 v[150:153], v2 offset:1200
	v_add_f64_e32 v[184:185], v[168:169], v[166:167]
	v_add_f64_e32 v[174:175], v[174:175], v[178:179]
	scratch_load_b128 v[166:169], off, off offset:512
	v_fmac_f64_e32 v[180:181], v[148:149], v[12:13]
	v_fma_f64 v[146:147], v[146:147], v[12:13], -v[14:15]
	scratch_load_b128 v[12:15], off, off offset:528
	s_wait_loadcnt_dscnt 0xb01
	v_mul_f64_e32 v[178:179], v[4:5], v[136:137]
	v_mul_f64_e32 v[136:137], v[6:7], v[136:137]
	v_add_f64_e32 v[148:149], v[184:185], v[182:183]
	v_add_f64_e32 v[174:175], v[174:175], v[176:177]
	s_wait_loadcnt_dscnt 0xa00
	v_mul_f64_e32 v[176:177], v[150:151], v[128:129]
	v_mul_f64_e32 v[128:129], v[152:153], v[128:129]
	v_fmac_f64_e32 v[178:179], v[6:7], v[134:135]
	v_fma_f64 v[182:183], v[4:5], v[134:135], -v[136:137]
	ds_load_b128 v[4:7], v2 offset:1216
	ds_load_b128 v[134:137], v2 offset:1232
	v_add_f64_e32 v[184:185], v[148:149], v[146:147]
	v_add_f64_e32 v[174:175], v[174:175], v[180:181]
	scratch_load_b128 v[146:149], off, off offset:544
	s_wait_loadcnt_dscnt 0xa01
	v_mul_f64_e32 v[180:181], v[4:5], v[144:145]
	v_mul_f64_e32 v[144:145], v[6:7], v[144:145]
	v_fmac_f64_e32 v[176:177], v[152:153], v[126:127]
	v_fma_f64 v[150:151], v[150:151], v[126:127], -v[128:129]
	scratch_load_b128 v[126:129], off, off offset:560
	v_add_f64_e32 v[152:153], v[184:185], v[182:183]
	v_add_f64_e32 v[174:175], v[174:175], v[178:179]
	s_wait_loadcnt_dscnt 0xa00
	v_mul_f64_e32 v[178:179], v[134:135], v[132:133]
	v_mul_f64_e32 v[132:133], v[136:137], v[132:133]
	v_fmac_f64_e32 v[180:181], v[6:7], v[142:143]
	v_fma_f64 v[182:183], v[4:5], v[142:143], -v[144:145]
	ds_load_b128 v[4:7], v2 offset:1248
	ds_load_b128 v[142:145], v2 offset:1264
	v_add_f64_e32 v[184:185], v[152:153], v[150:151]
	v_add_f64_e32 v[174:175], v[174:175], v[176:177]
	scratch_load_b128 v[150:153], off, off offset:576
	s_wait_loadcnt_dscnt 0xa01
	v_mul_f64_e32 v[176:177], v[4:5], v[156:157]
	v_mul_f64_e32 v[156:157], v[6:7], v[156:157]
	v_fmac_f64_e32 v[178:179], v[136:137], v[130:131]
	v_fma_f64 v[134:135], v[134:135], v[130:131], -v[132:133]
	scratch_load_b128 v[130:133], off, off offset:592
	v_add_f64_e32 v[136:137], v[184:185], v[182:183]
	v_add_f64_e32 v[174:175], v[174:175], v[180:181]
	s_wait_loadcnt_dscnt 0xa00
	v_mul_f64_e32 v[180:181], v[142:143], v[140:141]
	v_mul_f64_e32 v[140:141], v[144:145], v[140:141]
	v_fmac_f64_e32 v[176:177], v[6:7], v[154:155]
	v_fma_f64 v[182:183], v[4:5], v[154:155], -v[156:157]
	v_add_f64_e32 v[184:185], v[136:137], v[134:135]
	v_add_f64_e32 v[174:175], v[174:175], v[178:179]
	ds_load_b128 v[4:7], v2 offset:1280
	ds_load_b128 v[134:137], v2 offset:1296
	scratch_load_b128 v[154:157], off, off offset:608
	v_fmac_f64_e32 v[180:181], v[144:145], v[138:139]
	v_fma_f64 v[142:143], v[142:143], v[138:139], -v[140:141]
	scratch_load_b128 v[138:141], off, off offset:624
	s_wait_loadcnt_dscnt 0xb01
	v_mul_f64_e32 v[178:179], v[4:5], v[172:173]
	v_mul_f64_e32 v[172:173], v[6:7], v[172:173]
	v_add_f64_e32 v[144:145], v[184:185], v[182:183]
	v_add_f64_e32 v[174:175], v[174:175], v[176:177]
	s_wait_loadcnt_dscnt 0xa00
	v_mul_f64_e32 v[176:177], v[134:135], v[10:11]
	v_mul_f64_e32 v[10:11], v[136:137], v[10:11]
	v_fmac_f64_e32 v[178:179], v[6:7], v[170:171]
	v_fma_f64 v[182:183], v[4:5], v[170:171], -v[172:173]
	v_add_f64_e32 v[184:185], v[144:145], v[142:143]
	v_add_f64_e32 v[174:175], v[174:175], v[180:181]
	ds_load_b128 v[4:7], v2 offset:1312
	ds_load_b128 v[142:145], v2 offset:1328
	scratch_load_b128 v[170:173], off, off offset:640
	v_fmac_f64_e32 v[176:177], v[136:137], v[8:9]
	v_fma_f64 v[134:135], v[134:135], v[8:9], -v[10:11]
	scratch_load_b128 v[8:11], off, off offset:656
	s_wait_loadcnt_dscnt 0xb01
	v_mul_f64_e32 v[180:181], v[4:5], v[160:161]
	v_mul_f64_e32 v[160:161], v[6:7], v[160:161]
	;; [unrolled: 18-line block ×7, first 2 shown]
	v_add_f64_e32 v[144:145], v[184:185], v[182:183]
	v_add_f64_e32 v[174:175], v[174:175], v[176:177]
	s_wait_loadcnt_dscnt 0xa00
	v_mul_f64_e32 v[176:177], v[134:135], v[10:11]
	v_mul_f64_e32 v[10:11], v[136:137], v[10:11]
	v_fmac_f64_e32 v[178:179], v[6:7], v[170:171]
	v_fma_f64 v[170:171], v[4:5], v[170:171], -v[172:173]
	v_add_f64_e32 v[172:173], v[144:145], v[142:143]
	v_add_f64_e32 v[174:175], v[174:175], v[180:181]
	ds_load_b128 v[4:7], v2 offset:1504
	ds_load_b128 v[142:145], v2 offset:1520
	v_fmac_f64_e32 v[176:177], v[136:137], v[8:9]
	v_fma_f64 v[8:9], v[134:135], v[8:9], -v[10:11]
	s_wait_loadcnt_dscnt 0x901
	v_mul_f64_e32 v[180:181], v[4:5], v[160:161]
	v_mul_f64_e32 v[160:161], v[6:7], v[160:161]
	s_wait_loadcnt_dscnt 0x800
	v_mul_f64_e32 v[136:137], v[142:143], v[124:125]
	v_mul_f64_e32 v[124:125], v[144:145], v[124:125]
	v_add_f64_e32 v[10:11], v[172:173], v[170:171]
	v_add_f64_e32 v[134:135], v[174:175], v[178:179]
	v_fmac_f64_e32 v[180:181], v[6:7], v[158:159]
	v_fma_f64 v[158:159], v[4:5], v[158:159], -v[160:161]
	v_fmac_f64_e32 v[136:137], v[144:145], v[122:123]
	v_fma_f64 v[122:123], v[142:143], v[122:123], -v[124:125]
	v_add_f64_e32 v[160:161], v[10:11], v[8:9]
	v_add_f64_e32 v[134:135], v[134:135], v[176:177]
	ds_load_b128 v[4:7], v2 offset:1536
	ds_load_b128 v[8:11], v2 offset:1552
	s_wait_loadcnt_dscnt 0x701
	v_mul_f64_e32 v[170:171], v[4:5], v[168:169]
	v_mul_f64_e32 v[168:169], v[6:7], v[168:169]
	s_wait_loadcnt_dscnt 0x600
	v_mul_f64_e32 v[142:143], v[8:9], v[14:15]
	v_mul_f64_e32 v[14:15], v[10:11], v[14:15]
	v_add_f64_e32 v[124:125], v[160:161], v[158:159]
	v_add_f64_e32 v[134:135], v[134:135], v[180:181]
	v_fmac_f64_e32 v[170:171], v[6:7], v[166:167]
	v_fma_f64 v[144:145], v[4:5], v[166:167], -v[168:169]
	v_fmac_f64_e32 v[142:143], v[10:11], v[12:13]
	v_fma_f64 v[8:9], v[8:9], v[12:13], -v[14:15]
	v_add_f64_e32 v[158:159], v[124:125], v[122:123]
	v_add_f64_e32 v[134:135], v[134:135], v[136:137]
	ds_load_b128 v[4:7], v2 offset:1568
	ds_load_b128 v[122:125], v2 offset:1584
	;; [unrolled: 16-line block ×4, first 2 shown]
	s_wait_loadcnt_dscnt 0x101
	v_mul_f64_e32 v[2:3], v[4:5], v[156:157]
	v_mul_f64_e32 v[134:135], v[6:7], v[156:157]
	s_wait_loadcnt_dscnt 0x0
	v_mul_f64_e32 v[128:129], v[14:15], v[140:141]
	v_add_f64_e32 v[10:11], v[122:123], v[132:133]
	v_add_f64_e32 v[122:123], v[124:125], v[142:143]
	v_mul_f64_e32 v[124:125], v[12:13], v[140:141]
	v_fmac_f64_e32 v[2:3], v[6:7], v[154:155]
	v_fma_f64 v[4:5], v[4:5], v[154:155], -v[134:135]
	v_add_f64_e32 v[6:7], v[10:11], v[8:9]
	v_add_f64_e32 v[8:9], v[122:123], v[126:127]
	v_fmac_f64_e32 v[124:125], v[14:15], v[138:139]
	v_fma_f64 v[10:11], v[12:13], v[138:139], -v[128:129]
	s_delay_alu instid0(VALU_DEP_4) | instskip(NEXT) | instid1(VALU_DEP_4)
	v_add_f64_e32 v[4:5], v[6:7], v[4:5]
	v_add_f64_e32 v[2:3], v[8:9], v[2:3]
	s_delay_alu instid0(VALU_DEP_2) | instskip(NEXT) | instid1(VALU_DEP_2)
	v_add_f64_e32 v[4:5], v[4:5], v[10:11]
	v_add_f64_e32 v[6:7], v[2:3], v[124:125]
	s_delay_alu instid0(VALU_DEP_2) | instskip(NEXT) | instid1(VALU_DEP_2)
	v_add_f64_e64 v[2:3], v[162:163], -v[4:5]
	v_add_f64_e64 v[4:5], v[164:165], -v[6:7]
	scratch_store_b128 off, v[2:5], off offset:48
	s_wait_xcnt 0x0
	v_cmpx_lt_u32_e32 2, v1
	s_cbranch_execz .LBB115_321
; %bb.320:
	scratch_load_b128 v[2:5], off, s16
	v_mov_b32_e32 v6, 0
	s_delay_alu instid0(VALU_DEP_1)
	v_dual_mov_b32 v7, v6 :: v_dual_mov_b32 v8, v6
	v_mov_b32_e32 v9, v6
	scratch_store_b128 off, v[6:9], off offset:32
	s_wait_loadcnt 0x0
	ds_store_b128 v120, v[2:5]
.LBB115_321:
	s_wait_xcnt 0x0
	s_or_b32 exec_lo, exec_lo, s2
	s_wait_storecnt_dscnt 0x0
	s_barrier_signal -1
	s_barrier_wait -1
	s_clause 0x9
	scratch_load_b128 v[4:7], off, off offset:48
	scratch_load_b128 v[8:11], off, off offset:64
	;; [unrolled: 1-line block ×10, first 2 shown]
	v_mov_b32_e32 v2, 0
	s_mov_b32 s2, exec_lo
	v_dual_ashrrev_i32 v21, 31, v20 :: v_dual_ashrrev_i32 v23, 31, v22
	v_ashrrev_i32_e32 v25, 31, v24
	ds_load_b128 v[150:153], v2 offset:880
	s_clause 0x2
	scratch_load_b128 v[154:157], off, off offset:208
	scratch_load_b128 v[158:161], off, off offset:32
	;; [unrolled: 1-line block ×3, first 2 shown]
	v_ashrrev_i32_e32 v29, 31, v28
	v_ashrrev_i32_e32 v33, 31, v32
	v_dual_ashrrev_i32 v37, 31, v36 :: v_dual_ashrrev_i32 v27, 31, v26
	v_ashrrev_i32_e32 v41, 31, v40
	v_dual_ashrrev_i32 v45, 31, v44 :: v_dual_ashrrev_i32 v31, 31, v30
	v_ashrrev_i32_e32 v35, 31, v34
	v_ashrrev_i32_e32 v39, 31, v38
	v_dual_ashrrev_i32 v43, 31, v42 :: v_dual_ashrrev_i32 v49, 31, v48
	v_ashrrev_i32_e32 v47, 31, v46
	v_dual_ashrrev_i32 v51, 31, v50 :: v_dual_ashrrev_i32 v53, 31, v52
	v_dual_ashrrev_i32 v55, 31, v54 :: v_dual_ashrrev_i32 v57, 31, v56
	;; [unrolled: 1-line block ×10, first 2 shown]
	v_ashrrev_i32_e32 v91, 31, v90
	v_dual_ashrrev_i32 v95, 31, v94 :: v_dual_ashrrev_i32 v93, 31, v92
	v_dual_ashrrev_i32 v97, 31, v96 :: v_dual_ashrrev_i32 v99, 31, v98
	;; [unrolled: 1-line block ×7, first 2 shown]
	s_wait_loadcnt_dscnt 0xc00
	v_mul_f64_e32 v[170:171], v[152:153], v[6:7]
	v_mul_f64_e32 v[174:175], v[150:151], v[6:7]
	ds_load_b128 v[162:165], v2 offset:896
	v_fma_f64 v[178:179], v[150:151], v[4:5], -v[170:171]
	v_fmac_f64_e32 v[174:175], v[152:153], v[4:5]
	ds_load_b128 v[4:7], v2 offset:912
	s_wait_loadcnt_dscnt 0xb01
	v_mul_f64_e32 v[176:177], v[162:163], v[10:11]
	v_mul_f64_e32 v[10:11], v[164:165], v[10:11]
	scratch_load_b128 v[150:153], off, off offset:240
	ds_load_b128 v[170:173], v2 offset:928
	s_wait_loadcnt_dscnt 0xb01
	v_mul_f64_e32 v[180:181], v[4:5], v[14:15]
	v_mul_f64_e32 v[14:15], v[6:7], v[14:15]
	v_add_f64_e32 v[174:175], 0, v[174:175]
	v_fmac_f64_e32 v[176:177], v[164:165], v[8:9]
	v_fma_f64 v[162:163], v[162:163], v[8:9], -v[10:11]
	v_add_f64_e32 v[164:165], 0, v[178:179]
	scratch_load_b128 v[8:11], off, off offset:256
	v_fmac_f64_e32 v[180:181], v[6:7], v[12:13]
	v_fma_f64 v[182:183], v[4:5], v[12:13], -v[14:15]
	ds_load_b128 v[4:7], v2 offset:944
	s_wait_loadcnt_dscnt 0xb01
	v_mul_f64_e32 v[178:179], v[170:171], v[124:125]
	v_mul_f64_e32 v[124:125], v[172:173], v[124:125]
	scratch_load_b128 v[12:15], off, off offset:272
	v_add_f64_e32 v[174:175], v[174:175], v[176:177]
	v_add_f64_e32 v[184:185], v[164:165], v[162:163]
	ds_load_b128 v[162:165], v2 offset:960
	s_wait_loadcnt_dscnt 0xb01
	v_mul_f64_e32 v[176:177], v[4:5], v[128:129]
	v_mul_f64_e32 v[128:129], v[6:7], v[128:129]
	v_fmac_f64_e32 v[178:179], v[172:173], v[122:123]
	v_fma_f64 v[170:171], v[170:171], v[122:123], -v[124:125]
	scratch_load_b128 v[122:125], off, off offset:288
	v_add_f64_e32 v[174:175], v[174:175], v[180:181]
	v_add_f64_e32 v[172:173], v[184:185], v[182:183]
	v_fmac_f64_e32 v[176:177], v[6:7], v[126:127]
	v_fma_f64 v[182:183], v[4:5], v[126:127], -v[128:129]
	ds_load_b128 v[4:7], v2 offset:976
	s_wait_loadcnt_dscnt 0xb01
	v_mul_f64_e32 v[180:181], v[162:163], v[132:133]
	v_mul_f64_e32 v[132:133], v[164:165], v[132:133]
	scratch_load_b128 v[126:129], off, off offset:304
	v_add_f64_e32 v[174:175], v[174:175], v[178:179]
	s_wait_loadcnt_dscnt 0xb00
	v_mul_f64_e32 v[178:179], v[4:5], v[136:137]
	v_add_f64_e32 v[184:185], v[172:173], v[170:171]
	v_mul_f64_e32 v[136:137], v[6:7], v[136:137]
	ds_load_b128 v[170:173], v2 offset:992
	v_fmac_f64_e32 v[180:181], v[164:165], v[130:131]
	v_fma_f64 v[162:163], v[162:163], v[130:131], -v[132:133]
	scratch_load_b128 v[130:133], off, off offset:320
	v_add_f64_e32 v[174:175], v[174:175], v[176:177]
	v_fmac_f64_e32 v[178:179], v[6:7], v[134:135]
	v_add_f64_e32 v[164:165], v[184:185], v[182:183]
	v_fma_f64 v[182:183], v[4:5], v[134:135], -v[136:137]
	ds_load_b128 v[4:7], v2 offset:1008
	s_wait_loadcnt_dscnt 0xb01
	v_mul_f64_e32 v[176:177], v[170:171], v[140:141]
	v_mul_f64_e32 v[140:141], v[172:173], v[140:141]
	scratch_load_b128 v[134:137], off, off offset:336
	v_add_f64_e32 v[174:175], v[174:175], v[180:181]
	s_wait_loadcnt_dscnt 0xb00
	v_mul_f64_e32 v[180:181], v[4:5], v[144:145]
	v_add_f64_e32 v[184:185], v[164:165], v[162:163]
	v_mul_f64_e32 v[144:145], v[6:7], v[144:145]
	ds_load_b128 v[162:165], v2 offset:1024
	v_fmac_f64_e32 v[176:177], v[172:173], v[138:139]
	v_fma_f64 v[170:171], v[170:171], v[138:139], -v[140:141]
	scratch_load_b128 v[138:141], off, off offset:352
	v_add_f64_e32 v[174:175], v[174:175], v[178:179]
	v_fmac_f64_e32 v[180:181], v[6:7], v[142:143]
	v_add_f64_e32 v[172:173], v[184:185], v[182:183]
	;; [unrolled: 18-line block ×3, first 2 shown]
	v_fma_f64 v[182:183], v[4:5], v[154:155], -v[156:157]
	ds_load_b128 v[4:7], v2 offset:1072
	s_wait_loadcnt_dscnt 0xa01
	v_mul_f64_e32 v[180:181], v[170:171], v[168:169]
	v_mul_f64_e32 v[168:169], v[172:173], v[168:169]
	scratch_load_b128 v[154:157], off, off offset:400
	v_add_f64_e32 v[174:175], v[174:175], v[178:179]
	v_add_f64_e32 v[184:185], v[164:165], v[162:163]
	s_wait_loadcnt_dscnt 0xa00
	v_mul_f64_e32 v[178:179], v[4:5], v[152:153]
	v_mul_f64_e32 v[152:153], v[6:7], v[152:153]
	v_fmac_f64_e32 v[180:181], v[172:173], v[166:167]
	v_fma_f64 v[170:171], v[170:171], v[166:167], -v[168:169]
	ds_load_b128 v[162:165], v2 offset:1088
	scratch_load_b128 v[166:169], off, off offset:416
	v_add_f64_e32 v[174:175], v[174:175], v[176:177]
	v_add_f64_e32 v[172:173], v[184:185], v[182:183]
	v_fmac_f64_e32 v[178:179], v[6:7], v[150:151]
	v_fma_f64 v[182:183], v[4:5], v[150:151], -v[152:153]
	ds_load_b128 v[4:7], v2 offset:1104
	s_wait_loadcnt_dscnt 0xa01
	v_mul_f64_e32 v[176:177], v[162:163], v[10:11]
	v_mul_f64_e32 v[10:11], v[164:165], v[10:11]
	scratch_load_b128 v[150:153], off, off offset:432
	v_add_f64_e32 v[174:175], v[174:175], v[180:181]
	s_wait_loadcnt_dscnt 0xa00
	v_mul_f64_e32 v[180:181], v[4:5], v[14:15]
	v_add_f64_e32 v[184:185], v[172:173], v[170:171]
	v_mul_f64_e32 v[14:15], v[6:7], v[14:15]
	ds_load_b128 v[170:173], v2 offset:1120
	v_fmac_f64_e32 v[176:177], v[164:165], v[8:9]
	v_fma_f64 v[162:163], v[162:163], v[8:9], -v[10:11]
	scratch_load_b128 v[8:11], off, off offset:448
	v_add_f64_e32 v[174:175], v[174:175], v[178:179]
	v_fmac_f64_e32 v[180:181], v[6:7], v[12:13]
	v_add_f64_e32 v[164:165], v[184:185], v[182:183]
	v_fma_f64 v[182:183], v[4:5], v[12:13], -v[14:15]
	ds_load_b128 v[4:7], v2 offset:1136
	s_wait_loadcnt_dscnt 0xa01
	v_mul_f64_e32 v[178:179], v[170:171], v[124:125]
	v_mul_f64_e32 v[124:125], v[172:173], v[124:125]
	scratch_load_b128 v[12:15], off, off offset:464
	v_add_f64_e32 v[174:175], v[174:175], v[176:177]
	s_wait_loadcnt_dscnt 0xa00
	v_mul_f64_e32 v[176:177], v[4:5], v[128:129]
	v_add_f64_e32 v[184:185], v[164:165], v[162:163]
	v_mul_f64_e32 v[128:129], v[6:7], v[128:129]
	ds_load_b128 v[162:165], v2 offset:1152
	v_fmac_f64_e32 v[178:179], v[172:173], v[122:123]
	v_fma_f64 v[170:171], v[170:171], v[122:123], -v[124:125]
	scratch_load_b128 v[122:125], off, off offset:480
	v_add_f64_e32 v[174:175], v[174:175], v[180:181]
	v_fmac_f64_e32 v[176:177], v[6:7], v[126:127]
	v_add_f64_e32 v[172:173], v[184:185], v[182:183]
	;; [unrolled: 18-line block ×12, first 2 shown]
	v_fma_f64 v[182:183], v[4:5], v[150:151], -v[152:153]
	ds_load_b128 v[4:7], v2 offset:1488
	s_wait_loadcnt_dscnt 0xa01
	v_mul_f64_e32 v[176:177], v[162:163], v[10:11]
	v_mul_f64_e32 v[10:11], v[164:165], v[10:11]
	scratch_load_b128 v[150:153], off, off offset:816
	v_add_f64_e32 v[174:175], v[174:175], v[180:181]
	s_wait_loadcnt_dscnt 0xa00
	v_mul_f64_e32 v[180:181], v[4:5], v[14:15]
	v_add_f64_e32 v[184:185], v[172:173], v[170:171]
	v_mul_f64_e32 v[14:15], v[6:7], v[14:15]
	ds_load_b128 v[170:173], v2 offset:1504
	v_fmac_f64_e32 v[176:177], v[164:165], v[8:9]
	v_fma_f64 v[8:9], v[162:163], v[8:9], -v[10:11]
	s_wait_loadcnt_dscnt 0x900
	v_mul_f64_e32 v[164:165], v[170:171], v[124:125]
	v_mul_f64_e32 v[124:125], v[172:173], v[124:125]
	v_add_f64_e32 v[162:163], v[174:175], v[178:179]
	v_fmac_f64_e32 v[180:181], v[6:7], v[12:13]
	v_add_f64_e32 v[10:11], v[184:185], v[182:183]
	v_fma_f64 v[12:13], v[4:5], v[12:13], -v[14:15]
	v_fmac_f64_e32 v[164:165], v[172:173], v[122:123]
	v_fma_f64 v[122:123], v[170:171], v[122:123], -v[124:125]
	v_add_f64_e32 v[162:163], v[162:163], v[176:177]
	v_add_f64_e32 v[14:15], v[10:11], v[8:9]
	ds_load_b128 v[4:7], v2 offset:1520
	ds_load_b128 v[8:11], v2 offset:1536
	s_wait_loadcnt_dscnt 0x801
	v_mul_f64_e32 v[174:175], v[4:5], v[128:129]
	v_mul_f64_e32 v[128:129], v[6:7], v[128:129]
	s_wait_loadcnt_dscnt 0x700
	v_mul_f64_e32 v[124:125], v[8:9], v[132:133]
	v_mul_f64_e32 v[132:133], v[10:11], v[132:133]
	v_add_f64_e32 v[12:13], v[14:15], v[12:13]
	v_add_f64_e32 v[14:15], v[162:163], v[180:181]
	v_fmac_f64_e32 v[174:175], v[6:7], v[126:127]
	v_fma_f64 v[126:127], v[4:5], v[126:127], -v[128:129]
	v_fmac_f64_e32 v[124:125], v[10:11], v[130:131]
	v_fma_f64 v[8:9], v[8:9], v[130:131], -v[132:133]
	v_add_f64_e32 v[122:123], v[12:13], v[122:123]
	v_add_f64_e32 v[128:129], v[14:15], v[164:165]
	ds_load_b128 v[4:7], v2 offset:1552
	ds_load_b128 v[12:15], v2 offset:1568
	s_wait_loadcnt_dscnt 0x601
	v_mul_f64_e32 v[162:163], v[4:5], v[136:137]
	v_mul_f64_e32 v[136:137], v[6:7], v[136:137]
	v_add_f64_e32 v[10:11], v[122:123], v[126:127]
	v_add_f64_e32 v[122:123], v[128:129], v[174:175]
	s_wait_loadcnt_dscnt 0x500
	v_mul_f64_e32 v[126:127], v[12:13], v[140:141]
	v_mul_f64_e32 v[128:129], v[14:15], v[140:141]
	v_fmac_f64_e32 v[162:163], v[6:7], v[134:135]
	v_fma_f64 v[130:131], v[4:5], v[134:135], -v[136:137]
	v_add_f64_e32 v[132:133], v[10:11], v[8:9]
	v_add_f64_e32 v[122:123], v[122:123], v[124:125]
	ds_load_b128 v[4:7], v2 offset:1584
	ds_load_b128 v[8:11], v2 offset:1600
	v_fmac_f64_e32 v[126:127], v[14:15], v[138:139]
	v_fma_f64 v[12:13], v[12:13], v[138:139], -v[128:129]
	s_wait_loadcnt_dscnt 0x401
	v_mul_f64_e32 v[124:125], v[4:5], v[144:145]
	v_mul_f64_e32 v[134:135], v[6:7], v[144:145]
	s_wait_loadcnt_dscnt 0x300
	v_mul_f64_e32 v[128:129], v[8:9], v[148:149]
	v_add_f64_e32 v[14:15], v[132:133], v[130:131]
	v_add_f64_e32 v[122:123], v[122:123], v[162:163]
	v_mul_f64_e32 v[130:131], v[10:11], v[148:149]
	v_fmac_f64_e32 v[124:125], v[6:7], v[142:143]
	v_fma_f64 v[132:133], v[4:5], v[142:143], -v[134:135]
	v_fmac_f64_e32 v[128:129], v[10:11], v[146:147]
	v_add_f64_e32 v[134:135], v[14:15], v[12:13]
	v_add_f64_e32 v[122:123], v[122:123], v[126:127]
	ds_load_b128 v[4:7], v2 offset:1616
	ds_load_b128 v[12:15], v2 offset:1632
	v_fma_f64 v[8:9], v[8:9], v[146:147], -v[130:131]
	s_wait_loadcnt_dscnt 0x201
	v_mul_f64_e32 v[126:127], v[4:5], v[156:157]
	v_mul_f64_e32 v[136:137], v[6:7], v[156:157]
	s_wait_loadcnt_dscnt 0x100
	v_mul_f64_e32 v[130:131], v[14:15], v[168:169]
	v_add_f64_e32 v[10:11], v[134:135], v[132:133]
	v_add_f64_e32 v[122:123], v[122:123], v[124:125]
	v_mul_f64_e32 v[124:125], v[12:13], v[168:169]
	v_fmac_f64_e32 v[126:127], v[6:7], v[154:155]
	v_fma_f64 v[132:133], v[4:5], v[154:155], -v[136:137]
	ds_load_b128 v[4:7], v2 offset:1648
	v_fma_f64 v[12:13], v[12:13], v[166:167], -v[130:131]
	v_add_f64_e32 v[8:9], v[10:11], v[8:9]
	v_add_f64_e32 v[10:11], v[122:123], v[128:129]
	v_fmac_f64_e32 v[124:125], v[14:15], v[166:167]
	s_wait_loadcnt_dscnt 0x0
	v_mul_f64_e32 v[122:123], v[4:5], v[152:153]
	v_mul_f64_e32 v[128:129], v[6:7], v[152:153]
	v_add_f64_e32 v[8:9], v[8:9], v[132:133]
	v_add_f64_e32 v[10:11], v[10:11], v[126:127]
	s_delay_alu instid0(VALU_DEP_4) | instskip(NEXT) | instid1(VALU_DEP_4)
	v_fmac_f64_e32 v[122:123], v[6:7], v[150:151]
	v_fma_f64 v[4:5], v[4:5], v[150:151], -v[128:129]
	s_delay_alu instid0(VALU_DEP_4) | instskip(NEXT) | instid1(VALU_DEP_4)
	v_add_f64_e32 v[6:7], v[8:9], v[12:13]
	v_add_f64_e32 v[8:9], v[10:11], v[124:125]
	s_delay_alu instid0(VALU_DEP_2) | instskip(NEXT) | instid1(VALU_DEP_2)
	v_add_f64_e32 v[4:5], v[6:7], v[4:5]
	v_add_f64_e32 v[6:7], v[8:9], v[122:123]
	s_delay_alu instid0(VALU_DEP_2) | instskip(NEXT) | instid1(VALU_DEP_2)
	v_add_f64_e64 v[4:5], v[158:159], -v[4:5]
	v_add_f64_e64 v[6:7], v[160:161], -v[6:7]
	scratch_store_b128 off, v[4:7], off offset:32
	s_wait_xcnt 0x0
	v_cmpx_lt_u32_e32 1, v1
	s_cbranch_execz .LBB115_323
; %bb.322:
	scratch_load_b128 v[6:9], off, s18
	v_dual_mov_b32 v3, v2 :: v_dual_mov_b32 v4, v2
	v_mov_b32_e32 v5, v2
	scratch_store_b128 off, v[2:5], off offset:16
	s_wait_loadcnt 0x0
	ds_store_b128 v120, v[6:9]
.LBB115_323:
	s_wait_xcnt 0x0
	s_or_b32 exec_lo, exec_lo, s2
	s_wait_storecnt_dscnt 0x0
	s_barrier_signal -1
	s_barrier_wait -1
	s_clause 0x9
	scratch_load_b128 v[4:7], off, off offset:32
	scratch_load_b128 v[8:11], off, off offset:48
	;; [unrolled: 1-line block ×10, first 2 shown]
	ds_load_b128 v[150:153], v2 offset:864
	ds_load_b128 v[158:161], v2 offset:880
	s_clause 0x2
	scratch_load_b128 v[154:157], off, off offset:192
	scratch_load_b128 v[162:165], off, off offset:16
	;; [unrolled: 1-line block ×3, first 2 shown]
	s_mov_b32 s2, exec_lo
	s_wait_loadcnt_dscnt 0xc01
	v_mul_f64_e32 v[170:171], v[152:153], v[6:7]
	v_mul_f64_e32 v[174:175], v[150:151], v[6:7]
	s_wait_loadcnt_dscnt 0xb00
	v_mul_f64_e32 v[176:177], v[158:159], v[10:11]
	v_mul_f64_e32 v[10:11], v[160:161], v[10:11]
	s_delay_alu instid0(VALU_DEP_4) | instskip(NEXT) | instid1(VALU_DEP_4)
	v_fma_f64 v[178:179], v[150:151], v[4:5], -v[170:171]
	v_fmac_f64_e32 v[174:175], v[152:153], v[4:5]
	ds_load_b128 v[4:7], v2 offset:896
	ds_load_b128 v[150:153], v2 offset:912
	scratch_load_b128 v[170:173], off, off offset:224
	v_fmac_f64_e32 v[176:177], v[160:161], v[8:9]
	v_fma_f64 v[158:159], v[158:159], v[8:9], -v[10:11]
	scratch_load_b128 v[8:11], off, off offset:240
	s_wait_loadcnt_dscnt 0xc01
	v_mul_f64_e32 v[180:181], v[4:5], v[14:15]
	v_mul_f64_e32 v[14:15], v[6:7], v[14:15]
	v_add_f64_e32 v[160:161], 0, v[178:179]
	v_add_f64_e32 v[174:175], 0, v[174:175]
	s_wait_loadcnt_dscnt 0xb00
	v_mul_f64_e32 v[178:179], v[150:151], v[124:125]
	v_mul_f64_e32 v[124:125], v[152:153], v[124:125]
	v_fmac_f64_e32 v[180:181], v[6:7], v[12:13]
	v_fma_f64 v[182:183], v[4:5], v[12:13], -v[14:15]
	ds_load_b128 v[4:7], v2 offset:928
	ds_load_b128 v[12:15], v2 offset:944
	v_add_f64_e32 v[184:185], v[160:161], v[158:159]
	v_add_f64_e32 v[174:175], v[174:175], v[176:177]
	scratch_load_b128 v[158:161], off, off offset:256
	v_fmac_f64_e32 v[178:179], v[152:153], v[122:123]
	v_fma_f64 v[150:151], v[150:151], v[122:123], -v[124:125]
	scratch_load_b128 v[122:125], off, off offset:272
	s_wait_loadcnt_dscnt 0xc01
	v_mul_f64_e32 v[176:177], v[4:5], v[128:129]
	v_mul_f64_e32 v[128:129], v[6:7], v[128:129]
	v_add_f64_e32 v[152:153], v[184:185], v[182:183]
	v_add_f64_e32 v[174:175], v[174:175], v[180:181]
	s_wait_loadcnt_dscnt 0xb00
	v_mul_f64_e32 v[180:181], v[12:13], v[132:133]
	v_mul_f64_e32 v[132:133], v[14:15], v[132:133]
	v_fmac_f64_e32 v[176:177], v[6:7], v[126:127]
	v_fma_f64 v[182:183], v[4:5], v[126:127], -v[128:129]
	ds_load_b128 v[4:7], v2 offset:960
	ds_load_b128 v[126:129], v2 offset:976
	v_add_f64_e32 v[184:185], v[152:153], v[150:151]
	v_add_f64_e32 v[174:175], v[174:175], v[178:179]
	scratch_load_b128 v[150:153], off, off offset:288
	s_wait_loadcnt_dscnt 0xb01
	v_mul_f64_e32 v[178:179], v[4:5], v[136:137]
	v_mul_f64_e32 v[136:137], v[6:7], v[136:137]
	v_fmac_f64_e32 v[180:181], v[14:15], v[130:131]
	v_fma_f64 v[130:131], v[12:13], v[130:131], -v[132:133]
	scratch_load_b128 v[12:15], off, off offset:304
	v_add_f64_e32 v[132:133], v[184:185], v[182:183]
	v_add_f64_e32 v[174:175], v[174:175], v[176:177]
	s_wait_loadcnt_dscnt 0xb00
	v_mul_f64_e32 v[176:177], v[126:127], v[140:141]
	v_mul_f64_e32 v[140:141], v[128:129], v[140:141]
	v_fmac_f64_e32 v[178:179], v[6:7], v[134:135]
	v_fma_f64 v[182:183], v[4:5], v[134:135], -v[136:137]
	v_add_f64_e32 v[184:185], v[132:133], v[130:131]
	v_add_f64_e32 v[174:175], v[174:175], v[180:181]
	ds_load_b128 v[4:7], v2 offset:992
	ds_load_b128 v[130:133], v2 offset:1008
	scratch_load_b128 v[134:137], off, off offset:320
	v_fmac_f64_e32 v[176:177], v[128:129], v[138:139]
	v_fma_f64 v[138:139], v[126:127], v[138:139], -v[140:141]
	scratch_load_b128 v[126:129], off, off offset:336
	s_wait_loadcnt_dscnt 0xc01
	v_mul_f64_e32 v[180:181], v[4:5], v[144:145]
	v_mul_f64_e32 v[144:145], v[6:7], v[144:145]
	v_add_f64_e32 v[140:141], v[184:185], v[182:183]
	v_add_f64_e32 v[174:175], v[174:175], v[178:179]
	s_wait_loadcnt_dscnt 0xb00
	v_mul_f64_e32 v[178:179], v[130:131], v[148:149]
	v_mul_f64_e32 v[148:149], v[132:133], v[148:149]
	v_fmac_f64_e32 v[180:181], v[6:7], v[142:143]
	v_fma_f64 v[182:183], v[4:5], v[142:143], -v[144:145]
	v_add_f64_e32 v[184:185], v[140:141], v[138:139]
	v_add_f64_e32 v[174:175], v[174:175], v[176:177]
	ds_load_b128 v[4:7], v2 offset:1024
	ds_load_b128 v[138:141], v2 offset:1040
	scratch_load_b128 v[142:145], off, off offset:352
	v_fmac_f64_e32 v[178:179], v[132:133], v[146:147]
	v_fma_f64 v[146:147], v[130:131], v[146:147], -v[148:149]
	scratch_load_b128 v[130:133], off, off offset:368
	s_wait_loadcnt_dscnt 0xc01
	v_mul_f64_e32 v[176:177], v[4:5], v[156:157]
	v_mul_f64_e32 v[156:157], v[6:7], v[156:157]
	;; [unrolled: 18-line block ×5, first 2 shown]
	v_add_f64_e32 v[168:169], v[184:185], v[182:183]
	v_add_f64_e32 v[174:175], v[174:175], v[180:181]
	s_wait_loadcnt_dscnt 0xa00
	v_mul_f64_e32 v[180:181], v[146:147], v[14:15]
	v_mul_f64_e32 v[14:15], v[148:149], v[14:15]
	v_fmac_f64_e32 v[176:177], v[6:7], v[150:151]
	v_fma_f64 v[182:183], v[4:5], v[150:151], -v[152:153]
	ds_load_b128 v[4:7], v2 offset:1152
	ds_load_b128 v[150:153], v2 offset:1168
	v_add_f64_e32 v[184:185], v[168:169], v[166:167]
	v_add_f64_e32 v[174:175], v[174:175], v[178:179]
	scratch_load_b128 v[166:169], off, off offset:480
	v_fmac_f64_e32 v[180:181], v[148:149], v[12:13]
	v_fma_f64 v[146:147], v[146:147], v[12:13], -v[14:15]
	scratch_load_b128 v[12:15], off, off offset:496
	s_wait_loadcnt_dscnt 0xb01
	v_mul_f64_e32 v[178:179], v[4:5], v[136:137]
	v_mul_f64_e32 v[136:137], v[6:7], v[136:137]
	v_add_f64_e32 v[148:149], v[184:185], v[182:183]
	v_add_f64_e32 v[174:175], v[174:175], v[176:177]
	s_wait_loadcnt_dscnt 0xa00
	v_mul_f64_e32 v[176:177], v[150:151], v[128:129]
	v_mul_f64_e32 v[128:129], v[152:153], v[128:129]
	v_fmac_f64_e32 v[178:179], v[6:7], v[134:135]
	v_fma_f64 v[182:183], v[4:5], v[134:135], -v[136:137]
	ds_load_b128 v[4:7], v2 offset:1184
	ds_load_b128 v[134:137], v2 offset:1200
	v_add_f64_e32 v[184:185], v[148:149], v[146:147]
	v_add_f64_e32 v[174:175], v[174:175], v[180:181]
	scratch_load_b128 v[146:149], off, off offset:512
	s_wait_loadcnt_dscnt 0xa01
	v_mul_f64_e32 v[180:181], v[4:5], v[144:145]
	v_mul_f64_e32 v[144:145], v[6:7], v[144:145]
	v_fmac_f64_e32 v[176:177], v[152:153], v[126:127]
	v_fma_f64 v[150:151], v[150:151], v[126:127], -v[128:129]
	scratch_load_b128 v[126:129], off, off offset:528
	v_add_f64_e32 v[152:153], v[184:185], v[182:183]
	v_add_f64_e32 v[174:175], v[174:175], v[178:179]
	s_wait_loadcnt_dscnt 0xa00
	v_mul_f64_e32 v[178:179], v[134:135], v[132:133]
	v_mul_f64_e32 v[132:133], v[136:137], v[132:133]
	v_fmac_f64_e32 v[180:181], v[6:7], v[142:143]
	v_fma_f64 v[182:183], v[4:5], v[142:143], -v[144:145]
	ds_load_b128 v[4:7], v2 offset:1216
	ds_load_b128 v[142:145], v2 offset:1232
	v_add_f64_e32 v[184:185], v[152:153], v[150:151]
	v_add_f64_e32 v[174:175], v[174:175], v[176:177]
	scratch_load_b128 v[150:153], off, off offset:544
	s_wait_loadcnt_dscnt 0xa01
	v_mul_f64_e32 v[176:177], v[4:5], v[156:157]
	v_mul_f64_e32 v[156:157], v[6:7], v[156:157]
	v_fmac_f64_e32 v[178:179], v[136:137], v[130:131]
	v_fma_f64 v[134:135], v[134:135], v[130:131], -v[132:133]
	scratch_load_b128 v[130:133], off, off offset:560
	v_add_f64_e32 v[136:137], v[184:185], v[182:183]
	v_add_f64_e32 v[174:175], v[174:175], v[180:181]
	s_wait_loadcnt_dscnt 0xa00
	v_mul_f64_e32 v[180:181], v[142:143], v[140:141]
	v_mul_f64_e32 v[140:141], v[144:145], v[140:141]
	v_fmac_f64_e32 v[176:177], v[6:7], v[154:155]
	v_fma_f64 v[182:183], v[4:5], v[154:155], -v[156:157]
	v_add_f64_e32 v[184:185], v[136:137], v[134:135]
	v_add_f64_e32 v[174:175], v[174:175], v[178:179]
	ds_load_b128 v[4:7], v2 offset:1248
	ds_load_b128 v[134:137], v2 offset:1264
	scratch_load_b128 v[154:157], off, off offset:576
	v_fmac_f64_e32 v[180:181], v[144:145], v[138:139]
	v_fma_f64 v[142:143], v[142:143], v[138:139], -v[140:141]
	scratch_load_b128 v[138:141], off, off offset:592
	s_wait_loadcnt_dscnt 0xb01
	v_mul_f64_e32 v[178:179], v[4:5], v[172:173]
	v_mul_f64_e32 v[172:173], v[6:7], v[172:173]
	v_add_f64_e32 v[144:145], v[184:185], v[182:183]
	v_add_f64_e32 v[174:175], v[174:175], v[176:177]
	s_wait_loadcnt_dscnt 0xa00
	v_mul_f64_e32 v[176:177], v[134:135], v[10:11]
	v_mul_f64_e32 v[10:11], v[136:137], v[10:11]
	v_fmac_f64_e32 v[178:179], v[6:7], v[170:171]
	v_fma_f64 v[182:183], v[4:5], v[170:171], -v[172:173]
	v_add_f64_e32 v[184:185], v[144:145], v[142:143]
	v_add_f64_e32 v[174:175], v[174:175], v[180:181]
	ds_load_b128 v[4:7], v2 offset:1280
	ds_load_b128 v[142:145], v2 offset:1296
	scratch_load_b128 v[170:173], off, off offset:608
	v_fmac_f64_e32 v[176:177], v[136:137], v[8:9]
	v_fma_f64 v[134:135], v[134:135], v[8:9], -v[10:11]
	scratch_load_b128 v[8:11], off, off offset:624
	s_wait_loadcnt_dscnt 0xb01
	v_mul_f64_e32 v[180:181], v[4:5], v[160:161]
	v_mul_f64_e32 v[160:161], v[6:7], v[160:161]
	;; [unrolled: 18-line block ×8, first 2 shown]
	v_add_f64_e32 v[136:137], v[184:185], v[182:183]
	v_add_f64_e32 v[174:175], v[174:175], v[178:179]
	s_wait_loadcnt_dscnt 0xa00
	v_mul_f64_e32 v[178:179], v[142:143], v[124:125]
	v_mul_f64_e32 v[124:125], v[144:145], v[124:125]
	v_fmac_f64_e32 v[180:181], v[6:7], v[158:159]
	v_fma_f64 v[158:159], v[4:5], v[158:159], -v[160:161]
	v_add_f64_e32 v[160:161], v[136:137], v[134:135]
	v_add_f64_e32 v[174:175], v[174:175], v[176:177]
	ds_load_b128 v[4:7], v2 offset:1504
	ds_load_b128 v[134:137], v2 offset:1520
	v_fmac_f64_e32 v[178:179], v[144:145], v[122:123]
	v_fma_f64 v[122:123], v[142:143], v[122:123], -v[124:125]
	s_wait_loadcnt_dscnt 0x901
	v_mul_f64_e32 v[176:177], v[4:5], v[168:169]
	v_mul_f64_e32 v[168:169], v[6:7], v[168:169]
	s_wait_loadcnt_dscnt 0x800
	v_mul_f64_e32 v[144:145], v[134:135], v[14:15]
	v_mul_f64_e32 v[14:15], v[136:137], v[14:15]
	v_add_f64_e32 v[124:125], v[160:161], v[158:159]
	v_add_f64_e32 v[142:143], v[174:175], v[180:181]
	v_fmac_f64_e32 v[176:177], v[6:7], v[166:167]
	v_fma_f64 v[158:159], v[4:5], v[166:167], -v[168:169]
	v_fmac_f64_e32 v[144:145], v[136:137], v[12:13]
	v_fma_f64 v[12:13], v[134:135], v[12:13], -v[14:15]
	v_add_f64_e32 v[160:161], v[124:125], v[122:123]
	v_add_f64_e32 v[142:143], v[142:143], v[178:179]
	ds_load_b128 v[4:7], v2 offset:1536
	ds_load_b128 v[122:125], v2 offset:1552
	s_wait_loadcnt_dscnt 0x701
	v_mul_f64_e32 v[166:167], v[4:5], v[148:149]
	v_mul_f64_e32 v[148:149], v[6:7], v[148:149]
	s_wait_loadcnt_dscnt 0x600
	v_mul_f64_e32 v[136:137], v[122:123], v[128:129]
	v_mul_f64_e32 v[128:129], v[124:125], v[128:129]
	v_add_f64_e32 v[14:15], v[160:161], v[158:159]
	v_add_f64_e32 v[134:135], v[142:143], v[176:177]
	v_fmac_f64_e32 v[166:167], v[6:7], v[146:147]
	v_fma_f64 v[142:143], v[4:5], v[146:147], -v[148:149]
	v_fmac_f64_e32 v[136:137], v[124:125], v[126:127]
	v_fma_f64 v[122:123], v[122:123], v[126:127], -v[128:129]
	v_add_f64_e32 v[146:147], v[14:15], v[12:13]
	v_add_f64_e32 v[134:135], v[134:135], v[144:145]
	ds_load_b128 v[4:7], v2 offset:1568
	ds_load_b128 v[12:15], v2 offset:1584
	;; [unrolled: 16-line block ×4, first 2 shown]
	s_wait_loadcnt_dscnt 0x101
	v_mul_f64_e32 v[2:3], v[4:5], v[172:173]
	v_mul_f64_e32 v[128:129], v[6:7], v[172:173]
	s_wait_loadcnt_dscnt 0x0
	v_mul_f64_e32 v[132:133], v[12:13], v[10:11]
	v_mul_f64_e32 v[10:11], v[14:15], v[10:11]
	v_add_f64_e32 v[124:125], v[140:141], v[134:135]
	v_add_f64_e32 v[126:127], v[126:127], v[136:137]
	v_fmac_f64_e32 v[2:3], v[6:7], v[170:171]
	v_fma_f64 v[4:5], v[4:5], v[170:171], -v[128:129]
	v_fmac_f64_e32 v[132:133], v[14:15], v[8:9]
	v_fma_f64 v[8:9], v[12:13], v[8:9], -v[10:11]
	v_add_f64_e32 v[6:7], v[124:125], v[122:123]
	v_add_f64_e32 v[122:123], v[126:127], v[130:131]
	s_delay_alu instid0(VALU_DEP_2) | instskip(NEXT) | instid1(VALU_DEP_2)
	v_add_f64_e32 v[4:5], v[6:7], v[4:5]
	v_add_f64_e32 v[2:3], v[122:123], v[2:3]
	s_delay_alu instid0(VALU_DEP_2) | instskip(NEXT) | instid1(VALU_DEP_2)
	v_add_f64_e32 v[4:5], v[4:5], v[8:9]
	v_add_f64_e32 v[6:7], v[2:3], v[132:133]
	s_delay_alu instid0(VALU_DEP_2) | instskip(NEXT) | instid1(VALU_DEP_2)
	v_add_f64_e64 v[2:3], v[162:163], -v[4:5]
	v_add_f64_e64 v[4:5], v[164:165], -v[6:7]
	scratch_store_b128 off, v[2:5], off offset:16
	s_wait_xcnt 0x0
	v_cmpx_ne_u32_e32 0, v1
	s_cbranch_execz .LBB115_325
; %bb.324:
	scratch_load_b128 v[2:5], off, off
	v_mov_b32_e32 v6, 0
	s_delay_alu instid0(VALU_DEP_1)
	v_dual_mov_b32 v7, v6 :: v_dual_mov_b32 v8, v6
	v_mov_b32_e32 v9, v6
	scratch_store_b128 off, v[6:9], off
	s_wait_loadcnt 0x0
	ds_store_b128 v120, v[2:5]
.LBB115_325:
	s_wait_xcnt 0x0
	s_or_b32 exec_lo, exec_lo, s2
	s_wait_storecnt_dscnt 0x0
	s_barrier_signal -1
	s_barrier_wait -1
	s_clause 0x9
	scratch_load_b128 v[2:5], off, off offset:16
	scratch_load_b128 v[6:9], off, off offset:32
	;; [unrolled: 1-line block ×10, first 2 shown]
	v_mov_b32_e32 v162, 0
	s_and_b32 vcc_lo, exec_lo, s64
	ds_load_b128 v[148:151], v162 offset:848
	s_clause 0x2
	scratch_load_b128 v[152:155], off, off offset:176
	scratch_load_b128 v[164:167], off, off
	scratch_load_b128 v[168:171], off, off offset:192
	s_wait_loadcnt_dscnt 0xc00
	v_mul_f64_e32 v[14:15], v[150:151], v[4:5]
	v_mul_f64_e32 v[160:161], v[148:149], v[4:5]
	ds_load_b128 v[156:159], v162 offset:864
	ds_load_b128 v[172:175], v162 offset:896
	v_fma_f64 v[14:15], v[148:149], v[2:3], -v[14:15]
	v_fmac_f64_e32 v[160:161], v[150:151], v[2:3]
	ds_load_b128 v[2:5], v162 offset:880
	s_wait_loadcnt_dscnt 0xb02
	v_mul_f64_e32 v[176:177], v[156:157], v[8:9]
	v_mul_f64_e32 v[8:9], v[158:159], v[8:9]
	scratch_load_b128 v[148:151], off, off offset:208
	s_wait_loadcnt_dscnt 0xb00
	v_mul_f64_e32 v[178:179], v[2:3], v[12:13]
	v_mul_f64_e32 v[12:13], v[4:5], v[12:13]
	v_add_f64_e32 v[14:15], 0, v[14:15]
	v_fmac_f64_e32 v[176:177], v[158:159], v[6:7]
	v_fma_f64 v[156:157], v[156:157], v[6:7], -v[8:9]
	v_add_f64_e32 v[158:159], 0, v[160:161]
	scratch_load_b128 v[6:9], off, off offset:224
	v_fmac_f64_e32 v[178:179], v[4:5], v[10:11]
	v_fma_f64 v[180:181], v[2:3], v[10:11], -v[12:13]
	ds_load_b128 v[2:5], v162 offset:912
	s_wait_loadcnt 0xb
	v_mul_f64_e32 v[160:161], v[172:173], v[122:123]
	v_mul_f64_e32 v[122:123], v[174:175], v[122:123]
	scratch_load_b128 v[10:13], off, off offset:240
	v_add_f64_e32 v[14:15], v[14:15], v[156:157]
	v_add_f64_e32 v[176:177], v[158:159], v[176:177]
	ds_load_b128 v[156:159], v162 offset:928
	s_wait_loadcnt_dscnt 0xb01
	v_mul_f64_e32 v[182:183], v[2:3], v[126:127]
	v_mul_f64_e32 v[126:127], v[4:5], v[126:127]
	v_fmac_f64_e32 v[160:161], v[174:175], v[120:121]
	v_fma_f64 v[172:173], v[172:173], v[120:121], -v[122:123]
	scratch_load_b128 v[120:123], off, off offset:256
	v_add_f64_e32 v[14:15], v[14:15], v[180:181]
	v_add_f64_e32 v[174:175], v[176:177], v[178:179]
	v_fmac_f64_e32 v[182:183], v[4:5], v[124:125]
	v_fma_f64 v[178:179], v[2:3], v[124:125], -v[126:127]
	ds_load_b128 v[2:5], v162 offset:944
	s_wait_loadcnt_dscnt 0xb01
	v_mul_f64_e32 v[176:177], v[156:157], v[130:131]
	v_mul_f64_e32 v[130:131], v[158:159], v[130:131]
	scratch_load_b128 v[124:127], off, off offset:272
	s_wait_loadcnt_dscnt 0xb00
	v_mul_f64_e32 v[180:181], v[2:3], v[134:135]
	v_mul_f64_e32 v[134:135], v[4:5], v[134:135]
	v_add_f64_e32 v[14:15], v[14:15], v[172:173]
	v_add_f64_e32 v[160:161], v[174:175], v[160:161]
	ds_load_b128 v[172:175], v162 offset:960
	v_fmac_f64_e32 v[176:177], v[158:159], v[128:129]
	v_fma_f64 v[156:157], v[156:157], v[128:129], -v[130:131]
	scratch_load_b128 v[128:131], off, off offset:288
	v_fmac_f64_e32 v[180:181], v[4:5], v[132:133]
	v_add_f64_e32 v[14:15], v[14:15], v[178:179]
	v_add_f64_e32 v[158:159], v[160:161], v[182:183]
	v_fma_f64 v[178:179], v[2:3], v[132:133], -v[134:135]
	ds_load_b128 v[2:5], v162 offset:976
	s_wait_loadcnt_dscnt 0xb01
	v_mul_f64_e32 v[160:161], v[172:173], v[138:139]
	v_mul_f64_e32 v[138:139], v[174:175], v[138:139]
	scratch_load_b128 v[132:135], off, off offset:304
	s_wait_loadcnt_dscnt 0xb00
	v_mul_f64_e32 v[182:183], v[2:3], v[142:143]
	v_mul_f64_e32 v[142:143], v[4:5], v[142:143]
	v_add_f64_e32 v[14:15], v[14:15], v[156:157]
	v_add_f64_e32 v[176:177], v[158:159], v[176:177]
	ds_load_b128 v[156:159], v162 offset:992
	v_fmac_f64_e32 v[160:161], v[174:175], v[136:137]
	v_fma_f64 v[172:173], v[172:173], v[136:137], -v[138:139]
	scratch_load_b128 v[136:139], off, off offset:320
	v_fmac_f64_e32 v[182:183], v[4:5], v[140:141]
	v_add_f64_e32 v[14:15], v[14:15], v[178:179]
	v_add_f64_e32 v[174:175], v[176:177], v[180:181]
	;; [unrolled: 18-line block ×3, first 2 shown]
	v_fma_f64 v[178:179], v[2:3], v[152:153], -v[154:155]
	ds_load_b128 v[2:5], v162 offset:1040
	s_wait_loadcnt_dscnt 0xa01
	v_mul_f64_e32 v[160:161], v[172:173], v[170:171]
	v_mul_f64_e32 v[170:171], v[174:175], v[170:171]
	scratch_load_b128 v[152:155], off, off offset:368
	v_add_f64_e32 v[14:15], v[14:15], v[156:157]
	v_add_f64_e32 v[176:177], v[158:159], v[176:177]
	s_wait_loadcnt_dscnt 0xa00
	v_mul_f64_e32 v[182:183], v[2:3], v[150:151]
	v_mul_f64_e32 v[150:151], v[4:5], v[150:151]
	v_fmac_f64_e32 v[160:161], v[174:175], v[168:169]
	v_fma_f64 v[172:173], v[172:173], v[168:169], -v[170:171]
	ds_load_b128 v[156:159], v162 offset:1056
	scratch_load_b128 v[168:171], off, off offset:384
	v_add_f64_e32 v[14:15], v[14:15], v[178:179]
	v_add_f64_e32 v[174:175], v[176:177], v[180:181]
	v_fmac_f64_e32 v[182:183], v[4:5], v[148:149]
	v_fma_f64 v[178:179], v[2:3], v[148:149], -v[150:151]
	ds_load_b128 v[2:5], v162 offset:1072
	s_wait_loadcnt_dscnt 0xa01
	v_mul_f64_e32 v[176:177], v[156:157], v[8:9]
	v_mul_f64_e32 v[8:9], v[158:159], v[8:9]
	scratch_load_b128 v[148:151], off, off offset:400
	s_wait_loadcnt_dscnt 0xa00
	v_mul_f64_e32 v[180:181], v[2:3], v[12:13]
	v_mul_f64_e32 v[12:13], v[4:5], v[12:13]
	v_add_f64_e32 v[14:15], v[14:15], v[172:173]
	v_add_f64_e32 v[160:161], v[174:175], v[160:161]
	ds_load_b128 v[172:175], v162 offset:1088
	v_fmac_f64_e32 v[176:177], v[158:159], v[6:7]
	v_fma_f64 v[156:157], v[156:157], v[6:7], -v[8:9]
	scratch_load_b128 v[6:9], off, off offset:416
	v_fmac_f64_e32 v[180:181], v[4:5], v[10:11]
	v_add_f64_e32 v[14:15], v[14:15], v[178:179]
	v_add_f64_e32 v[158:159], v[160:161], v[182:183]
	v_fma_f64 v[178:179], v[2:3], v[10:11], -v[12:13]
	ds_load_b128 v[2:5], v162 offset:1104
	s_wait_loadcnt_dscnt 0xa01
	v_mul_f64_e32 v[160:161], v[172:173], v[122:123]
	v_mul_f64_e32 v[122:123], v[174:175], v[122:123]
	scratch_load_b128 v[10:13], off, off offset:432
	s_wait_loadcnt_dscnt 0xa00
	v_mul_f64_e32 v[182:183], v[2:3], v[126:127]
	v_mul_f64_e32 v[126:127], v[4:5], v[126:127]
	v_add_f64_e32 v[14:15], v[14:15], v[156:157]
	v_add_f64_e32 v[176:177], v[158:159], v[176:177]
	ds_load_b128 v[156:159], v162 offset:1120
	v_fmac_f64_e32 v[160:161], v[174:175], v[120:121]
	v_fma_f64 v[172:173], v[172:173], v[120:121], -v[122:123]
	scratch_load_b128 v[120:123], off, off offset:448
	v_fmac_f64_e32 v[182:183], v[4:5], v[124:125]
	v_add_f64_e32 v[14:15], v[14:15], v[178:179]
	v_add_f64_e32 v[174:175], v[176:177], v[180:181]
	;; [unrolled: 18-line block ×13, first 2 shown]
	v_fma_f64 v[178:179], v[2:3], v[10:11], -v[12:13]
	ds_load_b128 v[2:5], v162 offset:1488
	s_wait_loadcnt_dscnt 0xa01
	v_mul_f64_e32 v[160:161], v[172:173], v[122:123]
	v_mul_f64_e32 v[122:123], v[174:175], v[122:123]
	scratch_load_b128 v[10:13], off, off offset:816
	s_wait_loadcnt_dscnt 0xa00
	v_mul_f64_e32 v[182:183], v[2:3], v[126:127]
	v_mul_f64_e32 v[126:127], v[4:5], v[126:127]
	v_add_f64_e32 v[14:15], v[14:15], v[156:157]
	v_add_f64_e32 v[176:177], v[158:159], v[176:177]
	ds_load_b128 v[156:159], v162 offset:1504
	v_fmac_f64_e32 v[160:161], v[174:175], v[120:121]
	v_fma_f64 v[120:121], v[172:173], v[120:121], -v[122:123]
	s_wait_loadcnt_dscnt 0x900
	v_mul_f64_e32 v[172:173], v[156:157], v[130:131]
	v_mul_f64_e32 v[130:131], v[158:159], v[130:131]
	v_fmac_f64_e32 v[182:183], v[4:5], v[124:125]
	v_fma_f64 v[124:125], v[2:3], v[124:125], -v[126:127]
	v_add_f64_e32 v[14:15], v[14:15], v[178:179]
	v_add_f64_e32 v[122:123], v[176:177], v[180:181]
	v_fmac_f64_e32 v[172:173], v[158:159], v[128:129]
	v_fma_f64 v[128:129], v[156:157], v[128:129], -v[130:131]
	v_lshl_add_u64 v[158:159], v[22:23], 4, s[4:5]
	v_lshl_add_u64 v[156:157], v[24:25], 4, s[4:5]
	v_lshl_add_u64 v[24:25], v[100:101], 4, s[4:5]
	v_lshl_add_u64 v[22:23], v[102:103], 4, s[4:5]
	v_add_f64_e32 v[14:15], v[14:15], v[120:121]
	v_add_f64_e32 v[126:127], v[122:123], v[160:161]
	ds_load_b128 v[2:5], v162 offset:1520
	ds_load_b128 v[120:123], v162 offset:1536
	s_wait_loadcnt_dscnt 0x801
	v_mul_f64_e32 v[160:161], v[2:3], v[134:135]
	v_mul_f64_e32 v[134:135], v[4:5], v[134:135]
	s_wait_loadcnt_dscnt 0x700
	v_mul_f64_e32 v[130:131], v[120:121], v[138:139]
	v_mul_f64_e32 v[138:139], v[122:123], v[138:139]
	v_add_f64_e32 v[14:15], v[14:15], v[124:125]
	v_add_f64_e32 v[124:125], v[126:127], v[182:183]
	v_fmac_f64_e32 v[160:161], v[4:5], v[132:133]
	v_fma_f64 v[132:133], v[2:3], v[132:133], -v[134:135]
	v_fmac_f64_e32 v[130:131], v[122:123], v[136:137]
	v_fma_f64 v[120:121], v[120:121], v[136:137], -v[138:139]
	v_add_f64_e32 v[14:15], v[14:15], v[128:129]
	v_add_f64_e32 v[128:129], v[124:125], v[172:173]
	ds_load_b128 v[2:5], v162 offset:1552
	ds_load_b128 v[124:127], v162 offset:1568
	s_wait_loadcnt_dscnt 0x601
	v_mul_f64_e32 v[134:135], v[2:3], v[142:143]
	v_mul_f64_e32 v[142:143], v[4:5], v[142:143]
	v_add_f64_e32 v[14:15], v[14:15], v[132:133]
	v_add_f64_e32 v[122:123], v[128:129], v[160:161]
	s_wait_loadcnt_dscnt 0x500
	v_mul_f64_e32 v[128:129], v[124:125], v[146:147]
	v_mul_f64_e32 v[132:133], v[126:127], v[146:147]
	v_lshl_add_u64 v[160:161], v[20:21], 4, s[4:5]
	v_lshl_add_u64 v[146:147], v[34:35], 4, s[4:5]
	;; [unrolled: 1-line block ×4, first 2 shown]
	v_fmac_f64_e32 v[134:135], v[4:5], v[140:141]
	v_fma_f64 v[136:137], v[2:3], v[140:141], -v[142:143]
	v_lshl_add_u64 v[142:143], v[38:39], 4, s[4:5]
	v_lshl_add_u64 v[38:39], v[86:87], 4, s[4:5]
	v_add_f64_e32 v[14:15], v[14:15], v[120:121]
	v_add_f64_e32 v[130:131], v[122:123], v[130:131]
	ds_load_b128 v[2:5], v162 offset:1584
	ds_load_b128 v[120:123], v162 offset:1600
	v_fmac_f64_e32 v[128:129], v[126:127], v[144:145]
	v_fma_f64 v[124:125], v[124:125], v[144:145], -v[132:133]
	v_lshl_add_u64 v[144:145], v[36:37], 4, s[4:5]
	v_lshl_add_u64 v[36:37], v[88:89], 4, s[4:5]
	s_wait_loadcnt_dscnt 0x401
	v_mul_f64_e32 v[138:139], v[2:3], v[154:155]
	v_mul_f64_e32 v[140:141], v[4:5], v[154:155]
	s_wait_loadcnt_dscnt 0x300
	v_mul_f64_e32 v[132:133], v[122:123], v[170:171]
	v_lshl_add_u64 v[154:155], v[26:27], 4, s[4:5]
	v_lshl_add_u64 v[26:27], v[98:99], 4, s[4:5]
	v_add_f64_e32 v[14:15], v[14:15], v[136:137]
	v_add_f64_e32 v[126:127], v[130:131], v[134:135]
	v_mul_f64_e32 v[130:131], v[120:121], v[170:171]
	v_fmac_f64_e32 v[138:139], v[4:5], v[152:153]
	v_fma_f64 v[134:135], v[2:3], v[152:153], -v[140:141]
	v_fma_f64 v[120:121], v[120:121], v[168:169], -v[132:133]
	v_lshl_add_u64 v[152:153], v[28:29], 4, s[4:5]
	v_lshl_add_u64 v[28:29], v[96:97], 4, s[4:5]
	v_add_f64_e32 v[14:15], v[14:15], v[124:125]
	v_add_f64_e32 v[128:129], v[126:127], v[128:129]
	ds_load_b128 v[2:5], v162 offset:1616
	ds_load_b128 v[124:127], v162 offset:1632
	v_fmac_f64_e32 v[130:131], v[122:123], v[168:169]
	s_wait_loadcnt_dscnt 0x201
	v_mul_f64_e32 v[136:137], v[2:3], v[150:151]
	v_mul_f64_e32 v[140:141], v[4:5], v[150:151]
	v_lshl_add_u64 v[150:151], v[30:31], 4, s[4:5]
	v_lshl_add_u64 v[30:31], v[94:95], 4, s[4:5]
	v_add_f64_e32 v[14:15], v[14:15], v[134:135]
	v_add_f64_e32 v[122:123], v[128:129], v[138:139]
	s_wait_loadcnt_dscnt 0x100
	v_mul_f64_e32 v[128:129], v[124:125], v[8:9]
	v_mul_f64_e32 v[8:9], v[126:127], v[8:9]
	v_lshl_add_u64 v[138:139], v[42:43], 4, s[4:5]
	v_lshl_add_u64 v[134:135], v[46:47], 4, s[4:5]
	;; [unrolled: 1-line block ×4, first 2 shown]
	v_fmac_f64_e32 v[136:137], v[4:5], v[148:149]
	v_fma_f64 v[132:133], v[2:3], v[148:149], -v[140:141]
	ds_load_b128 v[2:5], v162 offset:1648
	v_lshl_add_u64 v[148:149], v[32:33], 4, s[4:5]
	v_lshl_add_u64 v[140:141], v[40:41], 4, s[4:5]
	;; [unrolled: 1-line block ×4, first 2 shown]
	v_add_f64_e32 v[14:15], v[14:15], v[120:121]
	v_add_f64_e32 v[120:121], v[122:123], v[130:131]
	v_fmac_f64_e32 v[128:129], v[126:127], v[6:7]
	v_fma_f64 v[6:7], v[124:125], v[6:7], -v[8:9]
	v_lshl_add_u64 v[130:131], v[48:49], 4, s[4:5]
	v_lshl_add_u64 v[126:127], v[50:51], 4, s[4:5]
	;; [unrolled: 1-line block ×6, first 2 shown]
	s_wait_loadcnt_dscnt 0x0
	v_mul_f64_e32 v[122:123], v[2:3], v[12:13]
	v_mul_f64_e32 v[12:13], v[4:5], v[12:13]
	v_add_f64_e32 v[8:9], v[14:15], v[132:133]
	v_add_f64_e32 v[14:15], v[120:121], v[136:137]
	v_lshl_add_u64 v[136:137], v[44:45], 4, s[4:5]
	v_lshl_add_u64 v[120:121], v[56:57], 4, s[4:5]
	;; [unrolled: 1-line block ×6, first 2 shown]
	v_fmac_f64_e32 v[122:123], v[4:5], v[10:11]
	v_fma_f64 v[2:3], v[2:3], v[10:11], -v[12:13]
	v_lshl_add_u64 v[12:13], v[108:109], 4, s[4:5]
	v_lshl_add_u64 v[10:11], v[110:111], 4, s[4:5]
	v_add_f64_e32 v[4:5], v[8:9], v[6:7]
	v_add_f64_e32 v[6:7], v[14:15], v[128:129]
	v_lshl_add_u64 v[128:129], v[62:63], 4, s[4:5]
	v_lshl_add_u64 v[62:63], v[64:65], 4, s[4:5]
	;; [unrolled: 1-line block ×4, first 2 shown]
	v_add_f64_e32 v[2:3], v[4:5], v[2:3]
	v_add_f64_e32 v[4:5], v[6:7], v[122:123]
	v_lshl_add_u64 v[122:123], v[54:55], 4, s[4:5]
	v_lshl_add_u64 v[54:55], v[60:61], 4, s[4:5]
	;; [unrolled: 1-line block ×4, first 2 shown]
	v_add_f64_e64 v[164:165], v[164:165], -v[2:3]
	v_add_f64_e64 v[166:167], v[166:167], -v[4:5]
	v_lshl_add_u64 v[4:5], v[116:117], 4, s[4:5]
	v_lshl_add_u64 v[2:3], v[118:119], 4, s[4:5]
	scratch_store_b128 off, v[164:167], off
	s_cbranch_vccz .LBB115_428
; %bb.326:
	global_load_b32 v64, v162, s[8:9] offset:200
	s_load_b64 s[2:3], s[0:1], 0x4
	v_bfe_u32 v65, v0, 10, 10
	v_bfe_u32 v0, v0, 20, 10
	s_wait_kmcnt 0x0
	s_lshr_b32 s0, s2, 16
	s_delay_alu instid0(VALU_DEP_2) | instskip(SKIP_1) | instid1(SALU_CYCLE_1)
	v_mul_u32_u24_e32 v65, s3, v65
	s_mul_i32 s0, s0, s3
	v_mul_u32_u24_e32 v1, s0, v1
	s_delay_alu instid0(VALU_DEP_1) | instskip(NEXT) | instid1(VALU_DEP_1)
	v_add3_u32 v0, v1, v65, v0
	v_lshl_add_u32 v0, v0, 4, 0x688
	s_wait_loadcnt 0x0
	v_cmp_ne_u32_e32 vcc_lo, 51, v64
	s_cbranch_vccz .LBB115_328
; %bb.327:
	v_lshlrev_b32_e32 v1, 4, v64
	s_clause 0x1
	scratch_load_b128 v[64:67], off, s15
	scratch_load_b128 v[68:71], v1, off offset:-16
	s_wait_loadcnt 0x1
	ds_store_2addr_b64 v0, v[64:65], v[66:67] offset1:1
	s_wait_loadcnt 0x0
	s_clause 0x1
	scratch_store_b128 off, v[68:71], s15
	scratch_store_b128 v1, v[64:67], off offset:-16
.LBB115_328:
	s_wait_xcnt 0x0
	v_mov_b32_e32 v1, 0
	global_load_b32 v64, v1, s[8:9] offset:196
	s_wait_loadcnt 0x0
	v_cmp_eq_u32_e32 vcc_lo, 50, v64
	s_cbranch_vccnz .LBB115_330
; %bb.329:
	v_lshlrev_b32_e32 v64, 4, v64
	s_delay_alu instid0(VALU_DEP_1)
	v_mov_b32_e32 v72, v64
	s_clause 0x1
	scratch_load_b128 v[64:67], off, s17
	scratch_load_b128 v[68:71], v72, off offset:-16
	s_wait_loadcnt 0x1
	ds_store_2addr_b64 v0, v[64:65], v[66:67] offset1:1
	s_wait_loadcnt 0x0
	s_clause 0x1
	scratch_store_b128 off, v[68:71], s17
	scratch_store_b128 v72, v[64:67], off offset:-16
.LBB115_330:
	global_load_b32 v1, v1, s[8:9] offset:192
	s_wait_loadcnt 0x0
	v_cmp_eq_u32_e32 vcc_lo, 49, v1
	s_cbranch_vccnz .LBB115_332
; %bb.331:
	s_wait_xcnt 0x0
	v_lshlrev_b32_e32 v1, 4, v1
	s_clause 0x1
	scratch_load_b128 v[64:67], off, s19
	scratch_load_b128 v[68:71], v1, off offset:-16
	s_wait_loadcnt 0x1
	ds_store_2addr_b64 v0, v[64:65], v[66:67] offset1:1
	s_wait_loadcnt 0x0
	s_clause 0x1
	scratch_store_b128 off, v[68:71], s19
	scratch_store_b128 v1, v[64:67], off offset:-16
.LBB115_332:
	s_wait_xcnt 0x0
	v_mov_b32_e32 v1, 0
	global_load_b32 v64, v1, s[8:9] offset:188
	s_wait_loadcnt 0x0
	v_cmp_eq_u32_e32 vcc_lo, 48, v64
	s_cbranch_vccnz .LBB115_334
; %bb.333:
	v_lshlrev_b32_e32 v64, 4, v64
	s_delay_alu instid0(VALU_DEP_1)
	v_mov_b32_e32 v72, v64
	s_clause 0x1
	scratch_load_b128 v[64:67], off, s20
	scratch_load_b128 v[68:71], v72, off offset:-16
	s_wait_loadcnt 0x1
	ds_store_2addr_b64 v0, v[64:65], v[66:67] offset1:1
	s_wait_loadcnt 0x0
	s_clause 0x1
	scratch_store_b128 off, v[68:71], s20
	scratch_store_b128 v72, v[64:67], off offset:-16
.LBB115_334:
	global_load_b32 v1, v1, s[8:9] offset:184
	s_wait_loadcnt 0x0
	v_cmp_eq_u32_e32 vcc_lo, 47, v1
	s_cbranch_vccnz .LBB115_336
; %bb.335:
	s_wait_xcnt 0x0
	v_lshlrev_b32_e32 v1, 4, v1
	s_clause 0x1
	scratch_load_b128 v[64:67], off, s21
	scratch_load_b128 v[68:71], v1, off offset:-16
	s_wait_loadcnt 0x1
	ds_store_2addr_b64 v0, v[64:65], v[66:67] offset1:1
	s_wait_loadcnt 0x0
	s_clause 0x1
	scratch_store_b128 off, v[68:71], s21
	scratch_store_b128 v1, v[64:67], off offset:-16
.LBB115_336:
	;; [unrolled: 37-line block ×24, first 2 shown]
	s_wait_xcnt 0x0
	v_mov_b32_e32 v1, 0
	global_load_b32 v64, v1, s[8:9] offset:4
	s_wait_loadcnt 0x0
	v_cmp_eq_u32_e32 vcc_lo, 2, v64
	s_cbranch_vccnz .LBB115_426
; %bb.425:
	v_lshlrev_b32_e32 v64, 4, v64
	s_delay_alu instid0(VALU_DEP_1)
	v_mov_b32_e32 v72, v64
	s_clause 0x1
	scratch_load_b128 v[64:67], off, s18
	scratch_load_b128 v[68:71], v72, off offset:-16
	s_wait_loadcnt 0x1
	ds_store_2addr_b64 v0, v[64:65], v[66:67] offset1:1
	s_wait_loadcnt 0x0
	s_clause 0x1
	scratch_store_b128 off, v[68:71], s18
	scratch_store_b128 v72, v[64:67], off offset:-16
.LBB115_426:
	global_load_b32 v1, v1, s[8:9]
	s_wait_loadcnt 0x0
	v_cmp_eq_u32_e32 vcc_lo, 1, v1
	s_cbranch_vccnz .LBB115_428
; %bb.427:
	s_wait_xcnt 0x0
	v_lshlrev_b32_e32 v1, 4, v1
	scratch_load_b128 v[64:67], off, off
	scratch_load_b128 v[68:71], v1, off offset:-16
	s_wait_loadcnt 0x1
	ds_store_2addr_b64 v0, v[64:65], v[66:67] offset1:1
	s_wait_loadcnt 0x0
	scratch_store_b128 off, v[68:71], off
	scratch_store_b128 v1, v[64:67], off offset:-16
.LBB115_428:
	scratch_load_b128 v[64:67], off, off
	s_wait_loadcnt 0x0
	flat_store_b128 v[16:17], v[64:67]
	scratch_load_b128 v[64:67], off, s18
	s_wait_loadcnt 0x0
	flat_store_b128 v[18:19], v[64:67]
	scratch_load_b128 v[16:19], off, s16
	;; [unrolled: 3-line block ×51, first 2 shown]
	s_wait_loadcnt 0x0
	flat_store_b128 v[2:3], v[4:7]
	s_sendmsg sendmsg(MSG_DEALLOC_VGPRS)
	s_endpgm
	.section	.rodata,"a",@progbits
	.p2align	6, 0x0
	.amdhsa_kernel _ZN9rocsolver6v33100L18getri_kernel_smallILi52E19rocblas_complex_numIdEPKPS3_EEvT1_iilPiilS8_bb
		.amdhsa_group_segment_fixed_size 2696
		.amdhsa_private_segment_fixed_size 848
		.amdhsa_kernarg_size 60
		.amdhsa_user_sgpr_count 4
		.amdhsa_user_sgpr_dispatch_ptr 1
		.amdhsa_user_sgpr_queue_ptr 0
		.amdhsa_user_sgpr_kernarg_segment_ptr 1
		.amdhsa_user_sgpr_dispatch_id 0
		.amdhsa_user_sgpr_kernarg_preload_length 0
		.amdhsa_user_sgpr_kernarg_preload_offset 0
		.amdhsa_user_sgpr_private_segment_size 0
		.amdhsa_wavefront_size32 1
		.amdhsa_uses_dynamic_stack 0
		.amdhsa_enable_private_segment 1
		.amdhsa_system_sgpr_workgroup_id_x 1
		.amdhsa_system_sgpr_workgroup_id_y 0
		.amdhsa_system_sgpr_workgroup_id_z 0
		.amdhsa_system_sgpr_workgroup_info 0
		.amdhsa_system_vgpr_workitem_id 2
		.amdhsa_next_free_vgpr 186
		.amdhsa_next_free_sgpr 88
		.amdhsa_named_barrier_count 0
		.amdhsa_reserve_vcc 1
		.amdhsa_float_round_mode_32 0
		.amdhsa_float_round_mode_16_64 0
		.amdhsa_float_denorm_mode_32 3
		.amdhsa_float_denorm_mode_16_64 3
		.amdhsa_fp16_overflow 0
		.amdhsa_memory_ordered 1
		.amdhsa_forward_progress 1
		.amdhsa_inst_pref_size 255
		.amdhsa_round_robin_scheduling 0
		.amdhsa_exception_fp_ieee_invalid_op 0
		.amdhsa_exception_fp_denorm_src 0
		.amdhsa_exception_fp_ieee_div_zero 0
		.amdhsa_exception_fp_ieee_overflow 0
		.amdhsa_exception_fp_ieee_underflow 0
		.amdhsa_exception_fp_ieee_inexact 0
		.amdhsa_exception_int_div_zero 0
	.end_amdhsa_kernel
	.section	.text._ZN9rocsolver6v33100L18getri_kernel_smallILi52E19rocblas_complex_numIdEPKPS3_EEvT1_iilPiilS8_bb,"axG",@progbits,_ZN9rocsolver6v33100L18getri_kernel_smallILi52E19rocblas_complex_numIdEPKPS3_EEvT1_iilPiilS8_bb,comdat
.Lfunc_end115:
	.size	_ZN9rocsolver6v33100L18getri_kernel_smallILi52E19rocblas_complex_numIdEPKPS3_EEvT1_iilPiilS8_bb, .Lfunc_end115-_ZN9rocsolver6v33100L18getri_kernel_smallILi52E19rocblas_complex_numIdEPKPS3_EEvT1_iilPiilS8_bb
                                        ; -- End function
	.set _ZN9rocsolver6v33100L18getri_kernel_smallILi52E19rocblas_complex_numIdEPKPS3_EEvT1_iilPiilS8_bb.num_vgpr, 186
	.set _ZN9rocsolver6v33100L18getri_kernel_smallILi52E19rocblas_complex_numIdEPKPS3_EEvT1_iilPiilS8_bb.num_agpr, 0
	.set _ZN9rocsolver6v33100L18getri_kernel_smallILi52E19rocblas_complex_numIdEPKPS3_EEvT1_iilPiilS8_bb.numbered_sgpr, 88
	.set _ZN9rocsolver6v33100L18getri_kernel_smallILi52E19rocblas_complex_numIdEPKPS3_EEvT1_iilPiilS8_bb.num_named_barrier, 0
	.set _ZN9rocsolver6v33100L18getri_kernel_smallILi52E19rocblas_complex_numIdEPKPS3_EEvT1_iilPiilS8_bb.private_seg_size, 848
	.set _ZN9rocsolver6v33100L18getri_kernel_smallILi52E19rocblas_complex_numIdEPKPS3_EEvT1_iilPiilS8_bb.uses_vcc, 1
	.set _ZN9rocsolver6v33100L18getri_kernel_smallILi52E19rocblas_complex_numIdEPKPS3_EEvT1_iilPiilS8_bb.uses_flat_scratch, 1
	.set _ZN9rocsolver6v33100L18getri_kernel_smallILi52E19rocblas_complex_numIdEPKPS3_EEvT1_iilPiilS8_bb.has_dyn_sized_stack, 0
	.set _ZN9rocsolver6v33100L18getri_kernel_smallILi52E19rocblas_complex_numIdEPKPS3_EEvT1_iilPiilS8_bb.has_recursion, 0
	.set _ZN9rocsolver6v33100L18getri_kernel_smallILi52E19rocblas_complex_numIdEPKPS3_EEvT1_iilPiilS8_bb.has_indirect_call, 0
	.section	.AMDGPU.csdata,"",@progbits
; Kernel info:
; codeLenInByte = 101252
; TotalNumSgprs: 90
; NumVgprs: 186
; ScratchSize: 848
; MemoryBound: 0
; FloatMode: 240
; IeeeMode: 1
; LDSByteSize: 2696 bytes/workgroup (compile time only)
; SGPRBlocks: 0
; VGPRBlocks: 11
; NumSGPRsForWavesPerEU: 90
; NumVGPRsForWavesPerEU: 186
; NamedBarCnt: 0
; Occupancy: 5
; WaveLimiterHint : 1
; COMPUTE_PGM_RSRC2:SCRATCH_EN: 1
; COMPUTE_PGM_RSRC2:USER_SGPR: 4
; COMPUTE_PGM_RSRC2:TRAP_HANDLER: 0
; COMPUTE_PGM_RSRC2:TGID_X_EN: 1
; COMPUTE_PGM_RSRC2:TGID_Y_EN: 0
; COMPUTE_PGM_RSRC2:TGID_Z_EN: 0
; COMPUTE_PGM_RSRC2:TIDIG_COMP_CNT: 2
	.section	.text._ZN9rocsolver6v33100L18getri_kernel_smallILi53E19rocblas_complex_numIdEPKPS3_EEvT1_iilPiilS8_bb,"axG",@progbits,_ZN9rocsolver6v33100L18getri_kernel_smallILi53E19rocblas_complex_numIdEPKPS3_EEvT1_iilPiilS8_bb,comdat
	.globl	_ZN9rocsolver6v33100L18getri_kernel_smallILi53E19rocblas_complex_numIdEPKPS3_EEvT1_iilPiilS8_bb ; -- Begin function _ZN9rocsolver6v33100L18getri_kernel_smallILi53E19rocblas_complex_numIdEPKPS3_EEvT1_iilPiilS8_bb
	.p2align	8
	.type	_ZN9rocsolver6v33100L18getri_kernel_smallILi53E19rocblas_complex_numIdEPKPS3_EEvT1_iilPiilS8_bb,@function
_ZN9rocsolver6v33100L18getri_kernel_smallILi53E19rocblas_complex_numIdEPKPS3_EEvT1_iilPiilS8_bb: ; @_ZN9rocsolver6v33100L18getri_kernel_smallILi53E19rocblas_complex_numIdEPKPS3_EEvT1_iilPiilS8_bb
; %bb.0:
	v_and_b32_e32 v1, 0x3ff, v0
	s_mov_b32 s4, exec_lo
	s_delay_alu instid0(VALU_DEP_1)
	v_cmpx_gt_u32_e32 53, v1
	s_cbranch_execz .LBB116_226
; %bb.1:
	s_clause 0x1
	s_load_b32 s16, s[2:3], 0x38
	s_load_b64 s[8:9], s[2:3], 0x0
	s_getreg_b32 s6, hwreg(HW_REG_IB_STS2, 6, 4)
	s_wait_kmcnt 0x0
	s_bitcmp1_b32 s16, 8
	s_cselect_b32 s65, -1, 0
	s_bfe_u32 s4, ttmp6, 0x4000c
	s_and_b32 s5, ttmp6, 15
	s_add_co_i32 s4, s4, 1
	s_delay_alu instid0(SALU_CYCLE_1) | instskip(NEXT) | instid1(SALU_CYCLE_1)
	s_mul_i32 s4, ttmp9, s4
	s_add_co_i32 s5, s5, s4
	s_cmp_eq_u32 s6, 0
	s_cselect_b32 s10, ttmp9, s5
	s_load_b128 s[4:7], s[2:3], 0x28
	s_ashr_i32 s11, s10, 31
	s_delay_alu instid0(SALU_CYCLE_1) | instskip(NEXT) | instid1(SALU_CYCLE_1)
	s_lshl_b64 s[12:13], s[10:11], 3
	s_add_nc_u64 s[8:9], s[8:9], s[12:13]
	s_load_b64 s[14:15], s[8:9], 0x0
	s_wait_xcnt 0x0
	s_bfe_u32 s8, s16, 0x10008
	s_delay_alu instid0(SALU_CYCLE_1)
	s_cmp_eq_u32 s8, 0
                                        ; implicit-def: $sgpr8_sgpr9
	s_cbranch_scc1 .LBB116_3
; %bb.2:
	s_load_b96 s[16:18], s[2:3], 0x18
	s_wait_kmcnt 0x0
	s_mul_u64 s[4:5], s[4:5], s[10:11]
	s_delay_alu instid0(SALU_CYCLE_1) | instskip(SKIP_4) | instid1(SALU_CYCLE_1)
	s_lshl_b64 s[4:5], s[4:5], 2
	s_ashr_i32 s9, s18, 31
	s_mov_b32 s8, s18
	s_add_nc_u64 s[4:5], s[16:17], s[4:5]
	s_lshl_b64 s[8:9], s[8:9], 2
	s_add_nc_u64 s[8:9], s[4:5], s[8:9]
.LBB116_3:
	s_clause 0x1
	s_load_b64 s[12:13], s[2:3], 0x8
	s_load_b32 s66, s[2:3], 0x38
	v_dual_mov_b32 v15, 0 :: v_dual_lshlrev_b32 v14, 4, v1
	s_movk_i32 s67, 0x1e0
	s_movk_i32 s68, 0x1f0
	;; [unrolled: 1-line block ×16, first 2 shown]
	s_wait_kmcnt 0x0
	s_ashr_i32 s3, s12, 31
	s_mov_b32 s2, s12
	v_add3_u32 v20, s13, s13, v1
	s_lshl_b64 s[2:3], s[2:3], 4
	s_movk_i32 s83, 0x2e0
	s_add_nc_u64 s[4:5], s[14:15], s[2:3]
	s_ashr_i32 s3, s13, 31
	flat_load_b128 v[2:5], v1, s[4:5] scale_offset
	v_add_nc_u64_e32 v[16:17], s[4:5], v[14:15]
	s_mov_b32 s2, s13
	v_add_nc_u32_e32 v22, s13, v20
	s_movk_i32 s84, 0x2f0
	s_movk_i32 s85, 0x300
	;; [unrolled: 1-line block ×4, first 2 shown]
	v_lshl_add_u64 v[18:19], s[2:3], 4, v[16:17]
	v_add_nc_u32_e32 v24, s13, v22
	s_movk_i32 s88, 0x330
	s_movk_i32 s89, 0x340
	s_mov_b32 s18, 16
	s_mov_b32 s16, 32
	v_add_nc_u32_e32 v26, s13, v24
	s_mov_b32 s14, 48
	s_mov_b32 s12, 64
	s_movk_i32 s64, 0x50
	s_movk_i32 s63, 0x60
	v_add_nc_u32_e32 v28, s13, v26
	s_movk_i32 s62, 0x70
	s_movk_i32 s61, 0x80
	s_movk_i32 s60, 0x90
	s_movk_i32 s59, 0xa0
	v_add_nc_u32_e32 v30, s13, v28
	s_movk_i32 s58, 0xb0
	s_movk_i32 s57, 0xc0
	;; [unrolled: 5-line block ×6, first 2 shown]
	s_movk_i32 s40, 0x1d0
	s_mov_b32 s39, s67
	v_add_nc_u32_e32 v40, s13, v38
	s_mov_b32 s38, s68
	s_mov_b32 s37, s69
	s_mov_b32 s36, s70
	s_mov_b32 s35, s71
	v_add_nc_u32_e32 v42, s13, v40
	s_mov_b32 s34, s72
	s_mov_b32 s33, s73
	s_mov_b32 s31, s74
	;; [unrolled: 5-line block ×5, first 2 shown]
	s_mov_b32 s17, s87
	v_add_nc_u32_e32 v50, s13, v48
	s_mov_b32 s15, s88
	s_bitcmp0_b32 s66, 0
	s_mov_b32 s3, -1
	s_delay_alu instid0(VALU_DEP_1) | instskip(NEXT) | instid1(VALU_DEP_1)
	v_add_nc_u32_e32 v52, s13, v50
	v_add_nc_u32_e32 v54, s13, v52
	s_delay_alu instid0(VALU_DEP_1) | instskip(NEXT) | instid1(VALU_DEP_1)
	v_add_nc_u32_e32 v56, s13, v54
	v_add_nc_u32_e32 v58, s13, v56
	;; [unrolled: 3-line block ×17, first 2 shown]
	s_delay_alu instid0(VALU_DEP_1)
	v_add_nc_u32_e32 v120, s13, v118
	s_mov_b32 s13, s89
	s_wait_loadcnt_dscnt 0x0
	scratch_store_b128 off, v[2:5], off
	flat_load_b128 v[2:5], v[18:19]
	s_wait_loadcnt_dscnt 0x0
	scratch_store_b128 off, v[2:5], off offset:16
	flat_load_b128 v[2:5], v20, s[4:5] scale_offset
	s_wait_loadcnt_dscnt 0x0
	scratch_store_b128 off, v[2:5], off offset:32
	flat_load_b128 v[2:5], v22, s[4:5] scale_offset
	;; [unrolled: 3-line block ×51, first 2 shown]
	s_wait_loadcnt_dscnt 0x0
	scratch_store_b128 off, v[2:5], off offset:832
	s_cbranch_scc1 .LBB116_224
; %bb.4:
	v_cmp_eq_u32_e64 s2, 0, v1
	s_wait_xcnt 0x0
	s_and_saveexec_b32 s3, s2
; %bb.5:
	v_mov_b32_e32 v2, 0
	ds_store_b32 v2, v2 offset:1696
; %bb.6:
	s_or_b32 exec_lo, exec_lo, s3
	s_wait_storecnt_dscnt 0x0
	s_barrier_signal -1
	s_barrier_wait -1
	scratch_load_b128 v[2:5], v1, off scale_offset
	s_wait_loadcnt 0x0
	v_cmp_eq_f64_e32 vcc_lo, 0, v[2:3]
	v_cmp_eq_f64_e64 s3, 0, v[4:5]
	s_and_b32 s3, vcc_lo, s3
	s_delay_alu instid0(SALU_CYCLE_1)
	s_and_saveexec_b32 s66, s3
	s_cbranch_execz .LBB116_10
; %bb.7:
	v_mov_b32_e32 v2, 0
	s_mov_b32 s67, 0
	ds_load_b32 v3, v2 offset:1696
	s_wait_dscnt 0x0
	v_readfirstlane_b32 s3, v3
	v_add_nc_u32_e32 v3, 1, v1
	s_cmp_eq_u32 s3, 0
	s_delay_alu instid0(VALU_DEP_1) | instskip(SKIP_1) | instid1(SALU_CYCLE_1)
	v_cmp_gt_i32_e32 vcc_lo, s3, v3
	s_cselect_b32 s68, -1, 0
	s_or_b32 s68, s68, vcc_lo
	s_delay_alu instid0(SALU_CYCLE_1)
	s_and_b32 exec_lo, exec_lo, s68
	s_cbranch_execz .LBB116_10
; %bb.8:
	v_mov_b32_e32 v4, s3
.LBB116_9:                              ; =>This Inner Loop Header: Depth=1
	ds_cmpstore_rtn_b32 v4, v2, v3, v4 offset:1696
	s_wait_dscnt 0x0
	v_cmp_ne_u32_e32 vcc_lo, 0, v4
	v_cmp_le_i32_e64 s3, v4, v3
	s_and_b32 s3, vcc_lo, s3
	s_delay_alu instid0(SALU_CYCLE_1) | instskip(NEXT) | instid1(SALU_CYCLE_1)
	s_and_b32 s3, exec_lo, s3
	s_or_b32 s67, s3, s67
	s_delay_alu instid0(SALU_CYCLE_1)
	s_and_not1_b32 exec_lo, exec_lo, s67
	s_cbranch_execnz .LBB116_9
.LBB116_10:
	s_or_b32 exec_lo, exec_lo, s66
	v_mov_b32_e32 v2, 0
	s_barrier_signal -1
	s_barrier_wait -1
	ds_load_b32 v3, v2 offset:1696
	s_and_saveexec_b32 s3, s2
	s_cbranch_execz .LBB116_12
; %bb.11:
	s_lshl_b64 s[66:67], s[10:11], 2
	s_delay_alu instid0(SALU_CYCLE_1)
	s_add_nc_u64 s[66:67], s[6:7], s[66:67]
	s_wait_dscnt 0x0
	global_store_b32 v2, v3, s[66:67]
.LBB116_12:
	s_wait_xcnt 0x0
	s_or_b32 exec_lo, exec_lo, s3
	s_wait_dscnt 0x0
	v_cmp_ne_u32_e32 vcc_lo, 0, v3
	s_mov_b32 s3, 0
	s_cbranch_vccnz .LBB116_224
; %bb.13:
	v_lshl_add_u32 v15, v1, 4, 0
                                        ; implicit-def: $vgpr6_vgpr7
                                        ; implicit-def: $vgpr10_vgpr11
	scratch_load_b128 v[2:5], v15, off
	s_wait_loadcnt 0x0
	v_cmp_ngt_f64_e64 s3, |v[2:3]|, |v[4:5]|
	s_wait_xcnt 0x0
	s_and_saveexec_b32 s66, s3
	s_delay_alu instid0(SALU_CYCLE_1)
	s_xor_b32 s3, exec_lo, s66
	s_cbranch_execz .LBB116_15
; %bb.14:
	v_div_scale_f64 v[6:7], null, v[4:5], v[4:5], v[2:3]
	v_div_scale_f64 v[12:13], vcc_lo, v[2:3], v[4:5], v[2:3]
	s_delay_alu instid0(VALU_DEP_2) | instskip(SKIP_1) | instid1(TRANS32_DEP_1)
	v_rcp_f64_e32 v[8:9], v[6:7]
	v_nop
	v_fma_f64 v[10:11], -v[6:7], v[8:9], 1.0
	s_delay_alu instid0(VALU_DEP_1) | instskip(NEXT) | instid1(VALU_DEP_1)
	v_fmac_f64_e32 v[8:9], v[8:9], v[10:11]
	v_fma_f64 v[10:11], -v[6:7], v[8:9], 1.0
	s_delay_alu instid0(VALU_DEP_1) | instskip(NEXT) | instid1(VALU_DEP_1)
	v_fmac_f64_e32 v[8:9], v[8:9], v[10:11]
	v_mul_f64_e32 v[10:11], v[12:13], v[8:9]
	s_delay_alu instid0(VALU_DEP_1) | instskip(NEXT) | instid1(VALU_DEP_1)
	v_fma_f64 v[6:7], -v[6:7], v[10:11], v[12:13]
	v_div_fmas_f64 v[6:7], v[6:7], v[8:9], v[10:11]
	s_delay_alu instid0(VALU_DEP_1) | instskip(NEXT) | instid1(VALU_DEP_1)
	v_div_fixup_f64 v[6:7], v[6:7], v[4:5], v[2:3]
	v_fmac_f64_e32 v[4:5], v[2:3], v[6:7]
	s_delay_alu instid0(VALU_DEP_1) | instskip(SKIP_1) | instid1(VALU_DEP_2)
	v_div_scale_f64 v[2:3], null, v[4:5], v[4:5], 1.0
	v_div_scale_f64 v[12:13], vcc_lo, 1.0, v[4:5], 1.0
	v_rcp_f64_e32 v[8:9], v[2:3]
	v_nop
	s_delay_alu instid0(TRANS32_DEP_1) | instskip(NEXT) | instid1(VALU_DEP_1)
	v_fma_f64 v[10:11], -v[2:3], v[8:9], 1.0
	v_fmac_f64_e32 v[8:9], v[8:9], v[10:11]
	s_delay_alu instid0(VALU_DEP_1) | instskip(NEXT) | instid1(VALU_DEP_1)
	v_fma_f64 v[10:11], -v[2:3], v[8:9], 1.0
	v_fmac_f64_e32 v[8:9], v[8:9], v[10:11]
	s_delay_alu instid0(VALU_DEP_1) | instskip(NEXT) | instid1(VALU_DEP_1)
	v_mul_f64_e32 v[10:11], v[12:13], v[8:9]
	v_fma_f64 v[2:3], -v[2:3], v[10:11], v[12:13]
	s_delay_alu instid0(VALU_DEP_1) | instskip(NEXT) | instid1(VALU_DEP_1)
	v_div_fmas_f64 v[2:3], v[2:3], v[8:9], v[10:11]
	v_div_fixup_f64 v[8:9], v[2:3], v[4:5], 1.0
                                        ; implicit-def: $vgpr2_vgpr3
	s_delay_alu instid0(VALU_DEP_1) | instskip(SKIP_1) | instid1(VALU_DEP_2)
	v_mul_f64_e32 v[6:7], v[6:7], v[8:9]
	v_xor_b32_e32 v9, 0x80000000, v9
	v_xor_b32_e32 v11, 0x80000000, v7
	s_delay_alu instid0(VALU_DEP_3)
	v_mov_b32_e32 v10, v6
.LBB116_15:
	s_and_not1_saveexec_b32 s3, s3
	s_cbranch_execz .LBB116_17
; %bb.16:
	v_div_scale_f64 v[6:7], null, v[2:3], v[2:3], v[4:5]
	v_div_scale_f64 v[12:13], vcc_lo, v[4:5], v[2:3], v[4:5]
	s_delay_alu instid0(VALU_DEP_2) | instskip(SKIP_1) | instid1(TRANS32_DEP_1)
	v_rcp_f64_e32 v[8:9], v[6:7]
	v_nop
	v_fma_f64 v[10:11], -v[6:7], v[8:9], 1.0
	s_delay_alu instid0(VALU_DEP_1) | instskip(NEXT) | instid1(VALU_DEP_1)
	v_fmac_f64_e32 v[8:9], v[8:9], v[10:11]
	v_fma_f64 v[10:11], -v[6:7], v[8:9], 1.0
	s_delay_alu instid0(VALU_DEP_1) | instskip(NEXT) | instid1(VALU_DEP_1)
	v_fmac_f64_e32 v[8:9], v[8:9], v[10:11]
	v_mul_f64_e32 v[10:11], v[12:13], v[8:9]
	s_delay_alu instid0(VALU_DEP_1) | instskip(NEXT) | instid1(VALU_DEP_1)
	v_fma_f64 v[6:7], -v[6:7], v[10:11], v[12:13]
	v_div_fmas_f64 v[6:7], v[6:7], v[8:9], v[10:11]
	s_delay_alu instid0(VALU_DEP_1) | instskip(NEXT) | instid1(VALU_DEP_1)
	v_div_fixup_f64 v[8:9], v[6:7], v[2:3], v[4:5]
	v_fmac_f64_e32 v[2:3], v[4:5], v[8:9]
	s_delay_alu instid0(VALU_DEP_1) | instskip(NEXT) | instid1(VALU_DEP_1)
	v_div_scale_f64 v[4:5], null, v[2:3], v[2:3], 1.0
	v_rcp_f64_e32 v[6:7], v[4:5]
	v_nop
	s_delay_alu instid0(TRANS32_DEP_1) | instskip(NEXT) | instid1(VALU_DEP_1)
	v_fma_f64 v[10:11], -v[4:5], v[6:7], 1.0
	v_fmac_f64_e32 v[6:7], v[6:7], v[10:11]
	s_delay_alu instid0(VALU_DEP_1) | instskip(NEXT) | instid1(VALU_DEP_1)
	v_fma_f64 v[10:11], -v[4:5], v[6:7], 1.0
	v_fmac_f64_e32 v[6:7], v[6:7], v[10:11]
	v_div_scale_f64 v[10:11], vcc_lo, 1.0, v[2:3], 1.0
	s_delay_alu instid0(VALU_DEP_1) | instskip(NEXT) | instid1(VALU_DEP_1)
	v_mul_f64_e32 v[12:13], v[10:11], v[6:7]
	v_fma_f64 v[4:5], -v[4:5], v[12:13], v[10:11]
	s_delay_alu instid0(VALU_DEP_1) | instskip(NEXT) | instid1(VALU_DEP_1)
	v_div_fmas_f64 v[4:5], v[4:5], v[6:7], v[12:13]
	v_div_fixup_f64 v[6:7], v[4:5], v[2:3], 1.0
	s_delay_alu instid0(VALU_DEP_1)
	v_mul_f64_e64 v[8:9], v[8:9], -v[6:7]
	v_xor_b32_e32 v11, 0x80000000, v7
	v_mov_b32_e32 v10, v6
.LBB116_17:
	s_or_b32 exec_lo, exec_lo, s3
	s_clause 0x1
	scratch_store_b128 v15, v[6:9], off
	scratch_load_b128 v[2:5], off, s18
	v_xor_b32_e32 v13, 0x80000000, v9
	v_mov_b32_e32 v12, v8
	s_wait_xcnt 0x1
	v_add_nc_u32_e32 v6, 0x350, v14
	ds_store_b128 v14, v[10:13]
	s_wait_loadcnt 0x0
	ds_store_b128 v14, v[2:5] offset:848
	s_wait_storecnt_dscnt 0x0
	s_barrier_signal -1
	s_barrier_wait -1
	s_wait_xcnt 0x0
	s_and_saveexec_b32 s3, s2
	s_cbranch_execz .LBB116_19
; %bb.18:
	scratch_load_b128 v[2:5], v15, off
	ds_load_b128 v[8:11], v6
	v_mov_b32_e32 v7, 0
	ds_load_b128 v[122:125], v7 offset:16
	s_wait_loadcnt_dscnt 0x1
	v_mul_f64_e32 v[12:13], v[8:9], v[4:5]
	v_mul_f64_e32 v[4:5], v[10:11], v[4:5]
	s_delay_alu instid0(VALU_DEP_2) | instskip(NEXT) | instid1(VALU_DEP_2)
	v_fmac_f64_e32 v[12:13], v[10:11], v[2:3]
	v_fma_f64 v[2:3], v[8:9], v[2:3], -v[4:5]
	s_delay_alu instid0(VALU_DEP_2) | instskip(NEXT) | instid1(VALU_DEP_2)
	v_add_f64_e32 v[8:9], 0, v[12:13]
	v_add_f64_e32 v[2:3], 0, v[2:3]
	s_wait_dscnt 0x0
	s_delay_alu instid0(VALU_DEP_2) | instskip(NEXT) | instid1(VALU_DEP_2)
	v_mul_f64_e32 v[10:11], v[8:9], v[124:125]
	v_mul_f64_e32 v[4:5], v[2:3], v[124:125]
	s_delay_alu instid0(VALU_DEP_2) | instskip(NEXT) | instid1(VALU_DEP_2)
	v_fma_f64 v[2:3], v[2:3], v[122:123], -v[10:11]
	v_fmac_f64_e32 v[4:5], v[8:9], v[122:123]
	scratch_store_b128 off, v[2:5], off offset:16
.LBB116_19:
	s_wait_xcnt 0x0
	s_or_b32 exec_lo, exec_lo, s3
	s_wait_storecnt 0x0
	s_barrier_signal -1
	s_barrier_wait -1
	scratch_load_b128 v[2:5], off, s16
	s_mov_b32 s3, exec_lo
	s_wait_loadcnt 0x0
	ds_store_b128 v6, v[2:5]
	s_wait_dscnt 0x0
	s_barrier_signal -1
	s_barrier_wait -1
	v_cmpx_gt_u32_e32 2, v1
	s_cbranch_execz .LBB116_23
; %bb.20:
	scratch_load_b128 v[2:5], v15, off
	ds_load_b128 v[8:11], v6
	s_wait_loadcnt_dscnt 0x0
	v_mul_f64_e32 v[12:13], v[10:11], v[4:5]
	v_mul_f64_e32 v[122:123], v[8:9], v[4:5]
	s_delay_alu instid0(VALU_DEP_2) | instskip(NEXT) | instid1(VALU_DEP_2)
	v_fma_f64 v[4:5], v[8:9], v[2:3], -v[12:13]
	v_fmac_f64_e32 v[122:123], v[10:11], v[2:3]
	s_delay_alu instid0(VALU_DEP_2) | instskip(NEXT) | instid1(VALU_DEP_2)
	v_add_f64_e32 v[4:5], 0, v[4:5]
	v_add_f64_e32 v[2:3], 0, v[122:123]
	s_and_saveexec_b32 s66, s2
	s_cbranch_execz .LBB116_22
; %bb.21:
	scratch_load_b128 v[8:11], off, off offset:16
	v_mov_b32_e32 v7, 0
	ds_load_b128 v[122:125], v7 offset:864
	s_wait_loadcnt_dscnt 0x0
	v_mul_f64_e32 v[12:13], v[122:123], v[10:11]
	v_mul_f64_e32 v[10:11], v[124:125], v[10:11]
	s_delay_alu instid0(VALU_DEP_2) | instskip(NEXT) | instid1(VALU_DEP_2)
	v_fmac_f64_e32 v[12:13], v[124:125], v[8:9]
	v_fma_f64 v[8:9], v[122:123], v[8:9], -v[10:11]
	s_delay_alu instid0(VALU_DEP_2) | instskip(NEXT) | instid1(VALU_DEP_2)
	v_add_f64_e32 v[2:3], v[2:3], v[12:13]
	v_add_f64_e32 v[4:5], v[4:5], v[8:9]
.LBB116_22:
	s_or_b32 exec_lo, exec_lo, s66
	v_mov_b32_e32 v7, 0
	ds_load_b128 v[8:11], v7 offset:32
	s_wait_dscnt 0x0
	v_mul_f64_e32 v[122:123], v[2:3], v[10:11]
	v_mul_f64_e32 v[12:13], v[4:5], v[10:11]
	s_delay_alu instid0(VALU_DEP_2) | instskip(NEXT) | instid1(VALU_DEP_2)
	v_fma_f64 v[10:11], v[4:5], v[8:9], -v[122:123]
	v_fmac_f64_e32 v[12:13], v[2:3], v[8:9]
	scratch_store_b128 off, v[10:13], off offset:32
.LBB116_23:
	s_wait_xcnt 0x0
	s_or_b32 exec_lo, exec_lo, s3
	s_wait_storecnt 0x0
	s_barrier_signal -1
	s_barrier_wait -1
	scratch_load_b128 v[2:5], off, s14
	v_add_nc_u32_e32 v7, -1, v1
	s_mov_b32 s2, exec_lo
	s_wait_loadcnt 0x0
	ds_store_b128 v6, v[2:5]
	s_wait_dscnt 0x0
	s_barrier_signal -1
	s_barrier_wait -1
	v_cmpx_gt_u32_e32 3, v1
	s_cbranch_execz .LBB116_27
; %bb.24:
	v_dual_mov_b32 v10, v14 :: v_dual_add_nc_u32 v8, -1, v1
	v_mov_b64_e32 v[2:3], 0
	v_mov_b64_e32 v[4:5], 0
	v_add_nc_u32_e32 v9, 0x350, v14
	s_delay_alu instid0(VALU_DEP_4)
	v_or_b32_e32 v10, 8, v10
	s_mov_b32 s3, 0
.LBB116_25:                             ; =>This Inner Loop Header: Depth=1
	scratch_load_b128 v[122:125], v10, off offset:-8
	ds_load_b128 v[126:129], v9
	s_wait_xcnt 0x0
	v_dual_add_nc_u32 v9, 16, v9 :: v_dual_add_nc_u32 v10, 16, v10
	v_add_nc_u32_e32 v8, 1, v8
	s_delay_alu instid0(VALU_DEP_1) | instskip(SKIP_4) | instid1(VALU_DEP_2)
	v_cmp_lt_u32_e32 vcc_lo, 1, v8
	s_or_b32 s3, vcc_lo, s3
	s_wait_loadcnt_dscnt 0x0
	v_mul_f64_e32 v[12:13], v[128:129], v[124:125]
	v_mul_f64_e32 v[124:125], v[126:127], v[124:125]
	v_fma_f64 v[12:13], v[126:127], v[122:123], -v[12:13]
	s_delay_alu instid0(VALU_DEP_2) | instskip(NEXT) | instid1(VALU_DEP_2)
	v_fmac_f64_e32 v[124:125], v[128:129], v[122:123]
	v_add_f64_e32 v[4:5], v[4:5], v[12:13]
	s_delay_alu instid0(VALU_DEP_2)
	v_add_f64_e32 v[2:3], v[2:3], v[124:125]
	s_and_not1_b32 exec_lo, exec_lo, s3
	s_cbranch_execnz .LBB116_25
; %bb.26:
	s_or_b32 exec_lo, exec_lo, s3
	v_mov_b32_e32 v8, 0
	ds_load_b128 v[8:11], v8 offset:48
	s_wait_dscnt 0x0
	v_mul_f64_e32 v[122:123], v[2:3], v[10:11]
	v_mul_f64_e32 v[12:13], v[4:5], v[10:11]
	s_delay_alu instid0(VALU_DEP_2) | instskip(NEXT) | instid1(VALU_DEP_2)
	v_fma_f64 v[10:11], v[4:5], v[8:9], -v[122:123]
	v_fmac_f64_e32 v[12:13], v[2:3], v[8:9]
	scratch_store_b128 off, v[10:13], off offset:48
.LBB116_27:
	s_wait_xcnt 0x0
	s_or_b32 exec_lo, exec_lo, s2
	s_wait_storecnt 0x0
	s_barrier_signal -1
	s_barrier_wait -1
	scratch_load_b128 v[2:5], off, s12
	s_mov_b32 s2, exec_lo
	s_wait_loadcnt 0x0
	ds_store_b128 v6, v[2:5]
	s_wait_dscnt 0x0
	s_barrier_signal -1
	s_barrier_wait -1
	v_cmpx_gt_u32_e32 4, v1
	s_cbranch_execz .LBB116_31
; %bb.28:
	v_dual_mov_b32 v10, v14 :: v_dual_add_nc_u32 v8, -1, v1
	v_mov_b64_e32 v[2:3], 0
	v_mov_b64_e32 v[4:5], 0
	v_add_nc_u32_e32 v9, 0x350, v14
	s_delay_alu instid0(VALU_DEP_4)
	v_or_b32_e32 v10, 8, v10
	s_mov_b32 s3, 0
.LBB116_29:                             ; =>This Inner Loop Header: Depth=1
	scratch_load_b128 v[122:125], v10, off offset:-8
	ds_load_b128 v[126:129], v9
	s_wait_xcnt 0x0
	v_dual_add_nc_u32 v9, 16, v9 :: v_dual_add_nc_u32 v10, 16, v10
	v_add_nc_u32_e32 v8, 1, v8
	s_delay_alu instid0(VALU_DEP_1) | instskip(SKIP_4) | instid1(VALU_DEP_2)
	v_cmp_lt_u32_e32 vcc_lo, 2, v8
	s_or_b32 s3, vcc_lo, s3
	s_wait_loadcnt_dscnt 0x0
	v_mul_f64_e32 v[12:13], v[128:129], v[124:125]
	v_mul_f64_e32 v[124:125], v[126:127], v[124:125]
	v_fma_f64 v[12:13], v[126:127], v[122:123], -v[12:13]
	s_delay_alu instid0(VALU_DEP_2) | instskip(NEXT) | instid1(VALU_DEP_2)
	v_fmac_f64_e32 v[124:125], v[128:129], v[122:123]
	v_add_f64_e32 v[4:5], v[4:5], v[12:13]
	s_delay_alu instid0(VALU_DEP_2)
	v_add_f64_e32 v[2:3], v[2:3], v[124:125]
	s_and_not1_b32 exec_lo, exec_lo, s3
	s_cbranch_execnz .LBB116_29
; %bb.30:
	s_or_b32 exec_lo, exec_lo, s3
	v_mov_b32_e32 v8, 0
	ds_load_b128 v[8:11], v8 offset:64
	s_wait_dscnt 0x0
	v_mul_f64_e32 v[122:123], v[2:3], v[10:11]
	v_mul_f64_e32 v[12:13], v[4:5], v[10:11]
	s_delay_alu instid0(VALU_DEP_2) | instskip(NEXT) | instid1(VALU_DEP_2)
	v_fma_f64 v[10:11], v[4:5], v[8:9], -v[122:123]
	v_fmac_f64_e32 v[12:13], v[2:3], v[8:9]
	scratch_store_b128 off, v[10:13], off offset:64
.LBB116_31:
	s_wait_xcnt 0x0
	s_or_b32 exec_lo, exec_lo, s2
	s_wait_storecnt 0x0
	s_barrier_signal -1
	s_barrier_wait -1
	scratch_load_b128 v[2:5], off, s64
	;; [unrolled: 54-line block ×19, first 2 shown]
	s_mov_b32 s2, exec_lo
	s_wait_loadcnt 0x0
	ds_store_b128 v6, v[2:5]
	s_wait_dscnt 0x0
	s_barrier_signal -1
	s_barrier_wait -1
	v_cmpx_gt_u32_e32 22, v1
	s_cbranch_execz .LBB116_103
; %bb.100:
	v_dual_mov_b32 v10, v14 :: v_dual_add_nc_u32 v8, -1, v1
	v_mov_b64_e32 v[2:3], 0
	v_mov_b64_e32 v[4:5], 0
	v_add_nc_u32_e32 v9, 0x350, v14
	s_delay_alu instid0(VALU_DEP_4)
	v_or_b32_e32 v10, 8, v10
	s_mov_b32 s3, 0
.LBB116_101:                            ; =>This Inner Loop Header: Depth=1
	scratch_load_b128 v[122:125], v10, off offset:-8
	ds_load_b128 v[126:129], v9
	s_wait_xcnt 0x0
	v_dual_add_nc_u32 v9, 16, v9 :: v_dual_add_nc_u32 v10, 16, v10
	v_add_nc_u32_e32 v8, 1, v8
	s_delay_alu instid0(VALU_DEP_1) | instskip(SKIP_4) | instid1(VALU_DEP_2)
	v_cmp_lt_u32_e32 vcc_lo, 20, v8
	s_or_b32 s3, vcc_lo, s3
	s_wait_loadcnt_dscnt 0x0
	v_mul_f64_e32 v[12:13], v[128:129], v[124:125]
	v_mul_f64_e32 v[124:125], v[126:127], v[124:125]
	v_fma_f64 v[12:13], v[126:127], v[122:123], -v[12:13]
	s_delay_alu instid0(VALU_DEP_2) | instskip(NEXT) | instid1(VALU_DEP_2)
	v_fmac_f64_e32 v[124:125], v[128:129], v[122:123]
	v_add_f64_e32 v[4:5], v[4:5], v[12:13]
	s_delay_alu instid0(VALU_DEP_2)
	v_add_f64_e32 v[2:3], v[2:3], v[124:125]
	s_and_not1_b32 exec_lo, exec_lo, s3
	s_cbranch_execnz .LBB116_101
; %bb.102:
	s_or_b32 exec_lo, exec_lo, s3
	v_mov_b32_e32 v8, 0
	ds_load_b128 v[8:11], v8 offset:352
	s_wait_dscnt 0x0
	v_mul_f64_e32 v[122:123], v[2:3], v[10:11]
	v_mul_f64_e32 v[12:13], v[4:5], v[10:11]
	s_delay_alu instid0(VALU_DEP_2) | instskip(NEXT) | instid1(VALU_DEP_2)
	v_fma_f64 v[10:11], v[4:5], v[8:9], -v[122:123]
	v_fmac_f64_e32 v[12:13], v[2:3], v[8:9]
	scratch_store_b128 off, v[10:13], off offset:352
.LBB116_103:
	s_wait_xcnt 0x0
	s_or_b32 exec_lo, exec_lo, s2
	s_wait_storecnt 0x0
	s_barrier_signal -1
	s_barrier_wait -1
	scratch_load_b128 v[2:5], off, s46
	s_mov_b32 s2, exec_lo
	s_wait_loadcnt 0x0
	ds_store_b128 v6, v[2:5]
	s_wait_dscnt 0x0
	s_barrier_signal -1
	s_barrier_wait -1
	v_cmpx_gt_u32_e32 23, v1
	s_cbranch_execz .LBB116_107
; %bb.104:
	v_dual_mov_b32 v10, v14 :: v_dual_add_nc_u32 v8, -1, v1
	v_mov_b64_e32 v[2:3], 0
	v_mov_b64_e32 v[4:5], 0
	v_add_nc_u32_e32 v9, 0x350, v14
	s_delay_alu instid0(VALU_DEP_4)
	v_or_b32_e32 v10, 8, v10
	s_mov_b32 s3, 0
.LBB116_105:                            ; =>This Inner Loop Header: Depth=1
	scratch_load_b128 v[122:125], v10, off offset:-8
	ds_load_b128 v[126:129], v9
	s_wait_xcnt 0x0
	v_dual_add_nc_u32 v9, 16, v9 :: v_dual_add_nc_u32 v10, 16, v10
	v_add_nc_u32_e32 v8, 1, v8
	s_delay_alu instid0(VALU_DEP_1) | instskip(SKIP_4) | instid1(VALU_DEP_2)
	v_cmp_lt_u32_e32 vcc_lo, 21, v8
	s_or_b32 s3, vcc_lo, s3
	s_wait_loadcnt_dscnt 0x0
	v_mul_f64_e32 v[12:13], v[128:129], v[124:125]
	v_mul_f64_e32 v[124:125], v[126:127], v[124:125]
	v_fma_f64 v[12:13], v[126:127], v[122:123], -v[12:13]
	s_delay_alu instid0(VALU_DEP_2) | instskip(NEXT) | instid1(VALU_DEP_2)
	v_fmac_f64_e32 v[124:125], v[128:129], v[122:123]
	v_add_f64_e32 v[4:5], v[4:5], v[12:13]
	s_delay_alu instid0(VALU_DEP_2)
	v_add_f64_e32 v[2:3], v[2:3], v[124:125]
	s_and_not1_b32 exec_lo, exec_lo, s3
	s_cbranch_execnz .LBB116_105
; %bb.106:
	s_or_b32 exec_lo, exec_lo, s3
	v_mov_b32_e32 v8, 0
	ds_load_b128 v[8:11], v8 offset:368
	s_wait_dscnt 0x0
	v_mul_f64_e32 v[122:123], v[2:3], v[10:11]
	v_mul_f64_e32 v[12:13], v[4:5], v[10:11]
	s_delay_alu instid0(VALU_DEP_2) | instskip(NEXT) | instid1(VALU_DEP_2)
	v_fma_f64 v[10:11], v[4:5], v[8:9], -v[122:123]
	v_fmac_f64_e32 v[12:13], v[2:3], v[8:9]
	scratch_store_b128 off, v[10:13], off offset:368
.LBB116_107:
	s_wait_xcnt 0x0
	s_or_b32 exec_lo, exec_lo, s2
	s_wait_storecnt 0x0
	s_barrier_signal -1
	s_barrier_wait -1
	scratch_load_b128 v[2:5], off, s45
	;; [unrolled: 54-line block ×30, first 2 shown]
	s_mov_b32 s2, exec_lo
	s_wait_loadcnt 0x0
	ds_store_b128 v6, v[2:5]
	s_wait_dscnt 0x0
	s_barrier_signal -1
	s_barrier_wait -1
	v_cmpx_ne_u32_e32 52, v1
	s_cbranch_execz .LBB116_223
; %bb.220:
	v_mov_b32_e32 v8, v14
	v_mov_b64_e32 v[2:3], 0
	v_mov_b64_e32 v[4:5], 0
	s_mov_b32 s3, 0
	s_delay_alu instid0(VALU_DEP_3)
	v_or_b32_e32 v8, 8, v8
.LBB116_221:                            ; =>This Inner Loop Header: Depth=1
	scratch_load_b128 v[10:13], v8, off offset:-8
	ds_load_b128 v[122:125], v6
	v_dual_add_nc_u32 v7, 1, v7 :: v_dual_add_nc_u32 v6, 16, v6
	s_wait_xcnt 0x0
	v_add_nc_u32_e32 v8, 16, v8
	s_delay_alu instid0(VALU_DEP_2) | instskip(SKIP_4) | instid1(VALU_DEP_2)
	v_cmp_lt_u32_e32 vcc_lo, 50, v7
	s_or_b32 s3, vcc_lo, s3
	s_wait_loadcnt_dscnt 0x0
	v_mul_f64_e32 v[14:15], v[124:125], v[12:13]
	v_mul_f64_e32 v[12:13], v[122:123], v[12:13]
	v_fma_f64 v[14:15], v[122:123], v[10:11], -v[14:15]
	s_delay_alu instid0(VALU_DEP_2) | instskip(NEXT) | instid1(VALU_DEP_2)
	v_fmac_f64_e32 v[12:13], v[124:125], v[10:11]
	v_add_f64_e32 v[4:5], v[4:5], v[14:15]
	s_delay_alu instid0(VALU_DEP_2)
	v_add_f64_e32 v[2:3], v[2:3], v[12:13]
	s_and_not1_b32 exec_lo, exec_lo, s3
	s_cbranch_execnz .LBB116_221
; %bb.222:
	s_or_b32 exec_lo, exec_lo, s3
	v_mov_b32_e32 v6, 0
	ds_load_b128 v[6:9], v6 offset:832
	s_wait_dscnt 0x0
	v_mul_f64_e32 v[12:13], v[2:3], v[8:9]
	v_mul_f64_e32 v[10:11], v[4:5], v[8:9]
	s_delay_alu instid0(VALU_DEP_2) | instskip(NEXT) | instid1(VALU_DEP_2)
	v_fma_f64 v[8:9], v[4:5], v[6:7], -v[12:13]
	v_fmac_f64_e32 v[10:11], v[2:3], v[6:7]
	scratch_store_b128 off, v[8:11], off offset:832
.LBB116_223:
	s_wait_xcnt 0x0
	s_or_b32 exec_lo, exec_lo, s2
	s_mov_b32 s3, -1
	s_wait_storecnt 0x0
	s_barrier_signal -1
	s_barrier_wait -1
.LBB116_224:
	s_and_b32 vcc_lo, exec_lo, s3
	s_cbranch_vccz .LBB116_226
; %bb.225:
	s_wait_xcnt 0x0
	v_mov_b32_e32 v2, 0
	s_lshl_b64 s[2:3], s[10:11], 2
	s_delay_alu instid0(SALU_CYCLE_1)
	s_add_nc_u64 s[2:3], s[6:7], s[2:3]
	global_load_b32 v2, v2, s[2:3]
	s_wait_loadcnt 0x0
	v_cmp_ne_u32_e32 vcc_lo, 0, v2
	s_cbranch_vccz .LBB116_227
.LBB116_226:
	s_sendmsg sendmsg(MSG_DEALLOC_VGPRS)
	s_endpgm
.LBB116_227:
	v_lshl_add_u32 v122, v1, 4, 0x350
	s_wait_xcnt 0x0
	s_mov_b32 s2, exec_lo
	v_cmpx_eq_u32_e32 52, v1
	s_cbranch_execz .LBB116_229
; %bb.228:
	scratch_load_b128 v[2:5], off, s15
	v_mov_b32_e32 v6, 0
	s_delay_alu instid0(VALU_DEP_1)
	v_dual_mov_b32 v7, v6 :: v_dual_mov_b32 v8, v6
	v_mov_b32_e32 v9, v6
	scratch_store_b128 off, v[6:9], off offset:816
	s_wait_loadcnt 0x0
	ds_store_b128 v122, v[2:5]
.LBB116_229:
	s_wait_xcnt 0x0
	s_or_b32 exec_lo, exec_lo, s2
	s_wait_storecnt_dscnt 0x0
	s_barrier_signal -1
	s_barrier_wait -1
	s_clause 0x1
	scratch_load_b128 v[4:7], off, off offset:832
	scratch_load_b128 v[8:11], off, off offset:816
	v_mov_b32_e32 v2, 0
	s_mov_b32 s2, exec_lo
	ds_load_b128 v[12:15], v2 offset:1680
	s_wait_loadcnt_dscnt 0x100
	v_mul_f64_e32 v[124:125], v[14:15], v[6:7]
	v_mul_f64_e32 v[6:7], v[12:13], v[6:7]
	s_delay_alu instid0(VALU_DEP_2) | instskip(NEXT) | instid1(VALU_DEP_2)
	v_fma_f64 v[12:13], v[12:13], v[4:5], -v[124:125]
	v_fmac_f64_e32 v[6:7], v[14:15], v[4:5]
	s_delay_alu instid0(VALU_DEP_2) | instskip(NEXT) | instid1(VALU_DEP_2)
	v_add_f64_e32 v[4:5], 0, v[12:13]
	v_add_f64_e32 v[6:7], 0, v[6:7]
	s_wait_loadcnt 0x0
	s_delay_alu instid0(VALU_DEP_2) | instskip(NEXT) | instid1(VALU_DEP_2)
	v_add_f64_e64 v[4:5], v[8:9], -v[4:5]
	v_add_f64_e64 v[6:7], v[10:11], -v[6:7]
	scratch_store_b128 off, v[4:7], off offset:816
	s_wait_xcnt 0x0
	v_cmpx_lt_u32_e32 50, v1
	s_cbranch_execz .LBB116_231
; %bb.230:
	scratch_load_b128 v[6:9], off, s17
	v_dual_mov_b32 v3, v2 :: v_dual_mov_b32 v4, v2
	v_mov_b32_e32 v5, v2
	scratch_store_b128 off, v[2:5], off offset:800
	s_wait_loadcnt 0x0
	ds_store_b128 v122, v[6:9]
.LBB116_231:
	s_wait_xcnt 0x0
	s_or_b32 exec_lo, exec_lo, s2
	s_wait_storecnt_dscnt 0x0
	s_barrier_signal -1
	s_barrier_wait -1
	s_clause 0x2
	scratch_load_b128 v[4:7], off, off offset:816
	scratch_load_b128 v[8:11], off, off offset:832
	;; [unrolled: 1-line block ×3, first 2 shown]
	ds_load_b128 v[124:127], v2 offset:1664
	ds_load_b128 v[128:131], v2 offset:1680
	s_mov_b32 s2, exec_lo
	s_wait_loadcnt_dscnt 0x201
	v_mul_f64_e32 v[2:3], v[126:127], v[6:7]
	v_mul_f64_e32 v[6:7], v[124:125], v[6:7]
	s_wait_loadcnt_dscnt 0x100
	v_mul_f64_e32 v[132:133], v[128:129], v[10:11]
	v_mul_f64_e32 v[10:11], v[130:131], v[10:11]
	s_delay_alu instid0(VALU_DEP_4) | instskip(NEXT) | instid1(VALU_DEP_4)
	v_fma_f64 v[2:3], v[124:125], v[4:5], -v[2:3]
	v_fmac_f64_e32 v[6:7], v[126:127], v[4:5]
	s_delay_alu instid0(VALU_DEP_4) | instskip(NEXT) | instid1(VALU_DEP_4)
	v_fmac_f64_e32 v[132:133], v[130:131], v[8:9]
	v_fma_f64 v[4:5], v[128:129], v[8:9], -v[10:11]
	s_delay_alu instid0(VALU_DEP_4) | instskip(NEXT) | instid1(VALU_DEP_4)
	v_add_f64_e32 v[2:3], 0, v[2:3]
	v_add_f64_e32 v[6:7], 0, v[6:7]
	s_delay_alu instid0(VALU_DEP_2) | instskip(NEXT) | instid1(VALU_DEP_2)
	v_add_f64_e32 v[2:3], v[2:3], v[4:5]
	v_add_f64_e32 v[4:5], v[6:7], v[132:133]
	s_wait_loadcnt 0x0
	s_delay_alu instid0(VALU_DEP_2) | instskip(NEXT) | instid1(VALU_DEP_2)
	v_add_f64_e64 v[2:3], v[12:13], -v[2:3]
	v_add_f64_e64 v[4:5], v[14:15], -v[4:5]
	scratch_store_b128 off, v[2:5], off offset:800
	s_wait_xcnt 0x0
	v_cmpx_lt_u32_e32 49, v1
	s_cbranch_execz .LBB116_233
; %bb.232:
	scratch_load_b128 v[2:5], off, s19
	v_mov_b32_e32 v6, 0
	s_delay_alu instid0(VALU_DEP_1)
	v_dual_mov_b32 v7, v6 :: v_dual_mov_b32 v8, v6
	v_mov_b32_e32 v9, v6
	scratch_store_b128 off, v[6:9], off offset:784
	s_wait_loadcnt 0x0
	ds_store_b128 v122, v[2:5]
.LBB116_233:
	s_wait_xcnt 0x0
	s_or_b32 exec_lo, exec_lo, s2
	s_wait_storecnt_dscnt 0x0
	s_barrier_signal -1
	s_barrier_wait -1
	s_clause 0x3
	scratch_load_b128 v[4:7], off, off offset:800
	scratch_load_b128 v[8:11], off, off offset:816
	;; [unrolled: 1-line block ×4, first 2 shown]
	v_mov_b32_e32 v2, 0
	ds_load_b128 v[128:131], v2 offset:1648
	ds_load_b128 v[132:135], v2 offset:1664
	s_mov_b32 s2, exec_lo
	s_wait_loadcnt_dscnt 0x301
	v_mul_f64_e32 v[136:137], v[130:131], v[6:7]
	v_mul_f64_e32 v[138:139], v[128:129], v[6:7]
	s_wait_loadcnt_dscnt 0x200
	v_mul_f64_e32 v[140:141], v[132:133], v[10:11]
	v_mul_f64_e32 v[10:11], v[134:135], v[10:11]
	s_delay_alu instid0(VALU_DEP_4) | instskip(NEXT) | instid1(VALU_DEP_4)
	v_fma_f64 v[128:129], v[128:129], v[4:5], -v[136:137]
	v_fmac_f64_e32 v[138:139], v[130:131], v[4:5]
	ds_load_b128 v[4:7], v2 offset:1680
	v_fmac_f64_e32 v[140:141], v[134:135], v[8:9]
	v_fma_f64 v[8:9], v[132:133], v[8:9], -v[10:11]
	s_wait_loadcnt_dscnt 0x100
	v_mul_f64_e32 v[130:131], v[4:5], v[14:15]
	v_mul_f64_e32 v[14:15], v[6:7], v[14:15]
	v_add_f64_e32 v[10:11], 0, v[128:129]
	v_add_f64_e32 v[128:129], 0, v[138:139]
	s_delay_alu instid0(VALU_DEP_4) | instskip(NEXT) | instid1(VALU_DEP_4)
	v_fmac_f64_e32 v[130:131], v[6:7], v[12:13]
	v_fma_f64 v[4:5], v[4:5], v[12:13], -v[14:15]
	s_delay_alu instid0(VALU_DEP_4) | instskip(NEXT) | instid1(VALU_DEP_4)
	v_add_f64_e32 v[6:7], v[10:11], v[8:9]
	v_add_f64_e32 v[8:9], v[128:129], v[140:141]
	s_delay_alu instid0(VALU_DEP_2) | instskip(NEXT) | instid1(VALU_DEP_2)
	v_add_f64_e32 v[4:5], v[6:7], v[4:5]
	v_add_f64_e32 v[6:7], v[8:9], v[130:131]
	s_wait_loadcnt 0x0
	s_delay_alu instid0(VALU_DEP_2) | instskip(NEXT) | instid1(VALU_DEP_2)
	v_add_f64_e64 v[4:5], v[124:125], -v[4:5]
	v_add_f64_e64 v[6:7], v[126:127], -v[6:7]
	scratch_store_b128 off, v[4:7], off offset:784
	s_wait_xcnt 0x0
	v_cmpx_lt_u32_e32 48, v1
	s_cbranch_execz .LBB116_235
; %bb.234:
	scratch_load_b128 v[6:9], off, s20
	v_dual_mov_b32 v3, v2 :: v_dual_mov_b32 v4, v2
	v_mov_b32_e32 v5, v2
	scratch_store_b128 off, v[2:5], off offset:768
	s_wait_loadcnt 0x0
	ds_store_b128 v122, v[6:9]
.LBB116_235:
	s_wait_xcnt 0x0
	s_or_b32 exec_lo, exec_lo, s2
	s_wait_storecnt_dscnt 0x0
	s_barrier_signal -1
	s_barrier_wait -1
	s_clause 0x4
	scratch_load_b128 v[4:7], off, off offset:784
	scratch_load_b128 v[8:11], off, off offset:800
	;; [unrolled: 1-line block ×5, first 2 shown]
	ds_load_b128 v[132:135], v2 offset:1632
	ds_load_b128 v[136:139], v2 offset:1648
	s_mov_b32 s2, exec_lo
	s_wait_loadcnt_dscnt 0x401
	v_mul_f64_e32 v[140:141], v[134:135], v[6:7]
	v_mul_f64_e32 v[142:143], v[132:133], v[6:7]
	s_wait_loadcnt_dscnt 0x300
	v_mul_f64_e32 v[144:145], v[136:137], v[10:11]
	v_mul_f64_e32 v[10:11], v[138:139], v[10:11]
	s_delay_alu instid0(VALU_DEP_4) | instskip(NEXT) | instid1(VALU_DEP_4)
	v_fma_f64 v[140:141], v[132:133], v[4:5], -v[140:141]
	v_fmac_f64_e32 v[142:143], v[134:135], v[4:5]
	ds_load_b128 v[4:7], v2 offset:1664
	ds_load_b128 v[132:135], v2 offset:1680
	v_fmac_f64_e32 v[144:145], v[138:139], v[8:9]
	v_fma_f64 v[8:9], v[136:137], v[8:9], -v[10:11]
	s_wait_loadcnt_dscnt 0x201
	v_mul_f64_e32 v[2:3], v[4:5], v[14:15]
	v_mul_f64_e32 v[14:15], v[6:7], v[14:15]
	s_wait_loadcnt_dscnt 0x100
	v_mul_f64_e32 v[138:139], v[132:133], v[126:127]
	v_mul_f64_e32 v[126:127], v[134:135], v[126:127]
	v_add_f64_e32 v[10:11], 0, v[140:141]
	v_add_f64_e32 v[136:137], 0, v[142:143]
	v_fmac_f64_e32 v[2:3], v[6:7], v[12:13]
	v_fma_f64 v[4:5], v[4:5], v[12:13], -v[14:15]
	v_fmac_f64_e32 v[138:139], v[134:135], v[124:125]
	v_add_f64_e32 v[6:7], v[10:11], v[8:9]
	v_add_f64_e32 v[8:9], v[136:137], v[144:145]
	v_fma_f64 v[10:11], v[132:133], v[124:125], -v[126:127]
	s_delay_alu instid0(VALU_DEP_3) | instskip(NEXT) | instid1(VALU_DEP_3)
	v_add_f64_e32 v[4:5], v[6:7], v[4:5]
	v_add_f64_e32 v[2:3], v[8:9], v[2:3]
	s_delay_alu instid0(VALU_DEP_2) | instskip(NEXT) | instid1(VALU_DEP_2)
	v_add_f64_e32 v[4:5], v[4:5], v[10:11]
	v_add_f64_e32 v[6:7], v[2:3], v[138:139]
	s_wait_loadcnt 0x0
	s_delay_alu instid0(VALU_DEP_2) | instskip(NEXT) | instid1(VALU_DEP_2)
	v_add_f64_e64 v[2:3], v[128:129], -v[4:5]
	v_add_f64_e64 v[4:5], v[130:131], -v[6:7]
	scratch_store_b128 off, v[2:5], off offset:768
	s_wait_xcnt 0x0
	v_cmpx_lt_u32_e32 47, v1
	s_cbranch_execz .LBB116_237
; %bb.236:
	scratch_load_b128 v[2:5], off, s21
	v_mov_b32_e32 v6, 0
	s_delay_alu instid0(VALU_DEP_1)
	v_dual_mov_b32 v7, v6 :: v_dual_mov_b32 v8, v6
	v_mov_b32_e32 v9, v6
	scratch_store_b128 off, v[6:9], off offset:752
	s_wait_loadcnt 0x0
	ds_store_b128 v122, v[2:5]
.LBB116_237:
	s_wait_xcnt 0x0
	s_or_b32 exec_lo, exec_lo, s2
	s_wait_storecnt_dscnt 0x0
	s_barrier_signal -1
	s_barrier_wait -1
	s_clause 0x5
	scratch_load_b128 v[4:7], off, off offset:768
	scratch_load_b128 v[8:11], off, off offset:784
	;; [unrolled: 1-line block ×6, first 2 shown]
	v_mov_b32_e32 v2, 0
	ds_load_b128 v[136:139], v2 offset:1616
	ds_load_b128 v[140:143], v2 offset:1632
	s_mov_b32 s2, exec_lo
	s_wait_loadcnt_dscnt 0x501
	v_mul_f64_e32 v[144:145], v[138:139], v[6:7]
	v_mul_f64_e32 v[146:147], v[136:137], v[6:7]
	s_wait_loadcnt_dscnt 0x400
	v_mul_f64_e32 v[148:149], v[140:141], v[10:11]
	v_mul_f64_e32 v[10:11], v[142:143], v[10:11]
	s_delay_alu instid0(VALU_DEP_4) | instskip(NEXT) | instid1(VALU_DEP_4)
	v_fma_f64 v[144:145], v[136:137], v[4:5], -v[144:145]
	v_fmac_f64_e32 v[146:147], v[138:139], v[4:5]
	ds_load_b128 v[4:7], v2 offset:1648
	ds_load_b128 v[136:139], v2 offset:1664
	v_fmac_f64_e32 v[148:149], v[142:143], v[8:9]
	v_fma_f64 v[8:9], v[140:141], v[8:9], -v[10:11]
	s_wait_loadcnt_dscnt 0x301
	v_mul_f64_e32 v[150:151], v[4:5], v[14:15]
	v_mul_f64_e32 v[14:15], v[6:7], v[14:15]
	s_wait_loadcnt_dscnt 0x200
	v_mul_f64_e32 v[142:143], v[136:137], v[126:127]
	v_mul_f64_e32 v[126:127], v[138:139], v[126:127]
	v_add_f64_e32 v[10:11], 0, v[144:145]
	v_add_f64_e32 v[140:141], 0, v[146:147]
	v_fmac_f64_e32 v[150:151], v[6:7], v[12:13]
	v_fma_f64 v[12:13], v[4:5], v[12:13], -v[14:15]
	ds_load_b128 v[4:7], v2 offset:1680
	v_fmac_f64_e32 v[142:143], v[138:139], v[124:125]
	v_fma_f64 v[124:125], v[136:137], v[124:125], -v[126:127]
	v_add_f64_e32 v[8:9], v[10:11], v[8:9]
	v_add_f64_e32 v[10:11], v[140:141], v[148:149]
	s_wait_loadcnt_dscnt 0x100
	v_mul_f64_e32 v[14:15], v[4:5], v[130:131]
	v_mul_f64_e32 v[130:131], v[6:7], v[130:131]
	s_delay_alu instid0(VALU_DEP_4) | instskip(NEXT) | instid1(VALU_DEP_4)
	v_add_f64_e32 v[8:9], v[8:9], v[12:13]
	v_add_f64_e32 v[10:11], v[10:11], v[150:151]
	s_delay_alu instid0(VALU_DEP_4) | instskip(NEXT) | instid1(VALU_DEP_4)
	v_fmac_f64_e32 v[14:15], v[6:7], v[128:129]
	v_fma_f64 v[4:5], v[4:5], v[128:129], -v[130:131]
	s_delay_alu instid0(VALU_DEP_4) | instskip(NEXT) | instid1(VALU_DEP_4)
	v_add_f64_e32 v[6:7], v[8:9], v[124:125]
	v_add_f64_e32 v[8:9], v[10:11], v[142:143]
	s_delay_alu instid0(VALU_DEP_2) | instskip(NEXT) | instid1(VALU_DEP_2)
	v_add_f64_e32 v[4:5], v[6:7], v[4:5]
	v_add_f64_e32 v[6:7], v[8:9], v[14:15]
	s_wait_loadcnt 0x0
	s_delay_alu instid0(VALU_DEP_2) | instskip(NEXT) | instid1(VALU_DEP_2)
	v_add_f64_e64 v[4:5], v[132:133], -v[4:5]
	v_add_f64_e64 v[6:7], v[134:135], -v[6:7]
	scratch_store_b128 off, v[4:7], off offset:752
	s_wait_xcnt 0x0
	v_cmpx_lt_u32_e32 46, v1
	s_cbranch_execz .LBB116_239
; %bb.238:
	scratch_load_b128 v[6:9], off, s22
	v_dual_mov_b32 v3, v2 :: v_dual_mov_b32 v4, v2
	v_mov_b32_e32 v5, v2
	scratch_store_b128 off, v[2:5], off offset:736
	s_wait_loadcnt 0x0
	ds_store_b128 v122, v[6:9]
.LBB116_239:
	s_wait_xcnt 0x0
	s_or_b32 exec_lo, exec_lo, s2
	s_wait_storecnt_dscnt 0x0
	s_barrier_signal -1
	s_barrier_wait -1
	s_clause 0x6
	scratch_load_b128 v[4:7], off, off offset:752
	scratch_load_b128 v[8:11], off, off offset:768
	;; [unrolled: 1-line block ×7, first 2 shown]
	ds_load_b128 v[140:143], v2 offset:1600
	ds_load_b128 v[144:147], v2 offset:1616
	s_mov_b32 s2, exec_lo
	s_wait_loadcnt_dscnt 0x601
	v_mul_f64_e32 v[148:149], v[142:143], v[6:7]
	v_mul_f64_e32 v[150:151], v[140:141], v[6:7]
	s_wait_loadcnt_dscnt 0x500
	v_mul_f64_e32 v[152:153], v[144:145], v[10:11]
	v_mul_f64_e32 v[10:11], v[146:147], v[10:11]
	s_delay_alu instid0(VALU_DEP_4) | instskip(NEXT) | instid1(VALU_DEP_4)
	v_fma_f64 v[148:149], v[140:141], v[4:5], -v[148:149]
	v_fmac_f64_e32 v[150:151], v[142:143], v[4:5]
	ds_load_b128 v[4:7], v2 offset:1632
	ds_load_b128 v[140:143], v2 offset:1648
	v_fmac_f64_e32 v[152:153], v[146:147], v[8:9]
	v_fma_f64 v[8:9], v[144:145], v[8:9], -v[10:11]
	s_wait_loadcnt_dscnt 0x401
	v_mul_f64_e32 v[154:155], v[4:5], v[14:15]
	v_mul_f64_e32 v[14:15], v[6:7], v[14:15]
	s_wait_loadcnt_dscnt 0x300
	v_mul_f64_e32 v[146:147], v[140:141], v[126:127]
	v_mul_f64_e32 v[126:127], v[142:143], v[126:127]
	v_add_f64_e32 v[10:11], 0, v[148:149]
	v_add_f64_e32 v[144:145], 0, v[150:151]
	v_fmac_f64_e32 v[154:155], v[6:7], v[12:13]
	v_fma_f64 v[12:13], v[4:5], v[12:13], -v[14:15]
	v_fmac_f64_e32 v[146:147], v[142:143], v[124:125]
	v_fma_f64 v[124:125], v[140:141], v[124:125], -v[126:127]
	v_add_f64_e32 v[14:15], v[10:11], v[8:9]
	v_add_f64_e32 v[144:145], v[144:145], v[152:153]
	ds_load_b128 v[4:7], v2 offset:1664
	ds_load_b128 v[8:11], v2 offset:1680
	s_wait_loadcnt_dscnt 0x201
	v_mul_f64_e32 v[2:3], v[4:5], v[130:131]
	v_mul_f64_e32 v[130:131], v[6:7], v[130:131]
	s_wait_loadcnt_dscnt 0x100
	v_mul_f64_e32 v[126:127], v[8:9], v[134:135]
	v_mul_f64_e32 v[134:135], v[10:11], v[134:135]
	v_add_f64_e32 v[12:13], v[14:15], v[12:13]
	v_add_f64_e32 v[14:15], v[144:145], v[154:155]
	v_fmac_f64_e32 v[2:3], v[6:7], v[128:129]
	v_fma_f64 v[4:5], v[4:5], v[128:129], -v[130:131]
	v_fmac_f64_e32 v[126:127], v[10:11], v[132:133]
	v_fma_f64 v[8:9], v[8:9], v[132:133], -v[134:135]
	v_add_f64_e32 v[6:7], v[12:13], v[124:125]
	v_add_f64_e32 v[12:13], v[14:15], v[146:147]
	s_delay_alu instid0(VALU_DEP_2) | instskip(NEXT) | instid1(VALU_DEP_2)
	v_add_f64_e32 v[4:5], v[6:7], v[4:5]
	v_add_f64_e32 v[2:3], v[12:13], v[2:3]
	s_delay_alu instid0(VALU_DEP_2) | instskip(NEXT) | instid1(VALU_DEP_2)
	v_add_f64_e32 v[4:5], v[4:5], v[8:9]
	v_add_f64_e32 v[6:7], v[2:3], v[126:127]
	s_wait_loadcnt 0x0
	s_delay_alu instid0(VALU_DEP_2) | instskip(NEXT) | instid1(VALU_DEP_2)
	v_add_f64_e64 v[2:3], v[136:137], -v[4:5]
	v_add_f64_e64 v[4:5], v[138:139], -v[6:7]
	scratch_store_b128 off, v[2:5], off offset:736
	s_wait_xcnt 0x0
	v_cmpx_lt_u32_e32 45, v1
	s_cbranch_execz .LBB116_241
; %bb.240:
	scratch_load_b128 v[2:5], off, s23
	v_mov_b32_e32 v6, 0
	s_delay_alu instid0(VALU_DEP_1)
	v_dual_mov_b32 v7, v6 :: v_dual_mov_b32 v8, v6
	v_mov_b32_e32 v9, v6
	scratch_store_b128 off, v[6:9], off offset:720
	s_wait_loadcnt 0x0
	ds_store_b128 v122, v[2:5]
.LBB116_241:
	s_wait_xcnt 0x0
	s_or_b32 exec_lo, exec_lo, s2
	s_wait_storecnt_dscnt 0x0
	s_barrier_signal -1
	s_barrier_wait -1
	s_clause 0x7
	scratch_load_b128 v[4:7], off, off offset:736
	scratch_load_b128 v[8:11], off, off offset:752
	;; [unrolled: 1-line block ×8, first 2 shown]
	v_mov_b32_e32 v2, 0
	ds_load_b128 v[144:147], v2 offset:1584
	ds_load_b128 v[148:151], v2 offset:1600
	s_mov_b32 s2, exec_lo
	s_wait_loadcnt_dscnt 0x701
	v_mul_f64_e32 v[152:153], v[146:147], v[6:7]
	v_mul_f64_e32 v[154:155], v[144:145], v[6:7]
	s_wait_loadcnt_dscnt 0x600
	v_mul_f64_e32 v[156:157], v[148:149], v[10:11]
	v_mul_f64_e32 v[10:11], v[150:151], v[10:11]
	s_delay_alu instid0(VALU_DEP_4) | instskip(NEXT) | instid1(VALU_DEP_4)
	v_fma_f64 v[152:153], v[144:145], v[4:5], -v[152:153]
	v_fmac_f64_e32 v[154:155], v[146:147], v[4:5]
	ds_load_b128 v[4:7], v2 offset:1616
	ds_load_b128 v[144:147], v2 offset:1632
	v_fmac_f64_e32 v[156:157], v[150:151], v[8:9]
	v_fma_f64 v[8:9], v[148:149], v[8:9], -v[10:11]
	s_wait_loadcnt_dscnt 0x501
	v_mul_f64_e32 v[158:159], v[4:5], v[14:15]
	v_mul_f64_e32 v[14:15], v[6:7], v[14:15]
	s_wait_loadcnt_dscnt 0x400
	v_mul_f64_e32 v[150:151], v[144:145], v[126:127]
	v_mul_f64_e32 v[126:127], v[146:147], v[126:127]
	v_add_f64_e32 v[10:11], 0, v[152:153]
	v_add_f64_e32 v[148:149], 0, v[154:155]
	v_fmac_f64_e32 v[158:159], v[6:7], v[12:13]
	v_fma_f64 v[12:13], v[4:5], v[12:13], -v[14:15]
	v_fmac_f64_e32 v[150:151], v[146:147], v[124:125]
	v_fma_f64 v[124:125], v[144:145], v[124:125], -v[126:127]
	v_add_f64_e32 v[14:15], v[10:11], v[8:9]
	v_add_f64_e32 v[148:149], v[148:149], v[156:157]
	ds_load_b128 v[4:7], v2 offset:1648
	ds_load_b128 v[8:11], v2 offset:1664
	s_wait_loadcnt_dscnt 0x301
	v_mul_f64_e32 v[152:153], v[4:5], v[130:131]
	v_mul_f64_e32 v[130:131], v[6:7], v[130:131]
	s_wait_loadcnt_dscnt 0x200
	v_mul_f64_e32 v[126:127], v[8:9], v[134:135]
	v_mul_f64_e32 v[134:135], v[10:11], v[134:135]
	v_add_f64_e32 v[12:13], v[14:15], v[12:13]
	v_add_f64_e32 v[14:15], v[148:149], v[158:159]
	v_fmac_f64_e32 v[152:153], v[6:7], v[128:129]
	v_fma_f64 v[128:129], v[4:5], v[128:129], -v[130:131]
	ds_load_b128 v[4:7], v2 offset:1680
	v_fmac_f64_e32 v[126:127], v[10:11], v[132:133]
	v_fma_f64 v[8:9], v[8:9], v[132:133], -v[134:135]
	v_add_f64_e32 v[12:13], v[12:13], v[124:125]
	v_add_f64_e32 v[14:15], v[14:15], v[150:151]
	s_wait_loadcnt_dscnt 0x100
	v_mul_f64_e32 v[124:125], v[4:5], v[138:139]
	v_mul_f64_e32 v[130:131], v[6:7], v[138:139]
	s_delay_alu instid0(VALU_DEP_4) | instskip(NEXT) | instid1(VALU_DEP_4)
	v_add_f64_e32 v[10:11], v[12:13], v[128:129]
	v_add_f64_e32 v[12:13], v[14:15], v[152:153]
	s_delay_alu instid0(VALU_DEP_4) | instskip(NEXT) | instid1(VALU_DEP_4)
	v_fmac_f64_e32 v[124:125], v[6:7], v[136:137]
	v_fma_f64 v[4:5], v[4:5], v[136:137], -v[130:131]
	s_delay_alu instid0(VALU_DEP_4) | instskip(NEXT) | instid1(VALU_DEP_4)
	v_add_f64_e32 v[6:7], v[10:11], v[8:9]
	v_add_f64_e32 v[8:9], v[12:13], v[126:127]
	s_delay_alu instid0(VALU_DEP_2) | instskip(NEXT) | instid1(VALU_DEP_2)
	v_add_f64_e32 v[4:5], v[6:7], v[4:5]
	v_add_f64_e32 v[6:7], v[8:9], v[124:125]
	s_wait_loadcnt 0x0
	s_delay_alu instid0(VALU_DEP_2) | instskip(NEXT) | instid1(VALU_DEP_2)
	v_add_f64_e64 v[4:5], v[140:141], -v[4:5]
	v_add_f64_e64 v[6:7], v[142:143], -v[6:7]
	scratch_store_b128 off, v[4:7], off offset:720
	s_wait_xcnt 0x0
	v_cmpx_lt_u32_e32 44, v1
	s_cbranch_execz .LBB116_243
; %bb.242:
	scratch_load_b128 v[6:9], off, s24
	v_dual_mov_b32 v3, v2 :: v_dual_mov_b32 v4, v2
	v_mov_b32_e32 v5, v2
	scratch_store_b128 off, v[2:5], off offset:704
	s_wait_loadcnt 0x0
	ds_store_b128 v122, v[6:9]
.LBB116_243:
	s_wait_xcnt 0x0
	s_or_b32 exec_lo, exec_lo, s2
	s_wait_storecnt_dscnt 0x0
	s_barrier_signal -1
	s_barrier_wait -1
	s_clause 0x7
	scratch_load_b128 v[4:7], off, off offset:720
	scratch_load_b128 v[8:11], off, off offset:736
	scratch_load_b128 v[12:15], off, off offset:752
	scratch_load_b128 v[124:127], off, off offset:768
	scratch_load_b128 v[128:131], off, off offset:784
	scratch_load_b128 v[132:135], off, off offset:800
	scratch_load_b128 v[136:139], off, off offset:816
	scratch_load_b128 v[140:143], off, off offset:832
	ds_load_b128 v[144:147], v2 offset:1568
	ds_load_b128 v[148:151], v2 offset:1584
	scratch_load_b128 v[152:155], off, off offset:704
	s_mov_b32 s2, exec_lo
	s_wait_loadcnt_dscnt 0x801
	v_mul_f64_e32 v[156:157], v[146:147], v[6:7]
	v_mul_f64_e32 v[158:159], v[144:145], v[6:7]
	s_wait_loadcnt_dscnt 0x700
	v_mul_f64_e32 v[160:161], v[148:149], v[10:11]
	v_mul_f64_e32 v[10:11], v[150:151], v[10:11]
	s_delay_alu instid0(VALU_DEP_4) | instskip(NEXT) | instid1(VALU_DEP_4)
	v_fma_f64 v[156:157], v[144:145], v[4:5], -v[156:157]
	v_fmac_f64_e32 v[158:159], v[146:147], v[4:5]
	ds_load_b128 v[4:7], v2 offset:1600
	ds_load_b128 v[144:147], v2 offset:1616
	v_fmac_f64_e32 v[160:161], v[150:151], v[8:9]
	v_fma_f64 v[8:9], v[148:149], v[8:9], -v[10:11]
	s_wait_loadcnt_dscnt 0x601
	v_mul_f64_e32 v[162:163], v[4:5], v[14:15]
	v_mul_f64_e32 v[14:15], v[6:7], v[14:15]
	s_wait_loadcnt_dscnt 0x500
	v_mul_f64_e32 v[150:151], v[144:145], v[126:127]
	v_mul_f64_e32 v[126:127], v[146:147], v[126:127]
	v_add_f64_e32 v[10:11], 0, v[156:157]
	v_add_f64_e32 v[148:149], 0, v[158:159]
	v_fmac_f64_e32 v[162:163], v[6:7], v[12:13]
	v_fma_f64 v[12:13], v[4:5], v[12:13], -v[14:15]
	v_fmac_f64_e32 v[150:151], v[146:147], v[124:125]
	v_fma_f64 v[124:125], v[144:145], v[124:125], -v[126:127]
	v_add_f64_e32 v[14:15], v[10:11], v[8:9]
	v_add_f64_e32 v[148:149], v[148:149], v[160:161]
	ds_load_b128 v[4:7], v2 offset:1632
	ds_load_b128 v[8:11], v2 offset:1648
	s_wait_loadcnt_dscnt 0x401
	v_mul_f64_e32 v[156:157], v[4:5], v[130:131]
	v_mul_f64_e32 v[130:131], v[6:7], v[130:131]
	s_wait_loadcnt_dscnt 0x300
	v_mul_f64_e32 v[126:127], v[8:9], v[134:135]
	v_mul_f64_e32 v[134:135], v[10:11], v[134:135]
	v_add_f64_e32 v[12:13], v[14:15], v[12:13]
	v_add_f64_e32 v[14:15], v[148:149], v[162:163]
	v_fmac_f64_e32 v[156:157], v[6:7], v[128:129]
	v_fma_f64 v[128:129], v[4:5], v[128:129], -v[130:131]
	v_fmac_f64_e32 v[126:127], v[10:11], v[132:133]
	v_fma_f64 v[8:9], v[8:9], v[132:133], -v[134:135]
	v_add_f64_e32 v[124:125], v[12:13], v[124:125]
	v_add_f64_e32 v[130:131], v[14:15], v[150:151]
	ds_load_b128 v[4:7], v2 offset:1664
	ds_load_b128 v[12:15], v2 offset:1680
	s_wait_loadcnt_dscnt 0x201
	v_mul_f64_e32 v[2:3], v[4:5], v[138:139]
	v_mul_f64_e32 v[138:139], v[6:7], v[138:139]
	v_add_f64_e32 v[10:11], v[124:125], v[128:129]
	v_add_f64_e32 v[124:125], v[130:131], v[156:157]
	s_wait_loadcnt_dscnt 0x100
	v_mul_f64_e32 v[128:129], v[12:13], v[142:143]
	v_mul_f64_e32 v[130:131], v[14:15], v[142:143]
	v_fmac_f64_e32 v[2:3], v[6:7], v[136:137]
	v_fma_f64 v[4:5], v[4:5], v[136:137], -v[138:139]
	v_add_f64_e32 v[6:7], v[10:11], v[8:9]
	v_add_f64_e32 v[8:9], v[124:125], v[126:127]
	v_fmac_f64_e32 v[128:129], v[14:15], v[140:141]
	v_fma_f64 v[10:11], v[12:13], v[140:141], -v[130:131]
	s_delay_alu instid0(VALU_DEP_4) | instskip(NEXT) | instid1(VALU_DEP_4)
	v_add_f64_e32 v[4:5], v[6:7], v[4:5]
	v_add_f64_e32 v[2:3], v[8:9], v[2:3]
	s_delay_alu instid0(VALU_DEP_2) | instskip(NEXT) | instid1(VALU_DEP_2)
	v_add_f64_e32 v[4:5], v[4:5], v[10:11]
	v_add_f64_e32 v[6:7], v[2:3], v[128:129]
	s_wait_loadcnt 0x0
	s_delay_alu instid0(VALU_DEP_2) | instskip(NEXT) | instid1(VALU_DEP_2)
	v_add_f64_e64 v[2:3], v[152:153], -v[4:5]
	v_add_f64_e64 v[4:5], v[154:155], -v[6:7]
	scratch_store_b128 off, v[2:5], off offset:704
	s_wait_xcnt 0x0
	v_cmpx_lt_u32_e32 43, v1
	s_cbranch_execz .LBB116_245
; %bb.244:
	scratch_load_b128 v[2:5], off, s25
	v_mov_b32_e32 v6, 0
	s_delay_alu instid0(VALU_DEP_1)
	v_dual_mov_b32 v7, v6 :: v_dual_mov_b32 v8, v6
	v_mov_b32_e32 v9, v6
	scratch_store_b128 off, v[6:9], off offset:688
	s_wait_loadcnt 0x0
	ds_store_b128 v122, v[2:5]
.LBB116_245:
	s_wait_xcnt 0x0
	s_or_b32 exec_lo, exec_lo, s2
	s_wait_storecnt_dscnt 0x0
	s_barrier_signal -1
	s_barrier_wait -1
	s_clause 0x8
	scratch_load_b128 v[4:7], off, off offset:704
	scratch_load_b128 v[8:11], off, off offset:720
	;; [unrolled: 1-line block ×9, first 2 shown]
	v_mov_b32_e32 v2, 0
	scratch_load_b128 v[152:155], off, off offset:688
	s_mov_b32 s2, exec_lo
	ds_load_b128 v[148:151], v2 offset:1552
	ds_load_b128 v[156:159], v2 offset:1568
	s_wait_loadcnt_dscnt 0x901
	v_mul_f64_e32 v[160:161], v[150:151], v[6:7]
	v_mul_f64_e32 v[162:163], v[148:149], v[6:7]
	s_wait_loadcnt_dscnt 0x800
	v_mul_f64_e32 v[164:165], v[156:157], v[10:11]
	v_mul_f64_e32 v[10:11], v[158:159], v[10:11]
	s_delay_alu instid0(VALU_DEP_4) | instskip(NEXT) | instid1(VALU_DEP_4)
	v_fma_f64 v[160:161], v[148:149], v[4:5], -v[160:161]
	v_fmac_f64_e32 v[162:163], v[150:151], v[4:5]
	ds_load_b128 v[4:7], v2 offset:1584
	ds_load_b128 v[148:151], v2 offset:1600
	v_fmac_f64_e32 v[164:165], v[158:159], v[8:9]
	v_fma_f64 v[8:9], v[156:157], v[8:9], -v[10:11]
	s_wait_loadcnt_dscnt 0x701
	v_mul_f64_e32 v[166:167], v[4:5], v[14:15]
	v_mul_f64_e32 v[14:15], v[6:7], v[14:15]
	s_wait_loadcnt_dscnt 0x600
	v_mul_f64_e32 v[158:159], v[148:149], v[126:127]
	v_mul_f64_e32 v[126:127], v[150:151], v[126:127]
	v_add_f64_e32 v[10:11], 0, v[160:161]
	v_add_f64_e32 v[156:157], 0, v[162:163]
	v_fmac_f64_e32 v[166:167], v[6:7], v[12:13]
	v_fma_f64 v[12:13], v[4:5], v[12:13], -v[14:15]
	v_fmac_f64_e32 v[158:159], v[150:151], v[124:125]
	v_fma_f64 v[124:125], v[148:149], v[124:125], -v[126:127]
	v_add_f64_e32 v[14:15], v[10:11], v[8:9]
	v_add_f64_e32 v[156:157], v[156:157], v[164:165]
	ds_load_b128 v[4:7], v2 offset:1616
	ds_load_b128 v[8:11], v2 offset:1632
	s_wait_loadcnt_dscnt 0x501
	v_mul_f64_e32 v[160:161], v[4:5], v[130:131]
	v_mul_f64_e32 v[130:131], v[6:7], v[130:131]
	s_wait_loadcnt_dscnt 0x400
	v_mul_f64_e32 v[126:127], v[8:9], v[134:135]
	v_mul_f64_e32 v[134:135], v[10:11], v[134:135]
	v_add_f64_e32 v[12:13], v[14:15], v[12:13]
	v_add_f64_e32 v[14:15], v[156:157], v[166:167]
	v_fmac_f64_e32 v[160:161], v[6:7], v[128:129]
	v_fma_f64 v[128:129], v[4:5], v[128:129], -v[130:131]
	v_fmac_f64_e32 v[126:127], v[10:11], v[132:133]
	v_fma_f64 v[8:9], v[8:9], v[132:133], -v[134:135]
	v_add_f64_e32 v[124:125], v[12:13], v[124:125]
	v_add_f64_e32 v[130:131], v[14:15], v[158:159]
	ds_load_b128 v[4:7], v2 offset:1648
	ds_load_b128 v[12:15], v2 offset:1664
	s_wait_loadcnt_dscnt 0x301
	v_mul_f64_e32 v[148:149], v[4:5], v[138:139]
	v_mul_f64_e32 v[138:139], v[6:7], v[138:139]
	v_add_f64_e32 v[10:11], v[124:125], v[128:129]
	v_add_f64_e32 v[124:125], v[130:131], v[160:161]
	s_wait_loadcnt_dscnt 0x200
	v_mul_f64_e32 v[128:129], v[12:13], v[142:143]
	v_mul_f64_e32 v[130:131], v[14:15], v[142:143]
	v_fmac_f64_e32 v[148:149], v[6:7], v[136:137]
	v_fma_f64 v[132:133], v[4:5], v[136:137], -v[138:139]
	ds_load_b128 v[4:7], v2 offset:1680
	v_add_f64_e32 v[8:9], v[10:11], v[8:9]
	v_add_f64_e32 v[10:11], v[124:125], v[126:127]
	v_fmac_f64_e32 v[128:129], v[14:15], v[140:141]
	v_fma_f64 v[12:13], v[12:13], v[140:141], -v[130:131]
	s_wait_loadcnt_dscnt 0x100
	v_mul_f64_e32 v[124:125], v[4:5], v[146:147]
	v_mul_f64_e32 v[126:127], v[6:7], v[146:147]
	v_add_f64_e32 v[8:9], v[8:9], v[132:133]
	v_add_f64_e32 v[10:11], v[10:11], v[148:149]
	s_delay_alu instid0(VALU_DEP_4) | instskip(NEXT) | instid1(VALU_DEP_4)
	v_fmac_f64_e32 v[124:125], v[6:7], v[144:145]
	v_fma_f64 v[4:5], v[4:5], v[144:145], -v[126:127]
	s_delay_alu instid0(VALU_DEP_4) | instskip(NEXT) | instid1(VALU_DEP_4)
	v_add_f64_e32 v[6:7], v[8:9], v[12:13]
	v_add_f64_e32 v[8:9], v[10:11], v[128:129]
	s_delay_alu instid0(VALU_DEP_2) | instskip(NEXT) | instid1(VALU_DEP_2)
	v_add_f64_e32 v[4:5], v[6:7], v[4:5]
	v_add_f64_e32 v[6:7], v[8:9], v[124:125]
	s_wait_loadcnt 0x0
	s_delay_alu instid0(VALU_DEP_2) | instskip(NEXT) | instid1(VALU_DEP_2)
	v_add_f64_e64 v[4:5], v[152:153], -v[4:5]
	v_add_f64_e64 v[6:7], v[154:155], -v[6:7]
	scratch_store_b128 off, v[4:7], off offset:688
	s_wait_xcnt 0x0
	v_cmpx_lt_u32_e32 42, v1
	s_cbranch_execz .LBB116_247
; %bb.246:
	scratch_load_b128 v[6:9], off, s26
	v_dual_mov_b32 v3, v2 :: v_dual_mov_b32 v4, v2
	v_mov_b32_e32 v5, v2
	scratch_store_b128 off, v[2:5], off offset:672
	s_wait_loadcnt 0x0
	ds_store_b128 v122, v[6:9]
.LBB116_247:
	s_wait_xcnt 0x0
	s_or_b32 exec_lo, exec_lo, s2
	s_wait_storecnt_dscnt 0x0
	s_barrier_signal -1
	s_barrier_wait -1
	s_clause 0x9
	scratch_load_b128 v[4:7], off, off offset:688
	scratch_load_b128 v[8:11], off, off offset:704
	scratch_load_b128 v[12:15], off, off offset:720
	scratch_load_b128 v[124:127], off, off offset:736
	scratch_load_b128 v[128:131], off, off offset:752
	scratch_load_b128 v[132:135], off, off offset:768
	scratch_load_b128 v[136:139], off, off offset:784
	scratch_load_b128 v[140:143], off, off offset:800
	scratch_load_b128 v[144:147], off, off offset:816
	scratch_load_b128 v[148:151], off, off offset:832
	ds_load_b128 v[152:155], v2 offset:1536
	ds_load_b128 v[156:159], v2 offset:1552
	scratch_load_b128 v[160:163], off, off offset:672
	s_mov_b32 s2, exec_lo
	s_wait_loadcnt_dscnt 0xa01
	v_mul_f64_e32 v[164:165], v[154:155], v[6:7]
	v_mul_f64_e32 v[166:167], v[152:153], v[6:7]
	s_wait_loadcnt_dscnt 0x900
	v_mul_f64_e32 v[168:169], v[156:157], v[10:11]
	v_mul_f64_e32 v[10:11], v[158:159], v[10:11]
	s_delay_alu instid0(VALU_DEP_4) | instskip(NEXT) | instid1(VALU_DEP_4)
	v_fma_f64 v[164:165], v[152:153], v[4:5], -v[164:165]
	v_fmac_f64_e32 v[166:167], v[154:155], v[4:5]
	ds_load_b128 v[4:7], v2 offset:1568
	ds_load_b128 v[152:155], v2 offset:1584
	v_fmac_f64_e32 v[168:169], v[158:159], v[8:9]
	v_fma_f64 v[8:9], v[156:157], v[8:9], -v[10:11]
	s_wait_loadcnt_dscnt 0x801
	v_mul_f64_e32 v[170:171], v[4:5], v[14:15]
	v_mul_f64_e32 v[14:15], v[6:7], v[14:15]
	s_wait_loadcnt_dscnt 0x700
	v_mul_f64_e32 v[158:159], v[152:153], v[126:127]
	v_mul_f64_e32 v[126:127], v[154:155], v[126:127]
	v_add_f64_e32 v[10:11], 0, v[164:165]
	v_add_f64_e32 v[156:157], 0, v[166:167]
	v_fmac_f64_e32 v[170:171], v[6:7], v[12:13]
	v_fma_f64 v[12:13], v[4:5], v[12:13], -v[14:15]
	v_fmac_f64_e32 v[158:159], v[154:155], v[124:125]
	v_fma_f64 v[124:125], v[152:153], v[124:125], -v[126:127]
	v_add_f64_e32 v[14:15], v[10:11], v[8:9]
	v_add_f64_e32 v[156:157], v[156:157], v[168:169]
	ds_load_b128 v[4:7], v2 offset:1600
	ds_load_b128 v[8:11], v2 offset:1616
	s_wait_loadcnt_dscnt 0x601
	v_mul_f64_e32 v[164:165], v[4:5], v[130:131]
	v_mul_f64_e32 v[130:131], v[6:7], v[130:131]
	s_wait_loadcnt_dscnt 0x500
	v_mul_f64_e32 v[126:127], v[8:9], v[134:135]
	v_mul_f64_e32 v[134:135], v[10:11], v[134:135]
	v_add_f64_e32 v[12:13], v[14:15], v[12:13]
	v_add_f64_e32 v[14:15], v[156:157], v[170:171]
	v_fmac_f64_e32 v[164:165], v[6:7], v[128:129]
	v_fma_f64 v[128:129], v[4:5], v[128:129], -v[130:131]
	v_fmac_f64_e32 v[126:127], v[10:11], v[132:133]
	v_fma_f64 v[8:9], v[8:9], v[132:133], -v[134:135]
	v_add_f64_e32 v[124:125], v[12:13], v[124:125]
	v_add_f64_e32 v[130:131], v[14:15], v[158:159]
	ds_load_b128 v[4:7], v2 offset:1632
	ds_load_b128 v[12:15], v2 offset:1648
	s_wait_loadcnt_dscnt 0x401
	v_mul_f64_e32 v[152:153], v[4:5], v[138:139]
	v_mul_f64_e32 v[138:139], v[6:7], v[138:139]
	v_add_f64_e32 v[10:11], v[124:125], v[128:129]
	v_add_f64_e32 v[124:125], v[130:131], v[164:165]
	s_wait_loadcnt_dscnt 0x300
	v_mul_f64_e32 v[128:129], v[12:13], v[142:143]
	v_mul_f64_e32 v[130:131], v[14:15], v[142:143]
	v_fmac_f64_e32 v[152:153], v[6:7], v[136:137]
	v_fma_f64 v[132:133], v[4:5], v[136:137], -v[138:139]
	v_add_f64_e32 v[134:135], v[10:11], v[8:9]
	v_add_f64_e32 v[124:125], v[124:125], v[126:127]
	ds_load_b128 v[4:7], v2 offset:1664
	ds_load_b128 v[8:11], v2 offset:1680
	v_fmac_f64_e32 v[128:129], v[14:15], v[140:141]
	v_fma_f64 v[12:13], v[12:13], v[140:141], -v[130:131]
	s_wait_loadcnt_dscnt 0x201
	v_mul_f64_e32 v[2:3], v[4:5], v[146:147]
	v_mul_f64_e32 v[126:127], v[6:7], v[146:147]
	s_wait_loadcnt_dscnt 0x100
	v_mul_f64_e32 v[130:131], v[8:9], v[150:151]
	v_add_f64_e32 v[14:15], v[134:135], v[132:133]
	v_add_f64_e32 v[124:125], v[124:125], v[152:153]
	v_mul_f64_e32 v[132:133], v[10:11], v[150:151]
	v_fmac_f64_e32 v[2:3], v[6:7], v[144:145]
	v_fma_f64 v[4:5], v[4:5], v[144:145], -v[126:127]
	v_fmac_f64_e32 v[130:131], v[10:11], v[148:149]
	v_add_f64_e32 v[6:7], v[14:15], v[12:13]
	v_add_f64_e32 v[12:13], v[124:125], v[128:129]
	v_fma_f64 v[8:9], v[8:9], v[148:149], -v[132:133]
	s_delay_alu instid0(VALU_DEP_3) | instskip(NEXT) | instid1(VALU_DEP_3)
	v_add_f64_e32 v[4:5], v[6:7], v[4:5]
	v_add_f64_e32 v[2:3], v[12:13], v[2:3]
	s_delay_alu instid0(VALU_DEP_2) | instskip(NEXT) | instid1(VALU_DEP_2)
	v_add_f64_e32 v[4:5], v[4:5], v[8:9]
	v_add_f64_e32 v[6:7], v[2:3], v[130:131]
	s_wait_loadcnt 0x0
	s_delay_alu instid0(VALU_DEP_2) | instskip(NEXT) | instid1(VALU_DEP_2)
	v_add_f64_e64 v[2:3], v[160:161], -v[4:5]
	v_add_f64_e64 v[4:5], v[162:163], -v[6:7]
	scratch_store_b128 off, v[2:5], off offset:672
	s_wait_xcnt 0x0
	v_cmpx_lt_u32_e32 41, v1
	s_cbranch_execz .LBB116_249
; %bb.248:
	scratch_load_b128 v[2:5], off, s27
	v_mov_b32_e32 v6, 0
	s_delay_alu instid0(VALU_DEP_1)
	v_dual_mov_b32 v7, v6 :: v_dual_mov_b32 v8, v6
	v_mov_b32_e32 v9, v6
	scratch_store_b128 off, v[6:9], off offset:656
	s_wait_loadcnt 0x0
	ds_store_b128 v122, v[2:5]
.LBB116_249:
	s_wait_xcnt 0x0
	s_or_b32 exec_lo, exec_lo, s2
	s_wait_storecnt_dscnt 0x0
	s_barrier_signal -1
	s_barrier_wait -1
	s_clause 0x9
	scratch_load_b128 v[4:7], off, off offset:672
	scratch_load_b128 v[8:11], off, off offset:688
	;; [unrolled: 1-line block ×10, first 2 shown]
	v_mov_b32_e32 v2, 0
	s_mov_b32 s2, exec_lo
	ds_load_b128 v[152:155], v2 offset:1520
	s_clause 0x1
	scratch_load_b128 v[156:159], off, off offset:832
	scratch_load_b128 v[160:163], off, off offset:656
	s_wait_loadcnt_dscnt 0xb00
	v_mul_f64_e32 v[168:169], v[154:155], v[6:7]
	v_mul_f64_e32 v[170:171], v[152:153], v[6:7]
	ds_load_b128 v[164:167], v2 offset:1536
	s_wait_loadcnt_dscnt 0xa00
	v_mul_f64_e32 v[172:173], v[164:165], v[10:11]
	v_mul_f64_e32 v[10:11], v[166:167], v[10:11]
	v_fma_f64 v[168:169], v[152:153], v[4:5], -v[168:169]
	v_fmac_f64_e32 v[170:171], v[154:155], v[4:5]
	ds_load_b128 v[4:7], v2 offset:1552
	ds_load_b128 v[152:155], v2 offset:1568
	s_wait_loadcnt_dscnt 0x901
	v_mul_f64_e32 v[174:175], v[4:5], v[14:15]
	v_mul_f64_e32 v[14:15], v[6:7], v[14:15]
	v_fmac_f64_e32 v[172:173], v[166:167], v[8:9]
	v_fma_f64 v[8:9], v[164:165], v[8:9], -v[10:11]
	s_wait_loadcnt_dscnt 0x800
	v_mul_f64_e32 v[166:167], v[152:153], v[126:127]
	v_mul_f64_e32 v[126:127], v[154:155], v[126:127]
	v_add_f64_e32 v[10:11], 0, v[168:169]
	v_add_f64_e32 v[164:165], 0, v[170:171]
	v_fmac_f64_e32 v[174:175], v[6:7], v[12:13]
	v_fma_f64 v[12:13], v[4:5], v[12:13], -v[14:15]
	v_fmac_f64_e32 v[166:167], v[154:155], v[124:125]
	v_fma_f64 v[124:125], v[152:153], v[124:125], -v[126:127]
	v_add_f64_e32 v[14:15], v[10:11], v[8:9]
	v_add_f64_e32 v[164:165], v[164:165], v[172:173]
	ds_load_b128 v[4:7], v2 offset:1584
	ds_load_b128 v[8:11], v2 offset:1600
	s_wait_loadcnt_dscnt 0x701
	v_mul_f64_e32 v[168:169], v[4:5], v[130:131]
	v_mul_f64_e32 v[130:131], v[6:7], v[130:131]
	s_wait_loadcnt_dscnt 0x600
	v_mul_f64_e32 v[126:127], v[8:9], v[134:135]
	v_mul_f64_e32 v[134:135], v[10:11], v[134:135]
	v_add_f64_e32 v[12:13], v[14:15], v[12:13]
	v_add_f64_e32 v[14:15], v[164:165], v[174:175]
	v_fmac_f64_e32 v[168:169], v[6:7], v[128:129]
	v_fma_f64 v[128:129], v[4:5], v[128:129], -v[130:131]
	v_fmac_f64_e32 v[126:127], v[10:11], v[132:133]
	v_fma_f64 v[8:9], v[8:9], v[132:133], -v[134:135]
	v_add_f64_e32 v[124:125], v[12:13], v[124:125]
	v_add_f64_e32 v[130:131], v[14:15], v[166:167]
	ds_load_b128 v[4:7], v2 offset:1616
	ds_load_b128 v[12:15], v2 offset:1632
	s_wait_loadcnt_dscnt 0x501
	v_mul_f64_e32 v[152:153], v[4:5], v[138:139]
	v_mul_f64_e32 v[138:139], v[6:7], v[138:139]
	v_add_f64_e32 v[10:11], v[124:125], v[128:129]
	v_add_f64_e32 v[124:125], v[130:131], v[168:169]
	s_wait_loadcnt_dscnt 0x400
	v_mul_f64_e32 v[128:129], v[12:13], v[142:143]
	v_mul_f64_e32 v[130:131], v[14:15], v[142:143]
	v_fmac_f64_e32 v[152:153], v[6:7], v[136:137]
	v_fma_f64 v[132:133], v[4:5], v[136:137], -v[138:139]
	v_add_f64_e32 v[134:135], v[10:11], v[8:9]
	v_add_f64_e32 v[124:125], v[124:125], v[126:127]
	ds_load_b128 v[4:7], v2 offset:1648
	ds_load_b128 v[8:11], v2 offset:1664
	v_fmac_f64_e32 v[128:129], v[14:15], v[140:141]
	v_fma_f64 v[12:13], v[12:13], v[140:141], -v[130:131]
	s_wait_loadcnt_dscnt 0x301
	v_mul_f64_e32 v[126:127], v[4:5], v[146:147]
	v_mul_f64_e32 v[136:137], v[6:7], v[146:147]
	s_wait_loadcnt_dscnt 0x200
	v_mul_f64_e32 v[130:131], v[8:9], v[150:151]
	v_add_f64_e32 v[14:15], v[134:135], v[132:133]
	v_add_f64_e32 v[124:125], v[124:125], v[152:153]
	v_mul_f64_e32 v[132:133], v[10:11], v[150:151]
	v_fmac_f64_e32 v[126:127], v[6:7], v[144:145]
	v_fma_f64 v[134:135], v[4:5], v[144:145], -v[136:137]
	ds_load_b128 v[4:7], v2 offset:1680
	v_fmac_f64_e32 v[130:131], v[10:11], v[148:149]
	v_add_f64_e32 v[12:13], v[14:15], v[12:13]
	v_add_f64_e32 v[14:15], v[124:125], v[128:129]
	v_fma_f64 v[8:9], v[8:9], v[148:149], -v[132:133]
	s_wait_loadcnt_dscnt 0x100
	v_mul_f64_e32 v[124:125], v[4:5], v[158:159]
	v_mul_f64_e32 v[128:129], v[6:7], v[158:159]
	v_add_f64_e32 v[10:11], v[12:13], v[134:135]
	v_add_f64_e32 v[12:13], v[14:15], v[126:127]
	s_delay_alu instid0(VALU_DEP_4) | instskip(NEXT) | instid1(VALU_DEP_4)
	v_fmac_f64_e32 v[124:125], v[6:7], v[156:157]
	v_fma_f64 v[4:5], v[4:5], v[156:157], -v[128:129]
	s_delay_alu instid0(VALU_DEP_4) | instskip(NEXT) | instid1(VALU_DEP_4)
	v_add_f64_e32 v[6:7], v[10:11], v[8:9]
	v_add_f64_e32 v[8:9], v[12:13], v[130:131]
	s_delay_alu instid0(VALU_DEP_2) | instskip(NEXT) | instid1(VALU_DEP_2)
	v_add_f64_e32 v[4:5], v[6:7], v[4:5]
	v_add_f64_e32 v[6:7], v[8:9], v[124:125]
	s_wait_loadcnt 0x0
	s_delay_alu instid0(VALU_DEP_2) | instskip(NEXT) | instid1(VALU_DEP_2)
	v_add_f64_e64 v[4:5], v[160:161], -v[4:5]
	v_add_f64_e64 v[6:7], v[162:163], -v[6:7]
	scratch_store_b128 off, v[4:7], off offset:656
	s_wait_xcnt 0x0
	v_cmpx_lt_u32_e32 40, v1
	s_cbranch_execz .LBB116_251
; %bb.250:
	scratch_load_b128 v[6:9], off, s28
	v_dual_mov_b32 v3, v2 :: v_dual_mov_b32 v4, v2
	v_mov_b32_e32 v5, v2
	scratch_store_b128 off, v[2:5], off offset:640
	s_wait_loadcnt 0x0
	ds_store_b128 v122, v[6:9]
.LBB116_251:
	s_wait_xcnt 0x0
	s_or_b32 exec_lo, exec_lo, s2
	s_wait_storecnt_dscnt 0x0
	s_barrier_signal -1
	s_barrier_wait -1
	s_clause 0x9
	scratch_load_b128 v[4:7], off, off offset:656
	scratch_load_b128 v[8:11], off, off offset:672
	;; [unrolled: 1-line block ×10, first 2 shown]
	ds_load_b128 v[152:155], v2 offset:1504
	ds_load_b128 v[160:163], v2 offset:1520
	s_clause 0x2
	scratch_load_b128 v[156:159], off, off offset:816
	scratch_load_b128 v[164:167], off, off offset:640
	scratch_load_b128 v[168:171], off, off offset:832
	s_mov_b32 s2, exec_lo
	s_wait_loadcnt_dscnt 0xc01
	v_mul_f64_e32 v[172:173], v[154:155], v[6:7]
	v_mul_f64_e32 v[174:175], v[152:153], v[6:7]
	s_wait_loadcnt_dscnt 0xb00
	v_mul_f64_e32 v[176:177], v[160:161], v[10:11]
	v_mul_f64_e32 v[10:11], v[162:163], v[10:11]
	s_delay_alu instid0(VALU_DEP_4) | instskip(NEXT) | instid1(VALU_DEP_4)
	v_fma_f64 v[172:173], v[152:153], v[4:5], -v[172:173]
	v_fmac_f64_e32 v[174:175], v[154:155], v[4:5]
	ds_load_b128 v[4:7], v2 offset:1536
	ds_load_b128 v[152:155], v2 offset:1552
	v_fmac_f64_e32 v[176:177], v[162:163], v[8:9]
	v_fma_f64 v[8:9], v[160:161], v[8:9], -v[10:11]
	s_wait_loadcnt_dscnt 0xa01
	v_mul_f64_e32 v[178:179], v[4:5], v[14:15]
	v_mul_f64_e32 v[14:15], v[6:7], v[14:15]
	s_wait_loadcnt_dscnt 0x900
	v_mul_f64_e32 v[162:163], v[152:153], v[126:127]
	v_mul_f64_e32 v[126:127], v[154:155], v[126:127]
	v_add_f64_e32 v[10:11], 0, v[172:173]
	v_add_f64_e32 v[160:161], 0, v[174:175]
	v_fmac_f64_e32 v[178:179], v[6:7], v[12:13]
	v_fma_f64 v[12:13], v[4:5], v[12:13], -v[14:15]
	v_fmac_f64_e32 v[162:163], v[154:155], v[124:125]
	v_fma_f64 v[124:125], v[152:153], v[124:125], -v[126:127]
	v_add_f64_e32 v[14:15], v[10:11], v[8:9]
	v_add_f64_e32 v[160:161], v[160:161], v[176:177]
	ds_load_b128 v[4:7], v2 offset:1568
	ds_load_b128 v[8:11], v2 offset:1584
	s_wait_loadcnt_dscnt 0x801
	v_mul_f64_e32 v[172:173], v[4:5], v[130:131]
	v_mul_f64_e32 v[130:131], v[6:7], v[130:131]
	s_wait_loadcnt_dscnt 0x700
	v_mul_f64_e32 v[126:127], v[8:9], v[134:135]
	v_mul_f64_e32 v[134:135], v[10:11], v[134:135]
	v_add_f64_e32 v[12:13], v[14:15], v[12:13]
	v_add_f64_e32 v[14:15], v[160:161], v[178:179]
	v_fmac_f64_e32 v[172:173], v[6:7], v[128:129]
	v_fma_f64 v[128:129], v[4:5], v[128:129], -v[130:131]
	v_fmac_f64_e32 v[126:127], v[10:11], v[132:133]
	v_fma_f64 v[8:9], v[8:9], v[132:133], -v[134:135]
	v_add_f64_e32 v[124:125], v[12:13], v[124:125]
	v_add_f64_e32 v[130:131], v[14:15], v[162:163]
	ds_load_b128 v[4:7], v2 offset:1600
	ds_load_b128 v[12:15], v2 offset:1616
	s_wait_loadcnt_dscnt 0x601
	v_mul_f64_e32 v[152:153], v[4:5], v[138:139]
	v_mul_f64_e32 v[138:139], v[6:7], v[138:139]
	v_add_f64_e32 v[10:11], v[124:125], v[128:129]
	v_add_f64_e32 v[124:125], v[130:131], v[172:173]
	s_wait_loadcnt_dscnt 0x500
	v_mul_f64_e32 v[128:129], v[12:13], v[142:143]
	v_mul_f64_e32 v[130:131], v[14:15], v[142:143]
	v_fmac_f64_e32 v[152:153], v[6:7], v[136:137]
	v_fma_f64 v[132:133], v[4:5], v[136:137], -v[138:139]
	v_add_f64_e32 v[134:135], v[10:11], v[8:9]
	v_add_f64_e32 v[124:125], v[124:125], v[126:127]
	ds_load_b128 v[4:7], v2 offset:1632
	ds_load_b128 v[8:11], v2 offset:1648
	v_fmac_f64_e32 v[128:129], v[14:15], v[140:141]
	v_fma_f64 v[12:13], v[12:13], v[140:141], -v[130:131]
	s_wait_loadcnt_dscnt 0x401
	v_mul_f64_e32 v[126:127], v[4:5], v[146:147]
	v_mul_f64_e32 v[136:137], v[6:7], v[146:147]
	s_wait_loadcnt_dscnt 0x300
	v_mul_f64_e32 v[130:131], v[8:9], v[150:151]
	v_add_f64_e32 v[14:15], v[134:135], v[132:133]
	v_add_f64_e32 v[124:125], v[124:125], v[152:153]
	v_mul_f64_e32 v[132:133], v[10:11], v[150:151]
	v_fmac_f64_e32 v[126:127], v[6:7], v[144:145]
	v_fma_f64 v[134:135], v[4:5], v[144:145], -v[136:137]
	v_fmac_f64_e32 v[130:131], v[10:11], v[148:149]
	v_add_f64_e32 v[136:137], v[14:15], v[12:13]
	v_add_f64_e32 v[124:125], v[124:125], v[128:129]
	ds_load_b128 v[4:7], v2 offset:1664
	ds_load_b128 v[12:15], v2 offset:1680
	v_fma_f64 v[8:9], v[8:9], v[148:149], -v[132:133]
	s_wait_loadcnt_dscnt 0x201
	v_mul_f64_e32 v[2:3], v[4:5], v[158:159]
	v_mul_f64_e32 v[128:129], v[6:7], v[158:159]
	s_wait_loadcnt_dscnt 0x0
	v_mul_f64_e32 v[132:133], v[14:15], v[170:171]
	v_add_f64_e32 v[10:11], v[136:137], v[134:135]
	v_add_f64_e32 v[124:125], v[124:125], v[126:127]
	v_mul_f64_e32 v[126:127], v[12:13], v[170:171]
	v_fmac_f64_e32 v[2:3], v[6:7], v[156:157]
	v_fma_f64 v[4:5], v[4:5], v[156:157], -v[128:129]
	v_add_f64_e32 v[6:7], v[10:11], v[8:9]
	v_add_f64_e32 v[8:9], v[124:125], v[130:131]
	v_fmac_f64_e32 v[126:127], v[14:15], v[168:169]
	v_fma_f64 v[10:11], v[12:13], v[168:169], -v[132:133]
	s_delay_alu instid0(VALU_DEP_4) | instskip(NEXT) | instid1(VALU_DEP_4)
	v_add_f64_e32 v[4:5], v[6:7], v[4:5]
	v_add_f64_e32 v[2:3], v[8:9], v[2:3]
	s_delay_alu instid0(VALU_DEP_2) | instskip(NEXT) | instid1(VALU_DEP_2)
	v_add_f64_e32 v[4:5], v[4:5], v[10:11]
	v_add_f64_e32 v[6:7], v[2:3], v[126:127]
	s_delay_alu instid0(VALU_DEP_2) | instskip(NEXT) | instid1(VALU_DEP_2)
	v_add_f64_e64 v[2:3], v[164:165], -v[4:5]
	v_add_f64_e64 v[4:5], v[166:167], -v[6:7]
	scratch_store_b128 off, v[2:5], off offset:640
	s_wait_xcnt 0x0
	v_cmpx_lt_u32_e32 39, v1
	s_cbranch_execz .LBB116_253
; %bb.252:
	scratch_load_b128 v[2:5], off, s29
	v_mov_b32_e32 v6, 0
	s_delay_alu instid0(VALU_DEP_1)
	v_dual_mov_b32 v7, v6 :: v_dual_mov_b32 v8, v6
	v_mov_b32_e32 v9, v6
	scratch_store_b128 off, v[6:9], off offset:624
	s_wait_loadcnt 0x0
	ds_store_b128 v122, v[2:5]
.LBB116_253:
	s_wait_xcnt 0x0
	s_or_b32 exec_lo, exec_lo, s2
	s_wait_storecnt_dscnt 0x0
	s_barrier_signal -1
	s_barrier_wait -1
	s_clause 0x9
	scratch_load_b128 v[4:7], off, off offset:640
	scratch_load_b128 v[8:11], off, off offset:656
	;; [unrolled: 1-line block ×10, first 2 shown]
	v_mov_b32_e32 v2, 0
	s_mov_b32 s2, exec_lo
	ds_load_b128 v[152:155], v2 offset:1488
	s_clause 0x2
	scratch_load_b128 v[156:159], off, off offset:800
	scratch_load_b128 v[160:163], off, off offset:624
	;; [unrolled: 1-line block ×3, first 2 shown]
	s_wait_loadcnt_dscnt 0xc00
	v_mul_f64_e32 v[172:173], v[154:155], v[6:7]
	v_mul_f64_e32 v[176:177], v[152:153], v[6:7]
	ds_load_b128 v[164:167], v2 offset:1504
	v_fma_f64 v[180:181], v[152:153], v[4:5], -v[172:173]
	v_fmac_f64_e32 v[176:177], v[154:155], v[4:5]
	ds_load_b128 v[4:7], v2 offset:1520
	s_wait_loadcnt_dscnt 0xb01
	v_mul_f64_e32 v[178:179], v[164:165], v[10:11]
	v_mul_f64_e32 v[10:11], v[166:167], v[10:11]
	scratch_load_b128 v[152:155], off, off offset:832
	ds_load_b128 v[172:175], v2 offset:1536
	s_wait_loadcnt_dscnt 0xb01
	v_mul_f64_e32 v[182:183], v[4:5], v[14:15]
	v_mul_f64_e32 v[14:15], v[6:7], v[14:15]
	v_fmac_f64_e32 v[178:179], v[166:167], v[8:9]
	v_fma_f64 v[8:9], v[164:165], v[8:9], -v[10:11]
	v_add_f64_e32 v[10:11], 0, v[180:181]
	v_add_f64_e32 v[164:165], 0, v[176:177]
	s_wait_loadcnt_dscnt 0xa00
	v_mul_f64_e32 v[166:167], v[172:173], v[126:127]
	v_mul_f64_e32 v[126:127], v[174:175], v[126:127]
	v_fmac_f64_e32 v[182:183], v[6:7], v[12:13]
	v_fma_f64 v[12:13], v[4:5], v[12:13], -v[14:15]
	v_add_f64_e32 v[14:15], v[10:11], v[8:9]
	v_add_f64_e32 v[164:165], v[164:165], v[178:179]
	ds_load_b128 v[4:7], v2 offset:1552
	ds_load_b128 v[8:11], v2 offset:1568
	v_fmac_f64_e32 v[166:167], v[174:175], v[124:125]
	v_fma_f64 v[124:125], v[172:173], v[124:125], -v[126:127]
	s_wait_loadcnt_dscnt 0x901
	v_mul_f64_e32 v[176:177], v[4:5], v[130:131]
	v_mul_f64_e32 v[130:131], v[6:7], v[130:131]
	s_wait_loadcnt_dscnt 0x800
	v_mul_f64_e32 v[126:127], v[8:9], v[134:135]
	v_mul_f64_e32 v[134:135], v[10:11], v[134:135]
	v_add_f64_e32 v[12:13], v[14:15], v[12:13]
	v_add_f64_e32 v[14:15], v[164:165], v[182:183]
	v_fmac_f64_e32 v[176:177], v[6:7], v[128:129]
	v_fma_f64 v[128:129], v[4:5], v[128:129], -v[130:131]
	v_fmac_f64_e32 v[126:127], v[10:11], v[132:133]
	v_fma_f64 v[8:9], v[8:9], v[132:133], -v[134:135]
	v_add_f64_e32 v[124:125], v[12:13], v[124:125]
	v_add_f64_e32 v[130:131], v[14:15], v[166:167]
	ds_load_b128 v[4:7], v2 offset:1584
	ds_load_b128 v[12:15], v2 offset:1600
	s_wait_loadcnt_dscnt 0x701
	v_mul_f64_e32 v[164:165], v[4:5], v[138:139]
	v_mul_f64_e32 v[138:139], v[6:7], v[138:139]
	v_add_f64_e32 v[10:11], v[124:125], v[128:129]
	v_add_f64_e32 v[124:125], v[130:131], v[176:177]
	s_wait_loadcnt_dscnt 0x600
	v_mul_f64_e32 v[128:129], v[12:13], v[142:143]
	v_mul_f64_e32 v[130:131], v[14:15], v[142:143]
	v_fmac_f64_e32 v[164:165], v[6:7], v[136:137]
	v_fma_f64 v[132:133], v[4:5], v[136:137], -v[138:139]
	v_add_f64_e32 v[134:135], v[10:11], v[8:9]
	v_add_f64_e32 v[124:125], v[124:125], v[126:127]
	ds_load_b128 v[4:7], v2 offset:1616
	ds_load_b128 v[8:11], v2 offset:1632
	v_fmac_f64_e32 v[128:129], v[14:15], v[140:141]
	v_fma_f64 v[12:13], v[12:13], v[140:141], -v[130:131]
	s_wait_loadcnt_dscnt 0x501
	v_mul_f64_e32 v[126:127], v[4:5], v[146:147]
	v_mul_f64_e32 v[136:137], v[6:7], v[146:147]
	s_wait_loadcnt_dscnt 0x400
	v_mul_f64_e32 v[130:131], v[8:9], v[150:151]
	v_add_f64_e32 v[14:15], v[134:135], v[132:133]
	v_add_f64_e32 v[124:125], v[124:125], v[164:165]
	v_mul_f64_e32 v[132:133], v[10:11], v[150:151]
	v_fmac_f64_e32 v[126:127], v[6:7], v[144:145]
	v_fma_f64 v[134:135], v[4:5], v[144:145], -v[136:137]
	v_fmac_f64_e32 v[130:131], v[10:11], v[148:149]
	v_add_f64_e32 v[136:137], v[14:15], v[12:13]
	v_add_f64_e32 v[124:125], v[124:125], v[128:129]
	ds_load_b128 v[4:7], v2 offset:1648
	ds_load_b128 v[12:15], v2 offset:1664
	v_fma_f64 v[8:9], v[8:9], v[148:149], -v[132:133]
	s_wait_loadcnt_dscnt 0x301
	v_mul_f64_e32 v[128:129], v[4:5], v[158:159]
	v_mul_f64_e32 v[138:139], v[6:7], v[158:159]
	s_wait_loadcnt_dscnt 0x100
	v_mul_f64_e32 v[132:133], v[14:15], v[170:171]
	v_add_f64_e32 v[10:11], v[136:137], v[134:135]
	v_add_f64_e32 v[124:125], v[124:125], v[126:127]
	v_mul_f64_e32 v[126:127], v[12:13], v[170:171]
	v_fmac_f64_e32 v[128:129], v[6:7], v[156:157]
	v_fma_f64 v[134:135], v[4:5], v[156:157], -v[138:139]
	ds_load_b128 v[4:7], v2 offset:1680
	v_fma_f64 v[12:13], v[12:13], v[168:169], -v[132:133]
	v_add_f64_e32 v[8:9], v[10:11], v[8:9]
	v_add_f64_e32 v[10:11], v[124:125], v[130:131]
	v_fmac_f64_e32 v[126:127], v[14:15], v[168:169]
	s_wait_loadcnt_dscnt 0x0
	v_mul_f64_e32 v[124:125], v[4:5], v[154:155]
	v_mul_f64_e32 v[130:131], v[6:7], v[154:155]
	v_add_f64_e32 v[8:9], v[8:9], v[134:135]
	v_add_f64_e32 v[10:11], v[10:11], v[128:129]
	s_delay_alu instid0(VALU_DEP_4) | instskip(NEXT) | instid1(VALU_DEP_4)
	v_fmac_f64_e32 v[124:125], v[6:7], v[152:153]
	v_fma_f64 v[4:5], v[4:5], v[152:153], -v[130:131]
	s_delay_alu instid0(VALU_DEP_4) | instskip(NEXT) | instid1(VALU_DEP_4)
	v_add_f64_e32 v[6:7], v[8:9], v[12:13]
	v_add_f64_e32 v[8:9], v[10:11], v[126:127]
	s_delay_alu instid0(VALU_DEP_2) | instskip(NEXT) | instid1(VALU_DEP_2)
	v_add_f64_e32 v[4:5], v[6:7], v[4:5]
	v_add_f64_e32 v[6:7], v[8:9], v[124:125]
	s_delay_alu instid0(VALU_DEP_2) | instskip(NEXT) | instid1(VALU_DEP_2)
	v_add_f64_e64 v[4:5], v[160:161], -v[4:5]
	v_add_f64_e64 v[6:7], v[162:163], -v[6:7]
	scratch_store_b128 off, v[4:7], off offset:624
	s_wait_xcnt 0x0
	v_cmpx_lt_u32_e32 38, v1
	s_cbranch_execz .LBB116_255
; %bb.254:
	scratch_load_b128 v[6:9], off, s30
	v_dual_mov_b32 v3, v2 :: v_dual_mov_b32 v4, v2
	v_mov_b32_e32 v5, v2
	scratch_store_b128 off, v[2:5], off offset:608
	s_wait_loadcnt 0x0
	ds_store_b128 v122, v[6:9]
.LBB116_255:
	s_wait_xcnt 0x0
	s_or_b32 exec_lo, exec_lo, s2
	s_wait_storecnt_dscnt 0x0
	s_barrier_signal -1
	s_barrier_wait -1
	s_clause 0x9
	scratch_load_b128 v[4:7], off, off offset:624
	scratch_load_b128 v[8:11], off, off offset:640
	;; [unrolled: 1-line block ×10, first 2 shown]
	ds_load_b128 v[152:155], v2 offset:1472
	ds_load_b128 v[160:163], v2 offset:1488
	s_clause 0x2
	scratch_load_b128 v[156:159], off, off offset:784
	scratch_load_b128 v[164:167], off, off offset:608
	;; [unrolled: 1-line block ×3, first 2 shown]
	s_mov_b32 s2, exec_lo
	s_wait_loadcnt_dscnt 0xc01
	v_mul_f64_e32 v[172:173], v[154:155], v[6:7]
	v_mul_f64_e32 v[176:177], v[152:153], v[6:7]
	s_wait_loadcnt_dscnt 0xb00
	v_mul_f64_e32 v[178:179], v[160:161], v[10:11]
	v_mul_f64_e32 v[10:11], v[162:163], v[10:11]
	s_delay_alu instid0(VALU_DEP_4) | instskip(NEXT) | instid1(VALU_DEP_4)
	v_fma_f64 v[180:181], v[152:153], v[4:5], -v[172:173]
	v_fmac_f64_e32 v[176:177], v[154:155], v[4:5]
	ds_load_b128 v[4:7], v2 offset:1504
	ds_load_b128 v[152:155], v2 offset:1520
	scratch_load_b128 v[172:175], off, off offset:816
	v_fmac_f64_e32 v[178:179], v[162:163], v[8:9]
	v_fma_f64 v[160:161], v[160:161], v[8:9], -v[10:11]
	scratch_load_b128 v[8:11], off, off offset:832
	s_wait_loadcnt_dscnt 0xc01
	v_mul_f64_e32 v[182:183], v[4:5], v[14:15]
	v_mul_f64_e32 v[14:15], v[6:7], v[14:15]
	v_add_f64_e32 v[162:163], 0, v[180:181]
	v_add_f64_e32 v[176:177], 0, v[176:177]
	s_wait_loadcnt_dscnt 0xb00
	v_mul_f64_e32 v[180:181], v[152:153], v[126:127]
	v_mul_f64_e32 v[126:127], v[154:155], v[126:127]
	v_fmac_f64_e32 v[182:183], v[6:7], v[12:13]
	v_fma_f64 v[184:185], v[4:5], v[12:13], -v[14:15]
	ds_load_b128 v[4:7], v2 offset:1536
	ds_load_b128 v[12:15], v2 offset:1552
	v_add_f64_e32 v[160:161], v[162:163], v[160:161]
	v_add_f64_e32 v[162:163], v[176:177], v[178:179]
	v_fmac_f64_e32 v[180:181], v[154:155], v[124:125]
	v_fma_f64 v[124:125], v[152:153], v[124:125], -v[126:127]
	s_wait_loadcnt_dscnt 0xa01
	v_mul_f64_e32 v[176:177], v[4:5], v[130:131]
	v_mul_f64_e32 v[130:131], v[6:7], v[130:131]
	s_wait_loadcnt_dscnt 0x900
	v_mul_f64_e32 v[154:155], v[12:13], v[134:135]
	v_mul_f64_e32 v[134:135], v[14:15], v[134:135]
	v_add_f64_e32 v[126:127], v[160:161], v[184:185]
	v_add_f64_e32 v[152:153], v[162:163], v[182:183]
	v_fmac_f64_e32 v[176:177], v[6:7], v[128:129]
	v_fma_f64 v[128:129], v[4:5], v[128:129], -v[130:131]
	v_fmac_f64_e32 v[154:155], v[14:15], v[132:133]
	v_fma_f64 v[12:13], v[12:13], v[132:133], -v[134:135]
	v_add_f64_e32 v[130:131], v[126:127], v[124:125]
	v_add_f64_e32 v[152:153], v[152:153], v[180:181]
	ds_load_b128 v[4:7], v2 offset:1568
	ds_load_b128 v[124:127], v2 offset:1584
	s_wait_loadcnt_dscnt 0x801
	v_mul_f64_e32 v[160:161], v[4:5], v[138:139]
	v_mul_f64_e32 v[138:139], v[6:7], v[138:139]
	s_wait_loadcnt_dscnt 0x700
	v_mul_f64_e32 v[132:133], v[126:127], v[142:143]
	v_add_f64_e32 v[14:15], v[130:131], v[128:129]
	v_add_f64_e32 v[128:129], v[152:153], v[176:177]
	v_mul_f64_e32 v[130:131], v[124:125], v[142:143]
	v_fmac_f64_e32 v[160:161], v[6:7], v[136:137]
	v_fma_f64 v[134:135], v[4:5], v[136:137], -v[138:139]
	v_fma_f64 v[124:125], v[124:125], v[140:141], -v[132:133]
	v_add_f64_e32 v[136:137], v[14:15], v[12:13]
	v_add_f64_e32 v[128:129], v[128:129], v[154:155]
	ds_load_b128 v[4:7], v2 offset:1600
	ds_load_b128 v[12:15], v2 offset:1616
	v_fmac_f64_e32 v[130:131], v[126:127], v[140:141]
	s_wait_loadcnt_dscnt 0x601
	v_mul_f64_e32 v[138:139], v[4:5], v[146:147]
	v_mul_f64_e32 v[142:143], v[6:7], v[146:147]
	s_wait_loadcnt_dscnt 0x500
	v_mul_f64_e32 v[132:133], v[12:13], v[150:151]
	v_add_f64_e32 v[126:127], v[136:137], v[134:135]
	v_add_f64_e32 v[128:129], v[128:129], v[160:161]
	v_mul_f64_e32 v[134:135], v[14:15], v[150:151]
	v_fmac_f64_e32 v[138:139], v[6:7], v[144:145]
	v_fma_f64 v[136:137], v[4:5], v[144:145], -v[142:143]
	v_fmac_f64_e32 v[132:133], v[14:15], v[148:149]
	v_add_f64_e32 v[140:141], v[126:127], v[124:125]
	v_add_f64_e32 v[128:129], v[128:129], v[130:131]
	ds_load_b128 v[4:7], v2 offset:1632
	ds_load_b128 v[124:127], v2 offset:1648
	v_fma_f64 v[12:13], v[12:13], v[148:149], -v[134:135]
	s_wait_loadcnt_dscnt 0x401
	v_mul_f64_e32 v[130:131], v[4:5], v[158:159]
	v_mul_f64_e32 v[142:143], v[6:7], v[158:159]
	s_wait_loadcnt_dscnt 0x200
	v_mul_f64_e32 v[134:135], v[124:125], v[170:171]
	v_add_f64_e32 v[14:15], v[140:141], v[136:137]
	v_add_f64_e32 v[128:129], v[128:129], v[138:139]
	v_mul_f64_e32 v[136:137], v[126:127], v[170:171]
	v_fmac_f64_e32 v[130:131], v[6:7], v[156:157]
	v_fma_f64 v[138:139], v[4:5], v[156:157], -v[142:143]
	v_fmac_f64_e32 v[134:135], v[126:127], v[168:169]
	v_add_f64_e32 v[140:141], v[14:15], v[12:13]
	v_add_f64_e32 v[128:129], v[128:129], v[132:133]
	ds_load_b128 v[4:7], v2 offset:1664
	ds_load_b128 v[12:15], v2 offset:1680
	v_fma_f64 v[124:125], v[124:125], v[168:169], -v[136:137]
	s_wait_loadcnt_dscnt 0x101
	v_mul_f64_e32 v[2:3], v[4:5], v[174:175]
	v_mul_f64_e32 v[132:133], v[6:7], v[174:175]
	v_add_f64_e32 v[126:127], v[140:141], v[138:139]
	v_add_f64_e32 v[128:129], v[128:129], v[130:131]
	s_wait_loadcnt_dscnt 0x0
	v_mul_f64_e32 v[130:131], v[12:13], v[10:11]
	v_mul_f64_e32 v[10:11], v[14:15], v[10:11]
	v_fmac_f64_e32 v[2:3], v[6:7], v[172:173]
	v_fma_f64 v[4:5], v[4:5], v[172:173], -v[132:133]
	v_add_f64_e32 v[6:7], v[126:127], v[124:125]
	v_add_f64_e32 v[124:125], v[128:129], v[134:135]
	v_fmac_f64_e32 v[130:131], v[14:15], v[8:9]
	v_fma_f64 v[8:9], v[12:13], v[8:9], -v[10:11]
	s_delay_alu instid0(VALU_DEP_4) | instskip(NEXT) | instid1(VALU_DEP_4)
	v_add_f64_e32 v[4:5], v[6:7], v[4:5]
	v_add_f64_e32 v[2:3], v[124:125], v[2:3]
	s_delay_alu instid0(VALU_DEP_2) | instskip(NEXT) | instid1(VALU_DEP_2)
	v_add_f64_e32 v[4:5], v[4:5], v[8:9]
	v_add_f64_e32 v[6:7], v[2:3], v[130:131]
	s_delay_alu instid0(VALU_DEP_2) | instskip(NEXT) | instid1(VALU_DEP_2)
	v_add_f64_e64 v[2:3], v[164:165], -v[4:5]
	v_add_f64_e64 v[4:5], v[166:167], -v[6:7]
	scratch_store_b128 off, v[2:5], off offset:608
	s_wait_xcnt 0x0
	v_cmpx_lt_u32_e32 37, v1
	s_cbranch_execz .LBB116_257
; %bb.256:
	scratch_load_b128 v[2:5], off, s31
	v_mov_b32_e32 v6, 0
	s_delay_alu instid0(VALU_DEP_1)
	v_dual_mov_b32 v7, v6 :: v_dual_mov_b32 v8, v6
	v_mov_b32_e32 v9, v6
	scratch_store_b128 off, v[6:9], off offset:592
	s_wait_loadcnt 0x0
	ds_store_b128 v122, v[2:5]
.LBB116_257:
	s_wait_xcnt 0x0
	s_or_b32 exec_lo, exec_lo, s2
	s_wait_storecnt_dscnt 0x0
	s_barrier_signal -1
	s_barrier_wait -1
	s_clause 0x9
	scratch_load_b128 v[4:7], off, off offset:608
	scratch_load_b128 v[8:11], off, off offset:624
	;; [unrolled: 1-line block ×10, first 2 shown]
	v_mov_b32_e32 v2, 0
	s_mov_b32 s2, exec_lo
	ds_load_b128 v[152:155], v2 offset:1456
	s_clause 0x2
	scratch_load_b128 v[156:159], off, off offset:768
	scratch_load_b128 v[160:163], off, off offset:592
	;; [unrolled: 1-line block ×3, first 2 shown]
	s_wait_loadcnt_dscnt 0xc00
	v_mul_f64_e32 v[172:173], v[154:155], v[6:7]
	v_mul_f64_e32 v[176:177], v[152:153], v[6:7]
	ds_load_b128 v[164:167], v2 offset:1472
	v_fma_f64 v[180:181], v[152:153], v[4:5], -v[172:173]
	v_fmac_f64_e32 v[176:177], v[154:155], v[4:5]
	ds_load_b128 v[4:7], v2 offset:1488
	s_wait_loadcnt_dscnt 0xb01
	v_mul_f64_e32 v[178:179], v[164:165], v[10:11]
	v_mul_f64_e32 v[10:11], v[166:167], v[10:11]
	scratch_load_b128 v[152:155], off, off offset:800
	ds_load_b128 v[172:175], v2 offset:1504
	s_wait_loadcnt_dscnt 0xb01
	v_mul_f64_e32 v[182:183], v[4:5], v[14:15]
	v_mul_f64_e32 v[14:15], v[6:7], v[14:15]
	v_add_f64_e32 v[176:177], 0, v[176:177]
	v_fmac_f64_e32 v[178:179], v[166:167], v[8:9]
	v_fma_f64 v[164:165], v[164:165], v[8:9], -v[10:11]
	v_add_f64_e32 v[166:167], 0, v[180:181]
	scratch_load_b128 v[8:11], off, off offset:816
	v_fmac_f64_e32 v[182:183], v[6:7], v[12:13]
	v_fma_f64 v[184:185], v[4:5], v[12:13], -v[14:15]
	ds_load_b128 v[4:7], v2 offset:1520
	s_wait_loadcnt_dscnt 0xb01
	v_mul_f64_e32 v[180:181], v[172:173], v[126:127]
	v_mul_f64_e32 v[126:127], v[174:175], v[126:127]
	scratch_load_b128 v[12:15], off, off offset:832
	v_add_f64_e32 v[176:177], v[176:177], v[178:179]
	v_add_f64_e32 v[186:187], v[166:167], v[164:165]
	ds_load_b128 v[164:167], v2 offset:1536
	s_wait_loadcnt_dscnt 0xb01
	v_mul_f64_e32 v[178:179], v[4:5], v[130:131]
	v_mul_f64_e32 v[130:131], v[6:7], v[130:131]
	v_fmac_f64_e32 v[180:181], v[174:175], v[124:125]
	v_fma_f64 v[124:125], v[172:173], v[124:125], -v[126:127]
	s_wait_loadcnt_dscnt 0xa00
	v_mul_f64_e32 v[174:175], v[164:165], v[134:135]
	v_mul_f64_e32 v[134:135], v[166:167], v[134:135]
	v_add_f64_e32 v[172:173], v[176:177], v[182:183]
	v_add_f64_e32 v[126:127], v[186:187], v[184:185]
	v_fmac_f64_e32 v[178:179], v[6:7], v[128:129]
	v_fma_f64 v[128:129], v[4:5], v[128:129], -v[130:131]
	v_fmac_f64_e32 v[174:175], v[166:167], v[132:133]
	v_fma_f64 v[132:133], v[164:165], v[132:133], -v[134:135]
	v_add_f64_e32 v[172:173], v[172:173], v[180:181]
	v_add_f64_e32 v[130:131], v[126:127], v[124:125]
	ds_load_b128 v[4:7], v2 offset:1552
	ds_load_b128 v[124:127], v2 offset:1568
	s_wait_loadcnt_dscnt 0x901
	v_mul_f64_e32 v[176:177], v[4:5], v[138:139]
	v_mul_f64_e32 v[138:139], v[6:7], v[138:139]
	s_wait_loadcnt_dscnt 0x800
	v_mul_f64_e32 v[134:135], v[124:125], v[142:143]
	v_mul_f64_e32 v[142:143], v[126:127], v[142:143]
	v_add_f64_e32 v[128:129], v[130:131], v[128:129]
	v_add_f64_e32 v[130:131], v[172:173], v[178:179]
	v_fmac_f64_e32 v[176:177], v[6:7], v[136:137]
	v_fma_f64 v[136:137], v[4:5], v[136:137], -v[138:139]
	v_fmac_f64_e32 v[134:135], v[126:127], v[140:141]
	v_fma_f64 v[124:125], v[124:125], v[140:141], -v[142:143]
	v_add_f64_e32 v[132:133], v[128:129], v[132:133]
	v_add_f64_e32 v[138:139], v[130:131], v[174:175]
	ds_load_b128 v[4:7], v2 offset:1584
	ds_load_b128 v[128:131], v2 offset:1600
	s_wait_loadcnt_dscnt 0x701
	v_mul_f64_e32 v[164:165], v[4:5], v[146:147]
	v_mul_f64_e32 v[146:147], v[6:7], v[146:147]
	v_add_f64_e32 v[126:127], v[132:133], v[136:137]
	v_add_f64_e32 v[132:133], v[138:139], v[176:177]
	s_wait_loadcnt_dscnt 0x600
	v_mul_f64_e32 v[136:137], v[128:129], v[150:151]
	v_mul_f64_e32 v[138:139], v[130:131], v[150:151]
	v_fmac_f64_e32 v[164:165], v[6:7], v[144:145]
	v_fma_f64 v[140:141], v[4:5], v[144:145], -v[146:147]
	v_add_f64_e32 v[142:143], v[126:127], v[124:125]
	v_add_f64_e32 v[132:133], v[132:133], v[134:135]
	ds_load_b128 v[4:7], v2 offset:1616
	ds_load_b128 v[124:127], v2 offset:1632
	v_fmac_f64_e32 v[136:137], v[130:131], v[148:149]
	v_fma_f64 v[128:129], v[128:129], v[148:149], -v[138:139]
	s_wait_loadcnt_dscnt 0x501
	v_mul_f64_e32 v[134:135], v[4:5], v[158:159]
	v_mul_f64_e32 v[144:145], v[6:7], v[158:159]
	s_wait_loadcnt_dscnt 0x300
	v_mul_f64_e32 v[138:139], v[124:125], v[170:171]
	v_add_f64_e32 v[130:131], v[142:143], v[140:141]
	v_add_f64_e32 v[132:133], v[132:133], v[164:165]
	v_mul_f64_e32 v[140:141], v[126:127], v[170:171]
	v_fmac_f64_e32 v[134:135], v[6:7], v[156:157]
	v_fma_f64 v[142:143], v[4:5], v[156:157], -v[144:145]
	v_fmac_f64_e32 v[138:139], v[126:127], v[168:169]
	v_add_f64_e32 v[144:145], v[130:131], v[128:129]
	v_add_f64_e32 v[132:133], v[132:133], v[136:137]
	ds_load_b128 v[4:7], v2 offset:1648
	ds_load_b128 v[128:131], v2 offset:1664
	v_fma_f64 v[124:125], v[124:125], v[168:169], -v[140:141]
	s_wait_loadcnt_dscnt 0x201
	v_mul_f64_e32 v[136:137], v[4:5], v[154:155]
	v_mul_f64_e32 v[146:147], v[6:7], v[154:155]
	v_add_f64_e32 v[126:127], v[144:145], v[142:143]
	v_add_f64_e32 v[132:133], v[132:133], v[134:135]
	s_wait_loadcnt_dscnt 0x100
	v_mul_f64_e32 v[134:135], v[128:129], v[10:11]
	v_mul_f64_e32 v[10:11], v[130:131], v[10:11]
	v_fmac_f64_e32 v[136:137], v[6:7], v[152:153]
	v_fma_f64 v[140:141], v[4:5], v[152:153], -v[146:147]
	ds_load_b128 v[4:7], v2 offset:1680
	v_add_f64_e32 v[124:125], v[126:127], v[124:125]
	v_add_f64_e32 v[126:127], v[132:133], v[138:139]
	v_fmac_f64_e32 v[134:135], v[130:131], v[8:9]
	v_fma_f64 v[8:9], v[128:129], v[8:9], -v[10:11]
	s_wait_loadcnt_dscnt 0x0
	v_mul_f64_e32 v[132:133], v[4:5], v[14:15]
	v_mul_f64_e32 v[14:15], v[6:7], v[14:15]
	v_add_f64_e32 v[10:11], v[124:125], v[140:141]
	v_add_f64_e32 v[124:125], v[126:127], v[136:137]
	s_delay_alu instid0(VALU_DEP_4) | instskip(NEXT) | instid1(VALU_DEP_4)
	v_fmac_f64_e32 v[132:133], v[6:7], v[12:13]
	v_fma_f64 v[4:5], v[4:5], v[12:13], -v[14:15]
	s_delay_alu instid0(VALU_DEP_4) | instskip(NEXT) | instid1(VALU_DEP_4)
	v_add_f64_e32 v[6:7], v[10:11], v[8:9]
	v_add_f64_e32 v[8:9], v[124:125], v[134:135]
	s_delay_alu instid0(VALU_DEP_2) | instskip(NEXT) | instid1(VALU_DEP_2)
	v_add_f64_e32 v[4:5], v[6:7], v[4:5]
	v_add_f64_e32 v[6:7], v[8:9], v[132:133]
	s_delay_alu instid0(VALU_DEP_2) | instskip(NEXT) | instid1(VALU_DEP_2)
	v_add_f64_e64 v[4:5], v[160:161], -v[4:5]
	v_add_f64_e64 v[6:7], v[162:163], -v[6:7]
	scratch_store_b128 off, v[4:7], off offset:592
	s_wait_xcnt 0x0
	v_cmpx_lt_u32_e32 36, v1
	s_cbranch_execz .LBB116_259
; %bb.258:
	scratch_load_b128 v[6:9], off, s33
	v_dual_mov_b32 v3, v2 :: v_dual_mov_b32 v4, v2
	v_mov_b32_e32 v5, v2
	scratch_store_b128 off, v[2:5], off offset:576
	s_wait_loadcnt 0x0
	ds_store_b128 v122, v[6:9]
.LBB116_259:
	s_wait_xcnt 0x0
	s_or_b32 exec_lo, exec_lo, s2
	s_wait_storecnt_dscnt 0x0
	s_barrier_signal -1
	s_barrier_wait -1
	s_clause 0x9
	scratch_load_b128 v[4:7], off, off offset:592
	scratch_load_b128 v[8:11], off, off offset:608
	;; [unrolled: 1-line block ×10, first 2 shown]
	ds_load_b128 v[152:155], v2 offset:1440
	ds_load_b128 v[160:163], v2 offset:1456
	s_clause 0x2
	scratch_load_b128 v[156:159], off, off offset:752
	scratch_load_b128 v[164:167], off, off offset:576
	;; [unrolled: 1-line block ×3, first 2 shown]
	s_mov_b32 s2, exec_lo
	s_wait_loadcnt_dscnt 0xc01
	v_mul_f64_e32 v[172:173], v[154:155], v[6:7]
	v_mul_f64_e32 v[176:177], v[152:153], v[6:7]
	s_wait_loadcnt_dscnt 0xb00
	v_mul_f64_e32 v[178:179], v[160:161], v[10:11]
	v_mul_f64_e32 v[10:11], v[162:163], v[10:11]
	s_delay_alu instid0(VALU_DEP_4) | instskip(NEXT) | instid1(VALU_DEP_4)
	v_fma_f64 v[180:181], v[152:153], v[4:5], -v[172:173]
	v_fmac_f64_e32 v[176:177], v[154:155], v[4:5]
	ds_load_b128 v[4:7], v2 offset:1472
	ds_load_b128 v[152:155], v2 offset:1488
	scratch_load_b128 v[172:175], off, off offset:784
	v_fmac_f64_e32 v[178:179], v[162:163], v[8:9]
	v_fma_f64 v[160:161], v[160:161], v[8:9], -v[10:11]
	scratch_load_b128 v[8:11], off, off offset:800
	s_wait_loadcnt_dscnt 0xc01
	v_mul_f64_e32 v[182:183], v[4:5], v[14:15]
	v_mul_f64_e32 v[14:15], v[6:7], v[14:15]
	v_add_f64_e32 v[162:163], 0, v[180:181]
	v_add_f64_e32 v[176:177], 0, v[176:177]
	s_wait_loadcnt_dscnt 0xb00
	v_mul_f64_e32 v[180:181], v[152:153], v[126:127]
	v_mul_f64_e32 v[126:127], v[154:155], v[126:127]
	v_fmac_f64_e32 v[182:183], v[6:7], v[12:13]
	v_fma_f64 v[184:185], v[4:5], v[12:13], -v[14:15]
	ds_load_b128 v[4:7], v2 offset:1504
	ds_load_b128 v[12:15], v2 offset:1520
	v_add_f64_e32 v[186:187], v[162:163], v[160:161]
	v_add_f64_e32 v[176:177], v[176:177], v[178:179]
	scratch_load_b128 v[160:163], off, off offset:816
	v_fmac_f64_e32 v[180:181], v[154:155], v[124:125]
	v_fma_f64 v[152:153], v[152:153], v[124:125], -v[126:127]
	scratch_load_b128 v[124:127], off, off offset:832
	s_wait_loadcnt_dscnt 0xc01
	v_mul_f64_e32 v[178:179], v[4:5], v[130:131]
	v_mul_f64_e32 v[130:131], v[6:7], v[130:131]
	v_add_f64_e32 v[154:155], v[186:187], v[184:185]
	v_add_f64_e32 v[176:177], v[176:177], v[182:183]
	s_wait_loadcnt_dscnt 0xb00
	v_mul_f64_e32 v[182:183], v[12:13], v[134:135]
	v_mul_f64_e32 v[134:135], v[14:15], v[134:135]
	v_fmac_f64_e32 v[178:179], v[6:7], v[128:129]
	v_fma_f64 v[184:185], v[4:5], v[128:129], -v[130:131]
	ds_load_b128 v[4:7], v2 offset:1536
	ds_load_b128 v[128:131], v2 offset:1552
	v_add_f64_e32 v[152:153], v[154:155], v[152:153]
	v_add_f64_e32 v[154:155], v[176:177], v[180:181]
	s_wait_loadcnt_dscnt 0xa01
	v_mul_f64_e32 v[176:177], v[4:5], v[138:139]
	v_mul_f64_e32 v[138:139], v[6:7], v[138:139]
	v_fmac_f64_e32 v[182:183], v[14:15], v[132:133]
	v_fma_f64 v[12:13], v[12:13], v[132:133], -v[134:135]
	s_wait_loadcnt_dscnt 0x900
	v_mul_f64_e32 v[134:135], v[128:129], v[142:143]
	v_mul_f64_e32 v[142:143], v[130:131], v[142:143]
	v_add_f64_e32 v[14:15], v[152:153], v[184:185]
	v_add_f64_e32 v[132:133], v[154:155], v[178:179]
	v_fmac_f64_e32 v[176:177], v[6:7], v[136:137]
	v_fma_f64 v[136:137], v[4:5], v[136:137], -v[138:139]
	v_fmac_f64_e32 v[134:135], v[130:131], v[140:141]
	v_fma_f64 v[128:129], v[128:129], v[140:141], -v[142:143]
	v_add_f64_e32 v[138:139], v[14:15], v[12:13]
	v_add_f64_e32 v[132:133], v[132:133], v[182:183]
	ds_load_b128 v[4:7], v2 offset:1568
	ds_load_b128 v[12:15], v2 offset:1584
	s_wait_loadcnt_dscnt 0x801
	v_mul_f64_e32 v[152:153], v[4:5], v[146:147]
	v_mul_f64_e32 v[146:147], v[6:7], v[146:147]
	v_add_f64_e32 v[130:131], v[138:139], v[136:137]
	v_add_f64_e32 v[132:133], v[132:133], v[176:177]
	s_wait_loadcnt_dscnt 0x700
	v_mul_f64_e32 v[136:137], v[12:13], v[150:151]
	v_mul_f64_e32 v[138:139], v[14:15], v[150:151]
	v_fmac_f64_e32 v[152:153], v[6:7], v[144:145]
	v_fma_f64 v[140:141], v[4:5], v[144:145], -v[146:147]
	v_add_f64_e32 v[142:143], v[130:131], v[128:129]
	v_add_f64_e32 v[132:133], v[132:133], v[134:135]
	ds_load_b128 v[4:7], v2 offset:1600
	ds_load_b128 v[128:131], v2 offset:1616
	v_fmac_f64_e32 v[136:137], v[14:15], v[148:149]
	v_fma_f64 v[12:13], v[12:13], v[148:149], -v[138:139]
	s_wait_loadcnt_dscnt 0x601
	v_mul_f64_e32 v[134:135], v[4:5], v[158:159]
	v_mul_f64_e32 v[144:145], v[6:7], v[158:159]
	s_wait_loadcnt_dscnt 0x400
	v_mul_f64_e32 v[138:139], v[128:129], v[170:171]
	v_add_f64_e32 v[14:15], v[142:143], v[140:141]
	v_add_f64_e32 v[132:133], v[132:133], v[152:153]
	v_mul_f64_e32 v[140:141], v[130:131], v[170:171]
	v_fmac_f64_e32 v[134:135], v[6:7], v[156:157]
	v_fma_f64 v[142:143], v[4:5], v[156:157], -v[144:145]
	v_fmac_f64_e32 v[138:139], v[130:131], v[168:169]
	v_add_f64_e32 v[144:145], v[14:15], v[12:13]
	v_add_f64_e32 v[132:133], v[132:133], v[136:137]
	ds_load_b128 v[4:7], v2 offset:1632
	ds_load_b128 v[12:15], v2 offset:1648
	v_fma_f64 v[128:129], v[128:129], v[168:169], -v[140:141]
	s_wait_loadcnt_dscnt 0x301
	v_mul_f64_e32 v[136:137], v[4:5], v[174:175]
	v_mul_f64_e32 v[146:147], v[6:7], v[174:175]
	v_add_f64_e32 v[130:131], v[144:145], v[142:143]
	v_add_f64_e32 v[132:133], v[132:133], v[134:135]
	s_wait_loadcnt_dscnt 0x200
	v_mul_f64_e32 v[134:135], v[12:13], v[10:11]
	v_mul_f64_e32 v[10:11], v[14:15], v[10:11]
	v_fmac_f64_e32 v[136:137], v[6:7], v[172:173]
	v_fma_f64 v[140:141], v[4:5], v[172:173], -v[146:147]
	v_add_f64_e32 v[142:143], v[130:131], v[128:129]
	v_add_f64_e32 v[132:133], v[132:133], v[138:139]
	ds_load_b128 v[4:7], v2 offset:1664
	ds_load_b128 v[128:131], v2 offset:1680
	v_fmac_f64_e32 v[134:135], v[14:15], v[8:9]
	v_fma_f64 v[8:9], v[12:13], v[8:9], -v[10:11]
	s_wait_loadcnt_dscnt 0x101
	v_mul_f64_e32 v[2:3], v[4:5], v[162:163]
	v_mul_f64_e32 v[138:139], v[6:7], v[162:163]
	s_wait_loadcnt_dscnt 0x0
	v_mul_f64_e32 v[14:15], v[128:129], v[126:127]
	v_mul_f64_e32 v[126:127], v[130:131], v[126:127]
	v_add_f64_e32 v[10:11], v[142:143], v[140:141]
	v_add_f64_e32 v[12:13], v[132:133], v[136:137]
	v_fmac_f64_e32 v[2:3], v[6:7], v[160:161]
	v_fma_f64 v[4:5], v[4:5], v[160:161], -v[138:139]
	v_fmac_f64_e32 v[14:15], v[130:131], v[124:125]
	v_add_f64_e32 v[6:7], v[10:11], v[8:9]
	v_add_f64_e32 v[8:9], v[12:13], v[134:135]
	v_fma_f64 v[10:11], v[128:129], v[124:125], -v[126:127]
	s_delay_alu instid0(VALU_DEP_3) | instskip(NEXT) | instid1(VALU_DEP_3)
	v_add_f64_e32 v[4:5], v[6:7], v[4:5]
	v_add_f64_e32 v[2:3], v[8:9], v[2:3]
	s_delay_alu instid0(VALU_DEP_2) | instskip(NEXT) | instid1(VALU_DEP_2)
	v_add_f64_e32 v[4:5], v[4:5], v[10:11]
	v_add_f64_e32 v[6:7], v[2:3], v[14:15]
	s_delay_alu instid0(VALU_DEP_2) | instskip(NEXT) | instid1(VALU_DEP_2)
	v_add_f64_e64 v[2:3], v[164:165], -v[4:5]
	v_add_f64_e64 v[4:5], v[166:167], -v[6:7]
	scratch_store_b128 off, v[2:5], off offset:576
	s_wait_xcnt 0x0
	v_cmpx_lt_u32_e32 35, v1
	s_cbranch_execz .LBB116_261
; %bb.260:
	scratch_load_b128 v[2:5], off, s34
	v_mov_b32_e32 v6, 0
	s_delay_alu instid0(VALU_DEP_1)
	v_dual_mov_b32 v7, v6 :: v_dual_mov_b32 v8, v6
	v_mov_b32_e32 v9, v6
	scratch_store_b128 off, v[6:9], off offset:560
	s_wait_loadcnt 0x0
	ds_store_b128 v122, v[2:5]
.LBB116_261:
	s_wait_xcnt 0x0
	s_or_b32 exec_lo, exec_lo, s2
	s_wait_storecnt_dscnt 0x0
	s_barrier_signal -1
	s_barrier_wait -1
	s_clause 0x9
	scratch_load_b128 v[4:7], off, off offset:576
	scratch_load_b128 v[8:11], off, off offset:592
	;; [unrolled: 1-line block ×10, first 2 shown]
	v_mov_b32_e32 v2, 0
	s_mov_b32 s2, exec_lo
	ds_load_b128 v[152:155], v2 offset:1424
	s_clause 0x2
	scratch_load_b128 v[156:159], off, off offset:736
	scratch_load_b128 v[160:163], off, off offset:560
	;; [unrolled: 1-line block ×3, first 2 shown]
	s_wait_loadcnt_dscnt 0xc00
	v_mul_f64_e32 v[172:173], v[154:155], v[6:7]
	v_mul_f64_e32 v[176:177], v[152:153], v[6:7]
	ds_load_b128 v[164:167], v2 offset:1440
	v_fma_f64 v[180:181], v[152:153], v[4:5], -v[172:173]
	v_fmac_f64_e32 v[176:177], v[154:155], v[4:5]
	ds_load_b128 v[4:7], v2 offset:1456
	s_wait_loadcnt_dscnt 0xb01
	v_mul_f64_e32 v[178:179], v[164:165], v[10:11]
	v_mul_f64_e32 v[10:11], v[166:167], v[10:11]
	scratch_load_b128 v[152:155], off, off offset:768
	ds_load_b128 v[172:175], v2 offset:1472
	s_wait_loadcnt_dscnt 0xb01
	v_mul_f64_e32 v[182:183], v[4:5], v[14:15]
	v_mul_f64_e32 v[14:15], v[6:7], v[14:15]
	v_add_f64_e32 v[176:177], 0, v[176:177]
	v_fmac_f64_e32 v[178:179], v[166:167], v[8:9]
	v_fma_f64 v[164:165], v[164:165], v[8:9], -v[10:11]
	v_add_f64_e32 v[166:167], 0, v[180:181]
	scratch_load_b128 v[8:11], off, off offset:784
	v_fmac_f64_e32 v[182:183], v[6:7], v[12:13]
	v_fma_f64 v[184:185], v[4:5], v[12:13], -v[14:15]
	ds_load_b128 v[4:7], v2 offset:1488
	s_wait_loadcnt_dscnt 0xb01
	v_mul_f64_e32 v[180:181], v[172:173], v[126:127]
	v_mul_f64_e32 v[126:127], v[174:175], v[126:127]
	scratch_load_b128 v[12:15], off, off offset:800
	v_add_f64_e32 v[176:177], v[176:177], v[178:179]
	v_add_f64_e32 v[186:187], v[166:167], v[164:165]
	ds_load_b128 v[164:167], v2 offset:1504
	s_wait_loadcnt_dscnt 0xb01
	v_mul_f64_e32 v[178:179], v[4:5], v[130:131]
	v_mul_f64_e32 v[130:131], v[6:7], v[130:131]
	v_fmac_f64_e32 v[180:181], v[174:175], v[124:125]
	v_fma_f64 v[172:173], v[172:173], v[124:125], -v[126:127]
	scratch_load_b128 v[124:127], off, off offset:816
	v_add_f64_e32 v[176:177], v[176:177], v[182:183]
	v_add_f64_e32 v[174:175], v[186:187], v[184:185]
	v_fmac_f64_e32 v[178:179], v[6:7], v[128:129]
	v_fma_f64 v[184:185], v[4:5], v[128:129], -v[130:131]
	ds_load_b128 v[4:7], v2 offset:1520
	s_wait_loadcnt_dscnt 0xb01
	v_mul_f64_e32 v[182:183], v[164:165], v[134:135]
	v_mul_f64_e32 v[134:135], v[166:167], v[134:135]
	scratch_load_b128 v[128:131], off, off offset:832
	v_add_f64_e32 v[176:177], v[176:177], v[180:181]
	s_wait_loadcnt_dscnt 0xb00
	v_mul_f64_e32 v[180:181], v[4:5], v[138:139]
	v_add_f64_e32 v[186:187], v[174:175], v[172:173]
	v_mul_f64_e32 v[138:139], v[6:7], v[138:139]
	ds_load_b128 v[172:175], v2 offset:1536
	v_fmac_f64_e32 v[182:183], v[166:167], v[132:133]
	v_fma_f64 v[132:133], v[164:165], v[132:133], -v[134:135]
	s_wait_loadcnt_dscnt 0xa00
	v_mul_f64_e32 v[166:167], v[172:173], v[142:143]
	v_mul_f64_e32 v[142:143], v[174:175], v[142:143]
	v_add_f64_e32 v[164:165], v[176:177], v[178:179]
	v_fmac_f64_e32 v[180:181], v[6:7], v[136:137]
	v_add_f64_e32 v[134:135], v[186:187], v[184:185]
	v_fma_f64 v[136:137], v[4:5], v[136:137], -v[138:139]
	v_fmac_f64_e32 v[166:167], v[174:175], v[140:141]
	v_fma_f64 v[140:141], v[172:173], v[140:141], -v[142:143]
	v_add_f64_e32 v[164:165], v[164:165], v[182:183]
	v_add_f64_e32 v[138:139], v[134:135], v[132:133]
	ds_load_b128 v[4:7], v2 offset:1552
	ds_load_b128 v[132:135], v2 offset:1568
	s_wait_loadcnt_dscnt 0x901
	v_mul_f64_e32 v[176:177], v[4:5], v[146:147]
	v_mul_f64_e32 v[146:147], v[6:7], v[146:147]
	s_wait_loadcnt_dscnt 0x800
	v_mul_f64_e32 v[142:143], v[132:133], v[150:151]
	v_mul_f64_e32 v[150:151], v[134:135], v[150:151]
	v_add_f64_e32 v[136:137], v[138:139], v[136:137]
	v_add_f64_e32 v[138:139], v[164:165], v[180:181]
	v_fmac_f64_e32 v[176:177], v[6:7], v[144:145]
	v_fma_f64 v[144:145], v[4:5], v[144:145], -v[146:147]
	v_fmac_f64_e32 v[142:143], v[134:135], v[148:149]
	v_fma_f64 v[132:133], v[132:133], v[148:149], -v[150:151]
	v_add_f64_e32 v[140:141], v[136:137], v[140:141]
	v_add_f64_e32 v[146:147], v[138:139], v[166:167]
	ds_load_b128 v[4:7], v2 offset:1584
	ds_load_b128 v[136:139], v2 offset:1600
	s_wait_loadcnt_dscnt 0x701
	v_mul_f64_e32 v[164:165], v[4:5], v[158:159]
	v_mul_f64_e32 v[158:159], v[6:7], v[158:159]
	v_add_f64_e32 v[134:135], v[140:141], v[144:145]
	v_add_f64_e32 v[140:141], v[146:147], v[176:177]
	s_wait_loadcnt_dscnt 0x500
	v_mul_f64_e32 v[144:145], v[136:137], v[170:171]
	v_mul_f64_e32 v[146:147], v[138:139], v[170:171]
	v_fmac_f64_e32 v[164:165], v[6:7], v[156:157]
	v_fma_f64 v[148:149], v[4:5], v[156:157], -v[158:159]
	v_add_f64_e32 v[150:151], v[134:135], v[132:133]
	v_add_f64_e32 v[140:141], v[140:141], v[142:143]
	ds_load_b128 v[4:7], v2 offset:1616
	ds_load_b128 v[132:135], v2 offset:1632
	v_fmac_f64_e32 v[144:145], v[138:139], v[168:169]
	v_fma_f64 v[136:137], v[136:137], v[168:169], -v[146:147]
	s_wait_loadcnt_dscnt 0x401
	v_mul_f64_e32 v[142:143], v[4:5], v[154:155]
	v_mul_f64_e32 v[154:155], v[6:7], v[154:155]
	v_add_f64_e32 v[138:139], v[150:151], v[148:149]
	v_add_f64_e32 v[140:141], v[140:141], v[164:165]
	s_wait_loadcnt_dscnt 0x300
	v_mul_f64_e32 v[146:147], v[132:133], v[10:11]
	v_mul_f64_e32 v[10:11], v[134:135], v[10:11]
	v_fmac_f64_e32 v[142:143], v[6:7], v[152:153]
	v_fma_f64 v[148:149], v[4:5], v[152:153], -v[154:155]
	v_add_f64_e32 v[150:151], v[138:139], v[136:137]
	v_add_f64_e32 v[140:141], v[140:141], v[144:145]
	ds_load_b128 v[4:7], v2 offset:1648
	ds_load_b128 v[136:139], v2 offset:1664
	v_fmac_f64_e32 v[146:147], v[134:135], v[8:9]
	v_fma_f64 v[8:9], v[132:133], v[8:9], -v[10:11]
	s_wait_loadcnt_dscnt 0x201
	v_mul_f64_e32 v[144:145], v[4:5], v[14:15]
	v_mul_f64_e32 v[14:15], v[6:7], v[14:15]
	s_wait_loadcnt_dscnt 0x100
	v_mul_f64_e32 v[134:135], v[136:137], v[126:127]
	v_mul_f64_e32 v[126:127], v[138:139], v[126:127]
	v_add_f64_e32 v[10:11], v[150:151], v[148:149]
	v_add_f64_e32 v[132:133], v[140:141], v[142:143]
	v_fmac_f64_e32 v[144:145], v[6:7], v[12:13]
	v_fma_f64 v[12:13], v[4:5], v[12:13], -v[14:15]
	ds_load_b128 v[4:7], v2 offset:1680
	v_fmac_f64_e32 v[134:135], v[138:139], v[124:125]
	v_fma_f64 v[124:125], v[136:137], v[124:125], -v[126:127]
	v_add_f64_e32 v[8:9], v[10:11], v[8:9]
	v_add_f64_e32 v[10:11], v[132:133], v[146:147]
	s_wait_loadcnt_dscnt 0x0
	v_mul_f64_e32 v[14:15], v[4:5], v[130:131]
	v_mul_f64_e32 v[130:131], v[6:7], v[130:131]
	s_delay_alu instid0(VALU_DEP_4) | instskip(NEXT) | instid1(VALU_DEP_4)
	v_add_f64_e32 v[8:9], v[8:9], v[12:13]
	v_add_f64_e32 v[10:11], v[10:11], v[144:145]
	s_delay_alu instid0(VALU_DEP_4) | instskip(NEXT) | instid1(VALU_DEP_4)
	v_fmac_f64_e32 v[14:15], v[6:7], v[128:129]
	v_fma_f64 v[4:5], v[4:5], v[128:129], -v[130:131]
	s_delay_alu instid0(VALU_DEP_4) | instskip(NEXT) | instid1(VALU_DEP_4)
	v_add_f64_e32 v[6:7], v[8:9], v[124:125]
	v_add_f64_e32 v[8:9], v[10:11], v[134:135]
	s_delay_alu instid0(VALU_DEP_2) | instskip(NEXT) | instid1(VALU_DEP_2)
	v_add_f64_e32 v[4:5], v[6:7], v[4:5]
	v_add_f64_e32 v[6:7], v[8:9], v[14:15]
	s_delay_alu instid0(VALU_DEP_2) | instskip(NEXT) | instid1(VALU_DEP_2)
	v_add_f64_e64 v[4:5], v[160:161], -v[4:5]
	v_add_f64_e64 v[6:7], v[162:163], -v[6:7]
	scratch_store_b128 off, v[4:7], off offset:560
	s_wait_xcnt 0x0
	v_cmpx_lt_u32_e32 34, v1
	s_cbranch_execz .LBB116_263
; %bb.262:
	scratch_load_b128 v[6:9], off, s35
	v_dual_mov_b32 v3, v2 :: v_dual_mov_b32 v4, v2
	v_mov_b32_e32 v5, v2
	scratch_store_b128 off, v[2:5], off offset:544
	s_wait_loadcnt 0x0
	ds_store_b128 v122, v[6:9]
.LBB116_263:
	s_wait_xcnt 0x0
	s_or_b32 exec_lo, exec_lo, s2
	s_wait_storecnt_dscnt 0x0
	s_barrier_signal -1
	s_barrier_wait -1
	s_clause 0x9
	scratch_load_b128 v[4:7], off, off offset:560
	scratch_load_b128 v[8:11], off, off offset:576
	;; [unrolled: 1-line block ×10, first 2 shown]
	ds_load_b128 v[152:155], v2 offset:1408
	ds_load_b128 v[160:163], v2 offset:1424
	s_clause 0x2
	scratch_load_b128 v[156:159], off, off offset:720
	scratch_load_b128 v[164:167], off, off offset:544
	;; [unrolled: 1-line block ×3, first 2 shown]
	s_mov_b32 s2, exec_lo
	s_wait_loadcnt_dscnt 0xc01
	v_mul_f64_e32 v[172:173], v[154:155], v[6:7]
	v_mul_f64_e32 v[176:177], v[152:153], v[6:7]
	s_wait_loadcnt_dscnt 0xb00
	v_mul_f64_e32 v[178:179], v[160:161], v[10:11]
	v_mul_f64_e32 v[10:11], v[162:163], v[10:11]
	s_delay_alu instid0(VALU_DEP_4) | instskip(NEXT) | instid1(VALU_DEP_4)
	v_fma_f64 v[180:181], v[152:153], v[4:5], -v[172:173]
	v_fmac_f64_e32 v[176:177], v[154:155], v[4:5]
	ds_load_b128 v[4:7], v2 offset:1440
	ds_load_b128 v[152:155], v2 offset:1456
	scratch_load_b128 v[172:175], off, off offset:752
	v_fmac_f64_e32 v[178:179], v[162:163], v[8:9]
	v_fma_f64 v[160:161], v[160:161], v[8:9], -v[10:11]
	scratch_load_b128 v[8:11], off, off offset:768
	s_wait_loadcnt_dscnt 0xc01
	v_mul_f64_e32 v[182:183], v[4:5], v[14:15]
	v_mul_f64_e32 v[14:15], v[6:7], v[14:15]
	v_add_f64_e32 v[162:163], 0, v[180:181]
	v_add_f64_e32 v[176:177], 0, v[176:177]
	s_wait_loadcnt_dscnt 0xb00
	v_mul_f64_e32 v[180:181], v[152:153], v[126:127]
	v_mul_f64_e32 v[126:127], v[154:155], v[126:127]
	v_fmac_f64_e32 v[182:183], v[6:7], v[12:13]
	v_fma_f64 v[184:185], v[4:5], v[12:13], -v[14:15]
	ds_load_b128 v[4:7], v2 offset:1472
	ds_load_b128 v[12:15], v2 offset:1488
	v_add_f64_e32 v[186:187], v[162:163], v[160:161]
	v_add_f64_e32 v[176:177], v[176:177], v[178:179]
	scratch_load_b128 v[160:163], off, off offset:784
	v_fmac_f64_e32 v[180:181], v[154:155], v[124:125]
	v_fma_f64 v[152:153], v[152:153], v[124:125], -v[126:127]
	scratch_load_b128 v[124:127], off, off offset:800
	s_wait_loadcnt_dscnt 0xc01
	v_mul_f64_e32 v[178:179], v[4:5], v[130:131]
	v_mul_f64_e32 v[130:131], v[6:7], v[130:131]
	v_add_f64_e32 v[154:155], v[186:187], v[184:185]
	v_add_f64_e32 v[176:177], v[176:177], v[182:183]
	s_wait_loadcnt_dscnt 0xb00
	v_mul_f64_e32 v[182:183], v[12:13], v[134:135]
	v_mul_f64_e32 v[134:135], v[14:15], v[134:135]
	v_fmac_f64_e32 v[178:179], v[6:7], v[128:129]
	v_fma_f64 v[184:185], v[4:5], v[128:129], -v[130:131]
	ds_load_b128 v[4:7], v2 offset:1504
	ds_load_b128 v[128:131], v2 offset:1520
	v_add_f64_e32 v[186:187], v[154:155], v[152:153]
	v_add_f64_e32 v[176:177], v[176:177], v[180:181]
	scratch_load_b128 v[152:155], off, off offset:816
	s_wait_loadcnt_dscnt 0xb01
	v_mul_f64_e32 v[180:181], v[4:5], v[138:139]
	v_mul_f64_e32 v[138:139], v[6:7], v[138:139]
	v_fmac_f64_e32 v[182:183], v[14:15], v[132:133]
	v_fma_f64 v[132:133], v[12:13], v[132:133], -v[134:135]
	scratch_load_b128 v[12:15], off, off offset:832
	v_add_f64_e32 v[134:135], v[186:187], v[184:185]
	v_add_f64_e32 v[176:177], v[176:177], v[178:179]
	s_wait_loadcnt_dscnt 0xb00
	v_mul_f64_e32 v[178:179], v[128:129], v[142:143]
	v_mul_f64_e32 v[142:143], v[130:131], v[142:143]
	v_fmac_f64_e32 v[180:181], v[6:7], v[136:137]
	v_fma_f64 v[136:137], v[4:5], v[136:137], -v[138:139]
	v_add_f64_e32 v[138:139], v[134:135], v[132:133]
	v_add_f64_e32 v[176:177], v[176:177], v[182:183]
	ds_load_b128 v[4:7], v2 offset:1536
	ds_load_b128 v[132:135], v2 offset:1552
	v_fmac_f64_e32 v[178:179], v[130:131], v[140:141]
	v_fma_f64 v[128:129], v[128:129], v[140:141], -v[142:143]
	s_wait_loadcnt_dscnt 0xa01
	v_mul_f64_e32 v[182:183], v[4:5], v[146:147]
	v_mul_f64_e32 v[146:147], v[6:7], v[146:147]
	s_wait_loadcnt_dscnt 0x900
	v_mul_f64_e32 v[140:141], v[134:135], v[150:151]
	v_add_f64_e32 v[130:131], v[138:139], v[136:137]
	v_add_f64_e32 v[136:137], v[176:177], v[180:181]
	v_mul_f64_e32 v[138:139], v[132:133], v[150:151]
	v_fmac_f64_e32 v[182:183], v[6:7], v[144:145]
	v_fma_f64 v[142:143], v[4:5], v[144:145], -v[146:147]
	v_fma_f64 v[132:133], v[132:133], v[148:149], -v[140:141]
	v_add_f64_e32 v[144:145], v[130:131], v[128:129]
	v_add_f64_e32 v[136:137], v[136:137], v[178:179]
	ds_load_b128 v[4:7], v2 offset:1568
	ds_load_b128 v[128:131], v2 offset:1584
	v_fmac_f64_e32 v[138:139], v[134:135], v[148:149]
	s_wait_loadcnt_dscnt 0x801
	v_mul_f64_e32 v[146:147], v[4:5], v[158:159]
	v_mul_f64_e32 v[150:151], v[6:7], v[158:159]
	s_wait_loadcnt_dscnt 0x600
	v_mul_f64_e32 v[140:141], v[128:129], v[170:171]
	v_add_f64_e32 v[134:135], v[144:145], v[142:143]
	v_add_f64_e32 v[136:137], v[136:137], v[182:183]
	v_mul_f64_e32 v[142:143], v[130:131], v[170:171]
	v_fmac_f64_e32 v[146:147], v[6:7], v[156:157]
	v_fma_f64 v[144:145], v[4:5], v[156:157], -v[150:151]
	v_fmac_f64_e32 v[140:141], v[130:131], v[168:169]
	v_add_f64_e32 v[148:149], v[134:135], v[132:133]
	v_add_f64_e32 v[136:137], v[136:137], v[138:139]
	ds_load_b128 v[4:7], v2 offset:1600
	ds_load_b128 v[132:135], v2 offset:1616
	v_fma_f64 v[128:129], v[128:129], v[168:169], -v[142:143]
	s_wait_loadcnt_dscnt 0x501
	v_mul_f64_e32 v[138:139], v[4:5], v[174:175]
	v_mul_f64_e32 v[150:151], v[6:7], v[174:175]
	s_wait_loadcnt_dscnt 0x400
	v_mul_f64_e32 v[142:143], v[132:133], v[10:11]
	v_mul_f64_e32 v[10:11], v[134:135], v[10:11]
	v_add_f64_e32 v[130:131], v[148:149], v[144:145]
	v_add_f64_e32 v[136:137], v[136:137], v[146:147]
	v_fmac_f64_e32 v[138:139], v[6:7], v[172:173]
	v_fma_f64 v[144:145], v[4:5], v[172:173], -v[150:151]
	v_fmac_f64_e32 v[142:143], v[134:135], v[8:9]
	v_fma_f64 v[8:9], v[132:133], v[8:9], -v[10:11]
	v_add_f64_e32 v[146:147], v[130:131], v[128:129]
	v_add_f64_e32 v[136:137], v[136:137], v[140:141]
	ds_load_b128 v[4:7], v2 offset:1632
	ds_load_b128 v[128:131], v2 offset:1648
	s_wait_loadcnt_dscnt 0x301
	v_mul_f64_e32 v[140:141], v[4:5], v[162:163]
	v_mul_f64_e32 v[148:149], v[6:7], v[162:163]
	s_wait_loadcnt_dscnt 0x200
	v_mul_f64_e32 v[134:135], v[128:129], v[126:127]
	v_mul_f64_e32 v[126:127], v[130:131], v[126:127]
	v_add_f64_e32 v[10:11], v[146:147], v[144:145]
	v_add_f64_e32 v[132:133], v[136:137], v[138:139]
	v_fmac_f64_e32 v[140:141], v[6:7], v[160:161]
	v_fma_f64 v[136:137], v[4:5], v[160:161], -v[148:149]
	v_fmac_f64_e32 v[134:135], v[130:131], v[124:125]
	v_fma_f64 v[124:125], v[128:129], v[124:125], -v[126:127]
	v_add_f64_e32 v[138:139], v[10:11], v[8:9]
	v_add_f64_e32 v[132:133], v[132:133], v[142:143]
	ds_load_b128 v[4:7], v2 offset:1664
	ds_load_b128 v[8:11], v2 offset:1680
	s_wait_loadcnt_dscnt 0x101
	v_mul_f64_e32 v[2:3], v[4:5], v[154:155]
	v_mul_f64_e32 v[142:143], v[6:7], v[154:155]
	s_wait_loadcnt_dscnt 0x0
	v_mul_f64_e32 v[130:131], v[8:9], v[14:15]
	v_mul_f64_e32 v[14:15], v[10:11], v[14:15]
	v_add_f64_e32 v[126:127], v[138:139], v[136:137]
	v_add_f64_e32 v[128:129], v[132:133], v[140:141]
	v_fmac_f64_e32 v[2:3], v[6:7], v[152:153]
	v_fma_f64 v[4:5], v[4:5], v[152:153], -v[142:143]
	v_fmac_f64_e32 v[130:131], v[10:11], v[12:13]
	v_fma_f64 v[8:9], v[8:9], v[12:13], -v[14:15]
	v_add_f64_e32 v[6:7], v[126:127], v[124:125]
	v_add_f64_e32 v[124:125], v[128:129], v[134:135]
	s_delay_alu instid0(VALU_DEP_2) | instskip(NEXT) | instid1(VALU_DEP_2)
	v_add_f64_e32 v[4:5], v[6:7], v[4:5]
	v_add_f64_e32 v[2:3], v[124:125], v[2:3]
	s_delay_alu instid0(VALU_DEP_2) | instskip(NEXT) | instid1(VALU_DEP_2)
	;; [unrolled: 3-line block ×3, first 2 shown]
	v_add_f64_e64 v[2:3], v[164:165], -v[4:5]
	v_add_f64_e64 v[4:5], v[166:167], -v[6:7]
	scratch_store_b128 off, v[2:5], off offset:544
	s_wait_xcnt 0x0
	v_cmpx_lt_u32_e32 33, v1
	s_cbranch_execz .LBB116_265
; %bb.264:
	scratch_load_b128 v[2:5], off, s36
	v_mov_b32_e32 v6, 0
	s_delay_alu instid0(VALU_DEP_1)
	v_dual_mov_b32 v7, v6 :: v_dual_mov_b32 v8, v6
	v_mov_b32_e32 v9, v6
	scratch_store_b128 off, v[6:9], off offset:528
	s_wait_loadcnt 0x0
	ds_store_b128 v122, v[2:5]
.LBB116_265:
	s_wait_xcnt 0x0
	s_or_b32 exec_lo, exec_lo, s2
	s_wait_storecnt_dscnt 0x0
	s_barrier_signal -1
	s_barrier_wait -1
	s_clause 0x9
	scratch_load_b128 v[4:7], off, off offset:544
	scratch_load_b128 v[8:11], off, off offset:560
	;; [unrolled: 1-line block ×10, first 2 shown]
	v_mov_b32_e32 v2, 0
	s_mov_b32 s2, exec_lo
	ds_load_b128 v[152:155], v2 offset:1392
	s_clause 0x2
	scratch_load_b128 v[156:159], off, off offset:704
	scratch_load_b128 v[160:163], off, off offset:528
	;; [unrolled: 1-line block ×3, first 2 shown]
	s_wait_loadcnt_dscnt 0xc00
	v_mul_f64_e32 v[172:173], v[154:155], v[6:7]
	v_mul_f64_e32 v[176:177], v[152:153], v[6:7]
	ds_load_b128 v[164:167], v2 offset:1408
	v_fma_f64 v[180:181], v[152:153], v[4:5], -v[172:173]
	v_fmac_f64_e32 v[176:177], v[154:155], v[4:5]
	ds_load_b128 v[4:7], v2 offset:1424
	s_wait_loadcnt_dscnt 0xb01
	v_mul_f64_e32 v[178:179], v[164:165], v[10:11]
	v_mul_f64_e32 v[10:11], v[166:167], v[10:11]
	scratch_load_b128 v[152:155], off, off offset:736
	ds_load_b128 v[172:175], v2 offset:1440
	s_wait_loadcnt_dscnt 0xb01
	v_mul_f64_e32 v[182:183], v[4:5], v[14:15]
	v_mul_f64_e32 v[14:15], v[6:7], v[14:15]
	v_add_f64_e32 v[176:177], 0, v[176:177]
	v_fmac_f64_e32 v[178:179], v[166:167], v[8:9]
	v_fma_f64 v[164:165], v[164:165], v[8:9], -v[10:11]
	v_add_f64_e32 v[166:167], 0, v[180:181]
	scratch_load_b128 v[8:11], off, off offset:752
	v_fmac_f64_e32 v[182:183], v[6:7], v[12:13]
	v_fma_f64 v[184:185], v[4:5], v[12:13], -v[14:15]
	ds_load_b128 v[4:7], v2 offset:1456
	s_wait_loadcnt_dscnt 0xb01
	v_mul_f64_e32 v[180:181], v[172:173], v[126:127]
	v_mul_f64_e32 v[126:127], v[174:175], v[126:127]
	scratch_load_b128 v[12:15], off, off offset:768
	v_add_f64_e32 v[176:177], v[176:177], v[178:179]
	v_add_f64_e32 v[186:187], v[166:167], v[164:165]
	ds_load_b128 v[164:167], v2 offset:1472
	s_wait_loadcnt_dscnt 0xb01
	v_mul_f64_e32 v[178:179], v[4:5], v[130:131]
	v_mul_f64_e32 v[130:131], v[6:7], v[130:131]
	v_fmac_f64_e32 v[180:181], v[174:175], v[124:125]
	v_fma_f64 v[172:173], v[172:173], v[124:125], -v[126:127]
	scratch_load_b128 v[124:127], off, off offset:784
	v_add_f64_e32 v[176:177], v[176:177], v[182:183]
	v_add_f64_e32 v[174:175], v[186:187], v[184:185]
	v_fmac_f64_e32 v[178:179], v[6:7], v[128:129]
	v_fma_f64 v[184:185], v[4:5], v[128:129], -v[130:131]
	ds_load_b128 v[4:7], v2 offset:1488
	s_wait_loadcnt_dscnt 0xb01
	v_mul_f64_e32 v[182:183], v[164:165], v[134:135]
	v_mul_f64_e32 v[134:135], v[166:167], v[134:135]
	scratch_load_b128 v[128:131], off, off offset:800
	v_add_f64_e32 v[176:177], v[176:177], v[180:181]
	s_wait_loadcnt_dscnt 0xb00
	v_mul_f64_e32 v[180:181], v[4:5], v[138:139]
	v_add_f64_e32 v[186:187], v[174:175], v[172:173]
	v_mul_f64_e32 v[138:139], v[6:7], v[138:139]
	ds_load_b128 v[172:175], v2 offset:1504
	v_fmac_f64_e32 v[182:183], v[166:167], v[132:133]
	v_fma_f64 v[164:165], v[164:165], v[132:133], -v[134:135]
	scratch_load_b128 v[132:135], off, off offset:816
	v_add_f64_e32 v[176:177], v[176:177], v[178:179]
	v_fmac_f64_e32 v[180:181], v[6:7], v[136:137]
	v_add_f64_e32 v[166:167], v[186:187], v[184:185]
	v_fma_f64 v[184:185], v[4:5], v[136:137], -v[138:139]
	ds_load_b128 v[4:7], v2 offset:1520
	s_wait_loadcnt_dscnt 0xb01
	v_mul_f64_e32 v[178:179], v[172:173], v[142:143]
	v_mul_f64_e32 v[142:143], v[174:175], v[142:143]
	scratch_load_b128 v[136:139], off, off offset:832
	v_add_f64_e32 v[176:177], v[176:177], v[182:183]
	s_wait_loadcnt_dscnt 0xb00
	v_mul_f64_e32 v[182:183], v[4:5], v[146:147]
	v_add_f64_e32 v[186:187], v[166:167], v[164:165]
	v_mul_f64_e32 v[146:147], v[6:7], v[146:147]
	ds_load_b128 v[164:167], v2 offset:1536
	v_fmac_f64_e32 v[178:179], v[174:175], v[140:141]
	v_fma_f64 v[140:141], v[172:173], v[140:141], -v[142:143]
	s_wait_loadcnt_dscnt 0xa00
	v_mul_f64_e32 v[174:175], v[164:165], v[150:151]
	v_mul_f64_e32 v[150:151], v[166:167], v[150:151]
	v_add_f64_e32 v[172:173], v[176:177], v[180:181]
	v_fmac_f64_e32 v[182:183], v[6:7], v[144:145]
	v_add_f64_e32 v[142:143], v[186:187], v[184:185]
	v_fma_f64 v[144:145], v[4:5], v[144:145], -v[146:147]
	v_fmac_f64_e32 v[174:175], v[166:167], v[148:149]
	v_fma_f64 v[148:149], v[164:165], v[148:149], -v[150:151]
	v_add_f64_e32 v[172:173], v[172:173], v[178:179]
	v_add_f64_e32 v[146:147], v[142:143], v[140:141]
	ds_load_b128 v[4:7], v2 offset:1552
	ds_load_b128 v[140:143], v2 offset:1568
	s_wait_loadcnt_dscnt 0x901
	v_mul_f64_e32 v[176:177], v[4:5], v[158:159]
	v_mul_f64_e32 v[158:159], v[6:7], v[158:159]
	s_wait_loadcnt_dscnt 0x700
	v_mul_f64_e32 v[150:151], v[140:141], v[170:171]
	v_mul_f64_e32 v[164:165], v[142:143], v[170:171]
	v_add_f64_e32 v[144:145], v[146:147], v[144:145]
	v_add_f64_e32 v[146:147], v[172:173], v[182:183]
	v_fmac_f64_e32 v[176:177], v[6:7], v[156:157]
	v_fma_f64 v[156:157], v[4:5], v[156:157], -v[158:159]
	v_fmac_f64_e32 v[150:151], v[142:143], v[168:169]
	v_fma_f64 v[140:141], v[140:141], v[168:169], -v[164:165]
	v_add_f64_e32 v[148:149], v[144:145], v[148:149]
	v_add_f64_e32 v[158:159], v[146:147], v[174:175]
	ds_load_b128 v[4:7], v2 offset:1584
	ds_load_b128 v[144:147], v2 offset:1600
	s_wait_loadcnt_dscnt 0x601
	v_mul_f64_e32 v[166:167], v[4:5], v[154:155]
	v_mul_f64_e32 v[154:155], v[6:7], v[154:155]
	v_add_f64_e32 v[142:143], v[148:149], v[156:157]
	v_add_f64_e32 v[148:149], v[158:159], v[176:177]
	s_wait_loadcnt_dscnt 0x500
	v_mul_f64_e32 v[156:157], v[144:145], v[10:11]
	v_mul_f64_e32 v[10:11], v[146:147], v[10:11]
	v_fmac_f64_e32 v[166:167], v[6:7], v[152:153]
	v_fma_f64 v[152:153], v[4:5], v[152:153], -v[154:155]
	v_add_f64_e32 v[154:155], v[142:143], v[140:141]
	v_add_f64_e32 v[148:149], v[148:149], v[150:151]
	ds_load_b128 v[4:7], v2 offset:1616
	ds_load_b128 v[140:143], v2 offset:1632
	v_fmac_f64_e32 v[156:157], v[146:147], v[8:9]
	v_fma_f64 v[8:9], v[144:145], v[8:9], -v[10:11]
	s_wait_loadcnt_dscnt 0x401
	v_mul_f64_e32 v[150:151], v[4:5], v[14:15]
	v_mul_f64_e32 v[14:15], v[6:7], v[14:15]
	s_wait_loadcnt_dscnt 0x300
	v_mul_f64_e32 v[146:147], v[140:141], v[126:127]
	v_mul_f64_e32 v[126:127], v[142:143], v[126:127]
	v_add_f64_e32 v[10:11], v[154:155], v[152:153]
	v_add_f64_e32 v[144:145], v[148:149], v[166:167]
	v_fmac_f64_e32 v[150:151], v[6:7], v[12:13]
	v_fma_f64 v[12:13], v[4:5], v[12:13], -v[14:15]
	v_fmac_f64_e32 v[146:147], v[142:143], v[124:125]
	v_fma_f64 v[124:125], v[140:141], v[124:125], -v[126:127]
	v_add_f64_e32 v[14:15], v[10:11], v[8:9]
	v_add_f64_e32 v[144:145], v[144:145], v[156:157]
	ds_load_b128 v[4:7], v2 offset:1648
	ds_load_b128 v[8:11], v2 offset:1664
	s_wait_loadcnt_dscnt 0x201
	v_mul_f64_e32 v[148:149], v[4:5], v[130:131]
	v_mul_f64_e32 v[130:131], v[6:7], v[130:131]
	s_wait_loadcnt_dscnt 0x100
	v_mul_f64_e32 v[126:127], v[8:9], v[134:135]
	v_mul_f64_e32 v[134:135], v[10:11], v[134:135]
	v_add_f64_e32 v[12:13], v[14:15], v[12:13]
	v_add_f64_e32 v[14:15], v[144:145], v[150:151]
	v_fmac_f64_e32 v[148:149], v[6:7], v[128:129]
	v_fma_f64 v[128:129], v[4:5], v[128:129], -v[130:131]
	ds_load_b128 v[4:7], v2 offset:1680
	v_fmac_f64_e32 v[126:127], v[10:11], v[132:133]
	v_fma_f64 v[8:9], v[8:9], v[132:133], -v[134:135]
	v_add_f64_e32 v[12:13], v[12:13], v[124:125]
	v_add_f64_e32 v[14:15], v[14:15], v[146:147]
	s_wait_loadcnt_dscnt 0x0
	v_mul_f64_e32 v[124:125], v[4:5], v[138:139]
	v_mul_f64_e32 v[130:131], v[6:7], v[138:139]
	s_delay_alu instid0(VALU_DEP_4) | instskip(NEXT) | instid1(VALU_DEP_4)
	v_add_f64_e32 v[10:11], v[12:13], v[128:129]
	v_add_f64_e32 v[12:13], v[14:15], v[148:149]
	s_delay_alu instid0(VALU_DEP_4) | instskip(NEXT) | instid1(VALU_DEP_4)
	v_fmac_f64_e32 v[124:125], v[6:7], v[136:137]
	v_fma_f64 v[4:5], v[4:5], v[136:137], -v[130:131]
	s_delay_alu instid0(VALU_DEP_4) | instskip(NEXT) | instid1(VALU_DEP_4)
	v_add_f64_e32 v[6:7], v[10:11], v[8:9]
	v_add_f64_e32 v[8:9], v[12:13], v[126:127]
	s_delay_alu instid0(VALU_DEP_2) | instskip(NEXT) | instid1(VALU_DEP_2)
	v_add_f64_e32 v[4:5], v[6:7], v[4:5]
	v_add_f64_e32 v[6:7], v[8:9], v[124:125]
	s_delay_alu instid0(VALU_DEP_2) | instskip(NEXT) | instid1(VALU_DEP_2)
	v_add_f64_e64 v[4:5], v[160:161], -v[4:5]
	v_add_f64_e64 v[6:7], v[162:163], -v[6:7]
	scratch_store_b128 off, v[4:7], off offset:528
	s_wait_xcnt 0x0
	v_cmpx_lt_u32_e32 32, v1
	s_cbranch_execz .LBB116_267
; %bb.266:
	scratch_load_b128 v[6:9], off, s37
	v_dual_mov_b32 v3, v2 :: v_dual_mov_b32 v4, v2
	v_mov_b32_e32 v5, v2
	scratch_store_b128 off, v[2:5], off offset:512
	s_wait_loadcnt 0x0
	ds_store_b128 v122, v[6:9]
.LBB116_267:
	s_wait_xcnt 0x0
	s_or_b32 exec_lo, exec_lo, s2
	s_wait_storecnt_dscnt 0x0
	s_barrier_signal -1
	s_barrier_wait -1
	s_clause 0x9
	scratch_load_b128 v[4:7], off, off offset:528
	scratch_load_b128 v[8:11], off, off offset:544
	;; [unrolled: 1-line block ×10, first 2 shown]
	ds_load_b128 v[152:155], v2 offset:1376
	ds_load_b128 v[160:163], v2 offset:1392
	s_clause 0x2
	scratch_load_b128 v[156:159], off, off offset:688
	scratch_load_b128 v[164:167], off, off offset:512
	;; [unrolled: 1-line block ×3, first 2 shown]
	s_mov_b32 s2, exec_lo
	s_wait_loadcnt_dscnt 0xc01
	v_mul_f64_e32 v[172:173], v[154:155], v[6:7]
	v_mul_f64_e32 v[176:177], v[152:153], v[6:7]
	s_wait_loadcnt_dscnt 0xb00
	v_mul_f64_e32 v[178:179], v[160:161], v[10:11]
	v_mul_f64_e32 v[10:11], v[162:163], v[10:11]
	s_delay_alu instid0(VALU_DEP_4) | instskip(NEXT) | instid1(VALU_DEP_4)
	v_fma_f64 v[180:181], v[152:153], v[4:5], -v[172:173]
	v_fmac_f64_e32 v[176:177], v[154:155], v[4:5]
	ds_load_b128 v[4:7], v2 offset:1408
	ds_load_b128 v[152:155], v2 offset:1424
	scratch_load_b128 v[172:175], off, off offset:720
	v_fmac_f64_e32 v[178:179], v[162:163], v[8:9]
	v_fma_f64 v[160:161], v[160:161], v[8:9], -v[10:11]
	scratch_load_b128 v[8:11], off, off offset:736
	s_wait_loadcnt_dscnt 0xc01
	v_mul_f64_e32 v[182:183], v[4:5], v[14:15]
	v_mul_f64_e32 v[14:15], v[6:7], v[14:15]
	v_add_f64_e32 v[162:163], 0, v[180:181]
	v_add_f64_e32 v[176:177], 0, v[176:177]
	s_wait_loadcnt_dscnt 0xb00
	v_mul_f64_e32 v[180:181], v[152:153], v[126:127]
	v_mul_f64_e32 v[126:127], v[154:155], v[126:127]
	v_fmac_f64_e32 v[182:183], v[6:7], v[12:13]
	v_fma_f64 v[184:185], v[4:5], v[12:13], -v[14:15]
	ds_load_b128 v[4:7], v2 offset:1440
	ds_load_b128 v[12:15], v2 offset:1456
	v_add_f64_e32 v[186:187], v[162:163], v[160:161]
	v_add_f64_e32 v[176:177], v[176:177], v[178:179]
	scratch_load_b128 v[160:163], off, off offset:752
	v_fmac_f64_e32 v[180:181], v[154:155], v[124:125]
	v_fma_f64 v[152:153], v[152:153], v[124:125], -v[126:127]
	scratch_load_b128 v[124:127], off, off offset:768
	s_wait_loadcnt_dscnt 0xc01
	v_mul_f64_e32 v[178:179], v[4:5], v[130:131]
	v_mul_f64_e32 v[130:131], v[6:7], v[130:131]
	v_add_f64_e32 v[154:155], v[186:187], v[184:185]
	v_add_f64_e32 v[176:177], v[176:177], v[182:183]
	s_wait_loadcnt_dscnt 0xb00
	v_mul_f64_e32 v[182:183], v[12:13], v[134:135]
	v_mul_f64_e32 v[134:135], v[14:15], v[134:135]
	v_fmac_f64_e32 v[178:179], v[6:7], v[128:129]
	v_fma_f64 v[184:185], v[4:5], v[128:129], -v[130:131]
	ds_load_b128 v[4:7], v2 offset:1472
	ds_load_b128 v[128:131], v2 offset:1488
	v_add_f64_e32 v[186:187], v[154:155], v[152:153]
	v_add_f64_e32 v[176:177], v[176:177], v[180:181]
	scratch_load_b128 v[152:155], off, off offset:784
	s_wait_loadcnt_dscnt 0xb01
	v_mul_f64_e32 v[180:181], v[4:5], v[138:139]
	v_mul_f64_e32 v[138:139], v[6:7], v[138:139]
	v_fmac_f64_e32 v[182:183], v[14:15], v[132:133]
	v_fma_f64 v[132:133], v[12:13], v[132:133], -v[134:135]
	scratch_load_b128 v[12:15], off, off offset:800
	v_add_f64_e32 v[134:135], v[186:187], v[184:185]
	v_add_f64_e32 v[176:177], v[176:177], v[178:179]
	s_wait_loadcnt_dscnt 0xb00
	v_mul_f64_e32 v[178:179], v[128:129], v[142:143]
	v_mul_f64_e32 v[142:143], v[130:131], v[142:143]
	v_fmac_f64_e32 v[180:181], v[6:7], v[136:137]
	v_fma_f64 v[184:185], v[4:5], v[136:137], -v[138:139]
	v_add_f64_e32 v[186:187], v[134:135], v[132:133]
	v_add_f64_e32 v[176:177], v[176:177], v[182:183]
	ds_load_b128 v[4:7], v2 offset:1504
	ds_load_b128 v[132:135], v2 offset:1520
	scratch_load_b128 v[136:139], off, off offset:816
	v_fmac_f64_e32 v[178:179], v[130:131], v[140:141]
	v_fma_f64 v[140:141], v[128:129], v[140:141], -v[142:143]
	scratch_load_b128 v[128:131], off, off offset:832
	s_wait_loadcnt_dscnt 0xc01
	v_mul_f64_e32 v[182:183], v[4:5], v[146:147]
	v_mul_f64_e32 v[146:147], v[6:7], v[146:147]
	v_add_f64_e32 v[142:143], v[186:187], v[184:185]
	v_add_f64_e32 v[176:177], v[176:177], v[180:181]
	s_wait_loadcnt_dscnt 0xb00
	v_mul_f64_e32 v[180:181], v[132:133], v[150:151]
	v_mul_f64_e32 v[150:151], v[134:135], v[150:151]
	v_fmac_f64_e32 v[182:183], v[6:7], v[144:145]
	v_fma_f64 v[144:145], v[4:5], v[144:145], -v[146:147]
	v_add_f64_e32 v[146:147], v[142:143], v[140:141]
	v_add_f64_e32 v[176:177], v[176:177], v[178:179]
	ds_load_b128 v[4:7], v2 offset:1536
	ds_load_b128 v[140:143], v2 offset:1552
	v_fmac_f64_e32 v[180:181], v[134:135], v[148:149]
	v_fma_f64 v[132:133], v[132:133], v[148:149], -v[150:151]
	s_wait_loadcnt_dscnt 0xa01
	v_mul_f64_e32 v[178:179], v[4:5], v[158:159]
	v_mul_f64_e32 v[158:159], v[6:7], v[158:159]
	s_wait_loadcnt_dscnt 0x800
	v_mul_f64_e32 v[148:149], v[142:143], v[170:171]
	v_add_f64_e32 v[134:135], v[146:147], v[144:145]
	v_add_f64_e32 v[144:145], v[176:177], v[182:183]
	v_mul_f64_e32 v[146:147], v[140:141], v[170:171]
	v_fmac_f64_e32 v[178:179], v[6:7], v[156:157]
	v_fma_f64 v[150:151], v[4:5], v[156:157], -v[158:159]
	v_fma_f64 v[140:141], v[140:141], v[168:169], -v[148:149]
	v_add_f64_e32 v[156:157], v[134:135], v[132:133]
	v_add_f64_e32 v[144:145], v[144:145], v[180:181]
	ds_load_b128 v[4:7], v2 offset:1568
	ds_load_b128 v[132:135], v2 offset:1584
	v_fmac_f64_e32 v[146:147], v[142:143], v[168:169]
	s_wait_loadcnt_dscnt 0x701
	v_mul_f64_e32 v[158:159], v[4:5], v[174:175]
	v_mul_f64_e32 v[170:171], v[6:7], v[174:175]
	s_wait_loadcnt_dscnt 0x600
	v_mul_f64_e32 v[148:149], v[132:133], v[10:11]
	v_mul_f64_e32 v[10:11], v[134:135], v[10:11]
	v_add_f64_e32 v[142:143], v[156:157], v[150:151]
	v_add_f64_e32 v[144:145], v[144:145], v[178:179]
	v_fmac_f64_e32 v[158:159], v[6:7], v[172:173]
	v_fma_f64 v[150:151], v[4:5], v[172:173], -v[170:171]
	v_fmac_f64_e32 v[148:149], v[134:135], v[8:9]
	v_fma_f64 v[8:9], v[132:133], v[8:9], -v[10:11]
	v_add_f64_e32 v[156:157], v[142:143], v[140:141]
	v_add_f64_e32 v[144:145], v[144:145], v[146:147]
	ds_load_b128 v[4:7], v2 offset:1600
	ds_load_b128 v[140:143], v2 offset:1616
	s_wait_loadcnt_dscnt 0x501
	v_mul_f64_e32 v[146:147], v[4:5], v[162:163]
	v_mul_f64_e32 v[162:163], v[6:7], v[162:163]
	s_wait_loadcnt_dscnt 0x400
	v_mul_f64_e32 v[134:135], v[140:141], v[126:127]
	v_mul_f64_e32 v[126:127], v[142:143], v[126:127]
	v_add_f64_e32 v[10:11], v[156:157], v[150:151]
	v_add_f64_e32 v[132:133], v[144:145], v[158:159]
	v_fmac_f64_e32 v[146:147], v[6:7], v[160:161]
	v_fma_f64 v[144:145], v[4:5], v[160:161], -v[162:163]
	v_fmac_f64_e32 v[134:135], v[142:143], v[124:125]
	v_fma_f64 v[124:125], v[140:141], v[124:125], -v[126:127]
	v_add_f64_e32 v[150:151], v[10:11], v[8:9]
	v_add_f64_e32 v[132:133], v[132:133], v[148:149]
	ds_load_b128 v[4:7], v2 offset:1632
	ds_load_b128 v[8:11], v2 offset:1648
	;; [unrolled: 16-line block ×3, first 2 shown]
	s_wait_loadcnt_dscnt 0x101
	v_mul_f64_e32 v[2:3], v[4:5], v[138:139]
	v_mul_f64_e32 v[134:135], v[6:7], v[138:139]
	s_wait_loadcnt_dscnt 0x0
	v_mul_f64_e32 v[14:15], v[124:125], v[130:131]
	v_mul_f64_e32 v[130:131], v[126:127], v[130:131]
	v_add_f64_e32 v[10:11], v[144:145], v[142:143]
	v_add_f64_e32 v[12:13], v[132:133], v[148:149]
	v_fmac_f64_e32 v[2:3], v[6:7], v[136:137]
	v_fma_f64 v[4:5], v[4:5], v[136:137], -v[134:135]
	v_fmac_f64_e32 v[14:15], v[126:127], v[128:129]
	v_add_f64_e32 v[6:7], v[10:11], v[8:9]
	v_add_f64_e32 v[8:9], v[12:13], v[140:141]
	v_fma_f64 v[10:11], v[124:125], v[128:129], -v[130:131]
	s_delay_alu instid0(VALU_DEP_3) | instskip(NEXT) | instid1(VALU_DEP_3)
	v_add_f64_e32 v[4:5], v[6:7], v[4:5]
	v_add_f64_e32 v[2:3], v[8:9], v[2:3]
	s_delay_alu instid0(VALU_DEP_2) | instskip(NEXT) | instid1(VALU_DEP_2)
	v_add_f64_e32 v[4:5], v[4:5], v[10:11]
	v_add_f64_e32 v[6:7], v[2:3], v[14:15]
	s_delay_alu instid0(VALU_DEP_2) | instskip(NEXT) | instid1(VALU_DEP_2)
	v_add_f64_e64 v[2:3], v[164:165], -v[4:5]
	v_add_f64_e64 v[4:5], v[166:167], -v[6:7]
	scratch_store_b128 off, v[2:5], off offset:512
	s_wait_xcnt 0x0
	v_cmpx_lt_u32_e32 31, v1
	s_cbranch_execz .LBB116_269
; %bb.268:
	scratch_load_b128 v[2:5], off, s38
	v_mov_b32_e32 v6, 0
	s_delay_alu instid0(VALU_DEP_1)
	v_dual_mov_b32 v7, v6 :: v_dual_mov_b32 v8, v6
	v_mov_b32_e32 v9, v6
	scratch_store_b128 off, v[6:9], off offset:496
	s_wait_loadcnt 0x0
	ds_store_b128 v122, v[2:5]
.LBB116_269:
	s_wait_xcnt 0x0
	s_or_b32 exec_lo, exec_lo, s2
	s_wait_storecnt_dscnt 0x0
	s_barrier_signal -1
	s_barrier_wait -1
	s_clause 0x9
	scratch_load_b128 v[4:7], off, off offset:512
	scratch_load_b128 v[8:11], off, off offset:528
	;; [unrolled: 1-line block ×10, first 2 shown]
	v_mov_b32_e32 v2, 0
	s_mov_b32 s2, exec_lo
	ds_load_b128 v[152:155], v2 offset:1360
	s_clause 0x2
	scratch_load_b128 v[156:159], off, off offset:672
	scratch_load_b128 v[160:163], off, off offset:496
	;; [unrolled: 1-line block ×3, first 2 shown]
	s_wait_loadcnt_dscnt 0xc00
	v_mul_f64_e32 v[172:173], v[154:155], v[6:7]
	v_mul_f64_e32 v[176:177], v[152:153], v[6:7]
	ds_load_b128 v[164:167], v2 offset:1376
	v_fma_f64 v[180:181], v[152:153], v[4:5], -v[172:173]
	v_fmac_f64_e32 v[176:177], v[154:155], v[4:5]
	ds_load_b128 v[4:7], v2 offset:1392
	s_wait_loadcnt_dscnt 0xb01
	v_mul_f64_e32 v[178:179], v[164:165], v[10:11]
	v_mul_f64_e32 v[10:11], v[166:167], v[10:11]
	scratch_load_b128 v[152:155], off, off offset:704
	ds_load_b128 v[172:175], v2 offset:1408
	s_wait_loadcnt_dscnt 0xb01
	v_mul_f64_e32 v[182:183], v[4:5], v[14:15]
	v_mul_f64_e32 v[14:15], v[6:7], v[14:15]
	v_add_f64_e32 v[176:177], 0, v[176:177]
	v_fmac_f64_e32 v[178:179], v[166:167], v[8:9]
	v_fma_f64 v[164:165], v[164:165], v[8:9], -v[10:11]
	v_add_f64_e32 v[166:167], 0, v[180:181]
	scratch_load_b128 v[8:11], off, off offset:720
	v_fmac_f64_e32 v[182:183], v[6:7], v[12:13]
	v_fma_f64 v[184:185], v[4:5], v[12:13], -v[14:15]
	ds_load_b128 v[4:7], v2 offset:1424
	s_wait_loadcnt_dscnt 0xb01
	v_mul_f64_e32 v[180:181], v[172:173], v[126:127]
	v_mul_f64_e32 v[126:127], v[174:175], v[126:127]
	scratch_load_b128 v[12:15], off, off offset:736
	v_add_f64_e32 v[176:177], v[176:177], v[178:179]
	v_add_f64_e32 v[186:187], v[166:167], v[164:165]
	ds_load_b128 v[164:167], v2 offset:1440
	s_wait_loadcnt_dscnt 0xb01
	v_mul_f64_e32 v[178:179], v[4:5], v[130:131]
	v_mul_f64_e32 v[130:131], v[6:7], v[130:131]
	v_fmac_f64_e32 v[180:181], v[174:175], v[124:125]
	v_fma_f64 v[172:173], v[172:173], v[124:125], -v[126:127]
	scratch_load_b128 v[124:127], off, off offset:752
	v_add_f64_e32 v[176:177], v[176:177], v[182:183]
	v_add_f64_e32 v[174:175], v[186:187], v[184:185]
	v_fmac_f64_e32 v[178:179], v[6:7], v[128:129]
	v_fma_f64 v[184:185], v[4:5], v[128:129], -v[130:131]
	ds_load_b128 v[4:7], v2 offset:1456
	s_wait_loadcnt_dscnt 0xb01
	v_mul_f64_e32 v[182:183], v[164:165], v[134:135]
	v_mul_f64_e32 v[134:135], v[166:167], v[134:135]
	scratch_load_b128 v[128:131], off, off offset:768
	v_add_f64_e32 v[176:177], v[176:177], v[180:181]
	s_wait_loadcnt_dscnt 0xb00
	v_mul_f64_e32 v[180:181], v[4:5], v[138:139]
	v_add_f64_e32 v[186:187], v[174:175], v[172:173]
	v_mul_f64_e32 v[138:139], v[6:7], v[138:139]
	ds_load_b128 v[172:175], v2 offset:1472
	v_fmac_f64_e32 v[182:183], v[166:167], v[132:133]
	v_fma_f64 v[164:165], v[164:165], v[132:133], -v[134:135]
	scratch_load_b128 v[132:135], off, off offset:784
	v_add_f64_e32 v[176:177], v[176:177], v[178:179]
	v_fmac_f64_e32 v[180:181], v[6:7], v[136:137]
	v_add_f64_e32 v[166:167], v[186:187], v[184:185]
	v_fma_f64 v[184:185], v[4:5], v[136:137], -v[138:139]
	ds_load_b128 v[4:7], v2 offset:1488
	s_wait_loadcnt_dscnt 0xb01
	v_mul_f64_e32 v[178:179], v[172:173], v[142:143]
	v_mul_f64_e32 v[142:143], v[174:175], v[142:143]
	scratch_load_b128 v[136:139], off, off offset:800
	v_add_f64_e32 v[176:177], v[176:177], v[182:183]
	s_wait_loadcnt_dscnt 0xb00
	v_mul_f64_e32 v[182:183], v[4:5], v[146:147]
	v_add_f64_e32 v[186:187], v[166:167], v[164:165]
	v_mul_f64_e32 v[146:147], v[6:7], v[146:147]
	ds_load_b128 v[164:167], v2 offset:1504
	v_fmac_f64_e32 v[178:179], v[174:175], v[140:141]
	v_fma_f64 v[172:173], v[172:173], v[140:141], -v[142:143]
	scratch_load_b128 v[140:143], off, off offset:816
	v_add_f64_e32 v[176:177], v[176:177], v[180:181]
	v_fmac_f64_e32 v[182:183], v[6:7], v[144:145]
	v_add_f64_e32 v[174:175], v[186:187], v[184:185]
	v_fma_f64 v[184:185], v[4:5], v[144:145], -v[146:147]
	ds_load_b128 v[4:7], v2 offset:1520
	s_wait_loadcnt_dscnt 0xb01
	v_mul_f64_e32 v[180:181], v[164:165], v[150:151]
	v_mul_f64_e32 v[150:151], v[166:167], v[150:151]
	scratch_load_b128 v[144:147], off, off offset:832
	v_add_f64_e32 v[176:177], v[176:177], v[178:179]
	s_wait_loadcnt_dscnt 0xb00
	v_mul_f64_e32 v[178:179], v[4:5], v[158:159]
	v_add_f64_e32 v[186:187], v[174:175], v[172:173]
	v_mul_f64_e32 v[158:159], v[6:7], v[158:159]
	ds_load_b128 v[172:175], v2 offset:1536
	v_fmac_f64_e32 v[180:181], v[166:167], v[148:149]
	v_fma_f64 v[148:149], v[164:165], v[148:149], -v[150:151]
	s_wait_loadcnt_dscnt 0x900
	v_mul_f64_e32 v[166:167], v[172:173], v[170:171]
	v_mul_f64_e32 v[170:171], v[174:175], v[170:171]
	v_add_f64_e32 v[164:165], v[176:177], v[182:183]
	v_fmac_f64_e32 v[178:179], v[6:7], v[156:157]
	v_add_f64_e32 v[150:151], v[186:187], v[184:185]
	v_fma_f64 v[156:157], v[4:5], v[156:157], -v[158:159]
	v_fmac_f64_e32 v[166:167], v[174:175], v[168:169]
	v_fma_f64 v[168:169], v[172:173], v[168:169], -v[170:171]
	v_add_f64_e32 v[164:165], v[164:165], v[180:181]
	v_add_f64_e32 v[158:159], v[150:151], v[148:149]
	ds_load_b128 v[4:7], v2 offset:1552
	ds_load_b128 v[148:151], v2 offset:1568
	s_wait_loadcnt_dscnt 0x801
	v_mul_f64_e32 v[176:177], v[4:5], v[154:155]
	v_mul_f64_e32 v[154:155], v[6:7], v[154:155]
	v_add_f64_e32 v[156:157], v[158:159], v[156:157]
	v_add_f64_e32 v[158:159], v[164:165], v[178:179]
	s_wait_loadcnt_dscnt 0x700
	v_mul_f64_e32 v[164:165], v[148:149], v[10:11]
	v_mul_f64_e32 v[10:11], v[150:151], v[10:11]
	v_fmac_f64_e32 v[176:177], v[6:7], v[152:153]
	v_fma_f64 v[170:171], v[4:5], v[152:153], -v[154:155]
	ds_load_b128 v[4:7], v2 offset:1584
	ds_load_b128 v[152:155], v2 offset:1600
	v_add_f64_e32 v[156:157], v[156:157], v[168:169]
	v_add_f64_e32 v[158:159], v[158:159], v[166:167]
	v_fmac_f64_e32 v[164:165], v[150:151], v[8:9]
	v_fma_f64 v[8:9], v[148:149], v[8:9], -v[10:11]
	s_wait_loadcnt_dscnt 0x601
	v_mul_f64_e32 v[166:167], v[4:5], v[14:15]
	v_mul_f64_e32 v[14:15], v[6:7], v[14:15]
	s_wait_loadcnt_dscnt 0x500
	v_mul_f64_e32 v[150:151], v[152:153], v[126:127]
	v_mul_f64_e32 v[126:127], v[154:155], v[126:127]
	v_add_f64_e32 v[10:11], v[156:157], v[170:171]
	v_add_f64_e32 v[148:149], v[158:159], v[176:177]
	v_fmac_f64_e32 v[166:167], v[6:7], v[12:13]
	v_fma_f64 v[12:13], v[4:5], v[12:13], -v[14:15]
	v_fmac_f64_e32 v[150:151], v[154:155], v[124:125]
	v_fma_f64 v[124:125], v[152:153], v[124:125], -v[126:127]
	v_add_f64_e32 v[14:15], v[10:11], v[8:9]
	v_add_f64_e32 v[148:149], v[148:149], v[164:165]
	ds_load_b128 v[4:7], v2 offset:1616
	ds_load_b128 v[8:11], v2 offset:1632
	s_wait_loadcnt_dscnt 0x401
	v_mul_f64_e32 v[156:157], v[4:5], v[130:131]
	v_mul_f64_e32 v[130:131], v[6:7], v[130:131]
	s_wait_loadcnt_dscnt 0x300
	v_mul_f64_e32 v[126:127], v[8:9], v[134:135]
	v_mul_f64_e32 v[134:135], v[10:11], v[134:135]
	v_add_f64_e32 v[12:13], v[14:15], v[12:13]
	v_add_f64_e32 v[14:15], v[148:149], v[166:167]
	v_fmac_f64_e32 v[156:157], v[6:7], v[128:129]
	v_fma_f64 v[128:129], v[4:5], v[128:129], -v[130:131]
	v_fmac_f64_e32 v[126:127], v[10:11], v[132:133]
	v_fma_f64 v[8:9], v[8:9], v[132:133], -v[134:135]
	v_add_f64_e32 v[124:125], v[12:13], v[124:125]
	v_add_f64_e32 v[130:131], v[14:15], v[150:151]
	ds_load_b128 v[4:7], v2 offset:1648
	ds_load_b128 v[12:15], v2 offset:1664
	s_wait_loadcnt_dscnt 0x201
	v_mul_f64_e32 v[148:149], v[4:5], v[138:139]
	v_mul_f64_e32 v[138:139], v[6:7], v[138:139]
	v_add_f64_e32 v[10:11], v[124:125], v[128:129]
	v_add_f64_e32 v[124:125], v[130:131], v[156:157]
	s_wait_loadcnt_dscnt 0x100
	v_mul_f64_e32 v[128:129], v[12:13], v[142:143]
	v_mul_f64_e32 v[130:131], v[14:15], v[142:143]
	v_fmac_f64_e32 v[148:149], v[6:7], v[136:137]
	v_fma_f64 v[132:133], v[4:5], v[136:137], -v[138:139]
	ds_load_b128 v[4:7], v2 offset:1680
	v_add_f64_e32 v[8:9], v[10:11], v[8:9]
	v_add_f64_e32 v[10:11], v[124:125], v[126:127]
	v_fmac_f64_e32 v[128:129], v[14:15], v[140:141]
	v_fma_f64 v[12:13], v[12:13], v[140:141], -v[130:131]
	s_wait_loadcnt_dscnt 0x0
	v_mul_f64_e32 v[124:125], v[4:5], v[146:147]
	v_mul_f64_e32 v[126:127], v[6:7], v[146:147]
	v_add_f64_e32 v[8:9], v[8:9], v[132:133]
	v_add_f64_e32 v[10:11], v[10:11], v[148:149]
	s_delay_alu instid0(VALU_DEP_4) | instskip(NEXT) | instid1(VALU_DEP_4)
	v_fmac_f64_e32 v[124:125], v[6:7], v[144:145]
	v_fma_f64 v[4:5], v[4:5], v[144:145], -v[126:127]
	s_delay_alu instid0(VALU_DEP_4) | instskip(NEXT) | instid1(VALU_DEP_4)
	v_add_f64_e32 v[6:7], v[8:9], v[12:13]
	v_add_f64_e32 v[8:9], v[10:11], v[128:129]
	s_delay_alu instid0(VALU_DEP_2) | instskip(NEXT) | instid1(VALU_DEP_2)
	v_add_f64_e32 v[4:5], v[6:7], v[4:5]
	v_add_f64_e32 v[6:7], v[8:9], v[124:125]
	s_delay_alu instid0(VALU_DEP_2) | instskip(NEXT) | instid1(VALU_DEP_2)
	v_add_f64_e64 v[4:5], v[160:161], -v[4:5]
	v_add_f64_e64 v[6:7], v[162:163], -v[6:7]
	scratch_store_b128 off, v[4:7], off offset:496
	s_wait_xcnt 0x0
	v_cmpx_lt_u32_e32 30, v1
	s_cbranch_execz .LBB116_271
; %bb.270:
	scratch_load_b128 v[6:9], off, s39
	v_dual_mov_b32 v3, v2 :: v_dual_mov_b32 v4, v2
	v_mov_b32_e32 v5, v2
	scratch_store_b128 off, v[2:5], off offset:480
	s_wait_loadcnt 0x0
	ds_store_b128 v122, v[6:9]
.LBB116_271:
	s_wait_xcnt 0x0
	s_or_b32 exec_lo, exec_lo, s2
	s_wait_storecnt_dscnt 0x0
	s_barrier_signal -1
	s_barrier_wait -1
	s_clause 0x9
	scratch_load_b128 v[4:7], off, off offset:496
	scratch_load_b128 v[8:11], off, off offset:512
	;; [unrolled: 1-line block ×10, first 2 shown]
	ds_load_b128 v[152:155], v2 offset:1344
	ds_load_b128 v[160:163], v2 offset:1360
	s_clause 0x2
	scratch_load_b128 v[156:159], off, off offset:656
	scratch_load_b128 v[164:167], off, off offset:480
	;; [unrolled: 1-line block ×3, first 2 shown]
	s_mov_b32 s2, exec_lo
	s_wait_loadcnt_dscnt 0xc01
	v_mul_f64_e32 v[172:173], v[154:155], v[6:7]
	v_mul_f64_e32 v[176:177], v[152:153], v[6:7]
	s_wait_loadcnt_dscnt 0xb00
	v_mul_f64_e32 v[178:179], v[160:161], v[10:11]
	v_mul_f64_e32 v[10:11], v[162:163], v[10:11]
	s_delay_alu instid0(VALU_DEP_4) | instskip(NEXT) | instid1(VALU_DEP_4)
	v_fma_f64 v[180:181], v[152:153], v[4:5], -v[172:173]
	v_fmac_f64_e32 v[176:177], v[154:155], v[4:5]
	ds_load_b128 v[4:7], v2 offset:1376
	ds_load_b128 v[152:155], v2 offset:1392
	scratch_load_b128 v[172:175], off, off offset:688
	v_fmac_f64_e32 v[178:179], v[162:163], v[8:9]
	v_fma_f64 v[160:161], v[160:161], v[8:9], -v[10:11]
	scratch_load_b128 v[8:11], off, off offset:704
	s_wait_loadcnt_dscnt 0xc01
	v_mul_f64_e32 v[182:183], v[4:5], v[14:15]
	v_mul_f64_e32 v[14:15], v[6:7], v[14:15]
	v_add_f64_e32 v[162:163], 0, v[180:181]
	v_add_f64_e32 v[176:177], 0, v[176:177]
	s_wait_loadcnt_dscnt 0xb00
	v_mul_f64_e32 v[180:181], v[152:153], v[126:127]
	v_mul_f64_e32 v[126:127], v[154:155], v[126:127]
	v_fmac_f64_e32 v[182:183], v[6:7], v[12:13]
	v_fma_f64 v[184:185], v[4:5], v[12:13], -v[14:15]
	ds_load_b128 v[4:7], v2 offset:1408
	ds_load_b128 v[12:15], v2 offset:1424
	v_add_f64_e32 v[186:187], v[162:163], v[160:161]
	v_add_f64_e32 v[176:177], v[176:177], v[178:179]
	scratch_load_b128 v[160:163], off, off offset:720
	v_fmac_f64_e32 v[180:181], v[154:155], v[124:125]
	v_fma_f64 v[152:153], v[152:153], v[124:125], -v[126:127]
	scratch_load_b128 v[124:127], off, off offset:736
	s_wait_loadcnt_dscnt 0xc01
	v_mul_f64_e32 v[178:179], v[4:5], v[130:131]
	v_mul_f64_e32 v[130:131], v[6:7], v[130:131]
	v_add_f64_e32 v[154:155], v[186:187], v[184:185]
	v_add_f64_e32 v[176:177], v[176:177], v[182:183]
	s_wait_loadcnt_dscnt 0xb00
	v_mul_f64_e32 v[182:183], v[12:13], v[134:135]
	v_mul_f64_e32 v[134:135], v[14:15], v[134:135]
	v_fmac_f64_e32 v[178:179], v[6:7], v[128:129]
	v_fma_f64 v[184:185], v[4:5], v[128:129], -v[130:131]
	ds_load_b128 v[4:7], v2 offset:1440
	ds_load_b128 v[128:131], v2 offset:1456
	v_add_f64_e32 v[186:187], v[154:155], v[152:153]
	v_add_f64_e32 v[176:177], v[176:177], v[180:181]
	scratch_load_b128 v[152:155], off, off offset:752
	s_wait_loadcnt_dscnt 0xb01
	v_mul_f64_e32 v[180:181], v[4:5], v[138:139]
	v_mul_f64_e32 v[138:139], v[6:7], v[138:139]
	v_fmac_f64_e32 v[182:183], v[14:15], v[132:133]
	v_fma_f64 v[132:133], v[12:13], v[132:133], -v[134:135]
	scratch_load_b128 v[12:15], off, off offset:768
	v_add_f64_e32 v[134:135], v[186:187], v[184:185]
	v_add_f64_e32 v[176:177], v[176:177], v[178:179]
	s_wait_loadcnt_dscnt 0xb00
	v_mul_f64_e32 v[178:179], v[128:129], v[142:143]
	v_mul_f64_e32 v[142:143], v[130:131], v[142:143]
	v_fmac_f64_e32 v[180:181], v[6:7], v[136:137]
	v_fma_f64 v[184:185], v[4:5], v[136:137], -v[138:139]
	v_add_f64_e32 v[186:187], v[134:135], v[132:133]
	v_add_f64_e32 v[176:177], v[176:177], v[182:183]
	ds_load_b128 v[4:7], v2 offset:1472
	ds_load_b128 v[132:135], v2 offset:1488
	scratch_load_b128 v[136:139], off, off offset:784
	v_fmac_f64_e32 v[178:179], v[130:131], v[140:141]
	v_fma_f64 v[140:141], v[128:129], v[140:141], -v[142:143]
	scratch_load_b128 v[128:131], off, off offset:800
	s_wait_loadcnt_dscnt 0xc01
	v_mul_f64_e32 v[182:183], v[4:5], v[146:147]
	v_mul_f64_e32 v[146:147], v[6:7], v[146:147]
	v_add_f64_e32 v[142:143], v[186:187], v[184:185]
	v_add_f64_e32 v[176:177], v[176:177], v[180:181]
	s_wait_loadcnt_dscnt 0xb00
	v_mul_f64_e32 v[180:181], v[132:133], v[150:151]
	v_mul_f64_e32 v[150:151], v[134:135], v[150:151]
	v_fmac_f64_e32 v[182:183], v[6:7], v[144:145]
	v_fma_f64 v[184:185], v[4:5], v[144:145], -v[146:147]
	v_add_f64_e32 v[186:187], v[142:143], v[140:141]
	v_add_f64_e32 v[176:177], v[176:177], v[178:179]
	ds_load_b128 v[4:7], v2 offset:1504
	ds_load_b128 v[140:143], v2 offset:1520
	scratch_load_b128 v[144:147], off, off offset:816
	v_fmac_f64_e32 v[180:181], v[134:135], v[148:149]
	v_fma_f64 v[148:149], v[132:133], v[148:149], -v[150:151]
	scratch_load_b128 v[132:135], off, off offset:832
	s_wait_loadcnt_dscnt 0xc01
	v_mul_f64_e32 v[178:179], v[4:5], v[158:159]
	v_mul_f64_e32 v[158:159], v[6:7], v[158:159]
	v_add_f64_e32 v[150:151], v[186:187], v[184:185]
	v_add_f64_e32 v[176:177], v[176:177], v[182:183]
	s_wait_loadcnt_dscnt 0xa00
	v_mul_f64_e32 v[182:183], v[140:141], v[170:171]
	v_mul_f64_e32 v[170:171], v[142:143], v[170:171]
	v_fmac_f64_e32 v[178:179], v[6:7], v[156:157]
	v_fma_f64 v[156:157], v[4:5], v[156:157], -v[158:159]
	v_add_f64_e32 v[158:159], v[150:151], v[148:149]
	v_add_f64_e32 v[176:177], v[176:177], v[180:181]
	ds_load_b128 v[4:7], v2 offset:1536
	ds_load_b128 v[148:151], v2 offset:1552
	v_fmac_f64_e32 v[182:183], v[142:143], v[168:169]
	v_fma_f64 v[140:141], v[140:141], v[168:169], -v[170:171]
	s_wait_loadcnt_dscnt 0x901
	v_mul_f64_e32 v[180:181], v[4:5], v[174:175]
	v_mul_f64_e32 v[174:175], v[6:7], v[174:175]
	v_add_f64_e32 v[142:143], v[158:159], v[156:157]
	v_add_f64_e32 v[156:157], v[176:177], v[178:179]
	s_wait_loadcnt_dscnt 0x800
	v_mul_f64_e32 v[158:159], v[148:149], v[10:11]
	v_mul_f64_e32 v[10:11], v[150:151], v[10:11]
	v_fmac_f64_e32 v[180:181], v[6:7], v[172:173]
	v_fma_f64 v[168:169], v[4:5], v[172:173], -v[174:175]
	v_add_f64_e32 v[170:171], v[142:143], v[140:141]
	v_add_f64_e32 v[156:157], v[156:157], v[182:183]
	ds_load_b128 v[4:7], v2 offset:1568
	ds_load_b128 v[140:143], v2 offset:1584
	v_fmac_f64_e32 v[158:159], v[150:151], v[8:9]
	v_fma_f64 v[8:9], v[148:149], v[8:9], -v[10:11]
	s_wait_loadcnt_dscnt 0x701
	v_mul_f64_e32 v[172:173], v[4:5], v[162:163]
	v_mul_f64_e32 v[162:163], v[6:7], v[162:163]
	s_wait_loadcnt_dscnt 0x600
	v_mul_f64_e32 v[150:151], v[140:141], v[126:127]
	v_mul_f64_e32 v[126:127], v[142:143], v[126:127]
	v_add_f64_e32 v[10:11], v[170:171], v[168:169]
	v_add_f64_e32 v[148:149], v[156:157], v[180:181]
	v_fmac_f64_e32 v[172:173], v[6:7], v[160:161]
	v_fma_f64 v[156:157], v[4:5], v[160:161], -v[162:163]
	v_fmac_f64_e32 v[150:151], v[142:143], v[124:125]
	v_fma_f64 v[124:125], v[140:141], v[124:125], -v[126:127]
	v_add_f64_e32 v[160:161], v[10:11], v[8:9]
	v_add_f64_e32 v[148:149], v[148:149], v[158:159]
	ds_load_b128 v[4:7], v2 offset:1600
	ds_load_b128 v[8:11], v2 offset:1616
	s_wait_loadcnt_dscnt 0x501
	v_mul_f64_e32 v[158:159], v[4:5], v[154:155]
	v_mul_f64_e32 v[154:155], v[6:7], v[154:155]
	s_wait_loadcnt_dscnt 0x400
	v_mul_f64_e32 v[142:143], v[8:9], v[14:15]
	v_mul_f64_e32 v[14:15], v[10:11], v[14:15]
	v_add_f64_e32 v[126:127], v[160:161], v[156:157]
	v_add_f64_e32 v[140:141], v[148:149], v[172:173]
	v_fmac_f64_e32 v[158:159], v[6:7], v[152:153]
	v_fma_f64 v[148:149], v[4:5], v[152:153], -v[154:155]
	v_fmac_f64_e32 v[142:143], v[10:11], v[12:13]
	v_fma_f64 v[8:9], v[8:9], v[12:13], -v[14:15]
	v_add_f64_e32 v[152:153], v[126:127], v[124:125]
	v_add_f64_e32 v[140:141], v[140:141], v[150:151]
	ds_load_b128 v[4:7], v2 offset:1632
	ds_load_b128 v[124:127], v2 offset:1648
	;; [unrolled: 16-line block ×3, first 2 shown]
	s_wait_loadcnt_dscnt 0x101
	v_mul_f64_e32 v[2:3], v[4:5], v[146:147]
	v_mul_f64_e32 v[140:141], v[6:7], v[146:147]
	s_wait_loadcnt_dscnt 0x0
	v_mul_f64_e32 v[128:129], v[8:9], v[134:135]
	v_mul_f64_e32 v[130:131], v[10:11], v[134:135]
	v_add_f64_e32 v[126:127], v[138:139], v[136:137]
	v_add_f64_e32 v[12:13], v[12:13], v[150:151]
	v_fmac_f64_e32 v[2:3], v[6:7], v[144:145]
	v_fma_f64 v[4:5], v[4:5], v[144:145], -v[140:141]
	v_fmac_f64_e32 v[128:129], v[10:11], v[132:133]
	v_fma_f64 v[8:9], v[8:9], v[132:133], -v[130:131]
	v_add_f64_e32 v[6:7], v[126:127], v[124:125]
	v_add_f64_e32 v[12:13], v[12:13], v[14:15]
	s_delay_alu instid0(VALU_DEP_2) | instskip(NEXT) | instid1(VALU_DEP_2)
	v_add_f64_e32 v[4:5], v[6:7], v[4:5]
	v_add_f64_e32 v[2:3], v[12:13], v[2:3]
	s_delay_alu instid0(VALU_DEP_2) | instskip(NEXT) | instid1(VALU_DEP_2)
	;; [unrolled: 3-line block ×3, first 2 shown]
	v_add_f64_e64 v[2:3], v[164:165], -v[4:5]
	v_add_f64_e64 v[4:5], v[166:167], -v[6:7]
	scratch_store_b128 off, v[2:5], off offset:480
	s_wait_xcnt 0x0
	v_cmpx_lt_u32_e32 29, v1
	s_cbranch_execz .LBB116_273
; %bb.272:
	scratch_load_b128 v[2:5], off, s40
	v_mov_b32_e32 v6, 0
	s_delay_alu instid0(VALU_DEP_1)
	v_dual_mov_b32 v7, v6 :: v_dual_mov_b32 v8, v6
	v_mov_b32_e32 v9, v6
	scratch_store_b128 off, v[6:9], off offset:464
	s_wait_loadcnt 0x0
	ds_store_b128 v122, v[2:5]
.LBB116_273:
	s_wait_xcnt 0x0
	s_or_b32 exec_lo, exec_lo, s2
	s_wait_storecnt_dscnt 0x0
	s_barrier_signal -1
	s_barrier_wait -1
	s_clause 0x9
	scratch_load_b128 v[4:7], off, off offset:480
	scratch_load_b128 v[8:11], off, off offset:496
	scratch_load_b128 v[12:15], off, off offset:512
	scratch_load_b128 v[124:127], off, off offset:528
	scratch_load_b128 v[128:131], off, off offset:544
	scratch_load_b128 v[132:135], off, off offset:560
	scratch_load_b128 v[136:139], off, off offset:576
	scratch_load_b128 v[140:143], off, off offset:592
	scratch_load_b128 v[144:147], off, off offset:608
	scratch_load_b128 v[148:151], off, off offset:624
	v_mov_b32_e32 v2, 0
	s_mov_b32 s2, exec_lo
	ds_load_b128 v[152:155], v2 offset:1328
	s_clause 0x2
	scratch_load_b128 v[156:159], off, off offset:640
	scratch_load_b128 v[160:163], off, off offset:464
	;; [unrolled: 1-line block ×3, first 2 shown]
	s_wait_loadcnt_dscnt 0xc00
	v_mul_f64_e32 v[172:173], v[154:155], v[6:7]
	v_mul_f64_e32 v[176:177], v[152:153], v[6:7]
	ds_load_b128 v[164:167], v2 offset:1344
	v_fma_f64 v[180:181], v[152:153], v[4:5], -v[172:173]
	v_fmac_f64_e32 v[176:177], v[154:155], v[4:5]
	ds_load_b128 v[4:7], v2 offset:1360
	s_wait_loadcnt_dscnt 0xb01
	v_mul_f64_e32 v[178:179], v[164:165], v[10:11]
	v_mul_f64_e32 v[10:11], v[166:167], v[10:11]
	scratch_load_b128 v[152:155], off, off offset:672
	ds_load_b128 v[172:175], v2 offset:1376
	s_wait_loadcnt_dscnt 0xb01
	v_mul_f64_e32 v[182:183], v[4:5], v[14:15]
	v_mul_f64_e32 v[14:15], v[6:7], v[14:15]
	v_add_f64_e32 v[176:177], 0, v[176:177]
	v_fmac_f64_e32 v[178:179], v[166:167], v[8:9]
	v_fma_f64 v[164:165], v[164:165], v[8:9], -v[10:11]
	v_add_f64_e32 v[166:167], 0, v[180:181]
	scratch_load_b128 v[8:11], off, off offset:688
	v_fmac_f64_e32 v[182:183], v[6:7], v[12:13]
	v_fma_f64 v[184:185], v[4:5], v[12:13], -v[14:15]
	ds_load_b128 v[4:7], v2 offset:1392
	s_wait_loadcnt_dscnt 0xb01
	v_mul_f64_e32 v[180:181], v[172:173], v[126:127]
	v_mul_f64_e32 v[126:127], v[174:175], v[126:127]
	scratch_load_b128 v[12:15], off, off offset:704
	v_add_f64_e32 v[176:177], v[176:177], v[178:179]
	v_add_f64_e32 v[186:187], v[166:167], v[164:165]
	ds_load_b128 v[164:167], v2 offset:1408
	s_wait_loadcnt_dscnt 0xb01
	v_mul_f64_e32 v[178:179], v[4:5], v[130:131]
	v_mul_f64_e32 v[130:131], v[6:7], v[130:131]
	v_fmac_f64_e32 v[180:181], v[174:175], v[124:125]
	v_fma_f64 v[172:173], v[172:173], v[124:125], -v[126:127]
	scratch_load_b128 v[124:127], off, off offset:720
	v_add_f64_e32 v[176:177], v[176:177], v[182:183]
	v_add_f64_e32 v[174:175], v[186:187], v[184:185]
	v_fmac_f64_e32 v[178:179], v[6:7], v[128:129]
	v_fma_f64 v[184:185], v[4:5], v[128:129], -v[130:131]
	ds_load_b128 v[4:7], v2 offset:1424
	s_wait_loadcnt_dscnt 0xb01
	v_mul_f64_e32 v[182:183], v[164:165], v[134:135]
	v_mul_f64_e32 v[134:135], v[166:167], v[134:135]
	scratch_load_b128 v[128:131], off, off offset:736
	v_add_f64_e32 v[176:177], v[176:177], v[180:181]
	s_wait_loadcnt_dscnt 0xb00
	v_mul_f64_e32 v[180:181], v[4:5], v[138:139]
	v_add_f64_e32 v[186:187], v[174:175], v[172:173]
	v_mul_f64_e32 v[138:139], v[6:7], v[138:139]
	ds_load_b128 v[172:175], v2 offset:1440
	v_fmac_f64_e32 v[182:183], v[166:167], v[132:133]
	v_fma_f64 v[164:165], v[164:165], v[132:133], -v[134:135]
	scratch_load_b128 v[132:135], off, off offset:752
	v_add_f64_e32 v[176:177], v[176:177], v[178:179]
	v_fmac_f64_e32 v[180:181], v[6:7], v[136:137]
	v_add_f64_e32 v[166:167], v[186:187], v[184:185]
	v_fma_f64 v[184:185], v[4:5], v[136:137], -v[138:139]
	ds_load_b128 v[4:7], v2 offset:1456
	s_wait_loadcnt_dscnt 0xb01
	v_mul_f64_e32 v[178:179], v[172:173], v[142:143]
	v_mul_f64_e32 v[142:143], v[174:175], v[142:143]
	scratch_load_b128 v[136:139], off, off offset:768
	v_add_f64_e32 v[176:177], v[176:177], v[182:183]
	s_wait_loadcnt_dscnt 0xb00
	v_mul_f64_e32 v[182:183], v[4:5], v[146:147]
	v_add_f64_e32 v[186:187], v[166:167], v[164:165]
	v_mul_f64_e32 v[146:147], v[6:7], v[146:147]
	ds_load_b128 v[164:167], v2 offset:1472
	v_fmac_f64_e32 v[178:179], v[174:175], v[140:141]
	v_fma_f64 v[172:173], v[172:173], v[140:141], -v[142:143]
	scratch_load_b128 v[140:143], off, off offset:784
	v_add_f64_e32 v[176:177], v[176:177], v[180:181]
	v_fmac_f64_e32 v[182:183], v[6:7], v[144:145]
	v_add_f64_e32 v[174:175], v[186:187], v[184:185]
	;; [unrolled: 18-line block ×3, first 2 shown]
	v_fma_f64 v[184:185], v[4:5], v[156:157], -v[158:159]
	ds_load_b128 v[4:7], v2 offset:1520
	s_wait_loadcnt_dscnt 0xa01
	v_mul_f64_e32 v[182:183], v[172:173], v[170:171]
	v_mul_f64_e32 v[170:171], v[174:175], v[170:171]
	scratch_load_b128 v[156:159], off, off offset:832
	v_add_f64_e32 v[176:177], v[176:177], v[180:181]
	v_add_f64_e32 v[186:187], v[166:167], v[164:165]
	s_wait_loadcnt_dscnt 0xa00
	v_mul_f64_e32 v[180:181], v[4:5], v[154:155]
	v_mul_f64_e32 v[154:155], v[6:7], v[154:155]
	v_fmac_f64_e32 v[182:183], v[174:175], v[168:169]
	v_fma_f64 v[168:169], v[172:173], v[168:169], -v[170:171]
	ds_load_b128 v[164:167], v2 offset:1536
	v_add_f64_e32 v[172:173], v[176:177], v[178:179]
	v_add_f64_e32 v[170:171], v[186:187], v[184:185]
	s_wait_loadcnt_dscnt 0x900
	v_mul_f64_e32 v[174:175], v[164:165], v[10:11]
	v_mul_f64_e32 v[10:11], v[166:167], v[10:11]
	v_fmac_f64_e32 v[180:181], v[6:7], v[152:153]
	v_fma_f64 v[176:177], v[4:5], v[152:153], -v[154:155]
	ds_load_b128 v[4:7], v2 offset:1552
	ds_load_b128 v[152:155], v2 offset:1568
	v_add_f64_e32 v[168:169], v[170:171], v[168:169]
	v_add_f64_e32 v[170:171], v[172:173], v[182:183]
	s_wait_loadcnt_dscnt 0x801
	v_mul_f64_e32 v[172:173], v[4:5], v[14:15]
	v_mul_f64_e32 v[14:15], v[6:7], v[14:15]
	v_fmac_f64_e32 v[174:175], v[166:167], v[8:9]
	v_fma_f64 v[8:9], v[164:165], v[8:9], -v[10:11]
	s_wait_loadcnt_dscnt 0x700
	v_mul_f64_e32 v[166:167], v[152:153], v[126:127]
	v_mul_f64_e32 v[126:127], v[154:155], v[126:127]
	v_add_f64_e32 v[10:11], v[168:169], v[176:177]
	v_add_f64_e32 v[164:165], v[170:171], v[180:181]
	v_fmac_f64_e32 v[172:173], v[6:7], v[12:13]
	v_fma_f64 v[12:13], v[4:5], v[12:13], -v[14:15]
	v_fmac_f64_e32 v[166:167], v[154:155], v[124:125]
	v_fma_f64 v[124:125], v[152:153], v[124:125], -v[126:127]
	v_add_f64_e32 v[14:15], v[10:11], v[8:9]
	v_add_f64_e32 v[164:165], v[164:165], v[174:175]
	ds_load_b128 v[4:7], v2 offset:1584
	ds_load_b128 v[8:11], v2 offset:1600
	s_wait_loadcnt_dscnt 0x601
	v_mul_f64_e32 v[168:169], v[4:5], v[130:131]
	v_mul_f64_e32 v[130:131], v[6:7], v[130:131]
	s_wait_loadcnt_dscnt 0x500
	v_mul_f64_e32 v[126:127], v[8:9], v[134:135]
	v_mul_f64_e32 v[134:135], v[10:11], v[134:135]
	v_add_f64_e32 v[12:13], v[14:15], v[12:13]
	v_add_f64_e32 v[14:15], v[164:165], v[172:173]
	v_fmac_f64_e32 v[168:169], v[6:7], v[128:129]
	v_fma_f64 v[128:129], v[4:5], v[128:129], -v[130:131]
	v_fmac_f64_e32 v[126:127], v[10:11], v[132:133]
	v_fma_f64 v[8:9], v[8:9], v[132:133], -v[134:135]
	v_add_f64_e32 v[124:125], v[12:13], v[124:125]
	v_add_f64_e32 v[130:131], v[14:15], v[166:167]
	ds_load_b128 v[4:7], v2 offset:1616
	ds_load_b128 v[12:15], v2 offset:1632
	s_wait_loadcnt_dscnt 0x401
	v_mul_f64_e32 v[152:153], v[4:5], v[138:139]
	v_mul_f64_e32 v[138:139], v[6:7], v[138:139]
	v_add_f64_e32 v[10:11], v[124:125], v[128:129]
	v_add_f64_e32 v[124:125], v[130:131], v[168:169]
	s_wait_loadcnt_dscnt 0x300
	v_mul_f64_e32 v[128:129], v[12:13], v[142:143]
	v_mul_f64_e32 v[130:131], v[14:15], v[142:143]
	v_fmac_f64_e32 v[152:153], v[6:7], v[136:137]
	v_fma_f64 v[132:133], v[4:5], v[136:137], -v[138:139]
	v_add_f64_e32 v[134:135], v[10:11], v[8:9]
	v_add_f64_e32 v[124:125], v[124:125], v[126:127]
	ds_load_b128 v[4:7], v2 offset:1648
	ds_load_b128 v[8:11], v2 offset:1664
	v_fmac_f64_e32 v[128:129], v[14:15], v[140:141]
	v_fma_f64 v[12:13], v[12:13], v[140:141], -v[130:131]
	s_wait_loadcnt_dscnt 0x201
	v_mul_f64_e32 v[126:127], v[4:5], v[146:147]
	v_mul_f64_e32 v[136:137], v[6:7], v[146:147]
	s_wait_loadcnt_dscnt 0x100
	v_mul_f64_e32 v[130:131], v[8:9], v[150:151]
	v_add_f64_e32 v[14:15], v[134:135], v[132:133]
	v_add_f64_e32 v[124:125], v[124:125], v[152:153]
	v_mul_f64_e32 v[132:133], v[10:11], v[150:151]
	v_fmac_f64_e32 v[126:127], v[6:7], v[144:145]
	v_fma_f64 v[134:135], v[4:5], v[144:145], -v[136:137]
	ds_load_b128 v[4:7], v2 offset:1680
	v_fmac_f64_e32 v[130:131], v[10:11], v[148:149]
	v_add_f64_e32 v[12:13], v[14:15], v[12:13]
	v_add_f64_e32 v[14:15], v[124:125], v[128:129]
	v_fma_f64 v[8:9], v[8:9], v[148:149], -v[132:133]
	s_wait_loadcnt_dscnt 0x0
	v_mul_f64_e32 v[124:125], v[4:5], v[158:159]
	v_mul_f64_e32 v[128:129], v[6:7], v[158:159]
	v_add_f64_e32 v[10:11], v[12:13], v[134:135]
	v_add_f64_e32 v[12:13], v[14:15], v[126:127]
	s_delay_alu instid0(VALU_DEP_4) | instskip(NEXT) | instid1(VALU_DEP_4)
	v_fmac_f64_e32 v[124:125], v[6:7], v[156:157]
	v_fma_f64 v[4:5], v[4:5], v[156:157], -v[128:129]
	s_delay_alu instid0(VALU_DEP_4) | instskip(NEXT) | instid1(VALU_DEP_4)
	v_add_f64_e32 v[6:7], v[10:11], v[8:9]
	v_add_f64_e32 v[8:9], v[12:13], v[130:131]
	s_delay_alu instid0(VALU_DEP_2) | instskip(NEXT) | instid1(VALU_DEP_2)
	v_add_f64_e32 v[4:5], v[6:7], v[4:5]
	v_add_f64_e32 v[6:7], v[8:9], v[124:125]
	s_delay_alu instid0(VALU_DEP_2) | instskip(NEXT) | instid1(VALU_DEP_2)
	v_add_f64_e64 v[4:5], v[160:161], -v[4:5]
	v_add_f64_e64 v[6:7], v[162:163], -v[6:7]
	scratch_store_b128 off, v[4:7], off offset:464
	s_wait_xcnt 0x0
	v_cmpx_lt_u32_e32 28, v1
	s_cbranch_execz .LBB116_275
; %bb.274:
	scratch_load_b128 v[6:9], off, s41
	v_dual_mov_b32 v3, v2 :: v_dual_mov_b32 v4, v2
	v_mov_b32_e32 v5, v2
	scratch_store_b128 off, v[2:5], off offset:448
	s_wait_loadcnt 0x0
	ds_store_b128 v122, v[6:9]
.LBB116_275:
	s_wait_xcnt 0x0
	s_or_b32 exec_lo, exec_lo, s2
	s_wait_storecnt_dscnt 0x0
	s_barrier_signal -1
	s_barrier_wait -1
	s_clause 0x9
	scratch_load_b128 v[4:7], off, off offset:464
	scratch_load_b128 v[8:11], off, off offset:480
	;; [unrolled: 1-line block ×10, first 2 shown]
	ds_load_b128 v[152:155], v2 offset:1312
	ds_load_b128 v[160:163], v2 offset:1328
	s_clause 0x2
	scratch_load_b128 v[156:159], off, off offset:624
	scratch_load_b128 v[164:167], off, off offset:448
	;; [unrolled: 1-line block ×3, first 2 shown]
	s_mov_b32 s2, exec_lo
	s_wait_loadcnt_dscnt 0xc01
	v_mul_f64_e32 v[172:173], v[154:155], v[6:7]
	v_mul_f64_e32 v[176:177], v[152:153], v[6:7]
	s_wait_loadcnt_dscnt 0xb00
	v_mul_f64_e32 v[178:179], v[160:161], v[10:11]
	v_mul_f64_e32 v[10:11], v[162:163], v[10:11]
	s_delay_alu instid0(VALU_DEP_4) | instskip(NEXT) | instid1(VALU_DEP_4)
	v_fma_f64 v[180:181], v[152:153], v[4:5], -v[172:173]
	v_fmac_f64_e32 v[176:177], v[154:155], v[4:5]
	ds_load_b128 v[4:7], v2 offset:1344
	ds_load_b128 v[152:155], v2 offset:1360
	scratch_load_b128 v[172:175], off, off offset:656
	v_fmac_f64_e32 v[178:179], v[162:163], v[8:9]
	v_fma_f64 v[160:161], v[160:161], v[8:9], -v[10:11]
	scratch_load_b128 v[8:11], off, off offset:672
	s_wait_loadcnt_dscnt 0xc01
	v_mul_f64_e32 v[182:183], v[4:5], v[14:15]
	v_mul_f64_e32 v[14:15], v[6:7], v[14:15]
	v_add_f64_e32 v[162:163], 0, v[180:181]
	v_add_f64_e32 v[176:177], 0, v[176:177]
	s_wait_loadcnt_dscnt 0xb00
	v_mul_f64_e32 v[180:181], v[152:153], v[126:127]
	v_mul_f64_e32 v[126:127], v[154:155], v[126:127]
	v_fmac_f64_e32 v[182:183], v[6:7], v[12:13]
	v_fma_f64 v[184:185], v[4:5], v[12:13], -v[14:15]
	ds_load_b128 v[4:7], v2 offset:1376
	ds_load_b128 v[12:15], v2 offset:1392
	v_add_f64_e32 v[186:187], v[162:163], v[160:161]
	v_add_f64_e32 v[176:177], v[176:177], v[178:179]
	scratch_load_b128 v[160:163], off, off offset:688
	v_fmac_f64_e32 v[180:181], v[154:155], v[124:125]
	v_fma_f64 v[152:153], v[152:153], v[124:125], -v[126:127]
	scratch_load_b128 v[124:127], off, off offset:704
	s_wait_loadcnt_dscnt 0xc01
	v_mul_f64_e32 v[178:179], v[4:5], v[130:131]
	v_mul_f64_e32 v[130:131], v[6:7], v[130:131]
	v_add_f64_e32 v[154:155], v[186:187], v[184:185]
	v_add_f64_e32 v[176:177], v[176:177], v[182:183]
	s_wait_loadcnt_dscnt 0xb00
	v_mul_f64_e32 v[182:183], v[12:13], v[134:135]
	v_mul_f64_e32 v[134:135], v[14:15], v[134:135]
	v_fmac_f64_e32 v[178:179], v[6:7], v[128:129]
	v_fma_f64 v[184:185], v[4:5], v[128:129], -v[130:131]
	ds_load_b128 v[4:7], v2 offset:1408
	ds_load_b128 v[128:131], v2 offset:1424
	v_add_f64_e32 v[186:187], v[154:155], v[152:153]
	v_add_f64_e32 v[176:177], v[176:177], v[180:181]
	scratch_load_b128 v[152:155], off, off offset:720
	s_wait_loadcnt_dscnt 0xb01
	v_mul_f64_e32 v[180:181], v[4:5], v[138:139]
	v_mul_f64_e32 v[138:139], v[6:7], v[138:139]
	v_fmac_f64_e32 v[182:183], v[14:15], v[132:133]
	v_fma_f64 v[132:133], v[12:13], v[132:133], -v[134:135]
	scratch_load_b128 v[12:15], off, off offset:736
	v_add_f64_e32 v[134:135], v[186:187], v[184:185]
	v_add_f64_e32 v[176:177], v[176:177], v[178:179]
	s_wait_loadcnt_dscnt 0xb00
	v_mul_f64_e32 v[178:179], v[128:129], v[142:143]
	v_mul_f64_e32 v[142:143], v[130:131], v[142:143]
	v_fmac_f64_e32 v[180:181], v[6:7], v[136:137]
	v_fma_f64 v[184:185], v[4:5], v[136:137], -v[138:139]
	v_add_f64_e32 v[186:187], v[134:135], v[132:133]
	v_add_f64_e32 v[176:177], v[176:177], v[182:183]
	ds_load_b128 v[4:7], v2 offset:1440
	ds_load_b128 v[132:135], v2 offset:1456
	scratch_load_b128 v[136:139], off, off offset:752
	v_fmac_f64_e32 v[178:179], v[130:131], v[140:141]
	v_fma_f64 v[140:141], v[128:129], v[140:141], -v[142:143]
	scratch_load_b128 v[128:131], off, off offset:768
	s_wait_loadcnt_dscnt 0xc01
	v_mul_f64_e32 v[182:183], v[4:5], v[146:147]
	v_mul_f64_e32 v[146:147], v[6:7], v[146:147]
	v_add_f64_e32 v[142:143], v[186:187], v[184:185]
	v_add_f64_e32 v[176:177], v[176:177], v[180:181]
	s_wait_loadcnt_dscnt 0xb00
	v_mul_f64_e32 v[180:181], v[132:133], v[150:151]
	v_mul_f64_e32 v[150:151], v[134:135], v[150:151]
	v_fmac_f64_e32 v[182:183], v[6:7], v[144:145]
	v_fma_f64 v[184:185], v[4:5], v[144:145], -v[146:147]
	v_add_f64_e32 v[186:187], v[142:143], v[140:141]
	v_add_f64_e32 v[176:177], v[176:177], v[178:179]
	ds_load_b128 v[4:7], v2 offset:1472
	ds_load_b128 v[140:143], v2 offset:1488
	scratch_load_b128 v[144:147], off, off offset:784
	v_fmac_f64_e32 v[180:181], v[134:135], v[148:149]
	v_fma_f64 v[148:149], v[132:133], v[148:149], -v[150:151]
	scratch_load_b128 v[132:135], off, off offset:800
	s_wait_loadcnt_dscnt 0xc01
	v_mul_f64_e32 v[178:179], v[4:5], v[158:159]
	v_mul_f64_e32 v[158:159], v[6:7], v[158:159]
	;; [unrolled: 18-line block ×3, first 2 shown]
	v_add_f64_e32 v[170:171], v[186:187], v[184:185]
	v_add_f64_e32 v[176:177], v[176:177], v[178:179]
	s_wait_loadcnt_dscnt 0xa00
	v_mul_f64_e32 v[178:179], v[148:149], v[10:11]
	v_mul_f64_e32 v[10:11], v[150:151], v[10:11]
	v_fmac_f64_e32 v[180:181], v[6:7], v[172:173]
	v_fma_f64 v[172:173], v[4:5], v[172:173], -v[174:175]
	v_add_f64_e32 v[174:175], v[170:171], v[168:169]
	v_add_f64_e32 v[176:177], v[176:177], v[182:183]
	ds_load_b128 v[4:7], v2 offset:1536
	ds_load_b128 v[168:171], v2 offset:1552
	v_fmac_f64_e32 v[178:179], v[150:151], v[8:9]
	v_fma_f64 v[8:9], v[148:149], v[8:9], -v[10:11]
	s_wait_loadcnt_dscnt 0x901
	v_mul_f64_e32 v[182:183], v[4:5], v[162:163]
	v_mul_f64_e32 v[162:163], v[6:7], v[162:163]
	s_wait_loadcnt_dscnt 0x800
	v_mul_f64_e32 v[150:151], v[168:169], v[126:127]
	v_mul_f64_e32 v[126:127], v[170:171], v[126:127]
	v_add_f64_e32 v[10:11], v[174:175], v[172:173]
	v_add_f64_e32 v[148:149], v[176:177], v[180:181]
	v_fmac_f64_e32 v[182:183], v[6:7], v[160:161]
	v_fma_f64 v[160:161], v[4:5], v[160:161], -v[162:163]
	v_fmac_f64_e32 v[150:151], v[170:171], v[124:125]
	v_fma_f64 v[124:125], v[168:169], v[124:125], -v[126:127]
	v_add_f64_e32 v[162:163], v[10:11], v[8:9]
	v_add_f64_e32 v[148:149], v[148:149], v[178:179]
	ds_load_b128 v[4:7], v2 offset:1568
	ds_load_b128 v[8:11], v2 offset:1584
	s_wait_loadcnt_dscnt 0x701
	v_mul_f64_e32 v[172:173], v[4:5], v[154:155]
	v_mul_f64_e32 v[154:155], v[6:7], v[154:155]
	v_add_f64_e32 v[126:127], v[162:163], v[160:161]
	v_add_f64_e32 v[148:149], v[148:149], v[182:183]
	s_wait_loadcnt_dscnt 0x600
	v_mul_f64_e32 v[160:161], v[8:9], v[14:15]
	v_mul_f64_e32 v[14:15], v[10:11], v[14:15]
	v_fmac_f64_e32 v[172:173], v[6:7], v[152:153]
	v_fma_f64 v[152:153], v[4:5], v[152:153], -v[154:155]
	v_add_f64_e32 v[154:155], v[126:127], v[124:125]
	v_add_f64_e32 v[148:149], v[148:149], v[150:151]
	ds_load_b128 v[4:7], v2 offset:1600
	ds_load_b128 v[124:127], v2 offset:1616
	v_fmac_f64_e32 v[160:161], v[10:11], v[12:13]
	v_fma_f64 v[8:9], v[8:9], v[12:13], -v[14:15]
	s_wait_loadcnt_dscnt 0x501
	v_mul_f64_e32 v[150:151], v[4:5], v[138:139]
	v_mul_f64_e32 v[138:139], v[6:7], v[138:139]
	s_wait_loadcnt_dscnt 0x400
	v_mul_f64_e32 v[14:15], v[124:125], v[130:131]
	v_mul_f64_e32 v[130:131], v[126:127], v[130:131]
	v_add_f64_e32 v[10:11], v[154:155], v[152:153]
	v_add_f64_e32 v[12:13], v[148:149], v[172:173]
	v_fmac_f64_e32 v[150:151], v[6:7], v[136:137]
	v_fma_f64 v[136:137], v[4:5], v[136:137], -v[138:139]
	v_fmac_f64_e32 v[14:15], v[126:127], v[128:129]
	v_fma_f64 v[124:125], v[124:125], v[128:129], -v[130:131]
	v_add_f64_e32 v[138:139], v[10:11], v[8:9]
	v_add_f64_e32 v[12:13], v[12:13], v[160:161]
	ds_load_b128 v[4:7], v2 offset:1632
	ds_load_b128 v[8:11], v2 offset:1648
	s_wait_loadcnt_dscnt 0x301
	v_mul_f64_e32 v[148:149], v[4:5], v[146:147]
	v_mul_f64_e32 v[146:147], v[6:7], v[146:147]
	s_wait_loadcnt_dscnt 0x200
	v_mul_f64_e32 v[128:129], v[8:9], v[134:135]
	v_mul_f64_e32 v[130:131], v[10:11], v[134:135]
	v_add_f64_e32 v[126:127], v[138:139], v[136:137]
	v_add_f64_e32 v[12:13], v[12:13], v[150:151]
	v_fmac_f64_e32 v[148:149], v[6:7], v[144:145]
	v_fma_f64 v[134:135], v[4:5], v[144:145], -v[146:147]
	v_fmac_f64_e32 v[128:129], v[10:11], v[132:133]
	v_fma_f64 v[8:9], v[8:9], v[132:133], -v[130:131]
	v_add_f64_e32 v[124:125], v[126:127], v[124:125]
	v_add_f64_e32 v[126:127], v[12:13], v[14:15]
	ds_load_b128 v[4:7], v2 offset:1664
	ds_load_b128 v[12:15], v2 offset:1680
	s_wait_loadcnt_dscnt 0x101
	v_mul_f64_e32 v[2:3], v[4:5], v[158:159]
	v_mul_f64_e32 v[136:137], v[6:7], v[158:159]
	s_wait_loadcnt_dscnt 0x0
	v_mul_f64_e32 v[130:131], v[14:15], v[142:143]
	v_add_f64_e32 v[10:11], v[124:125], v[134:135]
	v_add_f64_e32 v[124:125], v[126:127], v[148:149]
	v_mul_f64_e32 v[126:127], v[12:13], v[142:143]
	v_fmac_f64_e32 v[2:3], v[6:7], v[156:157]
	v_fma_f64 v[4:5], v[4:5], v[156:157], -v[136:137]
	v_add_f64_e32 v[6:7], v[10:11], v[8:9]
	v_add_f64_e32 v[8:9], v[124:125], v[128:129]
	v_fmac_f64_e32 v[126:127], v[14:15], v[140:141]
	v_fma_f64 v[10:11], v[12:13], v[140:141], -v[130:131]
	s_delay_alu instid0(VALU_DEP_4) | instskip(NEXT) | instid1(VALU_DEP_4)
	v_add_f64_e32 v[4:5], v[6:7], v[4:5]
	v_add_f64_e32 v[2:3], v[8:9], v[2:3]
	s_delay_alu instid0(VALU_DEP_2) | instskip(NEXT) | instid1(VALU_DEP_2)
	v_add_f64_e32 v[4:5], v[4:5], v[10:11]
	v_add_f64_e32 v[6:7], v[2:3], v[126:127]
	s_delay_alu instid0(VALU_DEP_2) | instskip(NEXT) | instid1(VALU_DEP_2)
	v_add_f64_e64 v[2:3], v[164:165], -v[4:5]
	v_add_f64_e64 v[4:5], v[166:167], -v[6:7]
	scratch_store_b128 off, v[2:5], off offset:448
	s_wait_xcnt 0x0
	v_cmpx_lt_u32_e32 27, v1
	s_cbranch_execz .LBB116_277
; %bb.276:
	scratch_load_b128 v[2:5], off, s42
	v_mov_b32_e32 v6, 0
	s_delay_alu instid0(VALU_DEP_1)
	v_dual_mov_b32 v7, v6 :: v_dual_mov_b32 v8, v6
	v_mov_b32_e32 v9, v6
	scratch_store_b128 off, v[6:9], off offset:432
	s_wait_loadcnt 0x0
	ds_store_b128 v122, v[2:5]
.LBB116_277:
	s_wait_xcnt 0x0
	s_or_b32 exec_lo, exec_lo, s2
	s_wait_storecnt_dscnt 0x0
	s_barrier_signal -1
	s_barrier_wait -1
	s_clause 0x9
	scratch_load_b128 v[4:7], off, off offset:448
	scratch_load_b128 v[8:11], off, off offset:464
	;; [unrolled: 1-line block ×10, first 2 shown]
	v_mov_b32_e32 v2, 0
	s_mov_b32 s2, exec_lo
	ds_load_b128 v[152:155], v2 offset:1296
	s_clause 0x2
	scratch_load_b128 v[156:159], off, off offset:608
	scratch_load_b128 v[160:163], off, off offset:432
	scratch_load_b128 v[168:171], off, off offset:624
	s_wait_loadcnt_dscnt 0xc00
	v_mul_f64_e32 v[172:173], v[154:155], v[6:7]
	v_mul_f64_e32 v[176:177], v[152:153], v[6:7]
	ds_load_b128 v[164:167], v2 offset:1312
	v_fma_f64 v[180:181], v[152:153], v[4:5], -v[172:173]
	v_fmac_f64_e32 v[176:177], v[154:155], v[4:5]
	ds_load_b128 v[4:7], v2 offset:1328
	s_wait_loadcnt_dscnt 0xb01
	v_mul_f64_e32 v[178:179], v[164:165], v[10:11]
	v_mul_f64_e32 v[10:11], v[166:167], v[10:11]
	scratch_load_b128 v[152:155], off, off offset:640
	ds_load_b128 v[172:175], v2 offset:1344
	s_wait_loadcnt_dscnt 0xb01
	v_mul_f64_e32 v[182:183], v[4:5], v[14:15]
	v_mul_f64_e32 v[14:15], v[6:7], v[14:15]
	v_add_f64_e32 v[176:177], 0, v[176:177]
	v_fmac_f64_e32 v[178:179], v[166:167], v[8:9]
	v_fma_f64 v[164:165], v[164:165], v[8:9], -v[10:11]
	v_add_f64_e32 v[166:167], 0, v[180:181]
	scratch_load_b128 v[8:11], off, off offset:656
	v_fmac_f64_e32 v[182:183], v[6:7], v[12:13]
	v_fma_f64 v[184:185], v[4:5], v[12:13], -v[14:15]
	ds_load_b128 v[4:7], v2 offset:1360
	s_wait_loadcnt_dscnt 0xb01
	v_mul_f64_e32 v[180:181], v[172:173], v[126:127]
	v_mul_f64_e32 v[126:127], v[174:175], v[126:127]
	scratch_load_b128 v[12:15], off, off offset:672
	v_add_f64_e32 v[176:177], v[176:177], v[178:179]
	v_add_f64_e32 v[186:187], v[166:167], v[164:165]
	ds_load_b128 v[164:167], v2 offset:1376
	s_wait_loadcnt_dscnt 0xb01
	v_mul_f64_e32 v[178:179], v[4:5], v[130:131]
	v_mul_f64_e32 v[130:131], v[6:7], v[130:131]
	v_fmac_f64_e32 v[180:181], v[174:175], v[124:125]
	v_fma_f64 v[172:173], v[172:173], v[124:125], -v[126:127]
	scratch_load_b128 v[124:127], off, off offset:688
	v_add_f64_e32 v[176:177], v[176:177], v[182:183]
	v_add_f64_e32 v[174:175], v[186:187], v[184:185]
	v_fmac_f64_e32 v[178:179], v[6:7], v[128:129]
	v_fma_f64 v[184:185], v[4:5], v[128:129], -v[130:131]
	ds_load_b128 v[4:7], v2 offset:1392
	s_wait_loadcnt_dscnt 0xb01
	v_mul_f64_e32 v[182:183], v[164:165], v[134:135]
	v_mul_f64_e32 v[134:135], v[166:167], v[134:135]
	scratch_load_b128 v[128:131], off, off offset:704
	v_add_f64_e32 v[176:177], v[176:177], v[180:181]
	s_wait_loadcnt_dscnt 0xb00
	v_mul_f64_e32 v[180:181], v[4:5], v[138:139]
	v_add_f64_e32 v[186:187], v[174:175], v[172:173]
	v_mul_f64_e32 v[138:139], v[6:7], v[138:139]
	ds_load_b128 v[172:175], v2 offset:1408
	v_fmac_f64_e32 v[182:183], v[166:167], v[132:133]
	v_fma_f64 v[164:165], v[164:165], v[132:133], -v[134:135]
	scratch_load_b128 v[132:135], off, off offset:720
	v_add_f64_e32 v[176:177], v[176:177], v[178:179]
	v_fmac_f64_e32 v[180:181], v[6:7], v[136:137]
	v_add_f64_e32 v[166:167], v[186:187], v[184:185]
	v_fma_f64 v[184:185], v[4:5], v[136:137], -v[138:139]
	ds_load_b128 v[4:7], v2 offset:1424
	s_wait_loadcnt_dscnt 0xb01
	v_mul_f64_e32 v[178:179], v[172:173], v[142:143]
	v_mul_f64_e32 v[142:143], v[174:175], v[142:143]
	scratch_load_b128 v[136:139], off, off offset:736
	v_add_f64_e32 v[176:177], v[176:177], v[182:183]
	s_wait_loadcnt_dscnt 0xb00
	v_mul_f64_e32 v[182:183], v[4:5], v[146:147]
	v_add_f64_e32 v[186:187], v[166:167], v[164:165]
	v_mul_f64_e32 v[146:147], v[6:7], v[146:147]
	ds_load_b128 v[164:167], v2 offset:1440
	v_fmac_f64_e32 v[178:179], v[174:175], v[140:141]
	v_fma_f64 v[172:173], v[172:173], v[140:141], -v[142:143]
	scratch_load_b128 v[140:143], off, off offset:752
	v_add_f64_e32 v[176:177], v[176:177], v[180:181]
	v_fmac_f64_e32 v[182:183], v[6:7], v[144:145]
	v_add_f64_e32 v[174:175], v[186:187], v[184:185]
	;; [unrolled: 18-line block ×3, first 2 shown]
	v_fma_f64 v[184:185], v[4:5], v[156:157], -v[158:159]
	ds_load_b128 v[4:7], v2 offset:1488
	s_wait_loadcnt_dscnt 0xa01
	v_mul_f64_e32 v[182:183], v[172:173], v[170:171]
	v_mul_f64_e32 v[170:171], v[174:175], v[170:171]
	scratch_load_b128 v[156:159], off, off offset:800
	v_add_f64_e32 v[176:177], v[176:177], v[180:181]
	v_add_f64_e32 v[186:187], v[166:167], v[164:165]
	s_wait_loadcnt_dscnt 0xa00
	v_mul_f64_e32 v[180:181], v[4:5], v[154:155]
	v_mul_f64_e32 v[154:155], v[6:7], v[154:155]
	v_fmac_f64_e32 v[182:183], v[174:175], v[168:169]
	v_fma_f64 v[172:173], v[172:173], v[168:169], -v[170:171]
	ds_load_b128 v[164:167], v2 offset:1504
	scratch_load_b128 v[168:171], off, off offset:816
	v_add_f64_e32 v[176:177], v[176:177], v[178:179]
	v_add_f64_e32 v[174:175], v[186:187], v[184:185]
	v_fmac_f64_e32 v[180:181], v[6:7], v[152:153]
	v_fma_f64 v[184:185], v[4:5], v[152:153], -v[154:155]
	ds_load_b128 v[4:7], v2 offset:1520
	s_wait_loadcnt_dscnt 0xa01
	v_mul_f64_e32 v[178:179], v[164:165], v[10:11]
	v_mul_f64_e32 v[10:11], v[166:167], v[10:11]
	scratch_load_b128 v[152:155], off, off offset:832
	v_add_f64_e32 v[176:177], v[176:177], v[182:183]
	s_wait_loadcnt_dscnt 0xa00
	v_mul_f64_e32 v[182:183], v[4:5], v[14:15]
	v_add_f64_e32 v[186:187], v[174:175], v[172:173]
	v_mul_f64_e32 v[14:15], v[6:7], v[14:15]
	ds_load_b128 v[172:175], v2 offset:1536
	v_fmac_f64_e32 v[178:179], v[166:167], v[8:9]
	v_fma_f64 v[8:9], v[164:165], v[8:9], -v[10:11]
	s_wait_loadcnt_dscnt 0x900
	v_mul_f64_e32 v[166:167], v[172:173], v[126:127]
	v_mul_f64_e32 v[126:127], v[174:175], v[126:127]
	v_add_f64_e32 v[164:165], v[176:177], v[180:181]
	v_fmac_f64_e32 v[182:183], v[6:7], v[12:13]
	v_add_f64_e32 v[10:11], v[186:187], v[184:185]
	v_fma_f64 v[12:13], v[4:5], v[12:13], -v[14:15]
	v_fmac_f64_e32 v[166:167], v[174:175], v[124:125]
	v_fma_f64 v[124:125], v[172:173], v[124:125], -v[126:127]
	v_add_f64_e32 v[164:165], v[164:165], v[178:179]
	v_add_f64_e32 v[14:15], v[10:11], v[8:9]
	ds_load_b128 v[4:7], v2 offset:1552
	ds_load_b128 v[8:11], v2 offset:1568
	s_wait_loadcnt_dscnt 0x801
	v_mul_f64_e32 v[176:177], v[4:5], v[130:131]
	v_mul_f64_e32 v[130:131], v[6:7], v[130:131]
	s_wait_loadcnt_dscnt 0x700
	v_mul_f64_e32 v[126:127], v[8:9], v[134:135]
	v_mul_f64_e32 v[134:135], v[10:11], v[134:135]
	v_add_f64_e32 v[12:13], v[14:15], v[12:13]
	v_add_f64_e32 v[14:15], v[164:165], v[182:183]
	v_fmac_f64_e32 v[176:177], v[6:7], v[128:129]
	v_fma_f64 v[128:129], v[4:5], v[128:129], -v[130:131]
	v_fmac_f64_e32 v[126:127], v[10:11], v[132:133]
	v_fma_f64 v[8:9], v[8:9], v[132:133], -v[134:135]
	v_add_f64_e32 v[124:125], v[12:13], v[124:125]
	v_add_f64_e32 v[130:131], v[14:15], v[166:167]
	ds_load_b128 v[4:7], v2 offset:1584
	ds_load_b128 v[12:15], v2 offset:1600
	s_wait_loadcnt_dscnt 0x601
	v_mul_f64_e32 v[164:165], v[4:5], v[138:139]
	v_mul_f64_e32 v[138:139], v[6:7], v[138:139]
	v_add_f64_e32 v[10:11], v[124:125], v[128:129]
	v_add_f64_e32 v[124:125], v[130:131], v[176:177]
	s_wait_loadcnt_dscnt 0x500
	v_mul_f64_e32 v[128:129], v[12:13], v[142:143]
	v_mul_f64_e32 v[130:131], v[14:15], v[142:143]
	v_fmac_f64_e32 v[164:165], v[6:7], v[136:137]
	v_fma_f64 v[132:133], v[4:5], v[136:137], -v[138:139]
	v_add_f64_e32 v[134:135], v[10:11], v[8:9]
	v_add_f64_e32 v[124:125], v[124:125], v[126:127]
	ds_load_b128 v[4:7], v2 offset:1616
	ds_load_b128 v[8:11], v2 offset:1632
	v_fmac_f64_e32 v[128:129], v[14:15], v[140:141]
	v_fma_f64 v[12:13], v[12:13], v[140:141], -v[130:131]
	s_wait_loadcnt_dscnt 0x401
	v_mul_f64_e32 v[126:127], v[4:5], v[146:147]
	v_mul_f64_e32 v[136:137], v[6:7], v[146:147]
	s_wait_loadcnt_dscnt 0x300
	v_mul_f64_e32 v[130:131], v[8:9], v[150:151]
	v_add_f64_e32 v[14:15], v[134:135], v[132:133]
	v_add_f64_e32 v[124:125], v[124:125], v[164:165]
	v_mul_f64_e32 v[132:133], v[10:11], v[150:151]
	v_fmac_f64_e32 v[126:127], v[6:7], v[144:145]
	v_fma_f64 v[134:135], v[4:5], v[144:145], -v[136:137]
	v_fmac_f64_e32 v[130:131], v[10:11], v[148:149]
	v_add_f64_e32 v[136:137], v[14:15], v[12:13]
	v_add_f64_e32 v[124:125], v[124:125], v[128:129]
	ds_load_b128 v[4:7], v2 offset:1648
	ds_load_b128 v[12:15], v2 offset:1664
	v_fma_f64 v[8:9], v[8:9], v[148:149], -v[132:133]
	s_wait_loadcnt_dscnt 0x201
	v_mul_f64_e32 v[128:129], v[4:5], v[158:159]
	v_mul_f64_e32 v[138:139], v[6:7], v[158:159]
	s_wait_loadcnt_dscnt 0x100
	v_mul_f64_e32 v[132:133], v[14:15], v[170:171]
	v_add_f64_e32 v[10:11], v[136:137], v[134:135]
	v_add_f64_e32 v[124:125], v[124:125], v[126:127]
	v_mul_f64_e32 v[126:127], v[12:13], v[170:171]
	v_fmac_f64_e32 v[128:129], v[6:7], v[156:157]
	v_fma_f64 v[134:135], v[4:5], v[156:157], -v[138:139]
	ds_load_b128 v[4:7], v2 offset:1680
	v_fma_f64 v[12:13], v[12:13], v[168:169], -v[132:133]
	v_add_f64_e32 v[8:9], v[10:11], v[8:9]
	v_add_f64_e32 v[10:11], v[124:125], v[130:131]
	v_fmac_f64_e32 v[126:127], v[14:15], v[168:169]
	s_wait_loadcnt_dscnt 0x0
	v_mul_f64_e32 v[124:125], v[4:5], v[154:155]
	v_mul_f64_e32 v[130:131], v[6:7], v[154:155]
	v_add_f64_e32 v[8:9], v[8:9], v[134:135]
	v_add_f64_e32 v[10:11], v[10:11], v[128:129]
	s_delay_alu instid0(VALU_DEP_4) | instskip(NEXT) | instid1(VALU_DEP_4)
	v_fmac_f64_e32 v[124:125], v[6:7], v[152:153]
	v_fma_f64 v[4:5], v[4:5], v[152:153], -v[130:131]
	s_delay_alu instid0(VALU_DEP_4) | instskip(NEXT) | instid1(VALU_DEP_4)
	v_add_f64_e32 v[6:7], v[8:9], v[12:13]
	v_add_f64_e32 v[8:9], v[10:11], v[126:127]
	s_delay_alu instid0(VALU_DEP_2) | instskip(NEXT) | instid1(VALU_DEP_2)
	v_add_f64_e32 v[4:5], v[6:7], v[4:5]
	v_add_f64_e32 v[6:7], v[8:9], v[124:125]
	s_delay_alu instid0(VALU_DEP_2) | instskip(NEXT) | instid1(VALU_DEP_2)
	v_add_f64_e64 v[4:5], v[160:161], -v[4:5]
	v_add_f64_e64 v[6:7], v[162:163], -v[6:7]
	scratch_store_b128 off, v[4:7], off offset:432
	s_wait_xcnt 0x0
	v_cmpx_lt_u32_e32 26, v1
	s_cbranch_execz .LBB116_279
; %bb.278:
	scratch_load_b128 v[6:9], off, s43
	v_dual_mov_b32 v3, v2 :: v_dual_mov_b32 v4, v2
	v_mov_b32_e32 v5, v2
	scratch_store_b128 off, v[2:5], off offset:416
	s_wait_loadcnt 0x0
	ds_store_b128 v122, v[6:9]
.LBB116_279:
	s_wait_xcnt 0x0
	s_or_b32 exec_lo, exec_lo, s2
	s_wait_storecnt_dscnt 0x0
	s_barrier_signal -1
	s_barrier_wait -1
	s_clause 0x9
	scratch_load_b128 v[4:7], off, off offset:432
	scratch_load_b128 v[8:11], off, off offset:448
	;; [unrolled: 1-line block ×10, first 2 shown]
	ds_load_b128 v[152:155], v2 offset:1280
	ds_load_b128 v[160:163], v2 offset:1296
	s_clause 0x2
	scratch_load_b128 v[156:159], off, off offset:592
	scratch_load_b128 v[164:167], off, off offset:416
	;; [unrolled: 1-line block ×3, first 2 shown]
	s_mov_b32 s2, exec_lo
	s_wait_loadcnt_dscnt 0xc01
	v_mul_f64_e32 v[172:173], v[154:155], v[6:7]
	v_mul_f64_e32 v[176:177], v[152:153], v[6:7]
	s_wait_loadcnt_dscnt 0xb00
	v_mul_f64_e32 v[178:179], v[160:161], v[10:11]
	v_mul_f64_e32 v[10:11], v[162:163], v[10:11]
	s_delay_alu instid0(VALU_DEP_4) | instskip(NEXT) | instid1(VALU_DEP_4)
	v_fma_f64 v[180:181], v[152:153], v[4:5], -v[172:173]
	v_fmac_f64_e32 v[176:177], v[154:155], v[4:5]
	ds_load_b128 v[4:7], v2 offset:1312
	ds_load_b128 v[152:155], v2 offset:1328
	scratch_load_b128 v[172:175], off, off offset:624
	v_fmac_f64_e32 v[178:179], v[162:163], v[8:9]
	v_fma_f64 v[160:161], v[160:161], v[8:9], -v[10:11]
	scratch_load_b128 v[8:11], off, off offset:640
	s_wait_loadcnt_dscnt 0xc01
	v_mul_f64_e32 v[182:183], v[4:5], v[14:15]
	v_mul_f64_e32 v[14:15], v[6:7], v[14:15]
	v_add_f64_e32 v[162:163], 0, v[180:181]
	v_add_f64_e32 v[176:177], 0, v[176:177]
	s_wait_loadcnt_dscnt 0xb00
	v_mul_f64_e32 v[180:181], v[152:153], v[126:127]
	v_mul_f64_e32 v[126:127], v[154:155], v[126:127]
	v_fmac_f64_e32 v[182:183], v[6:7], v[12:13]
	v_fma_f64 v[184:185], v[4:5], v[12:13], -v[14:15]
	ds_load_b128 v[4:7], v2 offset:1344
	ds_load_b128 v[12:15], v2 offset:1360
	v_add_f64_e32 v[186:187], v[162:163], v[160:161]
	v_add_f64_e32 v[176:177], v[176:177], v[178:179]
	scratch_load_b128 v[160:163], off, off offset:656
	v_fmac_f64_e32 v[180:181], v[154:155], v[124:125]
	v_fma_f64 v[152:153], v[152:153], v[124:125], -v[126:127]
	scratch_load_b128 v[124:127], off, off offset:672
	s_wait_loadcnt_dscnt 0xc01
	v_mul_f64_e32 v[178:179], v[4:5], v[130:131]
	v_mul_f64_e32 v[130:131], v[6:7], v[130:131]
	v_add_f64_e32 v[154:155], v[186:187], v[184:185]
	v_add_f64_e32 v[176:177], v[176:177], v[182:183]
	s_wait_loadcnt_dscnt 0xb00
	v_mul_f64_e32 v[182:183], v[12:13], v[134:135]
	v_mul_f64_e32 v[134:135], v[14:15], v[134:135]
	v_fmac_f64_e32 v[178:179], v[6:7], v[128:129]
	v_fma_f64 v[184:185], v[4:5], v[128:129], -v[130:131]
	ds_load_b128 v[4:7], v2 offset:1376
	ds_load_b128 v[128:131], v2 offset:1392
	v_add_f64_e32 v[186:187], v[154:155], v[152:153]
	v_add_f64_e32 v[176:177], v[176:177], v[180:181]
	scratch_load_b128 v[152:155], off, off offset:688
	s_wait_loadcnt_dscnt 0xb01
	v_mul_f64_e32 v[180:181], v[4:5], v[138:139]
	v_mul_f64_e32 v[138:139], v[6:7], v[138:139]
	v_fmac_f64_e32 v[182:183], v[14:15], v[132:133]
	v_fma_f64 v[132:133], v[12:13], v[132:133], -v[134:135]
	scratch_load_b128 v[12:15], off, off offset:704
	v_add_f64_e32 v[134:135], v[186:187], v[184:185]
	v_add_f64_e32 v[176:177], v[176:177], v[178:179]
	s_wait_loadcnt_dscnt 0xb00
	v_mul_f64_e32 v[178:179], v[128:129], v[142:143]
	v_mul_f64_e32 v[142:143], v[130:131], v[142:143]
	v_fmac_f64_e32 v[180:181], v[6:7], v[136:137]
	v_fma_f64 v[184:185], v[4:5], v[136:137], -v[138:139]
	v_add_f64_e32 v[186:187], v[134:135], v[132:133]
	v_add_f64_e32 v[176:177], v[176:177], v[182:183]
	ds_load_b128 v[4:7], v2 offset:1408
	ds_load_b128 v[132:135], v2 offset:1424
	scratch_load_b128 v[136:139], off, off offset:720
	v_fmac_f64_e32 v[178:179], v[130:131], v[140:141]
	v_fma_f64 v[140:141], v[128:129], v[140:141], -v[142:143]
	scratch_load_b128 v[128:131], off, off offset:736
	s_wait_loadcnt_dscnt 0xc01
	v_mul_f64_e32 v[182:183], v[4:5], v[146:147]
	v_mul_f64_e32 v[146:147], v[6:7], v[146:147]
	v_add_f64_e32 v[142:143], v[186:187], v[184:185]
	v_add_f64_e32 v[176:177], v[176:177], v[180:181]
	s_wait_loadcnt_dscnt 0xb00
	v_mul_f64_e32 v[180:181], v[132:133], v[150:151]
	v_mul_f64_e32 v[150:151], v[134:135], v[150:151]
	v_fmac_f64_e32 v[182:183], v[6:7], v[144:145]
	v_fma_f64 v[184:185], v[4:5], v[144:145], -v[146:147]
	v_add_f64_e32 v[186:187], v[142:143], v[140:141]
	v_add_f64_e32 v[176:177], v[176:177], v[178:179]
	ds_load_b128 v[4:7], v2 offset:1440
	ds_load_b128 v[140:143], v2 offset:1456
	scratch_load_b128 v[144:147], off, off offset:752
	v_fmac_f64_e32 v[180:181], v[134:135], v[148:149]
	v_fma_f64 v[148:149], v[132:133], v[148:149], -v[150:151]
	scratch_load_b128 v[132:135], off, off offset:768
	s_wait_loadcnt_dscnt 0xc01
	v_mul_f64_e32 v[178:179], v[4:5], v[158:159]
	v_mul_f64_e32 v[158:159], v[6:7], v[158:159]
	;; [unrolled: 18-line block ×4, first 2 shown]
	v_add_f64_e32 v[150:151], v[186:187], v[184:185]
	v_add_f64_e32 v[176:177], v[176:177], v[180:181]
	s_wait_loadcnt_dscnt 0xa00
	v_mul_f64_e32 v[180:181], v[168:169], v[126:127]
	v_mul_f64_e32 v[126:127], v[170:171], v[126:127]
	v_fmac_f64_e32 v[182:183], v[6:7], v[160:161]
	v_fma_f64 v[160:161], v[4:5], v[160:161], -v[162:163]
	v_add_f64_e32 v[162:163], v[150:151], v[148:149]
	v_add_f64_e32 v[176:177], v[176:177], v[178:179]
	ds_load_b128 v[4:7], v2 offset:1536
	ds_load_b128 v[148:151], v2 offset:1552
	v_fmac_f64_e32 v[180:181], v[170:171], v[124:125]
	v_fma_f64 v[124:125], v[168:169], v[124:125], -v[126:127]
	s_wait_loadcnt_dscnt 0x901
	v_mul_f64_e32 v[178:179], v[4:5], v[154:155]
	v_mul_f64_e32 v[154:155], v[6:7], v[154:155]
	v_add_f64_e32 v[126:127], v[162:163], v[160:161]
	v_add_f64_e32 v[160:161], v[176:177], v[182:183]
	s_wait_loadcnt_dscnt 0x800
	v_mul_f64_e32 v[162:163], v[148:149], v[14:15]
	v_mul_f64_e32 v[14:15], v[150:151], v[14:15]
	v_fmac_f64_e32 v[178:179], v[6:7], v[152:153]
	v_fma_f64 v[152:153], v[4:5], v[152:153], -v[154:155]
	v_add_f64_e32 v[154:155], v[126:127], v[124:125]
	v_add_f64_e32 v[160:161], v[160:161], v[180:181]
	ds_load_b128 v[4:7], v2 offset:1568
	ds_load_b128 v[124:127], v2 offset:1584
	v_fmac_f64_e32 v[162:163], v[150:151], v[12:13]
	v_fma_f64 v[12:13], v[148:149], v[12:13], -v[14:15]
	s_wait_loadcnt_dscnt 0x701
	v_mul_f64_e32 v[168:169], v[4:5], v[138:139]
	v_mul_f64_e32 v[138:139], v[6:7], v[138:139]
	s_wait_loadcnt_dscnt 0x600
	v_mul_f64_e32 v[150:151], v[124:125], v[130:131]
	v_mul_f64_e32 v[130:131], v[126:127], v[130:131]
	v_add_f64_e32 v[14:15], v[154:155], v[152:153]
	v_add_f64_e32 v[148:149], v[160:161], v[178:179]
	v_fmac_f64_e32 v[168:169], v[6:7], v[136:137]
	v_fma_f64 v[136:137], v[4:5], v[136:137], -v[138:139]
	v_fmac_f64_e32 v[150:151], v[126:127], v[128:129]
	v_fma_f64 v[124:125], v[124:125], v[128:129], -v[130:131]
	v_add_f64_e32 v[138:139], v[14:15], v[12:13]
	v_add_f64_e32 v[148:149], v[148:149], v[162:163]
	ds_load_b128 v[4:7], v2 offset:1600
	ds_load_b128 v[12:15], v2 offset:1616
	s_wait_loadcnt_dscnt 0x501
	v_mul_f64_e32 v[152:153], v[4:5], v[146:147]
	v_mul_f64_e32 v[146:147], v[6:7], v[146:147]
	s_wait_loadcnt_dscnt 0x400
	v_mul_f64_e32 v[130:131], v[12:13], v[134:135]
	v_mul_f64_e32 v[134:135], v[14:15], v[134:135]
	v_add_f64_e32 v[126:127], v[138:139], v[136:137]
	v_add_f64_e32 v[128:129], v[148:149], v[168:169]
	v_fmac_f64_e32 v[152:153], v[6:7], v[144:145]
	v_fma_f64 v[136:137], v[4:5], v[144:145], -v[146:147]
	v_fmac_f64_e32 v[130:131], v[14:15], v[132:133]
	v_fma_f64 v[12:13], v[12:13], v[132:133], -v[134:135]
	v_add_f64_e32 v[138:139], v[126:127], v[124:125]
	v_add_f64_e32 v[128:129], v[128:129], v[150:151]
	ds_load_b128 v[4:7], v2 offset:1632
	ds_load_b128 v[124:127], v2 offset:1648
	;; [unrolled: 16-line block ×3, first 2 shown]
	s_wait_loadcnt_dscnt 0x101
	v_mul_f64_e32 v[2:3], v[4:5], v[174:175]
	v_mul_f64_e32 v[130:131], v[6:7], v[174:175]
	s_wait_loadcnt_dscnt 0x0
	v_mul_f64_e32 v[134:135], v[12:13], v[10:11]
	v_mul_f64_e32 v[10:11], v[14:15], v[10:11]
	v_add_f64_e32 v[126:127], v[138:139], v[136:137]
	v_add_f64_e32 v[128:129], v[128:129], v[144:145]
	v_fmac_f64_e32 v[2:3], v[6:7], v[172:173]
	v_fma_f64 v[4:5], v[4:5], v[172:173], -v[130:131]
	v_fmac_f64_e32 v[134:135], v[14:15], v[8:9]
	v_fma_f64 v[8:9], v[12:13], v[8:9], -v[10:11]
	v_add_f64_e32 v[6:7], v[126:127], v[124:125]
	v_add_f64_e32 v[124:125], v[128:129], v[132:133]
	s_delay_alu instid0(VALU_DEP_2) | instskip(NEXT) | instid1(VALU_DEP_2)
	v_add_f64_e32 v[4:5], v[6:7], v[4:5]
	v_add_f64_e32 v[2:3], v[124:125], v[2:3]
	s_delay_alu instid0(VALU_DEP_2) | instskip(NEXT) | instid1(VALU_DEP_2)
	v_add_f64_e32 v[4:5], v[4:5], v[8:9]
	v_add_f64_e32 v[6:7], v[2:3], v[134:135]
	s_delay_alu instid0(VALU_DEP_2) | instskip(NEXT) | instid1(VALU_DEP_2)
	v_add_f64_e64 v[2:3], v[164:165], -v[4:5]
	v_add_f64_e64 v[4:5], v[166:167], -v[6:7]
	scratch_store_b128 off, v[2:5], off offset:416
	s_wait_xcnt 0x0
	v_cmpx_lt_u32_e32 25, v1
	s_cbranch_execz .LBB116_281
; %bb.280:
	scratch_load_b128 v[2:5], off, s44
	v_mov_b32_e32 v6, 0
	s_delay_alu instid0(VALU_DEP_1)
	v_dual_mov_b32 v7, v6 :: v_dual_mov_b32 v8, v6
	v_mov_b32_e32 v9, v6
	scratch_store_b128 off, v[6:9], off offset:400
	s_wait_loadcnt 0x0
	ds_store_b128 v122, v[2:5]
.LBB116_281:
	s_wait_xcnt 0x0
	s_or_b32 exec_lo, exec_lo, s2
	s_wait_storecnt_dscnt 0x0
	s_barrier_signal -1
	s_barrier_wait -1
	s_clause 0x9
	scratch_load_b128 v[4:7], off, off offset:416
	scratch_load_b128 v[8:11], off, off offset:432
	scratch_load_b128 v[12:15], off, off offset:448
	scratch_load_b128 v[124:127], off, off offset:464
	scratch_load_b128 v[128:131], off, off offset:480
	scratch_load_b128 v[132:135], off, off offset:496
	scratch_load_b128 v[136:139], off, off offset:512
	scratch_load_b128 v[140:143], off, off offset:528
	scratch_load_b128 v[144:147], off, off offset:544
	scratch_load_b128 v[148:151], off, off offset:560
	v_mov_b32_e32 v2, 0
	s_mov_b32 s2, exec_lo
	ds_load_b128 v[152:155], v2 offset:1264
	s_clause 0x2
	scratch_load_b128 v[156:159], off, off offset:576
	scratch_load_b128 v[160:163], off, off offset:400
	scratch_load_b128 v[168:171], off, off offset:592
	s_wait_loadcnt_dscnt 0xc00
	v_mul_f64_e32 v[172:173], v[154:155], v[6:7]
	v_mul_f64_e32 v[176:177], v[152:153], v[6:7]
	ds_load_b128 v[164:167], v2 offset:1280
	v_fma_f64 v[180:181], v[152:153], v[4:5], -v[172:173]
	v_fmac_f64_e32 v[176:177], v[154:155], v[4:5]
	ds_load_b128 v[4:7], v2 offset:1296
	s_wait_loadcnt_dscnt 0xb01
	v_mul_f64_e32 v[178:179], v[164:165], v[10:11]
	v_mul_f64_e32 v[10:11], v[166:167], v[10:11]
	scratch_load_b128 v[152:155], off, off offset:608
	ds_load_b128 v[172:175], v2 offset:1312
	s_wait_loadcnt_dscnt 0xb01
	v_mul_f64_e32 v[182:183], v[4:5], v[14:15]
	v_mul_f64_e32 v[14:15], v[6:7], v[14:15]
	v_add_f64_e32 v[176:177], 0, v[176:177]
	v_fmac_f64_e32 v[178:179], v[166:167], v[8:9]
	v_fma_f64 v[164:165], v[164:165], v[8:9], -v[10:11]
	v_add_f64_e32 v[166:167], 0, v[180:181]
	scratch_load_b128 v[8:11], off, off offset:624
	v_fmac_f64_e32 v[182:183], v[6:7], v[12:13]
	v_fma_f64 v[184:185], v[4:5], v[12:13], -v[14:15]
	ds_load_b128 v[4:7], v2 offset:1328
	s_wait_loadcnt_dscnt 0xb01
	v_mul_f64_e32 v[180:181], v[172:173], v[126:127]
	v_mul_f64_e32 v[126:127], v[174:175], v[126:127]
	scratch_load_b128 v[12:15], off, off offset:640
	v_add_f64_e32 v[176:177], v[176:177], v[178:179]
	v_add_f64_e32 v[186:187], v[166:167], v[164:165]
	ds_load_b128 v[164:167], v2 offset:1344
	s_wait_loadcnt_dscnt 0xb01
	v_mul_f64_e32 v[178:179], v[4:5], v[130:131]
	v_mul_f64_e32 v[130:131], v[6:7], v[130:131]
	v_fmac_f64_e32 v[180:181], v[174:175], v[124:125]
	v_fma_f64 v[172:173], v[172:173], v[124:125], -v[126:127]
	scratch_load_b128 v[124:127], off, off offset:656
	v_add_f64_e32 v[176:177], v[176:177], v[182:183]
	v_add_f64_e32 v[174:175], v[186:187], v[184:185]
	v_fmac_f64_e32 v[178:179], v[6:7], v[128:129]
	v_fma_f64 v[184:185], v[4:5], v[128:129], -v[130:131]
	ds_load_b128 v[4:7], v2 offset:1360
	s_wait_loadcnt_dscnt 0xb01
	v_mul_f64_e32 v[182:183], v[164:165], v[134:135]
	v_mul_f64_e32 v[134:135], v[166:167], v[134:135]
	scratch_load_b128 v[128:131], off, off offset:672
	v_add_f64_e32 v[176:177], v[176:177], v[180:181]
	s_wait_loadcnt_dscnt 0xb00
	v_mul_f64_e32 v[180:181], v[4:5], v[138:139]
	v_add_f64_e32 v[186:187], v[174:175], v[172:173]
	v_mul_f64_e32 v[138:139], v[6:7], v[138:139]
	ds_load_b128 v[172:175], v2 offset:1376
	v_fmac_f64_e32 v[182:183], v[166:167], v[132:133]
	v_fma_f64 v[164:165], v[164:165], v[132:133], -v[134:135]
	scratch_load_b128 v[132:135], off, off offset:688
	v_add_f64_e32 v[176:177], v[176:177], v[178:179]
	v_fmac_f64_e32 v[180:181], v[6:7], v[136:137]
	v_add_f64_e32 v[166:167], v[186:187], v[184:185]
	v_fma_f64 v[184:185], v[4:5], v[136:137], -v[138:139]
	ds_load_b128 v[4:7], v2 offset:1392
	s_wait_loadcnt_dscnt 0xb01
	v_mul_f64_e32 v[178:179], v[172:173], v[142:143]
	v_mul_f64_e32 v[142:143], v[174:175], v[142:143]
	scratch_load_b128 v[136:139], off, off offset:704
	v_add_f64_e32 v[176:177], v[176:177], v[182:183]
	s_wait_loadcnt_dscnt 0xb00
	v_mul_f64_e32 v[182:183], v[4:5], v[146:147]
	v_add_f64_e32 v[186:187], v[166:167], v[164:165]
	v_mul_f64_e32 v[146:147], v[6:7], v[146:147]
	ds_load_b128 v[164:167], v2 offset:1408
	v_fmac_f64_e32 v[178:179], v[174:175], v[140:141]
	v_fma_f64 v[172:173], v[172:173], v[140:141], -v[142:143]
	scratch_load_b128 v[140:143], off, off offset:720
	v_add_f64_e32 v[176:177], v[176:177], v[180:181]
	v_fmac_f64_e32 v[182:183], v[6:7], v[144:145]
	v_add_f64_e32 v[174:175], v[186:187], v[184:185]
	;; [unrolled: 18-line block ×3, first 2 shown]
	v_fma_f64 v[184:185], v[4:5], v[156:157], -v[158:159]
	ds_load_b128 v[4:7], v2 offset:1456
	s_wait_loadcnt_dscnt 0xa01
	v_mul_f64_e32 v[182:183], v[172:173], v[170:171]
	v_mul_f64_e32 v[170:171], v[174:175], v[170:171]
	scratch_load_b128 v[156:159], off, off offset:768
	v_add_f64_e32 v[176:177], v[176:177], v[180:181]
	v_add_f64_e32 v[186:187], v[166:167], v[164:165]
	s_wait_loadcnt_dscnt 0xa00
	v_mul_f64_e32 v[180:181], v[4:5], v[154:155]
	v_mul_f64_e32 v[154:155], v[6:7], v[154:155]
	v_fmac_f64_e32 v[182:183], v[174:175], v[168:169]
	v_fma_f64 v[172:173], v[172:173], v[168:169], -v[170:171]
	ds_load_b128 v[164:167], v2 offset:1472
	scratch_load_b128 v[168:171], off, off offset:784
	v_add_f64_e32 v[176:177], v[176:177], v[178:179]
	v_add_f64_e32 v[174:175], v[186:187], v[184:185]
	v_fmac_f64_e32 v[180:181], v[6:7], v[152:153]
	v_fma_f64 v[184:185], v[4:5], v[152:153], -v[154:155]
	ds_load_b128 v[4:7], v2 offset:1488
	s_wait_loadcnt_dscnt 0xa01
	v_mul_f64_e32 v[178:179], v[164:165], v[10:11]
	v_mul_f64_e32 v[10:11], v[166:167], v[10:11]
	scratch_load_b128 v[152:155], off, off offset:800
	v_add_f64_e32 v[176:177], v[176:177], v[182:183]
	s_wait_loadcnt_dscnt 0xa00
	v_mul_f64_e32 v[182:183], v[4:5], v[14:15]
	v_add_f64_e32 v[186:187], v[174:175], v[172:173]
	v_mul_f64_e32 v[14:15], v[6:7], v[14:15]
	ds_load_b128 v[172:175], v2 offset:1504
	v_fmac_f64_e32 v[178:179], v[166:167], v[8:9]
	v_fma_f64 v[164:165], v[164:165], v[8:9], -v[10:11]
	scratch_load_b128 v[8:11], off, off offset:816
	v_add_f64_e32 v[176:177], v[176:177], v[180:181]
	v_fmac_f64_e32 v[182:183], v[6:7], v[12:13]
	v_add_f64_e32 v[166:167], v[186:187], v[184:185]
	v_fma_f64 v[184:185], v[4:5], v[12:13], -v[14:15]
	ds_load_b128 v[4:7], v2 offset:1520
	s_wait_loadcnt_dscnt 0xa01
	v_mul_f64_e32 v[180:181], v[172:173], v[126:127]
	v_mul_f64_e32 v[126:127], v[174:175], v[126:127]
	scratch_load_b128 v[12:15], off, off offset:832
	v_add_f64_e32 v[176:177], v[176:177], v[178:179]
	s_wait_loadcnt_dscnt 0xa00
	v_mul_f64_e32 v[178:179], v[4:5], v[130:131]
	v_add_f64_e32 v[186:187], v[166:167], v[164:165]
	v_mul_f64_e32 v[130:131], v[6:7], v[130:131]
	ds_load_b128 v[164:167], v2 offset:1536
	v_fmac_f64_e32 v[180:181], v[174:175], v[124:125]
	v_fma_f64 v[124:125], v[172:173], v[124:125], -v[126:127]
	s_wait_loadcnt_dscnt 0x900
	v_mul_f64_e32 v[174:175], v[164:165], v[134:135]
	v_mul_f64_e32 v[134:135], v[166:167], v[134:135]
	v_add_f64_e32 v[172:173], v[176:177], v[182:183]
	v_fmac_f64_e32 v[178:179], v[6:7], v[128:129]
	v_add_f64_e32 v[126:127], v[186:187], v[184:185]
	v_fma_f64 v[128:129], v[4:5], v[128:129], -v[130:131]
	v_fmac_f64_e32 v[174:175], v[166:167], v[132:133]
	v_fma_f64 v[132:133], v[164:165], v[132:133], -v[134:135]
	v_add_f64_e32 v[172:173], v[172:173], v[180:181]
	v_add_f64_e32 v[130:131], v[126:127], v[124:125]
	ds_load_b128 v[4:7], v2 offset:1552
	ds_load_b128 v[124:127], v2 offset:1568
	s_wait_loadcnt_dscnt 0x801
	v_mul_f64_e32 v[176:177], v[4:5], v[138:139]
	v_mul_f64_e32 v[138:139], v[6:7], v[138:139]
	s_wait_loadcnt_dscnt 0x700
	v_mul_f64_e32 v[134:135], v[124:125], v[142:143]
	v_mul_f64_e32 v[142:143], v[126:127], v[142:143]
	v_add_f64_e32 v[128:129], v[130:131], v[128:129]
	v_add_f64_e32 v[130:131], v[172:173], v[178:179]
	v_fmac_f64_e32 v[176:177], v[6:7], v[136:137]
	v_fma_f64 v[136:137], v[4:5], v[136:137], -v[138:139]
	v_fmac_f64_e32 v[134:135], v[126:127], v[140:141]
	v_fma_f64 v[124:125], v[124:125], v[140:141], -v[142:143]
	v_add_f64_e32 v[132:133], v[128:129], v[132:133]
	v_add_f64_e32 v[138:139], v[130:131], v[174:175]
	ds_load_b128 v[4:7], v2 offset:1584
	ds_load_b128 v[128:131], v2 offset:1600
	s_wait_loadcnt_dscnt 0x601
	v_mul_f64_e32 v[164:165], v[4:5], v[146:147]
	v_mul_f64_e32 v[146:147], v[6:7], v[146:147]
	v_add_f64_e32 v[126:127], v[132:133], v[136:137]
	v_add_f64_e32 v[132:133], v[138:139], v[176:177]
	s_wait_loadcnt_dscnt 0x500
	v_mul_f64_e32 v[136:137], v[128:129], v[150:151]
	v_mul_f64_e32 v[138:139], v[130:131], v[150:151]
	v_fmac_f64_e32 v[164:165], v[6:7], v[144:145]
	v_fma_f64 v[140:141], v[4:5], v[144:145], -v[146:147]
	v_add_f64_e32 v[142:143], v[126:127], v[124:125]
	v_add_f64_e32 v[132:133], v[132:133], v[134:135]
	ds_load_b128 v[4:7], v2 offset:1616
	ds_load_b128 v[124:127], v2 offset:1632
	v_fmac_f64_e32 v[136:137], v[130:131], v[148:149]
	v_fma_f64 v[128:129], v[128:129], v[148:149], -v[138:139]
	s_wait_loadcnt_dscnt 0x401
	v_mul_f64_e32 v[134:135], v[4:5], v[158:159]
	v_mul_f64_e32 v[144:145], v[6:7], v[158:159]
	s_wait_loadcnt_dscnt 0x300
	v_mul_f64_e32 v[138:139], v[124:125], v[170:171]
	v_add_f64_e32 v[130:131], v[142:143], v[140:141]
	v_add_f64_e32 v[132:133], v[132:133], v[164:165]
	v_mul_f64_e32 v[140:141], v[126:127], v[170:171]
	v_fmac_f64_e32 v[134:135], v[6:7], v[156:157]
	v_fma_f64 v[142:143], v[4:5], v[156:157], -v[144:145]
	v_fmac_f64_e32 v[138:139], v[126:127], v[168:169]
	v_add_f64_e32 v[144:145], v[130:131], v[128:129]
	v_add_f64_e32 v[132:133], v[132:133], v[136:137]
	ds_load_b128 v[4:7], v2 offset:1648
	ds_load_b128 v[128:131], v2 offset:1664
	v_fma_f64 v[124:125], v[124:125], v[168:169], -v[140:141]
	s_wait_loadcnt_dscnt 0x201
	v_mul_f64_e32 v[136:137], v[4:5], v[154:155]
	v_mul_f64_e32 v[146:147], v[6:7], v[154:155]
	v_add_f64_e32 v[126:127], v[144:145], v[142:143]
	v_add_f64_e32 v[132:133], v[132:133], v[134:135]
	s_wait_loadcnt_dscnt 0x100
	v_mul_f64_e32 v[134:135], v[128:129], v[10:11]
	v_mul_f64_e32 v[10:11], v[130:131], v[10:11]
	v_fmac_f64_e32 v[136:137], v[6:7], v[152:153]
	v_fma_f64 v[140:141], v[4:5], v[152:153], -v[146:147]
	ds_load_b128 v[4:7], v2 offset:1680
	v_add_f64_e32 v[124:125], v[126:127], v[124:125]
	v_add_f64_e32 v[126:127], v[132:133], v[138:139]
	v_fmac_f64_e32 v[134:135], v[130:131], v[8:9]
	v_fma_f64 v[8:9], v[128:129], v[8:9], -v[10:11]
	s_wait_loadcnt_dscnt 0x0
	v_mul_f64_e32 v[132:133], v[4:5], v[14:15]
	v_mul_f64_e32 v[14:15], v[6:7], v[14:15]
	v_add_f64_e32 v[10:11], v[124:125], v[140:141]
	v_add_f64_e32 v[124:125], v[126:127], v[136:137]
	s_delay_alu instid0(VALU_DEP_4) | instskip(NEXT) | instid1(VALU_DEP_4)
	v_fmac_f64_e32 v[132:133], v[6:7], v[12:13]
	v_fma_f64 v[4:5], v[4:5], v[12:13], -v[14:15]
	s_delay_alu instid0(VALU_DEP_4) | instskip(NEXT) | instid1(VALU_DEP_4)
	v_add_f64_e32 v[6:7], v[10:11], v[8:9]
	v_add_f64_e32 v[8:9], v[124:125], v[134:135]
	s_delay_alu instid0(VALU_DEP_2) | instskip(NEXT) | instid1(VALU_DEP_2)
	v_add_f64_e32 v[4:5], v[6:7], v[4:5]
	v_add_f64_e32 v[6:7], v[8:9], v[132:133]
	s_delay_alu instid0(VALU_DEP_2) | instskip(NEXT) | instid1(VALU_DEP_2)
	v_add_f64_e64 v[4:5], v[160:161], -v[4:5]
	v_add_f64_e64 v[6:7], v[162:163], -v[6:7]
	scratch_store_b128 off, v[4:7], off offset:400
	s_wait_xcnt 0x0
	v_cmpx_lt_u32_e32 24, v1
	s_cbranch_execz .LBB116_283
; %bb.282:
	scratch_load_b128 v[6:9], off, s45
	v_dual_mov_b32 v3, v2 :: v_dual_mov_b32 v4, v2
	v_mov_b32_e32 v5, v2
	scratch_store_b128 off, v[2:5], off offset:384
	s_wait_loadcnt 0x0
	ds_store_b128 v122, v[6:9]
.LBB116_283:
	s_wait_xcnt 0x0
	s_or_b32 exec_lo, exec_lo, s2
	s_wait_storecnt_dscnt 0x0
	s_barrier_signal -1
	s_barrier_wait -1
	s_clause 0x9
	scratch_load_b128 v[4:7], off, off offset:400
	scratch_load_b128 v[8:11], off, off offset:416
	;; [unrolled: 1-line block ×10, first 2 shown]
	ds_load_b128 v[152:155], v2 offset:1248
	ds_load_b128 v[160:163], v2 offset:1264
	s_clause 0x2
	scratch_load_b128 v[156:159], off, off offset:560
	scratch_load_b128 v[164:167], off, off offset:384
	;; [unrolled: 1-line block ×3, first 2 shown]
	s_mov_b32 s2, exec_lo
	s_wait_loadcnt_dscnt 0xc01
	v_mul_f64_e32 v[172:173], v[154:155], v[6:7]
	v_mul_f64_e32 v[176:177], v[152:153], v[6:7]
	s_wait_loadcnt_dscnt 0xb00
	v_mul_f64_e32 v[178:179], v[160:161], v[10:11]
	v_mul_f64_e32 v[10:11], v[162:163], v[10:11]
	s_delay_alu instid0(VALU_DEP_4) | instskip(NEXT) | instid1(VALU_DEP_4)
	v_fma_f64 v[180:181], v[152:153], v[4:5], -v[172:173]
	v_fmac_f64_e32 v[176:177], v[154:155], v[4:5]
	ds_load_b128 v[4:7], v2 offset:1280
	ds_load_b128 v[152:155], v2 offset:1296
	scratch_load_b128 v[172:175], off, off offset:592
	v_fmac_f64_e32 v[178:179], v[162:163], v[8:9]
	v_fma_f64 v[160:161], v[160:161], v[8:9], -v[10:11]
	scratch_load_b128 v[8:11], off, off offset:608
	s_wait_loadcnt_dscnt 0xc01
	v_mul_f64_e32 v[182:183], v[4:5], v[14:15]
	v_mul_f64_e32 v[14:15], v[6:7], v[14:15]
	v_add_f64_e32 v[162:163], 0, v[180:181]
	v_add_f64_e32 v[176:177], 0, v[176:177]
	s_wait_loadcnt_dscnt 0xb00
	v_mul_f64_e32 v[180:181], v[152:153], v[126:127]
	v_mul_f64_e32 v[126:127], v[154:155], v[126:127]
	v_fmac_f64_e32 v[182:183], v[6:7], v[12:13]
	v_fma_f64 v[184:185], v[4:5], v[12:13], -v[14:15]
	ds_load_b128 v[4:7], v2 offset:1312
	ds_load_b128 v[12:15], v2 offset:1328
	v_add_f64_e32 v[186:187], v[162:163], v[160:161]
	v_add_f64_e32 v[176:177], v[176:177], v[178:179]
	scratch_load_b128 v[160:163], off, off offset:624
	v_fmac_f64_e32 v[180:181], v[154:155], v[124:125]
	v_fma_f64 v[152:153], v[152:153], v[124:125], -v[126:127]
	scratch_load_b128 v[124:127], off, off offset:640
	s_wait_loadcnt_dscnt 0xc01
	v_mul_f64_e32 v[178:179], v[4:5], v[130:131]
	v_mul_f64_e32 v[130:131], v[6:7], v[130:131]
	v_add_f64_e32 v[154:155], v[186:187], v[184:185]
	v_add_f64_e32 v[176:177], v[176:177], v[182:183]
	s_wait_loadcnt_dscnt 0xb00
	v_mul_f64_e32 v[182:183], v[12:13], v[134:135]
	v_mul_f64_e32 v[134:135], v[14:15], v[134:135]
	v_fmac_f64_e32 v[178:179], v[6:7], v[128:129]
	v_fma_f64 v[184:185], v[4:5], v[128:129], -v[130:131]
	ds_load_b128 v[4:7], v2 offset:1344
	ds_load_b128 v[128:131], v2 offset:1360
	v_add_f64_e32 v[186:187], v[154:155], v[152:153]
	v_add_f64_e32 v[176:177], v[176:177], v[180:181]
	scratch_load_b128 v[152:155], off, off offset:656
	s_wait_loadcnt_dscnt 0xb01
	v_mul_f64_e32 v[180:181], v[4:5], v[138:139]
	v_mul_f64_e32 v[138:139], v[6:7], v[138:139]
	v_fmac_f64_e32 v[182:183], v[14:15], v[132:133]
	v_fma_f64 v[132:133], v[12:13], v[132:133], -v[134:135]
	scratch_load_b128 v[12:15], off, off offset:672
	v_add_f64_e32 v[134:135], v[186:187], v[184:185]
	v_add_f64_e32 v[176:177], v[176:177], v[178:179]
	s_wait_loadcnt_dscnt 0xb00
	v_mul_f64_e32 v[178:179], v[128:129], v[142:143]
	v_mul_f64_e32 v[142:143], v[130:131], v[142:143]
	v_fmac_f64_e32 v[180:181], v[6:7], v[136:137]
	v_fma_f64 v[184:185], v[4:5], v[136:137], -v[138:139]
	v_add_f64_e32 v[186:187], v[134:135], v[132:133]
	v_add_f64_e32 v[176:177], v[176:177], v[182:183]
	ds_load_b128 v[4:7], v2 offset:1376
	ds_load_b128 v[132:135], v2 offset:1392
	scratch_load_b128 v[136:139], off, off offset:688
	v_fmac_f64_e32 v[178:179], v[130:131], v[140:141]
	v_fma_f64 v[140:141], v[128:129], v[140:141], -v[142:143]
	scratch_load_b128 v[128:131], off, off offset:704
	s_wait_loadcnt_dscnt 0xc01
	v_mul_f64_e32 v[182:183], v[4:5], v[146:147]
	v_mul_f64_e32 v[146:147], v[6:7], v[146:147]
	v_add_f64_e32 v[142:143], v[186:187], v[184:185]
	v_add_f64_e32 v[176:177], v[176:177], v[180:181]
	s_wait_loadcnt_dscnt 0xb00
	v_mul_f64_e32 v[180:181], v[132:133], v[150:151]
	v_mul_f64_e32 v[150:151], v[134:135], v[150:151]
	v_fmac_f64_e32 v[182:183], v[6:7], v[144:145]
	v_fma_f64 v[184:185], v[4:5], v[144:145], -v[146:147]
	v_add_f64_e32 v[186:187], v[142:143], v[140:141]
	v_add_f64_e32 v[176:177], v[176:177], v[178:179]
	ds_load_b128 v[4:7], v2 offset:1408
	ds_load_b128 v[140:143], v2 offset:1424
	scratch_load_b128 v[144:147], off, off offset:720
	v_fmac_f64_e32 v[180:181], v[134:135], v[148:149]
	v_fma_f64 v[148:149], v[132:133], v[148:149], -v[150:151]
	scratch_load_b128 v[132:135], off, off offset:736
	s_wait_loadcnt_dscnt 0xc01
	v_mul_f64_e32 v[178:179], v[4:5], v[158:159]
	v_mul_f64_e32 v[158:159], v[6:7], v[158:159]
	;; [unrolled: 18-line block ×5, first 2 shown]
	v_add_f64_e32 v[170:171], v[186:187], v[184:185]
	v_add_f64_e32 v[176:177], v[176:177], v[182:183]
	s_wait_loadcnt_dscnt 0xa00
	v_mul_f64_e32 v[182:183], v[148:149], v[14:15]
	v_mul_f64_e32 v[14:15], v[150:151], v[14:15]
	v_fmac_f64_e32 v[178:179], v[6:7], v[152:153]
	v_fma_f64 v[184:185], v[4:5], v[152:153], -v[154:155]
	ds_load_b128 v[4:7], v2 offset:1536
	ds_load_b128 v[152:155], v2 offset:1552
	v_add_f64_e32 v[168:169], v[170:171], v[168:169]
	v_add_f64_e32 v[170:171], v[176:177], v[180:181]
	v_fmac_f64_e32 v[182:183], v[150:151], v[12:13]
	v_fma_f64 v[12:13], v[148:149], v[12:13], -v[14:15]
	s_wait_loadcnt_dscnt 0x901
	v_mul_f64_e32 v[176:177], v[4:5], v[138:139]
	v_mul_f64_e32 v[138:139], v[6:7], v[138:139]
	s_wait_loadcnt_dscnt 0x800
	v_mul_f64_e32 v[150:151], v[152:153], v[130:131]
	v_mul_f64_e32 v[130:131], v[154:155], v[130:131]
	v_add_f64_e32 v[14:15], v[168:169], v[184:185]
	v_add_f64_e32 v[148:149], v[170:171], v[178:179]
	v_fmac_f64_e32 v[176:177], v[6:7], v[136:137]
	v_fma_f64 v[136:137], v[4:5], v[136:137], -v[138:139]
	v_fmac_f64_e32 v[150:151], v[154:155], v[128:129]
	v_fma_f64 v[128:129], v[152:153], v[128:129], -v[130:131]
	v_add_f64_e32 v[138:139], v[14:15], v[12:13]
	v_add_f64_e32 v[148:149], v[148:149], v[182:183]
	ds_load_b128 v[4:7], v2 offset:1568
	ds_load_b128 v[12:15], v2 offset:1584
	s_wait_loadcnt_dscnt 0x701
	v_mul_f64_e32 v[168:169], v[4:5], v[146:147]
	v_mul_f64_e32 v[146:147], v[6:7], v[146:147]
	v_add_f64_e32 v[130:131], v[138:139], v[136:137]
	v_add_f64_e32 v[136:137], v[148:149], v[176:177]
	s_wait_loadcnt_dscnt 0x600
	v_mul_f64_e32 v[138:139], v[12:13], v[134:135]
	v_mul_f64_e32 v[134:135], v[14:15], v[134:135]
	v_fmac_f64_e32 v[168:169], v[6:7], v[144:145]
	v_fma_f64 v[144:145], v[4:5], v[144:145], -v[146:147]
	v_add_f64_e32 v[146:147], v[130:131], v[128:129]
	v_add_f64_e32 v[136:137], v[136:137], v[150:151]
	ds_load_b128 v[4:7], v2 offset:1600
	ds_load_b128 v[128:131], v2 offset:1616
	v_fmac_f64_e32 v[138:139], v[14:15], v[132:133]
	v_fma_f64 v[12:13], v[12:13], v[132:133], -v[134:135]
	s_wait_loadcnt_dscnt 0x501
	v_mul_f64_e32 v[148:149], v[4:5], v[158:159]
	v_mul_f64_e32 v[150:151], v[6:7], v[158:159]
	s_wait_loadcnt_dscnt 0x400
	v_mul_f64_e32 v[134:135], v[128:129], v[142:143]
	v_add_f64_e32 v[14:15], v[146:147], v[144:145]
	v_add_f64_e32 v[132:133], v[136:137], v[168:169]
	v_mul_f64_e32 v[136:137], v[130:131], v[142:143]
	v_fmac_f64_e32 v[148:149], v[6:7], v[156:157]
	v_fma_f64 v[142:143], v[4:5], v[156:157], -v[150:151]
	v_fmac_f64_e32 v[134:135], v[130:131], v[140:141]
	v_add_f64_e32 v[144:145], v[14:15], v[12:13]
	v_add_f64_e32 v[132:133], v[132:133], v[138:139]
	ds_load_b128 v[4:7], v2 offset:1632
	ds_load_b128 v[12:15], v2 offset:1648
	v_fma_f64 v[128:129], v[128:129], v[140:141], -v[136:137]
	s_wait_loadcnt_dscnt 0x301
	v_mul_f64_e32 v[138:139], v[4:5], v[174:175]
	v_mul_f64_e32 v[146:147], v[6:7], v[174:175]
	s_wait_loadcnt_dscnt 0x200
	v_mul_f64_e32 v[136:137], v[12:13], v[10:11]
	v_mul_f64_e32 v[10:11], v[14:15], v[10:11]
	v_add_f64_e32 v[130:131], v[144:145], v[142:143]
	v_add_f64_e32 v[132:133], v[132:133], v[148:149]
	v_fmac_f64_e32 v[138:139], v[6:7], v[172:173]
	v_fma_f64 v[140:141], v[4:5], v[172:173], -v[146:147]
	v_fmac_f64_e32 v[136:137], v[14:15], v[8:9]
	v_fma_f64 v[8:9], v[12:13], v[8:9], -v[10:11]
	v_add_f64_e32 v[142:143], v[130:131], v[128:129]
	v_add_f64_e32 v[132:133], v[132:133], v[134:135]
	ds_load_b128 v[4:7], v2 offset:1664
	ds_load_b128 v[128:131], v2 offset:1680
	s_wait_loadcnt_dscnt 0x101
	v_mul_f64_e32 v[2:3], v[4:5], v[162:163]
	v_mul_f64_e32 v[134:135], v[6:7], v[162:163]
	s_wait_loadcnt_dscnt 0x0
	v_mul_f64_e32 v[14:15], v[128:129], v[126:127]
	v_mul_f64_e32 v[126:127], v[130:131], v[126:127]
	v_add_f64_e32 v[10:11], v[142:143], v[140:141]
	v_add_f64_e32 v[12:13], v[132:133], v[138:139]
	v_fmac_f64_e32 v[2:3], v[6:7], v[160:161]
	v_fma_f64 v[4:5], v[4:5], v[160:161], -v[134:135]
	v_fmac_f64_e32 v[14:15], v[130:131], v[124:125]
	v_add_f64_e32 v[6:7], v[10:11], v[8:9]
	v_add_f64_e32 v[8:9], v[12:13], v[136:137]
	v_fma_f64 v[10:11], v[128:129], v[124:125], -v[126:127]
	s_delay_alu instid0(VALU_DEP_3) | instskip(NEXT) | instid1(VALU_DEP_3)
	v_add_f64_e32 v[4:5], v[6:7], v[4:5]
	v_add_f64_e32 v[2:3], v[8:9], v[2:3]
	s_delay_alu instid0(VALU_DEP_2) | instskip(NEXT) | instid1(VALU_DEP_2)
	v_add_f64_e32 v[4:5], v[4:5], v[10:11]
	v_add_f64_e32 v[6:7], v[2:3], v[14:15]
	s_delay_alu instid0(VALU_DEP_2) | instskip(NEXT) | instid1(VALU_DEP_2)
	v_add_f64_e64 v[2:3], v[164:165], -v[4:5]
	v_add_f64_e64 v[4:5], v[166:167], -v[6:7]
	scratch_store_b128 off, v[2:5], off offset:384
	s_wait_xcnt 0x0
	v_cmpx_lt_u32_e32 23, v1
	s_cbranch_execz .LBB116_285
; %bb.284:
	scratch_load_b128 v[2:5], off, s46
	v_mov_b32_e32 v6, 0
	s_delay_alu instid0(VALU_DEP_1)
	v_dual_mov_b32 v7, v6 :: v_dual_mov_b32 v8, v6
	v_mov_b32_e32 v9, v6
	scratch_store_b128 off, v[6:9], off offset:368
	s_wait_loadcnt 0x0
	ds_store_b128 v122, v[2:5]
.LBB116_285:
	s_wait_xcnt 0x0
	s_or_b32 exec_lo, exec_lo, s2
	s_wait_storecnt_dscnt 0x0
	s_barrier_signal -1
	s_barrier_wait -1
	s_clause 0x9
	scratch_load_b128 v[4:7], off, off offset:384
	scratch_load_b128 v[8:11], off, off offset:400
	;; [unrolled: 1-line block ×10, first 2 shown]
	v_mov_b32_e32 v2, 0
	s_mov_b32 s2, exec_lo
	ds_load_b128 v[152:155], v2 offset:1232
	s_clause 0x2
	scratch_load_b128 v[156:159], off, off offset:544
	scratch_load_b128 v[160:163], off, off offset:368
	;; [unrolled: 1-line block ×3, first 2 shown]
	s_wait_loadcnt_dscnt 0xc00
	v_mul_f64_e32 v[172:173], v[154:155], v[6:7]
	v_mul_f64_e32 v[176:177], v[152:153], v[6:7]
	ds_load_b128 v[164:167], v2 offset:1248
	v_fma_f64 v[180:181], v[152:153], v[4:5], -v[172:173]
	v_fmac_f64_e32 v[176:177], v[154:155], v[4:5]
	ds_load_b128 v[4:7], v2 offset:1264
	s_wait_loadcnt_dscnt 0xb01
	v_mul_f64_e32 v[178:179], v[164:165], v[10:11]
	v_mul_f64_e32 v[10:11], v[166:167], v[10:11]
	scratch_load_b128 v[152:155], off, off offset:576
	ds_load_b128 v[172:175], v2 offset:1280
	s_wait_loadcnt_dscnt 0xb01
	v_mul_f64_e32 v[182:183], v[4:5], v[14:15]
	v_mul_f64_e32 v[14:15], v[6:7], v[14:15]
	v_add_f64_e32 v[176:177], 0, v[176:177]
	v_fmac_f64_e32 v[178:179], v[166:167], v[8:9]
	v_fma_f64 v[164:165], v[164:165], v[8:9], -v[10:11]
	v_add_f64_e32 v[166:167], 0, v[180:181]
	scratch_load_b128 v[8:11], off, off offset:592
	v_fmac_f64_e32 v[182:183], v[6:7], v[12:13]
	v_fma_f64 v[184:185], v[4:5], v[12:13], -v[14:15]
	ds_load_b128 v[4:7], v2 offset:1296
	s_wait_loadcnt_dscnt 0xb01
	v_mul_f64_e32 v[180:181], v[172:173], v[126:127]
	v_mul_f64_e32 v[126:127], v[174:175], v[126:127]
	scratch_load_b128 v[12:15], off, off offset:608
	v_add_f64_e32 v[176:177], v[176:177], v[178:179]
	v_add_f64_e32 v[186:187], v[166:167], v[164:165]
	ds_load_b128 v[164:167], v2 offset:1312
	s_wait_loadcnt_dscnt 0xb01
	v_mul_f64_e32 v[178:179], v[4:5], v[130:131]
	v_mul_f64_e32 v[130:131], v[6:7], v[130:131]
	v_fmac_f64_e32 v[180:181], v[174:175], v[124:125]
	v_fma_f64 v[172:173], v[172:173], v[124:125], -v[126:127]
	scratch_load_b128 v[124:127], off, off offset:624
	v_add_f64_e32 v[176:177], v[176:177], v[182:183]
	v_add_f64_e32 v[174:175], v[186:187], v[184:185]
	v_fmac_f64_e32 v[178:179], v[6:7], v[128:129]
	v_fma_f64 v[184:185], v[4:5], v[128:129], -v[130:131]
	ds_load_b128 v[4:7], v2 offset:1328
	s_wait_loadcnt_dscnt 0xb01
	v_mul_f64_e32 v[182:183], v[164:165], v[134:135]
	v_mul_f64_e32 v[134:135], v[166:167], v[134:135]
	scratch_load_b128 v[128:131], off, off offset:640
	v_add_f64_e32 v[176:177], v[176:177], v[180:181]
	s_wait_loadcnt_dscnt 0xb00
	v_mul_f64_e32 v[180:181], v[4:5], v[138:139]
	v_add_f64_e32 v[186:187], v[174:175], v[172:173]
	v_mul_f64_e32 v[138:139], v[6:7], v[138:139]
	ds_load_b128 v[172:175], v2 offset:1344
	v_fmac_f64_e32 v[182:183], v[166:167], v[132:133]
	v_fma_f64 v[164:165], v[164:165], v[132:133], -v[134:135]
	scratch_load_b128 v[132:135], off, off offset:656
	v_add_f64_e32 v[176:177], v[176:177], v[178:179]
	v_fmac_f64_e32 v[180:181], v[6:7], v[136:137]
	v_add_f64_e32 v[166:167], v[186:187], v[184:185]
	v_fma_f64 v[184:185], v[4:5], v[136:137], -v[138:139]
	ds_load_b128 v[4:7], v2 offset:1360
	s_wait_loadcnt_dscnt 0xb01
	v_mul_f64_e32 v[178:179], v[172:173], v[142:143]
	v_mul_f64_e32 v[142:143], v[174:175], v[142:143]
	scratch_load_b128 v[136:139], off, off offset:672
	v_add_f64_e32 v[176:177], v[176:177], v[182:183]
	s_wait_loadcnt_dscnt 0xb00
	v_mul_f64_e32 v[182:183], v[4:5], v[146:147]
	v_add_f64_e32 v[186:187], v[166:167], v[164:165]
	v_mul_f64_e32 v[146:147], v[6:7], v[146:147]
	ds_load_b128 v[164:167], v2 offset:1376
	v_fmac_f64_e32 v[178:179], v[174:175], v[140:141]
	v_fma_f64 v[172:173], v[172:173], v[140:141], -v[142:143]
	scratch_load_b128 v[140:143], off, off offset:688
	v_add_f64_e32 v[176:177], v[176:177], v[180:181]
	v_fmac_f64_e32 v[182:183], v[6:7], v[144:145]
	v_add_f64_e32 v[174:175], v[186:187], v[184:185]
	;; [unrolled: 18-line block ×3, first 2 shown]
	v_fma_f64 v[184:185], v[4:5], v[156:157], -v[158:159]
	ds_load_b128 v[4:7], v2 offset:1424
	s_wait_loadcnt_dscnt 0xa01
	v_mul_f64_e32 v[182:183], v[172:173], v[170:171]
	v_mul_f64_e32 v[170:171], v[174:175], v[170:171]
	scratch_load_b128 v[156:159], off, off offset:736
	v_add_f64_e32 v[176:177], v[176:177], v[180:181]
	v_add_f64_e32 v[186:187], v[166:167], v[164:165]
	s_wait_loadcnt_dscnt 0xa00
	v_mul_f64_e32 v[180:181], v[4:5], v[154:155]
	v_mul_f64_e32 v[154:155], v[6:7], v[154:155]
	v_fmac_f64_e32 v[182:183], v[174:175], v[168:169]
	v_fma_f64 v[172:173], v[172:173], v[168:169], -v[170:171]
	ds_load_b128 v[164:167], v2 offset:1440
	scratch_load_b128 v[168:171], off, off offset:752
	v_add_f64_e32 v[176:177], v[176:177], v[178:179]
	v_add_f64_e32 v[174:175], v[186:187], v[184:185]
	v_fmac_f64_e32 v[180:181], v[6:7], v[152:153]
	v_fma_f64 v[184:185], v[4:5], v[152:153], -v[154:155]
	ds_load_b128 v[4:7], v2 offset:1456
	s_wait_loadcnt_dscnt 0xa01
	v_mul_f64_e32 v[178:179], v[164:165], v[10:11]
	v_mul_f64_e32 v[10:11], v[166:167], v[10:11]
	scratch_load_b128 v[152:155], off, off offset:768
	v_add_f64_e32 v[176:177], v[176:177], v[182:183]
	s_wait_loadcnt_dscnt 0xa00
	v_mul_f64_e32 v[182:183], v[4:5], v[14:15]
	v_add_f64_e32 v[186:187], v[174:175], v[172:173]
	v_mul_f64_e32 v[14:15], v[6:7], v[14:15]
	ds_load_b128 v[172:175], v2 offset:1472
	v_fmac_f64_e32 v[178:179], v[166:167], v[8:9]
	v_fma_f64 v[164:165], v[164:165], v[8:9], -v[10:11]
	scratch_load_b128 v[8:11], off, off offset:784
	v_add_f64_e32 v[176:177], v[176:177], v[180:181]
	v_fmac_f64_e32 v[182:183], v[6:7], v[12:13]
	v_add_f64_e32 v[166:167], v[186:187], v[184:185]
	v_fma_f64 v[184:185], v[4:5], v[12:13], -v[14:15]
	ds_load_b128 v[4:7], v2 offset:1488
	s_wait_loadcnt_dscnt 0xa01
	v_mul_f64_e32 v[180:181], v[172:173], v[126:127]
	v_mul_f64_e32 v[126:127], v[174:175], v[126:127]
	scratch_load_b128 v[12:15], off, off offset:800
	v_add_f64_e32 v[176:177], v[176:177], v[178:179]
	s_wait_loadcnt_dscnt 0xa00
	v_mul_f64_e32 v[178:179], v[4:5], v[130:131]
	v_add_f64_e32 v[186:187], v[166:167], v[164:165]
	v_mul_f64_e32 v[130:131], v[6:7], v[130:131]
	ds_load_b128 v[164:167], v2 offset:1504
	v_fmac_f64_e32 v[180:181], v[174:175], v[124:125]
	v_fma_f64 v[172:173], v[172:173], v[124:125], -v[126:127]
	scratch_load_b128 v[124:127], off, off offset:816
	v_add_f64_e32 v[176:177], v[176:177], v[182:183]
	v_fmac_f64_e32 v[178:179], v[6:7], v[128:129]
	v_add_f64_e32 v[174:175], v[186:187], v[184:185]
	v_fma_f64 v[184:185], v[4:5], v[128:129], -v[130:131]
	ds_load_b128 v[4:7], v2 offset:1520
	s_wait_loadcnt_dscnt 0xa01
	v_mul_f64_e32 v[182:183], v[164:165], v[134:135]
	v_mul_f64_e32 v[134:135], v[166:167], v[134:135]
	scratch_load_b128 v[128:131], off, off offset:832
	v_add_f64_e32 v[176:177], v[176:177], v[180:181]
	s_wait_loadcnt_dscnt 0xa00
	v_mul_f64_e32 v[180:181], v[4:5], v[138:139]
	v_add_f64_e32 v[186:187], v[174:175], v[172:173]
	v_mul_f64_e32 v[138:139], v[6:7], v[138:139]
	ds_load_b128 v[172:175], v2 offset:1536
	v_fmac_f64_e32 v[182:183], v[166:167], v[132:133]
	v_fma_f64 v[132:133], v[164:165], v[132:133], -v[134:135]
	s_wait_loadcnt_dscnt 0x900
	v_mul_f64_e32 v[166:167], v[172:173], v[142:143]
	v_mul_f64_e32 v[142:143], v[174:175], v[142:143]
	v_add_f64_e32 v[164:165], v[176:177], v[178:179]
	v_fmac_f64_e32 v[180:181], v[6:7], v[136:137]
	v_add_f64_e32 v[134:135], v[186:187], v[184:185]
	v_fma_f64 v[136:137], v[4:5], v[136:137], -v[138:139]
	v_fmac_f64_e32 v[166:167], v[174:175], v[140:141]
	v_fma_f64 v[140:141], v[172:173], v[140:141], -v[142:143]
	v_add_f64_e32 v[164:165], v[164:165], v[182:183]
	v_add_f64_e32 v[138:139], v[134:135], v[132:133]
	ds_load_b128 v[4:7], v2 offset:1552
	ds_load_b128 v[132:135], v2 offset:1568
	s_wait_loadcnt_dscnt 0x801
	v_mul_f64_e32 v[176:177], v[4:5], v[146:147]
	v_mul_f64_e32 v[146:147], v[6:7], v[146:147]
	s_wait_loadcnt_dscnt 0x700
	v_mul_f64_e32 v[142:143], v[132:133], v[150:151]
	v_mul_f64_e32 v[150:151], v[134:135], v[150:151]
	v_add_f64_e32 v[136:137], v[138:139], v[136:137]
	v_add_f64_e32 v[138:139], v[164:165], v[180:181]
	v_fmac_f64_e32 v[176:177], v[6:7], v[144:145]
	v_fma_f64 v[144:145], v[4:5], v[144:145], -v[146:147]
	v_fmac_f64_e32 v[142:143], v[134:135], v[148:149]
	v_fma_f64 v[132:133], v[132:133], v[148:149], -v[150:151]
	v_add_f64_e32 v[140:141], v[136:137], v[140:141]
	v_add_f64_e32 v[146:147], v[138:139], v[166:167]
	ds_load_b128 v[4:7], v2 offset:1584
	ds_load_b128 v[136:139], v2 offset:1600
	s_wait_loadcnt_dscnt 0x601
	v_mul_f64_e32 v[164:165], v[4:5], v[158:159]
	v_mul_f64_e32 v[158:159], v[6:7], v[158:159]
	v_add_f64_e32 v[134:135], v[140:141], v[144:145]
	v_add_f64_e32 v[140:141], v[146:147], v[176:177]
	s_wait_loadcnt_dscnt 0x500
	v_mul_f64_e32 v[144:145], v[136:137], v[170:171]
	v_mul_f64_e32 v[146:147], v[138:139], v[170:171]
	v_fmac_f64_e32 v[164:165], v[6:7], v[156:157]
	v_fma_f64 v[148:149], v[4:5], v[156:157], -v[158:159]
	v_add_f64_e32 v[150:151], v[134:135], v[132:133]
	v_add_f64_e32 v[140:141], v[140:141], v[142:143]
	ds_load_b128 v[4:7], v2 offset:1616
	ds_load_b128 v[132:135], v2 offset:1632
	v_fmac_f64_e32 v[144:145], v[138:139], v[168:169]
	v_fma_f64 v[136:137], v[136:137], v[168:169], -v[146:147]
	s_wait_loadcnt_dscnt 0x401
	v_mul_f64_e32 v[142:143], v[4:5], v[154:155]
	v_mul_f64_e32 v[154:155], v[6:7], v[154:155]
	s_wait_loadcnt_dscnt 0x300
	v_mul_f64_e32 v[146:147], v[132:133], v[10:11]
	v_mul_f64_e32 v[10:11], v[134:135], v[10:11]
	v_add_f64_e32 v[138:139], v[150:151], v[148:149]
	v_add_f64_e32 v[140:141], v[140:141], v[164:165]
	v_fmac_f64_e32 v[142:143], v[6:7], v[152:153]
	v_fma_f64 v[148:149], v[4:5], v[152:153], -v[154:155]
	v_fmac_f64_e32 v[146:147], v[134:135], v[8:9]
	v_fma_f64 v[8:9], v[132:133], v[8:9], -v[10:11]
	v_add_f64_e32 v[150:151], v[138:139], v[136:137]
	v_add_f64_e32 v[140:141], v[140:141], v[144:145]
	ds_load_b128 v[4:7], v2 offset:1648
	ds_load_b128 v[136:139], v2 offset:1664
	s_wait_loadcnt_dscnt 0x201
	v_mul_f64_e32 v[144:145], v[4:5], v[14:15]
	v_mul_f64_e32 v[14:15], v[6:7], v[14:15]
	s_wait_loadcnt_dscnt 0x100
	v_mul_f64_e32 v[134:135], v[136:137], v[126:127]
	v_mul_f64_e32 v[126:127], v[138:139], v[126:127]
	v_add_f64_e32 v[10:11], v[150:151], v[148:149]
	v_add_f64_e32 v[132:133], v[140:141], v[142:143]
	v_fmac_f64_e32 v[144:145], v[6:7], v[12:13]
	v_fma_f64 v[12:13], v[4:5], v[12:13], -v[14:15]
	ds_load_b128 v[4:7], v2 offset:1680
	v_fmac_f64_e32 v[134:135], v[138:139], v[124:125]
	v_fma_f64 v[124:125], v[136:137], v[124:125], -v[126:127]
	v_add_f64_e32 v[8:9], v[10:11], v[8:9]
	v_add_f64_e32 v[10:11], v[132:133], v[146:147]
	s_wait_loadcnt_dscnt 0x0
	v_mul_f64_e32 v[14:15], v[4:5], v[130:131]
	v_mul_f64_e32 v[130:131], v[6:7], v[130:131]
	s_delay_alu instid0(VALU_DEP_4) | instskip(NEXT) | instid1(VALU_DEP_4)
	v_add_f64_e32 v[8:9], v[8:9], v[12:13]
	v_add_f64_e32 v[10:11], v[10:11], v[144:145]
	s_delay_alu instid0(VALU_DEP_4) | instskip(NEXT) | instid1(VALU_DEP_4)
	v_fmac_f64_e32 v[14:15], v[6:7], v[128:129]
	v_fma_f64 v[4:5], v[4:5], v[128:129], -v[130:131]
	s_delay_alu instid0(VALU_DEP_4) | instskip(NEXT) | instid1(VALU_DEP_4)
	v_add_f64_e32 v[6:7], v[8:9], v[124:125]
	v_add_f64_e32 v[8:9], v[10:11], v[134:135]
	s_delay_alu instid0(VALU_DEP_2) | instskip(NEXT) | instid1(VALU_DEP_2)
	v_add_f64_e32 v[4:5], v[6:7], v[4:5]
	v_add_f64_e32 v[6:7], v[8:9], v[14:15]
	s_delay_alu instid0(VALU_DEP_2) | instskip(NEXT) | instid1(VALU_DEP_2)
	v_add_f64_e64 v[4:5], v[160:161], -v[4:5]
	v_add_f64_e64 v[6:7], v[162:163], -v[6:7]
	scratch_store_b128 off, v[4:7], off offset:368
	s_wait_xcnt 0x0
	v_cmpx_lt_u32_e32 22, v1
	s_cbranch_execz .LBB116_287
; %bb.286:
	scratch_load_b128 v[6:9], off, s47
	v_dual_mov_b32 v3, v2 :: v_dual_mov_b32 v4, v2
	v_mov_b32_e32 v5, v2
	scratch_store_b128 off, v[2:5], off offset:352
	s_wait_loadcnt 0x0
	ds_store_b128 v122, v[6:9]
.LBB116_287:
	s_wait_xcnt 0x0
	s_or_b32 exec_lo, exec_lo, s2
	s_wait_storecnt_dscnt 0x0
	s_barrier_signal -1
	s_barrier_wait -1
	s_clause 0x9
	scratch_load_b128 v[4:7], off, off offset:368
	scratch_load_b128 v[8:11], off, off offset:384
	scratch_load_b128 v[12:15], off, off offset:400
	scratch_load_b128 v[124:127], off, off offset:416
	scratch_load_b128 v[128:131], off, off offset:432
	scratch_load_b128 v[132:135], off, off offset:448
	scratch_load_b128 v[136:139], off, off offset:464
	scratch_load_b128 v[140:143], off, off offset:480
	scratch_load_b128 v[144:147], off, off offset:496
	scratch_load_b128 v[148:151], off, off offset:512
	ds_load_b128 v[152:155], v2 offset:1216
	ds_load_b128 v[160:163], v2 offset:1232
	s_clause 0x2
	scratch_load_b128 v[156:159], off, off offset:528
	scratch_load_b128 v[164:167], off, off offset:352
	;; [unrolled: 1-line block ×3, first 2 shown]
	s_mov_b32 s2, exec_lo
	s_wait_loadcnt_dscnt 0xc01
	v_mul_f64_e32 v[172:173], v[154:155], v[6:7]
	v_mul_f64_e32 v[176:177], v[152:153], v[6:7]
	s_wait_loadcnt_dscnt 0xb00
	v_mul_f64_e32 v[178:179], v[160:161], v[10:11]
	v_mul_f64_e32 v[10:11], v[162:163], v[10:11]
	s_delay_alu instid0(VALU_DEP_4) | instskip(NEXT) | instid1(VALU_DEP_4)
	v_fma_f64 v[180:181], v[152:153], v[4:5], -v[172:173]
	v_fmac_f64_e32 v[176:177], v[154:155], v[4:5]
	ds_load_b128 v[4:7], v2 offset:1248
	ds_load_b128 v[152:155], v2 offset:1264
	scratch_load_b128 v[172:175], off, off offset:560
	v_fmac_f64_e32 v[178:179], v[162:163], v[8:9]
	v_fma_f64 v[160:161], v[160:161], v[8:9], -v[10:11]
	scratch_load_b128 v[8:11], off, off offset:576
	s_wait_loadcnt_dscnt 0xc01
	v_mul_f64_e32 v[182:183], v[4:5], v[14:15]
	v_mul_f64_e32 v[14:15], v[6:7], v[14:15]
	v_add_f64_e32 v[162:163], 0, v[180:181]
	v_add_f64_e32 v[176:177], 0, v[176:177]
	s_wait_loadcnt_dscnt 0xb00
	v_mul_f64_e32 v[180:181], v[152:153], v[126:127]
	v_mul_f64_e32 v[126:127], v[154:155], v[126:127]
	v_fmac_f64_e32 v[182:183], v[6:7], v[12:13]
	v_fma_f64 v[184:185], v[4:5], v[12:13], -v[14:15]
	ds_load_b128 v[4:7], v2 offset:1280
	ds_load_b128 v[12:15], v2 offset:1296
	v_add_f64_e32 v[186:187], v[162:163], v[160:161]
	v_add_f64_e32 v[176:177], v[176:177], v[178:179]
	scratch_load_b128 v[160:163], off, off offset:592
	v_fmac_f64_e32 v[180:181], v[154:155], v[124:125]
	v_fma_f64 v[152:153], v[152:153], v[124:125], -v[126:127]
	scratch_load_b128 v[124:127], off, off offset:608
	s_wait_loadcnt_dscnt 0xc01
	v_mul_f64_e32 v[178:179], v[4:5], v[130:131]
	v_mul_f64_e32 v[130:131], v[6:7], v[130:131]
	v_add_f64_e32 v[154:155], v[186:187], v[184:185]
	v_add_f64_e32 v[176:177], v[176:177], v[182:183]
	s_wait_loadcnt_dscnt 0xb00
	v_mul_f64_e32 v[182:183], v[12:13], v[134:135]
	v_mul_f64_e32 v[134:135], v[14:15], v[134:135]
	v_fmac_f64_e32 v[178:179], v[6:7], v[128:129]
	v_fma_f64 v[184:185], v[4:5], v[128:129], -v[130:131]
	ds_load_b128 v[4:7], v2 offset:1312
	ds_load_b128 v[128:131], v2 offset:1328
	v_add_f64_e32 v[186:187], v[154:155], v[152:153]
	v_add_f64_e32 v[176:177], v[176:177], v[180:181]
	scratch_load_b128 v[152:155], off, off offset:624
	s_wait_loadcnt_dscnt 0xb01
	v_mul_f64_e32 v[180:181], v[4:5], v[138:139]
	v_mul_f64_e32 v[138:139], v[6:7], v[138:139]
	v_fmac_f64_e32 v[182:183], v[14:15], v[132:133]
	v_fma_f64 v[132:133], v[12:13], v[132:133], -v[134:135]
	scratch_load_b128 v[12:15], off, off offset:640
	v_add_f64_e32 v[134:135], v[186:187], v[184:185]
	v_add_f64_e32 v[176:177], v[176:177], v[178:179]
	s_wait_loadcnt_dscnt 0xb00
	v_mul_f64_e32 v[178:179], v[128:129], v[142:143]
	v_mul_f64_e32 v[142:143], v[130:131], v[142:143]
	v_fmac_f64_e32 v[180:181], v[6:7], v[136:137]
	v_fma_f64 v[184:185], v[4:5], v[136:137], -v[138:139]
	v_add_f64_e32 v[186:187], v[134:135], v[132:133]
	v_add_f64_e32 v[176:177], v[176:177], v[182:183]
	ds_load_b128 v[4:7], v2 offset:1344
	ds_load_b128 v[132:135], v2 offset:1360
	scratch_load_b128 v[136:139], off, off offset:656
	v_fmac_f64_e32 v[178:179], v[130:131], v[140:141]
	v_fma_f64 v[140:141], v[128:129], v[140:141], -v[142:143]
	scratch_load_b128 v[128:131], off, off offset:672
	s_wait_loadcnt_dscnt 0xc01
	v_mul_f64_e32 v[182:183], v[4:5], v[146:147]
	v_mul_f64_e32 v[146:147], v[6:7], v[146:147]
	v_add_f64_e32 v[142:143], v[186:187], v[184:185]
	v_add_f64_e32 v[176:177], v[176:177], v[180:181]
	s_wait_loadcnt_dscnt 0xb00
	v_mul_f64_e32 v[180:181], v[132:133], v[150:151]
	v_mul_f64_e32 v[150:151], v[134:135], v[150:151]
	v_fmac_f64_e32 v[182:183], v[6:7], v[144:145]
	v_fma_f64 v[184:185], v[4:5], v[144:145], -v[146:147]
	v_add_f64_e32 v[186:187], v[142:143], v[140:141]
	v_add_f64_e32 v[176:177], v[176:177], v[178:179]
	ds_load_b128 v[4:7], v2 offset:1376
	ds_load_b128 v[140:143], v2 offset:1392
	scratch_load_b128 v[144:147], off, off offset:688
	v_fmac_f64_e32 v[180:181], v[134:135], v[148:149]
	v_fma_f64 v[148:149], v[132:133], v[148:149], -v[150:151]
	scratch_load_b128 v[132:135], off, off offset:704
	s_wait_loadcnt_dscnt 0xc01
	v_mul_f64_e32 v[178:179], v[4:5], v[158:159]
	v_mul_f64_e32 v[158:159], v[6:7], v[158:159]
	;; [unrolled: 18-line block ×5, first 2 shown]
	v_add_f64_e32 v[170:171], v[186:187], v[184:185]
	v_add_f64_e32 v[176:177], v[176:177], v[182:183]
	s_wait_loadcnt_dscnt 0xa00
	v_mul_f64_e32 v[182:183], v[148:149], v[14:15]
	v_mul_f64_e32 v[14:15], v[150:151], v[14:15]
	v_fmac_f64_e32 v[178:179], v[6:7], v[152:153]
	v_fma_f64 v[184:185], v[4:5], v[152:153], -v[154:155]
	ds_load_b128 v[4:7], v2 offset:1504
	ds_load_b128 v[152:155], v2 offset:1520
	v_add_f64_e32 v[186:187], v[170:171], v[168:169]
	v_add_f64_e32 v[176:177], v[176:177], v[180:181]
	scratch_load_b128 v[168:171], off, off offset:816
	v_fmac_f64_e32 v[182:183], v[150:151], v[12:13]
	v_fma_f64 v[148:149], v[148:149], v[12:13], -v[14:15]
	scratch_load_b128 v[12:15], off, off offset:832
	s_wait_loadcnt_dscnt 0xb01
	v_mul_f64_e32 v[180:181], v[4:5], v[138:139]
	v_mul_f64_e32 v[138:139], v[6:7], v[138:139]
	v_add_f64_e32 v[150:151], v[186:187], v[184:185]
	v_add_f64_e32 v[176:177], v[176:177], v[178:179]
	s_wait_loadcnt_dscnt 0xa00
	v_mul_f64_e32 v[178:179], v[152:153], v[130:131]
	v_mul_f64_e32 v[130:131], v[154:155], v[130:131]
	v_fmac_f64_e32 v[180:181], v[6:7], v[136:137]
	v_fma_f64 v[184:185], v[4:5], v[136:137], -v[138:139]
	ds_load_b128 v[4:7], v2 offset:1536
	ds_load_b128 v[136:139], v2 offset:1552
	v_add_f64_e32 v[148:149], v[150:151], v[148:149]
	v_add_f64_e32 v[150:151], v[176:177], v[182:183]
	v_fmac_f64_e32 v[178:179], v[154:155], v[128:129]
	s_wait_loadcnt_dscnt 0x901
	v_mul_f64_e32 v[176:177], v[4:5], v[146:147]
	v_mul_f64_e32 v[146:147], v[6:7], v[146:147]
	v_fma_f64 v[128:129], v[152:153], v[128:129], -v[130:131]
	v_add_f64_e32 v[130:131], v[148:149], v[184:185]
	v_add_f64_e32 v[148:149], v[150:151], v[180:181]
	s_wait_loadcnt_dscnt 0x800
	v_mul_f64_e32 v[150:151], v[136:137], v[134:135]
	v_mul_f64_e32 v[134:135], v[138:139], v[134:135]
	v_fmac_f64_e32 v[176:177], v[6:7], v[144:145]
	v_fma_f64 v[144:145], v[4:5], v[144:145], -v[146:147]
	v_add_f64_e32 v[146:147], v[130:131], v[128:129]
	v_add_f64_e32 v[148:149], v[148:149], v[178:179]
	ds_load_b128 v[4:7], v2 offset:1568
	ds_load_b128 v[128:131], v2 offset:1584
	v_fmac_f64_e32 v[150:151], v[138:139], v[132:133]
	v_fma_f64 v[132:133], v[136:137], v[132:133], -v[134:135]
	s_wait_loadcnt_dscnt 0x701
	v_mul_f64_e32 v[152:153], v[4:5], v[158:159]
	v_mul_f64_e32 v[154:155], v[6:7], v[158:159]
	s_wait_loadcnt_dscnt 0x600
	v_mul_f64_e32 v[138:139], v[128:129], v[142:143]
	v_mul_f64_e32 v[142:143], v[130:131], v[142:143]
	v_add_f64_e32 v[134:135], v[146:147], v[144:145]
	v_add_f64_e32 v[136:137], v[148:149], v[176:177]
	v_fmac_f64_e32 v[152:153], v[6:7], v[156:157]
	v_fma_f64 v[144:145], v[4:5], v[156:157], -v[154:155]
	v_fmac_f64_e32 v[138:139], v[130:131], v[140:141]
	v_fma_f64 v[128:129], v[128:129], v[140:141], -v[142:143]
	v_add_f64_e32 v[146:147], v[134:135], v[132:133]
	v_add_f64_e32 v[136:137], v[136:137], v[150:151]
	ds_load_b128 v[4:7], v2 offset:1600
	ds_load_b128 v[132:135], v2 offset:1616
	s_wait_loadcnt_dscnt 0x501
	v_mul_f64_e32 v[148:149], v[4:5], v[174:175]
	v_mul_f64_e32 v[150:151], v[6:7], v[174:175]
	s_wait_loadcnt_dscnt 0x400
	v_mul_f64_e32 v[140:141], v[132:133], v[10:11]
	v_mul_f64_e32 v[10:11], v[134:135], v[10:11]
	v_add_f64_e32 v[130:131], v[146:147], v[144:145]
	v_add_f64_e32 v[136:137], v[136:137], v[152:153]
	v_fmac_f64_e32 v[148:149], v[6:7], v[172:173]
	v_fma_f64 v[142:143], v[4:5], v[172:173], -v[150:151]
	v_fmac_f64_e32 v[140:141], v[134:135], v[8:9]
	v_fma_f64 v[8:9], v[132:133], v[8:9], -v[10:11]
	v_add_f64_e32 v[144:145], v[130:131], v[128:129]
	v_add_f64_e32 v[136:137], v[136:137], v[138:139]
	ds_load_b128 v[4:7], v2 offset:1632
	ds_load_b128 v[128:131], v2 offset:1648
	;; [unrolled: 16-line block ×3, first 2 shown]
	s_wait_loadcnt_dscnt 0x101
	v_mul_f64_e32 v[2:3], v[4:5], v[170:171]
	v_mul_f64_e32 v[140:141], v[6:7], v[170:171]
	s_wait_loadcnt_dscnt 0x0
	v_mul_f64_e32 v[130:131], v[8:9], v[14:15]
	v_mul_f64_e32 v[14:15], v[10:11], v[14:15]
	v_add_f64_e32 v[126:127], v[142:143], v[136:137]
	v_add_f64_e32 v[128:129], v[132:133], v[138:139]
	v_fmac_f64_e32 v[2:3], v[6:7], v[168:169]
	v_fma_f64 v[4:5], v[4:5], v[168:169], -v[140:141]
	v_fmac_f64_e32 v[130:131], v[10:11], v[12:13]
	v_fma_f64 v[8:9], v[8:9], v[12:13], -v[14:15]
	v_add_f64_e32 v[6:7], v[126:127], v[124:125]
	v_add_f64_e32 v[124:125], v[128:129], v[134:135]
	s_delay_alu instid0(VALU_DEP_2) | instskip(NEXT) | instid1(VALU_DEP_2)
	v_add_f64_e32 v[4:5], v[6:7], v[4:5]
	v_add_f64_e32 v[2:3], v[124:125], v[2:3]
	s_delay_alu instid0(VALU_DEP_2) | instskip(NEXT) | instid1(VALU_DEP_2)
	;; [unrolled: 3-line block ×3, first 2 shown]
	v_add_f64_e64 v[2:3], v[164:165], -v[4:5]
	v_add_f64_e64 v[4:5], v[166:167], -v[6:7]
	scratch_store_b128 off, v[2:5], off offset:352
	s_wait_xcnt 0x0
	v_cmpx_lt_u32_e32 21, v1
	s_cbranch_execz .LBB116_289
; %bb.288:
	scratch_load_b128 v[2:5], off, s48
	v_mov_b32_e32 v6, 0
	s_delay_alu instid0(VALU_DEP_1)
	v_dual_mov_b32 v7, v6 :: v_dual_mov_b32 v8, v6
	v_mov_b32_e32 v9, v6
	scratch_store_b128 off, v[6:9], off offset:336
	s_wait_loadcnt 0x0
	ds_store_b128 v122, v[2:5]
.LBB116_289:
	s_wait_xcnt 0x0
	s_or_b32 exec_lo, exec_lo, s2
	s_wait_storecnt_dscnt 0x0
	s_barrier_signal -1
	s_barrier_wait -1
	s_clause 0x9
	scratch_load_b128 v[4:7], off, off offset:352
	scratch_load_b128 v[8:11], off, off offset:368
	;; [unrolled: 1-line block ×10, first 2 shown]
	v_mov_b32_e32 v2, 0
	s_mov_b32 s2, exec_lo
	ds_load_b128 v[152:155], v2 offset:1200
	s_clause 0x2
	scratch_load_b128 v[156:159], off, off offset:512
	scratch_load_b128 v[160:163], off, off offset:336
	;; [unrolled: 1-line block ×3, first 2 shown]
	s_wait_loadcnt_dscnt 0xc00
	v_mul_f64_e32 v[172:173], v[154:155], v[6:7]
	v_mul_f64_e32 v[176:177], v[152:153], v[6:7]
	ds_load_b128 v[164:167], v2 offset:1216
	v_fma_f64 v[180:181], v[152:153], v[4:5], -v[172:173]
	v_fmac_f64_e32 v[176:177], v[154:155], v[4:5]
	ds_load_b128 v[4:7], v2 offset:1232
	s_wait_loadcnt_dscnt 0xb01
	v_mul_f64_e32 v[178:179], v[164:165], v[10:11]
	v_mul_f64_e32 v[10:11], v[166:167], v[10:11]
	scratch_load_b128 v[152:155], off, off offset:544
	ds_load_b128 v[172:175], v2 offset:1248
	s_wait_loadcnt_dscnt 0xb01
	v_mul_f64_e32 v[182:183], v[4:5], v[14:15]
	v_mul_f64_e32 v[14:15], v[6:7], v[14:15]
	v_add_f64_e32 v[176:177], 0, v[176:177]
	v_fmac_f64_e32 v[178:179], v[166:167], v[8:9]
	v_fma_f64 v[164:165], v[164:165], v[8:9], -v[10:11]
	v_add_f64_e32 v[166:167], 0, v[180:181]
	scratch_load_b128 v[8:11], off, off offset:560
	v_fmac_f64_e32 v[182:183], v[6:7], v[12:13]
	v_fma_f64 v[184:185], v[4:5], v[12:13], -v[14:15]
	ds_load_b128 v[4:7], v2 offset:1264
	s_wait_loadcnt_dscnt 0xb01
	v_mul_f64_e32 v[180:181], v[172:173], v[126:127]
	v_mul_f64_e32 v[126:127], v[174:175], v[126:127]
	scratch_load_b128 v[12:15], off, off offset:576
	v_add_f64_e32 v[176:177], v[176:177], v[178:179]
	v_add_f64_e32 v[186:187], v[166:167], v[164:165]
	ds_load_b128 v[164:167], v2 offset:1280
	s_wait_loadcnt_dscnt 0xb01
	v_mul_f64_e32 v[178:179], v[4:5], v[130:131]
	v_mul_f64_e32 v[130:131], v[6:7], v[130:131]
	v_fmac_f64_e32 v[180:181], v[174:175], v[124:125]
	v_fma_f64 v[172:173], v[172:173], v[124:125], -v[126:127]
	scratch_load_b128 v[124:127], off, off offset:592
	v_add_f64_e32 v[176:177], v[176:177], v[182:183]
	v_add_f64_e32 v[174:175], v[186:187], v[184:185]
	v_fmac_f64_e32 v[178:179], v[6:7], v[128:129]
	v_fma_f64 v[184:185], v[4:5], v[128:129], -v[130:131]
	ds_load_b128 v[4:7], v2 offset:1296
	s_wait_loadcnt_dscnt 0xb01
	v_mul_f64_e32 v[182:183], v[164:165], v[134:135]
	v_mul_f64_e32 v[134:135], v[166:167], v[134:135]
	scratch_load_b128 v[128:131], off, off offset:608
	v_add_f64_e32 v[176:177], v[176:177], v[180:181]
	s_wait_loadcnt_dscnt 0xb00
	v_mul_f64_e32 v[180:181], v[4:5], v[138:139]
	v_add_f64_e32 v[186:187], v[174:175], v[172:173]
	v_mul_f64_e32 v[138:139], v[6:7], v[138:139]
	ds_load_b128 v[172:175], v2 offset:1312
	v_fmac_f64_e32 v[182:183], v[166:167], v[132:133]
	v_fma_f64 v[164:165], v[164:165], v[132:133], -v[134:135]
	scratch_load_b128 v[132:135], off, off offset:624
	v_add_f64_e32 v[176:177], v[176:177], v[178:179]
	v_fmac_f64_e32 v[180:181], v[6:7], v[136:137]
	v_add_f64_e32 v[166:167], v[186:187], v[184:185]
	v_fma_f64 v[184:185], v[4:5], v[136:137], -v[138:139]
	ds_load_b128 v[4:7], v2 offset:1328
	s_wait_loadcnt_dscnt 0xb01
	v_mul_f64_e32 v[178:179], v[172:173], v[142:143]
	v_mul_f64_e32 v[142:143], v[174:175], v[142:143]
	scratch_load_b128 v[136:139], off, off offset:640
	v_add_f64_e32 v[176:177], v[176:177], v[182:183]
	s_wait_loadcnt_dscnt 0xb00
	v_mul_f64_e32 v[182:183], v[4:5], v[146:147]
	v_add_f64_e32 v[186:187], v[166:167], v[164:165]
	v_mul_f64_e32 v[146:147], v[6:7], v[146:147]
	ds_load_b128 v[164:167], v2 offset:1344
	v_fmac_f64_e32 v[178:179], v[174:175], v[140:141]
	v_fma_f64 v[172:173], v[172:173], v[140:141], -v[142:143]
	scratch_load_b128 v[140:143], off, off offset:656
	v_add_f64_e32 v[176:177], v[176:177], v[180:181]
	v_fmac_f64_e32 v[182:183], v[6:7], v[144:145]
	v_add_f64_e32 v[174:175], v[186:187], v[184:185]
	;; [unrolled: 18-line block ×3, first 2 shown]
	v_fma_f64 v[184:185], v[4:5], v[156:157], -v[158:159]
	ds_load_b128 v[4:7], v2 offset:1392
	s_wait_loadcnt_dscnt 0xa01
	v_mul_f64_e32 v[182:183], v[172:173], v[170:171]
	v_mul_f64_e32 v[170:171], v[174:175], v[170:171]
	scratch_load_b128 v[156:159], off, off offset:704
	v_add_f64_e32 v[176:177], v[176:177], v[180:181]
	v_add_f64_e32 v[186:187], v[166:167], v[164:165]
	s_wait_loadcnt_dscnt 0xa00
	v_mul_f64_e32 v[180:181], v[4:5], v[154:155]
	v_mul_f64_e32 v[154:155], v[6:7], v[154:155]
	v_fmac_f64_e32 v[182:183], v[174:175], v[168:169]
	v_fma_f64 v[172:173], v[172:173], v[168:169], -v[170:171]
	ds_load_b128 v[164:167], v2 offset:1408
	scratch_load_b128 v[168:171], off, off offset:720
	v_add_f64_e32 v[176:177], v[176:177], v[178:179]
	v_add_f64_e32 v[174:175], v[186:187], v[184:185]
	v_fmac_f64_e32 v[180:181], v[6:7], v[152:153]
	v_fma_f64 v[184:185], v[4:5], v[152:153], -v[154:155]
	ds_load_b128 v[4:7], v2 offset:1424
	s_wait_loadcnt_dscnt 0xa01
	v_mul_f64_e32 v[178:179], v[164:165], v[10:11]
	v_mul_f64_e32 v[10:11], v[166:167], v[10:11]
	scratch_load_b128 v[152:155], off, off offset:736
	v_add_f64_e32 v[176:177], v[176:177], v[182:183]
	s_wait_loadcnt_dscnt 0xa00
	v_mul_f64_e32 v[182:183], v[4:5], v[14:15]
	v_add_f64_e32 v[186:187], v[174:175], v[172:173]
	v_mul_f64_e32 v[14:15], v[6:7], v[14:15]
	ds_load_b128 v[172:175], v2 offset:1440
	v_fmac_f64_e32 v[178:179], v[166:167], v[8:9]
	v_fma_f64 v[164:165], v[164:165], v[8:9], -v[10:11]
	scratch_load_b128 v[8:11], off, off offset:752
	v_add_f64_e32 v[176:177], v[176:177], v[180:181]
	v_fmac_f64_e32 v[182:183], v[6:7], v[12:13]
	v_add_f64_e32 v[166:167], v[186:187], v[184:185]
	v_fma_f64 v[184:185], v[4:5], v[12:13], -v[14:15]
	ds_load_b128 v[4:7], v2 offset:1456
	s_wait_loadcnt_dscnt 0xa01
	v_mul_f64_e32 v[180:181], v[172:173], v[126:127]
	v_mul_f64_e32 v[126:127], v[174:175], v[126:127]
	scratch_load_b128 v[12:15], off, off offset:768
	v_add_f64_e32 v[176:177], v[176:177], v[178:179]
	s_wait_loadcnt_dscnt 0xa00
	v_mul_f64_e32 v[178:179], v[4:5], v[130:131]
	v_add_f64_e32 v[186:187], v[166:167], v[164:165]
	v_mul_f64_e32 v[130:131], v[6:7], v[130:131]
	ds_load_b128 v[164:167], v2 offset:1472
	v_fmac_f64_e32 v[180:181], v[174:175], v[124:125]
	v_fma_f64 v[172:173], v[172:173], v[124:125], -v[126:127]
	scratch_load_b128 v[124:127], off, off offset:784
	v_add_f64_e32 v[176:177], v[176:177], v[182:183]
	v_fmac_f64_e32 v[178:179], v[6:7], v[128:129]
	v_add_f64_e32 v[174:175], v[186:187], v[184:185]
	;; [unrolled: 18-line block ×3, first 2 shown]
	v_fma_f64 v[184:185], v[4:5], v[136:137], -v[138:139]
	ds_load_b128 v[4:7], v2 offset:1520
	s_wait_loadcnt_dscnt 0xa01
	v_mul_f64_e32 v[178:179], v[172:173], v[142:143]
	v_mul_f64_e32 v[142:143], v[174:175], v[142:143]
	scratch_load_b128 v[136:139], off, off offset:832
	v_add_f64_e32 v[176:177], v[176:177], v[182:183]
	s_wait_loadcnt_dscnt 0xa00
	v_mul_f64_e32 v[182:183], v[4:5], v[146:147]
	v_add_f64_e32 v[186:187], v[166:167], v[164:165]
	v_mul_f64_e32 v[146:147], v[6:7], v[146:147]
	ds_load_b128 v[164:167], v2 offset:1536
	v_fmac_f64_e32 v[178:179], v[174:175], v[140:141]
	v_fma_f64 v[140:141], v[172:173], v[140:141], -v[142:143]
	s_wait_loadcnt_dscnt 0x900
	v_mul_f64_e32 v[174:175], v[164:165], v[150:151]
	v_mul_f64_e32 v[150:151], v[166:167], v[150:151]
	v_add_f64_e32 v[172:173], v[176:177], v[180:181]
	v_fmac_f64_e32 v[182:183], v[6:7], v[144:145]
	v_add_f64_e32 v[142:143], v[186:187], v[184:185]
	v_fma_f64 v[144:145], v[4:5], v[144:145], -v[146:147]
	v_fmac_f64_e32 v[174:175], v[166:167], v[148:149]
	v_fma_f64 v[148:149], v[164:165], v[148:149], -v[150:151]
	v_add_f64_e32 v[172:173], v[172:173], v[178:179]
	v_add_f64_e32 v[146:147], v[142:143], v[140:141]
	ds_load_b128 v[4:7], v2 offset:1552
	ds_load_b128 v[140:143], v2 offset:1568
	s_wait_loadcnt_dscnt 0x801
	v_mul_f64_e32 v[176:177], v[4:5], v[158:159]
	v_mul_f64_e32 v[158:159], v[6:7], v[158:159]
	s_wait_loadcnt_dscnt 0x700
	v_mul_f64_e32 v[150:151], v[140:141], v[170:171]
	v_mul_f64_e32 v[164:165], v[142:143], v[170:171]
	v_add_f64_e32 v[144:145], v[146:147], v[144:145]
	v_add_f64_e32 v[146:147], v[172:173], v[182:183]
	v_fmac_f64_e32 v[176:177], v[6:7], v[156:157]
	v_fma_f64 v[156:157], v[4:5], v[156:157], -v[158:159]
	v_fmac_f64_e32 v[150:151], v[142:143], v[168:169]
	v_fma_f64 v[140:141], v[140:141], v[168:169], -v[164:165]
	v_add_f64_e32 v[148:149], v[144:145], v[148:149]
	v_add_f64_e32 v[158:159], v[146:147], v[174:175]
	ds_load_b128 v[4:7], v2 offset:1584
	ds_load_b128 v[144:147], v2 offset:1600
	s_wait_loadcnt_dscnt 0x601
	v_mul_f64_e32 v[166:167], v[4:5], v[154:155]
	v_mul_f64_e32 v[154:155], v[6:7], v[154:155]
	v_add_f64_e32 v[142:143], v[148:149], v[156:157]
	v_add_f64_e32 v[148:149], v[158:159], v[176:177]
	s_wait_loadcnt_dscnt 0x500
	v_mul_f64_e32 v[156:157], v[144:145], v[10:11]
	v_mul_f64_e32 v[10:11], v[146:147], v[10:11]
	v_fmac_f64_e32 v[166:167], v[6:7], v[152:153]
	v_fma_f64 v[152:153], v[4:5], v[152:153], -v[154:155]
	v_add_f64_e32 v[154:155], v[142:143], v[140:141]
	v_add_f64_e32 v[148:149], v[148:149], v[150:151]
	ds_load_b128 v[4:7], v2 offset:1616
	ds_load_b128 v[140:143], v2 offset:1632
	v_fmac_f64_e32 v[156:157], v[146:147], v[8:9]
	v_fma_f64 v[8:9], v[144:145], v[8:9], -v[10:11]
	s_wait_loadcnt_dscnt 0x401
	v_mul_f64_e32 v[150:151], v[4:5], v[14:15]
	v_mul_f64_e32 v[14:15], v[6:7], v[14:15]
	s_wait_loadcnt_dscnt 0x300
	v_mul_f64_e32 v[146:147], v[140:141], v[126:127]
	v_mul_f64_e32 v[126:127], v[142:143], v[126:127]
	v_add_f64_e32 v[10:11], v[154:155], v[152:153]
	v_add_f64_e32 v[144:145], v[148:149], v[166:167]
	v_fmac_f64_e32 v[150:151], v[6:7], v[12:13]
	v_fma_f64 v[12:13], v[4:5], v[12:13], -v[14:15]
	v_fmac_f64_e32 v[146:147], v[142:143], v[124:125]
	v_fma_f64 v[124:125], v[140:141], v[124:125], -v[126:127]
	v_add_f64_e32 v[14:15], v[10:11], v[8:9]
	v_add_f64_e32 v[144:145], v[144:145], v[156:157]
	ds_load_b128 v[4:7], v2 offset:1648
	ds_load_b128 v[8:11], v2 offset:1664
	s_wait_loadcnt_dscnt 0x201
	v_mul_f64_e32 v[148:149], v[4:5], v[130:131]
	v_mul_f64_e32 v[130:131], v[6:7], v[130:131]
	s_wait_loadcnt_dscnt 0x100
	v_mul_f64_e32 v[126:127], v[8:9], v[134:135]
	v_mul_f64_e32 v[134:135], v[10:11], v[134:135]
	v_add_f64_e32 v[12:13], v[14:15], v[12:13]
	v_add_f64_e32 v[14:15], v[144:145], v[150:151]
	v_fmac_f64_e32 v[148:149], v[6:7], v[128:129]
	v_fma_f64 v[128:129], v[4:5], v[128:129], -v[130:131]
	ds_load_b128 v[4:7], v2 offset:1680
	v_fmac_f64_e32 v[126:127], v[10:11], v[132:133]
	v_fma_f64 v[8:9], v[8:9], v[132:133], -v[134:135]
	v_add_f64_e32 v[12:13], v[12:13], v[124:125]
	v_add_f64_e32 v[14:15], v[14:15], v[146:147]
	s_wait_loadcnt_dscnt 0x0
	v_mul_f64_e32 v[124:125], v[4:5], v[138:139]
	v_mul_f64_e32 v[130:131], v[6:7], v[138:139]
	s_delay_alu instid0(VALU_DEP_4) | instskip(NEXT) | instid1(VALU_DEP_4)
	v_add_f64_e32 v[10:11], v[12:13], v[128:129]
	v_add_f64_e32 v[12:13], v[14:15], v[148:149]
	s_delay_alu instid0(VALU_DEP_4) | instskip(NEXT) | instid1(VALU_DEP_4)
	v_fmac_f64_e32 v[124:125], v[6:7], v[136:137]
	v_fma_f64 v[4:5], v[4:5], v[136:137], -v[130:131]
	s_delay_alu instid0(VALU_DEP_4) | instskip(NEXT) | instid1(VALU_DEP_4)
	v_add_f64_e32 v[6:7], v[10:11], v[8:9]
	v_add_f64_e32 v[8:9], v[12:13], v[126:127]
	s_delay_alu instid0(VALU_DEP_2) | instskip(NEXT) | instid1(VALU_DEP_2)
	v_add_f64_e32 v[4:5], v[6:7], v[4:5]
	v_add_f64_e32 v[6:7], v[8:9], v[124:125]
	s_delay_alu instid0(VALU_DEP_2) | instskip(NEXT) | instid1(VALU_DEP_2)
	v_add_f64_e64 v[4:5], v[160:161], -v[4:5]
	v_add_f64_e64 v[6:7], v[162:163], -v[6:7]
	scratch_store_b128 off, v[4:7], off offset:336
	s_wait_xcnt 0x0
	v_cmpx_lt_u32_e32 20, v1
	s_cbranch_execz .LBB116_291
; %bb.290:
	scratch_load_b128 v[6:9], off, s49
	v_dual_mov_b32 v3, v2 :: v_dual_mov_b32 v4, v2
	v_mov_b32_e32 v5, v2
	scratch_store_b128 off, v[2:5], off offset:320
	s_wait_loadcnt 0x0
	ds_store_b128 v122, v[6:9]
.LBB116_291:
	s_wait_xcnt 0x0
	s_or_b32 exec_lo, exec_lo, s2
	s_wait_storecnt_dscnt 0x0
	s_barrier_signal -1
	s_barrier_wait -1
	s_clause 0x9
	scratch_load_b128 v[4:7], off, off offset:336
	scratch_load_b128 v[8:11], off, off offset:352
	;; [unrolled: 1-line block ×10, first 2 shown]
	ds_load_b128 v[152:155], v2 offset:1184
	ds_load_b128 v[160:163], v2 offset:1200
	s_clause 0x2
	scratch_load_b128 v[156:159], off, off offset:496
	scratch_load_b128 v[164:167], off, off offset:320
	;; [unrolled: 1-line block ×3, first 2 shown]
	s_mov_b32 s2, exec_lo
	s_wait_loadcnt_dscnt 0xc01
	v_mul_f64_e32 v[172:173], v[154:155], v[6:7]
	v_mul_f64_e32 v[176:177], v[152:153], v[6:7]
	s_wait_loadcnt_dscnt 0xb00
	v_mul_f64_e32 v[178:179], v[160:161], v[10:11]
	v_mul_f64_e32 v[10:11], v[162:163], v[10:11]
	s_delay_alu instid0(VALU_DEP_4) | instskip(NEXT) | instid1(VALU_DEP_4)
	v_fma_f64 v[180:181], v[152:153], v[4:5], -v[172:173]
	v_fmac_f64_e32 v[176:177], v[154:155], v[4:5]
	ds_load_b128 v[4:7], v2 offset:1216
	ds_load_b128 v[152:155], v2 offset:1232
	scratch_load_b128 v[172:175], off, off offset:528
	v_fmac_f64_e32 v[178:179], v[162:163], v[8:9]
	v_fma_f64 v[160:161], v[160:161], v[8:9], -v[10:11]
	scratch_load_b128 v[8:11], off, off offset:544
	s_wait_loadcnt_dscnt 0xc01
	v_mul_f64_e32 v[182:183], v[4:5], v[14:15]
	v_mul_f64_e32 v[14:15], v[6:7], v[14:15]
	v_add_f64_e32 v[162:163], 0, v[180:181]
	v_add_f64_e32 v[176:177], 0, v[176:177]
	s_wait_loadcnt_dscnt 0xb00
	v_mul_f64_e32 v[180:181], v[152:153], v[126:127]
	v_mul_f64_e32 v[126:127], v[154:155], v[126:127]
	v_fmac_f64_e32 v[182:183], v[6:7], v[12:13]
	v_fma_f64 v[184:185], v[4:5], v[12:13], -v[14:15]
	ds_load_b128 v[4:7], v2 offset:1248
	ds_load_b128 v[12:15], v2 offset:1264
	v_add_f64_e32 v[186:187], v[162:163], v[160:161]
	v_add_f64_e32 v[176:177], v[176:177], v[178:179]
	scratch_load_b128 v[160:163], off, off offset:560
	v_fmac_f64_e32 v[180:181], v[154:155], v[124:125]
	v_fma_f64 v[152:153], v[152:153], v[124:125], -v[126:127]
	scratch_load_b128 v[124:127], off, off offset:576
	s_wait_loadcnt_dscnt 0xc01
	v_mul_f64_e32 v[178:179], v[4:5], v[130:131]
	v_mul_f64_e32 v[130:131], v[6:7], v[130:131]
	v_add_f64_e32 v[154:155], v[186:187], v[184:185]
	v_add_f64_e32 v[176:177], v[176:177], v[182:183]
	s_wait_loadcnt_dscnt 0xb00
	v_mul_f64_e32 v[182:183], v[12:13], v[134:135]
	v_mul_f64_e32 v[134:135], v[14:15], v[134:135]
	v_fmac_f64_e32 v[178:179], v[6:7], v[128:129]
	v_fma_f64 v[184:185], v[4:5], v[128:129], -v[130:131]
	ds_load_b128 v[4:7], v2 offset:1280
	ds_load_b128 v[128:131], v2 offset:1296
	v_add_f64_e32 v[186:187], v[154:155], v[152:153]
	v_add_f64_e32 v[176:177], v[176:177], v[180:181]
	scratch_load_b128 v[152:155], off, off offset:592
	s_wait_loadcnt_dscnt 0xb01
	v_mul_f64_e32 v[180:181], v[4:5], v[138:139]
	v_mul_f64_e32 v[138:139], v[6:7], v[138:139]
	v_fmac_f64_e32 v[182:183], v[14:15], v[132:133]
	v_fma_f64 v[132:133], v[12:13], v[132:133], -v[134:135]
	scratch_load_b128 v[12:15], off, off offset:608
	v_add_f64_e32 v[134:135], v[186:187], v[184:185]
	v_add_f64_e32 v[176:177], v[176:177], v[178:179]
	s_wait_loadcnt_dscnt 0xb00
	v_mul_f64_e32 v[178:179], v[128:129], v[142:143]
	v_mul_f64_e32 v[142:143], v[130:131], v[142:143]
	v_fmac_f64_e32 v[180:181], v[6:7], v[136:137]
	v_fma_f64 v[184:185], v[4:5], v[136:137], -v[138:139]
	v_add_f64_e32 v[186:187], v[134:135], v[132:133]
	v_add_f64_e32 v[176:177], v[176:177], v[182:183]
	ds_load_b128 v[4:7], v2 offset:1312
	ds_load_b128 v[132:135], v2 offset:1328
	scratch_load_b128 v[136:139], off, off offset:624
	v_fmac_f64_e32 v[178:179], v[130:131], v[140:141]
	v_fma_f64 v[140:141], v[128:129], v[140:141], -v[142:143]
	scratch_load_b128 v[128:131], off, off offset:640
	s_wait_loadcnt_dscnt 0xc01
	v_mul_f64_e32 v[182:183], v[4:5], v[146:147]
	v_mul_f64_e32 v[146:147], v[6:7], v[146:147]
	v_add_f64_e32 v[142:143], v[186:187], v[184:185]
	v_add_f64_e32 v[176:177], v[176:177], v[180:181]
	s_wait_loadcnt_dscnt 0xb00
	v_mul_f64_e32 v[180:181], v[132:133], v[150:151]
	v_mul_f64_e32 v[150:151], v[134:135], v[150:151]
	v_fmac_f64_e32 v[182:183], v[6:7], v[144:145]
	v_fma_f64 v[184:185], v[4:5], v[144:145], -v[146:147]
	v_add_f64_e32 v[186:187], v[142:143], v[140:141]
	v_add_f64_e32 v[176:177], v[176:177], v[178:179]
	ds_load_b128 v[4:7], v2 offset:1344
	ds_load_b128 v[140:143], v2 offset:1360
	scratch_load_b128 v[144:147], off, off offset:656
	v_fmac_f64_e32 v[180:181], v[134:135], v[148:149]
	v_fma_f64 v[148:149], v[132:133], v[148:149], -v[150:151]
	scratch_load_b128 v[132:135], off, off offset:672
	s_wait_loadcnt_dscnt 0xc01
	v_mul_f64_e32 v[178:179], v[4:5], v[158:159]
	v_mul_f64_e32 v[158:159], v[6:7], v[158:159]
	;; [unrolled: 18-line block ×5, first 2 shown]
	v_add_f64_e32 v[170:171], v[186:187], v[184:185]
	v_add_f64_e32 v[176:177], v[176:177], v[182:183]
	s_wait_loadcnt_dscnt 0xa00
	v_mul_f64_e32 v[182:183], v[148:149], v[14:15]
	v_mul_f64_e32 v[14:15], v[150:151], v[14:15]
	v_fmac_f64_e32 v[178:179], v[6:7], v[152:153]
	v_fma_f64 v[184:185], v[4:5], v[152:153], -v[154:155]
	ds_load_b128 v[4:7], v2 offset:1472
	ds_load_b128 v[152:155], v2 offset:1488
	v_add_f64_e32 v[186:187], v[170:171], v[168:169]
	v_add_f64_e32 v[176:177], v[176:177], v[180:181]
	scratch_load_b128 v[168:171], off, off offset:784
	v_fmac_f64_e32 v[182:183], v[150:151], v[12:13]
	v_fma_f64 v[148:149], v[148:149], v[12:13], -v[14:15]
	scratch_load_b128 v[12:15], off, off offset:800
	s_wait_loadcnt_dscnt 0xb01
	v_mul_f64_e32 v[180:181], v[4:5], v[138:139]
	v_mul_f64_e32 v[138:139], v[6:7], v[138:139]
	v_add_f64_e32 v[150:151], v[186:187], v[184:185]
	v_add_f64_e32 v[176:177], v[176:177], v[178:179]
	s_wait_loadcnt_dscnt 0xa00
	v_mul_f64_e32 v[178:179], v[152:153], v[130:131]
	v_mul_f64_e32 v[130:131], v[154:155], v[130:131]
	v_fmac_f64_e32 v[180:181], v[6:7], v[136:137]
	v_fma_f64 v[184:185], v[4:5], v[136:137], -v[138:139]
	ds_load_b128 v[4:7], v2 offset:1504
	ds_load_b128 v[136:139], v2 offset:1520
	v_add_f64_e32 v[186:187], v[150:151], v[148:149]
	v_add_f64_e32 v[176:177], v[176:177], v[182:183]
	scratch_load_b128 v[148:151], off, off offset:816
	s_wait_loadcnt_dscnt 0xa01
	v_mul_f64_e32 v[182:183], v[4:5], v[146:147]
	v_mul_f64_e32 v[146:147], v[6:7], v[146:147]
	v_fmac_f64_e32 v[178:179], v[154:155], v[128:129]
	v_fma_f64 v[152:153], v[152:153], v[128:129], -v[130:131]
	scratch_load_b128 v[128:131], off, off offset:832
	v_add_f64_e32 v[154:155], v[186:187], v[184:185]
	v_add_f64_e32 v[176:177], v[176:177], v[180:181]
	s_wait_loadcnt_dscnt 0xa00
	v_mul_f64_e32 v[180:181], v[136:137], v[134:135]
	v_mul_f64_e32 v[134:135], v[138:139], v[134:135]
	v_fmac_f64_e32 v[182:183], v[6:7], v[144:145]
	v_fma_f64 v[184:185], v[4:5], v[144:145], -v[146:147]
	ds_load_b128 v[4:7], v2 offset:1536
	ds_load_b128 v[144:147], v2 offset:1552
	v_add_f64_e32 v[152:153], v[154:155], v[152:153]
	v_add_f64_e32 v[154:155], v[176:177], v[178:179]
	v_fmac_f64_e32 v[180:181], v[138:139], v[132:133]
	s_wait_loadcnt_dscnt 0x901
	v_mul_f64_e32 v[176:177], v[4:5], v[158:159]
	v_mul_f64_e32 v[158:159], v[6:7], v[158:159]
	v_fma_f64 v[132:133], v[136:137], v[132:133], -v[134:135]
	s_wait_loadcnt_dscnt 0x800
	v_mul_f64_e32 v[138:139], v[144:145], v[142:143]
	v_mul_f64_e32 v[142:143], v[146:147], v[142:143]
	v_add_f64_e32 v[134:135], v[152:153], v[184:185]
	v_add_f64_e32 v[136:137], v[154:155], v[182:183]
	v_fmac_f64_e32 v[176:177], v[6:7], v[156:157]
	v_fma_f64 v[152:153], v[4:5], v[156:157], -v[158:159]
	v_fmac_f64_e32 v[138:139], v[146:147], v[140:141]
	v_fma_f64 v[140:141], v[144:145], v[140:141], -v[142:143]
	v_add_f64_e32 v[154:155], v[134:135], v[132:133]
	v_add_f64_e32 v[136:137], v[136:137], v[180:181]
	ds_load_b128 v[4:7], v2 offset:1568
	ds_load_b128 v[132:135], v2 offset:1584
	s_wait_loadcnt_dscnt 0x701
	v_mul_f64_e32 v[156:157], v[4:5], v[174:175]
	v_mul_f64_e32 v[158:159], v[6:7], v[174:175]
	s_wait_loadcnt_dscnt 0x600
	v_mul_f64_e32 v[144:145], v[132:133], v[10:11]
	v_mul_f64_e32 v[10:11], v[134:135], v[10:11]
	v_add_f64_e32 v[142:143], v[154:155], v[152:153]
	v_add_f64_e32 v[136:137], v[136:137], v[176:177]
	v_fmac_f64_e32 v[156:157], v[6:7], v[172:173]
	v_fma_f64 v[146:147], v[4:5], v[172:173], -v[158:159]
	v_fmac_f64_e32 v[144:145], v[134:135], v[8:9]
	v_fma_f64 v[8:9], v[132:133], v[8:9], -v[10:11]
	v_add_f64_e32 v[140:141], v[142:143], v[140:141]
	v_add_f64_e32 v[142:143], v[136:137], v[138:139]
	ds_load_b128 v[4:7], v2 offset:1600
	ds_load_b128 v[136:139], v2 offset:1616
	s_wait_loadcnt_dscnt 0x501
	v_mul_f64_e32 v[152:153], v[4:5], v[162:163]
	v_mul_f64_e32 v[154:155], v[6:7], v[162:163]
	;; [unrolled: 16-line block ×4, first 2 shown]
	s_wait_loadcnt_dscnt 0x0
	v_mul_f64_e32 v[14:15], v[124:125], v[130:131]
	v_mul_f64_e32 v[130:131], v[126:127], v[130:131]
	v_add_f64_e32 v[10:11], v[140:141], v[138:139]
	v_add_f64_e32 v[12:13], v[132:133], v[144:145]
	v_fmac_f64_e32 v[2:3], v[6:7], v[148:149]
	v_fma_f64 v[4:5], v[4:5], v[148:149], -v[134:135]
	v_fmac_f64_e32 v[14:15], v[126:127], v[128:129]
	v_add_f64_e32 v[6:7], v[10:11], v[8:9]
	v_add_f64_e32 v[8:9], v[12:13], v[136:137]
	v_fma_f64 v[10:11], v[124:125], v[128:129], -v[130:131]
	s_delay_alu instid0(VALU_DEP_3) | instskip(NEXT) | instid1(VALU_DEP_3)
	v_add_f64_e32 v[4:5], v[6:7], v[4:5]
	v_add_f64_e32 v[2:3], v[8:9], v[2:3]
	s_delay_alu instid0(VALU_DEP_2) | instskip(NEXT) | instid1(VALU_DEP_2)
	v_add_f64_e32 v[4:5], v[4:5], v[10:11]
	v_add_f64_e32 v[6:7], v[2:3], v[14:15]
	s_delay_alu instid0(VALU_DEP_2) | instskip(NEXT) | instid1(VALU_DEP_2)
	v_add_f64_e64 v[2:3], v[164:165], -v[4:5]
	v_add_f64_e64 v[4:5], v[166:167], -v[6:7]
	scratch_store_b128 off, v[2:5], off offset:320
	s_wait_xcnt 0x0
	v_cmpx_lt_u32_e32 19, v1
	s_cbranch_execz .LBB116_293
; %bb.292:
	scratch_load_b128 v[2:5], off, s50
	v_mov_b32_e32 v6, 0
	s_delay_alu instid0(VALU_DEP_1)
	v_dual_mov_b32 v7, v6 :: v_dual_mov_b32 v8, v6
	v_mov_b32_e32 v9, v6
	scratch_store_b128 off, v[6:9], off offset:304
	s_wait_loadcnt 0x0
	ds_store_b128 v122, v[2:5]
.LBB116_293:
	s_wait_xcnt 0x0
	s_or_b32 exec_lo, exec_lo, s2
	s_wait_storecnt_dscnt 0x0
	s_barrier_signal -1
	s_barrier_wait -1
	s_clause 0x9
	scratch_load_b128 v[4:7], off, off offset:320
	scratch_load_b128 v[8:11], off, off offset:336
	;; [unrolled: 1-line block ×10, first 2 shown]
	v_mov_b32_e32 v2, 0
	s_mov_b32 s2, exec_lo
	ds_load_b128 v[152:155], v2 offset:1168
	s_clause 0x2
	scratch_load_b128 v[156:159], off, off offset:480
	scratch_load_b128 v[160:163], off, off offset:304
	;; [unrolled: 1-line block ×3, first 2 shown]
	s_wait_loadcnt_dscnt 0xc00
	v_mul_f64_e32 v[172:173], v[154:155], v[6:7]
	v_mul_f64_e32 v[176:177], v[152:153], v[6:7]
	ds_load_b128 v[164:167], v2 offset:1184
	v_fma_f64 v[180:181], v[152:153], v[4:5], -v[172:173]
	v_fmac_f64_e32 v[176:177], v[154:155], v[4:5]
	ds_load_b128 v[4:7], v2 offset:1200
	s_wait_loadcnt_dscnt 0xb01
	v_mul_f64_e32 v[178:179], v[164:165], v[10:11]
	v_mul_f64_e32 v[10:11], v[166:167], v[10:11]
	scratch_load_b128 v[152:155], off, off offset:512
	ds_load_b128 v[172:175], v2 offset:1216
	s_wait_loadcnt_dscnt 0xb01
	v_mul_f64_e32 v[182:183], v[4:5], v[14:15]
	v_mul_f64_e32 v[14:15], v[6:7], v[14:15]
	v_add_f64_e32 v[176:177], 0, v[176:177]
	v_fmac_f64_e32 v[178:179], v[166:167], v[8:9]
	v_fma_f64 v[164:165], v[164:165], v[8:9], -v[10:11]
	v_add_f64_e32 v[166:167], 0, v[180:181]
	scratch_load_b128 v[8:11], off, off offset:528
	v_fmac_f64_e32 v[182:183], v[6:7], v[12:13]
	v_fma_f64 v[184:185], v[4:5], v[12:13], -v[14:15]
	ds_load_b128 v[4:7], v2 offset:1232
	s_wait_loadcnt_dscnt 0xb01
	v_mul_f64_e32 v[180:181], v[172:173], v[126:127]
	v_mul_f64_e32 v[126:127], v[174:175], v[126:127]
	scratch_load_b128 v[12:15], off, off offset:544
	v_add_f64_e32 v[176:177], v[176:177], v[178:179]
	v_add_f64_e32 v[186:187], v[166:167], v[164:165]
	ds_load_b128 v[164:167], v2 offset:1248
	s_wait_loadcnt_dscnt 0xb01
	v_mul_f64_e32 v[178:179], v[4:5], v[130:131]
	v_mul_f64_e32 v[130:131], v[6:7], v[130:131]
	v_fmac_f64_e32 v[180:181], v[174:175], v[124:125]
	v_fma_f64 v[172:173], v[172:173], v[124:125], -v[126:127]
	scratch_load_b128 v[124:127], off, off offset:560
	v_add_f64_e32 v[176:177], v[176:177], v[182:183]
	v_add_f64_e32 v[174:175], v[186:187], v[184:185]
	v_fmac_f64_e32 v[178:179], v[6:7], v[128:129]
	v_fma_f64 v[184:185], v[4:5], v[128:129], -v[130:131]
	ds_load_b128 v[4:7], v2 offset:1264
	s_wait_loadcnt_dscnt 0xb01
	v_mul_f64_e32 v[182:183], v[164:165], v[134:135]
	v_mul_f64_e32 v[134:135], v[166:167], v[134:135]
	scratch_load_b128 v[128:131], off, off offset:576
	v_add_f64_e32 v[176:177], v[176:177], v[180:181]
	s_wait_loadcnt_dscnt 0xb00
	v_mul_f64_e32 v[180:181], v[4:5], v[138:139]
	v_add_f64_e32 v[186:187], v[174:175], v[172:173]
	v_mul_f64_e32 v[138:139], v[6:7], v[138:139]
	ds_load_b128 v[172:175], v2 offset:1280
	v_fmac_f64_e32 v[182:183], v[166:167], v[132:133]
	v_fma_f64 v[164:165], v[164:165], v[132:133], -v[134:135]
	scratch_load_b128 v[132:135], off, off offset:592
	v_add_f64_e32 v[176:177], v[176:177], v[178:179]
	v_fmac_f64_e32 v[180:181], v[6:7], v[136:137]
	v_add_f64_e32 v[166:167], v[186:187], v[184:185]
	v_fma_f64 v[184:185], v[4:5], v[136:137], -v[138:139]
	ds_load_b128 v[4:7], v2 offset:1296
	s_wait_loadcnt_dscnt 0xb01
	v_mul_f64_e32 v[178:179], v[172:173], v[142:143]
	v_mul_f64_e32 v[142:143], v[174:175], v[142:143]
	scratch_load_b128 v[136:139], off, off offset:608
	v_add_f64_e32 v[176:177], v[176:177], v[182:183]
	s_wait_loadcnt_dscnt 0xb00
	v_mul_f64_e32 v[182:183], v[4:5], v[146:147]
	v_add_f64_e32 v[186:187], v[166:167], v[164:165]
	v_mul_f64_e32 v[146:147], v[6:7], v[146:147]
	ds_load_b128 v[164:167], v2 offset:1312
	v_fmac_f64_e32 v[178:179], v[174:175], v[140:141]
	v_fma_f64 v[172:173], v[172:173], v[140:141], -v[142:143]
	scratch_load_b128 v[140:143], off, off offset:624
	v_add_f64_e32 v[176:177], v[176:177], v[180:181]
	v_fmac_f64_e32 v[182:183], v[6:7], v[144:145]
	v_add_f64_e32 v[174:175], v[186:187], v[184:185]
	;; [unrolled: 18-line block ×3, first 2 shown]
	v_fma_f64 v[184:185], v[4:5], v[156:157], -v[158:159]
	ds_load_b128 v[4:7], v2 offset:1360
	s_wait_loadcnt_dscnt 0xa01
	v_mul_f64_e32 v[182:183], v[172:173], v[170:171]
	v_mul_f64_e32 v[170:171], v[174:175], v[170:171]
	scratch_load_b128 v[156:159], off, off offset:672
	v_add_f64_e32 v[176:177], v[176:177], v[180:181]
	v_add_f64_e32 v[186:187], v[166:167], v[164:165]
	s_wait_loadcnt_dscnt 0xa00
	v_mul_f64_e32 v[180:181], v[4:5], v[154:155]
	v_mul_f64_e32 v[154:155], v[6:7], v[154:155]
	v_fmac_f64_e32 v[182:183], v[174:175], v[168:169]
	v_fma_f64 v[172:173], v[172:173], v[168:169], -v[170:171]
	ds_load_b128 v[164:167], v2 offset:1376
	scratch_load_b128 v[168:171], off, off offset:688
	v_add_f64_e32 v[176:177], v[176:177], v[178:179]
	v_add_f64_e32 v[174:175], v[186:187], v[184:185]
	v_fmac_f64_e32 v[180:181], v[6:7], v[152:153]
	v_fma_f64 v[184:185], v[4:5], v[152:153], -v[154:155]
	ds_load_b128 v[4:7], v2 offset:1392
	s_wait_loadcnt_dscnt 0xa01
	v_mul_f64_e32 v[178:179], v[164:165], v[10:11]
	v_mul_f64_e32 v[10:11], v[166:167], v[10:11]
	scratch_load_b128 v[152:155], off, off offset:704
	v_add_f64_e32 v[176:177], v[176:177], v[182:183]
	s_wait_loadcnt_dscnt 0xa00
	v_mul_f64_e32 v[182:183], v[4:5], v[14:15]
	v_add_f64_e32 v[186:187], v[174:175], v[172:173]
	v_mul_f64_e32 v[14:15], v[6:7], v[14:15]
	ds_load_b128 v[172:175], v2 offset:1408
	v_fmac_f64_e32 v[178:179], v[166:167], v[8:9]
	v_fma_f64 v[164:165], v[164:165], v[8:9], -v[10:11]
	scratch_load_b128 v[8:11], off, off offset:720
	v_add_f64_e32 v[176:177], v[176:177], v[180:181]
	v_fmac_f64_e32 v[182:183], v[6:7], v[12:13]
	v_add_f64_e32 v[166:167], v[186:187], v[184:185]
	v_fma_f64 v[184:185], v[4:5], v[12:13], -v[14:15]
	ds_load_b128 v[4:7], v2 offset:1424
	s_wait_loadcnt_dscnt 0xa01
	v_mul_f64_e32 v[180:181], v[172:173], v[126:127]
	v_mul_f64_e32 v[126:127], v[174:175], v[126:127]
	scratch_load_b128 v[12:15], off, off offset:736
	v_add_f64_e32 v[176:177], v[176:177], v[178:179]
	s_wait_loadcnt_dscnt 0xa00
	v_mul_f64_e32 v[178:179], v[4:5], v[130:131]
	v_add_f64_e32 v[186:187], v[166:167], v[164:165]
	v_mul_f64_e32 v[130:131], v[6:7], v[130:131]
	ds_load_b128 v[164:167], v2 offset:1440
	v_fmac_f64_e32 v[180:181], v[174:175], v[124:125]
	v_fma_f64 v[172:173], v[172:173], v[124:125], -v[126:127]
	scratch_load_b128 v[124:127], off, off offset:752
	v_add_f64_e32 v[176:177], v[176:177], v[182:183]
	v_fmac_f64_e32 v[178:179], v[6:7], v[128:129]
	v_add_f64_e32 v[174:175], v[186:187], v[184:185]
	;; [unrolled: 18-line block ×4, first 2 shown]
	v_fma_f64 v[184:185], v[4:5], v[144:145], -v[146:147]
	ds_load_b128 v[4:7], v2 offset:1520
	s_wait_loadcnt_dscnt 0xa01
	v_mul_f64_e32 v[180:181], v[164:165], v[150:151]
	v_mul_f64_e32 v[150:151], v[166:167], v[150:151]
	scratch_load_b128 v[144:147], off, off offset:832
	v_add_f64_e32 v[176:177], v[176:177], v[178:179]
	s_wait_loadcnt_dscnt 0xa00
	v_mul_f64_e32 v[178:179], v[4:5], v[158:159]
	v_add_f64_e32 v[186:187], v[174:175], v[172:173]
	v_mul_f64_e32 v[158:159], v[6:7], v[158:159]
	ds_load_b128 v[172:175], v2 offset:1536
	v_fmac_f64_e32 v[180:181], v[166:167], v[148:149]
	v_fma_f64 v[148:149], v[164:165], v[148:149], -v[150:151]
	s_wait_loadcnt_dscnt 0x900
	v_mul_f64_e32 v[166:167], v[172:173], v[170:171]
	v_mul_f64_e32 v[170:171], v[174:175], v[170:171]
	v_add_f64_e32 v[164:165], v[176:177], v[182:183]
	v_fmac_f64_e32 v[178:179], v[6:7], v[156:157]
	v_add_f64_e32 v[150:151], v[186:187], v[184:185]
	v_fma_f64 v[156:157], v[4:5], v[156:157], -v[158:159]
	v_fmac_f64_e32 v[166:167], v[174:175], v[168:169]
	v_fma_f64 v[168:169], v[172:173], v[168:169], -v[170:171]
	v_add_f64_e32 v[164:165], v[164:165], v[180:181]
	v_add_f64_e32 v[158:159], v[150:151], v[148:149]
	ds_load_b128 v[4:7], v2 offset:1552
	ds_load_b128 v[148:151], v2 offset:1568
	s_wait_loadcnt_dscnt 0x801
	v_mul_f64_e32 v[176:177], v[4:5], v[154:155]
	v_mul_f64_e32 v[154:155], v[6:7], v[154:155]
	v_add_f64_e32 v[156:157], v[158:159], v[156:157]
	v_add_f64_e32 v[158:159], v[164:165], v[178:179]
	s_wait_loadcnt_dscnt 0x700
	v_mul_f64_e32 v[164:165], v[148:149], v[10:11]
	v_mul_f64_e32 v[10:11], v[150:151], v[10:11]
	v_fmac_f64_e32 v[176:177], v[6:7], v[152:153]
	v_fma_f64 v[170:171], v[4:5], v[152:153], -v[154:155]
	ds_load_b128 v[4:7], v2 offset:1584
	ds_load_b128 v[152:155], v2 offset:1600
	v_add_f64_e32 v[156:157], v[156:157], v[168:169]
	v_add_f64_e32 v[158:159], v[158:159], v[166:167]
	v_fmac_f64_e32 v[164:165], v[150:151], v[8:9]
	v_fma_f64 v[8:9], v[148:149], v[8:9], -v[10:11]
	s_wait_loadcnt_dscnt 0x601
	v_mul_f64_e32 v[166:167], v[4:5], v[14:15]
	v_mul_f64_e32 v[14:15], v[6:7], v[14:15]
	s_wait_loadcnt_dscnt 0x500
	v_mul_f64_e32 v[150:151], v[152:153], v[126:127]
	v_mul_f64_e32 v[126:127], v[154:155], v[126:127]
	v_add_f64_e32 v[10:11], v[156:157], v[170:171]
	v_add_f64_e32 v[148:149], v[158:159], v[176:177]
	v_fmac_f64_e32 v[166:167], v[6:7], v[12:13]
	v_fma_f64 v[12:13], v[4:5], v[12:13], -v[14:15]
	v_fmac_f64_e32 v[150:151], v[154:155], v[124:125]
	v_fma_f64 v[124:125], v[152:153], v[124:125], -v[126:127]
	v_add_f64_e32 v[14:15], v[10:11], v[8:9]
	v_add_f64_e32 v[148:149], v[148:149], v[164:165]
	ds_load_b128 v[4:7], v2 offset:1616
	ds_load_b128 v[8:11], v2 offset:1632
	s_wait_loadcnt_dscnt 0x401
	v_mul_f64_e32 v[156:157], v[4:5], v[130:131]
	v_mul_f64_e32 v[130:131], v[6:7], v[130:131]
	s_wait_loadcnt_dscnt 0x300
	v_mul_f64_e32 v[126:127], v[8:9], v[134:135]
	v_mul_f64_e32 v[134:135], v[10:11], v[134:135]
	v_add_f64_e32 v[12:13], v[14:15], v[12:13]
	v_add_f64_e32 v[14:15], v[148:149], v[166:167]
	v_fmac_f64_e32 v[156:157], v[6:7], v[128:129]
	v_fma_f64 v[128:129], v[4:5], v[128:129], -v[130:131]
	v_fmac_f64_e32 v[126:127], v[10:11], v[132:133]
	v_fma_f64 v[8:9], v[8:9], v[132:133], -v[134:135]
	v_add_f64_e32 v[124:125], v[12:13], v[124:125]
	v_add_f64_e32 v[130:131], v[14:15], v[150:151]
	ds_load_b128 v[4:7], v2 offset:1648
	ds_load_b128 v[12:15], v2 offset:1664
	s_wait_loadcnt_dscnt 0x201
	v_mul_f64_e32 v[148:149], v[4:5], v[138:139]
	v_mul_f64_e32 v[138:139], v[6:7], v[138:139]
	v_add_f64_e32 v[10:11], v[124:125], v[128:129]
	v_add_f64_e32 v[124:125], v[130:131], v[156:157]
	s_wait_loadcnt_dscnt 0x100
	v_mul_f64_e32 v[128:129], v[12:13], v[142:143]
	v_mul_f64_e32 v[130:131], v[14:15], v[142:143]
	v_fmac_f64_e32 v[148:149], v[6:7], v[136:137]
	v_fma_f64 v[132:133], v[4:5], v[136:137], -v[138:139]
	ds_load_b128 v[4:7], v2 offset:1680
	v_add_f64_e32 v[8:9], v[10:11], v[8:9]
	v_add_f64_e32 v[10:11], v[124:125], v[126:127]
	v_fmac_f64_e32 v[128:129], v[14:15], v[140:141]
	v_fma_f64 v[12:13], v[12:13], v[140:141], -v[130:131]
	s_wait_loadcnt_dscnt 0x0
	v_mul_f64_e32 v[124:125], v[4:5], v[146:147]
	v_mul_f64_e32 v[126:127], v[6:7], v[146:147]
	v_add_f64_e32 v[8:9], v[8:9], v[132:133]
	v_add_f64_e32 v[10:11], v[10:11], v[148:149]
	s_delay_alu instid0(VALU_DEP_4) | instskip(NEXT) | instid1(VALU_DEP_4)
	v_fmac_f64_e32 v[124:125], v[6:7], v[144:145]
	v_fma_f64 v[4:5], v[4:5], v[144:145], -v[126:127]
	s_delay_alu instid0(VALU_DEP_4) | instskip(NEXT) | instid1(VALU_DEP_4)
	v_add_f64_e32 v[6:7], v[8:9], v[12:13]
	v_add_f64_e32 v[8:9], v[10:11], v[128:129]
	s_delay_alu instid0(VALU_DEP_2) | instskip(NEXT) | instid1(VALU_DEP_2)
	v_add_f64_e32 v[4:5], v[6:7], v[4:5]
	v_add_f64_e32 v[6:7], v[8:9], v[124:125]
	s_delay_alu instid0(VALU_DEP_2) | instskip(NEXT) | instid1(VALU_DEP_2)
	v_add_f64_e64 v[4:5], v[160:161], -v[4:5]
	v_add_f64_e64 v[6:7], v[162:163], -v[6:7]
	scratch_store_b128 off, v[4:7], off offset:304
	s_wait_xcnt 0x0
	v_cmpx_lt_u32_e32 18, v1
	s_cbranch_execz .LBB116_295
; %bb.294:
	scratch_load_b128 v[6:9], off, s51
	v_dual_mov_b32 v3, v2 :: v_dual_mov_b32 v4, v2
	v_mov_b32_e32 v5, v2
	scratch_store_b128 off, v[2:5], off offset:288
	s_wait_loadcnt 0x0
	ds_store_b128 v122, v[6:9]
.LBB116_295:
	s_wait_xcnt 0x0
	s_or_b32 exec_lo, exec_lo, s2
	s_wait_storecnt_dscnt 0x0
	s_barrier_signal -1
	s_barrier_wait -1
	s_clause 0x9
	scratch_load_b128 v[4:7], off, off offset:304
	scratch_load_b128 v[8:11], off, off offset:320
	;; [unrolled: 1-line block ×10, first 2 shown]
	ds_load_b128 v[152:155], v2 offset:1152
	ds_load_b128 v[160:163], v2 offset:1168
	s_clause 0x2
	scratch_load_b128 v[156:159], off, off offset:464
	scratch_load_b128 v[164:167], off, off offset:288
	;; [unrolled: 1-line block ×3, first 2 shown]
	s_mov_b32 s2, exec_lo
	s_wait_loadcnt_dscnt 0xc01
	v_mul_f64_e32 v[172:173], v[154:155], v[6:7]
	v_mul_f64_e32 v[176:177], v[152:153], v[6:7]
	s_wait_loadcnt_dscnt 0xb00
	v_mul_f64_e32 v[178:179], v[160:161], v[10:11]
	v_mul_f64_e32 v[10:11], v[162:163], v[10:11]
	s_delay_alu instid0(VALU_DEP_4) | instskip(NEXT) | instid1(VALU_DEP_4)
	v_fma_f64 v[180:181], v[152:153], v[4:5], -v[172:173]
	v_fmac_f64_e32 v[176:177], v[154:155], v[4:5]
	ds_load_b128 v[4:7], v2 offset:1184
	ds_load_b128 v[152:155], v2 offset:1200
	scratch_load_b128 v[172:175], off, off offset:496
	v_fmac_f64_e32 v[178:179], v[162:163], v[8:9]
	v_fma_f64 v[160:161], v[160:161], v[8:9], -v[10:11]
	scratch_load_b128 v[8:11], off, off offset:512
	s_wait_loadcnt_dscnt 0xc01
	v_mul_f64_e32 v[182:183], v[4:5], v[14:15]
	v_mul_f64_e32 v[14:15], v[6:7], v[14:15]
	v_add_f64_e32 v[162:163], 0, v[180:181]
	v_add_f64_e32 v[176:177], 0, v[176:177]
	s_wait_loadcnt_dscnt 0xb00
	v_mul_f64_e32 v[180:181], v[152:153], v[126:127]
	v_mul_f64_e32 v[126:127], v[154:155], v[126:127]
	v_fmac_f64_e32 v[182:183], v[6:7], v[12:13]
	v_fma_f64 v[184:185], v[4:5], v[12:13], -v[14:15]
	ds_load_b128 v[4:7], v2 offset:1216
	ds_load_b128 v[12:15], v2 offset:1232
	v_add_f64_e32 v[186:187], v[162:163], v[160:161]
	v_add_f64_e32 v[176:177], v[176:177], v[178:179]
	scratch_load_b128 v[160:163], off, off offset:528
	v_fmac_f64_e32 v[180:181], v[154:155], v[124:125]
	v_fma_f64 v[152:153], v[152:153], v[124:125], -v[126:127]
	scratch_load_b128 v[124:127], off, off offset:544
	s_wait_loadcnt_dscnt 0xc01
	v_mul_f64_e32 v[178:179], v[4:5], v[130:131]
	v_mul_f64_e32 v[130:131], v[6:7], v[130:131]
	v_add_f64_e32 v[154:155], v[186:187], v[184:185]
	v_add_f64_e32 v[176:177], v[176:177], v[182:183]
	s_wait_loadcnt_dscnt 0xb00
	v_mul_f64_e32 v[182:183], v[12:13], v[134:135]
	v_mul_f64_e32 v[134:135], v[14:15], v[134:135]
	v_fmac_f64_e32 v[178:179], v[6:7], v[128:129]
	v_fma_f64 v[184:185], v[4:5], v[128:129], -v[130:131]
	ds_load_b128 v[4:7], v2 offset:1248
	ds_load_b128 v[128:131], v2 offset:1264
	v_add_f64_e32 v[186:187], v[154:155], v[152:153]
	v_add_f64_e32 v[176:177], v[176:177], v[180:181]
	scratch_load_b128 v[152:155], off, off offset:560
	s_wait_loadcnt_dscnt 0xb01
	v_mul_f64_e32 v[180:181], v[4:5], v[138:139]
	v_mul_f64_e32 v[138:139], v[6:7], v[138:139]
	v_fmac_f64_e32 v[182:183], v[14:15], v[132:133]
	v_fma_f64 v[132:133], v[12:13], v[132:133], -v[134:135]
	scratch_load_b128 v[12:15], off, off offset:576
	v_add_f64_e32 v[134:135], v[186:187], v[184:185]
	v_add_f64_e32 v[176:177], v[176:177], v[178:179]
	s_wait_loadcnt_dscnt 0xb00
	v_mul_f64_e32 v[178:179], v[128:129], v[142:143]
	v_mul_f64_e32 v[142:143], v[130:131], v[142:143]
	v_fmac_f64_e32 v[180:181], v[6:7], v[136:137]
	v_fma_f64 v[184:185], v[4:5], v[136:137], -v[138:139]
	v_add_f64_e32 v[186:187], v[134:135], v[132:133]
	v_add_f64_e32 v[176:177], v[176:177], v[182:183]
	ds_load_b128 v[4:7], v2 offset:1280
	ds_load_b128 v[132:135], v2 offset:1296
	scratch_load_b128 v[136:139], off, off offset:592
	v_fmac_f64_e32 v[178:179], v[130:131], v[140:141]
	v_fma_f64 v[140:141], v[128:129], v[140:141], -v[142:143]
	scratch_load_b128 v[128:131], off, off offset:608
	s_wait_loadcnt_dscnt 0xc01
	v_mul_f64_e32 v[182:183], v[4:5], v[146:147]
	v_mul_f64_e32 v[146:147], v[6:7], v[146:147]
	v_add_f64_e32 v[142:143], v[186:187], v[184:185]
	v_add_f64_e32 v[176:177], v[176:177], v[180:181]
	s_wait_loadcnt_dscnt 0xb00
	v_mul_f64_e32 v[180:181], v[132:133], v[150:151]
	v_mul_f64_e32 v[150:151], v[134:135], v[150:151]
	v_fmac_f64_e32 v[182:183], v[6:7], v[144:145]
	v_fma_f64 v[184:185], v[4:5], v[144:145], -v[146:147]
	v_add_f64_e32 v[186:187], v[142:143], v[140:141]
	v_add_f64_e32 v[176:177], v[176:177], v[178:179]
	ds_load_b128 v[4:7], v2 offset:1312
	ds_load_b128 v[140:143], v2 offset:1328
	scratch_load_b128 v[144:147], off, off offset:624
	v_fmac_f64_e32 v[180:181], v[134:135], v[148:149]
	v_fma_f64 v[148:149], v[132:133], v[148:149], -v[150:151]
	scratch_load_b128 v[132:135], off, off offset:640
	s_wait_loadcnt_dscnt 0xc01
	v_mul_f64_e32 v[178:179], v[4:5], v[158:159]
	v_mul_f64_e32 v[158:159], v[6:7], v[158:159]
	v_add_f64_e32 v[150:151], v[186:187], v[184:185]
	v_add_f64_e32 v[176:177], v[176:177], v[182:183]
	s_wait_loadcnt_dscnt 0xa00
	v_mul_f64_e32 v[182:183], v[140:141], v[170:171]
	v_mul_f64_e32 v[170:171], v[142:143], v[170:171]
	v_fmac_f64_e32 v[178:179], v[6:7], v[156:157]
	v_fma_f64 v[184:185], v[4:5], v[156:157], -v[158:159]
	v_add_f64_e32 v[186:187], v[150:151], v[148:149]
	v_add_f64_e32 v[176:177], v[176:177], v[180:181]
	ds_load_b128 v[4:7], v2 offset:1344
	ds_load_b128 v[148:151], v2 offset:1360
	scratch_load_b128 v[156:159], off, off offset:656
	v_fmac_f64_e32 v[182:183], v[142:143], v[168:169]
	v_fma_f64 v[168:169], v[140:141], v[168:169], -v[170:171]
	scratch_load_b128 v[140:143], off, off offset:672
	s_wait_loadcnt_dscnt 0xb01
	v_mul_f64_e32 v[180:181], v[4:5], v[174:175]
	v_mul_f64_e32 v[174:175], v[6:7], v[174:175]
	v_add_f64_e32 v[170:171], v[186:187], v[184:185]
	v_add_f64_e32 v[176:177], v[176:177], v[178:179]
	s_wait_loadcnt_dscnt 0xa00
	v_mul_f64_e32 v[178:179], v[148:149], v[10:11]
	v_mul_f64_e32 v[10:11], v[150:151], v[10:11]
	v_fmac_f64_e32 v[180:181], v[6:7], v[172:173]
	v_fma_f64 v[184:185], v[4:5], v[172:173], -v[174:175]
	v_add_f64_e32 v[186:187], v[170:171], v[168:169]
	v_add_f64_e32 v[176:177], v[176:177], v[182:183]
	ds_load_b128 v[4:7], v2 offset:1376
	ds_load_b128 v[168:171], v2 offset:1392
	scratch_load_b128 v[172:175], off, off offset:688
	v_fmac_f64_e32 v[178:179], v[150:151], v[8:9]
	v_fma_f64 v[148:149], v[148:149], v[8:9], -v[10:11]
	scratch_load_b128 v[8:11], off, off offset:704
	s_wait_loadcnt_dscnt 0xb01
	v_mul_f64_e32 v[182:183], v[4:5], v[162:163]
	v_mul_f64_e32 v[162:163], v[6:7], v[162:163]
	v_add_f64_e32 v[150:151], v[186:187], v[184:185]
	v_add_f64_e32 v[176:177], v[176:177], v[180:181]
	s_wait_loadcnt_dscnt 0xa00
	v_mul_f64_e32 v[180:181], v[168:169], v[126:127]
	v_mul_f64_e32 v[126:127], v[170:171], v[126:127]
	v_fmac_f64_e32 v[182:183], v[6:7], v[160:161]
	v_fma_f64 v[184:185], v[4:5], v[160:161], -v[162:163]
	v_add_f64_e32 v[186:187], v[150:151], v[148:149]
	v_add_f64_e32 v[176:177], v[176:177], v[178:179]
	ds_load_b128 v[4:7], v2 offset:1408
	ds_load_b128 v[148:151], v2 offset:1424
	scratch_load_b128 v[160:163], off, off offset:720
	v_fmac_f64_e32 v[180:181], v[170:171], v[124:125]
	v_fma_f64 v[168:169], v[168:169], v[124:125], -v[126:127]
	scratch_load_b128 v[124:127], off, off offset:736
	s_wait_loadcnt_dscnt 0xb01
	v_mul_f64_e32 v[178:179], v[4:5], v[154:155]
	v_mul_f64_e32 v[154:155], v[6:7], v[154:155]
	v_add_f64_e32 v[170:171], v[186:187], v[184:185]
	v_add_f64_e32 v[176:177], v[176:177], v[182:183]
	s_wait_loadcnt_dscnt 0xa00
	v_mul_f64_e32 v[182:183], v[148:149], v[14:15]
	v_mul_f64_e32 v[14:15], v[150:151], v[14:15]
	v_fmac_f64_e32 v[178:179], v[6:7], v[152:153]
	v_fma_f64 v[184:185], v[4:5], v[152:153], -v[154:155]
	ds_load_b128 v[4:7], v2 offset:1440
	ds_load_b128 v[152:155], v2 offset:1456
	v_add_f64_e32 v[186:187], v[170:171], v[168:169]
	v_add_f64_e32 v[176:177], v[176:177], v[180:181]
	scratch_load_b128 v[168:171], off, off offset:752
	v_fmac_f64_e32 v[182:183], v[150:151], v[12:13]
	v_fma_f64 v[148:149], v[148:149], v[12:13], -v[14:15]
	scratch_load_b128 v[12:15], off, off offset:768
	s_wait_loadcnt_dscnt 0xb01
	v_mul_f64_e32 v[180:181], v[4:5], v[138:139]
	v_mul_f64_e32 v[138:139], v[6:7], v[138:139]
	v_add_f64_e32 v[150:151], v[186:187], v[184:185]
	v_add_f64_e32 v[176:177], v[176:177], v[178:179]
	s_wait_loadcnt_dscnt 0xa00
	v_mul_f64_e32 v[178:179], v[152:153], v[130:131]
	v_mul_f64_e32 v[130:131], v[154:155], v[130:131]
	v_fmac_f64_e32 v[180:181], v[6:7], v[136:137]
	v_fma_f64 v[184:185], v[4:5], v[136:137], -v[138:139]
	ds_load_b128 v[4:7], v2 offset:1472
	ds_load_b128 v[136:139], v2 offset:1488
	v_add_f64_e32 v[186:187], v[150:151], v[148:149]
	v_add_f64_e32 v[176:177], v[176:177], v[182:183]
	scratch_load_b128 v[148:151], off, off offset:784
	s_wait_loadcnt_dscnt 0xa01
	v_mul_f64_e32 v[182:183], v[4:5], v[146:147]
	v_mul_f64_e32 v[146:147], v[6:7], v[146:147]
	v_fmac_f64_e32 v[178:179], v[154:155], v[128:129]
	v_fma_f64 v[152:153], v[152:153], v[128:129], -v[130:131]
	scratch_load_b128 v[128:131], off, off offset:800
	v_add_f64_e32 v[154:155], v[186:187], v[184:185]
	v_add_f64_e32 v[176:177], v[176:177], v[180:181]
	s_wait_loadcnt_dscnt 0xa00
	v_mul_f64_e32 v[180:181], v[136:137], v[134:135]
	v_mul_f64_e32 v[134:135], v[138:139], v[134:135]
	v_fmac_f64_e32 v[182:183], v[6:7], v[144:145]
	v_fma_f64 v[184:185], v[4:5], v[144:145], -v[146:147]
	ds_load_b128 v[4:7], v2 offset:1504
	ds_load_b128 v[144:147], v2 offset:1520
	v_add_f64_e32 v[186:187], v[154:155], v[152:153]
	v_add_f64_e32 v[176:177], v[176:177], v[178:179]
	scratch_load_b128 v[152:155], off, off offset:816
	s_wait_loadcnt_dscnt 0xa01
	v_mul_f64_e32 v[178:179], v[4:5], v[158:159]
	v_mul_f64_e32 v[158:159], v[6:7], v[158:159]
	v_fmac_f64_e32 v[180:181], v[138:139], v[132:133]
	v_fma_f64 v[136:137], v[136:137], v[132:133], -v[134:135]
	scratch_load_b128 v[132:135], off, off offset:832
	v_add_f64_e32 v[138:139], v[186:187], v[184:185]
	v_add_f64_e32 v[176:177], v[176:177], v[182:183]
	s_wait_loadcnt_dscnt 0xa00
	v_mul_f64_e32 v[182:183], v[144:145], v[142:143]
	v_mul_f64_e32 v[142:143], v[146:147], v[142:143]
	v_fmac_f64_e32 v[178:179], v[6:7], v[156:157]
	v_fma_f64 v[156:157], v[4:5], v[156:157], -v[158:159]
	v_add_f64_e32 v[158:159], v[138:139], v[136:137]
	v_add_f64_e32 v[176:177], v[176:177], v[180:181]
	ds_load_b128 v[4:7], v2 offset:1536
	ds_load_b128 v[136:139], v2 offset:1552
	v_fmac_f64_e32 v[182:183], v[146:147], v[140:141]
	v_fma_f64 v[140:141], v[144:145], v[140:141], -v[142:143]
	s_wait_loadcnt_dscnt 0x901
	v_mul_f64_e32 v[180:181], v[4:5], v[174:175]
	v_mul_f64_e32 v[174:175], v[6:7], v[174:175]
	s_wait_loadcnt_dscnt 0x800
	v_mul_f64_e32 v[146:147], v[136:137], v[10:11]
	v_mul_f64_e32 v[10:11], v[138:139], v[10:11]
	v_add_f64_e32 v[142:143], v[158:159], v[156:157]
	v_add_f64_e32 v[144:145], v[176:177], v[178:179]
	v_fmac_f64_e32 v[180:181], v[6:7], v[172:173]
	v_fma_f64 v[156:157], v[4:5], v[172:173], -v[174:175]
	v_fmac_f64_e32 v[146:147], v[138:139], v[8:9]
	v_fma_f64 v[8:9], v[136:137], v[8:9], -v[10:11]
	v_add_f64_e32 v[158:159], v[142:143], v[140:141]
	v_add_f64_e32 v[144:145], v[144:145], v[182:183]
	ds_load_b128 v[4:7], v2 offset:1568
	ds_load_b128 v[140:143], v2 offset:1584
	s_wait_loadcnt_dscnt 0x701
	v_mul_f64_e32 v[172:173], v[4:5], v[162:163]
	v_mul_f64_e32 v[162:163], v[6:7], v[162:163]
	s_wait_loadcnt_dscnt 0x600
	v_mul_f64_e32 v[138:139], v[140:141], v[126:127]
	v_mul_f64_e32 v[126:127], v[142:143], v[126:127]
	v_add_f64_e32 v[10:11], v[158:159], v[156:157]
	v_add_f64_e32 v[136:137], v[144:145], v[180:181]
	v_fmac_f64_e32 v[172:173], v[6:7], v[160:161]
	v_fma_f64 v[144:145], v[4:5], v[160:161], -v[162:163]
	v_fmac_f64_e32 v[138:139], v[142:143], v[124:125]
	v_fma_f64 v[124:125], v[140:141], v[124:125], -v[126:127]
	v_add_f64_e32 v[156:157], v[10:11], v[8:9]
	v_add_f64_e32 v[136:137], v[136:137], v[146:147]
	ds_load_b128 v[4:7], v2 offset:1600
	ds_load_b128 v[8:11], v2 offset:1616
	;; [unrolled: 16-line block ×4, first 2 shown]
	s_wait_loadcnt_dscnt 0x101
	v_mul_f64_e32 v[2:3], v[4:5], v[154:155]
	v_mul_f64_e32 v[140:141], v[6:7], v[154:155]
	s_wait_loadcnt_dscnt 0x0
	v_mul_f64_e32 v[128:129], v[8:9], v[134:135]
	v_mul_f64_e32 v[130:131], v[10:11], v[134:135]
	v_add_f64_e32 v[126:127], v[142:143], v[136:137]
	v_add_f64_e32 v[12:13], v[12:13], v[138:139]
	v_fmac_f64_e32 v[2:3], v[6:7], v[152:153]
	v_fma_f64 v[4:5], v[4:5], v[152:153], -v[140:141]
	v_fmac_f64_e32 v[128:129], v[10:11], v[132:133]
	v_fma_f64 v[8:9], v[8:9], v[132:133], -v[130:131]
	v_add_f64_e32 v[6:7], v[126:127], v[124:125]
	v_add_f64_e32 v[12:13], v[12:13], v[14:15]
	s_delay_alu instid0(VALU_DEP_2) | instskip(NEXT) | instid1(VALU_DEP_2)
	v_add_f64_e32 v[4:5], v[6:7], v[4:5]
	v_add_f64_e32 v[2:3], v[12:13], v[2:3]
	s_delay_alu instid0(VALU_DEP_2) | instskip(NEXT) | instid1(VALU_DEP_2)
	;; [unrolled: 3-line block ×3, first 2 shown]
	v_add_f64_e64 v[2:3], v[164:165], -v[4:5]
	v_add_f64_e64 v[4:5], v[166:167], -v[6:7]
	scratch_store_b128 off, v[2:5], off offset:288
	s_wait_xcnt 0x0
	v_cmpx_lt_u32_e32 17, v1
	s_cbranch_execz .LBB116_297
; %bb.296:
	scratch_load_b128 v[2:5], off, s52
	v_mov_b32_e32 v6, 0
	s_delay_alu instid0(VALU_DEP_1)
	v_dual_mov_b32 v7, v6 :: v_dual_mov_b32 v8, v6
	v_mov_b32_e32 v9, v6
	scratch_store_b128 off, v[6:9], off offset:272
	s_wait_loadcnt 0x0
	ds_store_b128 v122, v[2:5]
.LBB116_297:
	s_wait_xcnt 0x0
	s_or_b32 exec_lo, exec_lo, s2
	s_wait_storecnt_dscnt 0x0
	s_barrier_signal -1
	s_barrier_wait -1
	s_clause 0x9
	scratch_load_b128 v[4:7], off, off offset:288
	scratch_load_b128 v[8:11], off, off offset:304
	;; [unrolled: 1-line block ×10, first 2 shown]
	v_mov_b32_e32 v2, 0
	s_mov_b32 s2, exec_lo
	ds_load_b128 v[152:155], v2 offset:1136
	s_clause 0x2
	scratch_load_b128 v[156:159], off, off offset:448
	scratch_load_b128 v[160:163], off, off offset:272
	scratch_load_b128 v[168:171], off, off offset:464
	s_wait_loadcnt_dscnt 0xc00
	v_mul_f64_e32 v[172:173], v[154:155], v[6:7]
	v_mul_f64_e32 v[176:177], v[152:153], v[6:7]
	ds_load_b128 v[164:167], v2 offset:1152
	v_fma_f64 v[180:181], v[152:153], v[4:5], -v[172:173]
	v_fmac_f64_e32 v[176:177], v[154:155], v[4:5]
	ds_load_b128 v[4:7], v2 offset:1168
	s_wait_loadcnt_dscnt 0xb01
	v_mul_f64_e32 v[178:179], v[164:165], v[10:11]
	v_mul_f64_e32 v[10:11], v[166:167], v[10:11]
	scratch_load_b128 v[152:155], off, off offset:480
	ds_load_b128 v[172:175], v2 offset:1184
	s_wait_loadcnt_dscnt 0xb01
	v_mul_f64_e32 v[182:183], v[4:5], v[14:15]
	v_mul_f64_e32 v[14:15], v[6:7], v[14:15]
	v_add_f64_e32 v[176:177], 0, v[176:177]
	v_fmac_f64_e32 v[178:179], v[166:167], v[8:9]
	v_fma_f64 v[164:165], v[164:165], v[8:9], -v[10:11]
	v_add_f64_e32 v[166:167], 0, v[180:181]
	scratch_load_b128 v[8:11], off, off offset:496
	v_fmac_f64_e32 v[182:183], v[6:7], v[12:13]
	v_fma_f64 v[184:185], v[4:5], v[12:13], -v[14:15]
	ds_load_b128 v[4:7], v2 offset:1200
	s_wait_loadcnt_dscnt 0xb01
	v_mul_f64_e32 v[180:181], v[172:173], v[126:127]
	v_mul_f64_e32 v[126:127], v[174:175], v[126:127]
	scratch_load_b128 v[12:15], off, off offset:512
	v_add_f64_e32 v[176:177], v[176:177], v[178:179]
	v_add_f64_e32 v[186:187], v[166:167], v[164:165]
	ds_load_b128 v[164:167], v2 offset:1216
	s_wait_loadcnt_dscnt 0xb01
	v_mul_f64_e32 v[178:179], v[4:5], v[130:131]
	v_mul_f64_e32 v[130:131], v[6:7], v[130:131]
	v_fmac_f64_e32 v[180:181], v[174:175], v[124:125]
	v_fma_f64 v[172:173], v[172:173], v[124:125], -v[126:127]
	scratch_load_b128 v[124:127], off, off offset:528
	v_add_f64_e32 v[176:177], v[176:177], v[182:183]
	v_add_f64_e32 v[174:175], v[186:187], v[184:185]
	v_fmac_f64_e32 v[178:179], v[6:7], v[128:129]
	v_fma_f64 v[184:185], v[4:5], v[128:129], -v[130:131]
	ds_load_b128 v[4:7], v2 offset:1232
	s_wait_loadcnt_dscnt 0xb01
	v_mul_f64_e32 v[182:183], v[164:165], v[134:135]
	v_mul_f64_e32 v[134:135], v[166:167], v[134:135]
	scratch_load_b128 v[128:131], off, off offset:544
	v_add_f64_e32 v[176:177], v[176:177], v[180:181]
	s_wait_loadcnt_dscnt 0xb00
	v_mul_f64_e32 v[180:181], v[4:5], v[138:139]
	v_add_f64_e32 v[186:187], v[174:175], v[172:173]
	v_mul_f64_e32 v[138:139], v[6:7], v[138:139]
	ds_load_b128 v[172:175], v2 offset:1248
	v_fmac_f64_e32 v[182:183], v[166:167], v[132:133]
	v_fma_f64 v[164:165], v[164:165], v[132:133], -v[134:135]
	scratch_load_b128 v[132:135], off, off offset:560
	v_add_f64_e32 v[176:177], v[176:177], v[178:179]
	v_fmac_f64_e32 v[180:181], v[6:7], v[136:137]
	v_add_f64_e32 v[166:167], v[186:187], v[184:185]
	v_fma_f64 v[184:185], v[4:5], v[136:137], -v[138:139]
	ds_load_b128 v[4:7], v2 offset:1264
	s_wait_loadcnt_dscnt 0xb01
	v_mul_f64_e32 v[178:179], v[172:173], v[142:143]
	v_mul_f64_e32 v[142:143], v[174:175], v[142:143]
	scratch_load_b128 v[136:139], off, off offset:576
	v_add_f64_e32 v[176:177], v[176:177], v[182:183]
	s_wait_loadcnt_dscnt 0xb00
	v_mul_f64_e32 v[182:183], v[4:5], v[146:147]
	v_add_f64_e32 v[186:187], v[166:167], v[164:165]
	v_mul_f64_e32 v[146:147], v[6:7], v[146:147]
	ds_load_b128 v[164:167], v2 offset:1280
	v_fmac_f64_e32 v[178:179], v[174:175], v[140:141]
	v_fma_f64 v[172:173], v[172:173], v[140:141], -v[142:143]
	scratch_load_b128 v[140:143], off, off offset:592
	v_add_f64_e32 v[176:177], v[176:177], v[180:181]
	v_fmac_f64_e32 v[182:183], v[6:7], v[144:145]
	v_add_f64_e32 v[174:175], v[186:187], v[184:185]
	;; [unrolled: 18-line block ×3, first 2 shown]
	v_fma_f64 v[184:185], v[4:5], v[156:157], -v[158:159]
	ds_load_b128 v[4:7], v2 offset:1328
	s_wait_loadcnt_dscnt 0xa01
	v_mul_f64_e32 v[182:183], v[172:173], v[170:171]
	v_mul_f64_e32 v[170:171], v[174:175], v[170:171]
	scratch_load_b128 v[156:159], off, off offset:640
	v_add_f64_e32 v[176:177], v[176:177], v[180:181]
	v_add_f64_e32 v[186:187], v[166:167], v[164:165]
	s_wait_loadcnt_dscnt 0xa00
	v_mul_f64_e32 v[180:181], v[4:5], v[154:155]
	v_mul_f64_e32 v[154:155], v[6:7], v[154:155]
	v_fmac_f64_e32 v[182:183], v[174:175], v[168:169]
	v_fma_f64 v[172:173], v[172:173], v[168:169], -v[170:171]
	ds_load_b128 v[164:167], v2 offset:1344
	scratch_load_b128 v[168:171], off, off offset:656
	v_add_f64_e32 v[176:177], v[176:177], v[178:179]
	v_add_f64_e32 v[174:175], v[186:187], v[184:185]
	v_fmac_f64_e32 v[180:181], v[6:7], v[152:153]
	v_fma_f64 v[184:185], v[4:5], v[152:153], -v[154:155]
	ds_load_b128 v[4:7], v2 offset:1360
	s_wait_loadcnt_dscnt 0xa01
	v_mul_f64_e32 v[178:179], v[164:165], v[10:11]
	v_mul_f64_e32 v[10:11], v[166:167], v[10:11]
	scratch_load_b128 v[152:155], off, off offset:672
	v_add_f64_e32 v[176:177], v[176:177], v[182:183]
	s_wait_loadcnt_dscnt 0xa00
	v_mul_f64_e32 v[182:183], v[4:5], v[14:15]
	v_add_f64_e32 v[186:187], v[174:175], v[172:173]
	v_mul_f64_e32 v[14:15], v[6:7], v[14:15]
	ds_load_b128 v[172:175], v2 offset:1376
	v_fmac_f64_e32 v[178:179], v[166:167], v[8:9]
	v_fma_f64 v[164:165], v[164:165], v[8:9], -v[10:11]
	scratch_load_b128 v[8:11], off, off offset:688
	v_add_f64_e32 v[176:177], v[176:177], v[180:181]
	v_fmac_f64_e32 v[182:183], v[6:7], v[12:13]
	v_add_f64_e32 v[166:167], v[186:187], v[184:185]
	v_fma_f64 v[184:185], v[4:5], v[12:13], -v[14:15]
	ds_load_b128 v[4:7], v2 offset:1392
	s_wait_loadcnt_dscnt 0xa01
	v_mul_f64_e32 v[180:181], v[172:173], v[126:127]
	v_mul_f64_e32 v[126:127], v[174:175], v[126:127]
	scratch_load_b128 v[12:15], off, off offset:704
	v_add_f64_e32 v[176:177], v[176:177], v[178:179]
	s_wait_loadcnt_dscnt 0xa00
	v_mul_f64_e32 v[178:179], v[4:5], v[130:131]
	v_add_f64_e32 v[186:187], v[166:167], v[164:165]
	v_mul_f64_e32 v[130:131], v[6:7], v[130:131]
	ds_load_b128 v[164:167], v2 offset:1408
	v_fmac_f64_e32 v[180:181], v[174:175], v[124:125]
	v_fma_f64 v[172:173], v[172:173], v[124:125], -v[126:127]
	scratch_load_b128 v[124:127], off, off offset:720
	v_add_f64_e32 v[176:177], v[176:177], v[182:183]
	v_fmac_f64_e32 v[178:179], v[6:7], v[128:129]
	v_add_f64_e32 v[174:175], v[186:187], v[184:185]
	;; [unrolled: 18-line block ×5, first 2 shown]
	v_fma_f64 v[184:185], v[4:5], v[156:157], -v[158:159]
	ds_load_b128 v[4:7], v2 offset:1520
	s_wait_loadcnt_dscnt 0xa01
	v_mul_f64_e32 v[182:183], v[172:173], v[170:171]
	v_mul_f64_e32 v[170:171], v[174:175], v[170:171]
	scratch_load_b128 v[156:159], off, off offset:832
	v_add_f64_e32 v[176:177], v[176:177], v[180:181]
	s_wait_loadcnt_dscnt 0xa00
	v_mul_f64_e32 v[180:181], v[4:5], v[154:155]
	v_add_f64_e32 v[186:187], v[166:167], v[164:165]
	v_mul_f64_e32 v[154:155], v[6:7], v[154:155]
	ds_load_b128 v[164:167], v2 offset:1536
	v_fmac_f64_e32 v[182:183], v[174:175], v[168:169]
	v_fma_f64 v[168:169], v[172:173], v[168:169], -v[170:171]
	s_wait_loadcnt_dscnt 0x900
	v_mul_f64_e32 v[174:175], v[164:165], v[10:11]
	v_mul_f64_e32 v[10:11], v[166:167], v[10:11]
	v_add_f64_e32 v[172:173], v[176:177], v[178:179]
	v_fmac_f64_e32 v[180:181], v[6:7], v[152:153]
	v_add_f64_e32 v[170:171], v[186:187], v[184:185]
	v_fma_f64 v[176:177], v[4:5], v[152:153], -v[154:155]
	ds_load_b128 v[4:7], v2 offset:1552
	ds_load_b128 v[152:155], v2 offset:1568
	v_fmac_f64_e32 v[174:175], v[166:167], v[8:9]
	v_fma_f64 v[8:9], v[164:165], v[8:9], -v[10:11]
	v_add_f64_e32 v[168:169], v[170:171], v[168:169]
	v_add_f64_e32 v[170:171], v[172:173], v[182:183]
	s_wait_loadcnt_dscnt 0x801
	v_mul_f64_e32 v[172:173], v[4:5], v[14:15]
	v_mul_f64_e32 v[14:15], v[6:7], v[14:15]
	s_wait_loadcnt_dscnt 0x700
	v_mul_f64_e32 v[166:167], v[152:153], v[126:127]
	v_mul_f64_e32 v[126:127], v[154:155], v[126:127]
	v_add_f64_e32 v[10:11], v[168:169], v[176:177]
	v_add_f64_e32 v[164:165], v[170:171], v[180:181]
	v_fmac_f64_e32 v[172:173], v[6:7], v[12:13]
	v_fma_f64 v[12:13], v[4:5], v[12:13], -v[14:15]
	v_fmac_f64_e32 v[166:167], v[154:155], v[124:125]
	v_fma_f64 v[124:125], v[152:153], v[124:125], -v[126:127]
	v_add_f64_e32 v[14:15], v[10:11], v[8:9]
	v_add_f64_e32 v[164:165], v[164:165], v[174:175]
	ds_load_b128 v[4:7], v2 offset:1584
	ds_load_b128 v[8:11], v2 offset:1600
	s_wait_loadcnt_dscnt 0x601
	v_mul_f64_e32 v[168:169], v[4:5], v[130:131]
	v_mul_f64_e32 v[130:131], v[6:7], v[130:131]
	s_wait_loadcnt_dscnt 0x500
	v_mul_f64_e32 v[126:127], v[8:9], v[134:135]
	v_mul_f64_e32 v[134:135], v[10:11], v[134:135]
	v_add_f64_e32 v[12:13], v[14:15], v[12:13]
	v_add_f64_e32 v[14:15], v[164:165], v[172:173]
	v_fmac_f64_e32 v[168:169], v[6:7], v[128:129]
	v_fma_f64 v[128:129], v[4:5], v[128:129], -v[130:131]
	v_fmac_f64_e32 v[126:127], v[10:11], v[132:133]
	v_fma_f64 v[8:9], v[8:9], v[132:133], -v[134:135]
	v_add_f64_e32 v[124:125], v[12:13], v[124:125]
	v_add_f64_e32 v[130:131], v[14:15], v[166:167]
	ds_load_b128 v[4:7], v2 offset:1616
	ds_load_b128 v[12:15], v2 offset:1632
	s_wait_loadcnt_dscnt 0x401
	v_mul_f64_e32 v[152:153], v[4:5], v[138:139]
	v_mul_f64_e32 v[138:139], v[6:7], v[138:139]
	v_add_f64_e32 v[10:11], v[124:125], v[128:129]
	v_add_f64_e32 v[124:125], v[130:131], v[168:169]
	s_wait_loadcnt_dscnt 0x300
	v_mul_f64_e32 v[128:129], v[12:13], v[142:143]
	v_mul_f64_e32 v[130:131], v[14:15], v[142:143]
	v_fmac_f64_e32 v[152:153], v[6:7], v[136:137]
	v_fma_f64 v[132:133], v[4:5], v[136:137], -v[138:139]
	v_add_f64_e32 v[134:135], v[10:11], v[8:9]
	v_add_f64_e32 v[124:125], v[124:125], v[126:127]
	ds_load_b128 v[4:7], v2 offset:1648
	ds_load_b128 v[8:11], v2 offset:1664
	v_fmac_f64_e32 v[128:129], v[14:15], v[140:141]
	v_fma_f64 v[12:13], v[12:13], v[140:141], -v[130:131]
	s_wait_loadcnt_dscnt 0x201
	v_mul_f64_e32 v[126:127], v[4:5], v[146:147]
	v_mul_f64_e32 v[136:137], v[6:7], v[146:147]
	s_wait_loadcnt_dscnt 0x100
	v_mul_f64_e32 v[130:131], v[8:9], v[150:151]
	v_add_f64_e32 v[14:15], v[134:135], v[132:133]
	v_add_f64_e32 v[124:125], v[124:125], v[152:153]
	v_mul_f64_e32 v[132:133], v[10:11], v[150:151]
	v_fmac_f64_e32 v[126:127], v[6:7], v[144:145]
	v_fma_f64 v[134:135], v[4:5], v[144:145], -v[136:137]
	ds_load_b128 v[4:7], v2 offset:1680
	v_fmac_f64_e32 v[130:131], v[10:11], v[148:149]
	v_add_f64_e32 v[12:13], v[14:15], v[12:13]
	v_add_f64_e32 v[14:15], v[124:125], v[128:129]
	v_fma_f64 v[8:9], v[8:9], v[148:149], -v[132:133]
	s_wait_loadcnt_dscnt 0x0
	v_mul_f64_e32 v[124:125], v[4:5], v[158:159]
	v_mul_f64_e32 v[128:129], v[6:7], v[158:159]
	v_add_f64_e32 v[10:11], v[12:13], v[134:135]
	v_add_f64_e32 v[12:13], v[14:15], v[126:127]
	s_delay_alu instid0(VALU_DEP_4) | instskip(NEXT) | instid1(VALU_DEP_4)
	v_fmac_f64_e32 v[124:125], v[6:7], v[156:157]
	v_fma_f64 v[4:5], v[4:5], v[156:157], -v[128:129]
	s_delay_alu instid0(VALU_DEP_4) | instskip(NEXT) | instid1(VALU_DEP_4)
	v_add_f64_e32 v[6:7], v[10:11], v[8:9]
	v_add_f64_e32 v[8:9], v[12:13], v[130:131]
	s_delay_alu instid0(VALU_DEP_2) | instskip(NEXT) | instid1(VALU_DEP_2)
	v_add_f64_e32 v[4:5], v[6:7], v[4:5]
	v_add_f64_e32 v[6:7], v[8:9], v[124:125]
	s_delay_alu instid0(VALU_DEP_2) | instskip(NEXT) | instid1(VALU_DEP_2)
	v_add_f64_e64 v[4:5], v[160:161], -v[4:5]
	v_add_f64_e64 v[6:7], v[162:163], -v[6:7]
	scratch_store_b128 off, v[4:7], off offset:272
	s_wait_xcnt 0x0
	v_cmpx_lt_u32_e32 16, v1
	s_cbranch_execz .LBB116_299
; %bb.298:
	scratch_load_b128 v[6:9], off, s53
	v_dual_mov_b32 v3, v2 :: v_dual_mov_b32 v4, v2
	v_mov_b32_e32 v5, v2
	scratch_store_b128 off, v[2:5], off offset:256
	s_wait_loadcnt 0x0
	ds_store_b128 v122, v[6:9]
.LBB116_299:
	s_wait_xcnt 0x0
	s_or_b32 exec_lo, exec_lo, s2
	s_wait_storecnt_dscnt 0x0
	s_barrier_signal -1
	s_barrier_wait -1
	s_clause 0x9
	scratch_load_b128 v[4:7], off, off offset:272
	scratch_load_b128 v[8:11], off, off offset:288
	;; [unrolled: 1-line block ×10, first 2 shown]
	ds_load_b128 v[152:155], v2 offset:1120
	ds_load_b128 v[160:163], v2 offset:1136
	s_clause 0x2
	scratch_load_b128 v[156:159], off, off offset:432
	scratch_load_b128 v[164:167], off, off offset:256
	;; [unrolled: 1-line block ×3, first 2 shown]
	s_mov_b32 s2, exec_lo
	s_wait_loadcnt_dscnt 0xc01
	v_mul_f64_e32 v[172:173], v[154:155], v[6:7]
	v_mul_f64_e32 v[176:177], v[152:153], v[6:7]
	s_wait_loadcnt_dscnt 0xb00
	v_mul_f64_e32 v[178:179], v[160:161], v[10:11]
	v_mul_f64_e32 v[10:11], v[162:163], v[10:11]
	s_delay_alu instid0(VALU_DEP_4) | instskip(NEXT) | instid1(VALU_DEP_4)
	v_fma_f64 v[180:181], v[152:153], v[4:5], -v[172:173]
	v_fmac_f64_e32 v[176:177], v[154:155], v[4:5]
	ds_load_b128 v[4:7], v2 offset:1152
	ds_load_b128 v[152:155], v2 offset:1168
	scratch_load_b128 v[172:175], off, off offset:464
	v_fmac_f64_e32 v[178:179], v[162:163], v[8:9]
	v_fma_f64 v[160:161], v[160:161], v[8:9], -v[10:11]
	scratch_load_b128 v[8:11], off, off offset:480
	s_wait_loadcnt_dscnt 0xc01
	v_mul_f64_e32 v[182:183], v[4:5], v[14:15]
	v_mul_f64_e32 v[14:15], v[6:7], v[14:15]
	v_add_f64_e32 v[162:163], 0, v[180:181]
	v_add_f64_e32 v[176:177], 0, v[176:177]
	s_wait_loadcnt_dscnt 0xb00
	v_mul_f64_e32 v[180:181], v[152:153], v[126:127]
	v_mul_f64_e32 v[126:127], v[154:155], v[126:127]
	v_fmac_f64_e32 v[182:183], v[6:7], v[12:13]
	v_fma_f64 v[184:185], v[4:5], v[12:13], -v[14:15]
	ds_load_b128 v[4:7], v2 offset:1184
	ds_load_b128 v[12:15], v2 offset:1200
	v_add_f64_e32 v[186:187], v[162:163], v[160:161]
	v_add_f64_e32 v[176:177], v[176:177], v[178:179]
	scratch_load_b128 v[160:163], off, off offset:496
	v_fmac_f64_e32 v[180:181], v[154:155], v[124:125]
	v_fma_f64 v[152:153], v[152:153], v[124:125], -v[126:127]
	scratch_load_b128 v[124:127], off, off offset:512
	s_wait_loadcnt_dscnt 0xc01
	v_mul_f64_e32 v[178:179], v[4:5], v[130:131]
	v_mul_f64_e32 v[130:131], v[6:7], v[130:131]
	v_add_f64_e32 v[154:155], v[186:187], v[184:185]
	v_add_f64_e32 v[176:177], v[176:177], v[182:183]
	s_wait_loadcnt_dscnt 0xb00
	v_mul_f64_e32 v[182:183], v[12:13], v[134:135]
	v_mul_f64_e32 v[134:135], v[14:15], v[134:135]
	v_fmac_f64_e32 v[178:179], v[6:7], v[128:129]
	v_fma_f64 v[184:185], v[4:5], v[128:129], -v[130:131]
	ds_load_b128 v[4:7], v2 offset:1216
	ds_load_b128 v[128:131], v2 offset:1232
	v_add_f64_e32 v[186:187], v[154:155], v[152:153]
	v_add_f64_e32 v[176:177], v[176:177], v[180:181]
	scratch_load_b128 v[152:155], off, off offset:528
	s_wait_loadcnt_dscnt 0xb01
	v_mul_f64_e32 v[180:181], v[4:5], v[138:139]
	v_mul_f64_e32 v[138:139], v[6:7], v[138:139]
	v_fmac_f64_e32 v[182:183], v[14:15], v[132:133]
	v_fma_f64 v[132:133], v[12:13], v[132:133], -v[134:135]
	scratch_load_b128 v[12:15], off, off offset:544
	v_add_f64_e32 v[134:135], v[186:187], v[184:185]
	v_add_f64_e32 v[176:177], v[176:177], v[178:179]
	s_wait_loadcnt_dscnt 0xb00
	v_mul_f64_e32 v[178:179], v[128:129], v[142:143]
	v_mul_f64_e32 v[142:143], v[130:131], v[142:143]
	v_fmac_f64_e32 v[180:181], v[6:7], v[136:137]
	v_fma_f64 v[184:185], v[4:5], v[136:137], -v[138:139]
	v_add_f64_e32 v[186:187], v[134:135], v[132:133]
	v_add_f64_e32 v[176:177], v[176:177], v[182:183]
	ds_load_b128 v[4:7], v2 offset:1248
	ds_load_b128 v[132:135], v2 offset:1264
	scratch_load_b128 v[136:139], off, off offset:560
	v_fmac_f64_e32 v[178:179], v[130:131], v[140:141]
	v_fma_f64 v[140:141], v[128:129], v[140:141], -v[142:143]
	scratch_load_b128 v[128:131], off, off offset:576
	s_wait_loadcnt_dscnt 0xc01
	v_mul_f64_e32 v[182:183], v[4:5], v[146:147]
	v_mul_f64_e32 v[146:147], v[6:7], v[146:147]
	v_add_f64_e32 v[142:143], v[186:187], v[184:185]
	v_add_f64_e32 v[176:177], v[176:177], v[180:181]
	s_wait_loadcnt_dscnt 0xb00
	v_mul_f64_e32 v[180:181], v[132:133], v[150:151]
	v_mul_f64_e32 v[150:151], v[134:135], v[150:151]
	v_fmac_f64_e32 v[182:183], v[6:7], v[144:145]
	v_fma_f64 v[184:185], v[4:5], v[144:145], -v[146:147]
	v_add_f64_e32 v[186:187], v[142:143], v[140:141]
	v_add_f64_e32 v[176:177], v[176:177], v[178:179]
	ds_load_b128 v[4:7], v2 offset:1280
	ds_load_b128 v[140:143], v2 offset:1296
	scratch_load_b128 v[144:147], off, off offset:592
	v_fmac_f64_e32 v[180:181], v[134:135], v[148:149]
	v_fma_f64 v[148:149], v[132:133], v[148:149], -v[150:151]
	scratch_load_b128 v[132:135], off, off offset:608
	s_wait_loadcnt_dscnt 0xc01
	v_mul_f64_e32 v[178:179], v[4:5], v[158:159]
	v_mul_f64_e32 v[158:159], v[6:7], v[158:159]
	;; [unrolled: 18-line block ×5, first 2 shown]
	v_add_f64_e32 v[170:171], v[186:187], v[184:185]
	v_add_f64_e32 v[176:177], v[176:177], v[182:183]
	s_wait_loadcnt_dscnt 0xa00
	v_mul_f64_e32 v[182:183], v[148:149], v[14:15]
	v_mul_f64_e32 v[14:15], v[150:151], v[14:15]
	v_fmac_f64_e32 v[178:179], v[6:7], v[152:153]
	v_fma_f64 v[184:185], v[4:5], v[152:153], -v[154:155]
	ds_load_b128 v[4:7], v2 offset:1408
	ds_load_b128 v[152:155], v2 offset:1424
	v_add_f64_e32 v[186:187], v[170:171], v[168:169]
	v_add_f64_e32 v[176:177], v[176:177], v[180:181]
	scratch_load_b128 v[168:171], off, off offset:720
	v_fmac_f64_e32 v[182:183], v[150:151], v[12:13]
	v_fma_f64 v[148:149], v[148:149], v[12:13], -v[14:15]
	scratch_load_b128 v[12:15], off, off offset:736
	s_wait_loadcnt_dscnt 0xb01
	v_mul_f64_e32 v[180:181], v[4:5], v[138:139]
	v_mul_f64_e32 v[138:139], v[6:7], v[138:139]
	v_add_f64_e32 v[150:151], v[186:187], v[184:185]
	v_add_f64_e32 v[176:177], v[176:177], v[178:179]
	s_wait_loadcnt_dscnt 0xa00
	v_mul_f64_e32 v[178:179], v[152:153], v[130:131]
	v_mul_f64_e32 v[130:131], v[154:155], v[130:131]
	v_fmac_f64_e32 v[180:181], v[6:7], v[136:137]
	v_fma_f64 v[184:185], v[4:5], v[136:137], -v[138:139]
	ds_load_b128 v[4:7], v2 offset:1440
	ds_load_b128 v[136:139], v2 offset:1456
	v_add_f64_e32 v[186:187], v[150:151], v[148:149]
	v_add_f64_e32 v[176:177], v[176:177], v[182:183]
	scratch_load_b128 v[148:151], off, off offset:752
	s_wait_loadcnt_dscnt 0xa01
	v_mul_f64_e32 v[182:183], v[4:5], v[146:147]
	v_mul_f64_e32 v[146:147], v[6:7], v[146:147]
	v_fmac_f64_e32 v[178:179], v[154:155], v[128:129]
	v_fma_f64 v[152:153], v[152:153], v[128:129], -v[130:131]
	scratch_load_b128 v[128:131], off, off offset:768
	v_add_f64_e32 v[154:155], v[186:187], v[184:185]
	v_add_f64_e32 v[176:177], v[176:177], v[180:181]
	s_wait_loadcnt_dscnt 0xa00
	v_mul_f64_e32 v[180:181], v[136:137], v[134:135]
	v_mul_f64_e32 v[134:135], v[138:139], v[134:135]
	v_fmac_f64_e32 v[182:183], v[6:7], v[144:145]
	v_fma_f64 v[184:185], v[4:5], v[144:145], -v[146:147]
	ds_load_b128 v[4:7], v2 offset:1472
	ds_load_b128 v[144:147], v2 offset:1488
	v_add_f64_e32 v[186:187], v[154:155], v[152:153]
	v_add_f64_e32 v[176:177], v[176:177], v[178:179]
	scratch_load_b128 v[152:155], off, off offset:784
	s_wait_loadcnt_dscnt 0xa01
	v_mul_f64_e32 v[178:179], v[4:5], v[158:159]
	v_mul_f64_e32 v[158:159], v[6:7], v[158:159]
	v_fmac_f64_e32 v[180:181], v[138:139], v[132:133]
	v_fma_f64 v[136:137], v[136:137], v[132:133], -v[134:135]
	scratch_load_b128 v[132:135], off, off offset:800
	v_add_f64_e32 v[138:139], v[186:187], v[184:185]
	v_add_f64_e32 v[176:177], v[176:177], v[182:183]
	s_wait_loadcnt_dscnt 0xa00
	v_mul_f64_e32 v[182:183], v[144:145], v[142:143]
	v_mul_f64_e32 v[142:143], v[146:147], v[142:143]
	v_fmac_f64_e32 v[178:179], v[6:7], v[156:157]
	v_fma_f64 v[184:185], v[4:5], v[156:157], -v[158:159]
	v_add_f64_e32 v[186:187], v[138:139], v[136:137]
	v_add_f64_e32 v[176:177], v[176:177], v[180:181]
	ds_load_b128 v[4:7], v2 offset:1504
	ds_load_b128 v[136:139], v2 offset:1520
	scratch_load_b128 v[156:159], off, off offset:816
	v_fmac_f64_e32 v[182:183], v[146:147], v[140:141]
	v_fma_f64 v[144:145], v[144:145], v[140:141], -v[142:143]
	scratch_load_b128 v[140:143], off, off offset:832
	s_wait_loadcnt_dscnt 0xb01
	v_mul_f64_e32 v[180:181], v[4:5], v[174:175]
	v_mul_f64_e32 v[174:175], v[6:7], v[174:175]
	v_add_f64_e32 v[146:147], v[186:187], v[184:185]
	v_add_f64_e32 v[176:177], v[176:177], v[178:179]
	s_wait_loadcnt_dscnt 0xa00
	v_mul_f64_e32 v[178:179], v[136:137], v[10:11]
	v_mul_f64_e32 v[10:11], v[138:139], v[10:11]
	v_fmac_f64_e32 v[180:181], v[6:7], v[172:173]
	v_fma_f64 v[172:173], v[4:5], v[172:173], -v[174:175]
	v_add_f64_e32 v[174:175], v[146:147], v[144:145]
	v_add_f64_e32 v[176:177], v[176:177], v[182:183]
	ds_load_b128 v[4:7], v2 offset:1536
	ds_load_b128 v[144:147], v2 offset:1552
	v_fmac_f64_e32 v[178:179], v[138:139], v[8:9]
	v_fma_f64 v[8:9], v[136:137], v[8:9], -v[10:11]
	s_wait_loadcnt_dscnt 0x901
	v_mul_f64_e32 v[182:183], v[4:5], v[162:163]
	v_mul_f64_e32 v[162:163], v[6:7], v[162:163]
	s_wait_loadcnt_dscnt 0x800
	v_mul_f64_e32 v[138:139], v[144:145], v[126:127]
	v_mul_f64_e32 v[126:127], v[146:147], v[126:127]
	v_add_f64_e32 v[10:11], v[174:175], v[172:173]
	v_add_f64_e32 v[136:137], v[176:177], v[180:181]
	v_fmac_f64_e32 v[182:183], v[6:7], v[160:161]
	v_fma_f64 v[160:161], v[4:5], v[160:161], -v[162:163]
	v_fmac_f64_e32 v[138:139], v[146:147], v[124:125]
	v_fma_f64 v[124:125], v[144:145], v[124:125], -v[126:127]
	v_add_f64_e32 v[162:163], v[10:11], v[8:9]
	v_add_f64_e32 v[136:137], v[136:137], v[178:179]
	ds_load_b128 v[4:7], v2 offset:1568
	ds_load_b128 v[8:11], v2 offset:1584
	s_wait_loadcnt_dscnt 0x701
	v_mul_f64_e32 v[172:173], v[4:5], v[170:171]
	v_mul_f64_e32 v[170:171], v[6:7], v[170:171]
	s_wait_loadcnt_dscnt 0x600
	v_mul_f64_e32 v[144:145], v[8:9], v[14:15]
	v_mul_f64_e32 v[14:15], v[10:11], v[14:15]
	v_add_f64_e32 v[126:127], v[162:163], v[160:161]
	v_add_f64_e32 v[136:137], v[136:137], v[182:183]
	v_fmac_f64_e32 v[172:173], v[6:7], v[168:169]
	v_fma_f64 v[146:147], v[4:5], v[168:169], -v[170:171]
	v_fmac_f64_e32 v[144:145], v[10:11], v[12:13]
	v_fma_f64 v[8:9], v[8:9], v[12:13], -v[14:15]
	v_add_f64_e32 v[160:161], v[126:127], v[124:125]
	v_add_f64_e32 v[136:137], v[136:137], v[138:139]
	ds_load_b128 v[4:7], v2 offset:1600
	ds_load_b128 v[124:127], v2 offset:1616
	;; [unrolled: 16-line block ×4, first 2 shown]
	s_wait_loadcnt_dscnt 0x101
	v_mul_f64_e32 v[2:3], v[4:5], v[158:159]
	v_mul_f64_e32 v[136:137], v[6:7], v[158:159]
	s_wait_loadcnt_dscnt 0x0
	v_mul_f64_e32 v[130:131], v[14:15], v[142:143]
	v_add_f64_e32 v[10:11], v[124:125], v[134:135]
	v_add_f64_e32 v[124:125], v[126:127], v[144:145]
	v_mul_f64_e32 v[126:127], v[12:13], v[142:143]
	v_fmac_f64_e32 v[2:3], v[6:7], v[156:157]
	v_fma_f64 v[4:5], v[4:5], v[156:157], -v[136:137]
	v_add_f64_e32 v[6:7], v[10:11], v[8:9]
	v_add_f64_e32 v[8:9], v[124:125], v[128:129]
	v_fmac_f64_e32 v[126:127], v[14:15], v[140:141]
	v_fma_f64 v[10:11], v[12:13], v[140:141], -v[130:131]
	s_delay_alu instid0(VALU_DEP_4) | instskip(NEXT) | instid1(VALU_DEP_4)
	v_add_f64_e32 v[4:5], v[6:7], v[4:5]
	v_add_f64_e32 v[2:3], v[8:9], v[2:3]
	s_delay_alu instid0(VALU_DEP_2) | instskip(NEXT) | instid1(VALU_DEP_2)
	v_add_f64_e32 v[4:5], v[4:5], v[10:11]
	v_add_f64_e32 v[6:7], v[2:3], v[126:127]
	s_delay_alu instid0(VALU_DEP_2) | instskip(NEXT) | instid1(VALU_DEP_2)
	v_add_f64_e64 v[2:3], v[164:165], -v[4:5]
	v_add_f64_e64 v[4:5], v[166:167], -v[6:7]
	scratch_store_b128 off, v[2:5], off offset:256
	s_wait_xcnt 0x0
	v_cmpx_lt_u32_e32 15, v1
	s_cbranch_execz .LBB116_301
; %bb.300:
	scratch_load_b128 v[2:5], off, s54
	v_mov_b32_e32 v6, 0
	s_delay_alu instid0(VALU_DEP_1)
	v_dual_mov_b32 v7, v6 :: v_dual_mov_b32 v8, v6
	v_mov_b32_e32 v9, v6
	scratch_store_b128 off, v[6:9], off offset:240
	s_wait_loadcnt 0x0
	ds_store_b128 v122, v[2:5]
.LBB116_301:
	s_wait_xcnt 0x0
	s_or_b32 exec_lo, exec_lo, s2
	s_wait_storecnt_dscnt 0x0
	s_barrier_signal -1
	s_barrier_wait -1
	s_clause 0x9
	scratch_load_b128 v[4:7], off, off offset:256
	scratch_load_b128 v[8:11], off, off offset:272
	;; [unrolled: 1-line block ×10, first 2 shown]
	v_mov_b32_e32 v2, 0
	s_mov_b32 s2, exec_lo
	ds_load_b128 v[152:155], v2 offset:1104
	s_clause 0x2
	scratch_load_b128 v[156:159], off, off offset:416
	scratch_load_b128 v[160:163], off, off offset:240
	;; [unrolled: 1-line block ×3, first 2 shown]
	s_wait_loadcnt_dscnt 0xc00
	v_mul_f64_e32 v[172:173], v[154:155], v[6:7]
	v_mul_f64_e32 v[176:177], v[152:153], v[6:7]
	ds_load_b128 v[164:167], v2 offset:1120
	v_fma_f64 v[180:181], v[152:153], v[4:5], -v[172:173]
	v_fmac_f64_e32 v[176:177], v[154:155], v[4:5]
	ds_load_b128 v[4:7], v2 offset:1136
	s_wait_loadcnt_dscnt 0xb01
	v_mul_f64_e32 v[178:179], v[164:165], v[10:11]
	v_mul_f64_e32 v[10:11], v[166:167], v[10:11]
	scratch_load_b128 v[152:155], off, off offset:448
	ds_load_b128 v[172:175], v2 offset:1152
	s_wait_loadcnt_dscnt 0xb01
	v_mul_f64_e32 v[182:183], v[4:5], v[14:15]
	v_mul_f64_e32 v[14:15], v[6:7], v[14:15]
	v_add_f64_e32 v[176:177], 0, v[176:177]
	v_fmac_f64_e32 v[178:179], v[166:167], v[8:9]
	v_fma_f64 v[164:165], v[164:165], v[8:9], -v[10:11]
	v_add_f64_e32 v[166:167], 0, v[180:181]
	scratch_load_b128 v[8:11], off, off offset:464
	v_fmac_f64_e32 v[182:183], v[6:7], v[12:13]
	v_fma_f64 v[184:185], v[4:5], v[12:13], -v[14:15]
	ds_load_b128 v[4:7], v2 offset:1168
	s_wait_loadcnt_dscnt 0xb01
	v_mul_f64_e32 v[180:181], v[172:173], v[126:127]
	v_mul_f64_e32 v[126:127], v[174:175], v[126:127]
	scratch_load_b128 v[12:15], off, off offset:480
	v_add_f64_e32 v[176:177], v[176:177], v[178:179]
	v_add_f64_e32 v[186:187], v[166:167], v[164:165]
	ds_load_b128 v[164:167], v2 offset:1184
	s_wait_loadcnt_dscnt 0xb01
	v_mul_f64_e32 v[178:179], v[4:5], v[130:131]
	v_mul_f64_e32 v[130:131], v[6:7], v[130:131]
	v_fmac_f64_e32 v[180:181], v[174:175], v[124:125]
	v_fma_f64 v[172:173], v[172:173], v[124:125], -v[126:127]
	scratch_load_b128 v[124:127], off, off offset:496
	v_add_f64_e32 v[176:177], v[176:177], v[182:183]
	v_add_f64_e32 v[174:175], v[186:187], v[184:185]
	v_fmac_f64_e32 v[178:179], v[6:7], v[128:129]
	v_fma_f64 v[184:185], v[4:5], v[128:129], -v[130:131]
	ds_load_b128 v[4:7], v2 offset:1200
	s_wait_loadcnt_dscnt 0xb01
	v_mul_f64_e32 v[182:183], v[164:165], v[134:135]
	v_mul_f64_e32 v[134:135], v[166:167], v[134:135]
	scratch_load_b128 v[128:131], off, off offset:512
	v_add_f64_e32 v[176:177], v[176:177], v[180:181]
	s_wait_loadcnt_dscnt 0xb00
	v_mul_f64_e32 v[180:181], v[4:5], v[138:139]
	v_add_f64_e32 v[186:187], v[174:175], v[172:173]
	v_mul_f64_e32 v[138:139], v[6:7], v[138:139]
	ds_load_b128 v[172:175], v2 offset:1216
	v_fmac_f64_e32 v[182:183], v[166:167], v[132:133]
	v_fma_f64 v[164:165], v[164:165], v[132:133], -v[134:135]
	scratch_load_b128 v[132:135], off, off offset:528
	v_add_f64_e32 v[176:177], v[176:177], v[178:179]
	v_fmac_f64_e32 v[180:181], v[6:7], v[136:137]
	v_add_f64_e32 v[166:167], v[186:187], v[184:185]
	v_fma_f64 v[184:185], v[4:5], v[136:137], -v[138:139]
	ds_load_b128 v[4:7], v2 offset:1232
	s_wait_loadcnt_dscnt 0xb01
	v_mul_f64_e32 v[178:179], v[172:173], v[142:143]
	v_mul_f64_e32 v[142:143], v[174:175], v[142:143]
	scratch_load_b128 v[136:139], off, off offset:544
	v_add_f64_e32 v[176:177], v[176:177], v[182:183]
	s_wait_loadcnt_dscnt 0xb00
	v_mul_f64_e32 v[182:183], v[4:5], v[146:147]
	v_add_f64_e32 v[186:187], v[166:167], v[164:165]
	v_mul_f64_e32 v[146:147], v[6:7], v[146:147]
	ds_load_b128 v[164:167], v2 offset:1248
	v_fmac_f64_e32 v[178:179], v[174:175], v[140:141]
	v_fma_f64 v[172:173], v[172:173], v[140:141], -v[142:143]
	scratch_load_b128 v[140:143], off, off offset:560
	v_add_f64_e32 v[176:177], v[176:177], v[180:181]
	v_fmac_f64_e32 v[182:183], v[6:7], v[144:145]
	v_add_f64_e32 v[174:175], v[186:187], v[184:185]
	;; [unrolled: 18-line block ×3, first 2 shown]
	v_fma_f64 v[184:185], v[4:5], v[156:157], -v[158:159]
	ds_load_b128 v[4:7], v2 offset:1296
	s_wait_loadcnt_dscnt 0xa01
	v_mul_f64_e32 v[182:183], v[172:173], v[170:171]
	v_mul_f64_e32 v[170:171], v[174:175], v[170:171]
	scratch_load_b128 v[156:159], off, off offset:608
	v_add_f64_e32 v[176:177], v[176:177], v[180:181]
	v_add_f64_e32 v[186:187], v[166:167], v[164:165]
	s_wait_loadcnt_dscnt 0xa00
	v_mul_f64_e32 v[180:181], v[4:5], v[154:155]
	v_mul_f64_e32 v[154:155], v[6:7], v[154:155]
	v_fmac_f64_e32 v[182:183], v[174:175], v[168:169]
	v_fma_f64 v[172:173], v[172:173], v[168:169], -v[170:171]
	ds_load_b128 v[164:167], v2 offset:1312
	scratch_load_b128 v[168:171], off, off offset:624
	v_add_f64_e32 v[176:177], v[176:177], v[178:179]
	v_add_f64_e32 v[174:175], v[186:187], v[184:185]
	v_fmac_f64_e32 v[180:181], v[6:7], v[152:153]
	v_fma_f64 v[184:185], v[4:5], v[152:153], -v[154:155]
	ds_load_b128 v[4:7], v2 offset:1328
	s_wait_loadcnt_dscnt 0xa01
	v_mul_f64_e32 v[178:179], v[164:165], v[10:11]
	v_mul_f64_e32 v[10:11], v[166:167], v[10:11]
	scratch_load_b128 v[152:155], off, off offset:640
	v_add_f64_e32 v[176:177], v[176:177], v[182:183]
	s_wait_loadcnt_dscnt 0xa00
	v_mul_f64_e32 v[182:183], v[4:5], v[14:15]
	v_add_f64_e32 v[186:187], v[174:175], v[172:173]
	v_mul_f64_e32 v[14:15], v[6:7], v[14:15]
	ds_load_b128 v[172:175], v2 offset:1344
	v_fmac_f64_e32 v[178:179], v[166:167], v[8:9]
	v_fma_f64 v[164:165], v[164:165], v[8:9], -v[10:11]
	scratch_load_b128 v[8:11], off, off offset:656
	v_add_f64_e32 v[176:177], v[176:177], v[180:181]
	v_fmac_f64_e32 v[182:183], v[6:7], v[12:13]
	v_add_f64_e32 v[166:167], v[186:187], v[184:185]
	v_fma_f64 v[184:185], v[4:5], v[12:13], -v[14:15]
	ds_load_b128 v[4:7], v2 offset:1360
	s_wait_loadcnt_dscnt 0xa01
	v_mul_f64_e32 v[180:181], v[172:173], v[126:127]
	v_mul_f64_e32 v[126:127], v[174:175], v[126:127]
	scratch_load_b128 v[12:15], off, off offset:672
	v_add_f64_e32 v[176:177], v[176:177], v[178:179]
	s_wait_loadcnt_dscnt 0xa00
	v_mul_f64_e32 v[178:179], v[4:5], v[130:131]
	v_add_f64_e32 v[186:187], v[166:167], v[164:165]
	v_mul_f64_e32 v[130:131], v[6:7], v[130:131]
	ds_load_b128 v[164:167], v2 offset:1376
	v_fmac_f64_e32 v[180:181], v[174:175], v[124:125]
	v_fma_f64 v[172:173], v[172:173], v[124:125], -v[126:127]
	scratch_load_b128 v[124:127], off, off offset:688
	v_add_f64_e32 v[176:177], v[176:177], v[182:183]
	v_fmac_f64_e32 v[178:179], v[6:7], v[128:129]
	v_add_f64_e32 v[174:175], v[186:187], v[184:185]
	;; [unrolled: 18-line block ×6, first 2 shown]
	v_fma_f64 v[184:185], v[4:5], v[152:153], -v[154:155]
	ds_load_b128 v[4:7], v2 offset:1520
	s_wait_loadcnt_dscnt 0xa01
	v_mul_f64_e32 v[178:179], v[164:165], v[10:11]
	v_mul_f64_e32 v[10:11], v[166:167], v[10:11]
	scratch_load_b128 v[152:155], off, off offset:832
	v_add_f64_e32 v[176:177], v[176:177], v[182:183]
	s_wait_loadcnt_dscnt 0xa00
	v_mul_f64_e32 v[182:183], v[4:5], v[14:15]
	v_add_f64_e32 v[186:187], v[174:175], v[172:173]
	v_mul_f64_e32 v[14:15], v[6:7], v[14:15]
	ds_load_b128 v[172:175], v2 offset:1536
	v_fmac_f64_e32 v[178:179], v[166:167], v[8:9]
	v_fma_f64 v[8:9], v[164:165], v[8:9], -v[10:11]
	s_wait_loadcnt_dscnt 0x900
	v_mul_f64_e32 v[166:167], v[172:173], v[126:127]
	v_mul_f64_e32 v[126:127], v[174:175], v[126:127]
	v_add_f64_e32 v[164:165], v[176:177], v[180:181]
	v_fmac_f64_e32 v[182:183], v[6:7], v[12:13]
	v_add_f64_e32 v[10:11], v[186:187], v[184:185]
	v_fma_f64 v[12:13], v[4:5], v[12:13], -v[14:15]
	v_fmac_f64_e32 v[166:167], v[174:175], v[124:125]
	v_fma_f64 v[124:125], v[172:173], v[124:125], -v[126:127]
	v_add_f64_e32 v[164:165], v[164:165], v[178:179]
	v_add_f64_e32 v[14:15], v[10:11], v[8:9]
	ds_load_b128 v[4:7], v2 offset:1552
	ds_load_b128 v[8:11], v2 offset:1568
	s_wait_loadcnt_dscnt 0x801
	v_mul_f64_e32 v[176:177], v[4:5], v[130:131]
	v_mul_f64_e32 v[130:131], v[6:7], v[130:131]
	s_wait_loadcnt_dscnt 0x700
	v_mul_f64_e32 v[126:127], v[8:9], v[134:135]
	v_mul_f64_e32 v[134:135], v[10:11], v[134:135]
	v_add_f64_e32 v[12:13], v[14:15], v[12:13]
	v_add_f64_e32 v[14:15], v[164:165], v[182:183]
	v_fmac_f64_e32 v[176:177], v[6:7], v[128:129]
	v_fma_f64 v[128:129], v[4:5], v[128:129], -v[130:131]
	v_fmac_f64_e32 v[126:127], v[10:11], v[132:133]
	v_fma_f64 v[8:9], v[8:9], v[132:133], -v[134:135]
	v_add_f64_e32 v[124:125], v[12:13], v[124:125]
	v_add_f64_e32 v[130:131], v[14:15], v[166:167]
	ds_load_b128 v[4:7], v2 offset:1584
	ds_load_b128 v[12:15], v2 offset:1600
	s_wait_loadcnt_dscnt 0x601
	v_mul_f64_e32 v[164:165], v[4:5], v[138:139]
	v_mul_f64_e32 v[138:139], v[6:7], v[138:139]
	v_add_f64_e32 v[10:11], v[124:125], v[128:129]
	v_add_f64_e32 v[124:125], v[130:131], v[176:177]
	s_wait_loadcnt_dscnt 0x500
	v_mul_f64_e32 v[128:129], v[12:13], v[142:143]
	v_mul_f64_e32 v[130:131], v[14:15], v[142:143]
	v_fmac_f64_e32 v[164:165], v[6:7], v[136:137]
	v_fma_f64 v[132:133], v[4:5], v[136:137], -v[138:139]
	v_add_f64_e32 v[134:135], v[10:11], v[8:9]
	v_add_f64_e32 v[124:125], v[124:125], v[126:127]
	ds_load_b128 v[4:7], v2 offset:1616
	ds_load_b128 v[8:11], v2 offset:1632
	v_fmac_f64_e32 v[128:129], v[14:15], v[140:141]
	v_fma_f64 v[12:13], v[12:13], v[140:141], -v[130:131]
	s_wait_loadcnt_dscnt 0x401
	v_mul_f64_e32 v[126:127], v[4:5], v[146:147]
	v_mul_f64_e32 v[136:137], v[6:7], v[146:147]
	s_wait_loadcnt_dscnt 0x300
	v_mul_f64_e32 v[130:131], v[8:9], v[150:151]
	v_add_f64_e32 v[14:15], v[134:135], v[132:133]
	v_add_f64_e32 v[124:125], v[124:125], v[164:165]
	v_mul_f64_e32 v[132:133], v[10:11], v[150:151]
	v_fmac_f64_e32 v[126:127], v[6:7], v[144:145]
	v_fma_f64 v[134:135], v[4:5], v[144:145], -v[136:137]
	v_fmac_f64_e32 v[130:131], v[10:11], v[148:149]
	v_add_f64_e32 v[136:137], v[14:15], v[12:13]
	v_add_f64_e32 v[124:125], v[124:125], v[128:129]
	ds_load_b128 v[4:7], v2 offset:1648
	ds_load_b128 v[12:15], v2 offset:1664
	v_fma_f64 v[8:9], v[8:9], v[148:149], -v[132:133]
	s_wait_loadcnt_dscnt 0x201
	v_mul_f64_e32 v[128:129], v[4:5], v[158:159]
	v_mul_f64_e32 v[138:139], v[6:7], v[158:159]
	s_wait_loadcnt_dscnt 0x100
	v_mul_f64_e32 v[132:133], v[14:15], v[170:171]
	v_add_f64_e32 v[10:11], v[136:137], v[134:135]
	v_add_f64_e32 v[124:125], v[124:125], v[126:127]
	v_mul_f64_e32 v[126:127], v[12:13], v[170:171]
	v_fmac_f64_e32 v[128:129], v[6:7], v[156:157]
	v_fma_f64 v[134:135], v[4:5], v[156:157], -v[138:139]
	ds_load_b128 v[4:7], v2 offset:1680
	v_fma_f64 v[12:13], v[12:13], v[168:169], -v[132:133]
	v_add_f64_e32 v[8:9], v[10:11], v[8:9]
	v_add_f64_e32 v[10:11], v[124:125], v[130:131]
	v_fmac_f64_e32 v[126:127], v[14:15], v[168:169]
	s_wait_loadcnt_dscnt 0x0
	v_mul_f64_e32 v[124:125], v[4:5], v[154:155]
	v_mul_f64_e32 v[130:131], v[6:7], v[154:155]
	v_add_f64_e32 v[8:9], v[8:9], v[134:135]
	v_add_f64_e32 v[10:11], v[10:11], v[128:129]
	s_delay_alu instid0(VALU_DEP_4) | instskip(NEXT) | instid1(VALU_DEP_4)
	v_fmac_f64_e32 v[124:125], v[6:7], v[152:153]
	v_fma_f64 v[4:5], v[4:5], v[152:153], -v[130:131]
	s_delay_alu instid0(VALU_DEP_4) | instskip(NEXT) | instid1(VALU_DEP_4)
	v_add_f64_e32 v[6:7], v[8:9], v[12:13]
	v_add_f64_e32 v[8:9], v[10:11], v[126:127]
	s_delay_alu instid0(VALU_DEP_2) | instskip(NEXT) | instid1(VALU_DEP_2)
	v_add_f64_e32 v[4:5], v[6:7], v[4:5]
	v_add_f64_e32 v[6:7], v[8:9], v[124:125]
	s_delay_alu instid0(VALU_DEP_2) | instskip(NEXT) | instid1(VALU_DEP_2)
	v_add_f64_e64 v[4:5], v[160:161], -v[4:5]
	v_add_f64_e64 v[6:7], v[162:163], -v[6:7]
	scratch_store_b128 off, v[4:7], off offset:240
	s_wait_xcnt 0x0
	v_cmpx_lt_u32_e32 14, v1
	s_cbranch_execz .LBB116_303
; %bb.302:
	scratch_load_b128 v[6:9], off, s55
	v_dual_mov_b32 v3, v2 :: v_dual_mov_b32 v4, v2
	v_mov_b32_e32 v5, v2
	scratch_store_b128 off, v[2:5], off offset:224
	s_wait_loadcnt 0x0
	ds_store_b128 v122, v[6:9]
.LBB116_303:
	s_wait_xcnt 0x0
	s_or_b32 exec_lo, exec_lo, s2
	s_wait_storecnt_dscnt 0x0
	s_barrier_signal -1
	s_barrier_wait -1
	s_clause 0x9
	scratch_load_b128 v[4:7], off, off offset:240
	scratch_load_b128 v[8:11], off, off offset:256
	;; [unrolled: 1-line block ×10, first 2 shown]
	ds_load_b128 v[152:155], v2 offset:1088
	ds_load_b128 v[160:163], v2 offset:1104
	s_clause 0x2
	scratch_load_b128 v[156:159], off, off offset:400
	scratch_load_b128 v[164:167], off, off offset:224
	;; [unrolled: 1-line block ×3, first 2 shown]
	s_mov_b32 s2, exec_lo
	s_wait_loadcnt_dscnt 0xc01
	v_mul_f64_e32 v[172:173], v[154:155], v[6:7]
	v_mul_f64_e32 v[176:177], v[152:153], v[6:7]
	s_wait_loadcnt_dscnt 0xb00
	v_mul_f64_e32 v[178:179], v[160:161], v[10:11]
	v_mul_f64_e32 v[10:11], v[162:163], v[10:11]
	s_delay_alu instid0(VALU_DEP_4) | instskip(NEXT) | instid1(VALU_DEP_4)
	v_fma_f64 v[180:181], v[152:153], v[4:5], -v[172:173]
	v_fmac_f64_e32 v[176:177], v[154:155], v[4:5]
	ds_load_b128 v[4:7], v2 offset:1120
	ds_load_b128 v[152:155], v2 offset:1136
	scratch_load_b128 v[172:175], off, off offset:432
	v_fmac_f64_e32 v[178:179], v[162:163], v[8:9]
	v_fma_f64 v[160:161], v[160:161], v[8:9], -v[10:11]
	scratch_load_b128 v[8:11], off, off offset:448
	s_wait_loadcnt_dscnt 0xc01
	v_mul_f64_e32 v[182:183], v[4:5], v[14:15]
	v_mul_f64_e32 v[14:15], v[6:7], v[14:15]
	v_add_f64_e32 v[162:163], 0, v[180:181]
	v_add_f64_e32 v[176:177], 0, v[176:177]
	s_wait_loadcnt_dscnt 0xb00
	v_mul_f64_e32 v[180:181], v[152:153], v[126:127]
	v_mul_f64_e32 v[126:127], v[154:155], v[126:127]
	v_fmac_f64_e32 v[182:183], v[6:7], v[12:13]
	v_fma_f64 v[184:185], v[4:5], v[12:13], -v[14:15]
	ds_load_b128 v[4:7], v2 offset:1152
	ds_load_b128 v[12:15], v2 offset:1168
	v_add_f64_e32 v[186:187], v[162:163], v[160:161]
	v_add_f64_e32 v[176:177], v[176:177], v[178:179]
	scratch_load_b128 v[160:163], off, off offset:464
	v_fmac_f64_e32 v[180:181], v[154:155], v[124:125]
	v_fma_f64 v[152:153], v[152:153], v[124:125], -v[126:127]
	scratch_load_b128 v[124:127], off, off offset:480
	s_wait_loadcnt_dscnt 0xc01
	v_mul_f64_e32 v[178:179], v[4:5], v[130:131]
	v_mul_f64_e32 v[130:131], v[6:7], v[130:131]
	v_add_f64_e32 v[154:155], v[186:187], v[184:185]
	v_add_f64_e32 v[176:177], v[176:177], v[182:183]
	s_wait_loadcnt_dscnt 0xb00
	v_mul_f64_e32 v[182:183], v[12:13], v[134:135]
	v_mul_f64_e32 v[134:135], v[14:15], v[134:135]
	v_fmac_f64_e32 v[178:179], v[6:7], v[128:129]
	v_fma_f64 v[184:185], v[4:5], v[128:129], -v[130:131]
	ds_load_b128 v[4:7], v2 offset:1184
	ds_load_b128 v[128:131], v2 offset:1200
	v_add_f64_e32 v[186:187], v[154:155], v[152:153]
	v_add_f64_e32 v[176:177], v[176:177], v[180:181]
	scratch_load_b128 v[152:155], off, off offset:496
	s_wait_loadcnt_dscnt 0xb01
	v_mul_f64_e32 v[180:181], v[4:5], v[138:139]
	v_mul_f64_e32 v[138:139], v[6:7], v[138:139]
	v_fmac_f64_e32 v[182:183], v[14:15], v[132:133]
	v_fma_f64 v[132:133], v[12:13], v[132:133], -v[134:135]
	scratch_load_b128 v[12:15], off, off offset:512
	v_add_f64_e32 v[134:135], v[186:187], v[184:185]
	v_add_f64_e32 v[176:177], v[176:177], v[178:179]
	s_wait_loadcnt_dscnt 0xb00
	v_mul_f64_e32 v[178:179], v[128:129], v[142:143]
	v_mul_f64_e32 v[142:143], v[130:131], v[142:143]
	v_fmac_f64_e32 v[180:181], v[6:7], v[136:137]
	v_fma_f64 v[184:185], v[4:5], v[136:137], -v[138:139]
	v_add_f64_e32 v[186:187], v[134:135], v[132:133]
	v_add_f64_e32 v[176:177], v[176:177], v[182:183]
	ds_load_b128 v[4:7], v2 offset:1216
	ds_load_b128 v[132:135], v2 offset:1232
	scratch_load_b128 v[136:139], off, off offset:528
	v_fmac_f64_e32 v[178:179], v[130:131], v[140:141]
	v_fma_f64 v[140:141], v[128:129], v[140:141], -v[142:143]
	scratch_load_b128 v[128:131], off, off offset:544
	s_wait_loadcnt_dscnt 0xc01
	v_mul_f64_e32 v[182:183], v[4:5], v[146:147]
	v_mul_f64_e32 v[146:147], v[6:7], v[146:147]
	v_add_f64_e32 v[142:143], v[186:187], v[184:185]
	v_add_f64_e32 v[176:177], v[176:177], v[180:181]
	s_wait_loadcnt_dscnt 0xb00
	v_mul_f64_e32 v[180:181], v[132:133], v[150:151]
	v_mul_f64_e32 v[150:151], v[134:135], v[150:151]
	v_fmac_f64_e32 v[182:183], v[6:7], v[144:145]
	v_fma_f64 v[184:185], v[4:5], v[144:145], -v[146:147]
	v_add_f64_e32 v[186:187], v[142:143], v[140:141]
	v_add_f64_e32 v[176:177], v[176:177], v[178:179]
	ds_load_b128 v[4:7], v2 offset:1248
	ds_load_b128 v[140:143], v2 offset:1264
	scratch_load_b128 v[144:147], off, off offset:560
	v_fmac_f64_e32 v[180:181], v[134:135], v[148:149]
	v_fma_f64 v[148:149], v[132:133], v[148:149], -v[150:151]
	scratch_load_b128 v[132:135], off, off offset:576
	s_wait_loadcnt_dscnt 0xc01
	v_mul_f64_e32 v[178:179], v[4:5], v[158:159]
	v_mul_f64_e32 v[158:159], v[6:7], v[158:159]
	;; [unrolled: 18-line block ×5, first 2 shown]
	v_add_f64_e32 v[170:171], v[186:187], v[184:185]
	v_add_f64_e32 v[176:177], v[176:177], v[182:183]
	s_wait_loadcnt_dscnt 0xa00
	v_mul_f64_e32 v[182:183], v[148:149], v[14:15]
	v_mul_f64_e32 v[14:15], v[150:151], v[14:15]
	v_fmac_f64_e32 v[178:179], v[6:7], v[152:153]
	v_fma_f64 v[184:185], v[4:5], v[152:153], -v[154:155]
	ds_load_b128 v[4:7], v2 offset:1376
	ds_load_b128 v[152:155], v2 offset:1392
	v_add_f64_e32 v[186:187], v[170:171], v[168:169]
	v_add_f64_e32 v[176:177], v[176:177], v[180:181]
	scratch_load_b128 v[168:171], off, off offset:688
	v_fmac_f64_e32 v[182:183], v[150:151], v[12:13]
	v_fma_f64 v[148:149], v[148:149], v[12:13], -v[14:15]
	scratch_load_b128 v[12:15], off, off offset:704
	s_wait_loadcnt_dscnt 0xb01
	v_mul_f64_e32 v[180:181], v[4:5], v[138:139]
	v_mul_f64_e32 v[138:139], v[6:7], v[138:139]
	v_add_f64_e32 v[150:151], v[186:187], v[184:185]
	v_add_f64_e32 v[176:177], v[176:177], v[178:179]
	s_wait_loadcnt_dscnt 0xa00
	v_mul_f64_e32 v[178:179], v[152:153], v[130:131]
	v_mul_f64_e32 v[130:131], v[154:155], v[130:131]
	v_fmac_f64_e32 v[180:181], v[6:7], v[136:137]
	v_fma_f64 v[184:185], v[4:5], v[136:137], -v[138:139]
	ds_load_b128 v[4:7], v2 offset:1408
	ds_load_b128 v[136:139], v2 offset:1424
	v_add_f64_e32 v[186:187], v[150:151], v[148:149]
	v_add_f64_e32 v[176:177], v[176:177], v[182:183]
	scratch_load_b128 v[148:151], off, off offset:720
	s_wait_loadcnt_dscnt 0xa01
	v_mul_f64_e32 v[182:183], v[4:5], v[146:147]
	v_mul_f64_e32 v[146:147], v[6:7], v[146:147]
	v_fmac_f64_e32 v[178:179], v[154:155], v[128:129]
	v_fma_f64 v[152:153], v[152:153], v[128:129], -v[130:131]
	scratch_load_b128 v[128:131], off, off offset:736
	v_add_f64_e32 v[154:155], v[186:187], v[184:185]
	v_add_f64_e32 v[176:177], v[176:177], v[180:181]
	s_wait_loadcnt_dscnt 0xa00
	v_mul_f64_e32 v[180:181], v[136:137], v[134:135]
	v_mul_f64_e32 v[134:135], v[138:139], v[134:135]
	v_fmac_f64_e32 v[182:183], v[6:7], v[144:145]
	v_fma_f64 v[184:185], v[4:5], v[144:145], -v[146:147]
	ds_load_b128 v[4:7], v2 offset:1440
	ds_load_b128 v[144:147], v2 offset:1456
	v_add_f64_e32 v[186:187], v[154:155], v[152:153]
	v_add_f64_e32 v[176:177], v[176:177], v[178:179]
	scratch_load_b128 v[152:155], off, off offset:752
	s_wait_loadcnt_dscnt 0xa01
	v_mul_f64_e32 v[178:179], v[4:5], v[158:159]
	v_mul_f64_e32 v[158:159], v[6:7], v[158:159]
	v_fmac_f64_e32 v[180:181], v[138:139], v[132:133]
	v_fma_f64 v[136:137], v[136:137], v[132:133], -v[134:135]
	scratch_load_b128 v[132:135], off, off offset:768
	v_add_f64_e32 v[138:139], v[186:187], v[184:185]
	v_add_f64_e32 v[176:177], v[176:177], v[182:183]
	s_wait_loadcnt_dscnt 0xa00
	v_mul_f64_e32 v[182:183], v[144:145], v[142:143]
	v_mul_f64_e32 v[142:143], v[146:147], v[142:143]
	v_fmac_f64_e32 v[178:179], v[6:7], v[156:157]
	v_fma_f64 v[184:185], v[4:5], v[156:157], -v[158:159]
	v_add_f64_e32 v[186:187], v[138:139], v[136:137]
	v_add_f64_e32 v[176:177], v[176:177], v[180:181]
	ds_load_b128 v[4:7], v2 offset:1472
	ds_load_b128 v[136:139], v2 offset:1488
	scratch_load_b128 v[156:159], off, off offset:784
	v_fmac_f64_e32 v[182:183], v[146:147], v[140:141]
	v_fma_f64 v[144:145], v[144:145], v[140:141], -v[142:143]
	scratch_load_b128 v[140:143], off, off offset:800
	s_wait_loadcnt_dscnt 0xb01
	v_mul_f64_e32 v[180:181], v[4:5], v[174:175]
	v_mul_f64_e32 v[174:175], v[6:7], v[174:175]
	v_add_f64_e32 v[146:147], v[186:187], v[184:185]
	v_add_f64_e32 v[176:177], v[176:177], v[178:179]
	s_wait_loadcnt_dscnt 0xa00
	v_mul_f64_e32 v[178:179], v[136:137], v[10:11]
	v_mul_f64_e32 v[10:11], v[138:139], v[10:11]
	v_fmac_f64_e32 v[180:181], v[6:7], v[172:173]
	v_fma_f64 v[184:185], v[4:5], v[172:173], -v[174:175]
	v_add_f64_e32 v[186:187], v[146:147], v[144:145]
	v_add_f64_e32 v[176:177], v[176:177], v[182:183]
	ds_load_b128 v[4:7], v2 offset:1504
	ds_load_b128 v[144:147], v2 offset:1520
	scratch_load_b128 v[172:175], off, off offset:816
	v_fmac_f64_e32 v[178:179], v[138:139], v[8:9]
	v_fma_f64 v[136:137], v[136:137], v[8:9], -v[10:11]
	scratch_load_b128 v[8:11], off, off offset:832
	s_wait_loadcnt_dscnt 0xb01
	v_mul_f64_e32 v[182:183], v[4:5], v[162:163]
	v_mul_f64_e32 v[162:163], v[6:7], v[162:163]
	v_add_f64_e32 v[138:139], v[186:187], v[184:185]
	v_add_f64_e32 v[176:177], v[176:177], v[180:181]
	s_wait_loadcnt_dscnt 0xa00
	v_mul_f64_e32 v[180:181], v[144:145], v[126:127]
	v_mul_f64_e32 v[126:127], v[146:147], v[126:127]
	v_fmac_f64_e32 v[182:183], v[6:7], v[160:161]
	v_fma_f64 v[160:161], v[4:5], v[160:161], -v[162:163]
	v_add_f64_e32 v[162:163], v[138:139], v[136:137]
	v_add_f64_e32 v[176:177], v[176:177], v[178:179]
	ds_load_b128 v[4:7], v2 offset:1536
	ds_load_b128 v[136:139], v2 offset:1552
	v_fmac_f64_e32 v[180:181], v[146:147], v[124:125]
	v_fma_f64 v[124:125], v[144:145], v[124:125], -v[126:127]
	s_wait_loadcnt_dscnt 0x901
	v_mul_f64_e32 v[178:179], v[4:5], v[170:171]
	v_mul_f64_e32 v[170:171], v[6:7], v[170:171]
	s_wait_loadcnt_dscnt 0x800
	v_mul_f64_e32 v[146:147], v[136:137], v[14:15]
	v_mul_f64_e32 v[14:15], v[138:139], v[14:15]
	v_add_f64_e32 v[126:127], v[162:163], v[160:161]
	v_add_f64_e32 v[144:145], v[176:177], v[182:183]
	v_fmac_f64_e32 v[178:179], v[6:7], v[168:169]
	v_fma_f64 v[160:161], v[4:5], v[168:169], -v[170:171]
	v_fmac_f64_e32 v[146:147], v[138:139], v[12:13]
	v_fma_f64 v[12:13], v[136:137], v[12:13], -v[14:15]
	v_add_f64_e32 v[162:163], v[126:127], v[124:125]
	v_add_f64_e32 v[144:145], v[144:145], v[180:181]
	ds_load_b128 v[4:7], v2 offset:1568
	ds_load_b128 v[124:127], v2 offset:1584
	s_wait_loadcnt_dscnt 0x701
	v_mul_f64_e32 v[168:169], v[4:5], v[150:151]
	v_mul_f64_e32 v[150:151], v[6:7], v[150:151]
	s_wait_loadcnt_dscnt 0x600
	v_mul_f64_e32 v[138:139], v[124:125], v[130:131]
	v_mul_f64_e32 v[130:131], v[126:127], v[130:131]
	v_add_f64_e32 v[14:15], v[162:163], v[160:161]
	v_add_f64_e32 v[136:137], v[144:145], v[178:179]
	v_fmac_f64_e32 v[168:169], v[6:7], v[148:149]
	v_fma_f64 v[144:145], v[4:5], v[148:149], -v[150:151]
	v_fmac_f64_e32 v[138:139], v[126:127], v[128:129]
	v_fma_f64 v[124:125], v[124:125], v[128:129], -v[130:131]
	v_add_f64_e32 v[148:149], v[14:15], v[12:13]
	v_add_f64_e32 v[136:137], v[136:137], v[146:147]
	ds_load_b128 v[4:7], v2 offset:1600
	ds_load_b128 v[12:15], v2 offset:1616
	;; [unrolled: 16-line block ×4, first 2 shown]
	s_wait_loadcnt_dscnt 0x101
	v_mul_f64_e32 v[2:3], v[4:5], v[174:175]
	v_mul_f64_e32 v[130:131], v[6:7], v[174:175]
	s_wait_loadcnt_dscnt 0x0
	v_mul_f64_e32 v[134:135], v[12:13], v[10:11]
	v_mul_f64_e32 v[10:11], v[14:15], v[10:11]
	v_add_f64_e32 v[126:127], v[142:143], v[136:137]
	v_add_f64_e32 v[128:129], v[128:129], v[138:139]
	v_fmac_f64_e32 v[2:3], v[6:7], v[172:173]
	v_fma_f64 v[4:5], v[4:5], v[172:173], -v[130:131]
	v_fmac_f64_e32 v[134:135], v[14:15], v[8:9]
	v_fma_f64 v[8:9], v[12:13], v[8:9], -v[10:11]
	v_add_f64_e32 v[6:7], v[126:127], v[124:125]
	v_add_f64_e32 v[124:125], v[128:129], v[132:133]
	s_delay_alu instid0(VALU_DEP_2) | instskip(NEXT) | instid1(VALU_DEP_2)
	v_add_f64_e32 v[4:5], v[6:7], v[4:5]
	v_add_f64_e32 v[2:3], v[124:125], v[2:3]
	s_delay_alu instid0(VALU_DEP_2) | instskip(NEXT) | instid1(VALU_DEP_2)
	;; [unrolled: 3-line block ×3, first 2 shown]
	v_add_f64_e64 v[2:3], v[164:165], -v[4:5]
	v_add_f64_e64 v[4:5], v[166:167], -v[6:7]
	scratch_store_b128 off, v[2:5], off offset:224
	s_wait_xcnt 0x0
	v_cmpx_lt_u32_e32 13, v1
	s_cbranch_execz .LBB116_305
; %bb.304:
	scratch_load_b128 v[2:5], off, s56
	v_mov_b32_e32 v6, 0
	s_delay_alu instid0(VALU_DEP_1)
	v_dual_mov_b32 v7, v6 :: v_dual_mov_b32 v8, v6
	v_mov_b32_e32 v9, v6
	scratch_store_b128 off, v[6:9], off offset:208
	s_wait_loadcnt 0x0
	ds_store_b128 v122, v[2:5]
.LBB116_305:
	s_wait_xcnt 0x0
	s_or_b32 exec_lo, exec_lo, s2
	s_wait_storecnt_dscnt 0x0
	s_barrier_signal -1
	s_barrier_wait -1
	s_clause 0x9
	scratch_load_b128 v[4:7], off, off offset:224
	scratch_load_b128 v[8:11], off, off offset:240
	;; [unrolled: 1-line block ×10, first 2 shown]
	v_mov_b32_e32 v2, 0
	s_mov_b32 s2, exec_lo
	ds_load_b128 v[152:155], v2 offset:1072
	s_clause 0x2
	scratch_load_b128 v[156:159], off, off offset:384
	scratch_load_b128 v[160:163], off, off offset:208
	;; [unrolled: 1-line block ×3, first 2 shown]
	s_wait_loadcnt_dscnt 0xc00
	v_mul_f64_e32 v[172:173], v[154:155], v[6:7]
	v_mul_f64_e32 v[176:177], v[152:153], v[6:7]
	ds_load_b128 v[164:167], v2 offset:1088
	v_fma_f64 v[180:181], v[152:153], v[4:5], -v[172:173]
	v_fmac_f64_e32 v[176:177], v[154:155], v[4:5]
	ds_load_b128 v[4:7], v2 offset:1104
	s_wait_loadcnt_dscnt 0xb01
	v_mul_f64_e32 v[178:179], v[164:165], v[10:11]
	v_mul_f64_e32 v[10:11], v[166:167], v[10:11]
	scratch_load_b128 v[152:155], off, off offset:416
	ds_load_b128 v[172:175], v2 offset:1120
	s_wait_loadcnt_dscnt 0xb01
	v_mul_f64_e32 v[182:183], v[4:5], v[14:15]
	v_mul_f64_e32 v[14:15], v[6:7], v[14:15]
	v_add_f64_e32 v[176:177], 0, v[176:177]
	v_fmac_f64_e32 v[178:179], v[166:167], v[8:9]
	v_fma_f64 v[164:165], v[164:165], v[8:9], -v[10:11]
	v_add_f64_e32 v[166:167], 0, v[180:181]
	scratch_load_b128 v[8:11], off, off offset:432
	v_fmac_f64_e32 v[182:183], v[6:7], v[12:13]
	v_fma_f64 v[184:185], v[4:5], v[12:13], -v[14:15]
	ds_load_b128 v[4:7], v2 offset:1136
	s_wait_loadcnt_dscnt 0xb01
	v_mul_f64_e32 v[180:181], v[172:173], v[126:127]
	v_mul_f64_e32 v[126:127], v[174:175], v[126:127]
	scratch_load_b128 v[12:15], off, off offset:448
	v_add_f64_e32 v[176:177], v[176:177], v[178:179]
	v_add_f64_e32 v[186:187], v[166:167], v[164:165]
	ds_load_b128 v[164:167], v2 offset:1152
	s_wait_loadcnt_dscnt 0xb01
	v_mul_f64_e32 v[178:179], v[4:5], v[130:131]
	v_mul_f64_e32 v[130:131], v[6:7], v[130:131]
	v_fmac_f64_e32 v[180:181], v[174:175], v[124:125]
	v_fma_f64 v[172:173], v[172:173], v[124:125], -v[126:127]
	scratch_load_b128 v[124:127], off, off offset:464
	v_add_f64_e32 v[176:177], v[176:177], v[182:183]
	v_add_f64_e32 v[174:175], v[186:187], v[184:185]
	v_fmac_f64_e32 v[178:179], v[6:7], v[128:129]
	v_fma_f64 v[184:185], v[4:5], v[128:129], -v[130:131]
	ds_load_b128 v[4:7], v2 offset:1168
	s_wait_loadcnt_dscnt 0xb01
	v_mul_f64_e32 v[182:183], v[164:165], v[134:135]
	v_mul_f64_e32 v[134:135], v[166:167], v[134:135]
	scratch_load_b128 v[128:131], off, off offset:480
	v_add_f64_e32 v[176:177], v[176:177], v[180:181]
	s_wait_loadcnt_dscnt 0xb00
	v_mul_f64_e32 v[180:181], v[4:5], v[138:139]
	v_add_f64_e32 v[186:187], v[174:175], v[172:173]
	v_mul_f64_e32 v[138:139], v[6:7], v[138:139]
	ds_load_b128 v[172:175], v2 offset:1184
	v_fmac_f64_e32 v[182:183], v[166:167], v[132:133]
	v_fma_f64 v[164:165], v[164:165], v[132:133], -v[134:135]
	scratch_load_b128 v[132:135], off, off offset:496
	v_add_f64_e32 v[176:177], v[176:177], v[178:179]
	v_fmac_f64_e32 v[180:181], v[6:7], v[136:137]
	v_add_f64_e32 v[166:167], v[186:187], v[184:185]
	v_fma_f64 v[184:185], v[4:5], v[136:137], -v[138:139]
	ds_load_b128 v[4:7], v2 offset:1200
	s_wait_loadcnt_dscnt 0xb01
	v_mul_f64_e32 v[178:179], v[172:173], v[142:143]
	v_mul_f64_e32 v[142:143], v[174:175], v[142:143]
	scratch_load_b128 v[136:139], off, off offset:512
	v_add_f64_e32 v[176:177], v[176:177], v[182:183]
	s_wait_loadcnt_dscnt 0xb00
	v_mul_f64_e32 v[182:183], v[4:5], v[146:147]
	v_add_f64_e32 v[186:187], v[166:167], v[164:165]
	v_mul_f64_e32 v[146:147], v[6:7], v[146:147]
	ds_load_b128 v[164:167], v2 offset:1216
	v_fmac_f64_e32 v[178:179], v[174:175], v[140:141]
	v_fma_f64 v[172:173], v[172:173], v[140:141], -v[142:143]
	scratch_load_b128 v[140:143], off, off offset:528
	v_add_f64_e32 v[176:177], v[176:177], v[180:181]
	v_fmac_f64_e32 v[182:183], v[6:7], v[144:145]
	v_add_f64_e32 v[174:175], v[186:187], v[184:185]
	;; [unrolled: 18-line block ×3, first 2 shown]
	v_fma_f64 v[184:185], v[4:5], v[156:157], -v[158:159]
	ds_load_b128 v[4:7], v2 offset:1264
	s_wait_loadcnt_dscnt 0xa01
	v_mul_f64_e32 v[182:183], v[172:173], v[170:171]
	v_mul_f64_e32 v[170:171], v[174:175], v[170:171]
	scratch_load_b128 v[156:159], off, off offset:576
	v_add_f64_e32 v[176:177], v[176:177], v[180:181]
	v_add_f64_e32 v[186:187], v[166:167], v[164:165]
	s_wait_loadcnt_dscnt 0xa00
	v_mul_f64_e32 v[180:181], v[4:5], v[154:155]
	v_mul_f64_e32 v[154:155], v[6:7], v[154:155]
	v_fmac_f64_e32 v[182:183], v[174:175], v[168:169]
	v_fma_f64 v[172:173], v[172:173], v[168:169], -v[170:171]
	ds_load_b128 v[164:167], v2 offset:1280
	scratch_load_b128 v[168:171], off, off offset:592
	v_add_f64_e32 v[176:177], v[176:177], v[178:179]
	v_add_f64_e32 v[174:175], v[186:187], v[184:185]
	v_fmac_f64_e32 v[180:181], v[6:7], v[152:153]
	v_fma_f64 v[184:185], v[4:5], v[152:153], -v[154:155]
	ds_load_b128 v[4:7], v2 offset:1296
	s_wait_loadcnt_dscnt 0xa01
	v_mul_f64_e32 v[178:179], v[164:165], v[10:11]
	v_mul_f64_e32 v[10:11], v[166:167], v[10:11]
	scratch_load_b128 v[152:155], off, off offset:608
	v_add_f64_e32 v[176:177], v[176:177], v[182:183]
	s_wait_loadcnt_dscnt 0xa00
	v_mul_f64_e32 v[182:183], v[4:5], v[14:15]
	v_add_f64_e32 v[186:187], v[174:175], v[172:173]
	v_mul_f64_e32 v[14:15], v[6:7], v[14:15]
	ds_load_b128 v[172:175], v2 offset:1312
	v_fmac_f64_e32 v[178:179], v[166:167], v[8:9]
	v_fma_f64 v[164:165], v[164:165], v[8:9], -v[10:11]
	scratch_load_b128 v[8:11], off, off offset:624
	v_add_f64_e32 v[176:177], v[176:177], v[180:181]
	v_fmac_f64_e32 v[182:183], v[6:7], v[12:13]
	v_add_f64_e32 v[166:167], v[186:187], v[184:185]
	v_fma_f64 v[184:185], v[4:5], v[12:13], -v[14:15]
	ds_load_b128 v[4:7], v2 offset:1328
	s_wait_loadcnt_dscnt 0xa01
	v_mul_f64_e32 v[180:181], v[172:173], v[126:127]
	v_mul_f64_e32 v[126:127], v[174:175], v[126:127]
	scratch_load_b128 v[12:15], off, off offset:640
	v_add_f64_e32 v[176:177], v[176:177], v[178:179]
	s_wait_loadcnt_dscnt 0xa00
	v_mul_f64_e32 v[178:179], v[4:5], v[130:131]
	v_add_f64_e32 v[186:187], v[166:167], v[164:165]
	v_mul_f64_e32 v[130:131], v[6:7], v[130:131]
	ds_load_b128 v[164:167], v2 offset:1344
	v_fmac_f64_e32 v[180:181], v[174:175], v[124:125]
	v_fma_f64 v[172:173], v[172:173], v[124:125], -v[126:127]
	scratch_load_b128 v[124:127], off, off offset:656
	v_add_f64_e32 v[176:177], v[176:177], v[182:183]
	v_fmac_f64_e32 v[178:179], v[6:7], v[128:129]
	v_add_f64_e32 v[174:175], v[186:187], v[184:185]
	v_fma_f64 v[184:185], v[4:5], v[128:129], -v[130:131]
	ds_load_b128 v[4:7], v2 offset:1360
	s_wait_loadcnt_dscnt 0xa01
	v_mul_f64_e32 v[182:183], v[164:165], v[134:135]
	v_mul_f64_e32 v[134:135], v[166:167], v[134:135]
	scratch_load_b128 v[128:131], off, off offset:672
	v_add_f64_e32 v[176:177], v[176:177], v[180:181]
	s_wait_loadcnt_dscnt 0xa00
	v_mul_f64_e32 v[180:181], v[4:5], v[138:139]
	v_add_f64_e32 v[186:187], v[174:175], v[172:173]
	v_mul_f64_e32 v[138:139], v[6:7], v[138:139]
	ds_load_b128 v[172:175], v2 offset:1376
	v_fmac_f64_e32 v[182:183], v[166:167], v[132:133]
	v_fma_f64 v[164:165], v[164:165], v[132:133], -v[134:135]
	scratch_load_b128 v[132:135], off, off offset:688
	v_add_f64_e32 v[176:177], v[176:177], v[178:179]
	v_fmac_f64_e32 v[180:181], v[6:7], v[136:137]
	v_add_f64_e32 v[166:167], v[186:187], v[184:185]
	v_fma_f64 v[184:185], v[4:5], v[136:137], -v[138:139]
	ds_load_b128 v[4:7], v2 offset:1392
	s_wait_loadcnt_dscnt 0xa01
	v_mul_f64_e32 v[178:179], v[172:173], v[142:143]
	v_mul_f64_e32 v[142:143], v[174:175], v[142:143]
	scratch_load_b128 v[136:139], off, off offset:704
	v_add_f64_e32 v[176:177], v[176:177], v[182:183]
	s_wait_loadcnt_dscnt 0xa00
	v_mul_f64_e32 v[182:183], v[4:5], v[146:147]
	v_add_f64_e32 v[186:187], v[166:167], v[164:165]
	v_mul_f64_e32 v[146:147], v[6:7], v[146:147]
	ds_load_b128 v[164:167], v2 offset:1408
	v_fmac_f64_e32 v[178:179], v[174:175], v[140:141]
	v_fma_f64 v[172:173], v[172:173], v[140:141], -v[142:143]
	scratch_load_b128 v[140:143], off, off offset:720
	v_add_f64_e32 v[176:177], v[176:177], v[180:181]
	v_fmac_f64_e32 v[182:183], v[6:7], v[144:145]
	v_add_f64_e32 v[174:175], v[186:187], v[184:185]
	v_fma_f64 v[184:185], v[4:5], v[144:145], -v[146:147]
	ds_load_b128 v[4:7], v2 offset:1424
	s_wait_loadcnt_dscnt 0xa01
	v_mul_f64_e32 v[180:181], v[164:165], v[150:151]
	v_mul_f64_e32 v[150:151], v[166:167], v[150:151]
	scratch_load_b128 v[144:147], off, off offset:736
	v_add_f64_e32 v[176:177], v[176:177], v[178:179]
	s_wait_loadcnt_dscnt 0xa00
	v_mul_f64_e32 v[178:179], v[4:5], v[158:159]
	v_add_f64_e32 v[186:187], v[174:175], v[172:173]
	v_mul_f64_e32 v[158:159], v[6:7], v[158:159]
	ds_load_b128 v[172:175], v2 offset:1440
	v_fmac_f64_e32 v[180:181], v[166:167], v[148:149]
	v_fma_f64 v[164:165], v[164:165], v[148:149], -v[150:151]
	scratch_load_b128 v[148:151], off, off offset:752
	v_add_f64_e32 v[176:177], v[176:177], v[182:183]
	v_fmac_f64_e32 v[178:179], v[6:7], v[156:157]
	v_add_f64_e32 v[166:167], v[186:187], v[184:185]
	v_fma_f64 v[184:185], v[4:5], v[156:157], -v[158:159]
	ds_load_b128 v[4:7], v2 offset:1456
	s_wait_loadcnt_dscnt 0xa01
	v_mul_f64_e32 v[182:183], v[172:173], v[170:171]
	v_mul_f64_e32 v[170:171], v[174:175], v[170:171]
	scratch_load_b128 v[156:159], off, off offset:768
	v_add_f64_e32 v[176:177], v[176:177], v[180:181]
	s_wait_loadcnt_dscnt 0xa00
	v_mul_f64_e32 v[180:181], v[4:5], v[154:155]
	v_add_f64_e32 v[186:187], v[166:167], v[164:165]
	v_mul_f64_e32 v[154:155], v[6:7], v[154:155]
	ds_load_b128 v[164:167], v2 offset:1472
	v_fmac_f64_e32 v[182:183], v[174:175], v[168:169]
	v_fma_f64 v[172:173], v[172:173], v[168:169], -v[170:171]
	scratch_load_b128 v[168:171], off, off offset:784
	v_add_f64_e32 v[176:177], v[176:177], v[178:179]
	v_fmac_f64_e32 v[180:181], v[6:7], v[152:153]
	v_add_f64_e32 v[174:175], v[186:187], v[184:185]
	v_fma_f64 v[184:185], v[4:5], v[152:153], -v[154:155]
	ds_load_b128 v[4:7], v2 offset:1488
	s_wait_loadcnt_dscnt 0xa01
	v_mul_f64_e32 v[178:179], v[164:165], v[10:11]
	v_mul_f64_e32 v[10:11], v[166:167], v[10:11]
	scratch_load_b128 v[152:155], off, off offset:800
	v_add_f64_e32 v[176:177], v[176:177], v[182:183]
	s_wait_loadcnt_dscnt 0xa00
	v_mul_f64_e32 v[182:183], v[4:5], v[14:15]
	v_add_f64_e32 v[186:187], v[174:175], v[172:173]
	v_mul_f64_e32 v[14:15], v[6:7], v[14:15]
	ds_load_b128 v[172:175], v2 offset:1504
	v_fmac_f64_e32 v[178:179], v[166:167], v[8:9]
	v_fma_f64 v[164:165], v[164:165], v[8:9], -v[10:11]
	scratch_load_b128 v[8:11], off, off offset:816
	v_add_f64_e32 v[176:177], v[176:177], v[180:181]
	v_fmac_f64_e32 v[182:183], v[6:7], v[12:13]
	v_add_f64_e32 v[166:167], v[186:187], v[184:185]
	v_fma_f64 v[184:185], v[4:5], v[12:13], -v[14:15]
	ds_load_b128 v[4:7], v2 offset:1520
	s_wait_loadcnt_dscnt 0xa01
	v_mul_f64_e32 v[180:181], v[172:173], v[126:127]
	v_mul_f64_e32 v[126:127], v[174:175], v[126:127]
	scratch_load_b128 v[12:15], off, off offset:832
	v_add_f64_e32 v[176:177], v[176:177], v[178:179]
	s_wait_loadcnt_dscnt 0xa00
	v_mul_f64_e32 v[178:179], v[4:5], v[130:131]
	v_add_f64_e32 v[186:187], v[166:167], v[164:165]
	v_mul_f64_e32 v[130:131], v[6:7], v[130:131]
	ds_load_b128 v[164:167], v2 offset:1536
	v_fmac_f64_e32 v[180:181], v[174:175], v[124:125]
	v_fma_f64 v[124:125], v[172:173], v[124:125], -v[126:127]
	s_wait_loadcnt_dscnt 0x900
	v_mul_f64_e32 v[174:175], v[164:165], v[134:135]
	v_mul_f64_e32 v[134:135], v[166:167], v[134:135]
	v_add_f64_e32 v[172:173], v[176:177], v[182:183]
	v_fmac_f64_e32 v[178:179], v[6:7], v[128:129]
	v_add_f64_e32 v[126:127], v[186:187], v[184:185]
	v_fma_f64 v[128:129], v[4:5], v[128:129], -v[130:131]
	v_fmac_f64_e32 v[174:175], v[166:167], v[132:133]
	v_fma_f64 v[132:133], v[164:165], v[132:133], -v[134:135]
	v_add_f64_e32 v[172:173], v[172:173], v[180:181]
	v_add_f64_e32 v[130:131], v[126:127], v[124:125]
	ds_load_b128 v[4:7], v2 offset:1552
	ds_load_b128 v[124:127], v2 offset:1568
	s_wait_loadcnt_dscnt 0x801
	v_mul_f64_e32 v[176:177], v[4:5], v[138:139]
	v_mul_f64_e32 v[138:139], v[6:7], v[138:139]
	s_wait_loadcnt_dscnt 0x700
	v_mul_f64_e32 v[134:135], v[124:125], v[142:143]
	v_mul_f64_e32 v[142:143], v[126:127], v[142:143]
	v_add_f64_e32 v[128:129], v[130:131], v[128:129]
	v_add_f64_e32 v[130:131], v[172:173], v[178:179]
	v_fmac_f64_e32 v[176:177], v[6:7], v[136:137]
	v_fma_f64 v[136:137], v[4:5], v[136:137], -v[138:139]
	v_fmac_f64_e32 v[134:135], v[126:127], v[140:141]
	v_fma_f64 v[124:125], v[124:125], v[140:141], -v[142:143]
	v_add_f64_e32 v[132:133], v[128:129], v[132:133]
	v_add_f64_e32 v[138:139], v[130:131], v[174:175]
	ds_load_b128 v[4:7], v2 offset:1584
	ds_load_b128 v[128:131], v2 offset:1600
	s_wait_loadcnt_dscnt 0x601
	v_mul_f64_e32 v[164:165], v[4:5], v[146:147]
	v_mul_f64_e32 v[146:147], v[6:7], v[146:147]
	v_add_f64_e32 v[126:127], v[132:133], v[136:137]
	v_add_f64_e32 v[132:133], v[138:139], v[176:177]
	s_wait_loadcnt_dscnt 0x500
	v_mul_f64_e32 v[136:137], v[128:129], v[150:151]
	v_mul_f64_e32 v[138:139], v[130:131], v[150:151]
	v_fmac_f64_e32 v[164:165], v[6:7], v[144:145]
	v_fma_f64 v[140:141], v[4:5], v[144:145], -v[146:147]
	v_add_f64_e32 v[142:143], v[126:127], v[124:125]
	v_add_f64_e32 v[132:133], v[132:133], v[134:135]
	ds_load_b128 v[4:7], v2 offset:1616
	ds_load_b128 v[124:127], v2 offset:1632
	v_fmac_f64_e32 v[136:137], v[130:131], v[148:149]
	v_fma_f64 v[128:129], v[128:129], v[148:149], -v[138:139]
	s_wait_loadcnt_dscnt 0x401
	v_mul_f64_e32 v[134:135], v[4:5], v[158:159]
	v_mul_f64_e32 v[144:145], v[6:7], v[158:159]
	s_wait_loadcnt_dscnt 0x300
	v_mul_f64_e32 v[138:139], v[124:125], v[170:171]
	v_add_f64_e32 v[130:131], v[142:143], v[140:141]
	v_add_f64_e32 v[132:133], v[132:133], v[164:165]
	v_mul_f64_e32 v[140:141], v[126:127], v[170:171]
	v_fmac_f64_e32 v[134:135], v[6:7], v[156:157]
	v_fma_f64 v[142:143], v[4:5], v[156:157], -v[144:145]
	v_fmac_f64_e32 v[138:139], v[126:127], v[168:169]
	v_add_f64_e32 v[144:145], v[130:131], v[128:129]
	v_add_f64_e32 v[132:133], v[132:133], v[136:137]
	ds_load_b128 v[4:7], v2 offset:1648
	ds_load_b128 v[128:131], v2 offset:1664
	v_fma_f64 v[124:125], v[124:125], v[168:169], -v[140:141]
	s_wait_loadcnt_dscnt 0x201
	v_mul_f64_e32 v[136:137], v[4:5], v[154:155]
	v_mul_f64_e32 v[146:147], v[6:7], v[154:155]
	v_add_f64_e32 v[126:127], v[144:145], v[142:143]
	v_add_f64_e32 v[132:133], v[132:133], v[134:135]
	s_wait_loadcnt_dscnt 0x100
	v_mul_f64_e32 v[134:135], v[128:129], v[10:11]
	v_mul_f64_e32 v[10:11], v[130:131], v[10:11]
	v_fmac_f64_e32 v[136:137], v[6:7], v[152:153]
	v_fma_f64 v[140:141], v[4:5], v[152:153], -v[146:147]
	ds_load_b128 v[4:7], v2 offset:1680
	v_add_f64_e32 v[124:125], v[126:127], v[124:125]
	v_add_f64_e32 v[126:127], v[132:133], v[138:139]
	v_fmac_f64_e32 v[134:135], v[130:131], v[8:9]
	v_fma_f64 v[8:9], v[128:129], v[8:9], -v[10:11]
	s_wait_loadcnt_dscnt 0x0
	v_mul_f64_e32 v[132:133], v[4:5], v[14:15]
	v_mul_f64_e32 v[14:15], v[6:7], v[14:15]
	v_add_f64_e32 v[10:11], v[124:125], v[140:141]
	v_add_f64_e32 v[124:125], v[126:127], v[136:137]
	s_delay_alu instid0(VALU_DEP_4) | instskip(NEXT) | instid1(VALU_DEP_4)
	v_fmac_f64_e32 v[132:133], v[6:7], v[12:13]
	v_fma_f64 v[4:5], v[4:5], v[12:13], -v[14:15]
	s_delay_alu instid0(VALU_DEP_4) | instskip(NEXT) | instid1(VALU_DEP_4)
	v_add_f64_e32 v[6:7], v[10:11], v[8:9]
	v_add_f64_e32 v[8:9], v[124:125], v[134:135]
	s_delay_alu instid0(VALU_DEP_2) | instskip(NEXT) | instid1(VALU_DEP_2)
	v_add_f64_e32 v[4:5], v[6:7], v[4:5]
	v_add_f64_e32 v[6:7], v[8:9], v[132:133]
	s_delay_alu instid0(VALU_DEP_2) | instskip(NEXT) | instid1(VALU_DEP_2)
	v_add_f64_e64 v[4:5], v[160:161], -v[4:5]
	v_add_f64_e64 v[6:7], v[162:163], -v[6:7]
	scratch_store_b128 off, v[4:7], off offset:208
	s_wait_xcnt 0x0
	v_cmpx_lt_u32_e32 12, v1
	s_cbranch_execz .LBB116_307
; %bb.306:
	scratch_load_b128 v[6:9], off, s57
	v_dual_mov_b32 v3, v2 :: v_dual_mov_b32 v4, v2
	v_mov_b32_e32 v5, v2
	scratch_store_b128 off, v[2:5], off offset:192
	s_wait_loadcnt 0x0
	ds_store_b128 v122, v[6:9]
.LBB116_307:
	s_wait_xcnt 0x0
	s_or_b32 exec_lo, exec_lo, s2
	s_wait_storecnt_dscnt 0x0
	s_barrier_signal -1
	s_barrier_wait -1
	s_clause 0x9
	scratch_load_b128 v[4:7], off, off offset:208
	scratch_load_b128 v[8:11], off, off offset:224
	;; [unrolled: 1-line block ×10, first 2 shown]
	ds_load_b128 v[152:155], v2 offset:1056
	ds_load_b128 v[160:163], v2 offset:1072
	s_clause 0x2
	scratch_load_b128 v[156:159], off, off offset:368
	scratch_load_b128 v[164:167], off, off offset:192
	;; [unrolled: 1-line block ×3, first 2 shown]
	s_mov_b32 s2, exec_lo
	s_wait_loadcnt_dscnt 0xc01
	v_mul_f64_e32 v[172:173], v[154:155], v[6:7]
	v_mul_f64_e32 v[176:177], v[152:153], v[6:7]
	s_wait_loadcnt_dscnt 0xb00
	v_mul_f64_e32 v[178:179], v[160:161], v[10:11]
	v_mul_f64_e32 v[10:11], v[162:163], v[10:11]
	s_delay_alu instid0(VALU_DEP_4) | instskip(NEXT) | instid1(VALU_DEP_4)
	v_fma_f64 v[180:181], v[152:153], v[4:5], -v[172:173]
	v_fmac_f64_e32 v[176:177], v[154:155], v[4:5]
	ds_load_b128 v[4:7], v2 offset:1088
	ds_load_b128 v[152:155], v2 offset:1104
	scratch_load_b128 v[172:175], off, off offset:400
	v_fmac_f64_e32 v[178:179], v[162:163], v[8:9]
	v_fma_f64 v[160:161], v[160:161], v[8:9], -v[10:11]
	scratch_load_b128 v[8:11], off, off offset:416
	s_wait_loadcnt_dscnt 0xc01
	v_mul_f64_e32 v[182:183], v[4:5], v[14:15]
	v_mul_f64_e32 v[14:15], v[6:7], v[14:15]
	v_add_f64_e32 v[162:163], 0, v[180:181]
	v_add_f64_e32 v[176:177], 0, v[176:177]
	s_wait_loadcnt_dscnt 0xb00
	v_mul_f64_e32 v[180:181], v[152:153], v[126:127]
	v_mul_f64_e32 v[126:127], v[154:155], v[126:127]
	v_fmac_f64_e32 v[182:183], v[6:7], v[12:13]
	v_fma_f64 v[184:185], v[4:5], v[12:13], -v[14:15]
	ds_load_b128 v[4:7], v2 offset:1120
	ds_load_b128 v[12:15], v2 offset:1136
	v_add_f64_e32 v[186:187], v[162:163], v[160:161]
	v_add_f64_e32 v[176:177], v[176:177], v[178:179]
	scratch_load_b128 v[160:163], off, off offset:432
	v_fmac_f64_e32 v[180:181], v[154:155], v[124:125]
	v_fma_f64 v[152:153], v[152:153], v[124:125], -v[126:127]
	scratch_load_b128 v[124:127], off, off offset:448
	s_wait_loadcnt_dscnt 0xc01
	v_mul_f64_e32 v[178:179], v[4:5], v[130:131]
	v_mul_f64_e32 v[130:131], v[6:7], v[130:131]
	v_add_f64_e32 v[154:155], v[186:187], v[184:185]
	v_add_f64_e32 v[176:177], v[176:177], v[182:183]
	s_wait_loadcnt_dscnt 0xb00
	v_mul_f64_e32 v[182:183], v[12:13], v[134:135]
	v_mul_f64_e32 v[134:135], v[14:15], v[134:135]
	v_fmac_f64_e32 v[178:179], v[6:7], v[128:129]
	v_fma_f64 v[184:185], v[4:5], v[128:129], -v[130:131]
	ds_load_b128 v[4:7], v2 offset:1152
	ds_load_b128 v[128:131], v2 offset:1168
	v_add_f64_e32 v[186:187], v[154:155], v[152:153]
	v_add_f64_e32 v[176:177], v[176:177], v[180:181]
	scratch_load_b128 v[152:155], off, off offset:464
	s_wait_loadcnt_dscnt 0xb01
	v_mul_f64_e32 v[180:181], v[4:5], v[138:139]
	v_mul_f64_e32 v[138:139], v[6:7], v[138:139]
	v_fmac_f64_e32 v[182:183], v[14:15], v[132:133]
	v_fma_f64 v[132:133], v[12:13], v[132:133], -v[134:135]
	scratch_load_b128 v[12:15], off, off offset:480
	v_add_f64_e32 v[134:135], v[186:187], v[184:185]
	v_add_f64_e32 v[176:177], v[176:177], v[178:179]
	s_wait_loadcnt_dscnt 0xb00
	v_mul_f64_e32 v[178:179], v[128:129], v[142:143]
	v_mul_f64_e32 v[142:143], v[130:131], v[142:143]
	v_fmac_f64_e32 v[180:181], v[6:7], v[136:137]
	v_fma_f64 v[184:185], v[4:5], v[136:137], -v[138:139]
	v_add_f64_e32 v[186:187], v[134:135], v[132:133]
	v_add_f64_e32 v[176:177], v[176:177], v[182:183]
	ds_load_b128 v[4:7], v2 offset:1184
	ds_load_b128 v[132:135], v2 offset:1200
	scratch_load_b128 v[136:139], off, off offset:496
	v_fmac_f64_e32 v[178:179], v[130:131], v[140:141]
	v_fma_f64 v[140:141], v[128:129], v[140:141], -v[142:143]
	scratch_load_b128 v[128:131], off, off offset:512
	s_wait_loadcnt_dscnt 0xc01
	v_mul_f64_e32 v[182:183], v[4:5], v[146:147]
	v_mul_f64_e32 v[146:147], v[6:7], v[146:147]
	v_add_f64_e32 v[142:143], v[186:187], v[184:185]
	v_add_f64_e32 v[176:177], v[176:177], v[180:181]
	s_wait_loadcnt_dscnt 0xb00
	v_mul_f64_e32 v[180:181], v[132:133], v[150:151]
	v_mul_f64_e32 v[150:151], v[134:135], v[150:151]
	v_fmac_f64_e32 v[182:183], v[6:7], v[144:145]
	v_fma_f64 v[184:185], v[4:5], v[144:145], -v[146:147]
	v_add_f64_e32 v[186:187], v[142:143], v[140:141]
	v_add_f64_e32 v[176:177], v[176:177], v[178:179]
	ds_load_b128 v[4:7], v2 offset:1216
	ds_load_b128 v[140:143], v2 offset:1232
	scratch_load_b128 v[144:147], off, off offset:528
	v_fmac_f64_e32 v[180:181], v[134:135], v[148:149]
	v_fma_f64 v[148:149], v[132:133], v[148:149], -v[150:151]
	scratch_load_b128 v[132:135], off, off offset:544
	s_wait_loadcnt_dscnt 0xc01
	v_mul_f64_e32 v[178:179], v[4:5], v[158:159]
	v_mul_f64_e32 v[158:159], v[6:7], v[158:159]
	;; [unrolled: 18-line block ×5, first 2 shown]
	v_add_f64_e32 v[170:171], v[186:187], v[184:185]
	v_add_f64_e32 v[176:177], v[176:177], v[182:183]
	s_wait_loadcnt_dscnt 0xa00
	v_mul_f64_e32 v[182:183], v[148:149], v[14:15]
	v_mul_f64_e32 v[14:15], v[150:151], v[14:15]
	v_fmac_f64_e32 v[178:179], v[6:7], v[152:153]
	v_fma_f64 v[184:185], v[4:5], v[152:153], -v[154:155]
	ds_load_b128 v[4:7], v2 offset:1344
	ds_load_b128 v[152:155], v2 offset:1360
	v_add_f64_e32 v[186:187], v[170:171], v[168:169]
	v_add_f64_e32 v[176:177], v[176:177], v[180:181]
	scratch_load_b128 v[168:171], off, off offset:656
	v_fmac_f64_e32 v[182:183], v[150:151], v[12:13]
	v_fma_f64 v[148:149], v[148:149], v[12:13], -v[14:15]
	scratch_load_b128 v[12:15], off, off offset:672
	s_wait_loadcnt_dscnt 0xb01
	v_mul_f64_e32 v[180:181], v[4:5], v[138:139]
	v_mul_f64_e32 v[138:139], v[6:7], v[138:139]
	v_add_f64_e32 v[150:151], v[186:187], v[184:185]
	v_add_f64_e32 v[176:177], v[176:177], v[178:179]
	s_wait_loadcnt_dscnt 0xa00
	v_mul_f64_e32 v[178:179], v[152:153], v[130:131]
	v_mul_f64_e32 v[130:131], v[154:155], v[130:131]
	v_fmac_f64_e32 v[180:181], v[6:7], v[136:137]
	v_fma_f64 v[184:185], v[4:5], v[136:137], -v[138:139]
	ds_load_b128 v[4:7], v2 offset:1376
	ds_load_b128 v[136:139], v2 offset:1392
	v_add_f64_e32 v[186:187], v[150:151], v[148:149]
	v_add_f64_e32 v[176:177], v[176:177], v[182:183]
	scratch_load_b128 v[148:151], off, off offset:688
	s_wait_loadcnt_dscnt 0xa01
	v_mul_f64_e32 v[182:183], v[4:5], v[146:147]
	v_mul_f64_e32 v[146:147], v[6:7], v[146:147]
	v_fmac_f64_e32 v[178:179], v[154:155], v[128:129]
	v_fma_f64 v[152:153], v[152:153], v[128:129], -v[130:131]
	scratch_load_b128 v[128:131], off, off offset:704
	v_add_f64_e32 v[154:155], v[186:187], v[184:185]
	v_add_f64_e32 v[176:177], v[176:177], v[180:181]
	s_wait_loadcnt_dscnt 0xa00
	v_mul_f64_e32 v[180:181], v[136:137], v[134:135]
	v_mul_f64_e32 v[134:135], v[138:139], v[134:135]
	v_fmac_f64_e32 v[182:183], v[6:7], v[144:145]
	v_fma_f64 v[184:185], v[4:5], v[144:145], -v[146:147]
	ds_load_b128 v[4:7], v2 offset:1408
	ds_load_b128 v[144:147], v2 offset:1424
	v_add_f64_e32 v[186:187], v[154:155], v[152:153]
	v_add_f64_e32 v[176:177], v[176:177], v[178:179]
	scratch_load_b128 v[152:155], off, off offset:720
	s_wait_loadcnt_dscnt 0xa01
	v_mul_f64_e32 v[178:179], v[4:5], v[158:159]
	v_mul_f64_e32 v[158:159], v[6:7], v[158:159]
	v_fmac_f64_e32 v[180:181], v[138:139], v[132:133]
	v_fma_f64 v[136:137], v[136:137], v[132:133], -v[134:135]
	scratch_load_b128 v[132:135], off, off offset:736
	v_add_f64_e32 v[138:139], v[186:187], v[184:185]
	v_add_f64_e32 v[176:177], v[176:177], v[182:183]
	s_wait_loadcnt_dscnt 0xa00
	v_mul_f64_e32 v[182:183], v[144:145], v[142:143]
	v_mul_f64_e32 v[142:143], v[146:147], v[142:143]
	v_fmac_f64_e32 v[178:179], v[6:7], v[156:157]
	v_fma_f64 v[184:185], v[4:5], v[156:157], -v[158:159]
	v_add_f64_e32 v[186:187], v[138:139], v[136:137]
	v_add_f64_e32 v[176:177], v[176:177], v[180:181]
	ds_load_b128 v[4:7], v2 offset:1440
	ds_load_b128 v[136:139], v2 offset:1456
	scratch_load_b128 v[156:159], off, off offset:752
	v_fmac_f64_e32 v[182:183], v[146:147], v[140:141]
	v_fma_f64 v[144:145], v[144:145], v[140:141], -v[142:143]
	scratch_load_b128 v[140:143], off, off offset:768
	s_wait_loadcnt_dscnt 0xb01
	v_mul_f64_e32 v[180:181], v[4:5], v[174:175]
	v_mul_f64_e32 v[174:175], v[6:7], v[174:175]
	v_add_f64_e32 v[146:147], v[186:187], v[184:185]
	v_add_f64_e32 v[176:177], v[176:177], v[178:179]
	s_wait_loadcnt_dscnt 0xa00
	v_mul_f64_e32 v[178:179], v[136:137], v[10:11]
	v_mul_f64_e32 v[10:11], v[138:139], v[10:11]
	v_fmac_f64_e32 v[180:181], v[6:7], v[172:173]
	v_fma_f64 v[184:185], v[4:5], v[172:173], -v[174:175]
	v_add_f64_e32 v[186:187], v[146:147], v[144:145]
	v_add_f64_e32 v[176:177], v[176:177], v[182:183]
	ds_load_b128 v[4:7], v2 offset:1472
	ds_load_b128 v[144:147], v2 offset:1488
	scratch_load_b128 v[172:175], off, off offset:784
	v_fmac_f64_e32 v[178:179], v[138:139], v[8:9]
	v_fma_f64 v[136:137], v[136:137], v[8:9], -v[10:11]
	scratch_load_b128 v[8:11], off, off offset:800
	s_wait_loadcnt_dscnt 0xb01
	v_mul_f64_e32 v[182:183], v[4:5], v[162:163]
	v_mul_f64_e32 v[162:163], v[6:7], v[162:163]
	;; [unrolled: 18-line block ×3, first 2 shown]
	v_add_f64_e32 v[146:147], v[186:187], v[184:185]
	v_add_f64_e32 v[176:177], v[176:177], v[182:183]
	s_wait_loadcnt_dscnt 0xa00
	v_mul_f64_e32 v[182:183], v[136:137], v[14:15]
	v_mul_f64_e32 v[14:15], v[138:139], v[14:15]
	v_fmac_f64_e32 v[178:179], v[6:7], v[168:169]
	v_fma_f64 v[168:169], v[4:5], v[168:169], -v[170:171]
	v_add_f64_e32 v[170:171], v[146:147], v[144:145]
	v_add_f64_e32 v[176:177], v[176:177], v[180:181]
	ds_load_b128 v[4:7], v2 offset:1536
	ds_load_b128 v[144:147], v2 offset:1552
	v_fmac_f64_e32 v[182:183], v[138:139], v[12:13]
	v_fma_f64 v[12:13], v[136:137], v[12:13], -v[14:15]
	s_wait_loadcnt_dscnt 0x901
	v_mul_f64_e32 v[180:181], v[4:5], v[150:151]
	v_mul_f64_e32 v[150:151], v[6:7], v[150:151]
	s_wait_loadcnt_dscnt 0x800
	v_mul_f64_e32 v[138:139], v[144:145], v[130:131]
	v_mul_f64_e32 v[130:131], v[146:147], v[130:131]
	v_add_f64_e32 v[14:15], v[170:171], v[168:169]
	v_add_f64_e32 v[136:137], v[176:177], v[178:179]
	v_fmac_f64_e32 v[180:181], v[6:7], v[148:149]
	v_fma_f64 v[148:149], v[4:5], v[148:149], -v[150:151]
	v_fmac_f64_e32 v[138:139], v[146:147], v[128:129]
	v_fma_f64 v[128:129], v[144:145], v[128:129], -v[130:131]
	v_add_f64_e32 v[150:151], v[14:15], v[12:13]
	v_add_f64_e32 v[136:137], v[136:137], v[182:183]
	ds_load_b128 v[4:7], v2 offset:1568
	ds_load_b128 v[12:15], v2 offset:1584
	s_wait_loadcnt_dscnt 0x701
	v_mul_f64_e32 v[168:169], v[4:5], v[154:155]
	v_mul_f64_e32 v[154:155], v[6:7], v[154:155]
	s_wait_loadcnt_dscnt 0x600
	v_mul_f64_e32 v[144:145], v[12:13], v[134:135]
	v_mul_f64_e32 v[134:135], v[14:15], v[134:135]
	v_add_f64_e32 v[130:131], v[150:151], v[148:149]
	v_add_f64_e32 v[136:137], v[136:137], v[180:181]
	v_fmac_f64_e32 v[168:169], v[6:7], v[152:153]
	v_fma_f64 v[146:147], v[4:5], v[152:153], -v[154:155]
	v_fmac_f64_e32 v[144:145], v[14:15], v[132:133]
	v_fma_f64 v[12:13], v[12:13], v[132:133], -v[134:135]
	v_add_f64_e32 v[148:149], v[130:131], v[128:129]
	v_add_f64_e32 v[136:137], v[136:137], v[138:139]
	ds_load_b128 v[4:7], v2 offset:1600
	ds_load_b128 v[128:131], v2 offset:1616
	s_wait_loadcnt_dscnt 0x501
	v_mul_f64_e32 v[138:139], v[4:5], v[158:159]
	v_mul_f64_e32 v[150:151], v[6:7], v[158:159]
	s_wait_loadcnt_dscnt 0x400
	v_mul_f64_e32 v[134:135], v[128:129], v[142:143]
	v_add_f64_e32 v[14:15], v[148:149], v[146:147]
	v_add_f64_e32 v[132:133], v[136:137], v[168:169]
	v_mul_f64_e32 v[136:137], v[130:131], v[142:143]
	v_fmac_f64_e32 v[138:139], v[6:7], v[156:157]
	v_fma_f64 v[142:143], v[4:5], v[156:157], -v[150:151]
	v_fmac_f64_e32 v[134:135], v[130:131], v[140:141]
	v_add_f64_e32 v[146:147], v[14:15], v[12:13]
	v_add_f64_e32 v[132:133], v[132:133], v[144:145]
	ds_load_b128 v[4:7], v2 offset:1632
	ds_load_b128 v[12:15], v2 offset:1648
	v_fma_f64 v[128:129], v[128:129], v[140:141], -v[136:137]
	s_wait_loadcnt_dscnt 0x301
	v_mul_f64_e32 v[144:145], v[4:5], v[174:175]
	v_mul_f64_e32 v[148:149], v[6:7], v[174:175]
	s_wait_loadcnt_dscnt 0x200
	v_mul_f64_e32 v[136:137], v[12:13], v[10:11]
	v_mul_f64_e32 v[10:11], v[14:15], v[10:11]
	v_add_f64_e32 v[130:131], v[146:147], v[142:143]
	v_add_f64_e32 v[132:133], v[132:133], v[138:139]
	v_fmac_f64_e32 v[144:145], v[6:7], v[172:173]
	v_fma_f64 v[138:139], v[4:5], v[172:173], -v[148:149]
	v_fmac_f64_e32 v[136:137], v[14:15], v[8:9]
	v_fma_f64 v[8:9], v[12:13], v[8:9], -v[10:11]
	v_add_f64_e32 v[140:141], v[130:131], v[128:129]
	v_add_f64_e32 v[132:133], v[132:133], v[134:135]
	ds_load_b128 v[4:7], v2 offset:1664
	ds_load_b128 v[128:131], v2 offset:1680
	s_wait_loadcnt_dscnt 0x101
	v_mul_f64_e32 v[2:3], v[4:5], v[162:163]
	v_mul_f64_e32 v[134:135], v[6:7], v[162:163]
	s_wait_loadcnt_dscnt 0x0
	v_mul_f64_e32 v[14:15], v[128:129], v[126:127]
	v_mul_f64_e32 v[126:127], v[130:131], v[126:127]
	v_add_f64_e32 v[10:11], v[140:141], v[138:139]
	v_add_f64_e32 v[12:13], v[132:133], v[144:145]
	v_fmac_f64_e32 v[2:3], v[6:7], v[160:161]
	v_fma_f64 v[4:5], v[4:5], v[160:161], -v[134:135]
	v_fmac_f64_e32 v[14:15], v[130:131], v[124:125]
	v_add_f64_e32 v[6:7], v[10:11], v[8:9]
	v_add_f64_e32 v[8:9], v[12:13], v[136:137]
	v_fma_f64 v[10:11], v[128:129], v[124:125], -v[126:127]
	s_delay_alu instid0(VALU_DEP_3) | instskip(NEXT) | instid1(VALU_DEP_3)
	v_add_f64_e32 v[4:5], v[6:7], v[4:5]
	v_add_f64_e32 v[2:3], v[8:9], v[2:3]
	s_delay_alu instid0(VALU_DEP_2) | instskip(NEXT) | instid1(VALU_DEP_2)
	v_add_f64_e32 v[4:5], v[4:5], v[10:11]
	v_add_f64_e32 v[6:7], v[2:3], v[14:15]
	s_delay_alu instid0(VALU_DEP_2) | instskip(NEXT) | instid1(VALU_DEP_2)
	v_add_f64_e64 v[2:3], v[164:165], -v[4:5]
	v_add_f64_e64 v[4:5], v[166:167], -v[6:7]
	scratch_store_b128 off, v[2:5], off offset:192
	s_wait_xcnt 0x0
	v_cmpx_lt_u32_e32 11, v1
	s_cbranch_execz .LBB116_309
; %bb.308:
	scratch_load_b128 v[2:5], off, s58
	v_mov_b32_e32 v6, 0
	s_delay_alu instid0(VALU_DEP_1)
	v_dual_mov_b32 v7, v6 :: v_dual_mov_b32 v8, v6
	v_mov_b32_e32 v9, v6
	scratch_store_b128 off, v[6:9], off offset:176
	s_wait_loadcnt 0x0
	ds_store_b128 v122, v[2:5]
.LBB116_309:
	s_wait_xcnt 0x0
	s_or_b32 exec_lo, exec_lo, s2
	s_wait_storecnt_dscnt 0x0
	s_barrier_signal -1
	s_barrier_wait -1
	s_clause 0x9
	scratch_load_b128 v[4:7], off, off offset:192
	scratch_load_b128 v[8:11], off, off offset:208
	;; [unrolled: 1-line block ×10, first 2 shown]
	v_mov_b32_e32 v2, 0
	s_mov_b32 s2, exec_lo
	ds_load_b128 v[152:155], v2 offset:1040
	s_clause 0x2
	scratch_load_b128 v[156:159], off, off offset:352
	scratch_load_b128 v[160:163], off, off offset:176
	;; [unrolled: 1-line block ×3, first 2 shown]
	s_wait_loadcnt_dscnt 0xc00
	v_mul_f64_e32 v[172:173], v[154:155], v[6:7]
	v_mul_f64_e32 v[176:177], v[152:153], v[6:7]
	ds_load_b128 v[164:167], v2 offset:1056
	v_fma_f64 v[180:181], v[152:153], v[4:5], -v[172:173]
	v_fmac_f64_e32 v[176:177], v[154:155], v[4:5]
	ds_load_b128 v[4:7], v2 offset:1072
	s_wait_loadcnt_dscnt 0xb01
	v_mul_f64_e32 v[178:179], v[164:165], v[10:11]
	v_mul_f64_e32 v[10:11], v[166:167], v[10:11]
	scratch_load_b128 v[152:155], off, off offset:384
	ds_load_b128 v[172:175], v2 offset:1088
	s_wait_loadcnt_dscnt 0xb01
	v_mul_f64_e32 v[182:183], v[4:5], v[14:15]
	v_mul_f64_e32 v[14:15], v[6:7], v[14:15]
	v_add_f64_e32 v[176:177], 0, v[176:177]
	v_fmac_f64_e32 v[178:179], v[166:167], v[8:9]
	v_fma_f64 v[164:165], v[164:165], v[8:9], -v[10:11]
	v_add_f64_e32 v[166:167], 0, v[180:181]
	scratch_load_b128 v[8:11], off, off offset:400
	v_fmac_f64_e32 v[182:183], v[6:7], v[12:13]
	v_fma_f64 v[184:185], v[4:5], v[12:13], -v[14:15]
	ds_load_b128 v[4:7], v2 offset:1104
	s_wait_loadcnt_dscnt 0xb01
	v_mul_f64_e32 v[180:181], v[172:173], v[126:127]
	v_mul_f64_e32 v[126:127], v[174:175], v[126:127]
	scratch_load_b128 v[12:15], off, off offset:416
	v_add_f64_e32 v[176:177], v[176:177], v[178:179]
	v_add_f64_e32 v[186:187], v[166:167], v[164:165]
	ds_load_b128 v[164:167], v2 offset:1120
	s_wait_loadcnt_dscnt 0xb01
	v_mul_f64_e32 v[178:179], v[4:5], v[130:131]
	v_mul_f64_e32 v[130:131], v[6:7], v[130:131]
	v_fmac_f64_e32 v[180:181], v[174:175], v[124:125]
	v_fma_f64 v[172:173], v[172:173], v[124:125], -v[126:127]
	scratch_load_b128 v[124:127], off, off offset:432
	v_add_f64_e32 v[176:177], v[176:177], v[182:183]
	v_add_f64_e32 v[174:175], v[186:187], v[184:185]
	v_fmac_f64_e32 v[178:179], v[6:7], v[128:129]
	v_fma_f64 v[184:185], v[4:5], v[128:129], -v[130:131]
	ds_load_b128 v[4:7], v2 offset:1136
	s_wait_loadcnt_dscnt 0xb01
	v_mul_f64_e32 v[182:183], v[164:165], v[134:135]
	v_mul_f64_e32 v[134:135], v[166:167], v[134:135]
	scratch_load_b128 v[128:131], off, off offset:448
	v_add_f64_e32 v[176:177], v[176:177], v[180:181]
	s_wait_loadcnt_dscnt 0xb00
	v_mul_f64_e32 v[180:181], v[4:5], v[138:139]
	v_add_f64_e32 v[186:187], v[174:175], v[172:173]
	v_mul_f64_e32 v[138:139], v[6:7], v[138:139]
	ds_load_b128 v[172:175], v2 offset:1152
	v_fmac_f64_e32 v[182:183], v[166:167], v[132:133]
	v_fma_f64 v[164:165], v[164:165], v[132:133], -v[134:135]
	scratch_load_b128 v[132:135], off, off offset:464
	v_add_f64_e32 v[176:177], v[176:177], v[178:179]
	v_fmac_f64_e32 v[180:181], v[6:7], v[136:137]
	v_add_f64_e32 v[166:167], v[186:187], v[184:185]
	v_fma_f64 v[184:185], v[4:5], v[136:137], -v[138:139]
	ds_load_b128 v[4:7], v2 offset:1168
	s_wait_loadcnt_dscnt 0xb01
	v_mul_f64_e32 v[178:179], v[172:173], v[142:143]
	v_mul_f64_e32 v[142:143], v[174:175], v[142:143]
	scratch_load_b128 v[136:139], off, off offset:480
	v_add_f64_e32 v[176:177], v[176:177], v[182:183]
	s_wait_loadcnt_dscnt 0xb00
	v_mul_f64_e32 v[182:183], v[4:5], v[146:147]
	v_add_f64_e32 v[186:187], v[166:167], v[164:165]
	v_mul_f64_e32 v[146:147], v[6:7], v[146:147]
	ds_load_b128 v[164:167], v2 offset:1184
	v_fmac_f64_e32 v[178:179], v[174:175], v[140:141]
	v_fma_f64 v[172:173], v[172:173], v[140:141], -v[142:143]
	scratch_load_b128 v[140:143], off, off offset:496
	v_add_f64_e32 v[176:177], v[176:177], v[180:181]
	v_fmac_f64_e32 v[182:183], v[6:7], v[144:145]
	v_add_f64_e32 v[174:175], v[186:187], v[184:185]
	;; [unrolled: 18-line block ×3, first 2 shown]
	v_fma_f64 v[184:185], v[4:5], v[156:157], -v[158:159]
	ds_load_b128 v[4:7], v2 offset:1232
	s_wait_loadcnt_dscnt 0xa01
	v_mul_f64_e32 v[182:183], v[172:173], v[170:171]
	v_mul_f64_e32 v[170:171], v[174:175], v[170:171]
	scratch_load_b128 v[156:159], off, off offset:544
	v_add_f64_e32 v[176:177], v[176:177], v[180:181]
	v_add_f64_e32 v[186:187], v[166:167], v[164:165]
	s_wait_loadcnt_dscnt 0xa00
	v_mul_f64_e32 v[180:181], v[4:5], v[154:155]
	v_mul_f64_e32 v[154:155], v[6:7], v[154:155]
	v_fmac_f64_e32 v[182:183], v[174:175], v[168:169]
	v_fma_f64 v[172:173], v[172:173], v[168:169], -v[170:171]
	ds_load_b128 v[164:167], v2 offset:1248
	scratch_load_b128 v[168:171], off, off offset:560
	v_add_f64_e32 v[176:177], v[176:177], v[178:179]
	v_add_f64_e32 v[174:175], v[186:187], v[184:185]
	v_fmac_f64_e32 v[180:181], v[6:7], v[152:153]
	v_fma_f64 v[184:185], v[4:5], v[152:153], -v[154:155]
	ds_load_b128 v[4:7], v2 offset:1264
	s_wait_loadcnt_dscnt 0xa01
	v_mul_f64_e32 v[178:179], v[164:165], v[10:11]
	v_mul_f64_e32 v[10:11], v[166:167], v[10:11]
	scratch_load_b128 v[152:155], off, off offset:576
	v_add_f64_e32 v[176:177], v[176:177], v[182:183]
	s_wait_loadcnt_dscnt 0xa00
	v_mul_f64_e32 v[182:183], v[4:5], v[14:15]
	v_add_f64_e32 v[186:187], v[174:175], v[172:173]
	v_mul_f64_e32 v[14:15], v[6:7], v[14:15]
	ds_load_b128 v[172:175], v2 offset:1280
	v_fmac_f64_e32 v[178:179], v[166:167], v[8:9]
	v_fma_f64 v[164:165], v[164:165], v[8:9], -v[10:11]
	scratch_load_b128 v[8:11], off, off offset:592
	v_add_f64_e32 v[176:177], v[176:177], v[180:181]
	v_fmac_f64_e32 v[182:183], v[6:7], v[12:13]
	v_add_f64_e32 v[166:167], v[186:187], v[184:185]
	v_fma_f64 v[184:185], v[4:5], v[12:13], -v[14:15]
	ds_load_b128 v[4:7], v2 offset:1296
	s_wait_loadcnt_dscnt 0xa01
	v_mul_f64_e32 v[180:181], v[172:173], v[126:127]
	v_mul_f64_e32 v[126:127], v[174:175], v[126:127]
	scratch_load_b128 v[12:15], off, off offset:608
	v_add_f64_e32 v[176:177], v[176:177], v[178:179]
	s_wait_loadcnt_dscnt 0xa00
	v_mul_f64_e32 v[178:179], v[4:5], v[130:131]
	v_add_f64_e32 v[186:187], v[166:167], v[164:165]
	v_mul_f64_e32 v[130:131], v[6:7], v[130:131]
	ds_load_b128 v[164:167], v2 offset:1312
	v_fmac_f64_e32 v[180:181], v[174:175], v[124:125]
	v_fma_f64 v[172:173], v[172:173], v[124:125], -v[126:127]
	scratch_load_b128 v[124:127], off, off offset:624
	v_add_f64_e32 v[176:177], v[176:177], v[182:183]
	v_fmac_f64_e32 v[178:179], v[6:7], v[128:129]
	v_add_f64_e32 v[174:175], v[186:187], v[184:185]
	;; [unrolled: 18-line block ×8, first 2 shown]
	v_fma_f64 v[184:185], v[4:5], v[128:129], -v[130:131]
	ds_load_b128 v[4:7], v2 offset:1520
	s_wait_loadcnt_dscnt 0xa01
	v_mul_f64_e32 v[182:183], v[164:165], v[134:135]
	v_mul_f64_e32 v[134:135], v[166:167], v[134:135]
	scratch_load_b128 v[128:131], off, off offset:832
	v_add_f64_e32 v[176:177], v[176:177], v[180:181]
	s_wait_loadcnt_dscnt 0xa00
	v_mul_f64_e32 v[180:181], v[4:5], v[138:139]
	v_add_f64_e32 v[186:187], v[174:175], v[172:173]
	v_mul_f64_e32 v[138:139], v[6:7], v[138:139]
	ds_load_b128 v[172:175], v2 offset:1536
	v_fmac_f64_e32 v[182:183], v[166:167], v[132:133]
	v_fma_f64 v[132:133], v[164:165], v[132:133], -v[134:135]
	s_wait_loadcnt_dscnt 0x900
	v_mul_f64_e32 v[166:167], v[172:173], v[142:143]
	v_mul_f64_e32 v[142:143], v[174:175], v[142:143]
	v_add_f64_e32 v[164:165], v[176:177], v[178:179]
	v_fmac_f64_e32 v[180:181], v[6:7], v[136:137]
	v_add_f64_e32 v[134:135], v[186:187], v[184:185]
	v_fma_f64 v[136:137], v[4:5], v[136:137], -v[138:139]
	v_fmac_f64_e32 v[166:167], v[174:175], v[140:141]
	v_fma_f64 v[140:141], v[172:173], v[140:141], -v[142:143]
	v_add_f64_e32 v[164:165], v[164:165], v[182:183]
	v_add_f64_e32 v[138:139], v[134:135], v[132:133]
	ds_load_b128 v[4:7], v2 offset:1552
	ds_load_b128 v[132:135], v2 offset:1568
	s_wait_loadcnt_dscnt 0x801
	v_mul_f64_e32 v[176:177], v[4:5], v[146:147]
	v_mul_f64_e32 v[146:147], v[6:7], v[146:147]
	s_wait_loadcnt_dscnt 0x700
	v_mul_f64_e32 v[142:143], v[132:133], v[150:151]
	v_mul_f64_e32 v[150:151], v[134:135], v[150:151]
	v_add_f64_e32 v[136:137], v[138:139], v[136:137]
	v_add_f64_e32 v[138:139], v[164:165], v[180:181]
	v_fmac_f64_e32 v[176:177], v[6:7], v[144:145]
	v_fma_f64 v[144:145], v[4:5], v[144:145], -v[146:147]
	v_fmac_f64_e32 v[142:143], v[134:135], v[148:149]
	v_fma_f64 v[132:133], v[132:133], v[148:149], -v[150:151]
	v_add_f64_e32 v[140:141], v[136:137], v[140:141]
	v_add_f64_e32 v[146:147], v[138:139], v[166:167]
	ds_load_b128 v[4:7], v2 offset:1584
	ds_load_b128 v[136:139], v2 offset:1600
	s_wait_loadcnt_dscnt 0x601
	v_mul_f64_e32 v[164:165], v[4:5], v[158:159]
	v_mul_f64_e32 v[158:159], v[6:7], v[158:159]
	v_add_f64_e32 v[134:135], v[140:141], v[144:145]
	v_add_f64_e32 v[140:141], v[146:147], v[176:177]
	s_wait_loadcnt_dscnt 0x500
	v_mul_f64_e32 v[144:145], v[136:137], v[170:171]
	v_mul_f64_e32 v[146:147], v[138:139], v[170:171]
	v_fmac_f64_e32 v[164:165], v[6:7], v[156:157]
	v_fma_f64 v[148:149], v[4:5], v[156:157], -v[158:159]
	v_add_f64_e32 v[150:151], v[134:135], v[132:133]
	v_add_f64_e32 v[140:141], v[140:141], v[142:143]
	ds_load_b128 v[4:7], v2 offset:1616
	ds_load_b128 v[132:135], v2 offset:1632
	v_fmac_f64_e32 v[144:145], v[138:139], v[168:169]
	v_fma_f64 v[136:137], v[136:137], v[168:169], -v[146:147]
	s_wait_loadcnt_dscnt 0x401
	v_mul_f64_e32 v[142:143], v[4:5], v[154:155]
	v_mul_f64_e32 v[154:155], v[6:7], v[154:155]
	s_wait_loadcnt_dscnt 0x300
	v_mul_f64_e32 v[146:147], v[132:133], v[10:11]
	v_mul_f64_e32 v[10:11], v[134:135], v[10:11]
	v_add_f64_e32 v[138:139], v[150:151], v[148:149]
	v_add_f64_e32 v[140:141], v[140:141], v[164:165]
	v_fmac_f64_e32 v[142:143], v[6:7], v[152:153]
	v_fma_f64 v[148:149], v[4:5], v[152:153], -v[154:155]
	v_fmac_f64_e32 v[146:147], v[134:135], v[8:9]
	v_fma_f64 v[8:9], v[132:133], v[8:9], -v[10:11]
	v_add_f64_e32 v[150:151], v[138:139], v[136:137]
	v_add_f64_e32 v[140:141], v[140:141], v[144:145]
	ds_load_b128 v[4:7], v2 offset:1648
	ds_load_b128 v[136:139], v2 offset:1664
	s_wait_loadcnt_dscnt 0x201
	v_mul_f64_e32 v[144:145], v[4:5], v[14:15]
	v_mul_f64_e32 v[14:15], v[6:7], v[14:15]
	s_wait_loadcnt_dscnt 0x100
	v_mul_f64_e32 v[134:135], v[136:137], v[126:127]
	v_mul_f64_e32 v[126:127], v[138:139], v[126:127]
	v_add_f64_e32 v[10:11], v[150:151], v[148:149]
	v_add_f64_e32 v[132:133], v[140:141], v[142:143]
	v_fmac_f64_e32 v[144:145], v[6:7], v[12:13]
	v_fma_f64 v[12:13], v[4:5], v[12:13], -v[14:15]
	ds_load_b128 v[4:7], v2 offset:1680
	v_fmac_f64_e32 v[134:135], v[138:139], v[124:125]
	v_fma_f64 v[124:125], v[136:137], v[124:125], -v[126:127]
	v_add_f64_e32 v[8:9], v[10:11], v[8:9]
	v_add_f64_e32 v[10:11], v[132:133], v[146:147]
	s_wait_loadcnt_dscnt 0x0
	v_mul_f64_e32 v[14:15], v[4:5], v[130:131]
	v_mul_f64_e32 v[130:131], v[6:7], v[130:131]
	s_delay_alu instid0(VALU_DEP_4) | instskip(NEXT) | instid1(VALU_DEP_4)
	v_add_f64_e32 v[8:9], v[8:9], v[12:13]
	v_add_f64_e32 v[10:11], v[10:11], v[144:145]
	s_delay_alu instid0(VALU_DEP_4) | instskip(NEXT) | instid1(VALU_DEP_4)
	v_fmac_f64_e32 v[14:15], v[6:7], v[128:129]
	v_fma_f64 v[4:5], v[4:5], v[128:129], -v[130:131]
	s_delay_alu instid0(VALU_DEP_4) | instskip(NEXT) | instid1(VALU_DEP_4)
	v_add_f64_e32 v[6:7], v[8:9], v[124:125]
	v_add_f64_e32 v[8:9], v[10:11], v[134:135]
	s_delay_alu instid0(VALU_DEP_2) | instskip(NEXT) | instid1(VALU_DEP_2)
	v_add_f64_e32 v[4:5], v[6:7], v[4:5]
	v_add_f64_e32 v[6:7], v[8:9], v[14:15]
	s_delay_alu instid0(VALU_DEP_2) | instskip(NEXT) | instid1(VALU_DEP_2)
	v_add_f64_e64 v[4:5], v[160:161], -v[4:5]
	v_add_f64_e64 v[6:7], v[162:163], -v[6:7]
	scratch_store_b128 off, v[4:7], off offset:176
	s_wait_xcnt 0x0
	v_cmpx_lt_u32_e32 10, v1
	s_cbranch_execz .LBB116_311
; %bb.310:
	scratch_load_b128 v[6:9], off, s59
	v_dual_mov_b32 v3, v2 :: v_dual_mov_b32 v4, v2
	v_mov_b32_e32 v5, v2
	scratch_store_b128 off, v[2:5], off offset:160
	s_wait_loadcnt 0x0
	ds_store_b128 v122, v[6:9]
.LBB116_311:
	s_wait_xcnt 0x0
	s_or_b32 exec_lo, exec_lo, s2
	s_wait_storecnt_dscnt 0x0
	s_barrier_signal -1
	s_barrier_wait -1
	s_clause 0x9
	scratch_load_b128 v[4:7], off, off offset:176
	scratch_load_b128 v[8:11], off, off offset:192
	;; [unrolled: 1-line block ×10, first 2 shown]
	ds_load_b128 v[152:155], v2 offset:1024
	ds_load_b128 v[160:163], v2 offset:1040
	s_clause 0x2
	scratch_load_b128 v[156:159], off, off offset:336
	scratch_load_b128 v[164:167], off, off offset:160
	;; [unrolled: 1-line block ×3, first 2 shown]
	s_mov_b32 s2, exec_lo
	s_wait_loadcnt_dscnt 0xc01
	v_mul_f64_e32 v[172:173], v[154:155], v[6:7]
	v_mul_f64_e32 v[176:177], v[152:153], v[6:7]
	s_wait_loadcnt_dscnt 0xb00
	v_mul_f64_e32 v[178:179], v[160:161], v[10:11]
	v_mul_f64_e32 v[10:11], v[162:163], v[10:11]
	s_delay_alu instid0(VALU_DEP_4) | instskip(NEXT) | instid1(VALU_DEP_4)
	v_fma_f64 v[180:181], v[152:153], v[4:5], -v[172:173]
	v_fmac_f64_e32 v[176:177], v[154:155], v[4:5]
	ds_load_b128 v[4:7], v2 offset:1056
	ds_load_b128 v[152:155], v2 offset:1072
	scratch_load_b128 v[172:175], off, off offset:368
	v_fmac_f64_e32 v[178:179], v[162:163], v[8:9]
	v_fma_f64 v[160:161], v[160:161], v[8:9], -v[10:11]
	scratch_load_b128 v[8:11], off, off offset:384
	s_wait_loadcnt_dscnt 0xc01
	v_mul_f64_e32 v[182:183], v[4:5], v[14:15]
	v_mul_f64_e32 v[14:15], v[6:7], v[14:15]
	v_add_f64_e32 v[162:163], 0, v[180:181]
	v_add_f64_e32 v[176:177], 0, v[176:177]
	s_wait_loadcnt_dscnt 0xb00
	v_mul_f64_e32 v[180:181], v[152:153], v[126:127]
	v_mul_f64_e32 v[126:127], v[154:155], v[126:127]
	v_fmac_f64_e32 v[182:183], v[6:7], v[12:13]
	v_fma_f64 v[184:185], v[4:5], v[12:13], -v[14:15]
	ds_load_b128 v[4:7], v2 offset:1088
	ds_load_b128 v[12:15], v2 offset:1104
	v_add_f64_e32 v[186:187], v[162:163], v[160:161]
	v_add_f64_e32 v[176:177], v[176:177], v[178:179]
	scratch_load_b128 v[160:163], off, off offset:400
	v_fmac_f64_e32 v[180:181], v[154:155], v[124:125]
	v_fma_f64 v[152:153], v[152:153], v[124:125], -v[126:127]
	scratch_load_b128 v[124:127], off, off offset:416
	s_wait_loadcnt_dscnt 0xc01
	v_mul_f64_e32 v[178:179], v[4:5], v[130:131]
	v_mul_f64_e32 v[130:131], v[6:7], v[130:131]
	v_add_f64_e32 v[154:155], v[186:187], v[184:185]
	v_add_f64_e32 v[176:177], v[176:177], v[182:183]
	s_wait_loadcnt_dscnt 0xb00
	v_mul_f64_e32 v[182:183], v[12:13], v[134:135]
	v_mul_f64_e32 v[134:135], v[14:15], v[134:135]
	v_fmac_f64_e32 v[178:179], v[6:7], v[128:129]
	v_fma_f64 v[184:185], v[4:5], v[128:129], -v[130:131]
	ds_load_b128 v[4:7], v2 offset:1120
	ds_load_b128 v[128:131], v2 offset:1136
	v_add_f64_e32 v[186:187], v[154:155], v[152:153]
	v_add_f64_e32 v[176:177], v[176:177], v[180:181]
	scratch_load_b128 v[152:155], off, off offset:432
	s_wait_loadcnt_dscnt 0xb01
	v_mul_f64_e32 v[180:181], v[4:5], v[138:139]
	v_mul_f64_e32 v[138:139], v[6:7], v[138:139]
	v_fmac_f64_e32 v[182:183], v[14:15], v[132:133]
	v_fma_f64 v[132:133], v[12:13], v[132:133], -v[134:135]
	scratch_load_b128 v[12:15], off, off offset:448
	v_add_f64_e32 v[134:135], v[186:187], v[184:185]
	v_add_f64_e32 v[176:177], v[176:177], v[178:179]
	s_wait_loadcnt_dscnt 0xb00
	v_mul_f64_e32 v[178:179], v[128:129], v[142:143]
	v_mul_f64_e32 v[142:143], v[130:131], v[142:143]
	v_fmac_f64_e32 v[180:181], v[6:7], v[136:137]
	v_fma_f64 v[184:185], v[4:5], v[136:137], -v[138:139]
	v_add_f64_e32 v[186:187], v[134:135], v[132:133]
	v_add_f64_e32 v[176:177], v[176:177], v[182:183]
	ds_load_b128 v[4:7], v2 offset:1152
	ds_load_b128 v[132:135], v2 offset:1168
	scratch_load_b128 v[136:139], off, off offset:464
	v_fmac_f64_e32 v[178:179], v[130:131], v[140:141]
	v_fma_f64 v[140:141], v[128:129], v[140:141], -v[142:143]
	scratch_load_b128 v[128:131], off, off offset:480
	s_wait_loadcnt_dscnt 0xc01
	v_mul_f64_e32 v[182:183], v[4:5], v[146:147]
	v_mul_f64_e32 v[146:147], v[6:7], v[146:147]
	v_add_f64_e32 v[142:143], v[186:187], v[184:185]
	v_add_f64_e32 v[176:177], v[176:177], v[180:181]
	s_wait_loadcnt_dscnt 0xb00
	v_mul_f64_e32 v[180:181], v[132:133], v[150:151]
	v_mul_f64_e32 v[150:151], v[134:135], v[150:151]
	v_fmac_f64_e32 v[182:183], v[6:7], v[144:145]
	v_fma_f64 v[184:185], v[4:5], v[144:145], -v[146:147]
	v_add_f64_e32 v[186:187], v[142:143], v[140:141]
	v_add_f64_e32 v[176:177], v[176:177], v[178:179]
	ds_load_b128 v[4:7], v2 offset:1184
	ds_load_b128 v[140:143], v2 offset:1200
	scratch_load_b128 v[144:147], off, off offset:496
	v_fmac_f64_e32 v[180:181], v[134:135], v[148:149]
	v_fma_f64 v[148:149], v[132:133], v[148:149], -v[150:151]
	scratch_load_b128 v[132:135], off, off offset:512
	s_wait_loadcnt_dscnt 0xc01
	v_mul_f64_e32 v[178:179], v[4:5], v[158:159]
	v_mul_f64_e32 v[158:159], v[6:7], v[158:159]
	;; [unrolled: 18-line block ×5, first 2 shown]
	v_add_f64_e32 v[170:171], v[186:187], v[184:185]
	v_add_f64_e32 v[176:177], v[176:177], v[182:183]
	s_wait_loadcnt_dscnt 0xa00
	v_mul_f64_e32 v[182:183], v[148:149], v[14:15]
	v_mul_f64_e32 v[14:15], v[150:151], v[14:15]
	v_fmac_f64_e32 v[178:179], v[6:7], v[152:153]
	v_fma_f64 v[184:185], v[4:5], v[152:153], -v[154:155]
	ds_load_b128 v[4:7], v2 offset:1312
	ds_load_b128 v[152:155], v2 offset:1328
	v_add_f64_e32 v[186:187], v[170:171], v[168:169]
	v_add_f64_e32 v[176:177], v[176:177], v[180:181]
	scratch_load_b128 v[168:171], off, off offset:624
	v_fmac_f64_e32 v[182:183], v[150:151], v[12:13]
	v_fma_f64 v[148:149], v[148:149], v[12:13], -v[14:15]
	scratch_load_b128 v[12:15], off, off offset:640
	s_wait_loadcnt_dscnt 0xb01
	v_mul_f64_e32 v[180:181], v[4:5], v[138:139]
	v_mul_f64_e32 v[138:139], v[6:7], v[138:139]
	v_add_f64_e32 v[150:151], v[186:187], v[184:185]
	v_add_f64_e32 v[176:177], v[176:177], v[178:179]
	s_wait_loadcnt_dscnt 0xa00
	v_mul_f64_e32 v[178:179], v[152:153], v[130:131]
	v_mul_f64_e32 v[130:131], v[154:155], v[130:131]
	v_fmac_f64_e32 v[180:181], v[6:7], v[136:137]
	v_fma_f64 v[184:185], v[4:5], v[136:137], -v[138:139]
	ds_load_b128 v[4:7], v2 offset:1344
	ds_load_b128 v[136:139], v2 offset:1360
	v_add_f64_e32 v[186:187], v[150:151], v[148:149]
	v_add_f64_e32 v[176:177], v[176:177], v[182:183]
	scratch_load_b128 v[148:151], off, off offset:656
	s_wait_loadcnt_dscnt 0xa01
	v_mul_f64_e32 v[182:183], v[4:5], v[146:147]
	v_mul_f64_e32 v[146:147], v[6:7], v[146:147]
	v_fmac_f64_e32 v[178:179], v[154:155], v[128:129]
	v_fma_f64 v[152:153], v[152:153], v[128:129], -v[130:131]
	scratch_load_b128 v[128:131], off, off offset:672
	v_add_f64_e32 v[154:155], v[186:187], v[184:185]
	v_add_f64_e32 v[176:177], v[176:177], v[180:181]
	s_wait_loadcnt_dscnt 0xa00
	v_mul_f64_e32 v[180:181], v[136:137], v[134:135]
	v_mul_f64_e32 v[134:135], v[138:139], v[134:135]
	v_fmac_f64_e32 v[182:183], v[6:7], v[144:145]
	v_fma_f64 v[184:185], v[4:5], v[144:145], -v[146:147]
	ds_load_b128 v[4:7], v2 offset:1376
	ds_load_b128 v[144:147], v2 offset:1392
	v_add_f64_e32 v[186:187], v[154:155], v[152:153]
	v_add_f64_e32 v[176:177], v[176:177], v[178:179]
	scratch_load_b128 v[152:155], off, off offset:688
	s_wait_loadcnt_dscnt 0xa01
	v_mul_f64_e32 v[178:179], v[4:5], v[158:159]
	v_mul_f64_e32 v[158:159], v[6:7], v[158:159]
	v_fmac_f64_e32 v[180:181], v[138:139], v[132:133]
	v_fma_f64 v[136:137], v[136:137], v[132:133], -v[134:135]
	scratch_load_b128 v[132:135], off, off offset:704
	v_add_f64_e32 v[138:139], v[186:187], v[184:185]
	v_add_f64_e32 v[176:177], v[176:177], v[182:183]
	s_wait_loadcnt_dscnt 0xa00
	v_mul_f64_e32 v[182:183], v[144:145], v[142:143]
	v_mul_f64_e32 v[142:143], v[146:147], v[142:143]
	v_fmac_f64_e32 v[178:179], v[6:7], v[156:157]
	v_fma_f64 v[184:185], v[4:5], v[156:157], -v[158:159]
	v_add_f64_e32 v[186:187], v[138:139], v[136:137]
	v_add_f64_e32 v[176:177], v[176:177], v[180:181]
	ds_load_b128 v[4:7], v2 offset:1408
	ds_load_b128 v[136:139], v2 offset:1424
	scratch_load_b128 v[156:159], off, off offset:720
	v_fmac_f64_e32 v[182:183], v[146:147], v[140:141]
	v_fma_f64 v[144:145], v[144:145], v[140:141], -v[142:143]
	scratch_load_b128 v[140:143], off, off offset:736
	s_wait_loadcnt_dscnt 0xb01
	v_mul_f64_e32 v[180:181], v[4:5], v[174:175]
	v_mul_f64_e32 v[174:175], v[6:7], v[174:175]
	v_add_f64_e32 v[146:147], v[186:187], v[184:185]
	v_add_f64_e32 v[176:177], v[176:177], v[178:179]
	s_wait_loadcnt_dscnt 0xa00
	v_mul_f64_e32 v[178:179], v[136:137], v[10:11]
	v_mul_f64_e32 v[10:11], v[138:139], v[10:11]
	v_fmac_f64_e32 v[180:181], v[6:7], v[172:173]
	v_fma_f64 v[184:185], v[4:5], v[172:173], -v[174:175]
	v_add_f64_e32 v[186:187], v[146:147], v[144:145]
	v_add_f64_e32 v[176:177], v[176:177], v[182:183]
	ds_load_b128 v[4:7], v2 offset:1440
	ds_load_b128 v[144:147], v2 offset:1456
	scratch_load_b128 v[172:175], off, off offset:752
	v_fmac_f64_e32 v[178:179], v[138:139], v[8:9]
	v_fma_f64 v[136:137], v[136:137], v[8:9], -v[10:11]
	scratch_load_b128 v[8:11], off, off offset:768
	s_wait_loadcnt_dscnt 0xb01
	v_mul_f64_e32 v[182:183], v[4:5], v[162:163]
	v_mul_f64_e32 v[162:163], v[6:7], v[162:163]
	;; [unrolled: 18-line block ×4, first 2 shown]
	v_add_f64_e32 v[138:139], v[186:187], v[184:185]
	v_add_f64_e32 v[176:177], v[176:177], v[178:179]
	s_wait_loadcnt_dscnt 0xa00
	v_mul_f64_e32 v[178:179], v[144:145], v[130:131]
	v_mul_f64_e32 v[130:131], v[146:147], v[130:131]
	v_fmac_f64_e32 v[180:181], v[6:7], v[148:149]
	v_fma_f64 v[148:149], v[4:5], v[148:149], -v[150:151]
	v_add_f64_e32 v[150:151], v[138:139], v[136:137]
	v_add_f64_e32 v[176:177], v[176:177], v[182:183]
	ds_load_b128 v[4:7], v2 offset:1536
	ds_load_b128 v[136:139], v2 offset:1552
	v_fmac_f64_e32 v[178:179], v[146:147], v[128:129]
	v_fma_f64 v[128:129], v[144:145], v[128:129], -v[130:131]
	s_wait_loadcnt_dscnt 0x901
	v_mul_f64_e32 v[182:183], v[4:5], v[154:155]
	v_mul_f64_e32 v[154:155], v[6:7], v[154:155]
	s_wait_loadcnt_dscnt 0x800
	v_mul_f64_e32 v[146:147], v[136:137], v[134:135]
	v_mul_f64_e32 v[134:135], v[138:139], v[134:135]
	v_add_f64_e32 v[130:131], v[150:151], v[148:149]
	v_add_f64_e32 v[144:145], v[176:177], v[180:181]
	v_fmac_f64_e32 v[182:183], v[6:7], v[152:153]
	v_fma_f64 v[148:149], v[4:5], v[152:153], -v[154:155]
	v_fmac_f64_e32 v[146:147], v[138:139], v[132:133]
	v_fma_f64 v[132:133], v[136:137], v[132:133], -v[134:135]
	v_add_f64_e32 v[150:151], v[130:131], v[128:129]
	v_add_f64_e32 v[144:145], v[144:145], v[178:179]
	ds_load_b128 v[4:7], v2 offset:1568
	ds_load_b128 v[128:131], v2 offset:1584
	s_wait_loadcnt_dscnt 0x701
	v_mul_f64_e32 v[152:153], v[4:5], v[158:159]
	v_mul_f64_e32 v[154:155], v[6:7], v[158:159]
	s_wait_loadcnt_dscnt 0x600
	v_mul_f64_e32 v[138:139], v[128:129], v[142:143]
	v_mul_f64_e32 v[142:143], v[130:131], v[142:143]
	v_add_f64_e32 v[134:135], v[150:151], v[148:149]
	v_add_f64_e32 v[136:137], v[144:145], v[182:183]
	v_fmac_f64_e32 v[152:153], v[6:7], v[156:157]
	v_fma_f64 v[144:145], v[4:5], v[156:157], -v[154:155]
	v_fmac_f64_e32 v[138:139], v[130:131], v[140:141]
	v_fma_f64 v[128:129], v[128:129], v[140:141], -v[142:143]
	v_add_f64_e32 v[148:149], v[134:135], v[132:133]
	v_add_f64_e32 v[136:137], v[136:137], v[146:147]
	ds_load_b128 v[4:7], v2 offset:1600
	ds_load_b128 v[132:135], v2 offset:1616
	;; [unrolled: 16-line block ×4, first 2 shown]
	s_wait_loadcnt_dscnt 0x101
	v_mul_f64_e32 v[2:3], v[4:5], v[170:171]
	v_mul_f64_e32 v[140:141], v[6:7], v[170:171]
	s_wait_loadcnt_dscnt 0x0
	v_mul_f64_e32 v[130:131], v[8:9], v[14:15]
	v_mul_f64_e32 v[14:15], v[10:11], v[14:15]
	v_add_f64_e32 v[126:127], v[142:143], v[136:137]
	v_add_f64_e32 v[128:129], v[132:133], v[138:139]
	v_fmac_f64_e32 v[2:3], v[6:7], v[168:169]
	v_fma_f64 v[4:5], v[4:5], v[168:169], -v[140:141]
	v_fmac_f64_e32 v[130:131], v[10:11], v[12:13]
	v_fma_f64 v[8:9], v[8:9], v[12:13], -v[14:15]
	v_add_f64_e32 v[6:7], v[126:127], v[124:125]
	v_add_f64_e32 v[124:125], v[128:129], v[134:135]
	s_delay_alu instid0(VALU_DEP_2) | instskip(NEXT) | instid1(VALU_DEP_2)
	v_add_f64_e32 v[4:5], v[6:7], v[4:5]
	v_add_f64_e32 v[2:3], v[124:125], v[2:3]
	s_delay_alu instid0(VALU_DEP_2) | instskip(NEXT) | instid1(VALU_DEP_2)
	v_add_f64_e32 v[4:5], v[4:5], v[8:9]
	v_add_f64_e32 v[6:7], v[2:3], v[130:131]
	s_delay_alu instid0(VALU_DEP_2) | instskip(NEXT) | instid1(VALU_DEP_2)
	v_add_f64_e64 v[2:3], v[164:165], -v[4:5]
	v_add_f64_e64 v[4:5], v[166:167], -v[6:7]
	scratch_store_b128 off, v[2:5], off offset:160
	s_wait_xcnt 0x0
	v_cmpx_lt_u32_e32 9, v1
	s_cbranch_execz .LBB116_313
; %bb.312:
	scratch_load_b128 v[2:5], off, s60
	v_mov_b32_e32 v6, 0
	s_delay_alu instid0(VALU_DEP_1)
	v_dual_mov_b32 v7, v6 :: v_dual_mov_b32 v8, v6
	v_mov_b32_e32 v9, v6
	scratch_store_b128 off, v[6:9], off offset:144
	s_wait_loadcnt 0x0
	ds_store_b128 v122, v[2:5]
.LBB116_313:
	s_wait_xcnt 0x0
	s_or_b32 exec_lo, exec_lo, s2
	s_wait_storecnt_dscnt 0x0
	s_barrier_signal -1
	s_barrier_wait -1
	s_clause 0x9
	scratch_load_b128 v[4:7], off, off offset:160
	scratch_load_b128 v[8:11], off, off offset:176
	;; [unrolled: 1-line block ×10, first 2 shown]
	v_mov_b32_e32 v2, 0
	s_mov_b32 s2, exec_lo
	ds_load_b128 v[152:155], v2 offset:1008
	s_clause 0x2
	scratch_load_b128 v[156:159], off, off offset:320
	scratch_load_b128 v[160:163], off, off offset:144
	;; [unrolled: 1-line block ×3, first 2 shown]
	s_wait_loadcnt_dscnt 0xc00
	v_mul_f64_e32 v[172:173], v[154:155], v[6:7]
	v_mul_f64_e32 v[176:177], v[152:153], v[6:7]
	ds_load_b128 v[164:167], v2 offset:1024
	v_fma_f64 v[180:181], v[152:153], v[4:5], -v[172:173]
	v_fmac_f64_e32 v[176:177], v[154:155], v[4:5]
	ds_load_b128 v[4:7], v2 offset:1040
	s_wait_loadcnt_dscnt 0xb01
	v_mul_f64_e32 v[178:179], v[164:165], v[10:11]
	v_mul_f64_e32 v[10:11], v[166:167], v[10:11]
	scratch_load_b128 v[152:155], off, off offset:352
	ds_load_b128 v[172:175], v2 offset:1056
	s_wait_loadcnt_dscnt 0xb01
	v_mul_f64_e32 v[182:183], v[4:5], v[14:15]
	v_mul_f64_e32 v[14:15], v[6:7], v[14:15]
	v_add_f64_e32 v[176:177], 0, v[176:177]
	v_fmac_f64_e32 v[178:179], v[166:167], v[8:9]
	v_fma_f64 v[164:165], v[164:165], v[8:9], -v[10:11]
	v_add_f64_e32 v[166:167], 0, v[180:181]
	scratch_load_b128 v[8:11], off, off offset:368
	v_fmac_f64_e32 v[182:183], v[6:7], v[12:13]
	v_fma_f64 v[184:185], v[4:5], v[12:13], -v[14:15]
	ds_load_b128 v[4:7], v2 offset:1072
	s_wait_loadcnt_dscnt 0xb01
	v_mul_f64_e32 v[180:181], v[172:173], v[126:127]
	v_mul_f64_e32 v[126:127], v[174:175], v[126:127]
	scratch_load_b128 v[12:15], off, off offset:384
	v_add_f64_e32 v[176:177], v[176:177], v[178:179]
	v_add_f64_e32 v[186:187], v[166:167], v[164:165]
	ds_load_b128 v[164:167], v2 offset:1088
	s_wait_loadcnt_dscnt 0xb01
	v_mul_f64_e32 v[178:179], v[4:5], v[130:131]
	v_mul_f64_e32 v[130:131], v[6:7], v[130:131]
	v_fmac_f64_e32 v[180:181], v[174:175], v[124:125]
	v_fma_f64 v[172:173], v[172:173], v[124:125], -v[126:127]
	scratch_load_b128 v[124:127], off, off offset:400
	v_add_f64_e32 v[176:177], v[176:177], v[182:183]
	v_add_f64_e32 v[174:175], v[186:187], v[184:185]
	v_fmac_f64_e32 v[178:179], v[6:7], v[128:129]
	v_fma_f64 v[184:185], v[4:5], v[128:129], -v[130:131]
	ds_load_b128 v[4:7], v2 offset:1104
	s_wait_loadcnt_dscnt 0xb01
	v_mul_f64_e32 v[182:183], v[164:165], v[134:135]
	v_mul_f64_e32 v[134:135], v[166:167], v[134:135]
	scratch_load_b128 v[128:131], off, off offset:416
	v_add_f64_e32 v[176:177], v[176:177], v[180:181]
	s_wait_loadcnt_dscnt 0xb00
	v_mul_f64_e32 v[180:181], v[4:5], v[138:139]
	v_add_f64_e32 v[186:187], v[174:175], v[172:173]
	v_mul_f64_e32 v[138:139], v[6:7], v[138:139]
	ds_load_b128 v[172:175], v2 offset:1120
	v_fmac_f64_e32 v[182:183], v[166:167], v[132:133]
	v_fma_f64 v[164:165], v[164:165], v[132:133], -v[134:135]
	scratch_load_b128 v[132:135], off, off offset:432
	v_add_f64_e32 v[176:177], v[176:177], v[178:179]
	v_fmac_f64_e32 v[180:181], v[6:7], v[136:137]
	v_add_f64_e32 v[166:167], v[186:187], v[184:185]
	v_fma_f64 v[184:185], v[4:5], v[136:137], -v[138:139]
	ds_load_b128 v[4:7], v2 offset:1136
	s_wait_loadcnt_dscnt 0xb01
	v_mul_f64_e32 v[178:179], v[172:173], v[142:143]
	v_mul_f64_e32 v[142:143], v[174:175], v[142:143]
	scratch_load_b128 v[136:139], off, off offset:448
	v_add_f64_e32 v[176:177], v[176:177], v[182:183]
	s_wait_loadcnt_dscnt 0xb00
	v_mul_f64_e32 v[182:183], v[4:5], v[146:147]
	v_add_f64_e32 v[186:187], v[166:167], v[164:165]
	v_mul_f64_e32 v[146:147], v[6:7], v[146:147]
	ds_load_b128 v[164:167], v2 offset:1152
	v_fmac_f64_e32 v[178:179], v[174:175], v[140:141]
	v_fma_f64 v[172:173], v[172:173], v[140:141], -v[142:143]
	scratch_load_b128 v[140:143], off, off offset:464
	v_add_f64_e32 v[176:177], v[176:177], v[180:181]
	v_fmac_f64_e32 v[182:183], v[6:7], v[144:145]
	v_add_f64_e32 v[174:175], v[186:187], v[184:185]
	;; [unrolled: 18-line block ×3, first 2 shown]
	v_fma_f64 v[184:185], v[4:5], v[156:157], -v[158:159]
	ds_load_b128 v[4:7], v2 offset:1200
	s_wait_loadcnt_dscnt 0xa01
	v_mul_f64_e32 v[182:183], v[172:173], v[170:171]
	v_mul_f64_e32 v[170:171], v[174:175], v[170:171]
	scratch_load_b128 v[156:159], off, off offset:512
	v_add_f64_e32 v[176:177], v[176:177], v[180:181]
	v_add_f64_e32 v[186:187], v[166:167], v[164:165]
	s_wait_loadcnt_dscnt 0xa00
	v_mul_f64_e32 v[180:181], v[4:5], v[154:155]
	v_mul_f64_e32 v[154:155], v[6:7], v[154:155]
	v_fmac_f64_e32 v[182:183], v[174:175], v[168:169]
	v_fma_f64 v[172:173], v[172:173], v[168:169], -v[170:171]
	ds_load_b128 v[164:167], v2 offset:1216
	scratch_load_b128 v[168:171], off, off offset:528
	v_add_f64_e32 v[176:177], v[176:177], v[178:179]
	v_add_f64_e32 v[174:175], v[186:187], v[184:185]
	v_fmac_f64_e32 v[180:181], v[6:7], v[152:153]
	v_fma_f64 v[184:185], v[4:5], v[152:153], -v[154:155]
	ds_load_b128 v[4:7], v2 offset:1232
	s_wait_loadcnt_dscnt 0xa01
	v_mul_f64_e32 v[178:179], v[164:165], v[10:11]
	v_mul_f64_e32 v[10:11], v[166:167], v[10:11]
	scratch_load_b128 v[152:155], off, off offset:544
	v_add_f64_e32 v[176:177], v[176:177], v[182:183]
	s_wait_loadcnt_dscnt 0xa00
	v_mul_f64_e32 v[182:183], v[4:5], v[14:15]
	v_add_f64_e32 v[186:187], v[174:175], v[172:173]
	v_mul_f64_e32 v[14:15], v[6:7], v[14:15]
	ds_load_b128 v[172:175], v2 offset:1248
	v_fmac_f64_e32 v[178:179], v[166:167], v[8:9]
	v_fma_f64 v[164:165], v[164:165], v[8:9], -v[10:11]
	scratch_load_b128 v[8:11], off, off offset:560
	v_add_f64_e32 v[176:177], v[176:177], v[180:181]
	v_fmac_f64_e32 v[182:183], v[6:7], v[12:13]
	v_add_f64_e32 v[166:167], v[186:187], v[184:185]
	v_fma_f64 v[184:185], v[4:5], v[12:13], -v[14:15]
	ds_load_b128 v[4:7], v2 offset:1264
	s_wait_loadcnt_dscnt 0xa01
	v_mul_f64_e32 v[180:181], v[172:173], v[126:127]
	v_mul_f64_e32 v[126:127], v[174:175], v[126:127]
	scratch_load_b128 v[12:15], off, off offset:576
	v_add_f64_e32 v[176:177], v[176:177], v[178:179]
	s_wait_loadcnt_dscnt 0xa00
	v_mul_f64_e32 v[178:179], v[4:5], v[130:131]
	v_add_f64_e32 v[186:187], v[166:167], v[164:165]
	v_mul_f64_e32 v[130:131], v[6:7], v[130:131]
	ds_load_b128 v[164:167], v2 offset:1280
	v_fmac_f64_e32 v[180:181], v[174:175], v[124:125]
	v_fma_f64 v[172:173], v[172:173], v[124:125], -v[126:127]
	scratch_load_b128 v[124:127], off, off offset:592
	v_add_f64_e32 v[176:177], v[176:177], v[182:183]
	v_fmac_f64_e32 v[178:179], v[6:7], v[128:129]
	v_add_f64_e32 v[174:175], v[186:187], v[184:185]
	;; [unrolled: 18-line block ×9, first 2 shown]
	v_fma_f64 v[184:185], v[4:5], v[136:137], -v[138:139]
	ds_load_b128 v[4:7], v2 offset:1520
	s_wait_loadcnt_dscnt 0xa01
	v_mul_f64_e32 v[178:179], v[172:173], v[142:143]
	v_mul_f64_e32 v[142:143], v[174:175], v[142:143]
	scratch_load_b128 v[136:139], off, off offset:832
	v_add_f64_e32 v[176:177], v[176:177], v[182:183]
	s_wait_loadcnt_dscnt 0xa00
	v_mul_f64_e32 v[182:183], v[4:5], v[146:147]
	v_add_f64_e32 v[186:187], v[166:167], v[164:165]
	v_mul_f64_e32 v[146:147], v[6:7], v[146:147]
	ds_load_b128 v[164:167], v2 offset:1536
	v_fmac_f64_e32 v[178:179], v[174:175], v[140:141]
	v_fma_f64 v[140:141], v[172:173], v[140:141], -v[142:143]
	s_wait_loadcnt_dscnt 0x900
	v_mul_f64_e32 v[174:175], v[164:165], v[150:151]
	v_mul_f64_e32 v[150:151], v[166:167], v[150:151]
	v_add_f64_e32 v[172:173], v[176:177], v[180:181]
	v_fmac_f64_e32 v[182:183], v[6:7], v[144:145]
	v_add_f64_e32 v[142:143], v[186:187], v[184:185]
	v_fma_f64 v[144:145], v[4:5], v[144:145], -v[146:147]
	v_fmac_f64_e32 v[174:175], v[166:167], v[148:149]
	v_fma_f64 v[148:149], v[164:165], v[148:149], -v[150:151]
	v_add_f64_e32 v[172:173], v[172:173], v[178:179]
	v_add_f64_e32 v[146:147], v[142:143], v[140:141]
	ds_load_b128 v[4:7], v2 offset:1552
	ds_load_b128 v[140:143], v2 offset:1568
	s_wait_loadcnt_dscnt 0x801
	v_mul_f64_e32 v[176:177], v[4:5], v[158:159]
	v_mul_f64_e32 v[158:159], v[6:7], v[158:159]
	s_wait_loadcnt_dscnt 0x700
	v_mul_f64_e32 v[150:151], v[140:141], v[170:171]
	v_mul_f64_e32 v[164:165], v[142:143], v[170:171]
	v_add_f64_e32 v[144:145], v[146:147], v[144:145]
	v_add_f64_e32 v[146:147], v[172:173], v[182:183]
	v_fmac_f64_e32 v[176:177], v[6:7], v[156:157]
	v_fma_f64 v[156:157], v[4:5], v[156:157], -v[158:159]
	v_fmac_f64_e32 v[150:151], v[142:143], v[168:169]
	v_fma_f64 v[140:141], v[140:141], v[168:169], -v[164:165]
	v_add_f64_e32 v[148:149], v[144:145], v[148:149]
	v_add_f64_e32 v[158:159], v[146:147], v[174:175]
	ds_load_b128 v[4:7], v2 offset:1584
	ds_load_b128 v[144:147], v2 offset:1600
	s_wait_loadcnt_dscnt 0x601
	v_mul_f64_e32 v[166:167], v[4:5], v[154:155]
	v_mul_f64_e32 v[154:155], v[6:7], v[154:155]
	v_add_f64_e32 v[142:143], v[148:149], v[156:157]
	v_add_f64_e32 v[148:149], v[158:159], v[176:177]
	s_wait_loadcnt_dscnt 0x500
	v_mul_f64_e32 v[156:157], v[144:145], v[10:11]
	v_mul_f64_e32 v[10:11], v[146:147], v[10:11]
	v_fmac_f64_e32 v[166:167], v[6:7], v[152:153]
	v_fma_f64 v[152:153], v[4:5], v[152:153], -v[154:155]
	v_add_f64_e32 v[154:155], v[142:143], v[140:141]
	v_add_f64_e32 v[148:149], v[148:149], v[150:151]
	ds_load_b128 v[4:7], v2 offset:1616
	ds_load_b128 v[140:143], v2 offset:1632
	v_fmac_f64_e32 v[156:157], v[146:147], v[8:9]
	v_fma_f64 v[8:9], v[144:145], v[8:9], -v[10:11]
	s_wait_loadcnt_dscnt 0x401
	v_mul_f64_e32 v[150:151], v[4:5], v[14:15]
	v_mul_f64_e32 v[14:15], v[6:7], v[14:15]
	s_wait_loadcnt_dscnt 0x300
	v_mul_f64_e32 v[146:147], v[140:141], v[126:127]
	v_mul_f64_e32 v[126:127], v[142:143], v[126:127]
	v_add_f64_e32 v[10:11], v[154:155], v[152:153]
	v_add_f64_e32 v[144:145], v[148:149], v[166:167]
	v_fmac_f64_e32 v[150:151], v[6:7], v[12:13]
	v_fma_f64 v[12:13], v[4:5], v[12:13], -v[14:15]
	v_fmac_f64_e32 v[146:147], v[142:143], v[124:125]
	v_fma_f64 v[124:125], v[140:141], v[124:125], -v[126:127]
	v_add_f64_e32 v[14:15], v[10:11], v[8:9]
	v_add_f64_e32 v[144:145], v[144:145], v[156:157]
	ds_load_b128 v[4:7], v2 offset:1648
	ds_load_b128 v[8:11], v2 offset:1664
	s_wait_loadcnt_dscnt 0x201
	v_mul_f64_e32 v[148:149], v[4:5], v[130:131]
	v_mul_f64_e32 v[130:131], v[6:7], v[130:131]
	s_wait_loadcnt_dscnt 0x100
	v_mul_f64_e32 v[126:127], v[8:9], v[134:135]
	v_mul_f64_e32 v[134:135], v[10:11], v[134:135]
	v_add_f64_e32 v[12:13], v[14:15], v[12:13]
	v_add_f64_e32 v[14:15], v[144:145], v[150:151]
	v_fmac_f64_e32 v[148:149], v[6:7], v[128:129]
	v_fma_f64 v[128:129], v[4:5], v[128:129], -v[130:131]
	ds_load_b128 v[4:7], v2 offset:1680
	v_fmac_f64_e32 v[126:127], v[10:11], v[132:133]
	v_fma_f64 v[8:9], v[8:9], v[132:133], -v[134:135]
	v_add_f64_e32 v[12:13], v[12:13], v[124:125]
	v_add_f64_e32 v[14:15], v[14:15], v[146:147]
	s_wait_loadcnt_dscnt 0x0
	v_mul_f64_e32 v[124:125], v[4:5], v[138:139]
	v_mul_f64_e32 v[130:131], v[6:7], v[138:139]
	s_delay_alu instid0(VALU_DEP_4) | instskip(NEXT) | instid1(VALU_DEP_4)
	v_add_f64_e32 v[10:11], v[12:13], v[128:129]
	v_add_f64_e32 v[12:13], v[14:15], v[148:149]
	s_delay_alu instid0(VALU_DEP_4) | instskip(NEXT) | instid1(VALU_DEP_4)
	v_fmac_f64_e32 v[124:125], v[6:7], v[136:137]
	v_fma_f64 v[4:5], v[4:5], v[136:137], -v[130:131]
	s_delay_alu instid0(VALU_DEP_4) | instskip(NEXT) | instid1(VALU_DEP_4)
	v_add_f64_e32 v[6:7], v[10:11], v[8:9]
	v_add_f64_e32 v[8:9], v[12:13], v[126:127]
	s_delay_alu instid0(VALU_DEP_2) | instskip(NEXT) | instid1(VALU_DEP_2)
	v_add_f64_e32 v[4:5], v[6:7], v[4:5]
	v_add_f64_e32 v[6:7], v[8:9], v[124:125]
	s_delay_alu instid0(VALU_DEP_2) | instskip(NEXT) | instid1(VALU_DEP_2)
	v_add_f64_e64 v[4:5], v[160:161], -v[4:5]
	v_add_f64_e64 v[6:7], v[162:163], -v[6:7]
	scratch_store_b128 off, v[4:7], off offset:144
	s_wait_xcnt 0x0
	v_cmpx_lt_u32_e32 8, v1
	s_cbranch_execz .LBB116_315
; %bb.314:
	scratch_load_b128 v[6:9], off, s61
	v_dual_mov_b32 v3, v2 :: v_dual_mov_b32 v4, v2
	v_mov_b32_e32 v5, v2
	scratch_store_b128 off, v[2:5], off offset:128
	s_wait_loadcnt 0x0
	ds_store_b128 v122, v[6:9]
.LBB116_315:
	s_wait_xcnt 0x0
	s_or_b32 exec_lo, exec_lo, s2
	s_wait_storecnt_dscnt 0x0
	s_barrier_signal -1
	s_barrier_wait -1
	s_clause 0x9
	scratch_load_b128 v[4:7], off, off offset:144
	scratch_load_b128 v[8:11], off, off offset:160
	;; [unrolled: 1-line block ×10, first 2 shown]
	ds_load_b128 v[152:155], v2 offset:992
	ds_load_b128 v[160:163], v2 offset:1008
	s_clause 0x2
	scratch_load_b128 v[156:159], off, off offset:304
	scratch_load_b128 v[164:167], off, off offset:128
	;; [unrolled: 1-line block ×3, first 2 shown]
	s_mov_b32 s2, exec_lo
	s_wait_loadcnt_dscnt 0xc01
	v_mul_f64_e32 v[172:173], v[154:155], v[6:7]
	v_mul_f64_e32 v[176:177], v[152:153], v[6:7]
	s_wait_loadcnt_dscnt 0xb00
	v_mul_f64_e32 v[178:179], v[160:161], v[10:11]
	v_mul_f64_e32 v[10:11], v[162:163], v[10:11]
	s_delay_alu instid0(VALU_DEP_4) | instskip(NEXT) | instid1(VALU_DEP_4)
	v_fma_f64 v[180:181], v[152:153], v[4:5], -v[172:173]
	v_fmac_f64_e32 v[176:177], v[154:155], v[4:5]
	ds_load_b128 v[4:7], v2 offset:1024
	ds_load_b128 v[152:155], v2 offset:1040
	scratch_load_b128 v[172:175], off, off offset:336
	v_fmac_f64_e32 v[178:179], v[162:163], v[8:9]
	v_fma_f64 v[160:161], v[160:161], v[8:9], -v[10:11]
	scratch_load_b128 v[8:11], off, off offset:352
	s_wait_loadcnt_dscnt 0xc01
	v_mul_f64_e32 v[182:183], v[4:5], v[14:15]
	v_mul_f64_e32 v[14:15], v[6:7], v[14:15]
	v_add_f64_e32 v[162:163], 0, v[180:181]
	v_add_f64_e32 v[176:177], 0, v[176:177]
	s_wait_loadcnt_dscnt 0xb00
	v_mul_f64_e32 v[180:181], v[152:153], v[126:127]
	v_mul_f64_e32 v[126:127], v[154:155], v[126:127]
	v_fmac_f64_e32 v[182:183], v[6:7], v[12:13]
	v_fma_f64 v[184:185], v[4:5], v[12:13], -v[14:15]
	ds_load_b128 v[4:7], v2 offset:1056
	ds_load_b128 v[12:15], v2 offset:1072
	v_add_f64_e32 v[186:187], v[162:163], v[160:161]
	v_add_f64_e32 v[176:177], v[176:177], v[178:179]
	scratch_load_b128 v[160:163], off, off offset:368
	v_fmac_f64_e32 v[180:181], v[154:155], v[124:125]
	v_fma_f64 v[152:153], v[152:153], v[124:125], -v[126:127]
	scratch_load_b128 v[124:127], off, off offset:384
	s_wait_loadcnt_dscnt 0xc01
	v_mul_f64_e32 v[178:179], v[4:5], v[130:131]
	v_mul_f64_e32 v[130:131], v[6:7], v[130:131]
	v_add_f64_e32 v[154:155], v[186:187], v[184:185]
	v_add_f64_e32 v[176:177], v[176:177], v[182:183]
	s_wait_loadcnt_dscnt 0xb00
	v_mul_f64_e32 v[182:183], v[12:13], v[134:135]
	v_mul_f64_e32 v[134:135], v[14:15], v[134:135]
	v_fmac_f64_e32 v[178:179], v[6:7], v[128:129]
	v_fma_f64 v[184:185], v[4:5], v[128:129], -v[130:131]
	ds_load_b128 v[4:7], v2 offset:1088
	ds_load_b128 v[128:131], v2 offset:1104
	v_add_f64_e32 v[186:187], v[154:155], v[152:153]
	v_add_f64_e32 v[176:177], v[176:177], v[180:181]
	scratch_load_b128 v[152:155], off, off offset:400
	s_wait_loadcnt_dscnt 0xb01
	v_mul_f64_e32 v[180:181], v[4:5], v[138:139]
	v_mul_f64_e32 v[138:139], v[6:7], v[138:139]
	v_fmac_f64_e32 v[182:183], v[14:15], v[132:133]
	v_fma_f64 v[132:133], v[12:13], v[132:133], -v[134:135]
	scratch_load_b128 v[12:15], off, off offset:416
	v_add_f64_e32 v[134:135], v[186:187], v[184:185]
	v_add_f64_e32 v[176:177], v[176:177], v[178:179]
	s_wait_loadcnt_dscnt 0xb00
	v_mul_f64_e32 v[178:179], v[128:129], v[142:143]
	v_mul_f64_e32 v[142:143], v[130:131], v[142:143]
	v_fmac_f64_e32 v[180:181], v[6:7], v[136:137]
	v_fma_f64 v[184:185], v[4:5], v[136:137], -v[138:139]
	v_add_f64_e32 v[186:187], v[134:135], v[132:133]
	v_add_f64_e32 v[176:177], v[176:177], v[182:183]
	ds_load_b128 v[4:7], v2 offset:1120
	ds_load_b128 v[132:135], v2 offset:1136
	scratch_load_b128 v[136:139], off, off offset:432
	v_fmac_f64_e32 v[178:179], v[130:131], v[140:141]
	v_fma_f64 v[140:141], v[128:129], v[140:141], -v[142:143]
	scratch_load_b128 v[128:131], off, off offset:448
	s_wait_loadcnt_dscnt 0xc01
	v_mul_f64_e32 v[182:183], v[4:5], v[146:147]
	v_mul_f64_e32 v[146:147], v[6:7], v[146:147]
	v_add_f64_e32 v[142:143], v[186:187], v[184:185]
	v_add_f64_e32 v[176:177], v[176:177], v[180:181]
	s_wait_loadcnt_dscnt 0xb00
	v_mul_f64_e32 v[180:181], v[132:133], v[150:151]
	v_mul_f64_e32 v[150:151], v[134:135], v[150:151]
	v_fmac_f64_e32 v[182:183], v[6:7], v[144:145]
	v_fma_f64 v[184:185], v[4:5], v[144:145], -v[146:147]
	v_add_f64_e32 v[186:187], v[142:143], v[140:141]
	v_add_f64_e32 v[176:177], v[176:177], v[178:179]
	ds_load_b128 v[4:7], v2 offset:1152
	ds_load_b128 v[140:143], v2 offset:1168
	scratch_load_b128 v[144:147], off, off offset:464
	v_fmac_f64_e32 v[180:181], v[134:135], v[148:149]
	v_fma_f64 v[148:149], v[132:133], v[148:149], -v[150:151]
	scratch_load_b128 v[132:135], off, off offset:480
	s_wait_loadcnt_dscnt 0xc01
	v_mul_f64_e32 v[178:179], v[4:5], v[158:159]
	v_mul_f64_e32 v[158:159], v[6:7], v[158:159]
	;; [unrolled: 18-line block ×5, first 2 shown]
	v_add_f64_e32 v[170:171], v[186:187], v[184:185]
	v_add_f64_e32 v[176:177], v[176:177], v[182:183]
	s_wait_loadcnt_dscnt 0xa00
	v_mul_f64_e32 v[182:183], v[148:149], v[14:15]
	v_mul_f64_e32 v[14:15], v[150:151], v[14:15]
	v_fmac_f64_e32 v[178:179], v[6:7], v[152:153]
	v_fma_f64 v[184:185], v[4:5], v[152:153], -v[154:155]
	ds_load_b128 v[4:7], v2 offset:1280
	ds_load_b128 v[152:155], v2 offset:1296
	v_add_f64_e32 v[186:187], v[170:171], v[168:169]
	v_add_f64_e32 v[176:177], v[176:177], v[180:181]
	scratch_load_b128 v[168:171], off, off offset:592
	v_fmac_f64_e32 v[182:183], v[150:151], v[12:13]
	v_fma_f64 v[148:149], v[148:149], v[12:13], -v[14:15]
	scratch_load_b128 v[12:15], off, off offset:608
	s_wait_loadcnt_dscnt 0xb01
	v_mul_f64_e32 v[180:181], v[4:5], v[138:139]
	v_mul_f64_e32 v[138:139], v[6:7], v[138:139]
	v_add_f64_e32 v[150:151], v[186:187], v[184:185]
	v_add_f64_e32 v[176:177], v[176:177], v[178:179]
	s_wait_loadcnt_dscnt 0xa00
	v_mul_f64_e32 v[178:179], v[152:153], v[130:131]
	v_mul_f64_e32 v[130:131], v[154:155], v[130:131]
	v_fmac_f64_e32 v[180:181], v[6:7], v[136:137]
	v_fma_f64 v[184:185], v[4:5], v[136:137], -v[138:139]
	ds_load_b128 v[4:7], v2 offset:1312
	ds_load_b128 v[136:139], v2 offset:1328
	v_add_f64_e32 v[186:187], v[150:151], v[148:149]
	v_add_f64_e32 v[176:177], v[176:177], v[182:183]
	scratch_load_b128 v[148:151], off, off offset:624
	s_wait_loadcnt_dscnt 0xa01
	v_mul_f64_e32 v[182:183], v[4:5], v[146:147]
	v_mul_f64_e32 v[146:147], v[6:7], v[146:147]
	v_fmac_f64_e32 v[178:179], v[154:155], v[128:129]
	v_fma_f64 v[152:153], v[152:153], v[128:129], -v[130:131]
	scratch_load_b128 v[128:131], off, off offset:640
	v_add_f64_e32 v[154:155], v[186:187], v[184:185]
	v_add_f64_e32 v[176:177], v[176:177], v[180:181]
	s_wait_loadcnt_dscnt 0xa00
	v_mul_f64_e32 v[180:181], v[136:137], v[134:135]
	v_mul_f64_e32 v[134:135], v[138:139], v[134:135]
	v_fmac_f64_e32 v[182:183], v[6:7], v[144:145]
	v_fma_f64 v[184:185], v[4:5], v[144:145], -v[146:147]
	ds_load_b128 v[4:7], v2 offset:1344
	ds_load_b128 v[144:147], v2 offset:1360
	v_add_f64_e32 v[186:187], v[154:155], v[152:153]
	v_add_f64_e32 v[176:177], v[176:177], v[178:179]
	scratch_load_b128 v[152:155], off, off offset:656
	s_wait_loadcnt_dscnt 0xa01
	v_mul_f64_e32 v[178:179], v[4:5], v[158:159]
	v_mul_f64_e32 v[158:159], v[6:7], v[158:159]
	v_fmac_f64_e32 v[180:181], v[138:139], v[132:133]
	v_fma_f64 v[136:137], v[136:137], v[132:133], -v[134:135]
	scratch_load_b128 v[132:135], off, off offset:672
	v_add_f64_e32 v[138:139], v[186:187], v[184:185]
	v_add_f64_e32 v[176:177], v[176:177], v[182:183]
	s_wait_loadcnt_dscnt 0xa00
	v_mul_f64_e32 v[182:183], v[144:145], v[142:143]
	v_mul_f64_e32 v[142:143], v[146:147], v[142:143]
	v_fmac_f64_e32 v[178:179], v[6:7], v[156:157]
	v_fma_f64 v[184:185], v[4:5], v[156:157], -v[158:159]
	v_add_f64_e32 v[186:187], v[138:139], v[136:137]
	v_add_f64_e32 v[176:177], v[176:177], v[180:181]
	ds_load_b128 v[4:7], v2 offset:1376
	ds_load_b128 v[136:139], v2 offset:1392
	scratch_load_b128 v[156:159], off, off offset:688
	v_fmac_f64_e32 v[182:183], v[146:147], v[140:141]
	v_fma_f64 v[144:145], v[144:145], v[140:141], -v[142:143]
	scratch_load_b128 v[140:143], off, off offset:704
	s_wait_loadcnt_dscnt 0xb01
	v_mul_f64_e32 v[180:181], v[4:5], v[174:175]
	v_mul_f64_e32 v[174:175], v[6:7], v[174:175]
	v_add_f64_e32 v[146:147], v[186:187], v[184:185]
	v_add_f64_e32 v[176:177], v[176:177], v[178:179]
	s_wait_loadcnt_dscnt 0xa00
	v_mul_f64_e32 v[178:179], v[136:137], v[10:11]
	v_mul_f64_e32 v[10:11], v[138:139], v[10:11]
	v_fmac_f64_e32 v[180:181], v[6:7], v[172:173]
	v_fma_f64 v[184:185], v[4:5], v[172:173], -v[174:175]
	v_add_f64_e32 v[186:187], v[146:147], v[144:145]
	v_add_f64_e32 v[176:177], v[176:177], v[182:183]
	ds_load_b128 v[4:7], v2 offset:1408
	ds_load_b128 v[144:147], v2 offset:1424
	scratch_load_b128 v[172:175], off, off offset:720
	v_fmac_f64_e32 v[178:179], v[138:139], v[8:9]
	v_fma_f64 v[136:137], v[136:137], v[8:9], -v[10:11]
	scratch_load_b128 v[8:11], off, off offset:736
	s_wait_loadcnt_dscnt 0xb01
	v_mul_f64_e32 v[182:183], v[4:5], v[162:163]
	v_mul_f64_e32 v[162:163], v[6:7], v[162:163]
	;; [unrolled: 18-line block ×5, first 2 shown]
	v_add_f64_e32 v[146:147], v[186:187], v[184:185]
	v_add_f64_e32 v[176:177], v[176:177], v[180:181]
	s_wait_loadcnt_dscnt 0xa00
	v_mul_f64_e32 v[180:181], v[136:137], v[134:135]
	v_mul_f64_e32 v[134:135], v[138:139], v[134:135]
	v_fmac_f64_e32 v[182:183], v[6:7], v[152:153]
	v_fma_f64 v[152:153], v[4:5], v[152:153], -v[154:155]
	v_add_f64_e32 v[154:155], v[146:147], v[144:145]
	v_add_f64_e32 v[176:177], v[176:177], v[178:179]
	ds_load_b128 v[4:7], v2 offset:1536
	ds_load_b128 v[144:147], v2 offset:1552
	v_fmac_f64_e32 v[180:181], v[138:139], v[132:133]
	v_fma_f64 v[132:133], v[136:137], v[132:133], -v[134:135]
	s_wait_loadcnt_dscnt 0x901
	v_mul_f64_e32 v[178:179], v[4:5], v[158:159]
	v_mul_f64_e32 v[158:159], v[6:7], v[158:159]
	s_wait_loadcnt_dscnt 0x800
	v_mul_f64_e32 v[138:139], v[144:145], v[142:143]
	v_mul_f64_e32 v[142:143], v[146:147], v[142:143]
	v_add_f64_e32 v[134:135], v[154:155], v[152:153]
	v_add_f64_e32 v[136:137], v[176:177], v[182:183]
	v_fmac_f64_e32 v[178:179], v[6:7], v[156:157]
	v_fma_f64 v[152:153], v[4:5], v[156:157], -v[158:159]
	v_fmac_f64_e32 v[138:139], v[146:147], v[140:141]
	v_fma_f64 v[140:141], v[144:145], v[140:141], -v[142:143]
	v_add_f64_e32 v[154:155], v[134:135], v[132:133]
	v_add_f64_e32 v[136:137], v[136:137], v[180:181]
	ds_load_b128 v[4:7], v2 offset:1568
	ds_load_b128 v[132:135], v2 offset:1584
	s_wait_loadcnt_dscnt 0x701
	v_mul_f64_e32 v[156:157], v[4:5], v[174:175]
	v_mul_f64_e32 v[158:159], v[6:7], v[174:175]
	s_wait_loadcnt_dscnt 0x600
	v_mul_f64_e32 v[144:145], v[132:133], v[10:11]
	v_mul_f64_e32 v[10:11], v[134:135], v[10:11]
	v_add_f64_e32 v[142:143], v[154:155], v[152:153]
	v_add_f64_e32 v[136:137], v[136:137], v[178:179]
	v_fmac_f64_e32 v[156:157], v[6:7], v[172:173]
	v_fma_f64 v[146:147], v[4:5], v[172:173], -v[158:159]
	v_fmac_f64_e32 v[144:145], v[134:135], v[8:9]
	v_fma_f64 v[8:9], v[132:133], v[8:9], -v[10:11]
	v_add_f64_e32 v[140:141], v[142:143], v[140:141]
	v_add_f64_e32 v[142:143], v[136:137], v[138:139]
	ds_load_b128 v[4:7], v2 offset:1600
	ds_load_b128 v[136:139], v2 offset:1616
	;; [unrolled: 16-line block ×4, first 2 shown]
	s_wait_loadcnt_dscnt 0x101
	v_mul_f64_e32 v[2:3], v[4:5], v[150:151]
	v_mul_f64_e32 v[134:135], v[6:7], v[150:151]
	s_wait_loadcnt_dscnt 0x0
	v_mul_f64_e32 v[14:15], v[124:125], v[130:131]
	v_mul_f64_e32 v[130:131], v[126:127], v[130:131]
	v_add_f64_e32 v[10:11], v[140:141], v[138:139]
	v_add_f64_e32 v[12:13], v[132:133], v[144:145]
	v_fmac_f64_e32 v[2:3], v[6:7], v[148:149]
	v_fma_f64 v[4:5], v[4:5], v[148:149], -v[134:135]
	v_fmac_f64_e32 v[14:15], v[126:127], v[128:129]
	v_add_f64_e32 v[6:7], v[10:11], v[8:9]
	v_add_f64_e32 v[8:9], v[12:13], v[136:137]
	v_fma_f64 v[10:11], v[124:125], v[128:129], -v[130:131]
	s_delay_alu instid0(VALU_DEP_3) | instskip(NEXT) | instid1(VALU_DEP_3)
	v_add_f64_e32 v[4:5], v[6:7], v[4:5]
	v_add_f64_e32 v[2:3], v[8:9], v[2:3]
	s_delay_alu instid0(VALU_DEP_2) | instskip(NEXT) | instid1(VALU_DEP_2)
	v_add_f64_e32 v[4:5], v[4:5], v[10:11]
	v_add_f64_e32 v[6:7], v[2:3], v[14:15]
	s_delay_alu instid0(VALU_DEP_2) | instskip(NEXT) | instid1(VALU_DEP_2)
	v_add_f64_e64 v[2:3], v[164:165], -v[4:5]
	v_add_f64_e64 v[4:5], v[166:167], -v[6:7]
	scratch_store_b128 off, v[2:5], off offset:128
	s_wait_xcnt 0x0
	v_cmpx_lt_u32_e32 7, v1
	s_cbranch_execz .LBB116_317
; %bb.316:
	scratch_load_b128 v[2:5], off, s62
	v_mov_b32_e32 v6, 0
	s_delay_alu instid0(VALU_DEP_1)
	v_dual_mov_b32 v7, v6 :: v_dual_mov_b32 v8, v6
	v_mov_b32_e32 v9, v6
	scratch_store_b128 off, v[6:9], off offset:112
	s_wait_loadcnt 0x0
	ds_store_b128 v122, v[2:5]
.LBB116_317:
	s_wait_xcnt 0x0
	s_or_b32 exec_lo, exec_lo, s2
	s_wait_storecnt_dscnt 0x0
	s_barrier_signal -1
	s_barrier_wait -1
	s_clause 0x9
	scratch_load_b128 v[4:7], off, off offset:128
	scratch_load_b128 v[8:11], off, off offset:144
	;; [unrolled: 1-line block ×10, first 2 shown]
	v_mov_b32_e32 v2, 0
	s_mov_b32 s2, exec_lo
	ds_load_b128 v[152:155], v2 offset:976
	s_clause 0x2
	scratch_load_b128 v[156:159], off, off offset:288
	scratch_load_b128 v[160:163], off, off offset:112
	;; [unrolled: 1-line block ×3, first 2 shown]
	s_wait_loadcnt_dscnt 0xc00
	v_mul_f64_e32 v[172:173], v[154:155], v[6:7]
	v_mul_f64_e32 v[176:177], v[152:153], v[6:7]
	ds_load_b128 v[164:167], v2 offset:992
	v_fma_f64 v[180:181], v[152:153], v[4:5], -v[172:173]
	v_fmac_f64_e32 v[176:177], v[154:155], v[4:5]
	ds_load_b128 v[4:7], v2 offset:1008
	s_wait_loadcnt_dscnt 0xb01
	v_mul_f64_e32 v[178:179], v[164:165], v[10:11]
	v_mul_f64_e32 v[10:11], v[166:167], v[10:11]
	scratch_load_b128 v[152:155], off, off offset:320
	ds_load_b128 v[172:175], v2 offset:1024
	s_wait_loadcnt_dscnt 0xb01
	v_mul_f64_e32 v[182:183], v[4:5], v[14:15]
	v_mul_f64_e32 v[14:15], v[6:7], v[14:15]
	v_add_f64_e32 v[176:177], 0, v[176:177]
	v_fmac_f64_e32 v[178:179], v[166:167], v[8:9]
	v_fma_f64 v[164:165], v[164:165], v[8:9], -v[10:11]
	v_add_f64_e32 v[166:167], 0, v[180:181]
	scratch_load_b128 v[8:11], off, off offset:336
	v_fmac_f64_e32 v[182:183], v[6:7], v[12:13]
	v_fma_f64 v[184:185], v[4:5], v[12:13], -v[14:15]
	ds_load_b128 v[4:7], v2 offset:1040
	s_wait_loadcnt_dscnt 0xb01
	v_mul_f64_e32 v[180:181], v[172:173], v[126:127]
	v_mul_f64_e32 v[126:127], v[174:175], v[126:127]
	scratch_load_b128 v[12:15], off, off offset:352
	v_add_f64_e32 v[176:177], v[176:177], v[178:179]
	v_add_f64_e32 v[186:187], v[166:167], v[164:165]
	ds_load_b128 v[164:167], v2 offset:1056
	s_wait_loadcnt_dscnt 0xb01
	v_mul_f64_e32 v[178:179], v[4:5], v[130:131]
	v_mul_f64_e32 v[130:131], v[6:7], v[130:131]
	v_fmac_f64_e32 v[180:181], v[174:175], v[124:125]
	v_fma_f64 v[172:173], v[172:173], v[124:125], -v[126:127]
	scratch_load_b128 v[124:127], off, off offset:368
	v_add_f64_e32 v[176:177], v[176:177], v[182:183]
	v_add_f64_e32 v[174:175], v[186:187], v[184:185]
	v_fmac_f64_e32 v[178:179], v[6:7], v[128:129]
	v_fma_f64 v[184:185], v[4:5], v[128:129], -v[130:131]
	ds_load_b128 v[4:7], v2 offset:1072
	s_wait_loadcnt_dscnt 0xb01
	v_mul_f64_e32 v[182:183], v[164:165], v[134:135]
	v_mul_f64_e32 v[134:135], v[166:167], v[134:135]
	scratch_load_b128 v[128:131], off, off offset:384
	v_add_f64_e32 v[176:177], v[176:177], v[180:181]
	s_wait_loadcnt_dscnt 0xb00
	v_mul_f64_e32 v[180:181], v[4:5], v[138:139]
	v_add_f64_e32 v[186:187], v[174:175], v[172:173]
	v_mul_f64_e32 v[138:139], v[6:7], v[138:139]
	ds_load_b128 v[172:175], v2 offset:1088
	v_fmac_f64_e32 v[182:183], v[166:167], v[132:133]
	v_fma_f64 v[164:165], v[164:165], v[132:133], -v[134:135]
	scratch_load_b128 v[132:135], off, off offset:400
	v_add_f64_e32 v[176:177], v[176:177], v[178:179]
	v_fmac_f64_e32 v[180:181], v[6:7], v[136:137]
	v_add_f64_e32 v[166:167], v[186:187], v[184:185]
	v_fma_f64 v[184:185], v[4:5], v[136:137], -v[138:139]
	ds_load_b128 v[4:7], v2 offset:1104
	s_wait_loadcnt_dscnt 0xb01
	v_mul_f64_e32 v[178:179], v[172:173], v[142:143]
	v_mul_f64_e32 v[142:143], v[174:175], v[142:143]
	scratch_load_b128 v[136:139], off, off offset:416
	v_add_f64_e32 v[176:177], v[176:177], v[182:183]
	s_wait_loadcnt_dscnt 0xb00
	v_mul_f64_e32 v[182:183], v[4:5], v[146:147]
	v_add_f64_e32 v[186:187], v[166:167], v[164:165]
	v_mul_f64_e32 v[146:147], v[6:7], v[146:147]
	ds_load_b128 v[164:167], v2 offset:1120
	v_fmac_f64_e32 v[178:179], v[174:175], v[140:141]
	v_fma_f64 v[172:173], v[172:173], v[140:141], -v[142:143]
	scratch_load_b128 v[140:143], off, off offset:432
	v_add_f64_e32 v[176:177], v[176:177], v[180:181]
	v_fmac_f64_e32 v[182:183], v[6:7], v[144:145]
	v_add_f64_e32 v[174:175], v[186:187], v[184:185]
	;; [unrolled: 18-line block ×3, first 2 shown]
	v_fma_f64 v[184:185], v[4:5], v[156:157], -v[158:159]
	ds_load_b128 v[4:7], v2 offset:1168
	s_wait_loadcnt_dscnt 0xa01
	v_mul_f64_e32 v[182:183], v[172:173], v[170:171]
	v_mul_f64_e32 v[170:171], v[174:175], v[170:171]
	scratch_load_b128 v[156:159], off, off offset:480
	v_add_f64_e32 v[176:177], v[176:177], v[180:181]
	v_add_f64_e32 v[186:187], v[166:167], v[164:165]
	s_wait_loadcnt_dscnt 0xa00
	v_mul_f64_e32 v[180:181], v[4:5], v[154:155]
	v_mul_f64_e32 v[154:155], v[6:7], v[154:155]
	v_fmac_f64_e32 v[182:183], v[174:175], v[168:169]
	v_fma_f64 v[172:173], v[172:173], v[168:169], -v[170:171]
	ds_load_b128 v[164:167], v2 offset:1184
	scratch_load_b128 v[168:171], off, off offset:496
	v_add_f64_e32 v[176:177], v[176:177], v[178:179]
	v_add_f64_e32 v[174:175], v[186:187], v[184:185]
	v_fmac_f64_e32 v[180:181], v[6:7], v[152:153]
	v_fma_f64 v[184:185], v[4:5], v[152:153], -v[154:155]
	ds_load_b128 v[4:7], v2 offset:1200
	s_wait_loadcnt_dscnt 0xa01
	v_mul_f64_e32 v[178:179], v[164:165], v[10:11]
	v_mul_f64_e32 v[10:11], v[166:167], v[10:11]
	scratch_load_b128 v[152:155], off, off offset:512
	v_add_f64_e32 v[176:177], v[176:177], v[182:183]
	s_wait_loadcnt_dscnt 0xa00
	v_mul_f64_e32 v[182:183], v[4:5], v[14:15]
	v_add_f64_e32 v[186:187], v[174:175], v[172:173]
	v_mul_f64_e32 v[14:15], v[6:7], v[14:15]
	ds_load_b128 v[172:175], v2 offset:1216
	v_fmac_f64_e32 v[178:179], v[166:167], v[8:9]
	v_fma_f64 v[164:165], v[164:165], v[8:9], -v[10:11]
	scratch_load_b128 v[8:11], off, off offset:528
	v_add_f64_e32 v[176:177], v[176:177], v[180:181]
	v_fmac_f64_e32 v[182:183], v[6:7], v[12:13]
	v_add_f64_e32 v[166:167], v[186:187], v[184:185]
	v_fma_f64 v[184:185], v[4:5], v[12:13], -v[14:15]
	ds_load_b128 v[4:7], v2 offset:1232
	s_wait_loadcnt_dscnt 0xa01
	v_mul_f64_e32 v[180:181], v[172:173], v[126:127]
	v_mul_f64_e32 v[126:127], v[174:175], v[126:127]
	scratch_load_b128 v[12:15], off, off offset:544
	v_add_f64_e32 v[176:177], v[176:177], v[178:179]
	s_wait_loadcnt_dscnt 0xa00
	v_mul_f64_e32 v[178:179], v[4:5], v[130:131]
	v_add_f64_e32 v[186:187], v[166:167], v[164:165]
	v_mul_f64_e32 v[130:131], v[6:7], v[130:131]
	ds_load_b128 v[164:167], v2 offset:1248
	v_fmac_f64_e32 v[180:181], v[174:175], v[124:125]
	v_fma_f64 v[172:173], v[172:173], v[124:125], -v[126:127]
	scratch_load_b128 v[124:127], off, off offset:560
	v_add_f64_e32 v[176:177], v[176:177], v[182:183]
	v_fmac_f64_e32 v[178:179], v[6:7], v[128:129]
	v_add_f64_e32 v[174:175], v[186:187], v[184:185]
	;; [unrolled: 18-line block ×10, first 2 shown]
	v_fma_f64 v[184:185], v[4:5], v[144:145], -v[146:147]
	ds_load_b128 v[4:7], v2 offset:1520
	s_wait_loadcnt_dscnt 0xa01
	v_mul_f64_e32 v[180:181], v[164:165], v[150:151]
	v_mul_f64_e32 v[150:151], v[166:167], v[150:151]
	scratch_load_b128 v[144:147], off, off offset:832
	v_add_f64_e32 v[176:177], v[176:177], v[178:179]
	s_wait_loadcnt_dscnt 0xa00
	v_mul_f64_e32 v[178:179], v[4:5], v[158:159]
	v_add_f64_e32 v[186:187], v[174:175], v[172:173]
	v_mul_f64_e32 v[158:159], v[6:7], v[158:159]
	ds_load_b128 v[172:175], v2 offset:1536
	v_fmac_f64_e32 v[180:181], v[166:167], v[148:149]
	v_fma_f64 v[148:149], v[164:165], v[148:149], -v[150:151]
	s_wait_loadcnt_dscnt 0x900
	v_mul_f64_e32 v[166:167], v[172:173], v[170:171]
	v_mul_f64_e32 v[170:171], v[174:175], v[170:171]
	v_add_f64_e32 v[164:165], v[176:177], v[182:183]
	v_fmac_f64_e32 v[178:179], v[6:7], v[156:157]
	v_add_f64_e32 v[150:151], v[186:187], v[184:185]
	v_fma_f64 v[156:157], v[4:5], v[156:157], -v[158:159]
	v_fmac_f64_e32 v[166:167], v[174:175], v[168:169]
	v_fma_f64 v[168:169], v[172:173], v[168:169], -v[170:171]
	v_add_f64_e32 v[164:165], v[164:165], v[180:181]
	v_add_f64_e32 v[158:159], v[150:151], v[148:149]
	ds_load_b128 v[4:7], v2 offset:1552
	ds_load_b128 v[148:151], v2 offset:1568
	s_wait_loadcnt_dscnt 0x801
	v_mul_f64_e32 v[176:177], v[4:5], v[154:155]
	v_mul_f64_e32 v[154:155], v[6:7], v[154:155]
	v_add_f64_e32 v[156:157], v[158:159], v[156:157]
	v_add_f64_e32 v[158:159], v[164:165], v[178:179]
	s_wait_loadcnt_dscnt 0x700
	v_mul_f64_e32 v[164:165], v[148:149], v[10:11]
	v_mul_f64_e32 v[10:11], v[150:151], v[10:11]
	v_fmac_f64_e32 v[176:177], v[6:7], v[152:153]
	v_fma_f64 v[170:171], v[4:5], v[152:153], -v[154:155]
	ds_load_b128 v[4:7], v2 offset:1584
	ds_load_b128 v[152:155], v2 offset:1600
	v_add_f64_e32 v[156:157], v[156:157], v[168:169]
	v_add_f64_e32 v[158:159], v[158:159], v[166:167]
	v_fmac_f64_e32 v[164:165], v[150:151], v[8:9]
	v_fma_f64 v[8:9], v[148:149], v[8:9], -v[10:11]
	s_wait_loadcnt_dscnt 0x601
	v_mul_f64_e32 v[166:167], v[4:5], v[14:15]
	v_mul_f64_e32 v[14:15], v[6:7], v[14:15]
	s_wait_loadcnt_dscnt 0x500
	v_mul_f64_e32 v[150:151], v[152:153], v[126:127]
	v_mul_f64_e32 v[126:127], v[154:155], v[126:127]
	v_add_f64_e32 v[10:11], v[156:157], v[170:171]
	v_add_f64_e32 v[148:149], v[158:159], v[176:177]
	v_fmac_f64_e32 v[166:167], v[6:7], v[12:13]
	v_fma_f64 v[12:13], v[4:5], v[12:13], -v[14:15]
	v_fmac_f64_e32 v[150:151], v[154:155], v[124:125]
	v_fma_f64 v[124:125], v[152:153], v[124:125], -v[126:127]
	v_add_f64_e32 v[14:15], v[10:11], v[8:9]
	v_add_f64_e32 v[148:149], v[148:149], v[164:165]
	ds_load_b128 v[4:7], v2 offset:1616
	ds_load_b128 v[8:11], v2 offset:1632
	s_wait_loadcnt_dscnt 0x401
	v_mul_f64_e32 v[156:157], v[4:5], v[130:131]
	v_mul_f64_e32 v[130:131], v[6:7], v[130:131]
	s_wait_loadcnt_dscnt 0x300
	v_mul_f64_e32 v[126:127], v[8:9], v[134:135]
	v_mul_f64_e32 v[134:135], v[10:11], v[134:135]
	v_add_f64_e32 v[12:13], v[14:15], v[12:13]
	v_add_f64_e32 v[14:15], v[148:149], v[166:167]
	v_fmac_f64_e32 v[156:157], v[6:7], v[128:129]
	v_fma_f64 v[128:129], v[4:5], v[128:129], -v[130:131]
	v_fmac_f64_e32 v[126:127], v[10:11], v[132:133]
	v_fma_f64 v[8:9], v[8:9], v[132:133], -v[134:135]
	v_add_f64_e32 v[124:125], v[12:13], v[124:125]
	v_add_f64_e32 v[130:131], v[14:15], v[150:151]
	ds_load_b128 v[4:7], v2 offset:1648
	ds_load_b128 v[12:15], v2 offset:1664
	s_wait_loadcnt_dscnt 0x201
	v_mul_f64_e32 v[148:149], v[4:5], v[138:139]
	v_mul_f64_e32 v[138:139], v[6:7], v[138:139]
	v_add_f64_e32 v[10:11], v[124:125], v[128:129]
	v_add_f64_e32 v[124:125], v[130:131], v[156:157]
	s_wait_loadcnt_dscnt 0x100
	v_mul_f64_e32 v[128:129], v[12:13], v[142:143]
	v_mul_f64_e32 v[130:131], v[14:15], v[142:143]
	v_fmac_f64_e32 v[148:149], v[6:7], v[136:137]
	v_fma_f64 v[132:133], v[4:5], v[136:137], -v[138:139]
	ds_load_b128 v[4:7], v2 offset:1680
	v_add_f64_e32 v[8:9], v[10:11], v[8:9]
	v_add_f64_e32 v[10:11], v[124:125], v[126:127]
	v_fmac_f64_e32 v[128:129], v[14:15], v[140:141]
	v_fma_f64 v[12:13], v[12:13], v[140:141], -v[130:131]
	s_wait_loadcnt_dscnt 0x0
	v_mul_f64_e32 v[124:125], v[4:5], v[146:147]
	v_mul_f64_e32 v[126:127], v[6:7], v[146:147]
	v_add_f64_e32 v[8:9], v[8:9], v[132:133]
	v_add_f64_e32 v[10:11], v[10:11], v[148:149]
	s_delay_alu instid0(VALU_DEP_4) | instskip(NEXT) | instid1(VALU_DEP_4)
	v_fmac_f64_e32 v[124:125], v[6:7], v[144:145]
	v_fma_f64 v[4:5], v[4:5], v[144:145], -v[126:127]
	s_delay_alu instid0(VALU_DEP_4) | instskip(NEXT) | instid1(VALU_DEP_4)
	v_add_f64_e32 v[6:7], v[8:9], v[12:13]
	v_add_f64_e32 v[8:9], v[10:11], v[128:129]
	s_delay_alu instid0(VALU_DEP_2) | instskip(NEXT) | instid1(VALU_DEP_2)
	v_add_f64_e32 v[4:5], v[6:7], v[4:5]
	v_add_f64_e32 v[6:7], v[8:9], v[124:125]
	s_delay_alu instid0(VALU_DEP_2) | instskip(NEXT) | instid1(VALU_DEP_2)
	v_add_f64_e64 v[4:5], v[160:161], -v[4:5]
	v_add_f64_e64 v[6:7], v[162:163], -v[6:7]
	scratch_store_b128 off, v[4:7], off offset:112
	s_wait_xcnt 0x0
	v_cmpx_lt_u32_e32 6, v1
	s_cbranch_execz .LBB116_319
; %bb.318:
	scratch_load_b128 v[6:9], off, s63
	v_dual_mov_b32 v3, v2 :: v_dual_mov_b32 v4, v2
	v_mov_b32_e32 v5, v2
	scratch_store_b128 off, v[2:5], off offset:96
	s_wait_loadcnt 0x0
	ds_store_b128 v122, v[6:9]
.LBB116_319:
	s_wait_xcnt 0x0
	s_or_b32 exec_lo, exec_lo, s2
	s_wait_storecnt_dscnt 0x0
	s_barrier_signal -1
	s_barrier_wait -1
	s_clause 0x9
	scratch_load_b128 v[4:7], off, off offset:112
	scratch_load_b128 v[8:11], off, off offset:128
	;; [unrolled: 1-line block ×10, first 2 shown]
	ds_load_b128 v[152:155], v2 offset:960
	ds_load_b128 v[160:163], v2 offset:976
	s_clause 0x2
	scratch_load_b128 v[156:159], off, off offset:272
	scratch_load_b128 v[164:167], off, off offset:96
	;; [unrolled: 1-line block ×3, first 2 shown]
	s_mov_b32 s2, exec_lo
	s_wait_loadcnt_dscnt 0xc01
	v_mul_f64_e32 v[172:173], v[154:155], v[6:7]
	v_mul_f64_e32 v[176:177], v[152:153], v[6:7]
	s_wait_loadcnt_dscnt 0xb00
	v_mul_f64_e32 v[178:179], v[160:161], v[10:11]
	v_mul_f64_e32 v[10:11], v[162:163], v[10:11]
	s_delay_alu instid0(VALU_DEP_4) | instskip(NEXT) | instid1(VALU_DEP_4)
	v_fma_f64 v[180:181], v[152:153], v[4:5], -v[172:173]
	v_fmac_f64_e32 v[176:177], v[154:155], v[4:5]
	ds_load_b128 v[4:7], v2 offset:992
	ds_load_b128 v[152:155], v2 offset:1008
	scratch_load_b128 v[172:175], off, off offset:304
	v_fmac_f64_e32 v[178:179], v[162:163], v[8:9]
	v_fma_f64 v[160:161], v[160:161], v[8:9], -v[10:11]
	scratch_load_b128 v[8:11], off, off offset:320
	s_wait_loadcnt_dscnt 0xc01
	v_mul_f64_e32 v[182:183], v[4:5], v[14:15]
	v_mul_f64_e32 v[14:15], v[6:7], v[14:15]
	v_add_f64_e32 v[162:163], 0, v[180:181]
	v_add_f64_e32 v[176:177], 0, v[176:177]
	s_wait_loadcnt_dscnt 0xb00
	v_mul_f64_e32 v[180:181], v[152:153], v[126:127]
	v_mul_f64_e32 v[126:127], v[154:155], v[126:127]
	v_fmac_f64_e32 v[182:183], v[6:7], v[12:13]
	v_fma_f64 v[184:185], v[4:5], v[12:13], -v[14:15]
	ds_load_b128 v[4:7], v2 offset:1024
	ds_load_b128 v[12:15], v2 offset:1040
	v_add_f64_e32 v[186:187], v[162:163], v[160:161]
	v_add_f64_e32 v[176:177], v[176:177], v[178:179]
	scratch_load_b128 v[160:163], off, off offset:336
	v_fmac_f64_e32 v[180:181], v[154:155], v[124:125]
	v_fma_f64 v[152:153], v[152:153], v[124:125], -v[126:127]
	scratch_load_b128 v[124:127], off, off offset:352
	s_wait_loadcnt_dscnt 0xc01
	v_mul_f64_e32 v[178:179], v[4:5], v[130:131]
	v_mul_f64_e32 v[130:131], v[6:7], v[130:131]
	v_add_f64_e32 v[154:155], v[186:187], v[184:185]
	v_add_f64_e32 v[176:177], v[176:177], v[182:183]
	s_wait_loadcnt_dscnt 0xb00
	v_mul_f64_e32 v[182:183], v[12:13], v[134:135]
	v_mul_f64_e32 v[134:135], v[14:15], v[134:135]
	v_fmac_f64_e32 v[178:179], v[6:7], v[128:129]
	v_fma_f64 v[184:185], v[4:5], v[128:129], -v[130:131]
	ds_load_b128 v[4:7], v2 offset:1056
	ds_load_b128 v[128:131], v2 offset:1072
	v_add_f64_e32 v[186:187], v[154:155], v[152:153]
	v_add_f64_e32 v[176:177], v[176:177], v[180:181]
	scratch_load_b128 v[152:155], off, off offset:368
	s_wait_loadcnt_dscnt 0xb01
	v_mul_f64_e32 v[180:181], v[4:5], v[138:139]
	v_mul_f64_e32 v[138:139], v[6:7], v[138:139]
	v_fmac_f64_e32 v[182:183], v[14:15], v[132:133]
	v_fma_f64 v[132:133], v[12:13], v[132:133], -v[134:135]
	scratch_load_b128 v[12:15], off, off offset:384
	v_add_f64_e32 v[134:135], v[186:187], v[184:185]
	v_add_f64_e32 v[176:177], v[176:177], v[178:179]
	s_wait_loadcnt_dscnt 0xb00
	v_mul_f64_e32 v[178:179], v[128:129], v[142:143]
	v_mul_f64_e32 v[142:143], v[130:131], v[142:143]
	v_fmac_f64_e32 v[180:181], v[6:7], v[136:137]
	v_fma_f64 v[184:185], v[4:5], v[136:137], -v[138:139]
	v_add_f64_e32 v[186:187], v[134:135], v[132:133]
	v_add_f64_e32 v[176:177], v[176:177], v[182:183]
	ds_load_b128 v[4:7], v2 offset:1088
	ds_load_b128 v[132:135], v2 offset:1104
	scratch_load_b128 v[136:139], off, off offset:400
	v_fmac_f64_e32 v[178:179], v[130:131], v[140:141]
	v_fma_f64 v[140:141], v[128:129], v[140:141], -v[142:143]
	scratch_load_b128 v[128:131], off, off offset:416
	s_wait_loadcnt_dscnt 0xc01
	v_mul_f64_e32 v[182:183], v[4:5], v[146:147]
	v_mul_f64_e32 v[146:147], v[6:7], v[146:147]
	v_add_f64_e32 v[142:143], v[186:187], v[184:185]
	v_add_f64_e32 v[176:177], v[176:177], v[180:181]
	s_wait_loadcnt_dscnt 0xb00
	v_mul_f64_e32 v[180:181], v[132:133], v[150:151]
	v_mul_f64_e32 v[150:151], v[134:135], v[150:151]
	v_fmac_f64_e32 v[182:183], v[6:7], v[144:145]
	v_fma_f64 v[184:185], v[4:5], v[144:145], -v[146:147]
	v_add_f64_e32 v[186:187], v[142:143], v[140:141]
	v_add_f64_e32 v[176:177], v[176:177], v[178:179]
	ds_load_b128 v[4:7], v2 offset:1120
	ds_load_b128 v[140:143], v2 offset:1136
	scratch_load_b128 v[144:147], off, off offset:432
	v_fmac_f64_e32 v[180:181], v[134:135], v[148:149]
	v_fma_f64 v[148:149], v[132:133], v[148:149], -v[150:151]
	scratch_load_b128 v[132:135], off, off offset:448
	s_wait_loadcnt_dscnt 0xc01
	v_mul_f64_e32 v[178:179], v[4:5], v[158:159]
	v_mul_f64_e32 v[158:159], v[6:7], v[158:159]
	;; [unrolled: 18-line block ×5, first 2 shown]
	v_add_f64_e32 v[170:171], v[186:187], v[184:185]
	v_add_f64_e32 v[176:177], v[176:177], v[182:183]
	s_wait_loadcnt_dscnt 0xa00
	v_mul_f64_e32 v[182:183], v[148:149], v[14:15]
	v_mul_f64_e32 v[14:15], v[150:151], v[14:15]
	v_fmac_f64_e32 v[178:179], v[6:7], v[152:153]
	v_fma_f64 v[184:185], v[4:5], v[152:153], -v[154:155]
	ds_load_b128 v[4:7], v2 offset:1248
	ds_load_b128 v[152:155], v2 offset:1264
	v_add_f64_e32 v[186:187], v[170:171], v[168:169]
	v_add_f64_e32 v[176:177], v[176:177], v[180:181]
	scratch_load_b128 v[168:171], off, off offset:560
	v_fmac_f64_e32 v[182:183], v[150:151], v[12:13]
	v_fma_f64 v[148:149], v[148:149], v[12:13], -v[14:15]
	scratch_load_b128 v[12:15], off, off offset:576
	s_wait_loadcnt_dscnt 0xb01
	v_mul_f64_e32 v[180:181], v[4:5], v[138:139]
	v_mul_f64_e32 v[138:139], v[6:7], v[138:139]
	v_add_f64_e32 v[150:151], v[186:187], v[184:185]
	v_add_f64_e32 v[176:177], v[176:177], v[178:179]
	s_wait_loadcnt_dscnt 0xa00
	v_mul_f64_e32 v[178:179], v[152:153], v[130:131]
	v_mul_f64_e32 v[130:131], v[154:155], v[130:131]
	v_fmac_f64_e32 v[180:181], v[6:7], v[136:137]
	v_fma_f64 v[184:185], v[4:5], v[136:137], -v[138:139]
	ds_load_b128 v[4:7], v2 offset:1280
	ds_load_b128 v[136:139], v2 offset:1296
	v_add_f64_e32 v[186:187], v[150:151], v[148:149]
	v_add_f64_e32 v[176:177], v[176:177], v[182:183]
	scratch_load_b128 v[148:151], off, off offset:592
	s_wait_loadcnt_dscnt 0xa01
	v_mul_f64_e32 v[182:183], v[4:5], v[146:147]
	v_mul_f64_e32 v[146:147], v[6:7], v[146:147]
	v_fmac_f64_e32 v[178:179], v[154:155], v[128:129]
	v_fma_f64 v[152:153], v[152:153], v[128:129], -v[130:131]
	scratch_load_b128 v[128:131], off, off offset:608
	v_add_f64_e32 v[154:155], v[186:187], v[184:185]
	v_add_f64_e32 v[176:177], v[176:177], v[180:181]
	s_wait_loadcnt_dscnt 0xa00
	v_mul_f64_e32 v[180:181], v[136:137], v[134:135]
	v_mul_f64_e32 v[134:135], v[138:139], v[134:135]
	v_fmac_f64_e32 v[182:183], v[6:7], v[144:145]
	v_fma_f64 v[184:185], v[4:5], v[144:145], -v[146:147]
	ds_load_b128 v[4:7], v2 offset:1312
	ds_load_b128 v[144:147], v2 offset:1328
	v_add_f64_e32 v[186:187], v[154:155], v[152:153]
	v_add_f64_e32 v[176:177], v[176:177], v[178:179]
	scratch_load_b128 v[152:155], off, off offset:624
	s_wait_loadcnt_dscnt 0xa01
	v_mul_f64_e32 v[178:179], v[4:5], v[158:159]
	v_mul_f64_e32 v[158:159], v[6:7], v[158:159]
	v_fmac_f64_e32 v[180:181], v[138:139], v[132:133]
	v_fma_f64 v[136:137], v[136:137], v[132:133], -v[134:135]
	scratch_load_b128 v[132:135], off, off offset:640
	v_add_f64_e32 v[138:139], v[186:187], v[184:185]
	v_add_f64_e32 v[176:177], v[176:177], v[182:183]
	s_wait_loadcnt_dscnt 0xa00
	v_mul_f64_e32 v[182:183], v[144:145], v[142:143]
	v_mul_f64_e32 v[142:143], v[146:147], v[142:143]
	v_fmac_f64_e32 v[178:179], v[6:7], v[156:157]
	v_fma_f64 v[184:185], v[4:5], v[156:157], -v[158:159]
	v_add_f64_e32 v[186:187], v[138:139], v[136:137]
	v_add_f64_e32 v[176:177], v[176:177], v[180:181]
	ds_load_b128 v[4:7], v2 offset:1344
	ds_load_b128 v[136:139], v2 offset:1360
	scratch_load_b128 v[156:159], off, off offset:656
	v_fmac_f64_e32 v[182:183], v[146:147], v[140:141]
	v_fma_f64 v[144:145], v[144:145], v[140:141], -v[142:143]
	scratch_load_b128 v[140:143], off, off offset:672
	s_wait_loadcnt_dscnt 0xb01
	v_mul_f64_e32 v[180:181], v[4:5], v[174:175]
	v_mul_f64_e32 v[174:175], v[6:7], v[174:175]
	v_add_f64_e32 v[146:147], v[186:187], v[184:185]
	v_add_f64_e32 v[176:177], v[176:177], v[178:179]
	s_wait_loadcnt_dscnt 0xa00
	v_mul_f64_e32 v[178:179], v[136:137], v[10:11]
	v_mul_f64_e32 v[10:11], v[138:139], v[10:11]
	v_fmac_f64_e32 v[180:181], v[6:7], v[172:173]
	v_fma_f64 v[184:185], v[4:5], v[172:173], -v[174:175]
	v_add_f64_e32 v[186:187], v[146:147], v[144:145]
	v_add_f64_e32 v[176:177], v[176:177], v[182:183]
	ds_load_b128 v[4:7], v2 offset:1376
	ds_load_b128 v[144:147], v2 offset:1392
	scratch_load_b128 v[172:175], off, off offset:688
	v_fmac_f64_e32 v[178:179], v[138:139], v[8:9]
	v_fma_f64 v[136:137], v[136:137], v[8:9], -v[10:11]
	scratch_load_b128 v[8:11], off, off offset:704
	s_wait_loadcnt_dscnt 0xb01
	v_mul_f64_e32 v[182:183], v[4:5], v[162:163]
	v_mul_f64_e32 v[162:163], v[6:7], v[162:163]
	;; [unrolled: 18-line block ×6, first 2 shown]
	v_add_f64_e32 v[138:139], v[186:187], v[184:185]
	v_add_f64_e32 v[176:177], v[176:177], v[182:183]
	s_wait_loadcnt_dscnt 0xa00
	v_mul_f64_e32 v[182:183], v[144:145], v[142:143]
	v_mul_f64_e32 v[142:143], v[146:147], v[142:143]
	v_fmac_f64_e32 v[178:179], v[6:7], v[156:157]
	v_fma_f64 v[156:157], v[4:5], v[156:157], -v[158:159]
	v_add_f64_e32 v[158:159], v[138:139], v[136:137]
	v_add_f64_e32 v[176:177], v[176:177], v[180:181]
	ds_load_b128 v[4:7], v2 offset:1536
	ds_load_b128 v[136:139], v2 offset:1552
	v_fmac_f64_e32 v[182:183], v[146:147], v[140:141]
	v_fma_f64 v[140:141], v[144:145], v[140:141], -v[142:143]
	s_wait_loadcnt_dscnt 0x901
	v_mul_f64_e32 v[180:181], v[4:5], v[174:175]
	v_mul_f64_e32 v[174:175], v[6:7], v[174:175]
	s_wait_loadcnt_dscnt 0x800
	v_mul_f64_e32 v[146:147], v[136:137], v[10:11]
	v_mul_f64_e32 v[10:11], v[138:139], v[10:11]
	v_add_f64_e32 v[142:143], v[158:159], v[156:157]
	v_add_f64_e32 v[144:145], v[176:177], v[178:179]
	v_fmac_f64_e32 v[180:181], v[6:7], v[172:173]
	v_fma_f64 v[156:157], v[4:5], v[172:173], -v[174:175]
	v_fmac_f64_e32 v[146:147], v[138:139], v[8:9]
	v_fma_f64 v[8:9], v[136:137], v[8:9], -v[10:11]
	v_add_f64_e32 v[158:159], v[142:143], v[140:141]
	v_add_f64_e32 v[144:145], v[144:145], v[182:183]
	ds_load_b128 v[4:7], v2 offset:1568
	ds_load_b128 v[140:143], v2 offset:1584
	s_wait_loadcnt_dscnt 0x701
	v_mul_f64_e32 v[172:173], v[4:5], v[162:163]
	v_mul_f64_e32 v[162:163], v[6:7], v[162:163]
	s_wait_loadcnt_dscnt 0x600
	v_mul_f64_e32 v[138:139], v[140:141], v[126:127]
	v_mul_f64_e32 v[126:127], v[142:143], v[126:127]
	v_add_f64_e32 v[10:11], v[158:159], v[156:157]
	v_add_f64_e32 v[136:137], v[144:145], v[180:181]
	v_fmac_f64_e32 v[172:173], v[6:7], v[160:161]
	v_fma_f64 v[144:145], v[4:5], v[160:161], -v[162:163]
	v_fmac_f64_e32 v[138:139], v[142:143], v[124:125]
	v_fma_f64 v[124:125], v[140:141], v[124:125], -v[126:127]
	v_add_f64_e32 v[156:157], v[10:11], v[8:9]
	v_add_f64_e32 v[136:137], v[136:137], v[146:147]
	ds_load_b128 v[4:7], v2 offset:1600
	ds_load_b128 v[8:11], v2 offset:1616
	;; [unrolled: 16-line block ×4, first 2 shown]
	s_wait_loadcnt_dscnt 0x101
	v_mul_f64_e32 v[2:3], v[4:5], v[154:155]
	v_mul_f64_e32 v[140:141], v[6:7], v[154:155]
	s_wait_loadcnt_dscnt 0x0
	v_mul_f64_e32 v[128:129], v[8:9], v[134:135]
	v_mul_f64_e32 v[130:131], v[10:11], v[134:135]
	v_add_f64_e32 v[126:127], v[142:143], v[136:137]
	v_add_f64_e32 v[12:13], v[12:13], v[138:139]
	v_fmac_f64_e32 v[2:3], v[6:7], v[152:153]
	v_fma_f64 v[4:5], v[4:5], v[152:153], -v[140:141]
	v_fmac_f64_e32 v[128:129], v[10:11], v[132:133]
	v_fma_f64 v[8:9], v[8:9], v[132:133], -v[130:131]
	v_add_f64_e32 v[6:7], v[126:127], v[124:125]
	v_add_f64_e32 v[12:13], v[12:13], v[14:15]
	s_delay_alu instid0(VALU_DEP_2) | instskip(NEXT) | instid1(VALU_DEP_2)
	v_add_f64_e32 v[4:5], v[6:7], v[4:5]
	v_add_f64_e32 v[2:3], v[12:13], v[2:3]
	s_delay_alu instid0(VALU_DEP_2) | instskip(NEXT) | instid1(VALU_DEP_2)
	;; [unrolled: 3-line block ×3, first 2 shown]
	v_add_f64_e64 v[2:3], v[164:165], -v[4:5]
	v_add_f64_e64 v[4:5], v[166:167], -v[6:7]
	scratch_store_b128 off, v[2:5], off offset:96
	s_wait_xcnt 0x0
	v_cmpx_lt_u32_e32 5, v1
	s_cbranch_execz .LBB116_321
; %bb.320:
	scratch_load_b128 v[2:5], off, s64
	v_mov_b32_e32 v6, 0
	s_delay_alu instid0(VALU_DEP_1)
	v_dual_mov_b32 v7, v6 :: v_dual_mov_b32 v8, v6
	v_mov_b32_e32 v9, v6
	scratch_store_b128 off, v[6:9], off offset:80
	s_wait_loadcnt 0x0
	ds_store_b128 v122, v[2:5]
.LBB116_321:
	s_wait_xcnt 0x0
	s_or_b32 exec_lo, exec_lo, s2
	s_wait_storecnt_dscnt 0x0
	s_barrier_signal -1
	s_barrier_wait -1
	s_clause 0x9
	scratch_load_b128 v[4:7], off, off offset:96
	scratch_load_b128 v[8:11], off, off offset:112
	;; [unrolled: 1-line block ×10, first 2 shown]
	v_mov_b32_e32 v2, 0
	s_mov_b32 s2, exec_lo
	ds_load_b128 v[152:155], v2 offset:944
	s_clause 0x2
	scratch_load_b128 v[156:159], off, off offset:256
	scratch_load_b128 v[160:163], off, off offset:80
	;; [unrolled: 1-line block ×3, first 2 shown]
	s_wait_loadcnt_dscnt 0xc00
	v_mul_f64_e32 v[172:173], v[154:155], v[6:7]
	v_mul_f64_e32 v[176:177], v[152:153], v[6:7]
	ds_load_b128 v[164:167], v2 offset:960
	v_fma_f64 v[180:181], v[152:153], v[4:5], -v[172:173]
	v_fmac_f64_e32 v[176:177], v[154:155], v[4:5]
	ds_load_b128 v[4:7], v2 offset:976
	s_wait_loadcnt_dscnt 0xb01
	v_mul_f64_e32 v[178:179], v[164:165], v[10:11]
	v_mul_f64_e32 v[10:11], v[166:167], v[10:11]
	scratch_load_b128 v[152:155], off, off offset:288
	ds_load_b128 v[172:175], v2 offset:992
	s_wait_loadcnt_dscnt 0xb01
	v_mul_f64_e32 v[182:183], v[4:5], v[14:15]
	v_mul_f64_e32 v[14:15], v[6:7], v[14:15]
	v_add_f64_e32 v[176:177], 0, v[176:177]
	v_fmac_f64_e32 v[178:179], v[166:167], v[8:9]
	v_fma_f64 v[164:165], v[164:165], v[8:9], -v[10:11]
	v_add_f64_e32 v[166:167], 0, v[180:181]
	scratch_load_b128 v[8:11], off, off offset:304
	v_fmac_f64_e32 v[182:183], v[6:7], v[12:13]
	v_fma_f64 v[184:185], v[4:5], v[12:13], -v[14:15]
	ds_load_b128 v[4:7], v2 offset:1008
	s_wait_loadcnt_dscnt 0xb01
	v_mul_f64_e32 v[180:181], v[172:173], v[126:127]
	v_mul_f64_e32 v[126:127], v[174:175], v[126:127]
	scratch_load_b128 v[12:15], off, off offset:320
	v_add_f64_e32 v[176:177], v[176:177], v[178:179]
	v_add_f64_e32 v[186:187], v[166:167], v[164:165]
	ds_load_b128 v[164:167], v2 offset:1024
	s_wait_loadcnt_dscnt 0xb01
	v_mul_f64_e32 v[178:179], v[4:5], v[130:131]
	v_mul_f64_e32 v[130:131], v[6:7], v[130:131]
	v_fmac_f64_e32 v[180:181], v[174:175], v[124:125]
	v_fma_f64 v[172:173], v[172:173], v[124:125], -v[126:127]
	scratch_load_b128 v[124:127], off, off offset:336
	v_add_f64_e32 v[176:177], v[176:177], v[182:183]
	v_add_f64_e32 v[174:175], v[186:187], v[184:185]
	v_fmac_f64_e32 v[178:179], v[6:7], v[128:129]
	v_fma_f64 v[184:185], v[4:5], v[128:129], -v[130:131]
	ds_load_b128 v[4:7], v2 offset:1040
	s_wait_loadcnt_dscnt 0xb01
	v_mul_f64_e32 v[182:183], v[164:165], v[134:135]
	v_mul_f64_e32 v[134:135], v[166:167], v[134:135]
	scratch_load_b128 v[128:131], off, off offset:352
	v_add_f64_e32 v[176:177], v[176:177], v[180:181]
	s_wait_loadcnt_dscnt 0xb00
	v_mul_f64_e32 v[180:181], v[4:5], v[138:139]
	v_add_f64_e32 v[186:187], v[174:175], v[172:173]
	v_mul_f64_e32 v[138:139], v[6:7], v[138:139]
	ds_load_b128 v[172:175], v2 offset:1056
	v_fmac_f64_e32 v[182:183], v[166:167], v[132:133]
	v_fma_f64 v[164:165], v[164:165], v[132:133], -v[134:135]
	scratch_load_b128 v[132:135], off, off offset:368
	v_add_f64_e32 v[176:177], v[176:177], v[178:179]
	v_fmac_f64_e32 v[180:181], v[6:7], v[136:137]
	v_add_f64_e32 v[166:167], v[186:187], v[184:185]
	v_fma_f64 v[184:185], v[4:5], v[136:137], -v[138:139]
	ds_load_b128 v[4:7], v2 offset:1072
	s_wait_loadcnt_dscnt 0xb01
	v_mul_f64_e32 v[178:179], v[172:173], v[142:143]
	v_mul_f64_e32 v[142:143], v[174:175], v[142:143]
	scratch_load_b128 v[136:139], off, off offset:384
	v_add_f64_e32 v[176:177], v[176:177], v[182:183]
	s_wait_loadcnt_dscnt 0xb00
	v_mul_f64_e32 v[182:183], v[4:5], v[146:147]
	v_add_f64_e32 v[186:187], v[166:167], v[164:165]
	v_mul_f64_e32 v[146:147], v[6:7], v[146:147]
	ds_load_b128 v[164:167], v2 offset:1088
	v_fmac_f64_e32 v[178:179], v[174:175], v[140:141]
	v_fma_f64 v[172:173], v[172:173], v[140:141], -v[142:143]
	scratch_load_b128 v[140:143], off, off offset:400
	v_add_f64_e32 v[176:177], v[176:177], v[180:181]
	v_fmac_f64_e32 v[182:183], v[6:7], v[144:145]
	v_add_f64_e32 v[174:175], v[186:187], v[184:185]
	;; [unrolled: 18-line block ×3, first 2 shown]
	v_fma_f64 v[184:185], v[4:5], v[156:157], -v[158:159]
	ds_load_b128 v[4:7], v2 offset:1136
	s_wait_loadcnt_dscnt 0xa01
	v_mul_f64_e32 v[182:183], v[172:173], v[170:171]
	v_mul_f64_e32 v[170:171], v[174:175], v[170:171]
	scratch_load_b128 v[156:159], off, off offset:448
	v_add_f64_e32 v[176:177], v[176:177], v[180:181]
	v_add_f64_e32 v[186:187], v[166:167], v[164:165]
	s_wait_loadcnt_dscnt 0xa00
	v_mul_f64_e32 v[180:181], v[4:5], v[154:155]
	v_mul_f64_e32 v[154:155], v[6:7], v[154:155]
	v_fmac_f64_e32 v[182:183], v[174:175], v[168:169]
	v_fma_f64 v[172:173], v[172:173], v[168:169], -v[170:171]
	ds_load_b128 v[164:167], v2 offset:1152
	scratch_load_b128 v[168:171], off, off offset:464
	v_add_f64_e32 v[176:177], v[176:177], v[178:179]
	v_add_f64_e32 v[174:175], v[186:187], v[184:185]
	v_fmac_f64_e32 v[180:181], v[6:7], v[152:153]
	v_fma_f64 v[184:185], v[4:5], v[152:153], -v[154:155]
	ds_load_b128 v[4:7], v2 offset:1168
	s_wait_loadcnt_dscnt 0xa01
	v_mul_f64_e32 v[178:179], v[164:165], v[10:11]
	v_mul_f64_e32 v[10:11], v[166:167], v[10:11]
	scratch_load_b128 v[152:155], off, off offset:480
	v_add_f64_e32 v[176:177], v[176:177], v[182:183]
	s_wait_loadcnt_dscnt 0xa00
	v_mul_f64_e32 v[182:183], v[4:5], v[14:15]
	v_add_f64_e32 v[186:187], v[174:175], v[172:173]
	v_mul_f64_e32 v[14:15], v[6:7], v[14:15]
	ds_load_b128 v[172:175], v2 offset:1184
	v_fmac_f64_e32 v[178:179], v[166:167], v[8:9]
	v_fma_f64 v[164:165], v[164:165], v[8:9], -v[10:11]
	scratch_load_b128 v[8:11], off, off offset:496
	v_add_f64_e32 v[176:177], v[176:177], v[180:181]
	v_fmac_f64_e32 v[182:183], v[6:7], v[12:13]
	v_add_f64_e32 v[166:167], v[186:187], v[184:185]
	v_fma_f64 v[184:185], v[4:5], v[12:13], -v[14:15]
	ds_load_b128 v[4:7], v2 offset:1200
	s_wait_loadcnt_dscnt 0xa01
	v_mul_f64_e32 v[180:181], v[172:173], v[126:127]
	v_mul_f64_e32 v[126:127], v[174:175], v[126:127]
	scratch_load_b128 v[12:15], off, off offset:512
	v_add_f64_e32 v[176:177], v[176:177], v[178:179]
	s_wait_loadcnt_dscnt 0xa00
	v_mul_f64_e32 v[178:179], v[4:5], v[130:131]
	v_add_f64_e32 v[186:187], v[166:167], v[164:165]
	v_mul_f64_e32 v[130:131], v[6:7], v[130:131]
	ds_load_b128 v[164:167], v2 offset:1216
	v_fmac_f64_e32 v[180:181], v[174:175], v[124:125]
	v_fma_f64 v[172:173], v[172:173], v[124:125], -v[126:127]
	scratch_load_b128 v[124:127], off, off offset:528
	v_add_f64_e32 v[176:177], v[176:177], v[182:183]
	v_fmac_f64_e32 v[178:179], v[6:7], v[128:129]
	v_add_f64_e32 v[174:175], v[186:187], v[184:185]
	;; [unrolled: 18-line block ×11, first 2 shown]
	v_fma_f64 v[184:185], v[4:5], v[156:157], -v[158:159]
	ds_load_b128 v[4:7], v2 offset:1520
	s_wait_loadcnt_dscnt 0xa01
	v_mul_f64_e32 v[182:183], v[172:173], v[170:171]
	v_mul_f64_e32 v[170:171], v[174:175], v[170:171]
	scratch_load_b128 v[156:159], off, off offset:832
	v_add_f64_e32 v[176:177], v[176:177], v[180:181]
	s_wait_loadcnt_dscnt 0xa00
	v_mul_f64_e32 v[180:181], v[4:5], v[154:155]
	v_add_f64_e32 v[186:187], v[166:167], v[164:165]
	v_mul_f64_e32 v[154:155], v[6:7], v[154:155]
	ds_load_b128 v[164:167], v2 offset:1536
	v_fmac_f64_e32 v[182:183], v[174:175], v[168:169]
	v_fma_f64 v[168:169], v[172:173], v[168:169], -v[170:171]
	s_wait_loadcnt_dscnt 0x900
	v_mul_f64_e32 v[174:175], v[164:165], v[10:11]
	v_mul_f64_e32 v[10:11], v[166:167], v[10:11]
	v_add_f64_e32 v[172:173], v[176:177], v[178:179]
	v_fmac_f64_e32 v[180:181], v[6:7], v[152:153]
	v_add_f64_e32 v[170:171], v[186:187], v[184:185]
	v_fma_f64 v[176:177], v[4:5], v[152:153], -v[154:155]
	ds_load_b128 v[4:7], v2 offset:1552
	ds_load_b128 v[152:155], v2 offset:1568
	v_fmac_f64_e32 v[174:175], v[166:167], v[8:9]
	v_fma_f64 v[8:9], v[164:165], v[8:9], -v[10:11]
	v_add_f64_e32 v[168:169], v[170:171], v[168:169]
	v_add_f64_e32 v[170:171], v[172:173], v[182:183]
	s_wait_loadcnt_dscnt 0x801
	v_mul_f64_e32 v[172:173], v[4:5], v[14:15]
	v_mul_f64_e32 v[14:15], v[6:7], v[14:15]
	s_wait_loadcnt_dscnt 0x700
	v_mul_f64_e32 v[166:167], v[152:153], v[126:127]
	v_mul_f64_e32 v[126:127], v[154:155], v[126:127]
	v_add_f64_e32 v[10:11], v[168:169], v[176:177]
	v_add_f64_e32 v[164:165], v[170:171], v[180:181]
	v_fmac_f64_e32 v[172:173], v[6:7], v[12:13]
	v_fma_f64 v[12:13], v[4:5], v[12:13], -v[14:15]
	v_fmac_f64_e32 v[166:167], v[154:155], v[124:125]
	v_fma_f64 v[124:125], v[152:153], v[124:125], -v[126:127]
	v_add_f64_e32 v[14:15], v[10:11], v[8:9]
	v_add_f64_e32 v[164:165], v[164:165], v[174:175]
	ds_load_b128 v[4:7], v2 offset:1584
	ds_load_b128 v[8:11], v2 offset:1600
	s_wait_loadcnt_dscnt 0x601
	v_mul_f64_e32 v[168:169], v[4:5], v[130:131]
	v_mul_f64_e32 v[130:131], v[6:7], v[130:131]
	s_wait_loadcnt_dscnt 0x500
	v_mul_f64_e32 v[126:127], v[8:9], v[134:135]
	v_mul_f64_e32 v[134:135], v[10:11], v[134:135]
	v_add_f64_e32 v[12:13], v[14:15], v[12:13]
	v_add_f64_e32 v[14:15], v[164:165], v[172:173]
	v_fmac_f64_e32 v[168:169], v[6:7], v[128:129]
	v_fma_f64 v[128:129], v[4:5], v[128:129], -v[130:131]
	v_fmac_f64_e32 v[126:127], v[10:11], v[132:133]
	v_fma_f64 v[8:9], v[8:9], v[132:133], -v[134:135]
	v_add_f64_e32 v[124:125], v[12:13], v[124:125]
	v_add_f64_e32 v[130:131], v[14:15], v[166:167]
	ds_load_b128 v[4:7], v2 offset:1616
	ds_load_b128 v[12:15], v2 offset:1632
	s_wait_loadcnt_dscnt 0x401
	v_mul_f64_e32 v[152:153], v[4:5], v[138:139]
	v_mul_f64_e32 v[138:139], v[6:7], v[138:139]
	v_add_f64_e32 v[10:11], v[124:125], v[128:129]
	v_add_f64_e32 v[124:125], v[130:131], v[168:169]
	s_wait_loadcnt_dscnt 0x300
	v_mul_f64_e32 v[128:129], v[12:13], v[142:143]
	v_mul_f64_e32 v[130:131], v[14:15], v[142:143]
	v_fmac_f64_e32 v[152:153], v[6:7], v[136:137]
	v_fma_f64 v[132:133], v[4:5], v[136:137], -v[138:139]
	v_add_f64_e32 v[134:135], v[10:11], v[8:9]
	v_add_f64_e32 v[124:125], v[124:125], v[126:127]
	ds_load_b128 v[4:7], v2 offset:1648
	ds_load_b128 v[8:11], v2 offset:1664
	v_fmac_f64_e32 v[128:129], v[14:15], v[140:141]
	v_fma_f64 v[12:13], v[12:13], v[140:141], -v[130:131]
	s_wait_loadcnt_dscnt 0x201
	v_mul_f64_e32 v[126:127], v[4:5], v[146:147]
	v_mul_f64_e32 v[136:137], v[6:7], v[146:147]
	s_wait_loadcnt_dscnt 0x100
	v_mul_f64_e32 v[130:131], v[8:9], v[150:151]
	v_add_f64_e32 v[14:15], v[134:135], v[132:133]
	v_add_f64_e32 v[124:125], v[124:125], v[152:153]
	v_mul_f64_e32 v[132:133], v[10:11], v[150:151]
	v_fmac_f64_e32 v[126:127], v[6:7], v[144:145]
	v_fma_f64 v[134:135], v[4:5], v[144:145], -v[136:137]
	ds_load_b128 v[4:7], v2 offset:1680
	v_fmac_f64_e32 v[130:131], v[10:11], v[148:149]
	v_add_f64_e32 v[12:13], v[14:15], v[12:13]
	v_add_f64_e32 v[14:15], v[124:125], v[128:129]
	v_fma_f64 v[8:9], v[8:9], v[148:149], -v[132:133]
	s_wait_loadcnt_dscnt 0x0
	v_mul_f64_e32 v[124:125], v[4:5], v[158:159]
	v_mul_f64_e32 v[128:129], v[6:7], v[158:159]
	v_add_f64_e32 v[10:11], v[12:13], v[134:135]
	v_add_f64_e32 v[12:13], v[14:15], v[126:127]
	s_delay_alu instid0(VALU_DEP_4) | instskip(NEXT) | instid1(VALU_DEP_4)
	v_fmac_f64_e32 v[124:125], v[6:7], v[156:157]
	v_fma_f64 v[4:5], v[4:5], v[156:157], -v[128:129]
	s_delay_alu instid0(VALU_DEP_4) | instskip(NEXT) | instid1(VALU_DEP_4)
	v_add_f64_e32 v[6:7], v[10:11], v[8:9]
	v_add_f64_e32 v[8:9], v[12:13], v[130:131]
	s_delay_alu instid0(VALU_DEP_2) | instskip(NEXT) | instid1(VALU_DEP_2)
	v_add_f64_e32 v[4:5], v[6:7], v[4:5]
	v_add_f64_e32 v[6:7], v[8:9], v[124:125]
	s_delay_alu instid0(VALU_DEP_2) | instskip(NEXT) | instid1(VALU_DEP_2)
	v_add_f64_e64 v[4:5], v[160:161], -v[4:5]
	v_add_f64_e64 v[6:7], v[162:163], -v[6:7]
	scratch_store_b128 off, v[4:7], off offset:80
	s_wait_xcnt 0x0
	v_cmpx_lt_u32_e32 4, v1
	s_cbranch_execz .LBB116_323
; %bb.322:
	scratch_load_b128 v[6:9], off, s12
	v_dual_mov_b32 v3, v2 :: v_dual_mov_b32 v4, v2
	v_mov_b32_e32 v5, v2
	scratch_store_b128 off, v[2:5], off offset:64
	s_wait_loadcnt 0x0
	ds_store_b128 v122, v[6:9]
.LBB116_323:
	s_wait_xcnt 0x0
	s_or_b32 exec_lo, exec_lo, s2
	s_wait_storecnt_dscnt 0x0
	s_barrier_signal -1
	s_barrier_wait -1
	s_clause 0x9
	scratch_load_b128 v[4:7], off, off offset:80
	scratch_load_b128 v[8:11], off, off offset:96
	;; [unrolled: 1-line block ×10, first 2 shown]
	ds_load_b128 v[152:155], v2 offset:928
	ds_load_b128 v[160:163], v2 offset:944
	s_clause 0x2
	scratch_load_b128 v[156:159], off, off offset:240
	scratch_load_b128 v[164:167], off, off offset:64
	;; [unrolled: 1-line block ×3, first 2 shown]
	s_mov_b32 s2, exec_lo
	s_wait_loadcnt_dscnt 0xc01
	v_mul_f64_e32 v[172:173], v[154:155], v[6:7]
	v_mul_f64_e32 v[176:177], v[152:153], v[6:7]
	s_wait_loadcnt_dscnt 0xb00
	v_mul_f64_e32 v[178:179], v[160:161], v[10:11]
	v_mul_f64_e32 v[10:11], v[162:163], v[10:11]
	s_delay_alu instid0(VALU_DEP_4) | instskip(NEXT) | instid1(VALU_DEP_4)
	v_fma_f64 v[180:181], v[152:153], v[4:5], -v[172:173]
	v_fmac_f64_e32 v[176:177], v[154:155], v[4:5]
	ds_load_b128 v[4:7], v2 offset:960
	ds_load_b128 v[152:155], v2 offset:976
	scratch_load_b128 v[172:175], off, off offset:272
	v_fmac_f64_e32 v[178:179], v[162:163], v[8:9]
	v_fma_f64 v[160:161], v[160:161], v[8:9], -v[10:11]
	scratch_load_b128 v[8:11], off, off offset:288
	s_wait_loadcnt_dscnt 0xc01
	v_mul_f64_e32 v[182:183], v[4:5], v[14:15]
	v_mul_f64_e32 v[14:15], v[6:7], v[14:15]
	v_add_f64_e32 v[162:163], 0, v[180:181]
	v_add_f64_e32 v[176:177], 0, v[176:177]
	s_wait_loadcnt_dscnt 0xb00
	v_mul_f64_e32 v[180:181], v[152:153], v[126:127]
	v_mul_f64_e32 v[126:127], v[154:155], v[126:127]
	v_fmac_f64_e32 v[182:183], v[6:7], v[12:13]
	v_fma_f64 v[184:185], v[4:5], v[12:13], -v[14:15]
	ds_load_b128 v[4:7], v2 offset:992
	ds_load_b128 v[12:15], v2 offset:1008
	v_add_f64_e32 v[186:187], v[162:163], v[160:161]
	v_add_f64_e32 v[176:177], v[176:177], v[178:179]
	scratch_load_b128 v[160:163], off, off offset:304
	v_fmac_f64_e32 v[180:181], v[154:155], v[124:125]
	v_fma_f64 v[152:153], v[152:153], v[124:125], -v[126:127]
	scratch_load_b128 v[124:127], off, off offset:320
	s_wait_loadcnt_dscnt 0xc01
	v_mul_f64_e32 v[178:179], v[4:5], v[130:131]
	v_mul_f64_e32 v[130:131], v[6:7], v[130:131]
	v_add_f64_e32 v[154:155], v[186:187], v[184:185]
	v_add_f64_e32 v[176:177], v[176:177], v[182:183]
	s_wait_loadcnt_dscnt 0xb00
	v_mul_f64_e32 v[182:183], v[12:13], v[134:135]
	v_mul_f64_e32 v[134:135], v[14:15], v[134:135]
	v_fmac_f64_e32 v[178:179], v[6:7], v[128:129]
	v_fma_f64 v[184:185], v[4:5], v[128:129], -v[130:131]
	ds_load_b128 v[4:7], v2 offset:1024
	ds_load_b128 v[128:131], v2 offset:1040
	v_add_f64_e32 v[186:187], v[154:155], v[152:153]
	v_add_f64_e32 v[176:177], v[176:177], v[180:181]
	scratch_load_b128 v[152:155], off, off offset:336
	s_wait_loadcnt_dscnt 0xb01
	v_mul_f64_e32 v[180:181], v[4:5], v[138:139]
	v_mul_f64_e32 v[138:139], v[6:7], v[138:139]
	v_fmac_f64_e32 v[182:183], v[14:15], v[132:133]
	v_fma_f64 v[132:133], v[12:13], v[132:133], -v[134:135]
	scratch_load_b128 v[12:15], off, off offset:352
	v_add_f64_e32 v[134:135], v[186:187], v[184:185]
	v_add_f64_e32 v[176:177], v[176:177], v[178:179]
	s_wait_loadcnt_dscnt 0xb00
	v_mul_f64_e32 v[178:179], v[128:129], v[142:143]
	v_mul_f64_e32 v[142:143], v[130:131], v[142:143]
	v_fmac_f64_e32 v[180:181], v[6:7], v[136:137]
	v_fma_f64 v[184:185], v[4:5], v[136:137], -v[138:139]
	v_add_f64_e32 v[186:187], v[134:135], v[132:133]
	v_add_f64_e32 v[176:177], v[176:177], v[182:183]
	ds_load_b128 v[4:7], v2 offset:1056
	ds_load_b128 v[132:135], v2 offset:1072
	scratch_load_b128 v[136:139], off, off offset:368
	v_fmac_f64_e32 v[178:179], v[130:131], v[140:141]
	v_fma_f64 v[140:141], v[128:129], v[140:141], -v[142:143]
	scratch_load_b128 v[128:131], off, off offset:384
	s_wait_loadcnt_dscnt 0xc01
	v_mul_f64_e32 v[182:183], v[4:5], v[146:147]
	v_mul_f64_e32 v[146:147], v[6:7], v[146:147]
	v_add_f64_e32 v[142:143], v[186:187], v[184:185]
	v_add_f64_e32 v[176:177], v[176:177], v[180:181]
	s_wait_loadcnt_dscnt 0xb00
	v_mul_f64_e32 v[180:181], v[132:133], v[150:151]
	v_mul_f64_e32 v[150:151], v[134:135], v[150:151]
	v_fmac_f64_e32 v[182:183], v[6:7], v[144:145]
	v_fma_f64 v[184:185], v[4:5], v[144:145], -v[146:147]
	v_add_f64_e32 v[186:187], v[142:143], v[140:141]
	v_add_f64_e32 v[176:177], v[176:177], v[178:179]
	ds_load_b128 v[4:7], v2 offset:1088
	ds_load_b128 v[140:143], v2 offset:1104
	scratch_load_b128 v[144:147], off, off offset:400
	v_fmac_f64_e32 v[180:181], v[134:135], v[148:149]
	v_fma_f64 v[148:149], v[132:133], v[148:149], -v[150:151]
	scratch_load_b128 v[132:135], off, off offset:416
	s_wait_loadcnt_dscnt 0xc01
	v_mul_f64_e32 v[178:179], v[4:5], v[158:159]
	v_mul_f64_e32 v[158:159], v[6:7], v[158:159]
	;; [unrolled: 18-line block ×5, first 2 shown]
	v_add_f64_e32 v[170:171], v[186:187], v[184:185]
	v_add_f64_e32 v[176:177], v[176:177], v[182:183]
	s_wait_loadcnt_dscnt 0xa00
	v_mul_f64_e32 v[182:183], v[148:149], v[14:15]
	v_mul_f64_e32 v[14:15], v[150:151], v[14:15]
	v_fmac_f64_e32 v[178:179], v[6:7], v[152:153]
	v_fma_f64 v[184:185], v[4:5], v[152:153], -v[154:155]
	ds_load_b128 v[4:7], v2 offset:1216
	ds_load_b128 v[152:155], v2 offset:1232
	v_add_f64_e32 v[186:187], v[170:171], v[168:169]
	v_add_f64_e32 v[176:177], v[176:177], v[180:181]
	scratch_load_b128 v[168:171], off, off offset:528
	v_fmac_f64_e32 v[182:183], v[150:151], v[12:13]
	v_fma_f64 v[148:149], v[148:149], v[12:13], -v[14:15]
	scratch_load_b128 v[12:15], off, off offset:544
	s_wait_loadcnt_dscnt 0xb01
	v_mul_f64_e32 v[180:181], v[4:5], v[138:139]
	v_mul_f64_e32 v[138:139], v[6:7], v[138:139]
	v_add_f64_e32 v[150:151], v[186:187], v[184:185]
	v_add_f64_e32 v[176:177], v[176:177], v[178:179]
	s_wait_loadcnt_dscnt 0xa00
	v_mul_f64_e32 v[178:179], v[152:153], v[130:131]
	v_mul_f64_e32 v[130:131], v[154:155], v[130:131]
	v_fmac_f64_e32 v[180:181], v[6:7], v[136:137]
	v_fma_f64 v[184:185], v[4:5], v[136:137], -v[138:139]
	ds_load_b128 v[4:7], v2 offset:1248
	ds_load_b128 v[136:139], v2 offset:1264
	v_add_f64_e32 v[186:187], v[150:151], v[148:149]
	v_add_f64_e32 v[176:177], v[176:177], v[182:183]
	scratch_load_b128 v[148:151], off, off offset:560
	s_wait_loadcnt_dscnt 0xa01
	v_mul_f64_e32 v[182:183], v[4:5], v[146:147]
	v_mul_f64_e32 v[146:147], v[6:7], v[146:147]
	v_fmac_f64_e32 v[178:179], v[154:155], v[128:129]
	v_fma_f64 v[152:153], v[152:153], v[128:129], -v[130:131]
	scratch_load_b128 v[128:131], off, off offset:576
	v_add_f64_e32 v[154:155], v[186:187], v[184:185]
	v_add_f64_e32 v[176:177], v[176:177], v[180:181]
	s_wait_loadcnt_dscnt 0xa00
	v_mul_f64_e32 v[180:181], v[136:137], v[134:135]
	v_mul_f64_e32 v[134:135], v[138:139], v[134:135]
	v_fmac_f64_e32 v[182:183], v[6:7], v[144:145]
	v_fma_f64 v[184:185], v[4:5], v[144:145], -v[146:147]
	ds_load_b128 v[4:7], v2 offset:1280
	ds_load_b128 v[144:147], v2 offset:1296
	v_add_f64_e32 v[186:187], v[154:155], v[152:153]
	v_add_f64_e32 v[176:177], v[176:177], v[178:179]
	scratch_load_b128 v[152:155], off, off offset:592
	s_wait_loadcnt_dscnt 0xa01
	v_mul_f64_e32 v[178:179], v[4:5], v[158:159]
	v_mul_f64_e32 v[158:159], v[6:7], v[158:159]
	v_fmac_f64_e32 v[180:181], v[138:139], v[132:133]
	v_fma_f64 v[136:137], v[136:137], v[132:133], -v[134:135]
	scratch_load_b128 v[132:135], off, off offset:608
	v_add_f64_e32 v[138:139], v[186:187], v[184:185]
	v_add_f64_e32 v[176:177], v[176:177], v[182:183]
	s_wait_loadcnt_dscnt 0xa00
	v_mul_f64_e32 v[182:183], v[144:145], v[142:143]
	v_mul_f64_e32 v[142:143], v[146:147], v[142:143]
	v_fmac_f64_e32 v[178:179], v[6:7], v[156:157]
	v_fma_f64 v[184:185], v[4:5], v[156:157], -v[158:159]
	v_add_f64_e32 v[186:187], v[138:139], v[136:137]
	v_add_f64_e32 v[176:177], v[176:177], v[180:181]
	ds_load_b128 v[4:7], v2 offset:1312
	ds_load_b128 v[136:139], v2 offset:1328
	scratch_load_b128 v[156:159], off, off offset:624
	v_fmac_f64_e32 v[182:183], v[146:147], v[140:141]
	v_fma_f64 v[144:145], v[144:145], v[140:141], -v[142:143]
	scratch_load_b128 v[140:143], off, off offset:640
	s_wait_loadcnt_dscnt 0xb01
	v_mul_f64_e32 v[180:181], v[4:5], v[174:175]
	v_mul_f64_e32 v[174:175], v[6:7], v[174:175]
	v_add_f64_e32 v[146:147], v[186:187], v[184:185]
	v_add_f64_e32 v[176:177], v[176:177], v[178:179]
	s_wait_loadcnt_dscnt 0xa00
	v_mul_f64_e32 v[178:179], v[136:137], v[10:11]
	v_mul_f64_e32 v[10:11], v[138:139], v[10:11]
	v_fmac_f64_e32 v[180:181], v[6:7], v[172:173]
	v_fma_f64 v[184:185], v[4:5], v[172:173], -v[174:175]
	v_add_f64_e32 v[186:187], v[146:147], v[144:145]
	v_add_f64_e32 v[176:177], v[176:177], v[182:183]
	ds_load_b128 v[4:7], v2 offset:1344
	ds_load_b128 v[144:147], v2 offset:1360
	scratch_load_b128 v[172:175], off, off offset:656
	v_fmac_f64_e32 v[178:179], v[138:139], v[8:9]
	v_fma_f64 v[136:137], v[136:137], v[8:9], -v[10:11]
	scratch_load_b128 v[8:11], off, off offset:672
	s_wait_loadcnt_dscnt 0xb01
	v_mul_f64_e32 v[182:183], v[4:5], v[162:163]
	v_mul_f64_e32 v[162:163], v[6:7], v[162:163]
	v_add_f64_e32 v[138:139], v[186:187], v[184:185]
	v_add_f64_e32 v[176:177], v[176:177], v[180:181]
	s_wait_loadcnt_dscnt 0xa00
	v_mul_f64_e32 v[180:181], v[144:145], v[126:127]
	v_mul_f64_e32 v[126:127], v[146:147], v[126:127]
	v_fmac_f64_e32 v[182:183], v[6:7], v[160:161]
	v_fma_f64 v[184:185], v[4:5], v[160:161], -v[162:163]
	v_add_f64_e32 v[186:187], v[138:139], v[136:137]
	v_add_f64_e32 v[176:177], v[176:177], v[178:179]
	ds_load_b128 v[4:7], v2 offset:1376
	ds_load_b128 v[136:139], v2 offset:1392
	scratch_load_b128 v[160:163], off, off offset:688
	v_fmac_f64_e32 v[180:181], v[146:147], v[124:125]
	v_fma_f64 v[144:145], v[144:145], v[124:125], -v[126:127]
	scratch_load_b128 v[124:127], off, off offset:704
	s_wait_loadcnt_dscnt 0xb01
	v_mul_f64_e32 v[178:179], v[4:5], v[170:171]
	v_mul_f64_e32 v[170:171], v[6:7], v[170:171]
	v_add_f64_e32 v[146:147], v[186:187], v[184:185]
	v_add_f64_e32 v[176:177], v[176:177], v[182:183]
	s_wait_loadcnt_dscnt 0xa00
	v_mul_f64_e32 v[182:183], v[136:137], v[14:15]
	v_mul_f64_e32 v[14:15], v[138:139], v[14:15]
	v_fmac_f64_e32 v[178:179], v[6:7], v[168:169]
	v_fma_f64 v[184:185], v[4:5], v[168:169], -v[170:171]
	v_add_f64_e32 v[186:187], v[146:147], v[144:145]
	v_add_f64_e32 v[176:177], v[176:177], v[180:181]
	ds_load_b128 v[4:7], v2 offset:1408
	ds_load_b128 v[144:147], v2 offset:1424
	scratch_load_b128 v[168:171], off, off offset:720
	v_fmac_f64_e32 v[182:183], v[138:139], v[12:13]
	v_fma_f64 v[136:137], v[136:137], v[12:13], -v[14:15]
	scratch_load_b128 v[12:15], off, off offset:736
	s_wait_loadcnt_dscnt 0xb01
	v_mul_f64_e32 v[180:181], v[4:5], v[150:151]
	v_mul_f64_e32 v[150:151], v[6:7], v[150:151]
	v_add_f64_e32 v[138:139], v[186:187], v[184:185]
	v_add_f64_e32 v[176:177], v[176:177], v[178:179]
	s_wait_loadcnt_dscnt 0xa00
	v_mul_f64_e32 v[178:179], v[144:145], v[130:131]
	v_mul_f64_e32 v[130:131], v[146:147], v[130:131]
	v_fmac_f64_e32 v[180:181], v[6:7], v[148:149]
	v_fma_f64 v[184:185], v[4:5], v[148:149], -v[150:151]
	v_add_f64_e32 v[186:187], v[138:139], v[136:137]
	v_add_f64_e32 v[176:177], v[176:177], v[182:183]
	ds_load_b128 v[4:7], v2 offset:1440
	ds_load_b128 v[136:139], v2 offset:1456
	scratch_load_b128 v[148:151], off, off offset:752
	v_fmac_f64_e32 v[178:179], v[146:147], v[128:129]
	v_fma_f64 v[144:145], v[144:145], v[128:129], -v[130:131]
	scratch_load_b128 v[128:131], off, off offset:768
	s_wait_loadcnt_dscnt 0xb01
	v_mul_f64_e32 v[182:183], v[4:5], v[154:155]
	v_mul_f64_e32 v[154:155], v[6:7], v[154:155]
	v_add_f64_e32 v[146:147], v[186:187], v[184:185]
	v_add_f64_e32 v[176:177], v[176:177], v[180:181]
	s_wait_loadcnt_dscnt 0xa00
	v_mul_f64_e32 v[180:181], v[136:137], v[134:135]
	v_mul_f64_e32 v[134:135], v[138:139], v[134:135]
	v_fmac_f64_e32 v[182:183], v[6:7], v[152:153]
	v_fma_f64 v[184:185], v[4:5], v[152:153], -v[154:155]
	v_add_f64_e32 v[186:187], v[146:147], v[144:145]
	v_add_f64_e32 v[176:177], v[176:177], v[178:179]
	ds_load_b128 v[4:7], v2 offset:1472
	ds_load_b128 v[144:147], v2 offset:1488
	scratch_load_b128 v[152:155], off, off offset:784
	v_fmac_f64_e32 v[180:181], v[138:139], v[132:133]
	v_fma_f64 v[136:137], v[136:137], v[132:133], -v[134:135]
	scratch_load_b128 v[132:135], off, off offset:800
	s_wait_loadcnt_dscnt 0xb01
	v_mul_f64_e32 v[178:179], v[4:5], v[158:159]
	v_mul_f64_e32 v[158:159], v[6:7], v[158:159]
	v_add_f64_e32 v[138:139], v[186:187], v[184:185]
	v_add_f64_e32 v[176:177], v[176:177], v[182:183]
	s_wait_loadcnt_dscnt 0xa00
	v_mul_f64_e32 v[182:183], v[144:145], v[142:143]
	v_mul_f64_e32 v[142:143], v[146:147], v[142:143]
	v_fmac_f64_e32 v[178:179], v[6:7], v[156:157]
	v_fma_f64 v[184:185], v[4:5], v[156:157], -v[158:159]
	v_add_f64_e32 v[186:187], v[138:139], v[136:137]
	v_add_f64_e32 v[176:177], v[176:177], v[180:181]
	ds_load_b128 v[4:7], v2 offset:1504
	ds_load_b128 v[136:139], v2 offset:1520
	scratch_load_b128 v[156:159], off, off offset:816
	v_fmac_f64_e32 v[182:183], v[146:147], v[140:141]
	v_fma_f64 v[144:145], v[144:145], v[140:141], -v[142:143]
	scratch_load_b128 v[140:143], off, off offset:832
	s_wait_loadcnt_dscnt 0xb01
	v_mul_f64_e32 v[180:181], v[4:5], v[174:175]
	v_mul_f64_e32 v[174:175], v[6:7], v[174:175]
	v_add_f64_e32 v[146:147], v[186:187], v[184:185]
	v_add_f64_e32 v[176:177], v[176:177], v[178:179]
	s_wait_loadcnt_dscnt 0xa00
	v_mul_f64_e32 v[178:179], v[136:137], v[10:11]
	v_mul_f64_e32 v[10:11], v[138:139], v[10:11]
	v_fmac_f64_e32 v[180:181], v[6:7], v[172:173]
	v_fma_f64 v[172:173], v[4:5], v[172:173], -v[174:175]
	v_add_f64_e32 v[174:175], v[146:147], v[144:145]
	v_add_f64_e32 v[176:177], v[176:177], v[182:183]
	ds_load_b128 v[4:7], v2 offset:1536
	ds_load_b128 v[144:147], v2 offset:1552
	v_fmac_f64_e32 v[178:179], v[138:139], v[8:9]
	v_fma_f64 v[8:9], v[136:137], v[8:9], -v[10:11]
	s_wait_loadcnt_dscnt 0x901
	v_mul_f64_e32 v[182:183], v[4:5], v[162:163]
	v_mul_f64_e32 v[162:163], v[6:7], v[162:163]
	s_wait_loadcnt_dscnt 0x800
	v_mul_f64_e32 v[138:139], v[144:145], v[126:127]
	v_mul_f64_e32 v[126:127], v[146:147], v[126:127]
	v_add_f64_e32 v[10:11], v[174:175], v[172:173]
	v_add_f64_e32 v[136:137], v[176:177], v[180:181]
	v_fmac_f64_e32 v[182:183], v[6:7], v[160:161]
	v_fma_f64 v[160:161], v[4:5], v[160:161], -v[162:163]
	v_fmac_f64_e32 v[138:139], v[146:147], v[124:125]
	v_fma_f64 v[124:125], v[144:145], v[124:125], -v[126:127]
	v_add_f64_e32 v[162:163], v[10:11], v[8:9]
	v_add_f64_e32 v[136:137], v[136:137], v[178:179]
	ds_load_b128 v[4:7], v2 offset:1568
	ds_load_b128 v[8:11], v2 offset:1584
	s_wait_loadcnt_dscnt 0x701
	v_mul_f64_e32 v[172:173], v[4:5], v[170:171]
	v_mul_f64_e32 v[170:171], v[6:7], v[170:171]
	s_wait_loadcnt_dscnt 0x600
	v_mul_f64_e32 v[144:145], v[8:9], v[14:15]
	v_mul_f64_e32 v[14:15], v[10:11], v[14:15]
	v_add_f64_e32 v[126:127], v[162:163], v[160:161]
	v_add_f64_e32 v[136:137], v[136:137], v[182:183]
	v_fmac_f64_e32 v[172:173], v[6:7], v[168:169]
	v_fma_f64 v[146:147], v[4:5], v[168:169], -v[170:171]
	v_fmac_f64_e32 v[144:145], v[10:11], v[12:13]
	v_fma_f64 v[8:9], v[8:9], v[12:13], -v[14:15]
	v_add_f64_e32 v[160:161], v[126:127], v[124:125]
	v_add_f64_e32 v[136:137], v[136:137], v[138:139]
	ds_load_b128 v[4:7], v2 offset:1600
	ds_load_b128 v[124:127], v2 offset:1616
	s_wait_loadcnt_dscnt 0x501
	v_mul_f64_e32 v[138:139], v[4:5], v[150:151]
	v_mul_f64_e32 v[150:151], v[6:7], v[150:151]
	s_wait_loadcnt_dscnt 0x400
	v_mul_f64_e32 v[14:15], v[124:125], v[130:131]
	v_mul_f64_e32 v[130:131], v[126:127], v[130:131]
	v_add_f64_e32 v[10:11], v[160:161], v[146:147]
	v_add_f64_e32 v[12:13], v[136:137], v[172:173]
	v_fmac_f64_e32 v[138:139], v[6:7], v[148:149]
	v_fma_f64 v[136:137], v[4:5], v[148:149], -v[150:151]
	v_fmac_f64_e32 v[14:15], v[126:127], v[128:129]
	v_fma_f64 v[124:125], v[124:125], v[128:129], -v[130:131]
	v_add_f64_e32 v[146:147], v[10:11], v[8:9]
	v_add_f64_e32 v[12:13], v[12:13], v[144:145]
	ds_load_b128 v[4:7], v2 offset:1632
	ds_load_b128 v[8:11], v2 offset:1648
	s_wait_loadcnt_dscnt 0x301
	v_mul_f64_e32 v[144:145], v[4:5], v[154:155]
	v_mul_f64_e32 v[148:149], v[6:7], v[154:155]
	s_wait_loadcnt_dscnt 0x200
	v_mul_f64_e32 v[128:129], v[8:9], v[134:135]
	v_mul_f64_e32 v[130:131], v[10:11], v[134:135]
	v_add_f64_e32 v[126:127], v[146:147], v[136:137]
	v_add_f64_e32 v[12:13], v[12:13], v[138:139]
	v_fmac_f64_e32 v[144:145], v[6:7], v[152:153]
	v_fma_f64 v[134:135], v[4:5], v[152:153], -v[148:149]
	v_fmac_f64_e32 v[128:129], v[10:11], v[132:133]
	v_fma_f64 v[8:9], v[8:9], v[132:133], -v[130:131]
	v_add_f64_e32 v[124:125], v[126:127], v[124:125]
	v_add_f64_e32 v[126:127], v[12:13], v[14:15]
	ds_load_b128 v[4:7], v2 offset:1664
	ds_load_b128 v[12:15], v2 offset:1680
	s_wait_loadcnt_dscnt 0x101
	v_mul_f64_e32 v[2:3], v[4:5], v[158:159]
	v_mul_f64_e32 v[136:137], v[6:7], v[158:159]
	s_wait_loadcnt_dscnt 0x0
	v_mul_f64_e32 v[130:131], v[14:15], v[142:143]
	v_add_f64_e32 v[10:11], v[124:125], v[134:135]
	v_add_f64_e32 v[124:125], v[126:127], v[144:145]
	v_mul_f64_e32 v[126:127], v[12:13], v[142:143]
	v_fmac_f64_e32 v[2:3], v[6:7], v[156:157]
	v_fma_f64 v[4:5], v[4:5], v[156:157], -v[136:137]
	v_add_f64_e32 v[6:7], v[10:11], v[8:9]
	v_add_f64_e32 v[8:9], v[124:125], v[128:129]
	v_fmac_f64_e32 v[126:127], v[14:15], v[140:141]
	v_fma_f64 v[10:11], v[12:13], v[140:141], -v[130:131]
	s_delay_alu instid0(VALU_DEP_4) | instskip(NEXT) | instid1(VALU_DEP_4)
	v_add_f64_e32 v[4:5], v[6:7], v[4:5]
	v_add_f64_e32 v[2:3], v[8:9], v[2:3]
	s_delay_alu instid0(VALU_DEP_2) | instskip(NEXT) | instid1(VALU_DEP_2)
	v_add_f64_e32 v[4:5], v[4:5], v[10:11]
	v_add_f64_e32 v[6:7], v[2:3], v[126:127]
	s_delay_alu instid0(VALU_DEP_2) | instskip(NEXT) | instid1(VALU_DEP_2)
	v_add_f64_e64 v[2:3], v[164:165], -v[4:5]
	v_add_f64_e64 v[4:5], v[166:167], -v[6:7]
	scratch_store_b128 off, v[2:5], off offset:64
	s_wait_xcnt 0x0
	v_cmpx_lt_u32_e32 3, v1
	s_cbranch_execz .LBB116_325
; %bb.324:
	scratch_load_b128 v[2:5], off, s14
	v_mov_b32_e32 v6, 0
	s_delay_alu instid0(VALU_DEP_1)
	v_dual_mov_b32 v7, v6 :: v_dual_mov_b32 v8, v6
	v_mov_b32_e32 v9, v6
	scratch_store_b128 off, v[6:9], off offset:48
	s_wait_loadcnt 0x0
	ds_store_b128 v122, v[2:5]
.LBB116_325:
	s_wait_xcnt 0x0
	s_or_b32 exec_lo, exec_lo, s2
	s_wait_storecnt_dscnt 0x0
	s_barrier_signal -1
	s_barrier_wait -1
	s_clause 0x9
	scratch_load_b128 v[4:7], off, off offset:64
	scratch_load_b128 v[8:11], off, off offset:80
	;; [unrolled: 1-line block ×10, first 2 shown]
	v_mov_b32_e32 v2, 0
	s_mov_b32 s2, exec_lo
	ds_load_b128 v[152:155], v2 offset:912
	s_clause 0x2
	scratch_load_b128 v[156:159], off, off offset:224
	scratch_load_b128 v[160:163], off, off offset:48
	;; [unrolled: 1-line block ×3, first 2 shown]
	s_wait_loadcnt_dscnt 0xc00
	v_mul_f64_e32 v[172:173], v[154:155], v[6:7]
	v_mul_f64_e32 v[176:177], v[152:153], v[6:7]
	ds_load_b128 v[164:167], v2 offset:928
	v_fma_f64 v[180:181], v[152:153], v[4:5], -v[172:173]
	v_fmac_f64_e32 v[176:177], v[154:155], v[4:5]
	ds_load_b128 v[4:7], v2 offset:944
	s_wait_loadcnt_dscnt 0xb01
	v_mul_f64_e32 v[178:179], v[164:165], v[10:11]
	v_mul_f64_e32 v[10:11], v[166:167], v[10:11]
	scratch_load_b128 v[152:155], off, off offset:256
	ds_load_b128 v[172:175], v2 offset:960
	s_wait_loadcnt_dscnt 0xb01
	v_mul_f64_e32 v[182:183], v[4:5], v[14:15]
	v_mul_f64_e32 v[14:15], v[6:7], v[14:15]
	v_add_f64_e32 v[176:177], 0, v[176:177]
	v_fmac_f64_e32 v[178:179], v[166:167], v[8:9]
	v_fma_f64 v[164:165], v[164:165], v[8:9], -v[10:11]
	v_add_f64_e32 v[166:167], 0, v[180:181]
	scratch_load_b128 v[8:11], off, off offset:272
	v_fmac_f64_e32 v[182:183], v[6:7], v[12:13]
	v_fma_f64 v[184:185], v[4:5], v[12:13], -v[14:15]
	ds_load_b128 v[4:7], v2 offset:976
	s_wait_loadcnt_dscnt 0xb01
	v_mul_f64_e32 v[180:181], v[172:173], v[126:127]
	v_mul_f64_e32 v[126:127], v[174:175], v[126:127]
	scratch_load_b128 v[12:15], off, off offset:288
	v_add_f64_e32 v[176:177], v[176:177], v[178:179]
	v_add_f64_e32 v[186:187], v[166:167], v[164:165]
	ds_load_b128 v[164:167], v2 offset:992
	s_wait_loadcnt_dscnt 0xb01
	v_mul_f64_e32 v[178:179], v[4:5], v[130:131]
	v_mul_f64_e32 v[130:131], v[6:7], v[130:131]
	v_fmac_f64_e32 v[180:181], v[174:175], v[124:125]
	v_fma_f64 v[172:173], v[172:173], v[124:125], -v[126:127]
	scratch_load_b128 v[124:127], off, off offset:304
	v_add_f64_e32 v[176:177], v[176:177], v[182:183]
	v_add_f64_e32 v[174:175], v[186:187], v[184:185]
	v_fmac_f64_e32 v[178:179], v[6:7], v[128:129]
	v_fma_f64 v[184:185], v[4:5], v[128:129], -v[130:131]
	ds_load_b128 v[4:7], v2 offset:1008
	s_wait_loadcnt_dscnt 0xb01
	v_mul_f64_e32 v[182:183], v[164:165], v[134:135]
	v_mul_f64_e32 v[134:135], v[166:167], v[134:135]
	scratch_load_b128 v[128:131], off, off offset:320
	v_add_f64_e32 v[176:177], v[176:177], v[180:181]
	s_wait_loadcnt_dscnt 0xb00
	v_mul_f64_e32 v[180:181], v[4:5], v[138:139]
	v_add_f64_e32 v[186:187], v[174:175], v[172:173]
	v_mul_f64_e32 v[138:139], v[6:7], v[138:139]
	ds_load_b128 v[172:175], v2 offset:1024
	v_fmac_f64_e32 v[182:183], v[166:167], v[132:133]
	v_fma_f64 v[164:165], v[164:165], v[132:133], -v[134:135]
	scratch_load_b128 v[132:135], off, off offset:336
	v_add_f64_e32 v[176:177], v[176:177], v[178:179]
	v_fmac_f64_e32 v[180:181], v[6:7], v[136:137]
	v_add_f64_e32 v[166:167], v[186:187], v[184:185]
	v_fma_f64 v[184:185], v[4:5], v[136:137], -v[138:139]
	ds_load_b128 v[4:7], v2 offset:1040
	s_wait_loadcnt_dscnt 0xb01
	v_mul_f64_e32 v[178:179], v[172:173], v[142:143]
	v_mul_f64_e32 v[142:143], v[174:175], v[142:143]
	scratch_load_b128 v[136:139], off, off offset:352
	v_add_f64_e32 v[176:177], v[176:177], v[182:183]
	s_wait_loadcnt_dscnt 0xb00
	v_mul_f64_e32 v[182:183], v[4:5], v[146:147]
	v_add_f64_e32 v[186:187], v[166:167], v[164:165]
	v_mul_f64_e32 v[146:147], v[6:7], v[146:147]
	ds_load_b128 v[164:167], v2 offset:1056
	v_fmac_f64_e32 v[178:179], v[174:175], v[140:141]
	v_fma_f64 v[172:173], v[172:173], v[140:141], -v[142:143]
	scratch_load_b128 v[140:143], off, off offset:368
	v_add_f64_e32 v[176:177], v[176:177], v[180:181]
	v_fmac_f64_e32 v[182:183], v[6:7], v[144:145]
	v_add_f64_e32 v[174:175], v[186:187], v[184:185]
	;; [unrolled: 18-line block ×3, first 2 shown]
	v_fma_f64 v[184:185], v[4:5], v[156:157], -v[158:159]
	ds_load_b128 v[4:7], v2 offset:1104
	s_wait_loadcnt_dscnt 0xa01
	v_mul_f64_e32 v[182:183], v[172:173], v[170:171]
	v_mul_f64_e32 v[170:171], v[174:175], v[170:171]
	scratch_load_b128 v[156:159], off, off offset:416
	v_add_f64_e32 v[176:177], v[176:177], v[180:181]
	v_add_f64_e32 v[186:187], v[166:167], v[164:165]
	s_wait_loadcnt_dscnt 0xa00
	v_mul_f64_e32 v[180:181], v[4:5], v[154:155]
	v_mul_f64_e32 v[154:155], v[6:7], v[154:155]
	v_fmac_f64_e32 v[182:183], v[174:175], v[168:169]
	v_fma_f64 v[172:173], v[172:173], v[168:169], -v[170:171]
	ds_load_b128 v[164:167], v2 offset:1120
	scratch_load_b128 v[168:171], off, off offset:432
	v_add_f64_e32 v[176:177], v[176:177], v[178:179]
	v_add_f64_e32 v[174:175], v[186:187], v[184:185]
	v_fmac_f64_e32 v[180:181], v[6:7], v[152:153]
	v_fma_f64 v[184:185], v[4:5], v[152:153], -v[154:155]
	ds_load_b128 v[4:7], v2 offset:1136
	s_wait_loadcnt_dscnt 0xa01
	v_mul_f64_e32 v[178:179], v[164:165], v[10:11]
	v_mul_f64_e32 v[10:11], v[166:167], v[10:11]
	scratch_load_b128 v[152:155], off, off offset:448
	v_add_f64_e32 v[176:177], v[176:177], v[182:183]
	s_wait_loadcnt_dscnt 0xa00
	v_mul_f64_e32 v[182:183], v[4:5], v[14:15]
	v_add_f64_e32 v[186:187], v[174:175], v[172:173]
	v_mul_f64_e32 v[14:15], v[6:7], v[14:15]
	ds_load_b128 v[172:175], v2 offset:1152
	v_fmac_f64_e32 v[178:179], v[166:167], v[8:9]
	v_fma_f64 v[164:165], v[164:165], v[8:9], -v[10:11]
	scratch_load_b128 v[8:11], off, off offset:464
	v_add_f64_e32 v[176:177], v[176:177], v[180:181]
	v_fmac_f64_e32 v[182:183], v[6:7], v[12:13]
	v_add_f64_e32 v[166:167], v[186:187], v[184:185]
	v_fma_f64 v[184:185], v[4:5], v[12:13], -v[14:15]
	ds_load_b128 v[4:7], v2 offset:1168
	s_wait_loadcnt_dscnt 0xa01
	v_mul_f64_e32 v[180:181], v[172:173], v[126:127]
	v_mul_f64_e32 v[126:127], v[174:175], v[126:127]
	scratch_load_b128 v[12:15], off, off offset:480
	v_add_f64_e32 v[176:177], v[176:177], v[178:179]
	s_wait_loadcnt_dscnt 0xa00
	v_mul_f64_e32 v[178:179], v[4:5], v[130:131]
	v_add_f64_e32 v[186:187], v[166:167], v[164:165]
	v_mul_f64_e32 v[130:131], v[6:7], v[130:131]
	ds_load_b128 v[164:167], v2 offset:1184
	v_fmac_f64_e32 v[180:181], v[174:175], v[124:125]
	v_fma_f64 v[172:173], v[172:173], v[124:125], -v[126:127]
	scratch_load_b128 v[124:127], off, off offset:496
	v_add_f64_e32 v[176:177], v[176:177], v[182:183]
	v_fmac_f64_e32 v[178:179], v[6:7], v[128:129]
	v_add_f64_e32 v[174:175], v[186:187], v[184:185]
	;; [unrolled: 18-line block ×12, first 2 shown]
	v_fma_f64 v[184:185], v[4:5], v[152:153], -v[154:155]
	ds_load_b128 v[4:7], v2 offset:1520
	s_wait_loadcnt_dscnt 0xa01
	v_mul_f64_e32 v[178:179], v[164:165], v[10:11]
	v_mul_f64_e32 v[10:11], v[166:167], v[10:11]
	scratch_load_b128 v[152:155], off, off offset:832
	v_add_f64_e32 v[176:177], v[176:177], v[182:183]
	s_wait_loadcnt_dscnt 0xa00
	v_mul_f64_e32 v[182:183], v[4:5], v[14:15]
	v_add_f64_e32 v[186:187], v[174:175], v[172:173]
	v_mul_f64_e32 v[14:15], v[6:7], v[14:15]
	ds_load_b128 v[172:175], v2 offset:1536
	v_fmac_f64_e32 v[178:179], v[166:167], v[8:9]
	v_fma_f64 v[8:9], v[164:165], v[8:9], -v[10:11]
	s_wait_loadcnt_dscnt 0x900
	v_mul_f64_e32 v[166:167], v[172:173], v[126:127]
	v_mul_f64_e32 v[126:127], v[174:175], v[126:127]
	v_add_f64_e32 v[164:165], v[176:177], v[180:181]
	v_fmac_f64_e32 v[182:183], v[6:7], v[12:13]
	v_add_f64_e32 v[10:11], v[186:187], v[184:185]
	v_fma_f64 v[12:13], v[4:5], v[12:13], -v[14:15]
	v_fmac_f64_e32 v[166:167], v[174:175], v[124:125]
	v_fma_f64 v[124:125], v[172:173], v[124:125], -v[126:127]
	v_add_f64_e32 v[164:165], v[164:165], v[178:179]
	v_add_f64_e32 v[14:15], v[10:11], v[8:9]
	ds_load_b128 v[4:7], v2 offset:1552
	ds_load_b128 v[8:11], v2 offset:1568
	s_wait_loadcnt_dscnt 0x801
	v_mul_f64_e32 v[176:177], v[4:5], v[130:131]
	v_mul_f64_e32 v[130:131], v[6:7], v[130:131]
	s_wait_loadcnt_dscnt 0x700
	v_mul_f64_e32 v[126:127], v[8:9], v[134:135]
	v_mul_f64_e32 v[134:135], v[10:11], v[134:135]
	v_add_f64_e32 v[12:13], v[14:15], v[12:13]
	v_add_f64_e32 v[14:15], v[164:165], v[182:183]
	v_fmac_f64_e32 v[176:177], v[6:7], v[128:129]
	v_fma_f64 v[128:129], v[4:5], v[128:129], -v[130:131]
	v_fmac_f64_e32 v[126:127], v[10:11], v[132:133]
	v_fma_f64 v[8:9], v[8:9], v[132:133], -v[134:135]
	v_add_f64_e32 v[124:125], v[12:13], v[124:125]
	v_add_f64_e32 v[130:131], v[14:15], v[166:167]
	ds_load_b128 v[4:7], v2 offset:1584
	ds_load_b128 v[12:15], v2 offset:1600
	s_wait_loadcnt_dscnt 0x601
	v_mul_f64_e32 v[164:165], v[4:5], v[138:139]
	v_mul_f64_e32 v[138:139], v[6:7], v[138:139]
	v_add_f64_e32 v[10:11], v[124:125], v[128:129]
	v_add_f64_e32 v[124:125], v[130:131], v[176:177]
	s_wait_loadcnt_dscnt 0x500
	v_mul_f64_e32 v[128:129], v[12:13], v[142:143]
	v_mul_f64_e32 v[130:131], v[14:15], v[142:143]
	v_fmac_f64_e32 v[164:165], v[6:7], v[136:137]
	v_fma_f64 v[132:133], v[4:5], v[136:137], -v[138:139]
	v_add_f64_e32 v[134:135], v[10:11], v[8:9]
	v_add_f64_e32 v[124:125], v[124:125], v[126:127]
	ds_load_b128 v[4:7], v2 offset:1616
	ds_load_b128 v[8:11], v2 offset:1632
	v_fmac_f64_e32 v[128:129], v[14:15], v[140:141]
	v_fma_f64 v[12:13], v[12:13], v[140:141], -v[130:131]
	s_wait_loadcnt_dscnt 0x401
	v_mul_f64_e32 v[126:127], v[4:5], v[146:147]
	v_mul_f64_e32 v[136:137], v[6:7], v[146:147]
	s_wait_loadcnt_dscnt 0x300
	v_mul_f64_e32 v[130:131], v[8:9], v[150:151]
	v_add_f64_e32 v[14:15], v[134:135], v[132:133]
	v_add_f64_e32 v[124:125], v[124:125], v[164:165]
	v_mul_f64_e32 v[132:133], v[10:11], v[150:151]
	v_fmac_f64_e32 v[126:127], v[6:7], v[144:145]
	v_fma_f64 v[134:135], v[4:5], v[144:145], -v[136:137]
	v_fmac_f64_e32 v[130:131], v[10:11], v[148:149]
	v_add_f64_e32 v[136:137], v[14:15], v[12:13]
	v_add_f64_e32 v[124:125], v[124:125], v[128:129]
	ds_load_b128 v[4:7], v2 offset:1648
	ds_load_b128 v[12:15], v2 offset:1664
	v_fma_f64 v[8:9], v[8:9], v[148:149], -v[132:133]
	s_wait_loadcnt_dscnt 0x201
	v_mul_f64_e32 v[128:129], v[4:5], v[158:159]
	v_mul_f64_e32 v[138:139], v[6:7], v[158:159]
	s_wait_loadcnt_dscnt 0x100
	v_mul_f64_e32 v[132:133], v[14:15], v[170:171]
	v_add_f64_e32 v[10:11], v[136:137], v[134:135]
	v_add_f64_e32 v[124:125], v[124:125], v[126:127]
	v_mul_f64_e32 v[126:127], v[12:13], v[170:171]
	v_fmac_f64_e32 v[128:129], v[6:7], v[156:157]
	v_fma_f64 v[134:135], v[4:5], v[156:157], -v[138:139]
	ds_load_b128 v[4:7], v2 offset:1680
	v_fma_f64 v[12:13], v[12:13], v[168:169], -v[132:133]
	v_add_f64_e32 v[8:9], v[10:11], v[8:9]
	v_add_f64_e32 v[10:11], v[124:125], v[130:131]
	v_fmac_f64_e32 v[126:127], v[14:15], v[168:169]
	s_wait_loadcnt_dscnt 0x0
	v_mul_f64_e32 v[124:125], v[4:5], v[154:155]
	v_mul_f64_e32 v[130:131], v[6:7], v[154:155]
	v_add_f64_e32 v[8:9], v[8:9], v[134:135]
	v_add_f64_e32 v[10:11], v[10:11], v[128:129]
	s_delay_alu instid0(VALU_DEP_4) | instskip(NEXT) | instid1(VALU_DEP_4)
	v_fmac_f64_e32 v[124:125], v[6:7], v[152:153]
	v_fma_f64 v[4:5], v[4:5], v[152:153], -v[130:131]
	s_delay_alu instid0(VALU_DEP_4) | instskip(NEXT) | instid1(VALU_DEP_4)
	v_add_f64_e32 v[6:7], v[8:9], v[12:13]
	v_add_f64_e32 v[8:9], v[10:11], v[126:127]
	s_delay_alu instid0(VALU_DEP_2) | instskip(NEXT) | instid1(VALU_DEP_2)
	v_add_f64_e32 v[4:5], v[6:7], v[4:5]
	v_add_f64_e32 v[6:7], v[8:9], v[124:125]
	s_delay_alu instid0(VALU_DEP_2) | instskip(NEXT) | instid1(VALU_DEP_2)
	v_add_f64_e64 v[4:5], v[160:161], -v[4:5]
	v_add_f64_e64 v[6:7], v[162:163], -v[6:7]
	scratch_store_b128 off, v[4:7], off offset:48
	s_wait_xcnt 0x0
	v_cmpx_lt_u32_e32 2, v1
	s_cbranch_execz .LBB116_327
; %bb.326:
	scratch_load_b128 v[6:9], off, s16
	v_dual_mov_b32 v3, v2 :: v_dual_mov_b32 v4, v2
	v_mov_b32_e32 v5, v2
	scratch_store_b128 off, v[2:5], off offset:32
	s_wait_loadcnt 0x0
	ds_store_b128 v122, v[6:9]
.LBB116_327:
	s_wait_xcnt 0x0
	s_or_b32 exec_lo, exec_lo, s2
	s_wait_storecnt_dscnt 0x0
	s_barrier_signal -1
	s_barrier_wait -1
	s_clause 0x9
	scratch_load_b128 v[4:7], off, off offset:48
	scratch_load_b128 v[8:11], off, off offset:64
	;; [unrolled: 1-line block ×10, first 2 shown]
	ds_load_b128 v[152:155], v2 offset:896
	ds_load_b128 v[160:163], v2 offset:912
	s_clause 0x2
	scratch_load_b128 v[156:159], off, off offset:208
	scratch_load_b128 v[164:167], off, off offset:32
	;; [unrolled: 1-line block ×3, first 2 shown]
	s_mov_b32 s2, exec_lo
	v_ashrrev_i32_e32 v21, 31, v20
	v_ashrrev_i32_e32 v25, 31, v24
	;; [unrolled: 1-line block ×3, first 2 shown]
	v_dual_ashrrev_i32 v33, 31, v32 :: v_dual_ashrrev_i32 v23, 31, v22
	v_dual_ashrrev_i32 v27, 31, v26 :: v_dual_ashrrev_i32 v37, 31, v36
	;; [unrolled: 1-line block ×8, first 2 shown]
	v_ashrrev_i32_e32 v65, 31, v64
	v_ashrrev_i32_e32 v69, 31, v68
	v_dual_ashrrev_i32 v73, 31, v72 :: v_dual_ashrrev_i32 v55, 31, v54
	v_ashrrev_i32_e32 v59, 31, v58
	v_ashrrev_i32_e32 v63, 31, v62
	v_dual_ashrrev_i32 v67, 31, v66 :: v_dual_ashrrev_i32 v77, 31, v76
	v_dual_ashrrev_i32 v81, 31, v80 :: v_dual_ashrrev_i32 v71, 31, v70
	;; [unrolled: 1-line block ×3, first 2 shown]
	v_ashrrev_i32_e32 v89, 31, v88
	v_dual_ashrrev_i32 v93, 31, v92 :: v_dual_ashrrev_i32 v79, 31, v78
	v_dual_ashrrev_i32 v97, 31, v96 :: v_dual_ashrrev_i32 v83, 31, v82
	v_ashrrev_i32_e32 v101, 31, v100
	v_dual_ashrrev_i32 v105, 31, v104 :: v_dual_ashrrev_i32 v87, 31, v86
	v_ashrrev_i32_e32 v91, 31, v90
	v_dual_ashrrev_i32 v95, 31, v94 :: v_dual_ashrrev_i32 v109, 31, v108
	v_dual_ashrrev_i32 v113, 31, v112 :: v_dual_ashrrev_i32 v99, 31, v98
	;; [unrolled: 1-line block ×4, first 2 shown]
	v_ashrrev_i32_e32 v111, 31, v110
	v_ashrrev_i32_e32 v115, 31, v114
	;; [unrolled: 1-line block ×3, first 2 shown]
	s_wait_loadcnt_dscnt 0xc01
	v_mul_f64_e32 v[172:173], v[154:155], v[6:7]
	v_mul_f64_e32 v[176:177], v[152:153], v[6:7]
	s_wait_loadcnt_dscnt 0xb00
	v_mul_f64_e32 v[178:179], v[160:161], v[10:11]
	v_mul_f64_e32 v[10:11], v[162:163], v[10:11]
	s_delay_alu instid0(VALU_DEP_4) | instskip(NEXT) | instid1(VALU_DEP_4)
	v_fma_f64 v[180:181], v[152:153], v[4:5], -v[172:173]
	v_fmac_f64_e32 v[176:177], v[154:155], v[4:5]
	ds_load_b128 v[4:7], v2 offset:928
	ds_load_b128 v[172:175], v2 offset:944
	scratch_load_b128 v[152:155], off, off offset:240
	v_fmac_f64_e32 v[178:179], v[162:163], v[8:9]
	v_fma_f64 v[160:161], v[160:161], v[8:9], -v[10:11]
	scratch_load_b128 v[8:11], off, off offset:256
	s_wait_loadcnt_dscnt 0xc01
	v_mul_f64_e32 v[182:183], v[4:5], v[14:15]
	v_mul_f64_e32 v[14:15], v[6:7], v[14:15]
	v_add_f64_e32 v[162:163], 0, v[180:181]
	v_add_f64_e32 v[176:177], 0, v[176:177]
	s_wait_loadcnt_dscnt 0xb00
	v_mul_f64_e32 v[180:181], v[172:173], v[126:127]
	v_mul_f64_e32 v[126:127], v[174:175], v[126:127]
	v_fmac_f64_e32 v[182:183], v[6:7], v[12:13]
	v_fma_f64 v[184:185], v[4:5], v[12:13], -v[14:15]
	ds_load_b128 v[4:7], v2 offset:960
	scratch_load_b128 v[12:15], off, off offset:272
	v_add_f64_e32 v[186:187], v[162:163], v[160:161]
	v_add_f64_e32 v[176:177], v[176:177], v[178:179]
	ds_load_b128 v[160:163], v2 offset:976
	v_fmac_f64_e32 v[180:181], v[174:175], v[124:125]
	v_fma_f64 v[172:173], v[172:173], v[124:125], -v[126:127]
	scratch_load_b128 v[124:127], off, off offset:288
	s_wait_loadcnt_dscnt 0xc01
	v_mul_f64_e32 v[178:179], v[4:5], v[130:131]
	v_mul_f64_e32 v[130:131], v[6:7], v[130:131]
	v_add_f64_e32 v[174:175], v[186:187], v[184:185]
	v_add_f64_e32 v[176:177], v[176:177], v[182:183]
	s_wait_loadcnt_dscnt 0xb00
	v_mul_f64_e32 v[182:183], v[160:161], v[134:135]
	v_mul_f64_e32 v[134:135], v[162:163], v[134:135]
	v_fmac_f64_e32 v[178:179], v[6:7], v[128:129]
	v_fma_f64 v[184:185], v[4:5], v[128:129], -v[130:131]
	ds_load_b128 v[4:7], v2 offset:992
	scratch_load_b128 v[128:131], off, off offset:304
	v_add_f64_e32 v[186:187], v[174:175], v[172:173]
	v_add_f64_e32 v[176:177], v[176:177], v[180:181]
	ds_load_b128 v[172:175], v2 offset:1008
	s_wait_loadcnt_dscnt 0xb01
	v_mul_f64_e32 v[180:181], v[4:5], v[138:139]
	v_mul_f64_e32 v[138:139], v[6:7], v[138:139]
	v_fmac_f64_e32 v[182:183], v[162:163], v[132:133]
	v_fma_f64 v[160:161], v[160:161], v[132:133], -v[134:135]
	scratch_load_b128 v[132:135], off, off offset:320
	v_add_f64_e32 v[162:163], v[186:187], v[184:185]
	v_add_f64_e32 v[176:177], v[176:177], v[178:179]
	s_wait_loadcnt_dscnt 0xb00
	v_mul_f64_e32 v[178:179], v[172:173], v[142:143]
	v_mul_f64_e32 v[142:143], v[174:175], v[142:143]
	v_fmac_f64_e32 v[180:181], v[6:7], v[136:137]
	v_fma_f64 v[184:185], v[4:5], v[136:137], -v[138:139]
	ds_load_b128 v[4:7], v2 offset:1024
	scratch_load_b128 v[136:139], off, off offset:336
	v_add_f64_e32 v[186:187], v[162:163], v[160:161]
	v_add_f64_e32 v[176:177], v[176:177], v[182:183]
	ds_load_b128 v[160:163], v2 offset:1040
	s_wait_loadcnt_dscnt 0xb01
	v_mul_f64_e32 v[182:183], v[4:5], v[146:147]
	v_mul_f64_e32 v[146:147], v[6:7], v[146:147]
	v_fmac_f64_e32 v[178:179], v[174:175], v[140:141]
	v_fma_f64 v[172:173], v[172:173], v[140:141], -v[142:143]
	scratch_load_b128 v[140:143], off, off offset:352
	v_add_f64_e32 v[174:175], v[186:187], v[184:185]
	v_add_f64_e32 v[176:177], v[176:177], v[180:181]
	s_wait_loadcnt_dscnt 0xb00
	v_mul_f64_e32 v[180:181], v[160:161], v[150:151]
	v_mul_f64_e32 v[150:151], v[162:163], v[150:151]
	v_fmac_f64_e32 v[182:183], v[6:7], v[144:145]
	v_fma_f64 v[184:185], v[4:5], v[144:145], -v[146:147]
	ds_load_b128 v[4:7], v2 offset:1056
	scratch_load_b128 v[144:147], off, off offset:368
	v_add_f64_e32 v[186:187], v[174:175], v[172:173]
	v_add_f64_e32 v[176:177], v[176:177], v[178:179]
	ds_load_b128 v[172:175], v2 offset:1072
	s_wait_loadcnt_dscnt 0xb01
	v_mul_f64_e32 v[178:179], v[4:5], v[158:159]
	v_mul_f64_e32 v[158:159], v[6:7], v[158:159]
	v_fmac_f64_e32 v[180:181], v[162:163], v[148:149]
	v_fma_f64 v[160:161], v[160:161], v[148:149], -v[150:151]
	scratch_load_b128 v[148:151], off, off offset:384
	v_add_f64_e32 v[162:163], v[186:187], v[184:185]
	v_add_f64_e32 v[176:177], v[176:177], v[182:183]
	s_wait_loadcnt_dscnt 0xa00
	v_mul_f64_e32 v[182:183], v[172:173], v[170:171]
	v_mul_f64_e32 v[170:171], v[174:175], v[170:171]
	v_fmac_f64_e32 v[178:179], v[6:7], v[156:157]
	v_fma_f64 v[184:185], v[4:5], v[156:157], -v[158:159]
	ds_load_b128 v[4:7], v2 offset:1088
	scratch_load_b128 v[156:159], off, off offset:400
	v_add_f64_e32 v[186:187], v[162:163], v[160:161]
	v_add_f64_e32 v[176:177], v[176:177], v[180:181]
	ds_load_b128 v[160:163], v2 offset:1104
	v_fmac_f64_e32 v[182:183], v[174:175], v[168:169]
	s_wait_loadcnt_dscnt 0xa01
	v_mul_f64_e32 v[180:181], v[4:5], v[154:155]
	v_mul_f64_e32 v[154:155], v[6:7], v[154:155]
	v_fma_f64 v[172:173], v[172:173], v[168:169], -v[170:171]
	scratch_load_b128 v[168:171], off, off offset:416
	v_add_f64_e32 v[174:175], v[186:187], v[184:185]
	v_add_f64_e32 v[176:177], v[176:177], v[178:179]
	s_wait_loadcnt_dscnt 0xa00
	v_mul_f64_e32 v[178:179], v[160:161], v[10:11]
	v_mul_f64_e32 v[10:11], v[162:163], v[10:11]
	v_fmac_f64_e32 v[180:181], v[6:7], v[152:153]
	v_fma_f64 v[184:185], v[4:5], v[152:153], -v[154:155]
	ds_load_b128 v[4:7], v2 offset:1120
	scratch_load_b128 v[152:155], off, off offset:432
	v_add_f64_e32 v[186:187], v[174:175], v[172:173]
	v_add_f64_e32 v[176:177], v[176:177], v[182:183]
	ds_load_b128 v[172:175], v2 offset:1136
	s_wait_loadcnt_dscnt 0xa01
	v_mul_f64_e32 v[182:183], v[4:5], v[14:15]
	v_mul_f64_e32 v[14:15], v[6:7], v[14:15]
	v_fmac_f64_e32 v[178:179], v[162:163], v[8:9]
	v_fma_f64 v[160:161], v[160:161], v[8:9], -v[10:11]
	scratch_load_b128 v[8:11], off, off offset:448
	v_add_f64_e32 v[162:163], v[186:187], v[184:185]
	v_add_f64_e32 v[176:177], v[176:177], v[180:181]
	s_wait_loadcnt_dscnt 0xa00
	v_mul_f64_e32 v[180:181], v[172:173], v[126:127]
	v_mul_f64_e32 v[126:127], v[174:175], v[126:127]
	v_fmac_f64_e32 v[182:183], v[6:7], v[12:13]
	v_fma_f64 v[184:185], v[4:5], v[12:13], -v[14:15]
	ds_load_b128 v[4:7], v2 offset:1152
	scratch_load_b128 v[12:15], off, off offset:464
	v_add_f64_e32 v[186:187], v[162:163], v[160:161]
	v_add_f64_e32 v[176:177], v[176:177], v[178:179]
	ds_load_b128 v[160:163], v2 offset:1168
	s_wait_loadcnt_dscnt 0xa01
	v_mul_f64_e32 v[178:179], v[4:5], v[130:131]
	v_mul_f64_e32 v[130:131], v[6:7], v[130:131]
	v_fmac_f64_e32 v[180:181], v[174:175], v[124:125]
	;; [unrolled: 18-line block ×13, first 2 shown]
	v_fma_f64 v[160:161], v[160:161], v[8:9], -v[10:11]
	scratch_load_b128 v[8:11], off, off offset:832
	v_add_f64_e32 v[162:163], v[186:187], v[184:185]
	v_add_f64_e32 v[176:177], v[176:177], v[180:181]
	s_wait_loadcnt_dscnt 0xa00
	v_mul_f64_e32 v[180:181], v[172:173], v[126:127]
	v_mul_f64_e32 v[126:127], v[174:175], v[126:127]
	v_fmac_f64_e32 v[182:183], v[6:7], v[12:13]
	v_fma_f64 v[184:185], v[4:5], v[12:13], -v[14:15]
	ds_load_b128 v[4:7], v2 offset:1536
	ds_load_b128 v[12:15], v2 offset:1552
	v_add_f64_e32 v[160:161], v[162:163], v[160:161]
	v_add_f64_e32 v[162:163], v[176:177], v[178:179]
	s_wait_loadcnt_dscnt 0x901
	v_mul_f64_e32 v[176:177], v[4:5], v[130:131]
	v_mul_f64_e32 v[130:131], v[6:7], v[130:131]
	v_fmac_f64_e32 v[180:181], v[174:175], v[124:125]
	v_fma_f64 v[124:125], v[172:173], v[124:125], -v[126:127]
	v_add_f64_e32 v[126:127], v[160:161], v[184:185]
	v_add_f64_e32 v[160:161], v[162:163], v[182:183]
	s_wait_loadcnt_dscnt 0x800
	v_mul_f64_e32 v[162:163], v[12:13], v[134:135]
	v_mul_f64_e32 v[134:135], v[14:15], v[134:135]
	v_fmac_f64_e32 v[176:177], v[6:7], v[128:129]
	v_fma_f64 v[128:129], v[4:5], v[128:129], -v[130:131]
	v_add_f64_e32 v[130:131], v[126:127], v[124:125]
	v_add_f64_e32 v[160:161], v[160:161], v[180:181]
	ds_load_b128 v[4:7], v2 offset:1568
	ds_load_b128 v[124:127], v2 offset:1584
	v_fmac_f64_e32 v[162:163], v[14:15], v[132:133]
	v_fma_f64 v[12:13], v[12:13], v[132:133], -v[134:135]
	s_wait_loadcnt_dscnt 0x701
	v_mul_f64_e32 v[172:173], v[4:5], v[138:139]
	v_mul_f64_e32 v[138:139], v[6:7], v[138:139]
	s_wait_loadcnt_dscnt 0x600
	v_mul_f64_e32 v[132:133], v[126:127], v[142:143]
	v_add_f64_e32 v[14:15], v[130:131], v[128:129]
	v_add_f64_e32 v[128:129], v[160:161], v[176:177]
	v_mul_f64_e32 v[130:131], v[124:125], v[142:143]
	v_fmac_f64_e32 v[172:173], v[6:7], v[136:137]
	v_fma_f64 v[134:135], v[4:5], v[136:137], -v[138:139]
	v_fma_f64 v[124:125], v[124:125], v[140:141], -v[132:133]
	v_add_f64_e32 v[136:137], v[14:15], v[12:13]
	v_add_f64_e32 v[128:129], v[128:129], v[162:163]
	ds_load_b128 v[4:7], v2 offset:1600
	ds_load_b128 v[12:15], v2 offset:1616
	v_fmac_f64_e32 v[130:131], v[126:127], v[140:141]
	s_wait_loadcnt_dscnt 0x501
	v_mul_f64_e32 v[138:139], v[4:5], v[146:147]
	v_mul_f64_e32 v[142:143], v[6:7], v[146:147]
	s_wait_loadcnt_dscnt 0x400
	v_mul_f64_e32 v[132:133], v[12:13], v[150:151]
	v_add_f64_e32 v[126:127], v[136:137], v[134:135]
	v_add_f64_e32 v[128:129], v[128:129], v[172:173]
	v_mul_f64_e32 v[134:135], v[14:15], v[150:151]
	v_fmac_f64_e32 v[138:139], v[6:7], v[144:145]
	v_fma_f64 v[136:137], v[4:5], v[144:145], -v[142:143]
	v_fmac_f64_e32 v[132:133], v[14:15], v[148:149]
	v_add_f64_e32 v[140:141], v[126:127], v[124:125]
	v_add_f64_e32 v[128:129], v[128:129], v[130:131]
	ds_load_b128 v[4:7], v2 offset:1632
	ds_load_b128 v[124:127], v2 offset:1648
	v_fma_f64 v[12:13], v[12:13], v[148:149], -v[134:135]
	s_wait_loadcnt_dscnt 0x301
	v_mul_f64_e32 v[130:131], v[4:5], v[158:159]
	v_mul_f64_e32 v[142:143], v[6:7], v[158:159]
	s_wait_loadcnt_dscnt 0x200
	v_mul_f64_e32 v[134:135], v[124:125], v[170:171]
	v_add_f64_e32 v[14:15], v[140:141], v[136:137]
	v_add_f64_e32 v[128:129], v[128:129], v[138:139]
	v_mul_f64_e32 v[136:137], v[126:127], v[170:171]
	v_fmac_f64_e32 v[130:131], v[6:7], v[156:157]
	v_fma_f64 v[138:139], v[4:5], v[156:157], -v[142:143]
	v_fmac_f64_e32 v[134:135], v[126:127], v[168:169]
	v_add_f64_e32 v[140:141], v[14:15], v[12:13]
	v_add_f64_e32 v[128:129], v[128:129], v[132:133]
	ds_load_b128 v[4:7], v2 offset:1664
	ds_load_b128 v[12:15], v2 offset:1680
	v_fma_f64 v[124:125], v[124:125], v[168:169], -v[136:137]
	s_wait_loadcnt_dscnt 0x101
	v_mul_f64_e32 v[2:3], v[4:5], v[154:155]
	v_mul_f64_e32 v[132:133], v[6:7], v[154:155]
	v_add_f64_e32 v[126:127], v[140:141], v[138:139]
	v_add_f64_e32 v[128:129], v[128:129], v[130:131]
	s_wait_loadcnt_dscnt 0x0
	v_mul_f64_e32 v[130:131], v[12:13], v[10:11]
	v_mul_f64_e32 v[10:11], v[14:15], v[10:11]
	v_fmac_f64_e32 v[2:3], v[6:7], v[152:153]
	v_fma_f64 v[4:5], v[4:5], v[152:153], -v[132:133]
	v_add_f64_e32 v[6:7], v[126:127], v[124:125]
	v_add_f64_e32 v[124:125], v[128:129], v[134:135]
	v_fmac_f64_e32 v[130:131], v[14:15], v[8:9]
	v_fma_f64 v[8:9], v[12:13], v[8:9], -v[10:11]
	s_delay_alu instid0(VALU_DEP_4) | instskip(NEXT) | instid1(VALU_DEP_4)
	v_add_f64_e32 v[4:5], v[6:7], v[4:5]
	v_add_f64_e32 v[2:3], v[124:125], v[2:3]
	s_delay_alu instid0(VALU_DEP_2) | instskip(NEXT) | instid1(VALU_DEP_2)
	v_add_f64_e32 v[4:5], v[4:5], v[8:9]
	v_add_f64_e32 v[6:7], v[2:3], v[130:131]
	s_delay_alu instid0(VALU_DEP_2) | instskip(NEXT) | instid1(VALU_DEP_2)
	v_add_f64_e64 v[2:3], v[164:165], -v[4:5]
	v_add_f64_e64 v[4:5], v[166:167], -v[6:7]
	scratch_store_b128 off, v[2:5], off offset:32
	s_wait_xcnt 0x0
	v_cmpx_lt_u32_e32 1, v1
	s_cbranch_execz .LBB116_329
; %bb.328:
	scratch_load_b128 v[2:5], off, s18
	v_mov_b32_e32 v6, 0
	s_delay_alu instid0(VALU_DEP_1)
	v_dual_mov_b32 v7, v6 :: v_dual_mov_b32 v8, v6
	v_mov_b32_e32 v9, v6
	scratch_store_b128 off, v[6:9], off offset:16
	s_wait_loadcnt 0x0
	ds_store_b128 v122, v[2:5]
.LBB116_329:
	s_wait_xcnt 0x0
	s_or_b32 exec_lo, exec_lo, s2
	s_wait_storecnt_dscnt 0x0
	s_barrier_signal -1
	s_barrier_wait -1
	s_clause 0x9
	scratch_load_b128 v[4:7], off, off offset:32
	scratch_load_b128 v[8:11], off, off offset:48
	scratch_load_b128 v[12:15], off, off offset:64
	scratch_load_b128 v[124:127], off, off offset:80
	scratch_load_b128 v[128:131], off, off offset:96
	scratch_load_b128 v[132:135], off, off offset:112
	scratch_load_b128 v[136:139], off, off offset:128
	scratch_load_b128 v[140:143], off, off offset:144
	scratch_load_b128 v[144:147], off, off offset:160
	scratch_load_b128 v[148:151], off, off offset:176
	v_mov_b32_e32 v2, 0
	s_mov_b32 s2, exec_lo
	ds_load_b128 v[152:155], v2 offset:880
	s_clause 0x2
	scratch_load_b128 v[156:159], off, off offset:192
	scratch_load_b128 v[160:163], off, off offset:16
	;; [unrolled: 1-line block ×3, first 2 shown]
	s_wait_loadcnt_dscnt 0xc00
	v_mul_f64_e32 v[172:173], v[154:155], v[6:7]
	v_mul_f64_e32 v[176:177], v[152:153], v[6:7]
	ds_load_b128 v[164:167], v2 offset:896
	v_fma_f64 v[180:181], v[152:153], v[4:5], -v[172:173]
	v_fmac_f64_e32 v[176:177], v[154:155], v[4:5]
	ds_load_b128 v[4:7], v2 offset:912
	s_wait_loadcnt_dscnt 0xb01
	v_mul_f64_e32 v[178:179], v[164:165], v[10:11]
	v_mul_f64_e32 v[10:11], v[166:167], v[10:11]
	scratch_load_b128 v[152:155], off, off offset:224
	ds_load_b128 v[172:175], v2 offset:928
	s_wait_loadcnt_dscnt 0xb01
	v_mul_f64_e32 v[182:183], v[4:5], v[14:15]
	v_mul_f64_e32 v[14:15], v[6:7], v[14:15]
	v_add_f64_e32 v[176:177], 0, v[176:177]
	v_fmac_f64_e32 v[178:179], v[166:167], v[8:9]
	v_fma_f64 v[164:165], v[164:165], v[8:9], -v[10:11]
	v_add_f64_e32 v[166:167], 0, v[180:181]
	scratch_load_b128 v[8:11], off, off offset:240
	v_fmac_f64_e32 v[182:183], v[6:7], v[12:13]
	v_fma_f64 v[184:185], v[4:5], v[12:13], -v[14:15]
	ds_load_b128 v[4:7], v2 offset:944
	s_wait_loadcnt_dscnt 0xb01
	v_mul_f64_e32 v[180:181], v[172:173], v[126:127]
	v_mul_f64_e32 v[126:127], v[174:175], v[126:127]
	scratch_load_b128 v[12:15], off, off offset:256
	v_add_f64_e32 v[176:177], v[176:177], v[178:179]
	v_add_f64_e32 v[186:187], v[166:167], v[164:165]
	ds_load_b128 v[164:167], v2 offset:960
	s_wait_loadcnt_dscnt 0xb01
	v_mul_f64_e32 v[178:179], v[4:5], v[130:131]
	v_mul_f64_e32 v[130:131], v[6:7], v[130:131]
	v_fmac_f64_e32 v[180:181], v[174:175], v[124:125]
	v_fma_f64 v[172:173], v[172:173], v[124:125], -v[126:127]
	scratch_load_b128 v[124:127], off, off offset:272
	v_add_f64_e32 v[176:177], v[176:177], v[182:183]
	v_add_f64_e32 v[174:175], v[186:187], v[184:185]
	v_fmac_f64_e32 v[178:179], v[6:7], v[128:129]
	v_fma_f64 v[184:185], v[4:5], v[128:129], -v[130:131]
	ds_load_b128 v[4:7], v2 offset:976
	s_wait_loadcnt_dscnt 0xb01
	v_mul_f64_e32 v[182:183], v[164:165], v[134:135]
	v_mul_f64_e32 v[134:135], v[166:167], v[134:135]
	scratch_load_b128 v[128:131], off, off offset:288
	v_add_f64_e32 v[176:177], v[176:177], v[180:181]
	s_wait_loadcnt_dscnt 0xb00
	v_mul_f64_e32 v[180:181], v[4:5], v[138:139]
	v_add_f64_e32 v[186:187], v[174:175], v[172:173]
	v_mul_f64_e32 v[138:139], v[6:7], v[138:139]
	ds_load_b128 v[172:175], v2 offset:992
	v_fmac_f64_e32 v[182:183], v[166:167], v[132:133]
	v_fma_f64 v[164:165], v[164:165], v[132:133], -v[134:135]
	scratch_load_b128 v[132:135], off, off offset:304
	v_add_f64_e32 v[176:177], v[176:177], v[178:179]
	v_fmac_f64_e32 v[180:181], v[6:7], v[136:137]
	v_add_f64_e32 v[166:167], v[186:187], v[184:185]
	v_fma_f64 v[184:185], v[4:5], v[136:137], -v[138:139]
	ds_load_b128 v[4:7], v2 offset:1008
	s_wait_loadcnt_dscnt 0xb01
	v_mul_f64_e32 v[178:179], v[172:173], v[142:143]
	v_mul_f64_e32 v[142:143], v[174:175], v[142:143]
	scratch_load_b128 v[136:139], off, off offset:320
	v_add_f64_e32 v[176:177], v[176:177], v[182:183]
	s_wait_loadcnt_dscnt 0xb00
	v_mul_f64_e32 v[182:183], v[4:5], v[146:147]
	v_add_f64_e32 v[186:187], v[166:167], v[164:165]
	v_mul_f64_e32 v[146:147], v[6:7], v[146:147]
	ds_load_b128 v[164:167], v2 offset:1024
	v_fmac_f64_e32 v[178:179], v[174:175], v[140:141]
	v_fma_f64 v[172:173], v[172:173], v[140:141], -v[142:143]
	scratch_load_b128 v[140:143], off, off offset:336
	v_add_f64_e32 v[176:177], v[176:177], v[180:181]
	v_fmac_f64_e32 v[182:183], v[6:7], v[144:145]
	v_add_f64_e32 v[174:175], v[186:187], v[184:185]
	;; [unrolled: 18-line block ×3, first 2 shown]
	v_fma_f64 v[184:185], v[4:5], v[156:157], -v[158:159]
	ds_load_b128 v[4:7], v2 offset:1072
	s_wait_loadcnt_dscnt 0xa01
	v_mul_f64_e32 v[182:183], v[172:173], v[170:171]
	v_mul_f64_e32 v[170:171], v[174:175], v[170:171]
	scratch_load_b128 v[156:159], off, off offset:384
	v_add_f64_e32 v[176:177], v[176:177], v[180:181]
	v_add_f64_e32 v[186:187], v[166:167], v[164:165]
	s_wait_loadcnt_dscnt 0xa00
	v_mul_f64_e32 v[180:181], v[4:5], v[154:155]
	v_mul_f64_e32 v[154:155], v[6:7], v[154:155]
	v_fmac_f64_e32 v[182:183], v[174:175], v[168:169]
	v_fma_f64 v[172:173], v[172:173], v[168:169], -v[170:171]
	ds_load_b128 v[164:167], v2 offset:1088
	scratch_load_b128 v[168:171], off, off offset:400
	v_add_f64_e32 v[176:177], v[176:177], v[178:179]
	v_add_f64_e32 v[174:175], v[186:187], v[184:185]
	v_fmac_f64_e32 v[180:181], v[6:7], v[152:153]
	v_fma_f64 v[184:185], v[4:5], v[152:153], -v[154:155]
	ds_load_b128 v[4:7], v2 offset:1104
	s_wait_loadcnt_dscnt 0xa01
	v_mul_f64_e32 v[178:179], v[164:165], v[10:11]
	v_mul_f64_e32 v[10:11], v[166:167], v[10:11]
	scratch_load_b128 v[152:155], off, off offset:416
	v_add_f64_e32 v[176:177], v[176:177], v[182:183]
	s_wait_loadcnt_dscnt 0xa00
	v_mul_f64_e32 v[182:183], v[4:5], v[14:15]
	v_add_f64_e32 v[186:187], v[174:175], v[172:173]
	v_mul_f64_e32 v[14:15], v[6:7], v[14:15]
	ds_load_b128 v[172:175], v2 offset:1120
	v_fmac_f64_e32 v[178:179], v[166:167], v[8:9]
	v_fma_f64 v[164:165], v[164:165], v[8:9], -v[10:11]
	scratch_load_b128 v[8:11], off, off offset:432
	v_add_f64_e32 v[176:177], v[176:177], v[180:181]
	v_fmac_f64_e32 v[182:183], v[6:7], v[12:13]
	v_add_f64_e32 v[166:167], v[186:187], v[184:185]
	v_fma_f64 v[184:185], v[4:5], v[12:13], -v[14:15]
	ds_load_b128 v[4:7], v2 offset:1136
	s_wait_loadcnt_dscnt 0xa01
	v_mul_f64_e32 v[180:181], v[172:173], v[126:127]
	v_mul_f64_e32 v[126:127], v[174:175], v[126:127]
	scratch_load_b128 v[12:15], off, off offset:448
	v_add_f64_e32 v[176:177], v[176:177], v[178:179]
	s_wait_loadcnt_dscnt 0xa00
	v_mul_f64_e32 v[178:179], v[4:5], v[130:131]
	v_add_f64_e32 v[186:187], v[166:167], v[164:165]
	v_mul_f64_e32 v[130:131], v[6:7], v[130:131]
	ds_load_b128 v[164:167], v2 offset:1152
	v_fmac_f64_e32 v[180:181], v[174:175], v[124:125]
	v_fma_f64 v[172:173], v[172:173], v[124:125], -v[126:127]
	scratch_load_b128 v[124:127], off, off offset:464
	v_add_f64_e32 v[176:177], v[176:177], v[182:183]
	v_fmac_f64_e32 v[178:179], v[6:7], v[128:129]
	v_add_f64_e32 v[174:175], v[186:187], v[184:185]
	v_fma_f64 v[184:185], v[4:5], v[128:129], -v[130:131]
	ds_load_b128 v[4:7], v2 offset:1168
	s_wait_loadcnt_dscnt 0xa01
	v_mul_f64_e32 v[182:183], v[164:165], v[134:135]
	v_mul_f64_e32 v[134:135], v[166:167], v[134:135]
	scratch_load_b128 v[128:131], off, off offset:480
	v_add_f64_e32 v[176:177], v[176:177], v[180:181]
	s_wait_loadcnt_dscnt 0xa00
	v_mul_f64_e32 v[180:181], v[4:5], v[138:139]
	v_add_f64_e32 v[186:187], v[174:175], v[172:173]
	v_mul_f64_e32 v[138:139], v[6:7], v[138:139]
	ds_load_b128 v[172:175], v2 offset:1184
	v_fmac_f64_e32 v[182:183], v[166:167], v[132:133]
	v_fma_f64 v[164:165], v[164:165], v[132:133], -v[134:135]
	scratch_load_b128 v[132:135], off, off offset:496
	v_add_f64_e32 v[176:177], v[176:177], v[178:179]
	v_fmac_f64_e32 v[180:181], v[6:7], v[136:137]
	v_add_f64_e32 v[166:167], v[186:187], v[184:185]
	v_fma_f64 v[184:185], v[4:5], v[136:137], -v[138:139]
	ds_load_b128 v[4:7], v2 offset:1200
	s_wait_loadcnt_dscnt 0xa01
	v_mul_f64_e32 v[178:179], v[172:173], v[142:143]
	v_mul_f64_e32 v[142:143], v[174:175], v[142:143]
	scratch_load_b128 v[136:139], off, off offset:512
	v_add_f64_e32 v[176:177], v[176:177], v[182:183]
	s_wait_loadcnt_dscnt 0xa00
	v_mul_f64_e32 v[182:183], v[4:5], v[146:147]
	v_add_f64_e32 v[186:187], v[166:167], v[164:165]
	v_mul_f64_e32 v[146:147], v[6:7], v[146:147]
	ds_load_b128 v[164:167], v2 offset:1216
	v_fmac_f64_e32 v[178:179], v[174:175], v[140:141]
	v_fma_f64 v[172:173], v[172:173], v[140:141], -v[142:143]
	scratch_load_b128 v[140:143], off, off offset:528
	v_add_f64_e32 v[176:177], v[176:177], v[180:181]
	v_fmac_f64_e32 v[182:183], v[6:7], v[144:145]
	v_add_f64_e32 v[174:175], v[186:187], v[184:185]
	v_fma_f64 v[184:185], v[4:5], v[144:145], -v[146:147]
	ds_load_b128 v[4:7], v2 offset:1232
	s_wait_loadcnt_dscnt 0xa01
	v_mul_f64_e32 v[180:181], v[164:165], v[150:151]
	v_mul_f64_e32 v[150:151], v[166:167], v[150:151]
	scratch_load_b128 v[144:147], off, off offset:544
	v_add_f64_e32 v[176:177], v[176:177], v[178:179]
	s_wait_loadcnt_dscnt 0xa00
	v_mul_f64_e32 v[178:179], v[4:5], v[158:159]
	v_add_f64_e32 v[186:187], v[174:175], v[172:173]
	v_mul_f64_e32 v[158:159], v[6:7], v[158:159]
	ds_load_b128 v[172:175], v2 offset:1248
	v_fmac_f64_e32 v[180:181], v[166:167], v[148:149]
	v_fma_f64 v[164:165], v[164:165], v[148:149], -v[150:151]
	scratch_load_b128 v[148:151], off, off offset:560
	v_add_f64_e32 v[176:177], v[176:177], v[182:183]
	v_fmac_f64_e32 v[178:179], v[6:7], v[156:157]
	v_add_f64_e32 v[166:167], v[186:187], v[184:185]
	v_fma_f64 v[184:185], v[4:5], v[156:157], -v[158:159]
	ds_load_b128 v[4:7], v2 offset:1264
	s_wait_loadcnt_dscnt 0xa01
	v_mul_f64_e32 v[182:183], v[172:173], v[170:171]
	v_mul_f64_e32 v[170:171], v[174:175], v[170:171]
	scratch_load_b128 v[156:159], off, off offset:576
	v_add_f64_e32 v[176:177], v[176:177], v[180:181]
	s_wait_loadcnt_dscnt 0xa00
	v_mul_f64_e32 v[180:181], v[4:5], v[154:155]
	v_add_f64_e32 v[186:187], v[166:167], v[164:165]
	v_mul_f64_e32 v[154:155], v[6:7], v[154:155]
	ds_load_b128 v[164:167], v2 offset:1280
	v_fmac_f64_e32 v[182:183], v[174:175], v[168:169]
	v_fma_f64 v[172:173], v[172:173], v[168:169], -v[170:171]
	scratch_load_b128 v[168:171], off, off offset:592
	v_add_f64_e32 v[176:177], v[176:177], v[178:179]
	v_fmac_f64_e32 v[180:181], v[6:7], v[152:153]
	v_add_f64_e32 v[174:175], v[186:187], v[184:185]
	v_fma_f64 v[184:185], v[4:5], v[152:153], -v[154:155]
	ds_load_b128 v[4:7], v2 offset:1296
	s_wait_loadcnt_dscnt 0xa01
	v_mul_f64_e32 v[178:179], v[164:165], v[10:11]
	v_mul_f64_e32 v[10:11], v[166:167], v[10:11]
	scratch_load_b128 v[152:155], off, off offset:608
	v_add_f64_e32 v[176:177], v[176:177], v[182:183]
	s_wait_loadcnt_dscnt 0xa00
	v_mul_f64_e32 v[182:183], v[4:5], v[14:15]
	v_add_f64_e32 v[186:187], v[174:175], v[172:173]
	v_mul_f64_e32 v[14:15], v[6:7], v[14:15]
	ds_load_b128 v[172:175], v2 offset:1312
	v_fmac_f64_e32 v[178:179], v[166:167], v[8:9]
	v_fma_f64 v[164:165], v[164:165], v[8:9], -v[10:11]
	scratch_load_b128 v[8:11], off, off offset:624
	v_add_f64_e32 v[176:177], v[176:177], v[180:181]
	v_fmac_f64_e32 v[182:183], v[6:7], v[12:13]
	v_add_f64_e32 v[166:167], v[186:187], v[184:185]
	v_fma_f64 v[184:185], v[4:5], v[12:13], -v[14:15]
	ds_load_b128 v[4:7], v2 offset:1328
	s_wait_loadcnt_dscnt 0xa01
	v_mul_f64_e32 v[180:181], v[172:173], v[126:127]
	v_mul_f64_e32 v[126:127], v[174:175], v[126:127]
	scratch_load_b128 v[12:15], off, off offset:640
	v_add_f64_e32 v[176:177], v[176:177], v[178:179]
	s_wait_loadcnt_dscnt 0xa00
	v_mul_f64_e32 v[178:179], v[4:5], v[130:131]
	v_add_f64_e32 v[186:187], v[166:167], v[164:165]
	v_mul_f64_e32 v[130:131], v[6:7], v[130:131]
	ds_load_b128 v[164:167], v2 offset:1344
	v_fmac_f64_e32 v[180:181], v[174:175], v[124:125]
	v_fma_f64 v[172:173], v[172:173], v[124:125], -v[126:127]
	scratch_load_b128 v[124:127], off, off offset:656
	v_add_f64_e32 v[176:177], v[176:177], v[182:183]
	v_fmac_f64_e32 v[178:179], v[6:7], v[128:129]
	v_add_f64_e32 v[174:175], v[186:187], v[184:185]
	v_fma_f64 v[184:185], v[4:5], v[128:129], -v[130:131]
	ds_load_b128 v[4:7], v2 offset:1360
	s_wait_loadcnt_dscnt 0xa01
	v_mul_f64_e32 v[182:183], v[164:165], v[134:135]
	v_mul_f64_e32 v[134:135], v[166:167], v[134:135]
	scratch_load_b128 v[128:131], off, off offset:672
	v_add_f64_e32 v[176:177], v[176:177], v[180:181]
	s_wait_loadcnt_dscnt 0xa00
	v_mul_f64_e32 v[180:181], v[4:5], v[138:139]
	v_add_f64_e32 v[186:187], v[174:175], v[172:173]
	v_mul_f64_e32 v[138:139], v[6:7], v[138:139]
	ds_load_b128 v[172:175], v2 offset:1376
	v_fmac_f64_e32 v[182:183], v[166:167], v[132:133]
	v_fma_f64 v[164:165], v[164:165], v[132:133], -v[134:135]
	scratch_load_b128 v[132:135], off, off offset:688
	v_add_f64_e32 v[176:177], v[176:177], v[178:179]
	v_fmac_f64_e32 v[180:181], v[6:7], v[136:137]
	v_add_f64_e32 v[166:167], v[186:187], v[184:185]
	v_fma_f64 v[184:185], v[4:5], v[136:137], -v[138:139]
	ds_load_b128 v[4:7], v2 offset:1392
	s_wait_loadcnt_dscnt 0xa01
	v_mul_f64_e32 v[178:179], v[172:173], v[142:143]
	v_mul_f64_e32 v[142:143], v[174:175], v[142:143]
	scratch_load_b128 v[136:139], off, off offset:704
	v_add_f64_e32 v[176:177], v[176:177], v[182:183]
	s_wait_loadcnt_dscnt 0xa00
	v_mul_f64_e32 v[182:183], v[4:5], v[146:147]
	v_add_f64_e32 v[186:187], v[166:167], v[164:165]
	v_mul_f64_e32 v[146:147], v[6:7], v[146:147]
	ds_load_b128 v[164:167], v2 offset:1408
	v_fmac_f64_e32 v[178:179], v[174:175], v[140:141]
	v_fma_f64 v[172:173], v[172:173], v[140:141], -v[142:143]
	scratch_load_b128 v[140:143], off, off offset:720
	v_add_f64_e32 v[176:177], v[176:177], v[180:181]
	v_fmac_f64_e32 v[182:183], v[6:7], v[144:145]
	v_add_f64_e32 v[174:175], v[186:187], v[184:185]
	v_fma_f64 v[184:185], v[4:5], v[144:145], -v[146:147]
	ds_load_b128 v[4:7], v2 offset:1424
	s_wait_loadcnt_dscnt 0xa01
	v_mul_f64_e32 v[180:181], v[164:165], v[150:151]
	v_mul_f64_e32 v[150:151], v[166:167], v[150:151]
	scratch_load_b128 v[144:147], off, off offset:736
	v_add_f64_e32 v[176:177], v[176:177], v[178:179]
	s_wait_loadcnt_dscnt 0xa00
	v_mul_f64_e32 v[178:179], v[4:5], v[158:159]
	v_add_f64_e32 v[186:187], v[174:175], v[172:173]
	v_mul_f64_e32 v[158:159], v[6:7], v[158:159]
	ds_load_b128 v[172:175], v2 offset:1440
	v_fmac_f64_e32 v[180:181], v[166:167], v[148:149]
	v_fma_f64 v[164:165], v[164:165], v[148:149], -v[150:151]
	scratch_load_b128 v[148:151], off, off offset:752
	v_add_f64_e32 v[176:177], v[176:177], v[182:183]
	v_fmac_f64_e32 v[178:179], v[6:7], v[156:157]
	v_add_f64_e32 v[166:167], v[186:187], v[184:185]
	v_fma_f64 v[184:185], v[4:5], v[156:157], -v[158:159]
	ds_load_b128 v[4:7], v2 offset:1456
	s_wait_loadcnt_dscnt 0xa01
	v_mul_f64_e32 v[182:183], v[172:173], v[170:171]
	v_mul_f64_e32 v[170:171], v[174:175], v[170:171]
	scratch_load_b128 v[156:159], off, off offset:768
	v_add_f64_e32 v[176:177], v[176:177], v[180:181]
	s_wait_loadcnt_dscnt 0xa00
	v_mul_f64_e32 v[180:181], v[4:5], v[154:155]
	v_add_f64_e32 v[186:187], v[166:167], v[164:165]
	v_mul_f64_e32 v[154:155], v[6:7], v[154:155]
	ds_load_b128 v[164:167], v2 offset:1472
	v_fmac_f64_e32 v[182:183], v[174:175], v[168:169]
	v_fma_f64 v[172:173], v[172:173], v[168:169], -v[170:171]
	scratch_load_b128 v[168:171], off, off offset:784
	v_add_f64_e32 v[176:177], v[176:177], v[178:179]
	v_fmac_f64_e32 v[180:181], v[6:7], v[152:153]
	v_add_f64_e32 v[174:175], v[186:187], v[184:185]
	v_fma_f64 v[184:185], v[4:5], v[152:153], -v[154:155]
	ds_load_b128 v[4:7], v2 offset:1488
	s_wait_loadcnt_dscnt 0xa01
	v_mul_f64_e32 v[178:179], v[164:165], v[10:11]
	v_mul_f64_e32 v[10:11], v[166:167], v[10:11]
	scratch_load_b128 v[152:155], off, off offset:800
	v_add_f64_e32 v[176:177], v[176:177], v[182:183]
	s_wait_loadcnt_dscnt 0xa00
	v_mul_f64_e32 v[182:183], v[4:5], v[14:15]
	v_add_f64_e32 v[186:187], v[174:175], v[172:173]
	v_mul_f64_e32 v[14:15], v[6:7], v[14:15]
	ds_load_b128 v[172:175], v2 offset:1504
	v_fmac_f64_e32 v[178:179], v[166:167], v[8:9]
	v_fma_f64 v[164:165], v[164:165], v[8:9], -v[10:11]
	scratch_load_b128 v[8:11], off, off offset:816
	v_add_f64_e32 v[176:177], v[176:177], v[180:181]
	v_fmac_f64_e32 v[182:183], v[6:7], v[12:13]
	v_add_f64_e32 v[166:167], v[186:187], v[184:185]
	v_fma_f64 v[184:185], v[4:5], v[12:13], -v[14:15]
	ds_load_b128 v[4:7], v2 offset:1520
	s_wait_loadcnt_dscnt 0xa01
	v_mul_f64_e32 v[180:181], v[172:173], v[126:127]
	v_mul_f64_e32 v[126:127], v[174:175], v[126:127]
	scratch_load_b128 v[12:15], off, off offset:832
	v_add_f64_e32 v[176:177], v[176:177], v[178:179]
	s_wait_loadcnt_dscnt 0xa00
	v_mul_f64_e32 v[178:179], v[4:5], v[130:131]
	v_add_f64_e32 v[186:187], v[166:167], v[164:165]
	v_mul_f64_e32 v[130:131], v[6:7], v[130:131]
	ds_load_b128 v[164:167], v2 offset:1536
	v_fmac_f64_e32 v[180:181], v[174:175], v[124:125]
	v_fma_f64 v[124:125], v[172:173], v[124:125], -v[126:127]
	s_wait_loadcnt_dscnt 0x900
	v_mul_f64_e32 v[174:175], v[164:165], v[134:135]
	v_mul_f64_e32 v[134:135], v[166:167], v[134:135]
	v_add_f64_e32 v[172:173], v[176:177], v[182:183]
	v_fmac_f64_e32 v[178:179], v[6:7], v[128:129]
	v_add_f64_e32 v[126:127], v[186:187], v[184:185]
	v_fma_f64 v[128:129], v[4:5], v[128:129], -v[130:131]
	v_fmac_f64_e32 v[174:175], v[166:167], v[132:133]
	v_fma_f64 v[132:133], v[164:165], v[132:133], -v[134:135]
	v_add_f64_e32 v[172:173], v[172:173], v[180:181]
	v_add_f64_e32 v[130:131], v[126:127], v[124:125]
	ds_load_b128 v[4:7], v2 offset:1552
	ds_load_b128 v[124:127], v2 offset:1568
	s_wait_loadcnt_dscnt 0x801
	v_mul_f64_e32 v[176:177], v[4:5], v[138:139]
	v_mul_f64_e32 v[138:139], v[6:7], v[138:139]
	s_wait_loadcnt_dscnt 0x700
	v_mul_f64_e32 v[134:135], v[124:125], v[142:143]
	v_mul_f64_e32 v[142:143], v[126:127], v[142:143]
	v_add_f64_e32 v[128:129], v[130:131], v[128:129]
	v_add_f64_e32 v[130:131], v[172:173], v[178:179]
	v_fmac_f64_e32 v[176:177], v[6:7], v[136:137]
	v_fma_f64 v[136:137], v[4:5], v[136:137], -v[138:139]
	v_fmac_f64_e32 v[134:135], v[126:127], v[140:141]
	v_fma_f64 v[124:125], v[124:125], v[140:141], -v[142:143]
	v_add_f64_e32 v[132:133], v[128:129], v[132:133]
	v_add_f64_e32 v[138:139], v[130:131], v[174:175]
	ds_load_b128 v[4:7], v2 offset:1584
	ds_load_b128 v[128:131], v2 offset:1600
	s_wait_loadcnt_dscnt 0x601
	v_mul_f64_e32 v[164:165], v[4:5], v[146:147]
	v_mul_f64_e32 v[146:147], v[6:7], v[146:147]
	v_add_f64_e32 v[126:127], v[132:133], v[136:137]
	v_add_f64_e32 v[132:133], v[138:139], v[176:177]
	s_wait_loadcnt_dscnt 0x500
	v_mul_f64_e32 v[136:137], v[128:129], v[150:151]
	v_mul_f64_e32 v[138:139], v[130:131], v[150:151]
	v_fmac_f64_e32 v[164:165], v[6:7], v[144:145]
	v_fma_f64 v[140:141], v[4:5], v[144:145], -v[146:147]
	v_add_f64_e32 v[142:143], v[126:127], v[124:125]
	v_add_f64_e32 v[132:133], v[132:133], v[134:135]
	ds_load_b128 v[4:7], v2 offset:1616
	ds_load_b128 v[124:127], v2 offset:1632
	v_fmac_f64_e32 v[136:137], v[130:131], v[148:149]
	v_fma_f64 v[128:129], v[128:129], v[148:149], -v[138:139]
	s_wait_loadcnt_dscnt 0x401
	v_mul_f64_e32 v[134:135], v[4:5], v[158:159]
	v_mul_f64_e32 v[144:145], v[6:7], v[158:159]
	s_wait_loadcnt_dscnt 0x300
	v_mul_f64_e32 v[138:139], v[124:125], v[170:171]
	v_add_f64_e32 v[130:131], v[142:143], v[140:141]
	v_add_f64_e32 v[132:133], v[132:133], v[164:165]
	v_mul_f64_e32 v[140:141], v[126:127], v[170:171]
	v_fmac_f64_e32 v[134:135], v[6:7], v[156:157]
	v_fma_f64 v[142:143], v[4:5], v[156:157], -v[144:145]
	v_fmac_f64_e32 v[138:139], v[126:127], v[168:169]
	v_add_f64_e32 v[144:145], v[130:131], v[128:129]
	v_add_f64_e32 v[132:133], v[132:133], v[136:137]
	ds_load_b128 v[4:7], v2 offset:1648
	ds_load_b128 v[128:131], v2 offset:1664
	v_fma_f64 v[124:125], v[124:125], v[168:169], -v[140:141]
	s_wait_loadcnt_dscnt 0x201
	v_mul_f64_e32 v[136:137], v[4:5], v[154:155]
	v_mul_f64_e32 v[146:147], v[6:7], v[154:155]
	v_add_f64_e32 v[126:127], v[144:145], v[142:143]
	v_add_f64_e32 v[132:133], v[132:133], v[134:135]
	s_wait_loadcnt_dscnt 0x100
	v_mul_f64_e32 v[134:135], v[128:129], v[10:11]
	v_mul_f64_e32 v[10:11], v[130:131], v[10:11]
	v_fmac_f64_e32 v[136:137], v[6:7], v[152:153]
	v_fma_f64 v[140:141], v[4:5], v[152:153], -v[146:147]
	ds_load_b128 v[4:7], v2 offset:1680
	v_add_f64_e32 v[124:125], v[126:127], v[124:125]
	v_add_f64_e32 v[126:127], v[132:133], v[138:139]
	v_fmac_f64_e32 v[134:135], v[130:131], v[8:9]
	v_fma_f64 v[8:9], v[128:129], v[8:9], -v[10:11]
	s_wait_loadcnt_dscnt 0x0
	v_mul_f64_e32 v[132:133], v[4:5], v[14:15]
	v_mul_f64_e32 v[14:15], v[6:7], v[14:15]
	v_add_f64_e32 v[10:11], v[124:125], v[140:141]
	v_add_f64_e32 v[124:125], v[126:127], v[136:137]
	s_delay_alu instid0(VALU_DEP_4) | instskip(NEXT) | instid1(VALU_DEP_4)
	v_fmac_f64_e32 v[132:133], v[6:7], v[12:13]
	v_fma_f64 v[4:5], v[4:5], v[12:13], -v[14:15]
	s_delay_alu instid0(VALU_DEP_4) | instskip(NEXT) | instid1(VALU_DEP_4)
	v_add_f64_e32 v[6:7], v[10:11], v[8:9]
	v_add_f64_e32 v[8:9], v[124:125], v[134:135]
	s_delay_alu instid0(VALU_DEP_2) | instskip(NEXT) | instid1(VALU_DEP_2)
	v_add_f64_e32 v[4:5], v[6:7], v[4:5]
	v_add_f64_e32 v[6:7], v[8:9], v[132:133]
	s_delay_alu instid0(VALU_DEP_2) | instskip(NEXT) | instid1(VALU_DEP_2)
	v_add_f64_e64 v[4:5], v[160:161], -v[4:5]
	v_add_f64_e64 v[6:7], v[162:163], -v[6:7]
	scratch_store_b128 off, v[4:7], off offset:16
	s_wait_xcnt 0x0
	v_cmpx_ne_u32_e32 0, v1
	s_cbranch_execz .LBB116_331
; %bb.330:
	scratch_load_b128 v[6:9], off, off
	v_dual_mov_b32 v3, v2 :: v_dual_mov_b32 v4, v2
	v_mov_b32_e32 v5, v2
	scratch_store_b128 off, v[2:5], off
	s_wait_loadcnt 0x0
	ds_store_b128 v122, v[6:9]
.LBB116_331:
	s_wait_xcnt 0x0
	s_or_b32 exec_lo, exec_lo, s2
	s_wait_storecnt_dscnt 0x0
	s_barrier_signal -1
	s_barrier_wait -1
	s_clause 0x9
	scratch_load_b128 v[4:7], off, off offset:16
	scratch_load_b128 v[8:11], off, off offset:32
	scratch_load_b128 v[12:15], off, off offset:48
	scratch_load_b128 v[122:125], off, off offset:64
	scratch_load_b128 v[126:129], off, off offset:80
	scratch_load_b128 v[130:133], off, off offset:96
	scratch_load_b128 v[134:137], off, off offset:112
	scratch_load_b128 v[138:141], off, off offset:128
	scratch_load_b128 v[142:145], off, off offset:144
	scratch_load_b128 v[146:149], off, off offset:160
	ds_load_b128 v[150:153], v2 offset:864
	ds_load_b128 v[158:161], v2 offset:880
	s_clause 0x2
	scratch_load_b128 v[154:157], off, off offset:176
	scratch_load_b128 v[164:167], off, off
	scratch_load_b128 v[168:171], off, off offset:192
	v_lshl_add_u64 v[58:59], v[58:59], 4, s[4:5]
	s_and_b32 vcc_lo, exec_lo, s65
	s_wait_loadcnt_dscnt 0xc01
	v_mul_f64_e32 v[162:163], v[152:153], v[6:7]
	v_mul_f64_e32 v[176:177], v[150:151], v[6:7]
	s_wait_loadcnt_dscnt 0xb00
	v_mul_f64_e32 v[178:179], v[158:159], v[10:11]
	v_mul_f64_e32 v[10:11], v[160:161], v[10:11]
	s_delay_alu instid0(VALU_DEP_4) | instskip(NEXT) | instid1(VALU_DEP_4)
	v_fma_f64 v[162:163], v[150:151], v[4:5], -v[162:163]
	v_fmac_f64_e32 v[176:177], v[152:153], v[4:5]
	ds_load_b128 v[4:7], v2 offset:896
	ds_load_b128 v[150:153], v2 offset:912
	scratch_load_b128 v[172:175], off, off offset:208
	v_fmac_f64_e32 v[178:179], v[160:161], v[8:9]
	v_fma_f64 v[158:159], v[158:159], v[8:9], -v[10:11]
	scratch_load_b128 v[8:11], off, off offset:224
	s_wait_loadcnt_dscnt 0xc01
	v_mul_f64_e32 v[180:181], v[4:5], v[14:15]
	v_mul_f64_e32 v[14:15], v[6:7], v[14:15]
	v_add_f64_e32 v[160:161], 0, v[162:163]
	v_add_f64_e32 v[162:163], 0, v[176:177]
	s_wait_loadcnt_dscnt 0xb00
	v_mul_f64_e32 v[176:177], v[150:151], v[124:125]
	v_mul_f64_e32 v[124:125], v[152:153], v[124:125]
	v_fmac_f64_e32 v[180:181], v[6:7], v[12:13]
	v_fma_f64 v[182:183], v[4:5], v[12:13], -v[14:15]
	ds_load_b128 v[4:7], v2 offset:928
	ds_load_b128 v[12:15], v2 offset:944
	v_add_f64_e32 v[184:185], v[160:161], v[158:159]
	v_add_f64_e32 v[162:163], v[162:163], v[178:179]
	scratch_load_b128 v[158:161], off, off offset:240
	v_fmac_f64_e32 v[176:177], v[152:153], v[122:123]
	v_fma_f64 v[150:151], v[150:151], v[122:123], -v[124:125]
	scratch_load_b128 v[122:125], off, off offset:256
	s_wait_loadcnt_dscnt 0xc01
	v_mul_f64_e32 v[178:179], v[4:5], v[128:129]
	v_mul_f64_e32 v[128:129], v[6:7], v[128:129]
	v_add_f64_e32 v[152:153], v[184:185], v[182:183]
	v_add_f64_e32 v[162:163], v[162:163], v[180:181]
	s_wait_loadcnt_dscnt 0xb00
	v_mul_f64_e32 v[180:181], v[12:13], v[132:133]
	v_mul_f64_e32 v[132:133], v[14:15], v[132:133]
	v_fmac_f64_e32 v[178:179], v[6:7], v[126:127]
	v_fma_f64 v[182:183], v[4:5], v[126:127], -v[128:129]
	ds_load_b128 v[4:7], v2 offset:960
	ds_load_b128 v[126:129], v2 offset:976
	v_add_f64_e32 v[184:185], v[152:153], v[150:151]
	v_add_f64_e32 v[162:163], v[162:163], v[176:177]
	scratch_load_b128 v[150:153], off, off offset:272
	s_wait_loadcnt_dscnt 0xb01
	v_mul_f64_e32 v[176:177], v[4:5], v[136:137]
	v_mul_f64_e32 v[136:137], v[6:7], v[136:137]
	v_fmac_f64_e32 v[180:181], v[14:15], v[130:131]
	v_fma_f64 v[130:131], v[12:13], v[130:131], -v[132:133]
	scratch_load_b128 v[12:15], off, off offset:288
	v_add_f64_e32 v[132:133], v[184:185], v[182:183]
	v_add_f64_e32 v[162:163], v[162:163], v[178:179]
	s_wait_loadcnt_dscnt 0xb00
	v_mul_f64_e32 v[178:179], v[126:127], v[140:141]
	v_mul_f64_e32 v[140:141], v[128:129], v[140:141]
	v_fmac_f64_e32 v[176:177], v[6:7], v[134:135]
	v_fma_f64 v[182:183], v[4:5], v[134:135], -v[136:137]
	v_add_f64_e32 v[184:185], v[132:133], v[130:131]
	v_add_f64_e32 v[162:163], v[162:163], v[180:181]
	ds_load_b128 v[4:7], v2 offset:992
	ds_load_b128 v[130:133], v2 offset:1008
	scratch_load_b128 v[134:137], off, off offset:304
	v_fmac_f64_e32 v[178:179], v[128:129], v[138:139]
	v_fma_f64 v[138:139], v[126:127], v[138:139], -v[140:141]
	scratch_load_b128 v[126:129], off, off offset:320
	s_wait_loadcnt_dscnt 0xc01
	v_mul_f64_e32 v[180:181], v[4:5], v[144:145]
	v_mul_f64_e32 v[144:145], v[6:7], v[144:145]
	v_add_f64_e32 v[140:141], v[184:185], v[182:183]
	v_add_f64_e32 v[162:163], v[162:163], v[176:177]
	s_wait_loadcnt_dscnt 0xb00
	v_mul_f64_e32 v[176:177], v[130:131], v[148:149]
	v_mul_f64_e32 v[148:149], v[132:133], v[148:149]
	v_fmac_f64_e32 v[180:181], v[6:7], v[142:143]
	v_fma_f64 v[182:183], v[4:5], v[142:143], -v[144:145]
	v_add_f64_e32 v[184:185], v[140:141], v[138:139]
	v_add_f64_e32 v[162:163], v[162:163], v[178:179]
	ds_load_b128 v[4:7], v2 offset:1024
	ds_load_b128 v[138:141], v2 offset:1040
	scratch_load_b128 v[142:145], off, off offset:336
	v_fmac_f64_e32 v[176:177], v[132:133], v[146:147]
	v_fma_f64 v[146:147], v[130:131], v[146:147], -v[148:149]
	scratch_load_b128 v[130:133], off, off offset:352
	s_wait_loadcnt_dscnt 0xc01
	v_mul_f64_e32 v[178:179], v[4:5], v[156:157]
	v_mul_f64_e32 v[156:157], v[6:7], v[156:157]
	;; [unrolled: 18-line block ×5, first 2 shown]
	v_add_f64_e32 v[170:171], v[184:185], v[182:183]
	v_add_f64_e32 v[162:163], v[162:163], v[180:181]
	s_wait_loadcnt_dscnt 0xa00
	v_mul_f64_e32 v[180:181], v[146:147], v[14:15]
	v_mul_f64_e32 v[14:15], v[148:149], v[14:15]
	v_fmac_f64_e32 v[178:179], v[6:7], v[150:151]
	v_fma_f64 v[182:183], v[4:5], v[150:151], -v[152:153]
	ds_load_b128 v[4:7], v2 offset:1152
	ds_load_b128 v[150:153], v2 offset:1168
	v_add_f64_e32 v[184:185], v[170:171], v[168:169]
	v_add_f64_e32 v[162:163], v[162:163], v[176:177]
	scratch_load_b128 v[168:171], off, off offset:464
	v_fmac_f64_e32 v[180:181], v[148:149], v[12:13]
	v_fma_f64 v[146:147], v[146:147], v[12:13], -v[14:15]
	scratch_load_b128 v[12:15], off, off offset:480
	s_wait_loadcnt_dscnt 0xb01
	v_mul_f64_e32 v[176:177], v[4:5], v[136:137]
	v_mul_f64_e32 v[136:137], v[6:7], v[136:137]
	v_add_f64_e32 v[148:149], v[184:185], v[182:183]
	v_add_f64_e32 v[162:163], v[162:163], v[178:179]
	s_wait_loadcnt_dscnt 0xa00
	v_mul_f64_e32 v[178:179], v[150:151], v[128:129]
	v_mul_f64_e32 v[128:129], v[152:153], v[128:129]
	v_fmac_f64_e32 v[176:177], v[6:7], v[134:135]
	v_fma_f64 v[182:183], v[4:5], v[134:135], -v[136:137]
	ds_load_b128 v[4:7], v2 offset:1184
	ds_load_b128 v[134:137], v2 offset:1200
	v_add_f64_e32 v[184:185], v[148:149], v[146:147]
	v_add_f64_e32 v[162:163], v[162:163], v[180:181]
	scratch_load_b128 v[146:149], off, off offset:496
	s_wait_loadcnt_dscnt 0xa01
	v_mul_f64_e32 v[180:181], v[4:5], v[144:145]
	v_mul_f64_e32 v[144:145], v[6:7], v[144:145]
	v_fmac_f64_e32 v[178:179], v[152:153], v[126:127]
	v_fma_f64 v[150:151], v[150:151], v[126:127], -v[128:129]
	scratch_load_b128 v[126:129], off, off offset:512
	v_add_f64_e32 v[152:153], v[184:185], v[182:183]
	v_add_f64_e32 v[162:163], v[162:163], v[176:177]
	s_wait_loadcnt_dscnt 0xa00
	v_mul_f64_e32 v[176:177], v[134:135], v[132:133]
	v_mul_f64_e32 v[132:133], v[136:137], v[132:133]
	v_fmac_f64_e32 v[180:181], v[6:7], v[142:143]
	v_fma_f64 v[182:183], v[4:5], v[142:143], -v[144:145]
	ds_load_b128 v[4:7], v2 offset:1216
	ds_load_b128 v[142:145], v2 offset:1232
	v_add_f64_e32 v[184:185], v[152:153], v[150:151]
	v_add_f64_e32 v[162:163], v[162:163], v[178:179]
	scratch_load_b128 v[150:153], off, off offset:528
	s_wait_loadcnt_dscnt 0xa01
	v_mul_f64_e32 v[178:179], v[4:5], v[156:157]
	v_mul_f64_e32 v[156:157], v[6:7], v[156:157]
	v_fmac_f64_e32 v[176:177], v[136:137], v[130:131]
	v_fma_f64 v[134:135], v[134:135], v[130:131], -v[132:133]
	scratch_load_b128 v[130:133], off, off offset:544
	v_add_f64_e32 v[136:137], v[184:185], v[182:183]
	v_add_f64_e32 v[162:163], v[162:163], v[180:181]
	s_wait_loadcnt_dscnt 0xa00
	v_mul_f64_e32 v[180:181], v[142:143], v[140:141]
	v_mul_f64_e32 v[140:141], v[144:145], v[140:141]
	v_fmac_f64_e32 v[178:179], v[6:7], v[154:155]
	v_fma_f64 v[182:183], v[4:5], v[154:155], -v[156:157]
	v_add_f64_e32 v[184:185], v[136:137], v[134:135]
	v_add_f64_e32 v[162:163], v[162:163], v[176:177]
	ds_load_b128 v[4:7], v2 offset:1248
	ds_load_b128 v[134:137], v2 offset:1264
	scratch_load_b128 v[154:157], off, off offset:560
	v_fmac_f64_e32 v[180:181], v[144:145], v[138:139]
	v_fma_f64 v[142:143], v[142:143], v[138:139], -v[140:141]
	scratch_load_b128 v[138:141], off, off offset:576
	s_wait_loadcnt_dscnt 0xb01
	v_mul_f64_e32 v[176:177], v[4:5], v[174:175]
	v_mul_f64_e32 v[174:175], v[6:7], v[174:175]
	v_add_f64_e32 v[144:145], v[184:185], v[182:183]
	v_add_f64_e32 v[162:163], v[162:163], v[178:179]
	s_wait_loadcnt_dscnt 0xa00
	v_mul_f64_e32 v[178:179], v[134:135], v[10:11]
	v_mul_f64_e32 v[10:11], v[136:137], v[10:11]
	v_fmac_f64_e32 v[176:177], v[6:7], v[172:173]
	v_fma_f64 v[182:183], v[4:5], v[172:173], -v[174:175]
	v_add_f64_e32 v[184:185], v[144:145], v[142:143]
	v_add_f64_e32 v[162:163], v[162:163], v[180:181]
	ds_load_b128 v[4:7], v2 offset:1280
	ds_load_b128 v[142:145], v2 offset:1296
	scratch_load_b128 v[172:175], off, off offset:592
	v_fmac_f64_e32 v[178:179], v[136:137], v[8:9]
	v_fma_f64 v[134:135], v[134:135], v[8:9], -v[10:11]
	scratch_load_b128 v[8:11], off, off offset:608
	s_wait_loadcnt_dscnt 0xb01
	v_mul_f64_e32 v[180:181], v[4:5], v[160:161]
	v_mul_f64_e32 v[160:161], v[6:7], v[160:161]
	;; [unrolled: 18-line block ×9, first 2 shown]
	v_add_f64_e32 v[144:145], v[184:185], v[182:183]
	v_add_f64_e32 v[162:163], v[162:163], v[180:181]
	s_wait_loadcnt_dscnt 0xa00
	v_mul_f64_e32 v[180:181], v[134:135], v[14:15]
	v_mul_f64_e32 v[14:15], v[136:137], v[14:15]
	v_fmac_f64_e32 v[178:179], v[6:7], v[168:169]
	v_fma_f64 v[168:169], v[4:5], v[168:169], -v[170:171]
	v_add_f64_e32 v[170:171], v[144:145], v[142:143]
	v_add_f64_e32 v[162:163], v[162:163], v[176:177]
	ds_load_b128 v[4:7], v2 offset:1536
	ds_load_b128 v[142:145], v2 offset:1552
	v_fmac_f64_e32 v[180:181], v[136:137], v[12:13]
	v_fma_f64 v[12:13], v[134:135], v[12:13], -v[14:15]
	s_wait_loadcnt_dscnt 0x901
	v_mul_f64_e32 v[176:177], v[4:5], v[148:149]
	v_mul_f64_e32 v[148:149], v[6:7], v[148:149]
	s_wait_loadcnt_dscnt 0x800
	v_mul_f64_e32 v[136:137], v[142:143], v[128:129]
	v_mul_f64_e32 v[128:129], v[144:145], v[128:129]
	v_add_f64_e32 v[14:15], v[170:171], v[168:169]
	v_add_f64_e32 v[134:135], v[162:163], v[178:179]
	v_fmac_f64_e32 v[176:177], v[6:7], v[146:147]
	v_fma_f64 v[146:147], v[4:5], v[146:147], -v[148:149]
	v_fmac_f64_e32 v[136:137], v[144:145], v[126:127]
	v_fma_f64 v[126:127], v[142:143], v[126:127], -v[128:129]
	v_add_f64_e32 v[148:149], v[14:15], v[12:13]
	v_add_f64_e32 v[134:135], v[134:135], v[180:181]
	ds_load_b128 v[4:7], v2 offset:1568
	ds_load_b128 v[12:15], v2 offset:1584
	s_wait_loadcnt_dscnt 0x701
	v_mul_f64_e32 v[162:163], v[4:5], v[152:153]
	v_mul_f64_e32 v[152:153], v[6:7], v[152:153]
	s_wait_loadcnt_dscnt 0x600
	v_mul_f64_e32 v[142:143], v[12:13], v[132:133]
	v_mul_f64_e32 v[132:133], v[14:15], v[132:133]
	v_add_f64_e32 v[128:129], v[148:149], v[146:147]
	v_add_f64_e32 v[134:135], v[134:135], v[176:177]
	v_fmac_f64_e32 v[162:163], v[6:7], v[150:151]
	v_fma_f64 v[144:145], v[4:5], v[150:151], -v[152:153]
	v_fmac_f64_e32 v[142:143], v[14:15], v[130:131]
	v_fma_f64 v[12:13], v[12:13], v[130:131], -v[132:133]
	v_lshl_add_u64 v[152:153], v[30:31], 4, s[4:5]
	v_lshl_add_u64 v[150:151], v[32:33], 4, s[4:5]
	;; [unrolled: 1-line block ×4, first 2 shown]
	v_add_f64_e32 v[146:147], v[128:129], v[126:127]
	v_add_f64_e32 v[134:135], v[134:135], v[136:137]
	ds_load_b128 v[4:7], v2 offset:1600
	ds_load_b128 v[126:129], v2 offset:1616
	s_wait_loadcnt_dscnt 0x501
	v_mul_f64_e32 v[136:137], v[4:5], v[156:157]
	v_mul_f64_e32 v[148:149], v[6:7], v[156:157]
	s_wait_loadcnt_dscnt 0x400
	v_mul_f64_e32 v[132:133], v[126:127], v[140:141]
	v_lshl_add_u64 v[156:157], v[26:27], 4, s[4:5]
	v_lshl_add_u64 v[26:27], v[100:101], 4, s[4:5]
	v_add_f64_e32 v[14:15], v[146:147], v[144:145]
	v_add_f64_e32 v[130:131], v[134:135], v[162:163]
	v_mul_f64_e32 v[134:135], v[128:129], v[140:141]
	v_lshl_add_u64 v[162:163], v[20:21], 4, s[4:5]
	v_lshl_add_u64 v[20:21], v[106:107], 4, s[4:5]
	v_fmac_f64_e32 v[136:137], v[6:7], v[154:155]
	v_fma_f64 v[140:141], v[4:5], v[154:155], -v[148:149]
	v_fmac_f64_e32 v[132:133], v[128:129], v[138:139]
	v_lshl_add_u64 v[154:155], v[28:29], 4, s[4:5]
	v_lshl_add_u64 v[148:149], v[34:35], 4, s[4:5]
	;; [unrolled: 1-line block ×4, first 2 shown]
	v_add_f64_e32 v[144:145], v[14:15], v[12:13]
	v_add_f64_e32 v[130:131], v[130:131], v[142:143]
	ds_load_b128 v[4:7], v2 offset:1632
	ds_load_b128 v[12:15], v2 offset:1648
	v_fma_f64 v[126:127], v[126:127], v[138:139], -v[134:135]
	s_wait_loadcnt_dscnt 0x301
	v_mul_f64_e32 v[142:143], v[4:5], v[174:175]
	v_mul_f64_e32 v[146:147], v[6:7], v[174:175]
	s_wait_loadcnt_dscnt 0x200
	v_mul_f64_e32 v[134:135], v[12:13], v[10:11]
	v_mul_f64_e32 v[10:11], v[14:15], v[10:11]
	v_add_f64_e32 v[128:129], v[144:145], v[140:141]
	v_add_f64_e32 v[130:131], v[130:131], v[136:137]
	v_lshl_add_u64 v[144:145], v[38:39], 4, s[4:5]
	v_lshl_add_u64 v[140:141], v[42:43], 4, s[4:5]
	;; [unrolled: 1-line block ×4, first 2 shown]
	v_fmac_f64_e32 v[142:143], v[6:7], v[172:173]
	v_fma_f64 v[136:137], v[4:5], v[172:173], -v[146:147]
	v_fmac_f64_e32 v[134:135], v[14:15], v[8:9]
	v_fma_f64 v[8:9], v[12:13], v[8:9], -v[10:11]
	v_lshl_add_u64 v[146:147], v[36:37], 4, s[4:5]
	v_lshl_add_u64 v[36:37], v[90:91], 4, s[4:5]
	v_add_f64_e32 v[138:139], v[128:129], v[126:127]
	v_add_f64_e32 v[130:131], v[130:131], v[132:133]
	ds_load_b128 v[4:7], v2 offset:1664
	ds_load_b128 v[126:129], v2 offset:1680
	s_wait_loadcnt_dscnt 0x101
	v_mul_f64_e32 v[2:3], v[4:5], v[160:161]
	v_mul_f64_e32 v[132:133], v[6:7], v[160:161]
	s_wait_loadcnt_dscnt 0x0
	v_mul_f64_e32 v[14:15], v[126:127], v[124:125]
	v_mul_f64_e32 v[124:125], v[128:129], v[124:125]
	v_lshl_add_u64 v[160:161], v[22:23], 4, s[4:5]
	v_lshl_add_u64 v[22:23], v[104:105], 4, s[4:5]
	v_add_f64_e32 v[10:11], v[138:139], v[136:137]
	v_add_f64_e32 v[12:13], v[130:131], v[142:143]
	v_lshl_add_u64 v[142:143], v[40:41], 4, s[4:5]
	v_lshl_add_u64 v[138:139], v[44:45], 4, s[4:5]
	v_lshl_add_u64 v[136:137], v[46:47], 4, s[4:5]
	v_lshl_add_u64 v[130:131], v[50:51], 4, s[4:5]
	v_lshl_add_u64 v[50:51], v[76:77], 4, s[4:5]
	v_lshl_add_u64 v[46:47], v[80:81], 4, s[4:5]
	v_lshl_add_u64 v[44:45], v[82:83], 4, s[4:5]
	v_lshl_add_u64 v[40:41], v[86:87], 4, s[4:5]
	v_fmac_f64_e32 v[2:3], v[6:7], v[158:159]
	v_fma_f64 v[4:5], v[4:5], v[158:159], -v[132:133]
	v_fmac_f64_e32 v[14:15], v[128:129], v[122:123]
	v_lshl_add_u64 v[158:159], v[24:25], 4, s[4:5]
	v_lshl_add_u64 v[132:133], v[60:61], 4, s[4:5]
	;; [unrolled: 1-line block ×6, first 2 shown]
	v_add_f64_e32 v[6:7], v[10:11], v[8:9]
	v_add_f64_e32 v[8:9], v[12:13], v[134:135]
	v_fma_f64 v[10:11], v[126:127], v[122:123], -v[124:125]
	v_lshl_add_u64 v[134:135], v[48:49], 4, s[4:5]
	v_lshl_add_u64 v[126:127], v[52:53], 4, s[4:5]
	;; [unrolled: 1-line block ×10, first 2 shown]
	v_add_f64_e32 v[4:5], v[6:7], v[4:5]
	v_add_f64_e32 v[2:3], v[8:9], v[2:3]
	v_lshl_add_u64 v[8:9], v[114:115], 4, s[4:5]
	v_lshl_add_u64 v[6:7], v[116:117], 4, s[4:5]
	s_delay_alu instid0(VALU_DEP_4) | instskip(NEXT) | instid1(VALU_DEP_4)
	v_add_f64_e32 v[4:5], v[4:5], v[10:11]
	v_add_f64_e32 v[2:3], v[2:3], v[14:15]
	v_lshl_add_u64 v[14:15], v[108:109], 4, s[4:5]
	v_lshl_add_u64 v[10:11], v[112:113], 4, s[4:5]
	s_delay_alu instid0(VALU_DEP_4) | instskip(NEXT) | instid1(VALU_DEP_4)
	v_add_f64_e64 v[164:165], v[164:165], -v[4:5]
	v_add_f64_e64 v[166:167], v[166:167], -v[2:3]
	v_lshl_add_u64 v[4:5], v[118:119], 4, s[4:5]
	v_lshl_add_u64 v[2:3], v[120:121], 4, s[4:5]
	scratch_store_b128 off, v[164:167], off
	s_cbranch_vccz .LBB116_436
; %bb.332:
	v_mov_b32_e32 v66, 0
	s_load_b64 s[2:3], s[0:1], 0x4
	v_bfe_u32 v68, v0, 10, 10
	v_bfe_u32 v0, v0, 20, 10
	global_load_b32 v67, v66, s[8:9] offset:204
	s_wait_kmcnt 0x0
	s_lshr_b32 s0, s2, 16
	v_mul_u32_u24_e32 v68, s3, v68
	s_mul_i32 s0, s0, s3
	s_delay_alu instid0(SALU_CYCLE_1) | instskip(NEXT) | instid1(VALU_DEP_1)
	v_mul_u32_u24_e32 v1, s0, v1
	v_add3_u32 v0, v1, v68, v0
	s_delay_alu instid0(VALU_DEP_1)
	v_lshl_add_u32 v0, v0, 4, 0x6a8
	s_wait_loadcnt 0x0
	v_cmp_ne_u32_e32 vcc_lo, 52, v67
	s_cbranch_vccz .LBB116_334
; %bb.333:
	v_lshlrev_b32_e32 v1, 4, v67
	s_clause 0x1
	scratch_load_b128 v[68:71], off, s15
	scratch_load_b128 v[72:75], v1, off offset:-16
	s_wait_loadcnt 0x1
	ds_store_2addr_b64 v0, v[68:69], v[70:71] offset1:1
	s_wait_loadcnt 0x0
	s_clause 0x1
	scratch_store_b128 off, v[72:75], s15
	scratch_store_b128 v1, v[68:71], off offset:-16
.LBB116_334:
	global_load_b32 v1, v66, s[8:9] offset:200
	s_wait_loadcnt 0x0
	v_cmp_eq_u32_e32 vcc_lo, 51, v1
	s_cbranch_vccnz .LBB116_336
; %bb.335:
	v_lshlrev_b32_e32 v1, 4, v1
	s_clause 0x1
	scratch_load_b128 v[66:69], off, s17
	scratch_load_b128 v[70:73], v1, off offset:-16
	s_wait_loadcnt 0x1
	ds_store_2addr_b64 v0, v[66:67], v[68:69] offset1:1
	s_wait_loadcnt 0x0
	s_clause 0x1
	scratch_store_b128 off, v[70:73], s17
	scratch_store_b128 v1, v[66:69], off offset:-16
.LBB116_336:
	s_wait_xcnt 0x0
	v_mov_b32_e32 v1, 0
	global_load_b32 v66, v1, s[8:9] offset:196
	s_wait_loadcnt 0x0
	v_cmp_eq_u32_e32 vcc_lo, 50, v66
	s_cbranch_vccnz .LBB116_338
; %bb.337:
	v_lshlrev_b32_e32 v66, 4, v66
	s_delay_alu instid0(VALU_DEP_1)
	v_mov_b32_e32 v74, v66
	s_clause 0x1
	scratch_load_b128 v[66:69], off, s19
	scratch_load_b128 v[70:73], v74, off offset:-16
	s_wait_loadcnt 0x1
	ds_store_2addr_b64 v0, v[66:67], v[68:69] offset1:1
	s_wait_loadcnt 0x0
	s_clause 0x1
	scratch_store_b128 off, v[70:73], s19
	scratch_store_b128 v74, v[66:69], off offset:-16
.LBB116_338:
	global_load_b32 v1, v1, s[8:9] offset:192
	s_wait_loadcnt 0x0
	v_cmp_eq_u32_e32 vcc_lo, 49, v1
	s_cbranch_vccnz .LBB116_340
; %bb.339:
	s_wait_xcnt 0x0
	v_lshlrev_b32_e32 v1, 4, v1
	s_clause 0x1
	scratch_load_b128 v[66:69], off, s20
	scratch_load_b128 v[70:73], v1, off offset:-16
	s_wait_loadcnt 0x1
	ds_store_2addr_b64 v0, v[66:67], v[68:69] offset1:1
	s_wait_loadcnt 0x0
	s_clause 0x1
	scratch_store_b128 off, v[70:73], s20
	scratch_store_b128 v1, v[66:69], off offset:-16
.LBB116_340:
	s_wait_xcnt 0x0
	v_mov_b32_e32 v1, 0
	global_load_b32 v66, v1, s[8:9] offset:188
	s_wait_loadcnt 0x0
	v_cmp_eq_u32_e32 vcc_lo, 48, v66
	s_cbranch_vccnz .LBB116_342
; %bb.341:
	v_lshlrev_b32_e32 v66, 4, v66
	s_delay_alu instid0(VALU_DEP_1)
	v_mov_b32_e32 v74, v66
	s_clause 0x1
	scratch_load_b128 v[66:69], off, s21
	scratch_load_b128 v[70:73], v74, off offset:-16
	s_wait_loadcnt 0x1
	ds_store_2addr_b64 v0, v[66:67], v[68:69] offset1:1
	s_wait_loadcnt 0x0
	s_clause 0x1
	scratch_store_b128 off, v[70:73], s21
	scratch_store_b128 v74, v[66:69], off offset:-16
.LBB116_342:
	global_load_b32 v1, v1, s[8:9] offset:184
	s_wait_loadcnt 0x0
	v_cmp_eq_u32_e32 vcc_lo, 47, v1
	s_cbranch_vccnz .LBB116_344
; %bb.343:
	s_wait_xcnt 0x0
	v_lshlrev_b32_e32 v1, 4, v1
	s_clause 0x1
	scratch_load_b128 v[66:69], off, s22
	scratch_load_b128 v[70:73], v1, off offset:-16
	s_wait_loadcnt 0x1
	ds_store_2addr_b64 v0, v[66:67], v[68:69] offset1:1
	s_wait_loadcnt 0x0
	s_clause 0x1
	scratch_store_b128 off, v[70:73], s22
	scratch_store_b128 v1, v[66:69], off offset:-16
.LBB116_344:
	;; [unrolled: 37-line block ×24, first 2 shown]
	s_wait_xcnt 0x0
	v_mov_b32_e32 v1, 0
	global_load_b32 v66, v1, s[8:9] offset:4
	s_wait_loadcnt 0x0
	v_cmp_eq_u32_e32 vcc_lo, 2, v66
	s_cbranch_vccnz .LBB116_434
; %bb.433:
	v_lshlrev_b32_e32 v66, 4, v66
	s_delay_alu instid0(VALU_DEP_1)
	v_mov_b32_e32 v74, v66
	s_clause 0x1
	scratch_load_b128 v[66:69], off, s18
	scratch_load_b128 v[70:73], v74, off offset:-16
	s_wait_loadcnt 0x1
	ds_store_2addr_b64 v0, v[66:67], v[68:69] offset1:1
	s_wait_loadcnt 0x0
	s_clause 0x1
	scratch_store_b128 off, v[70:73], s18
	scratch_store_b128 v74, v[66:69], off offset:-16
.LBB116_434:
	global_load_b32 v1, v1, s[8:9]
	s_wait_loadcnt 0x0
	v_cmp_eq_u32_e32 vcc_lo, 1, v1
	s_cbranch_vccnz .LBB116_436
; %bb.435:
	s_wait_xcnt 0x0
	v_lshlrev_b32_e32 v1, 4, v1
	scratch_load_b128 v[66:69], off, off
	scratch_load_b128 v[70:73], v1, off offset:-16
	s_wait_loadcnt 0x1
	ds_store_2addr_b64 v0, v[66:67], v[68:69] offset1:1
	s_wait_loadcnt 0x0
	scratch_store_b128 off, v[70:73], off
	scratch_store_b128 v1, v[66:69], off offset:-16
.LBB116_436:
	scratch_load_b128 v[66:69], off, off
	s_wait_loadcnt 0x0
	flat_store_b128 v[16:17], v[66:69]
	scratch_load_b128 v[66:69], off, s18
	s_wait_loadcnt 0x0
	flat_store_b128 v[18:19], v[66:69]
	scratch_load_b128 v[16:19], off, s16
	;; [unrolled: 3-line block ×52, first 2 shown]
	s_wait_loadcnt 0x0
	flat_store_b128 v[2:3], v[4:7]
	s_sendmsg sendmsg(MSG_DEALLOC_VGPRS)
	s_endpgm
	.section	.rodata,"a",@progbits
	.p2align	6, 0x0
	.amdhsa_kernel _ZN9rocsolver6v33100L18getri_kernel_smallILi53E19rocblas_complex_numIdEPKPS3_EEvT1_iilPiilS8_bb
		.amdhsa_group_segment_fixed_size 2728
		.amdhsa_private_segment_fixed_size 864
		.amdhsa_kernarg_size 60
		.amdhsa_user_sgpr_count 4
		.amdhsa_user_sgpr_dispatch_ptr 1
		.amdhsa_user_sgpr_queue_ptr 0
		.amdhsa_user_sgpr_kernarg_segment_ptr 1
		.amdhsa_user_sgpr_dispatch_id 0
		.amdhsa_user_sgpr_kernarg_preload_length 0
		.amdhsa_user_sgpr_kernarg_preload_offset 0
		.amdhsa_user_sgpr_private_segment_size 0
		.amdhsa_wavefront_size32 1
		.amdhsa_uses_dynamic_stack 0
		.amdhsa_enable_private_segment 1
		.amdhsa_system_sgpr_workgroup_id_x 1
		.amdhsa_system_sgpr_workgroup_id_y 0
		.amdhsa_system_sgpr_workgroup_id_z 0
		.amdhsa_system_sgpr_workgroup_info 0
		.amdhsa_system_vgpr_workitem_id 2
		.amdhsa_next_free_vgpr 188
		.amdhsa_next_free_sgpr 90
		.amdhsa_named_barrier_count 0
		.amdhsa_reserve_vcc 1
		.amdhsa_float_round_mode_32 0
		.amdhsa_float_round_mode_16_64 0
		.amdhsa_float_denorm_mode_32 3
		.amdhsa_float_denorm_mode_16_64 3
		.amdhsa_fp16_overflow 0
		.amdhsa_memory_ordered 1
		.amdhsa_forward_progress 1
		.amdhsa_inst_pref_size 255
		.amdhsa_round_robin_scheduling 0
		.amdhsa_exception_fp_ieee_invalid_op 0
		.amdhsa_exception_fp_denorm_src 0
		.amdhsa_exception_fp_ieee_div_zero 0
		.amdhsa_exception_fp_ieee_overflow 0
		.amdhsa_exception_fp_ieee_underflow 0
		.amdhsa_exception_fp_ieee_inexact 0
		.amdhsa_exception_int_div_zero 0
	.end_amdhsa_kernel
	.section	.text._ZN9rocsolver6v33100L18getri_kernel_smallILi53E19rocblas_complex_numIdEPKPS3_EEvT1_iilPiilS8_bb,"axG",@progbits,_ZN9rocsolver6v33100L18getri_kernel_smallILi53E19rocblas_complex_numIdEPKPS3_EEvT1_iilPiilS8_bb,comdat
.Lfunc_end116:
	.size	_ZN9rocsolver6v33100L18getri_kernel_smallILi53E19rocblas_complex_numIdEPKPS3_EEvT1_iilPiilS8_bb, .Lfunc_end116-_ZN9rocsolver6v33100L18getri_kernel_smallILi53E19rocblas_complex_numIdEPKPS3_EEvT1_iilPiilS8_bb
                                        ; -- End function
	.set _ZN9rocsolver6v33100L18getri_kernel_smallILi53E19rocblas_complex_numIdEPKPS3_EEvT1_iilPiilS8_bb.num_vgpr, 188
	.set _ZN9rocsolver6v33100L18getri_kernel_smallILi53E19rocblas_complex_numIdEPKPS3_EEvT1_iilPiilS8_bb.num_agpr, 0
	.set _ZN9rocsolver6v33100L18getri_kernel_smallILi53E19rocblas_complex_numIdEPKPS3_EEvT1_iilPiilS8_bb.numbered_sgpr, 90
	.set _ZN9rocsolver6v33100L18getri_kernel_smallILi53E19rocblas_complex_numIdEPKPS3_EEvT1_iilPiilS8_bb.num_named_barrier, 0
	.set _ZN9rocsolver6v33100L18getri_kernel_smallILi53E19rocblas_complex_numIdEPKPS3_EEvT1_iilPiilS8_bb.private_seg_size, 864
	.set _ZN9rocsolver6v33100L18getri_kernel_smallILi53E19rocblas_complex_numIdEPKPS3_EEvT1_iilPiilS8_bb.uses_vcc, 1
	.set _ZN9rocsolver6v33100L18getri_kernel_smallILi53E19rocblas_complex_numIdEPKPS3_EEvT1_iilPiilS8_bb.uses_flat_scratch, 1
	.set _ZN9rocsolver6v33100L18getri_kernel_smallILi53E19rocblas_complex_numIdEPKPS3_EEvT1_iilPiilS8_bb.has_dyn_sized_stack, 0
	.set _ZN9rocsolver6v33100L18getri_kernel_smallILi53E19rocblas_complex_numIdEPKPS3_EEvT1_iilPiilS8_bb.has_recursion, 0
	.set _ZN9rocsolver6v33100L18getri_kernel_smallILi53E19rocblas_complex_numIdEPKPS3_EEvT1_iilPiilS8_bb.has_indirect_call, 0
	.section	.AMDGPU.csdata,"",@progbits
; Kernel info:
; codeLenInByte = 104560
; TotalNumSgprs: 92
; NumVgprs: 188
; ScratchSize: 864
; MemoryBound: 0
; FloatMode: 240
; IeeeMode: 1
; LDSByteSize: 2728 bytes/workgroup (compile time only)
; SGPRBlocks: 0
; VGPRBlocks: 11
; NumSGPRsForWavesPerEU: 92
; NumVGPRsForWavesPerEU: 188
; NamedBarCnt: 0
; Occupancy: 5
; WaveLimiterHint : 1
; COMPUTE_PGM_RSRC2:SCRATCH_EN: 1
; COMPUTE_PGM_RSRC2:USER_SGPR: 4
; COMPUTE_PGM_RSRC2:TRAP_HANDLER: 0
; COMPUTE_PGM_RSRC2:TGID_X_EN: 1
; COMPUTE_PGM_RSRC2:TGID_Y_EN: 0
; COMPUTE_PGM_RSRC2:TGID_Z_EN: 0
; COMPUTE_PGM_RSRC2:TIDIG_COMP_CNT: 2
	.section	.text._ZN9rocsolver6v33100L18getri_kernel_smallILi54E19rocblas_complex_numIdEPKPS3_EEvT1_iilPiilS8_bb,"axG",@progbits,_ZN9rocsolver6v33100L18getri_kernel_smallILi54E19rocblas_complex_numIdEPKPS3_EEvT1_iilPiilS8_bb,comdat
	.globl	_ZN9rocsolver6v33100L18getri_kernel_smallILi54E19rocblas_complex_numIdEPKPS3_EEvT1_iilPiilS8_bb ; -- Begin function _ZN9rocsolver6v33100L18getri_kernel_smallILi54E19rocblas_complex_numIdEPKPS3_EEvT1_iilPiilS8_bb
	.p2align	8
	.type	_ZN9rocsolver6v33100L18getri_kernel_smallILi54E19rocblas_complex_numIdEPKPS3_EEvT1_iilPiilS8_bb,@function
_ZN9rocsolver6v33100L18getri_kernel_smallILi54E19rocblas_complex_numIdEPKPS3_EEvT1_iilPiilS8_bb: ; @_ZN9rocsolver6v33100L18getri_kernel_smallILi54E19rocblas_complex_numIdEPKPS3_EEvT1_iilPiilS8_bb
; %bb.0:
	v_and_b32_e32 v1, 0x3ff, v0
	s_mov_b32 s4, exec_lo
	s_delay_alu instid0(VALU_DEP_1)
	v_cmpx_gt_u32_e32 54, v1
	s_cbranch_execz .LBB117_230
; %bb.1:
	s_clause 0x1
	s_load_b32 s16, s[2:3], 0x38
	s_load_b64 s[8:9], s[2:3], 0x0
	s_getreg_b32 s6, hwreg(HW_REG_IB_STS2, 6, 4)
	s_wait_kmcnt 0x0
	s_bitcmp1_b32 s16, 8
	s_cselect_b32 s66, -1, 0
	s_bfe_u32 s4, ttmp6, 0x4000c
	s_and_b32 s5, ttmp6, 15
	s_add_co_i32 s4, s4, 1
	s_delay_alu instid0(SALU_CYCLE_1) | instskip(NEXT) | instid1(SALU_CYCLE_1)
	s_mul_i32 s4, ttmp9, s4
	s_add_co_i32 s5, s5, s4
	s_cmp_eq_u32 s6, 0
	s_cselect_b32 s10, ttmp9, s5
	s_load_b128 s[4:7], s[2:3], 0x28
	s_ashr_i32 s11, s10, 31
	s_delay_alu instid0(SALU_CYCLE_1) | instskip(NEXT) | instid1(SALU_CYCLE_1)
	s_lshl_b64 s[12:13], s[10:11], 3
	s_add_nc_u64 s[8:9], s[8:9], s[12:13]
	s_load_b64 s[14:15], s[8:9], 0x0
	s_wait_xcnt 0x0
	s_bfe_u32 s8, s16, 0x10008
	s_delay_alu instid0(SALU_CYCLE_1)
	s_cmp_eq_u32 s8, 0
                                        ; implicit-def: $sgpr8_sgpr9
	s_cbranch_scc1 .LBB117_3
; %bb.2:
	s_load_b96 s[16:18], s[2:3], 0x18
	s_wait_kmcnt 0x0
	s_mul_u64 s[4:5], s[4:5], s[10:11]
	s_delay_alu instid0(SALU_CYCLE_1) | instskip(SKIP_4) | instid1(SALU_CYCLE_1)
	s_lshl_b64 s[4:5], s[4:5], 2
	s_ashr_i32 s9, s18, 31
	s_mov_b32 s8, s18
	s_add_nc_u64 s[4:5], s[16:17], s[4:5]
	s_lshl_b64 s[8:9], s[8:9], 2
	s_add_nc_u64 s[8:9], s[4:5], s[8:9]
.LBB117_3:
	s_clause 0x1
	s_load_b64 s[12:13], s[2:3], 0x8
	s_load_b32 s67, s[2:3], 0x38
	v_dual_mov_b32 v15, 0 :: v_dual_lshlrev_b32 v14, 4, v1
	s_movk_i32 s68, 0x1f0
	s_movk_i32 s69, 0x200
	;; [unrolled: 1-line block ×16, first 2 shown]
	s_wait_kmcnt 0x0
	s_ashr_i32 s3, s12, 31
	s_mov_b32 s2, s12
	v_add3_u32 v20, s13, s13, v1
	s_lshl_b64 s[2:3], s[2:3], 4
	s_movk_i32 s84, 0x2f0
	s_add_nc_u64 s[4:5], s[14:15], s[2:3]
	s_ashr_i32 s3, s13, 31
	flat_load_b128 v[2:5], v1, s[4:5] scale_offset
	v_add_nc_u64_e32 v[16:17], s[4:5], v[14:15]
	s_mov_b32 s2, s13
	v_add_nc_u32_e32 v22, s13, v20
	s_movk_i32 s85, 0x300
	s_movk_i32 s86, 0x310
	;; [unrolled: 1-line block ×4, first 2 shown]
	v_lshl_add_u64 v[18:19], s[2:3], 4, v[16:17]
	v_add_nc_u32_e32 v24, s13, v22
	s_movk_i32 s89, 0x340
	s_movk_i32 s90, 0x350
	s_mov_b32 s18, 16
	s_mov_b32 s16, 32
	v_add_nc_u32_e32 v26, s13, v24
	s_mov_b32 s14, 48
	s_mov_b32 s12, 64
	s_movk_i32 s65, 0x50
	s_movk_i32 s64, 0x60
	v_add_nc_u32_e32 v28, s13, v26
	s_movk_i32 s63, 0x70
	s_movk_i32 s62, 0x80
	s_movk_i32 s61, 0x90
	s_movk_i32 s60, 0xa0
	v_add_nc_u32_e32 v30, s13, v28
	s_movk_i32 s59, 0xb0
	s_movk_i32 s58, 0xc0
	;; [unrolled: 5-line block ×6, first 2 shown]
	s_movk_i32 s41, 0x1d0
	s_movk_i32 s40, 0x1e0
	v_add_nc_u32_e32 v40, s13, v38
	s_mov_b32 s39, s68
	s_mov_b32 s38, s69
	s_mov_b32 s37, s70
	s_mov_b32 s36, s71
	v_add_nc_u32_e32 v42, s13, v40
	s_mov_b32 s35, s72
	s_mov_b32 s34, s73
	s_mov_b32 s33, s74
	s_mov_b32 s31, s75
	v_add_nc_u32_e32 v44, s13, v42
	s_mov_b32 s30, s76
	s_mov_b32 s29, s77
	s_mov_b32 s28, s78
	s_mov_b32 s27, s79
	v_add_nc_u32_e32 v46, s13, v44
	s_mov_b32 s26, s80
	s_mov_b32 s25, s81
	s_mov_b32 s24, s82
	s_mov_b32 s23, s83
	v_add_nc_u32_e32 v48, s13, v46
	s_mov_b32 s22, s84
	s_mov_b32 s21, s85
	s_mov_b32 s20, s86
	s_mov_b32 s19, s87
	v_add_nc_u32_e32 v50, s13, v48
	s_mov_b32 s17, s88
	s_mov_b32 s15, s89
	s_bitcmp0_b32 s67, 0
	s_mov_b32 s3, -1
	v_add_nc_u32_e32 v52, s13, v50
	s_delay_alu instid0(VALU_DEP_1) | instskip(NEXT) | instid1(VALU_DEP_1)
	v_add_nc_u32_e32 v54, s13, v52
	v_add_nc_u32_e32 v56, s13, v54
	s_delay_alu instid0(VALU_DEP_1) | instskip(NEXT) | instid1(VALU_DEP_1)
	v_add_nc_u32_e32 v58, s13, v56
	v_add_nc_u32_e32 v60, s13, v58
	s_delay_alu instid0(VALU_DEP_1) | instskip(NEXT) | instid1(VALU_DEP_1)
	v_add_nc_u32_e32 v64, s13, v60
	v_add_nc_u32_e32 v62, s13, v64
	s_delay_alu instid0(VALU_DEP_1) | instskip(NEXT) | instid1(VALU_DEP_1)
	v_add_nc_u32_e32 v66, s13, v62
	v_add_nc_u32_e32 v68, s13, v66
	s_delay_alu instid0(VALU_DEP_1) | instskip(NEXT) | instid1(VALU_DEP_1)
	v_add_nc_u32_e32 v70, s13, v68
	v_add_nc_u32_e32 v72, s13, v70
	s_delay_alu instid0(VALU_DEP_1) | instskip(NEXT) | instid1(VALU_DEP_1)
	v_add_nc_u32_e32 v74, s13, v72
	v_add_nc_u32_e32 v76, s13, v74
	s_delay_alu instid0(VALU_DEP_1) | instskip(NEXT) | instid1(VALU_DEP_1)
	v_add_nc_u32_e32 v78, s13, v76
	v_add_nc_u32_e32 v80, s13, v78
	s_delay_alu instid0(VALU_DEP_1) | instskip(NEXT) | instid1(VALU_DEP_1)
	v_add_nc_u32_e32 v82, s13, v80
	v_add_nc_u32_e32 v84, s13, v82
	s_delay_alu instid0(VALU_DEP_1) | instskip(NEXT) | instid1(VALU_DEP_1)
	v_add_nc_u32_e32 v86, s13, v84
	v_add_nc_u32_e32 v88, s13, v86
	s_delay_alu instid0(VALU_DEP_1) | instskip(NEXT) | instid1(VALU_DEP_1)
	v_add_nc_u32_e32 v90, s13, v88
	v_add_nc_u32_e32 v92, s13, v90
	s_delay_alu instid0(VALU_DEP_1) | instskip(NEXT) | instid1(VALU_DEP_1)
	v_add_nc_u32_e32 v94, s13, v92
	v_add_nc_u32_e32 v96, s13, v94
	s_delay_alu instid0(VALU_DEP_1) | instskip(NEXT) | instid1(VALU_DEP_1)
	v_add_nc_u32_e32 v98, s13, v96
	v_add_nc_u32_e32 v100, s13, v98
	s_delay_alu instid0(VALU_DEP_1) | instskip(NEXT) | instid1(VALU_DEP_1)
	v_add_nc_u32_e32 v102, s13, v100
	v_add_nc_u32_e32 v104, s13, v102
	s_delay_alu instid0(VALU_DEP_1) | instskip(NEXT) | instid1(VALU_DEP_1)
	v_add_nc_u32_e32 v106, s13, v104
	v_add_nc_u32_e32 v108, s13, v106
	s_delay_alu instid0(VALU_DEP_1) | instskip(NEXT) | instid1(VALU_DEP_1)
	v_add_nc_u32_e32 v110, s13, v108
	v_add_nc_u32_e32 v112, s13, v110
	s_delay_alu instid0(VALU_DEP_1) | instskip(NEXT) | instid1(VALU_DEP_1)
	v_add_nc_u32_e32 v114, s13, v112
	v_add_nc_u32_e32 v116, s13, v114
	s_delay_alu instid0(VALU_DEP_1) | instskip(NEXT) | instid1(VALU_DEP_1)
	v_add_nc_u32_e32 v118, s13, v116
	v_add_nc_u32_e32 v120, s13, v118
	s_delay_alu instid0(VALU_DEP_1)
	v_add_nc_u32_e32 v122, s13, v120
	s_mov_b32 s13, s90
	s_wait_loadcnt_dscnt 0x0
	scratch_store_b128 off, v[2:5], off
	flat_load_b128 v[2:5], v[18:19]
	s_wait_loadcnt_dscnt 0x0
	scratch_store_b128 off, v[2:5], off offset:16
	flat_load_b128 v[2:5], v20, s[4:5] scale_offset
	s_wait_loadcnt_dscnt 0x0
	scratch_store_b128 off, v[2:5], off offset:32
	flat_load_b128 v[2:5], v22, s[4:5] scale_offset
	;; [unrolled: 3-line block ×52, first 2 shown]
	s_wait_loadcnt_dscnt 0x0
	scratch_store_b128 off, v[2:5], off offset:848
	s_cbranch_scc1 .LBB117_228
; %bb.4:
	v_cmp_eq_u32_e64 s2, 0, v1
	s_wait_xcnt 0x0
	s_and_saveexec_b32 s3, s2
; %bb.5:
	v_mov_b32_e32 v2, 0
	ds_store_b32 v2, v2 offset:1728
; %bb.6:
	s_or_b32 exec_lo, exec_lo, s3
	s_wait_storecnt_dscnt 0x0
	s_barrier_signal -1
	s_barrier_wait -1
	scratch_load_b128 v[2:5], v1, off scale_offset
	s_wait_loadcnt 0x0
	v_cmp_eq_f64_e32 vcc_lo, 0, v[2:3]
	v_cmp_eq_f64_e64 s3, 0, v[4:5]
	s_and_b32 s3, vcc_lo, s3
	s_delay_alu instid0(SALU_CYCLE_1)
	s_and_saveexec_b32 s67, s3
	s_cbranch_execz .LBB117_10
; %bb.7:
	v_mov_b32_e32 v2, 0
	s_mov_b32 s68, 0
	ds_load_b32 v3, v2 offset:1728
	s_wait_dscnt 0x0
	v_readfirstlane_b32 s3, v3
	v_add_nc_u32_e32 v3, 1, v1
	s_cmp_eq_u32 s3, 0
	s_delay_alu instid0(VALU_DEP_1) | instskip(SKIP_1) | instid1(SALU_CYCLE_1)
	v_cmp_gt_i32_e32 vcc_lo, s3, v3
	s_cselect_b32 s69, -1, 0
	s_or_b32 s69, s69, vcc_lo
	s_delay_alu instid0(SALU_CYCLE_1)
	s_and_b32 exec_lo, exec_lo, s69
	s_cbranch_execz .LBB117_10
; %bb.8:
	v_mov_b32_e32 v4, s3
.LBB117_9:                              ; =>This Inner Loop Header: Depth=1
	ds_cmpstore_rtn_b32 v4, v2, v3, v4 offset:1728
	s_wait_dscnt 0x0
	v_cmp_ne_u32_e32 vcc_lo, 0, v4
	v_cmp_le_i32_e64 s3, v4, v3
	s_and_b32 s3, vcc_lo, s3
	s_delay_alu instid0(SALU_CYCLE_1) | instskip(NEXT) | instid1(SALU_CYCLE_1)
	s_and_b32 s3, exec_lo, s3
	s_or_b32 s68, s3, s68
	s_delay_alu instid0(SALU_CYCLE_1)
	s_and_not1_b32 exec_lo, exec_lo, s68
	s_cbranch_execnz .LBB117_9
.LBB117_10:
	s_or_b32 exec_lo, exec_lo, s67
	v_mov_b32_e32 v2, 0
	s_barrier_signal -1
	s_barrier_wait -1
	ds_load_b32 v3, v2 offset:1728
	s_and_saveexec_b32 s3, s2
	s_cbranch_execz .LBB117_12
; %bb.11:
	s_lshl_b64 s[68:69], s[10:11], 2
	s_delay_alu instid0(SALU_CYCLE_1)
	s_add_nc_u64 s[68:69], s[6:7], s[68:69]
	s_wait_dscnt 0x0
	global_store_b32 v2, v3, s[68:69]
.LBB117_12:
	s_wait_xcnt 0x0
	s_or_b32 exec_lo, exec_lo, s3
	s_wait_dscnt 0x0
	v_cmp_ne_u32_e32 vcc_lo, 0, v3
	s_mov_b32 s3, 0
	s_cbranch_vccnz .LBB117_228
; %bb.13:
	v_lshl_add_u32 v15, v1, 4, 0
                                        ; implicit-def: $vgpr6_vgpr7
                                        ; implicit-def: $vgpr10_vgpr11
	scratch_load_b128 v[2:5], v15, off
	s_wait_loadcnt 0x0
	v_cmp_ngt_f64_e64 s3, |v[2:3]|, |v[4:5]|
	s_wait_xcnt 0x0
	s_and_saveexec_b32 s67, s3
	s_delay_alu instid0(SALU_CYCLE_1)
	s_xor_b32 s3, exec_lo, s67
	s_cbranch_execz .LBB117_15
; %bb.14:
	v_div_scale_f64 v[6:7], null, v[4:5], v[4:5], v[2:3]
	v_div_scale_f64 v[12:13], vcc_lo, v[2:3], v[4:5], v[2:3]
	s_delay_alu instid0(VALU_DEP_2) | instskip(SKIP_1) | instid1(TRANS32_DEP_1)
	v_rcp_f64_e32 v[8:9], v[6:7]
	v_nop
	v_fma_f64 v[10:11], -v[6:7], v[8:9], 1.0
	s_delay_alu instid0(VALU_DEP_1) | instskip(NEXT) | instid1(VALU_DEP_1)
	v_fmac_f64_e32 v[8:9], v[8:9], v[10:11]
	v_fma_f64 v[10:11], -v[6:7], v[8:9], 1.0
	s_delay_alu instid0(VALU_DEP_1) | instskip(NEXT) | instid1(VALU_DEP_1)
	v_fmac_f64_e32 v[8:9], v[8:9], v[10:11]
	v_mul_f64_e32 v[10:11], v[12:13], v[8:9]
	s_delay_alu instid0(VALU_DEP_1) | instskip(NEXT) | instid1(VALU_DEP_1)
	v_fma_f64 v[6:7], -v[6:7], v[10:11], v[12:13]
	v_div_fmas_f64 v[6:7], v[6:7], v[8:9], v[10:11]
	s_delay_alu instid0(VALU_DEP_1) | instskip(NEXT) | instid1(VALU_DEP_1)
	v_div_fixup_f64 v[6:7], v[6:7], v[4:5], v[2:3]
	v_fmac_f64_e32 v[4:5], v[2:3], v[6:7]
	s_delay_alu instid0(VALU_DEP_1) | instskip(SKIP_1) | instid1(VALU_DEP_2)
	v_div_scale_f64 v[2:3], null, v[4:5], v[4:5], 1.0
	v_div_scale_f64 v[12:13], vcc_lo, 1.0, v[4:5], 1.0
	v_rcp_f64_e32 v[8:9], v[2:3]
	v_nop
	s_delay_alu instid0(TRANS32_DEP_1) | instskip(NEXT) | instid1(VALU_DEP_1)
	v_fma_f64 v[10:11], -v[2:3], v[8:9], 1.0
	v_fmac_f64_e32 v[8:9], v[8:9], v[10:11]
	s_delay_alu instid0(VALU_DEP_1) | instskip(NEXT) | instid1(VALU_DEP_1)
	v_fma_f64 v[10:11], -v[2:3], v[8:9], 1.0
	v_fmac_f64_e32 v[8:9], v[8:9], v[10:11]
	s_delay_alu instid0(VALU_DEP_1) | instskip(NEXT) | instid1(VALU_DEP_1)
	v_mul_f64_e32 v[10:11], v[12:13], v[8:9]
	v_fma_f64 v[2:3], -v[2:3], v[10:11], v[12:13]
	s_delay_alu instid0(VALU_DEP_1) | instskip(NEXT) | instid1(VALU_DEP_1)
	v_div_fmas_f64 v[2:3], v[2:3], v[8:9], v[10:11]
	v_div_fixup_f64 v[8:9], v[2:3], v[4:5], 1.0
                                        ; implicit-def: $vgpr2_vgpr3
	s_delay_alu instid0(VALU_DEP_1) | instskip(SKIP_1) | instid1(VALU_DEP_2)
	v_mul_f64_e32 v[6:7], v[6:7], v[8:9]
	v_xor_b32_e32 v9, 0x80000000, v9
	v_xor_b32_e32 v11, 0x80000000, v7
	s_delay_alu instid0(VALU_DEP_3)
	v_mov_b32_e32 v10, v6
.LBB117_15:
	s_and_not1_saveexec_b32 s3, s3
	s_cbranch_execz .LBB117_17
; %bb.16:
	v_div_scale_f64 v[6:7], null, v[2:3], v[2:3], v[4:5]
	v_div_scale_f64 v[12:13], vcc_lo, v[4:5], v[2:3], v[4:5]
	s_delay_alu instid0(VALU_DEP_2) | instskip(SKIP_1) | instid1(TRANS32_DEP_1)
	v_rcp_f64_e32 v[8:9], v[6:7]
	v_nop
	v_fma_f64 v[10:11], -v[6:7], v[8:9], 1.0
	s_delay_alu instid0(VALU_DEP_1) | instskip(NEXT) | instid1(VALU_DEP_1)
	v_fmac_f64_e32 v[8:9], v[8:9], v[10:11]
	v_fma_f64 v[10:11], -v[6:7], v[8:9], 1.0
	s_delay_alu instid0(VALU_DEP_1) | instskip(NEXT) | instid1(VALU_DEP_1)
	v_fmac_f64_e32 v[8:9], v[8:9], v[10:11]
	v_mul_f64_e32 v[10:11], v[12:13], v[8:9]
	s_delay_alu instid0(VALU_DEP_1) | instskip(NEXT) | instid1(VALU_DEP_1)
	v_fma_f64 v[6:7], -v[6:7], v[10:11], v[12:13]
	v_div_fmas_f64 v[6:7], v[6:7], v[8:9], v[10:11]
	s_delay_alu instid0(VALU_DEP_1) | instskip(NEXT) | instid1(VALU_DEP_1)
	v_div_fixup_f64 v[8:9], v[6:7], v[2:3], v[4:5]
	v_fmac_f64_e32 v[2:3], v[4:5], v[8:9]
	s_delay_alu instid0(VALU_DEP_1) | instskip(NEXT) | instid1(VALU_DEP_1)
	v_div_scale_f64 v[4:5], null, v[2:3], v[2:3], 1.0
	v_rcp_f64_e32 v[6:7], v[4:5]
	v_nop
	s_delay_alu instid0(TRANS32_DEP_1) | instskip(NEXT) | instid1(VALU_DEP_1)
	v_fma_f64 v[10:11], -v[4:5], v[6:7], 1.0
	v_fmac_f64_e32 v[6:7], v[6:7], v[10:11]
	s_delay_alu instid0(VALU_DEP_1) | instskip(NEXT) | instid1(VALU_DEP_1)
	v_fma_f64 v[10:11], -v[4:5], v[6:7], 1.0
	v_fmac_f64_e32 v[6:7], v[6:7], v[10:11]
	v_div_scale_f64 v[10:11], vcc_lo, 1.0, v[2:3], 1.0
	s_delay_alu instid0(VALU_DEP_1) | instskip(NEXT) | instid1(VALU_DEP_1)
	v_mul_f64_e32 v[12:13], v[10:11], v[6:7]
	v_fma_f64 v[4:5], -v[4:5], v[12:13], v[10:11]
	s_delay_alu instid0(VALU_DEP_1) | instskip(NEXT) | instid1(VALU_DEP_1)
	v_div_fmas_f64 v[4:5], v[4:5], v[6:7], v[12:13]
	v_div_fixup_f64 v[6:7], v[4:5], v[2:3], 1.0
	s_delay_alu instid0(VALU_DEP_1)
	v_mul_f64_e64 v[8:9], v[8:9], -v[6:7]
	v_xor_b32_e32 v11, 0x80000000, v7
	v_mov_b32_e32 v10, v6
.LBB117_17:
	s_or_b32 exec_lo, exec_lo, s3
	s_clause 0x1
	scratch_store_b128 v15, v[6:9], off
	scratch_load_b128 v[2:5], off, s18
	v_xor_b32_e32 v13, 0x80000000, v9
	v_mov_b32_e32 v12, v8
	s_wait_xcnt 0x1
	v_add_nc_u32_e32 v6, 0x360, v14
	ds_store_b128 v14, v[10:13]
	s_wait_loadcnt 0x0
	ds_store_b128 v14, v[2:5] offset:864
	s_wait_storecnt_dscnt 0x0
	s_barrier_signal -1
	s_barrier_wait -1
	s_wait_xcnt 0x0
	s_and_saveexec_b32 s3, s2
	s_cbranch_execz .LBB117_19
; %bb.18:
	scratch_load_b128 v[2:5], v15, off
	ds_load_b128 v[8:11], v6
	v_mov_b32_e32 v7, 0
	ds_load_b128 v[124:127], v7 offset:16
	s_wait_loadcnt_dscnt 0x1
	v_mul_f64_e32 v[12:13], v[8:9], v[4:5]
	v_mul_f64_e32 v[4:5], v[10:11], v[4:5]
	s_delay_alu instid0(VALU_DEP_2) | instskip(NEXT) | instid1(VALU_DEP_2)
	v_fmac_f64_e32 v[12:13], v[10:11], v[2:3]
	v_fma_f64 v[2:3], v[8:9], v[2:3], -v[4:5]
	s_delay_alu instid0(VALU_DEP_2) | instskip(NEXT) | instid1(VALU_DEP_2)
	v_add_f64_e32 v[8:9], 0, v[12:13]
	v_add_f64_e32 v[2:3], 0, v[2:3]
	s_wait_dscnt 0x0
	s_delay_alu instid0(VALU_DEP_2) | instskip(NEXT) | instid1(VALU_DEP_2)
	v_mul_f64_e32 v[10:11], v[8:9], v[126:127]
	v_mul_f64_e32 v[4:5], v[2:3], v[126:127]
	s_delay_alu instid0(VALU_DEP_2) | instskip(NEXT) | instid1(VALU_DEP_2)
	v_fma_f64 v[2:3], v[2:3], v[124:125], -v[10:11]
	v_fmac_f64_e32 v[4:5], v[8:9], v[124:125]
	scratch_store_b128 off, v[2:5], off offset:16
.LBB117_19:
	s_wait_xcnt 0x0
	s_or_b32 exec_lo, exec_lo, s3
	s_wait_storecnt 0x0
	s_barrier_signal -1
	s_barrier_wait -1
	scratch_load_b128 v[2:5], off, s16
	s_mov_b32 s3, exec_lo
	s_wait_loadcnt 0x0
	ds_store_b128 v6, v[2:5]
	s_wait_dscnt 0x0
	s_barrier_signal -1
	s_barrier_wait -1
	v_cmpx_gt_u32_e32 2, v1
	s_cbranch_execz .LBB117_23
; %bb.20:
	scratch_load_b128 v[2:5], v15, off
	ds_load_b128 v[8:11], v6
	s_wait_loadcnt_dscnt 0x0
	v_mul_f64_e32 v[12:13], v[10:11], v[4:5]
	v_mul_f64_e32 v[124:125], v[8:9], v[4:5]
	s_delay_alu instid0(VALU_DEP_2) | instskip(NEXT) | instid1(VALU_DEP_2)
	v_fma_f64 v[4:5], v[8:9], v[2:3], -v[12:13]
	v_fmac_f64_e32 v[124:125], v[10:11], v[2:3]
	s_delay_alu instid0(VALU_DEP_2) | instskip(NEXT) | instid1(VALU_DEP_2)
	v_add_f64_e32 v[4:5], 0, v[4:5]
	v_add_f64_e32 v[2:3], 0, v[124:125]
	s_and_saveexec_b32 s67, s2
	s_cbranch_execz .LBB117_22
; %bb.21:
	scratch_load_b128 v[8:11], off, off offset:16
	v_mov_b32_e32 v7, 0
	ds_load_b128 v[124:127], v7 offset:880
	s_wait_loadcnt_dscnt 0x0
	v_mul_f64_e32 v[12:13], v[124:125], v[10:11]
	v_mul_f64_e32 v[10:11], v[126:127], v[10:11]
	s_delay_alu instid0(VALU_DEP_2) | instskip(NEXT) | instid1(VALU_DEP_2)
	v_fmac_f64_e32 v[12:13], v[126:127], v[8:9]
	v_fma_f64 v[8:9], v[124:125], v[8:9], -v[10:11]
	s_delay_alu instid0(VALU_DEP_2) | instskip(NEXT) | instid1(VALU_DEP_2)
	v_add_f64_e32 v[2:3], v[2:3], v[12:13]
	v_add_f64_e32 v[4:5], v[4:5], v[8:9]
.LBB117_22:
	s_or_b32 exec_lo, exec_lo, s67
	v_mov_b32_e32 v7, 0
	ds_load_b128 v[8:11], v7 offset:32
	s_wait_dscnt 0x0
	v_mul_f64_e32 v[124:125], v[2:3], v[10:11]
	v_mul_f64_e32 v[12:13], v[4:5], v[10:11]
	s_delay_alu instid0(VALU_DEP_2) | instskip(NEXT) | instid1(VALU_DEP_2)
	v_fma_f64 v[10:11], v[4:5], v[8:9], -v[124:125]
	v_fmac_f64_e32 v[12:13], v[2:3], v[8:9]
	scratch_store_b128 off, v[10:13], off offset:32
.LBB117_23:
	s_wait_xcnt 0x0
	s_or_b32 exec_lo, exec_lo, s3
	s_wait_storecnt 0x0
	s_barrier_signal -1
	s_barrier_wait -1
	scratch_load_b128 v[2:5], off, s14
	v_add_nc_u32_e32 v7, -1, v1
	s_mov_b32 s2, exec_lo
	s_wait_loadcnt 0x0
	ds_store_b128 v6, v[2:5]
	s_wait_dscnt 0x0
	s_barrier_signal -1
	s_barrier_wait -1
	v_cmpx_gt_u32_e32 3, v1
	s_cbranch_execz .LBB117_27
; %bb.24:
	v_dual_mov_b32 v10, v14 :: v_dual_add_nc_u32 v8, -1, v1
	v_mov_b64_e32 v[2:3], 0
	v_mov_b64_e32 v[4:5], 0
	v_add_nc_u32_e32 v9, 0x360, v14
	s_delay_alu instid0(VALU_DEP_4)
	v_or_b32_e32 v10, 8, v10
	s_mov_b32 s3, 0
.LBB117_25:                             ; =>This Inner Loop Header: Depth=1
	scratch_load_b128 v[124:127], v10, off offset:-8
	ds_load_b128 v[128:131], v9
	v_dual_add_nc_u32 v8, 1, v8 :: v_dual_add_nc_u32 v9, 16, v9
	s_wait_xcnt 0x0
	v_add_nc_u32_e32 v10, 16, v10
	s_delay_alu instid0(VALU_DEP_2) | instskip(SKIP_4) | instid1(VALU_DEP_2)
	v_cmp_lt_u32_e32 vcc_lo, 1, v8
	s_or_b32 s3, vcc_lo, s3
	s_wait_loadcnt_dscnt 0x0
	v_mul_f64_e32 v[12:13], v[130:131], v[126:127]
	v_mul_f64_e32 v[126:127], v[128:129], v[126:127]
	v_fma_f64 v[12:13], v[128:129], v[124:125], -v[12:13]
	s_delay_alu instid0(VALU_DEP_2) | instskip(NEXT) | instid1(VALU_DEP_2)
	v_fmac_f64_e32 v[126:127], v[130:131], v[124:125]
	v_add_f64_e32 v[4:5], v[4:5], v[12:13]
	s_delay_alu instid0(VALU_DEP_2)
	v_add_f64_e32 v[2:3], v[2:3], v[126:127]
	s_and_not1_b32 exec_lo, exec_lo, s3
	s_cbranch_execnz .LBB117_25
; %bb.26:
	s_or_b32 exec_lo, exec_lo, s3
	v_mov_b32_e32 v8, 0
	ds_load_b128 v[8:11], v8 offset:48
	s_wait_dscnt 0x0
	v_mul_f64_e32 v[124:125], v[2:3], v[10:11]
	v_mul_f64_e32 v[12:13], v[4:5], v[10:11]
	s_delay_alu instid0(VALU_DEP_2) | instskip(NEXT) | instid1(VALU_DEP_2)
	v_fma_f64 v[10:11], v[4:5], v[8:9], -v[124:125]
	v_fmac_f64_e32 v[12:13], v[2:3], v[8:9]
	scratch_store_b128 off, v[10:13], off offset:48
.LBB117_27:
	s_wait_xcnt 0x0
	s_or_b32 exec_lo, exec_lo, s2
	s_wait_storecnt 0x0
	s_barrier_signal -1
	s_barrier_wait -1
	scratch_load_b128 v[2:5], off, s12
	s_mov_b32 s2, exec_lo
	s_wait_loadcnt 0x0
	ds_store_b128 v6, v[2:5]
	s_wait_dscnt 0x0
	s_barrier_signal -1
	s_barrier_wait -1
	v_cmpx_gt_u32_e32 4, v1
	s_cbranch_execz .LBB117_31
; %bb.28:
	v_dual_mov_b32 v10, v14 :: v_dual_add_nc_u32 v8, -1, v1
	v_mov_b64_e32 v[2:3], 0
	v_mov_b64_e32 v[4:5], 0
	v_add_nc_u32_e32 v9, 0x360, v14
	s_delay_alu instid0(VALU_DEP_4)
	v_or_b32_e32 v10, 8, v10
	s_mov_b32 s3, 0
.LBB117_29:                             ; =>This Inner Loop Header: Depth=1
	scratch_load_b128 v[124:127], v10, off offset:-8
	ds_load_b128 v[128:131], v9
	v_dual_add_nc_u32 v8, 1, v8 :: v_dual_add_nc_u32 v9, 16, v9
	s_wait_xcnt 0x0
	v_add_nc_u32_e32 v10, 16, v10
	s_delay_alu instid0(VALU_DEP_2) | instskip(SKIP_4) | instid1(VALU_DEP_2)
	v_cmp_lt_u32_e32 vcc_lo, 2, v8
	s_or_b32 s3, vcc_lo, s3
	s_wait_loadcnt_dscnt 0x0
	v_mul_f64_e32 v[12:13], v[130:131], v[126:127]
	v_mul_f64_e32 v[126:127], v[128:129], v[126:127]
	v_fma_f64 v[12:13], v[128:129], v[124:125], -v[12:13]
	s_delay_alu instid0(VALU_DEP_2) | instskip(NEXT) | instid1(VALU_DEP_2)
	v_fmac_f64_e32 v[126:127], v[130:131], v[124:125]
	v_add_f64_e32 v[4:5], v[4:5], v[12:13]
	s_delay_alu instid0(VALU_DEP_2)
	v_add_f64_e32 v[2:3], v[2:3], v[126:127]
	s_and_not1_b32 exec_lo, exec_lo, s3
	s_cbranch_execnz .LBB117_29
; %bb.30:
	s_or_b32 exec_lo, exec_lo, s3
	v_mov_b32_e32 v8, 0
	ds_load_b128 v[8:11], v8 offset:64
	s_wait_dscnt 0x0
	v_mul_f64_e32 v[124:125], v[2:3], v[10:11]
	v_mul_f64_e32 v[12:13], v[4:5], v[10:11]
	s_delay_alu instid0(VALU_DEP_2) | instskip(NEXT) | instid1(VALU_DEP_2)
	v_fma_f64 v[10:11], v[4:5], v[8:9], -v[124:125]
	v_fmac_f64_e32 v[12:13], v[2:3], v[8:9]
	scratch_store_b128 off, v[10:13], off offset:64
.LBB117_31:
	s_wait_xcnt 0x0
	s_or_b32 exec_lo, exec_lo, s2
	s_wait_storecnt 0x0
	s_barrier_signal -1
	s_barrier_wait -1
	scratch_load_b128 v[2:5], off, s65
	;; [unrolled: 54-line block ×19, first 2 shown]
	s_mov_b32 s2, exec_lo
	s_wait_loadcnt 0x0
	ds_store_b128 v6, v[2:5]
	s_wait_dscnt 0x0
	s_barrier_signal -1
	s_barrier_wait -1
	v_cmpx_gt_u32_e32 22, v1
	s_cbranch_execz .LBB117_103
; %bb.100:
	v_dual_mov_b32 v10, v14 :: v_dual_add_nc_u32 v8, -1, v1
	v_mov_b64_e32 v[2:3], 0
	v_mov_b64_e32 v[4:5], 0
	v_add_nc_u32_e32 v9, 0x360, v14
	s_delay_alu instid0(VALU_DEP_4)
	v_or_b32_e32 v10, 8, v10
	s_mov_b32 s3, 0
.LBB117_101:                            ; =>This Inner Loop Header: Depth=1
	scratch_load_b128 v[124:127], v10, off offset:-8
	ds_load_b128 v[128:131], v9
	v_dual_add_nc_u32 v8, 1, v8 :: v_dual_add_nc_u32 v9, 16, v9
	s_wait_xcnt 0x0
	v_add_nc_u32_e32 v10, 16, v10
	s_delay_alu instid0(VALU_DEP_2) | instskip(SKIP_4) | instid1(VALU_DEP_2)
	v_cmp_lt_u32_e32 vcc_lo, 20, v8
	s_or_b32 s3, vcc_lo, s3
	s_wait_loadcnt_dscnt 0x0
	v_mul_f64_e32 v[12:13], v[130:131], v[126:127]
	v_mul_f64_e32 v[126:127], v[128:129], v[126:127]
	v_fma_f64 v[12:13], v[128:129], v[124:125], -v[12:13]
	s_delay_alu instid0(VALU_DEP_2) | instskip(NEXT) | instid1(VALU_DEP_2)
	v_fmac_f64_e32 v[126:127], v[130:131], v[124:125]
	v_add_f64_e32 v[4:5], v[4:5], v[12:13]
	s_delay_alu instid0(VALU_DEP_2)
	v_add_f64_e32 v[2:3], v[2:3], v[126:127]
	s_and_not1_b32 exec_lo, exec_lo, s3
	s_cbranch_execnz .LBB117_101
; %bb.102:
	s_or_b32 exec_lo, exec_lo, s3
	v_mov_b32_e32 v8, 0
	ds_load_b128 v[8:11], v8 offset:352
	s_wait_dscnt 0x0
	v_mul_f64_e32 v[124:125], v[2:3], v[10:11]
	v_mul_f64_e32 v[12:13], v[4:5], v[10:11]
	s_delay_alu instid0(VALU_DEP_2) | instskip(NEXT) | instid1(VALU_DEP_2)
	v_fma_f64 v[10:11], v[4:5], v[8:9], -v[124:125]
	v_fmac_f64_e32 v[12:13], v[2:3], v[8:9]
	scratch_store_b128 off, v[10:13], off offset:352
.LBB117_103:
	s_wait_xcnt 0x0
	s_or_b32 exec_lo, exec_lo, s2
	s_wait_storecnt 0x0
	s_barrier_signal -1
	s_barrier_wait -1
	scratch_load_b128 v[2:5], off, s47
	s_mov_b32 s2, exec_lo
	s_wait_loadcnt 0x0
	ds_store_b128 v6, v[2:5]
	s_wait_dscnt 0x0
	s_barrier_signal -1
	s_barrier_wait -1
	v_cmpx_gt_u32_e32 23, v1
	s_cbranch_execz .LBB117_107
; %bb.104:
	v_dual_mov_b32 v10, v14 :: v_dual_add_nc_u32 v8, -1, v1
	v_mov_b64_e32 v[2:3], 0
	v_mov_b64_e32 v[4:5], 0
	v_add_nc_u32_e32 v9, 0x360, v14
	s_delay_alu instid0(VALU_DEP_4)
	v_or_b32_e32 v10, 8, v10
	s_mov_b32 s3, 0
.LBB117_105:                            ; =>This Inner Loop Header: Depth=1
	scratch_load_b128 v[124:127], v10, off offset:-8
	ds_load_b128 v[128:131], v9
	v_dual_add_nc_u32 v8, 1, v8 :: v_dual_add_nc_u32 v9, 16, v9
	s_wait_xcnt 0x0
	v_add_nc_u32_e32 v10, 16, v10
	s_delay_alu instid0(VALU_DEP_2) | instskip(SKIP_4) | instid1(VALU_DEP_2)
	v_cmp_lt_u32_e32 vcc_lo, 21, v8
	s_or_b32 s3, vcc_lo, s3
	s_wait_loadcnt_dscnt 0x0
	v_mul_f64_e32 v[12:13], v[130:131], v[126:127]
	v_mul_f64_e32 v[126:127], v[128:129], v[126:127]
	v_fma_f64 v[12:13], v[128:129], v[124:125], -v[12:13]
	s_delay_alu instid0(VALU_DEP_2) | instskip(NEXT) | instid1(VALU_DEP_2)
	v_fmac_f64_e32 v[126:127], v[130:131], v[124:125]
	v_add_f64_e32 v[4:5], v[4:5], v[12:13]
	s_delay_alu instid0(VALU_DEP_2)
	v_add_f64_e32 v[2:3], v[2:3], v[126:127]
	s_and_not1_b32 exec_lo, exec_lo, s3
	s_cbranch_execnz .LBB117_105
; %bb.106:
	s_or_b32 exec_lo, exec_lo, s3
	v_mov_b32_e32 v8, 0
	ds_load_b128 v[8:11], v8 offset:368
	s_wait_dscnt 0x0
	v_mul_f64_e32 v[124:125], v[2:3], v[10:11]
	v_mul_f64_e32 v[12:13], v[4:5], v[10:11]
	s_delay_alu instid0(VALU_DEP_2) | instskip(NEXT) | instid1(VALU_DEP_2)
	v_fma_f64 v[10:11], v[4:5], v[8:9], -v[124:125]
	v_fmac_f64_e32 v[12:13], v[2:3], v[8:9]
	scratch_store_b128 off, v[10:13], off offset:368
.LBB117_107:
	s_wait_xcnt 0x0
	s_or_b32 exec_lo, exec_lo, s2
	s_wait_storecnt 0x0
	s_barrier_signal -1
	s_barrier_wait -1
	scratch_load_b128 v[2:5], off, s46
	;; [unrolled: 54-line block ×31, first 2 shown]
	s_mov_b32 s2, exec_lo
	s_wait_loadcnt 0x0
	ds_store_b128 v6, v[2:5]
	s_wait_dscnt 0x0
	s_barrier_signal -1
	s_barrier_wait -1
	v_cmpx_ne_u32_e32 53, v1
	s_cbranch_execz .LBB117_227
; %bb.224:
	v_mov_b32_e32 v8, v14
	v_mov_b64_e32 v[2:3], 0
	v_mov_b64_e32 v[4:5], 0
	s_mov_b32 s3, 0
	s_delay_alu instid0(VALU_DEP_3)
	v_or_b32_e32 v8, 8, v8
.LBB117_225:                            ; =>This Inner Loop Header: Depth=1
	scratch_load_b128 v[10:13], v8, off offset:-8
	ds_load_b128 v[124:127], v6
	v_dual_add_nc_u32 v7, 1, v7 :: v_dual_add_nc_u32 v6, 16, v6
	s_wait_xcnt 0x0
	v_add_nc_u32_e32 v8, 16, v8
	s_delay_alu instid0(VALU_DEP_2) | instskip(SKIP_4) | instid1(VALU_DEP_2)
	v_cmp_lt_u32_e32 vcc_lo, 51, v7
	s_or_b32 s3, vcc_lo, s3
	s_wait_loadcnt_dscnt 0x0
	v_mul_f64_e32 v[14:15], v[126:127], v[12:13]
	v_mul_f64_e32 v[12:13], v[124:125], v[12:13]
	v_fma_f64 v[14:15], v[124:125], v[10:11], -v[14:15]
	s_delay_alu instid0(VALU_DEP_2) | instskip(NEXT) | instid1(VALU_DEP_2)
	v_fmac_f64_e32 v[12:13], v[126:127], v[10:11]
	v_add_f64_e32 v[4:5], v[4:5], v[14:15]
	s_delay_alu instid0(VALU_DEP_2)
	v_add_f64_e32 v[2:3], v[2:3], v[12:13]
	s_and_not1_b32 exec_lo, exec_lo, s3
	s_cbranch_execnz .LBB117_225
; %bb.226:
	s_or_b32 exec_lo, exec_lo, s3
	v_mov_b32_e32 v6, 0
	ds_load_b128 v[6:9], v6 offset:848
	s_wait_dscnt 0x0
	v_mul_f64_e32 v[12:13], v[2:3], v[8:9]
	v_mul_f64_e32 v[10:11], v[4:5], v[8:9]
	s_delay_alu instid0(VALU_DEP_2) | instskip(NEXT) | instid1(VALU_DEP_2)
	v_fma_f64 v[8:9], v[4:5], v[6:7], -v[12:13]
	v_fmac_f64_e32 v[10:11], v[2:3], v[6:7]
	scratch_store_b128 off, v[8:11], off offset:848
.LBB117_227:
	s_wait_xcnt 0x0
	s_or_b32 exec_lo, exec_lo, s2
	s_mov_b32 s3, -1
	s_wait_storecnt 0x0
	s_barrier_signal -1
	s_barrier_wait -1
.LBB117_228:
	s_and_b32 vcc_lo, exec_lo, s3
	s_cbranch_vccz .LBB117_230
; %bb.229:
	s_wait_xcnt 0x0
	v_mov_b32_e32 v2, 0
	s_lshl_b64 s[2:3], s[10:11], 2
	s_delay_alu instid0(SALU_CYCLE_1)
	s_add_nc_u64 s[2:3], s[6:7], s[2:3]
	global_load_b32 v2, v2, s[2:3]
	s_wait_loadcnt 0x0
	v_cmp_ne_u32_e32 vcc_lo, 0, v2
	s_cbranch_vccz .LBB117_231
.LBB117_230:
	s_sendmsg sendmsg(MSG_DEALLOC_VGPRS)
	s_endpgm
.LBB117_231:
	v_lshl_add_u32 v124, v1, 4, 0x360
	s_wait_xcnt 0x0
	s_mov_b32 s2, exec_lo
	v_cmpx_eq_u32_e32 53, v1
	s_cbranch_execz .LBB117_233
; %bb.232:
	scratch_load_b128 v[2:5], off, s15
	v_mov_b32_e32 v6, 0
	s_delay_alu instid0(VALU_DEP_1)
	v_dual_mov_b32 v7, v6 :: v_dual_mov_b32 v8, v6
	v_mov_b32_e32 v9, v6
	scratch_store_b128 off, v[6:9], off offset:832
	s_wait_loadcnt 0x0
	ds_store_b128 v124, v[2:5]
.LBB117_233:
	s_wait_xcnt 0x0
	s_or_b32 exec_lo, exec_lo, s2
	s_wait_storecnt_dscnt 0x0
	s_barrier_signal -1
	s_barrier_wait -1
	s_clause 0x1
	scratch_load_b128 v[4:7], off, off offset:848
	scratch_load_b128 v[8:11], off, off offset:832
	v_mov_b32_e32 v2, 0
	s_mov_b32 s2, exec_lo
	ds_load_b128 v[12:15], v2 offset:1712
	s_wait_loadcnt_dscnt 0x100
	v_mul_f64_e32 v[126:127], v[14:15], v[6:7]
	v_mul_f64_e32 v[6:7], v[12:13], v[6:7]
	s_delay_alu instid0(VALU_DEP_2) | instskip(NEXT) | instid1(VALU_DEP_2)
	v_fma_f64 v[12:13], v[12:13], v[4:5], -v[126:127]
	v_fmac_f64_e32 v[6:7], v[14:15], v[4:5]
	s_delay_alu instid0(VALU_DEP_2) | instskip(NEXT) | instid1(VALU_DEP_2)
	v_add_f64_e32 v[4:5], 0, v[12:13]
	v_add_f64_e32 v[6:7], 0, v[6:7]
	s_wait_loadcnt 0x0
	s_delay_alu instid0(VALU_DEP_2) | instskip(NEXT) | instid1(VALU_DEP_2)
	v_add_f64_e64 v[4:5], v[8:9], -v[4:5]
	v_add_f64_e64 v[6:7], v[10:11], -v[6:7]
	scratch_store_b128 off, v[4:7], off offset:832
	s_wait_xcnt 0x0
	v_cmpx_lt_u32_e32 51, v1
	s_cbranch_execz .LBB117_235
; %bb.234:
	scratch_load_b128 v[6:9], off, s17
	v_dual_mov_b32 v3, v2 :: v_dual_mov_b32 v4, v2
	v_mov_b32_e32 v5, v2
	scratch_store_b128 off, v[2:5], off offset:816
	s_wait_loadcnt 0x0
	ds_store_b128 v124, v[6:9]
.LBB117_235:
	s_wait_xcnt 0x0
	s_or_b32 exec_lo, exec_lo, s2
	s_wait_storecnt_dscnt 0x0
	s_barrier_signal -1
	s_barrier_wait -1
	s_clause 0x2
	scratch_load_b128 v[4:7], off, off offset:832
	scratch_load_b128 v[8:11], off, off offset:848
	;; [unrolled: 1-line block ×3, first 2 shown]
	ds_load_b128 v[126:129], v2 offset:1696
	ds_load_b128 v[130:133], v2 offset:1712
	s_mov_b32 s2, exec_lo
	s_wait_loadcnt_dscnt 0x201
	v_mul_f64_e32 v[2:3], v[128:129], v[6:7]
	v_mul_f64_e32 v[6:7], v[126:127], v[6:7]
	s_wait_loadcnt_dscnt 0x100
	v_mul_f64_e32 v[134:135], v[130:131], v[10:11]
	v_mul_f64_e32 v[10:11], v[132:133], v[10:11]
	s_delay_alu instid0(VALU_DEP_4) | instskip(NEXT) | instid1(VALU_DEP_4)
	v_fma_f64 v[2:3], v[126:127], v[4:5], -v[2:3]
	v_fmac_f64_e32 v[6:7], v[128:129], v[4:5]
	s_delay_alu instid0(VALU_DEP_4) | instskip(NEXT) | instid1(VALU_DEP_4)
	v_fmac_f64_e32 v[134:135], v[132:133], v[8:9]
	v_fma_f64 v[4:5], v[130:131], v[8:9], -v[10:11]
	s_delay_alu instid0(VALU_DEP_4) | instskip(NEXT) | instid1(VALU_DEP_4)
	v_add_f64_e32 v[2:3], 0, v[2:3]
	v_add_f64_e32 v[6:7], 0, v[6:7]
	s_delay_alu instid0(VALU_DEP_2) | instskip(NEXT) | instid1(VALU_DEP_2)
	v_add_f64_e32 v[2:3], v[2:3], v[4:5]
	v_add_f64_e32 v[4:5], v[6:7], v[134:135]
	s_wait_loadcnt 0x0
	s_delay_alu instid0(VALU_DEP_2) | instskip(NEXT) | instid1(VALU_DEP_2)
	v_add_f64_e64 v[2:3], v[12:13], -v[2:3]
	v_add_f64_e64 v[4:5], v[14:15], -v[4:5]
	scratch_store_b128 off, v[2:5], off offset:816
	s_wait_xcnt 0x0
	v_cmpx_lt_u32_e32 50, v1
	s_cbranch_execz .LBB117_237
; %bb.236:
	scratch_load_b128 v[2:5], off, s19
	v_mov_b32_e32 v6, 0
	s_delay_alu instid0(VALU_DEP_1)
	v_dual_mov_b32 v7, v6 :: v_dual_mov_b32 v8, v6
	v_mov_b32_e32 v9, v6
	scratch_store_b128 off, v[6:9], off offset:800
	s_wait_loadcnt 0x0
	ds_store_b128 v124, v[2:5]
.LBB117_237:
	s_wait_xcnt 0x0
	s_or_b32 exec_lo, exec_lo, s2
	s_wait_storecnt_dscnt 0x0
	s_barrier_signal -1
	s_barrier_wait -1
	s_clause 0x3
	scratch_load_b128 v[4:7], off, off offset:816
	scratch_load_b128 v[8:11], off, off offset:832
	;; [unrolled: 1-line block ×4, first 2 shown]
	v_mov_b32_e32 v2, 0
	ds_load_b128 v[130:133], v2 offset:1680
	ds_load_b128 v[134:137], v2 offset:1696
	s_mov_b32 s2, exec_lo
	s_wait_loadcnt_dscnt 0x301
	v_mul_f64_e32 v[138:139], v[132:133], v[6:7]
	v_mul_f64_e32 v[140:141], v[130:131], v[6:7]
	s_wait_loadcnt_dscnt 0x200
	v_mul_f64_e32 v[142:143], v[134:135], v[10:11]
	v_mul_f64_e32 v[10:11], v[136:137], v[10:11]
	s_delay_alu instid0(VALU_DEP_4) | instskip(NEXT) | instid1(VALU_DEP_4)
	v_fma_f64 v[130:131], v[130:131], v[4:5], -v[138:139]
	v_fmac_f64_e32 v[140:141], v[132:133], v[4:5]
	ds_load_b128 v[4:7], v2 offset:1712
	v_fmac_f64_e32 v[142:143], v[136:137], v[8:9]
	v_fma_f64 v[8:9], v[134:135], v[8:9], -v[10:11]
	s_wait_loadcnt_dscnt 0x100
	v_mul_f64_e32 v[132:133], v[4:5], v[14:15]
	v_mul_f64_e32 v[14:15], v[6:7], v[14:15]
	v_add_f64_e32 v[10:11], 0, v[130:131]
	v_add_f64_e32 v[130:131], 0, v[140:141]
	s_delay_alu instid0(VALU_DEP_4) | instskip(NEXT) | instid1(VALU_DEP_4)
	v_fmac_f64_e32 v[132:133], v[6:7], v[12:13]
	v_fma_f64 v[4:5], v[4:5], v[12:13], -v[14:15]
	s_delay_alu instid0(VALU_DEP_4) | instskip(NEXT) | instid1(VALU_DEP_4)
	v_add_f64_e32 v[6:7], v[10:11], v[8:9]
	v_add_f64_e32 v[8:9], v[130:131], v[142:143]
	s_delay_alu instid0(VALU_DEP_2) | instskip(NEXT) | instid1(VALU_DEP_2)
	v_add_f64_e32 v[4:5], v[6:7], v[4:5]
	v_add_f64_e32 v[6:7], v[8:9], v[132:133]
	s_wait_loadcnt 0x0
	s_delay_alu instid0(VALU_DEP_2) | instskip(NEXT) | instid1(VALU_DEP_2)
	v_add_f64_e64 v[4:5], v[126:127], -v[4:5]
	v_add_f64_e64 v[6:7], v[128:129], -v[6:7]
	scratch_store_b128 off, v[4:7], off offset:800
	s_wait_xcnt 0x0
	v_cmpx_lt_u32_e32 49, v1
	s_cbranch_execz .LBB117_239
; %bb.238:
	scratch_load_b128 v[6:9], off, s20
	v_dual_mov_b32 v3, v2 :: v_dual_mov_b32 v4, v2
	v_mov_b32_e32 v5, v2
	scratch_store_b128 off, v[2:5], off offset:784
	s_wait_loadcnt 0x0
	ds_store_b128 v124, v[6:9]
.LBB117_239:
	s_wait_xcnt 0x0
	s_or_b32 exec_lo, exec_lo, s2
	s_wait_storecnt_dscnt 0x0
	s_barrier_signal -1
	s_barrier_wait -1
	s_clause 0x4
	scratch_load_b128 v[4:7], off, off offset:800
	scratch_load_b128 v[8:11], off, off offset:816
	;; [unrolled: 1-line block ×5, first 2 shown]
	ds_load_b128 v[134:137], v2 offset:1664
	ds_load_b128 v[138:141], v2 offset:1680
	s_mov_b32 s2, exec_lo
	s_wait_loadcnt_dscnt 0x401
	v_mul_f64_e32 v[142:143], v[136:137], v[6:7]
	v_mul_f64_e32 v[144:145], v[134:135], v[6:7]
	s_wait_loadcnt_dscnt 0x300
	v_mul_f64_e32 v[146:147], v[138:139], v[10:11]
	v_mul_f64_e32 v[10:11], v[140:141], v[10:11]
	s_delay_alu instid0(VALU_DEP_4) | instskip(NEXT) | instid1(VALU_DEP_4)
	v_fma_f64 v[142:143], v[134:135], v[4:5], -v[142:143]
	v_fmac_f64_e32 v[144:145], v[136:137], v[4:5]
	ds_load_b128 v[4:7], v2 offset:1696
	ds_load_b128 v[134:137], v2 offset:1712
	v_fmac_f64_e32 v[146:147], v[140:141], v[8:9]
	v_fma_f64 v[8:9], v[138:139], v[8:9], -v[10:11]
	s_wait_loadcnt_dscnt 0x201
	v_mul_f64_e32 v[2:3], v[4:5], v[14:15]
	v_mul_f64_e32 v[14:15], v[6:7], v[14:15]
	s_wait_loadcnt_dscnt 0x100
	v_mul_f64_e32 v[140:141], v[134:135], v[128:129]
	v_mul_f64_e32 v[128:129], v[136:137], v[128:129]
	v_add_f64_e32 v[10:11], 0, v[142:143]
	v_add_f64_e32 v[138:139], 0, v[144:145]
	v_fmac_f64_e32 v[2:3], v[6:7], v[12:13]
	v_fma_f64 v[4:5], v[4:5], v[12:13], -v[14:15]
	v_fmac_f64_e32 v[140:141], v[136:137], v[126:127]
	v_add_f64_e32 v[6:7], v[10:11], v[8:9]
	v_add_f64_e32 v[8:9], v[138:139], v[146:147]
	v_fma_f64 v[10:11], v[134:135], v[126:127], -v[128:129]
	s_delay_alu instid0(VALU_DEP_3) | instskip(NEXT) | instid1(VALU_DEP_3)
	v_add_f64_e32 v[4:5], v[6:7], v[4:5]
	v_add_f64_e32 v[2:3], v[8:9], v[2:3]
	s_delay_alu instid0(VALU_DEP_2) | instskip(NEXT) | instid1(VALU_DEP_2)
	v_add_f64_e32 v[4:5], v[4:5], v[10:11]
	v_add_f64_e32 v[6:7], v[2:3], v[140:141]
	s_wait_loadcnt 0x0
	s_delay_alu instid0(VALU_DEP_2) | instskip(NEXT) | instid1(VALU_DEP_2)
	v_add_f64_e64 v[2:3], v[130:131], -v[4:5]
	v_add_f64_e64 v[4:5], v[132:133], -v[6:7]
	scratch_store_b128 off, v[2:5], off offset:784
	s_wait_xcnt 0x0
	v_cmpx_lt_u32_e32 48, v1
	s_cbranch_execz .LBB117_241
; %bb.240:
	scratch_load_b128 v[2:5], off, s21
	v_mov_b32_e32 v6, 0
	s_delay_alu instid0(VALU_DEP_1)
	v_dual_mov_b32 v7, v6 :: v_dual_mov_b32 v8, v6
	v_mov_b32_e32 v9, v6
	scratch_store_b128 off, v[6:9], off offset:768
	s_wait_loadcnt 0x0
	ds_store_b128 v124, v[2:5]
.LBB117_241:
	s_wait_xcnt 0x0
	s_or_b32 exec_lo, exec_lo, s2
	s_wait_storecnt_dscnt 0x0
	s_barrier_signal -1
	s_barrier_wait -1
	s_clause 0x5
	scratch_load_b128 v[4:7], off, off offset:784
	scratch_load_b128 v[8:11], off, off offset:800
	;; [unrolled: 1-line block ×6, first 2 shown]
	v_mov_b32_e32 v2, 0
	ds_load_b128 v[138:141], v2 offset:1648
	ds_load_b128 v[142:145], v2 offset:1664
	s_mov_b32 s2, exec_lo
	s_wait_loadcnt_dscnt 0x501
	v_mul_f64_e32 v[146:147], v[140:141], v[6:7]
	v_mul_f64_e32 v[148:149], v[138:139], v[6:7]
	s_wait_loadcnt_dscnt 0x400
	v_mul_f64_e32 v[150:151], v[142:143], v[10:11]
	v_mul_f64_e32 v[10:11], v[144:145], v[10:11]
	s_delay_alu instid0(VALU_DEP_4) | instskip(NEXT) | instid1(VALU_DEP_4)
	v_fma_f64 v[146:147], v[138:139], v[4:5], -v[146:147]
	v_fmac_f64_e32 v[148:149], v[140:141], v[4:5]
	ds_load_b128 v[4:7], v2 offset:1680
	ds_load_b128 v[138:141], v2 offset:1696
	v_fmac_f64_e32 v[150:151], v[144:145], v[8:9]
	v_fma_f64 v[8:9], v[142:143], v[8:9], -v[10:11]
	s_wait_loadcnt_dscnt 0x301
	v_mul_f64_e32 v[152:153], v[4:5], v[14:15]
	v_mul_f64_e32 v[14:15], v[6:7], v[14:15]
	s_wait_loadcnt_dscnt 0x200
	v_mul_f64_e32 v[144:145], v[138:139], v[128:129]
	v_mul_f64_e32 v[128:129], v[140:141], v[128:129]
	v_add_f64_e32 v[10:11], 0, v[146:147]
	v_add_f64_e32 v[142:143], 0, v[148:149]
	v_fmac_f64_e32 v[152:153], v[6:7], v[12:13]
	v_fma_f64 v[12:13], v[4:5], v[12:13], -v[14:15]
	ds_load_b128 v[4:7], v2 offset:1712
	v_fmac_f64_e32 v[144:145], v[140:141], v[126:127]
	v_fma_f64 v[126:127], v[138:139], v[126:127], -v[128:129]
	v_add_f64_e32 v[8:9], v[10:11], v[8:9]
	v_add_f64_e32 v[10:11], v[142:143], v[150:151]
	s_wait_loadcnt_dscnt 0x100
	v_mul_f64_e32 v[14:15], v[4:5], v[132:133]
	v_mul_f64_e32 v[132:133], v[6:7], v[132:133]
	s_delay_alu instid0(VALU_DEP_4) | instskip(NEXT) | instid1(VALU_DEP_4)
	v_add_f64_e32 v[8:9], v[8:9], v[12:13]
	v_add_f64_e32 v[10:11], v[10:11], v[152:153]
	s_delay_alu instid0(VALU_DEP_4) | instskip(NEXT) | instid1(VALU_DEP_4)
	v_fmac_f64_e32 v[14:15], v[6:7], v[130:131]
	v_fma_f64 v[4:5], v[4:5], v[130:131], -v[132:133]
	s_delay_alu instid0(VALU_DEP_4) | instskip(NEXT) | instid1(VALU_DEP_4)
	v_add_f64_e32 v[6:7], v[8:9], v[126:127]
	v_add_f64_e32 v[8:9], v[10:11], v[144:145]
	s_delay_alu instid0(VALU_DEP_2) | instskip(NEXT) | instid1(VALU_DEP_2)
	v_add_f64_e32 v[4:5], v[6:7], v[4:5]
	v_add_f64_e32 v[6:7], v[8:9], v[14:15]
	s_wait_loadcnt 0x0
	s_delay_alu instid0(VALU_DEP_2) | instskip(NEXT) | instid1(VALU_DEP_2)
	v_add_f64_e64 v[4:5], v[134:135], -v[4:5]
	v_add_f64_e64 v[6:7], v[136:137], -v[6:7]
	scratch_store_b128 off, v[4:7], off offset:768
	s_wait_xcnt 0x0
	v_cmpx_lt_u32_e32 47, v1
	s_cbranch_execz .LBB117_243
; %bb.242:
	scratch_load_b128 v[6:9], off, s22
	v_dual_mov_b32 v3, v2 :: v_dual_mov_b32 v4, v2
	v_mov_b32_e32 v5, v2
	scratch_store_b128 off, v[2:5], off offset:752
	s_wait_loadcnt 0x0
	ds_store_b128 v124, v[6:9]
.LBB117_243:
	s_wait_xcnt 0x0
	s_or_b32 exec_lo, exec_lo, s2
	s_wait_storecnt_dscnt 0x0
	s_barrier_signal -1
	s_barrier_wait -1
	s_clause 0x6
	scratch_load_b128 v[4:7], off, off offset:768
	scratch_load_b128 v[8:11], off, off offset:784
	;; [unrolled: 1-line block ×7, first 2 shown]
	ds_load_b128 v[142:145], v2 offset:1632
	ds_load_b128 v[146:149], v2 offset:1648
	s_mov_b32 s2, exec_lo
	s_wait_loadcnt_dscnt 0x601
	v_mul_f64_e32 v[150:151], v[144:145], v[6:7]
	v_mul_f64_e32 v[152:153], v[142:143], v[6:7]
	s_wait_loadcnt_dscnt 0x500
	v_mul_f64_e32 v[154:155], v[146:147], v[10:11]
	v_mul_f64_e32 v[10:11], v[148:149], v[10:11]
	s_delay_alu instid0(VALU_DEP_4) | instskip(NEXT) | instid1(VALU_DEP_4)
	v_fma_f64 v[150:151], v[142:143], v[4:5], -v[150:151]
	v_fmac_f64_e32 v[152:153], v[144:145], v[4:5]
	ds_load_b128 v[4:7], v2 offset:1664
	ds_load_b128 v[142:145], v2 offset:1680
	v_fmac_f64_e32 v[154:155], v[148:149], v[8:9]
	v_fma_f64 v[8:9], v[146:147], v[8:9], -v[10:11]
	s_wait_loadcnt_dscnt 0x401
	v_mul_f64_e32 v[156:157], v[4:5], v[14:15]
	v_mul_f64_e32 v[14:15], v[6:7], v[14:15]
	s_wait_loadcnt_dscnt 0x300
	v_mul_f64_e32 v[148:149], v[142:143], v[128:129]
	v_mul_f64_e32 v[128:129], v[144:145], v[128:129]
	v_add_f64_e32 v[10:11], 0, v[150:151]
	v_add_f64_e32 v[146:147], 0, v[152:153]
	v_fmac_f64_e32 v[156:157], v[6:7], v[12:13]
	v_fma_f64 v[12:13], v[4:5], v[12:13], -v[14:15]
	v_fmac_f64_e32 v[148:149], v[144:145], v[126:127]
	v_fma_f64 v[126:127], v[142:143], v[126:127], -v[128:129]
	v_add_f64_e32 v[14:15], v[10:11], v[8:9]
	v_add_f64_e32 v[146:147], v[146:147], v[154:155]
	ds_load_b128 v[4:7], v2 offset:1696
	ds_load_b128 v[8:11], v2 offset:1712
	s_wait_loadcnt_dscnt 0x201
	v_mul_f64_e32 v[2:3], v[4:5], v[132:133]
	v_mul_f64_e32 v[132:133], v[6:7], v[132:133]
	s_wait_loadcnt_dscnt 0x100
	v_mul_f64_e32 v[128:129], v[8:9], v[136:137]
	v_mul_f64_e32 v[136:137], v[10:11], v[136:137]
	v_add_f64_e32 v[12:13], v[14:15], v[12:13]
	v_add_f64_e32 v[14:15], v[146:147], v[156:157]
	v_fmac_f64_e32 v[2:3], v[6:7], v[130:131]
	v_fma_f64 v[4:5], v[4:5], v[130:131], -v[132:133]
	v_fmac_f64_e32 v[128:129], v[10:11], v[134:135]
	v_fma_f64 v[8:9], v[8:9], v[134:135], -v[136:137]
	v_add_f64_e32 v[6:7], v[12:13], v[126:127]
	v_add_f64_e32 v[12:13], v[14:15], v[148:149]
	s_delay_alu instid0(VALU_DEP_2) | instskip(NEXT) | instid1(VALU_DEP_2)
	v_add_f64_e32 v[4:5], v[6:7], v[4:5]
	v_add_f64_e32 v[2:3], v[12:13], v[2:3]
	s_delay_alu instid0(VALU_DEP_2) | instskip(NEXT) | instid1(VALU_DEP_2)
	v_add_f64_e32 v[4:5], v[4:5], v[8:9]
	v_add_f64_e32 v[6:7], v[2:3], v[128:129]
	s_wait_loadcnt 0x0
	s_delay_alu instid0(VALU_DEP_2) | instskip(NEXT) | instid1(VALU_DEP_2)
	v_add_f64_e64 v[2:3], v[138:139], -v[4:5]
	v_add_f64_e64 v[4:5], v[140:141], -v[6:7]
	scratch_store_b128 off, v[2:5], off offset:752
	s_wait_xcnt 0x0
	v_cmpx_lt_u32_e32 46, v1
	s_cbranch_execz .LBB117_245
; %bb.244:
	scratch_load_b128 v[2:5], off, s23
	v_mov_b32_e32 v6, 0
	s_delay_alu instid0(VALU_DEP_1)
	v_dual_mov_b32 v7, v6 :: v_dual_mov_b32 v8, v6
	v_mov_b32_e32 v9, v6
	scratch_store_b128 off, v[6:9], off offset:736
	s_wait_loadcnt 0x0
	ds_store_b128 v124, v[2:5]
.LBB117_245:
	s_wait_xcnt 0x0
	s_or_b32 exec_lo, exec_lo, s2
	s_wait_storecnt_dscnt 0x0
	s_barrier_signal -1
	s_barrier_wait -1
	s_clause 0x7
	scratch_load_b128 v[4:7], off, off offset:752
	scratch_load_b128 v[8:11], off, off offset:768
	;; [unrolled: 1-line block ×8, first 2 shown]
	v_mov_b32_e32 v2, 0
	ds_load_b128 v[146:149], v2 offset:1616
	ds_load_b128 v[150:153], v2 offset:1632
	s_mov_b32 s2, exec_lo
	s_wait_loadcnt_dscnt 0x701
	v_mul_f64_e32 v[154:155], v[148:149], v[6:7]
	v_mul_f64_e32 v[156:157], v[146:147], v[6:7]
	s_wait_loadcnt_dscnt 0x600
	v_mul_f64_e32 v[158:159], v[150:151], v[10:11]
	v_mul_f64_e32 v[10:11], v[152:153], v[10:11]
	s_delay_alu instid0(VALU_DEP_4) | instskip(NEXT) | instid1(VALU_DEP_4)
	v_fma_f64 v[154:155], v[146:147], v[4:5], -v[154:155]
	v_fmac_f64_e32 v[156:157], v[148:149], v[4:5]
	ds_load_b128 v[4:7], v2 offset:1648
	ds_load_b128 v[146:149], v2 offset:1664
	v_fmac_f64_e32 v[158:159], v[152:153], v[8:9]
	v_fma_f64 v[8:9], v[150:151], v[8:9], -v[10:11]
	s_wait_loadcnt_dscnt 0x501
	v_mul_f64_e32 v[160:161], v[4:5], v[14:15]
	v_mul_f64_e32 v[14:15], v[6:7], v[14:15]
	s_wait_loadcnt_dscnt 0x400
	v_mul_f64_e32 v[152:153], v[146:147], v[128:129]
	v_mul_f64_e32 v[128:129], v[148:149], v[128:129]
	v_add_f64_e32 v[10:11], 0, v[154:155]
	v_add_f64_e32 v[150:151], 0, v[156:157]
	v_fmac_f64_e32 v[160:161], v[6:7], v[12:13]
	v_fma_f64 v[12:13], v[4:5], v[12:13], -v[14:15]
	v_fmac_f64_e32 v[152:153], v[148:149], v[126:127]
	v_fma_f64 v[126:127], v[146:147], v[126:127], -v[128:129]
	v_add_f64_e32 v[14:15], v[10:11], v[8:9]
	v_add_f64_e32 v[150:151], v[150:151], v[158:159]
	ds_load_b128 v[4:7], v2 offset:1680
	ds_load_b128 v[8:11], v2 offset:1696
	s_wait_loadcnt_dscnt 0x301
	v_mul_f64_e32 v[154:155], v[4:5], v[132:133]
	v_mul_f64_e32 v[132:133], v[6:7], v[132:133]
	s_wait_loadcnt_dscnt 0x200
	v_mul_f64_e32 v[128:129], v[8:9], v[136:137]
	v_mul_f64_e32 v[136:137], v[10:11], v[136:137]
	v_add_f64_e32 v[12:13], v[14:15], v[12:13]
	v_add_f64_e32 v[14:15], v[150:151], v[160:161]
	v_fmac_f64_e32 v[154:155], v[6:7], v[130:131]
	v_fma_f64 v[130:131], v[4:5], v[130:131], -v[132:133]
	ds_load_b128 v[4:7], v2 offset:1712
	v_fmac_f64_e32 v[128:129], v[10:11], v[134:135]
	v_fma_f64 v[8:9], v[8:9], v[134:135], -v[136:137]
	v_add_f64_e32 v[12:13], v[12:13], v[126:127]
	v_add_f64_e32 v[14:15], v[14:15], v[152:153]
	s_wait_loadcnt_dscnt 0x100
	v_mul_f64_e32 v[126:127], v[4:5], v[140:141]
	v_mul_f64_e32 v[132:133], v[6:7], v[140:141]
	s_delay_alu instid0(VALU_DEP_4) | instskip(NEXT) | instid1(VALU_DEP_4)
	v_add_f64_e32 v[10:11], v[12:13], v[130:131]
	v_add_f64_e32 v[12:13], v[14:15], v[154:155]
	s_delay_alu instid0(VALU_DEP_4) | instskip(NEXT) | instid1(VALU_DEP_4)
	v_fmac_f64_e32 v[126:127], v[6:7], v[138:139]
	v_fma_f64 v[4:5], v[4:5], v[138:139], -v[132:133]
	s_delay_alu instid0(VALU_DEP_4) | instskip(NEXT) | instid1(VALU_DEP_4)
	v_add_f64_e32 v[6:7], v[10:11], v[8:9]
	v_add_f64_e32 v[8:9], v[12:13], v[128:129]
	s_delay_alu instid0(VALU_DEP_2) | instskip(NEXT) | instid1(VALU_DEP_2)
	v_add_f64_e32 v[4:5], v[6:7], v[4:5]
	v_add_f64_e32 v[6:7], v[8:9], v[126:127]
	s_wait_loadcnt 0x0
	s_delay_alu instid0(VALU_DEP_2) | instskip(NEXT) | instid1(VALU_DEP_2)
	v_add_f64_e64 v[4:5], v[142:143], -v[4:5]
	v_add_f64_e64 v[6:7], v[144:145], -v[6:7]
	scratch_store_b128 off, v[4:7], off offset:736
	s_wait_xcnt 0x0
	v_cmpx_lt_u32_e32 45, v1
	s_cbranch_execz .LBB117_247
; %bb.246:
	scratch_load_b128 v[6:9], off, s24
	v_dual_mov_b32 v3, v2 :: v_dual_mov_b32 v4, v2
	v_mov_b32_e32 v5, v2
	scratch_store_b128 off, v[2:5], off offset:720
	s_wait_loadcnt 0x0
	ds_store_b128 v124, v[6:9]
.LBB117_247:
	s_wait_xcnt 0x0
	s_or_b32 exec_lo, exec_lo, s2
	s_wait_storecnt_dscnt 0x0
	s_barrier_signal -1
	s_barrier_wait -1
	s_clause 0x7
	scratch_load_b128 v[4:7], off, off offset:736
	scratch_load_b128 v[8:11], off, off offset:752
	;; [unrolled: 1-line block ×8, first 2 shown]
	ds_load_b128 v[146:149], v2 offset:1600
	ds_load_b128 v[150:153], v2 offset:1616
	scratch_load_b128 v[154:157], off, off offset:720
	s_mov_b32 s2, exec_lo
	s_wait_loadcnt_dscnt 0x801
	v_mul_f64_e32 v[158:159], v[148:149], v[6:7]
	v_mul_f64_e32 v[160:161], v[146:147], v[6:7]
	s_wait_loadcnt_dscnt 0x700
	v_mul_f64_e32 v[162:163], v[150:151], v[10:11]
	v_mul_f64_e32 v[10:11], v[152:153], v[10:11]
	s_delay_alu instid0(VALU_DEP_4) | instskip(NEXT) | instid1(VALU_DEP_4)
	v_fma_f64 v[158:159], v[146:147], v[4:5], -v[158:159]
	v_fmac_f64_e32 v[160:161], v[148:149], v[4:5]
	ds_load_b128 v[4:7], v2 offset:1632
	ds_load_b128 v[146:149], v2 offset:1648
	v_fmac_f64_e32 v[162:163], v[152:153], v[8:9]
	v_fma_f64 v[8:9], v[150:151], v[8:9], -v[10:11]
	s_wait_loadcnt_dscnt 0x601
	v_mul_f64_e32 v[164:165], v[4:5], v[14:15]
	v_mul_f64_e32 v[14:15], v[6:7], v[14:15]
	s_wait_loadcnt_dscnt 0x500
	v_mul_f64_e32 v[152:153], v[146:147], v[128:129]
	v_mul_f64_e32 v[128:129], v[148:149], v[128:129]
	v_add_f64_e32 v[10:11], 0, v[158:159]
	v_add_f64_e32 v[150:151], 0, v[160:161]
	v_fmac_f64_e32 v[164:165], v[6:7], v[12:13]
	v_fma_f64 v[12:13], v[4:5], v[12:13], -v[14:15]
	v_fmac_f64_e32 v[152:153], v[148:149], v[126:127]
	v_fma_f64 v[126:127], v[146:147], v[126:127], -v[128:129]
	v_add_f64_e32 v[14:15], v[10:11], v[8:9]
	v_add_f64_e32 v[150:151], v[150:151], v[162:163]
	ds_load_b128 v[4:7], v2 offset:1664
	ds_load_b128 v[8:11], v2 offset:1680
	s_wait_loadcnt_dscnt 0x401
	v_mul_f64_e32 v[158:159], v[4:5], v[132:133]
	v_mul_f64_e32 v[132:133], v[6:7], v[132:133]
	s_wait_loadcnt_dscnt 0x300
	v_mul_f64_e32 v[128:129], v[8:9], v[136:137]
	v_mul_f64_e32 v[136:137], v[10:11], v[136:137]
	v_add_f64_e32 v[12:13], v[14:15], v[12:13]
	v_add_f64_e32 v[14:15], v[150:151], v[164:165]
	v_fmac_f64_e32 v[158:159], v[6:7], v[130:131]
	v_fma_f64 v[130:131], v[4:5], v[130:131], -v[132:133]
	v_fmac_f64_e32 v[128:129], v[10:11], v[134:135]
	v_fma_f64 v[8:9], v[8:9], v[134:135], -v[136:137]
	v_add_f64_e32 v[126:127], v[12:13], v[126:127]
	v_add_f64_e32 v[132:133], v[14:15], v[152:153]
	ds_load_b128 v[4:7], v2 offset:1696
	ds_load_b128 v[12:15], v2 offset:1712
	s_wait_loadcnt_dscnt 0x201
	v_mul_f64_e32 v[2:3], v[4:5], v[140:141]
	v_mul_f64_e32 v[140:141], v[6:7], v[140:141]
	v_add_f64_e32 v[10:11], v[126:127], v[130:131]
	v_add_f64_e32 v[126:127], v[132:133], v[158:159]
	s_wait_loadcnt_dscnt 0x100
	v_mul_f64_e32 v[130:131], v[12:13], v[144:145]
	v_mul_f64_e32 v[132:133], v[14:15], v[144:145]
	v_fmac_f64_e32 v[2:3], v[6:7], v[138:139]
	v_fma_f64 v[4:5], v[4:5], v[138:139], -v[140:141]
	v_add_f64_e32 v[6:7], v[10:11], v[8:9]
	v_add_f64_e32 v[8:9], v[126:127], v[128:129]
	v_fmac_f64_e32 v[130:131], v[14:15], v[142:143]
	v_fma_f64 v[10:11], v[12:13], v[142:143], -v[132:133]
	s_delay_alu instid0(VALU_DEP_4) | instskip(NEXT) | instid1(VALU_DEP_4)
	v_add_f64_e32 v[4:5], v[6:7], v[4:5]
	v_add_f64_e32 v[2:3], v[8:9], v[2:3]
	s_delay_alu instid0(VALU_DEP_2) | instskip(NEXT) | instid1(VALU_DEP_2)
	v_add_f64_e32 v[4:5], v[4:5], v[10:11]
	v_add_f64_e32 v[6:7], v[2:3], v[130:131]
	s_wait_loadcnt 0x0
	s_delay_alu instid0(VALU_DEP_2) | instskip(NEXT) | instid1(VALU_DEP_2)
	v_add_f64_e64 v[2:3], v[154:155], -v[4:5]
	v_add_f64_e64 v[4:5], v[156:157], -v[6:7]
	scratch_store_b128 off, v[2:5], off offset:720
	s_wait_xcnt 0x0
	v_cmpx_lt_u32_e32 44, v1
	s_cbranch_execz .LBB117_249
; %bb.248:
	scratch_load_b128 v[2:5], off, s25
	v_mov_b32_e32 v6, 0
	s_delay_alu instid0(VALU_DEP_1)
	v_dual_mov_b32 v7, v6 :: v_dual_mov_b32 v8, v6
	v_mov_b32_e32 v9, v6
	scratch_store_b128 off, v[6:9], off offset:704
	s_wait_loadcnt 0x0
	ds_store_b128 v124, v[2:5]
.LBB117_249:
	s_wait_xcnt 0x0
	s_or_b32 exec_lo, exec_lo, s2
	s_wait_storecnt_dscnt 0x0
	s_barrier_signal -1
	s_barrier_wait -1
	s_clause 0x8
	scratch_load_b128 v[4:7], off, off offset:720
	scratch_load_b128 v[8:11], off, off offset:736
	;; [unrolled: 1-line block ×9, first 2 shown]
	v_mov_b32_e32 v2, 0
	scratch_load_b128 v[154:157], off, off offset:704
	s_mov_b32 s2, exec_lo
	ds_load_b128 v[150:153], v2 offset:1584
	ds_load_b128 v[158:161], v2 offset:1600
	s_wait_loadcnt_dscnt 0x901
	v_mul_f64_e32 v[162:163], v[152:153], v[6:7]
	v_mul_f64_e32 v[164:165], v[150:151], v[6:7]
	s_wait_loadcnt_dscnt 0x800
	v_mul_f64_e32 v[166:167], v[158:159], v[10:11]
	v_mul_f64_e32 v[10:11], v[160:161], v[10:11]
	s_delay_alu instid0(VALU_DEP_4) | instskip(NEXT) | instid1(VALU_DEP_4)
	v_fma_f64 v[162:163], v[150:151], v[4:5], -v[162:163]
	v_fmac_f64_e32 v[164:165], v[152:153], v[4:5]
	ds_load_b128 v[4:7], v2 offset:1616
	ds_load_b128 v[150:153], v2 offset:1632
	v_fmac_f64_e32 v[166:167], v[160:161], v[8:9]
	v_fma_f64 v[8:9], v[158:159], v[8:9], -v[10:11]
	s_wait_loadcnt_dscnt 0x701
	v_mul_f64_e32 v[168:169], v[4:5], v[14:15]
	v_mul_f64_e32 v[14:15], v[6:7], v[14:15]
	s_wait_loadcnt_dscnt 0x600
	v_mul_f64_e32 v[160:161], v[150:151], v[128:129]
	v_mul_f64_e32 v[128:129], v[152:153], v[128:129]
	v_add_f64_e32 v[10:11], 0, v[162:163]
	v_add_f64_e32 v[158:159], 0, v[164:165]
	v_fmac_f64_e32 v[168:169], v[6:7], v[12:13]
	v_fma_f64 v[12:13], v[4:5], v[12:13], -v[14:15]
	v_fmac_f64_e32 v[160:161], v[152:153], v[126:127]
	v_fma_f64 v[126:127], v[150:151], v[126:127], -v[128:129]
	v_add_f64_e32 v[14:15], v[10:11], v[8:9]
	v_add_f64_e32 v[158:159], v[158:159], v[166:167]
	ds_load_b128 v[4:7], v2 offset:1648
	ds_load_b128 v[8:11], v2 offset:1664
	s_wait_loadcnt_dscnt 0x501
	v_mul_f64_e32 v[162:163], v[4:5], v[132:133]
	v_mul_f64_e32 v[132:133], v[6:7], v[132:133]
	s_wait_loadcnt_dscnt 0x400
	v_mul_f64_e32 v[128:129], v[8:9], v[136:137]
	v_mul_f64_e32 v[136:137], v[10:11], v[136:137]
	v_add_f64_e32 v[12:13], v[14:15], v[12:13]
	v_add_f64_e32 v[14:15], v[158:159], v[168:169]
	v_fmac_f64_e32 v[162:163], v[6:7], v[130:131]
	v_fma_f64 v[130:131], v[4:5], v[130:131], -v[132:133]
	v_fmac_f64_e32 v[128:129], v[10:11], v[134:135]
	v_fma_f64 v[8:9], v[8:9], v[134:135], -v[136:137]
	v_add_f64_e32 v[126:127], v[12:13], v[126:127]
	v_add_f64_e32 v[132:133], v[14:15], v[160:161]
	ds_load_b128 v[4:7], v2 offset:1680
	ds_load_b128 v[12:15], v2 offset:1696
	s_wait_loadcnt_dscnt 0x301
	v_mul_f64_e32 v[150:151], v[4:5], v[140:141]
	v_mul_f64_e32 v[140:141], v[6:7], v[140:141]
	v_add_f64_e32 v[10:11], v[126:127], v[130:131]
	v_add_f64_e32 v[126:127], v[132:133], v[162:163]
	s_wait_loadcnt_dscnt 0x200
	v_mul_f64_e32 v[130:131], v[12:13], v[144:145]
	v_mul_f64_e32 v[132:133], v[14:15], v[144:145]
	v_fmac_f64_e32 v[150:151], v[6:7], v[138:139]
	v_fma_f64 v[134:135], v[4:5], v[138:139], -v[140:141]
	ds_load_b128 v[4:7], v2 offset:1712
	v_add_f64_e32 v[8:9], v[10:11], v[8:9]
	v_add_f64_e32 v[10:11], v[126:127], v[128:129]
	v_fmac_f64_e32 v[130:131], v[14:15], v[142:143]
	v_fma_f64 v[12:13], v[12:13], v[142:143], -v[132:133]
	s_wait_loadcnt_dscnt 0x100
	v_mul_f64_e32 v[126:127], v[4:5], v[148:149]
	v_mul_f64_e32 v[128:129], v[6:7], v[148:149]
	v_add_f64_e32 v[8:9], v[8:9], v[134:135]
	v_add_f64_e32 v[10:11], v[10:11], v[150:151]
	s_delay_alu instid0(VALU_DEP_4) | instskip(NEXT) | instid1(VALU_DEP_4)
	v_fmac_f64_e32 v[126:127], v[6:7], v[146:147]
	v_fma_f64 v[4:5], v[4:5], v[146:147], -v[128:129]
	s_delay_alu instid0(VALU_DEP_4) | instskip(NEXT) | instid1(VALU_DEP_4)
	v_add_f64_e32 v[6:7], v[8:9], v[12:13]
	v_add_f64_e32 v[8:9], v[10:11], v[130:131]
	s_delay_alu instid0(VALU_DEP_2) | instskip(NEXT) | instid1(VALU_DEP_2)
	v_add_f64_e32 v[4:5], v[6:7], v[4:5]
	v_add_f64_e32 v[6:7], v[8:9], v[126:127]
	s_wait_loadcnt 0x0
	s_delay_alu instid0(VALU_DEP_2) | instskip(NEXT) | instid1(VALU_DEP_2)
	v_add_f64_e64 v[4:5], v[154:155], -v[4:5]
	v_add_f64_e64 v[6:7], v[156:157], -v[6:7]
	scratch_store_b128 off, v[4:7], off offset:704
	s_wait_xcnt 0x0
	v_cmpx_lt_u32_e32 43, v1
	s_cbranch_execz .LBB117_251
; %bb.250:
	scratch_load_b128 v[6:9], off, s26
	v_dual_mov_b32 v3, v2 :: v_dual_mov_b32 v4, v2
	v_mov_b32_e32 v5, v2
	scratch_store_b128 off, v[2:5], off offset:688
	s_wait_loadcnt 0x0
	ds_store_b128 v124, v[6:9]
.LBB117_251:
	s_wait_xcnt 0x0
	s_or_b32 exec_lo, exec_lo, s2
	s_wait_storecnt_dscnt 0x0
	s_barrier_signal -1
	s_barrier_wait -1
	s_clause 0x9
	scratch_load_b128 v[4:7], off, off offset:704
	scratch_load_b128 v[8:11], off, off offset:720
	;; [unrolled: 1-line block ×10, first 2 shown]
	ds_load_b128 v[154:157], v2 offset:1568
	ds_load_b128 v[158:161], v2 offset:1584
	scratch_load_b128 v[162:165], off, off offset:688
	s_mov_b32 s2, exec_lo
	s_wait_loadcnt_dscnt 0xa01
	v_mul_f64_e32 v[166:167], v[156:157], v[6:7]
	v_mul_f64_e32 v[168:169], v[154:155], v[6:7]
	s_wait_loadcnt_dscnt 0x900
	v_mul_f64_e32 v[170:171], v[158:159], v[10:11]
	v_mul_f64_e32 v[10:11], v[160:161], v[10:11]
	s_delay_alu instid0(VALU_DEP_4) | instskip(NEXT) | instid1(VALU_DEP_4)
	v_fma_f64 v[166:167], v[154:155], v[4:5], -v[166:167]
	v_fmac_f64_e32 v[168:169], v[156:157], v[4:5]
	ds_load_b128 v[4:7], v2 offset:1600
	ds_load_b128 v[154:157], v2 offset:1616
	v_fmac_f64_e32 v[170:171], v[160:161], v[8:9]
	v_fma_f64 v[8:9], v[158:159], v[8:9], -v[10:11]
	s_wait_loadcnt_dscnt 0x801
	v_mul_f64_e32 v[172:173], v[4:5], v[14:15]
	v_mul_f64_e32 v[14:15], v[6:7], v[14:15]
	s_wait_loadcnt_dscnt 0x700
	v_mul_f64_e32 v[160:161], v[154:155], v[128:129]
	v_mul_f64_e32 v[128:129], v[156:157], v[128:129]
	v_add_f64_e32 v[10:11], 0, v[166:167]
	v_add_f64_e32 v[158:159], 0, v[168:169]
	v_fmac_f64_e32 v[172:173], v[6:7], v[12:13]
	v_fma_f64 v[12:13], v[4:5], v[12:13], -v[14:15]
	v_fmac_f64_e32 v[160:161], v[156:157], v[126:127]
	v_fma_f64 v[126:127], v[154:155], v[126:127], -v[128:129]
	v_add_f64_e32 v[14:15], v[10:11], v[8:9]
	v_add_f64_e32 v[158:159], v[158:159], v[170:171]
	ds_load_b128 v[4:7], v2 offset:1632
	ds_load_b128 v[8:11], v2 offset:1648
	s_wait_loadcnt_dscnt 0x601
	v_mul_f64_e32 v[166:167], v[4:5], v[132:133]
	v_mul_f64_e32 v[132:133], v[6:7], v[132:133]
	s_wait_loadcnt_dscnt 0x500
	v_mul_f64_e32 v[128:129], v[8:9], v[136:137]
	v_mul_f64_e32 v[136:137], v[10:11], v[136:137]
	v_add_f64_e32 v[12:13], v[14:15], v[12:13]
	v_add_f64_e32 v[14:15], v[158:159], v[172:173]
	v_fmac_f64_e32 v[166:167], v[6:7], v[130:131]
	v_fma_f64 v[130:131], v[4:5], v[130:131], -v[132:133]
	v_fmac_f64_e32 v[128:129], v[10:11], v[134:135]
	v_fma_f64 v[8:9], v[8:9], v[134:135], -v[136:137]
	v_add_f64_e32 v[126:127], v[12:13], v[126:127]
	v_add_f64_e32 v[132:133], v[14:15], v[160:161]
	ds_load_b128 v[4:7], v2 offset:1664
	ds_load_b128 v[12:15], v2 offset:1680
	s_wait_loadcnt_dscnt 0x401
	v_mul_f64_e32 v[154:155], v[4:5], v[140:141]
	v_mul_f64_e32 v[140:141], v[6:7], v[140:141]
	v_add_f64_e32 v[10:11], v[126:127], v[130:131]
	v_add_f64_e32 v[126:127], v[132:133], v[166:167]
	s_wait_loadcnt_dscnt 0x300
	v_mul_f64_e32 v[130:131], v[12:13], v[144:145]
	v_mul_f64_e32 v[132:133], v[14:15], v[144:145]
	v_fmac_f64_e32 v[154:155], v[6:7], v[138:139]
	v_fma_f64 v[134:135], v[4:5], v[138:139], -v[140:141]
	v_add_f64_e32 v[136:137], v[10:11], v[8:9]
	v_add_f64_e32 v[126:127], v[126:127], v[128:129]
	ds_load_b128 v[4:7], v2 offset:1696
	ds_load_b128 v[8:11], v2 offset:1712
	v_fmac_f64_e32 v[130:131], v[14:15], v[142:143]
	v_fma_f64 v[12:13], v[12:13], v[142:143], -v[132:133]
	s_wait_loadcnt_dscnt 0x201
	v_mul_f64_e32 v[2:3], v[4:5], v[148:149]
	v_mul_f64_e32 v[128:129], v[6:7], v[148:149]
	s_wait_loadcnt_dscnt 0x100
	v_mul_f64_e32 v[132:133], v[8:9], v[152:153]
	v_add_f64_e32 v[14:15], v[136:137], v[134:135]
	v_add_f64_e32 v[126:127], v[126:127], v[154:155]
	v_mul_f64_e32 v[134:135], v[10:11], v[152:153]
	v_fmac_f64_e32 v[2:3], v[6:7], v[146:147]
	v_fma_f64 v[4:5], v[4:5], v[146:147], -v[128:129]
	v_fmac_f64_e32 v[132:133], v[10:11], v[150:151]
	v_add_f64_e32 v[6:7], v[14:15], v[12:13]
	v_add_f64_e32 v[12:13], v[126:127], v[130:131]
	v_fma_f64 v[8:9], v[8:9], v[150:151], -v[134:135]
	s_delay_alu instid0(VALU_DEP_3) | instskip(NEXT) | instid1(VALU_DEP_3)
	v_add_f64_e32 v[4:5], v[6:7], v[4:5]
	v_add_f64_e32 v[2:3], v[12:13], v[2:3]
	s_delay_alu instid0(VALU_DEP_2) | instskip(NEXT) | instid1(VALU_DEP_2)
	v_add_f64_e32 v[4:5], v[4:5], v[8:9]
	v_add_f64_e32 v[6:7], v[2:3], v[132:133]
	s_wait_loadcnt 0x0
	s_delay_alu instid0(VALU_DEP_2) | instskip(NEXT) | instid1(VALU_DEP_2)
	v_add_f64_e64 v[2:3], v[162:163], -v[4:5]
	v_add_f64_e64 v[4:5], v[164:165], -v[6:7]
	scratch_store_b128 off, v[2:5], off offset:688
	s_wait_xcnt 0x0
	v_cmpx_lt_u32_e32 42, v1
	s_cbranch_execz .LBB117_253
; %bb.252:
	scratch_load_b128 v[2:5], off, s27
	v_mov_b32_e32 v6, 0
	s_delay_alu instid0(VALU_DEP_1)
	v_dual_mov_b32 v7, v6 :: v_dual_mov_b32 v8, v6
	v_mov_b32_e32 v9, v6
	scratch_store_b128 off, v[6:9], off offset:672
	s_wait_loadcnt 0x0
	ds_store_b128 v124, v[2:5]
.LBB117_253:
	s_wait_xcnt 0x0
	s_or_b32 exec_lo, exec_lo, s2
	s_wait_storecnt_dscnt 0x0
	s_barrier_signal -1
	s_barrier_wait -1
	s_clause 0x9
	scratch_load_b128 v[4:7], off, off offset:688
	scratch_load_b128 v[8:11], off, off offset:704
	;; [unrolled: 1-line block ×10, first 2 shown]
	v_mov_b32_e32 v2, 0
	s_mov_b32 s2, exec_lo
	ds_load_b128 v[154:157], v2 offset:1552
	s_clause 0x1
	scratch_load_b128 v[158:161], off, off offset:848
	scratch_load_b128 v[162:165], off, off offset:672
	s_wait_loadcnt_dscnt 0xb00
	v_mul_f64_e32 v[170:171], v[156:157], v[6:7]
	v_mul_f64_e32 v[172:173], v[154:155], v[6:7]
	ds_load_b128 v[166:169], v2 offset:1568
	s_wait_loadcnt_dscnt 0xa00
	v_mul_f64_e32 v[174:175], v[166:167], v[10:11]
	v_mul_f64_e32 v[10:11], v[168:169], v[10:11]
	v_fma_f64 v[170:171], v[154:155], v[4:5], -v[170:171]
	v_fmac_f64_e32 v[172:173], v[156:157], v[4:5]
	ds_load_b128 v[4:7], v2 offset:1584
	ds_load_b128 v[154:157], v2 offset:1600
	s_wait_loadcnt_dscnt 0x901
	v_mul_f64_e32 v[176:177], v[4:5], v[14:15]
	v_mul_f64_e32 v[14:15], v[6:7], v[14:15]
	v_fmac_f64_e32 v[174:175], v[168:169], v[8:9]
	v_fma_f64 v[8:9], v[166:167], v[8:9], -v[10:11]
	s_wait_loadcnt_dscnt 0x800
	v_mul_f64_e32 v[168:169], v[154:155], v[128:129]
	v_mul_f64_e32 v[128:129], v[156:157], v[128:129]
	v_add_f64_e32 v[10:11], 0, v[170:171]
	v_add_f64_e32 v[166:167], 0, v[172:173]
	v_fmac_f64_e32 v[176:177], v[6:7], v[12:13]
	v_fma_f64 v[12:13], v[4:5], v[12:13], -v[14:15]
	v_fmac_f64_e32 v[168:169], v[156:157], v[126:127]
	v_fma_f64 v[126:127], v[154:155], v[126:127], -v[128:129]
	v_add_f64_e32 v[14:15], v[10:11], v[8:9]
	v_add_f64_e32 v[166:167], v[166:167], v[174:175]
	ds_load_b128 v[4:7], v2 offset:1616
	ds_load_b128 v[8:11], v2 offset:1632
	s_wait_loadcnt_dscnt 0x701
	v_mul_f64_e32 v[170:171], v[4:5], v[132:133]
	v_mul_f64_e32 v[132:133], v[6:7], v[132:133]
	s_wait_loadcnt_dscnt 0x600
	v_mul_f64_e32 v[128:129], v[8:9], v[136:137]
	v_mul_f64_e32 v[136:137], v[10:11], v[136:137]
	v_add_f64_e32 v[12:13], v[14:15], v[12:13]
	v_add_f64_e32 v[14:15], v[166:167], v[176:177]
	v_fmac_f64_e32 v[170:171], v[6:7], v[130:131]
	v_fma_f64 v[130:131], v[4:5], v[130:131], -v[132:133]
	v_fmac_f64_e32 v[128:129], v[10:11], v[134:135]
	v_fma_f64 v[8:9], v[8:9], v[134:135], -v[136:137]
	v_add_f64_e32 v[126:127], v[12:13], v[126:127]
	v_add_f64_e32 v[132:133], v[14:15], v[168:169]
	ds_load_b128 v[4:7], v2 offset:1648
	ds_load_b128 v[12:15], v2 offset:1664
	s_wait_loadcnt_dscnt 0x501
	v_mul_f64_e32 v[154:155], v[4:5], v[140:141]
	v_mul_f64_e32 v[140:141], v[6:7], v[140:141]
	v_add_f64_e32 v[10:11], v[126:127], v[130:131]
	v_add_f64_e32 v[126:127], v[132:133], v[170:171]
	s_wait_loadcnt_dscnt 0x400
	v_mul_f64_e32 v[130:131], v[12:13], v[144:145]
	v_mul_f64_e32 v[132:133], v[14:15], v[144:145]
	v_fmac_f64_e32 v[154:155], v[6:7], v[138:139]
	v_fma_f64 v[134:135], v[4:5], v[138:139], -v[140:141]
	v_add_f64_e32 v[136:137], v[10:11], v[8:9]
	v_add_f64_e32 v[126:127], v[126:127], v[128:129]
	ds_load_b128 v[4:7], v2 offset:1680
	ds_load_b128 v[8:11], v2 offset:1696
	v_fmac_f64_e32 v[130:131], v[14:15], v[142:143]
	v_fma_f64 v[12:13], v[12:13], v[142:143], -v[132:133]
	s_wait_loadcnt_dscnt 0x301
	v_mul_f64_e32 v[128:129], v[4:5], v[148:149]
	v_mul_f64_e32 v[138:139], v[6:7], v[148:149]
	s_wait_loadcnt_dscnt 0x200
	v_mul_f64_e32 v[132:133], v[8:9], v[152:153]
	v_add_f64_e32 v[14:15], v[136:137], v[134:135]
	v_add_f64_e32 v[126:127], v[126:127], v[154:155]
	v_mul_f64_e32 v[134:135], v[10:11], v[152:153]
	v_fmac_f64_e32 v[128:129], v[6:7], v[146:147]
	v_fma_f64 v[136:137], v[4:5], v[146:147], -v[138:139]
	ds_load_b128 v[4:7], v2 offset:1712
	v_fmac_f64_e32 v[132:133], v[10:11], v[150:151]
	v_add_f64_e32 v[12:13], v[14:15], v[12:13]
	v_add_f64_e32 v[14:15], v[126:127], v[130:131]
	v_fma_f64 v[8:9], v[8:9], v[150:151], -v[134:135]
	s_wait_loadcnt_dscnt 0x100
	v_mul_f64_e32 v[126:127], v[4:5], v[160:161]
	v_mul_f64_e32 v[130:131], v[6:7], v[160:161]
	v_add_f64_e32 v[10:11], v[12:13], v[136:137]
	v_add_f64_e32 v[12:13], v[14:15], v[128:129]
	s_delay_alu instid0(VALU_DEP_4) | instskip(NEXT) | instid1(VALU_DEP_4)
	v_fmac_f64_e32 v[126:127], v[6:7], v[158:159]
	v_fma_f64 v[4:5], v[4:5], v[158:159], -v[130:131]
	s_delay_alu instid0(VALU_DEP_4) | instskip(NEXT) | instid1(VALU_DEP_4)
	v_add_f64_e32 v[6:7], v[10:11], v[8:9]
	v_add_f64_e32 v[8:9], v[12:13], v[132:133]
	s_delay_alu instid0(VALU_DEP_2) | instskip(NEXT) | instid1(VALU_DEP_2)
	v_add_f64_e32 v[4:5], v[6:7], v[4:5]
	v_add_f64_e32 v[6:7], v[8:9], v[126:127]
	s_wait_loadcnt 0x0
	s_delay_alu instid0(VALU_DEP_2) | instskip(NEXT) | instid1(VALU_DEP_2)
	v_add_f64_e64 v[4:5], v[162:163], -v[4:5]
	v_add_f64_e64 v[6:7], v[164:165], -v[6:7]
	scratch_store_b128 off, v[4:7], off offset:672
	s_wait_xcnt 0x0
	v_cmpx_lt_u32_e32 41, v1
	s_cbranch_execz .LBB117_255
; %bb.254:
	scratch_load_b128 v[6:9], off, s28
	v_dual_mov_b32 v3, v2 :: v_dual_mov_b32 v4, v2
	v_mov_b32_e32 v5, v2
	scratch_store_b128 off, v[2:5], off offset:656
	s_wait_loadcnt 0x0
	ds_store_b128 v124, v[6:9]
.LBB117_255:
	s_wait_xcnt 0x0
	s_or_b32 exec_lo, exec_lo, s2
	s_wait_storecnt_dscnt 0x0
	s_barrier_signal -1
	s_barrier_wait -1
	s_clause 0x9
	scratch_load_b128 v[4:7], off, off offset:672
	scratch_load_b128 v[8:11], off, off offset:688
	;; [unrolled: 1-line block ×10, first 2 shown]
	ds_load_b128 v[154:157], v2 offset:1536
	ds_load_b128 v[162:165], v2 offset:1552
	s_clause 0x2
	scratch_load_b128 v[158:161], off, off offset:832
	scratch_load_b128 v[166:169], off, off offset:656
	;; [unrolled: 1-line block ×3, first 2 shown]
	s_mov_b32 s2, exec_lo
	s_wait_loadcnt_dscnt 0xc01
	v_mul_f64_e32 v[174:175], v[156:157], v[6:7]
	v_mul_f64_e32 v[176:177], v[154:155], v[6:7]
	s_wait_loadcnt_dscnt 0xb00
	v_mul_f64_e32 v[178:179], v[162:163], v[10:11]
	v_mul_f64_e32 v[10:11], v[164:165], v[10:11]
	s_delay_alu instid0(VALU_DEP_4) | instskip(NEXT) | instid1(VALU_DEP_4)
	v_fma_f64 v[174:175], v[154:155], v[4:5], -v[174:175]
	v_fmac_f64_e32 v[176:177], v[156:157], v[4:5]
	ds_load_b128 v[4:7], v2 offset:1568
	ds_load_b128 v[154:157], v2 offset:1584
	v_fmac_f64_e32 v[178:179], v[164:165], v[8:9]
	v_fma_f64 v[8:9], v[162:163], v[8:9], -v[10:11]
	s_wait_loadcnt_dscnt 0xa01
	v_mul_f64_e32 v[180:181], v[4:5], v[14:15]
	v_mul_f64_e32 v[14:15], v[6:7], v[14:15]
	s_wait_loadcnt_dscnt 0x900
	v_mul_f64_e32 v[164:165], v[154:155], v[128:129]
	v_mul_f64_e32 v[128:129], v[156:157], v[128:129]
	v_add_f64_e32 v[10:11], 0, v[174:175]
	v_add_f64_e32 v[162:163], 0, v[176:177]
	v_fmac_f64_e32 v[180:181], v[6:7], v[12:13]
	v_fma_f64 v[12:13], v[4:5], v[12:13], -v[14:15]
	v_fmac_f64_e32 v[164:165], v[156:157], v[126:127]
	v_fma_f64 v[126:127], v[154:155], v[126:127], -v[128:129]
	v_add_f64_e32 v[14:15], v[10:11], v[8:9]
	v_add_f64_e32 v[162:163], v[162:163], v[178:179]
	ds_load_b128 v[4:7], v2 offset:1600
	ds_load_b128 v[8:11], v2 offset:1616
	s_wait_loadcnt_dscnt 0x801
	v_mul_f64_e32 v[174:175], v[4:5], v[132:133]
	v_mul_f64_e32 v[132:133], v[6:7], v[132:133]
	s_wait_loadcnt_dscnt 0x700
	v_mul_f64_e32 v[128:129], v[8:9], v[136:137]
	v_mul_f64_e32 v[136:137], v[10:11], v[136:137]
	v_add_f64_e32 v[12:13], v[14:15], v[12:13]
	v_add_f64_e32 v[14:15], v[162:163], v[180:181]
	v_fmac_f64_e32 v[174:175], v[6:7], v[130:131]
	v_fma_f64 v[130:131], v[4:5], v[130:131], -v[132:133]
	v_fmac_f64_e32 v[128:129], v[10:11], v[134:135]
	v_fma_f64 v[8:9], v[8:9], v[134:135], -v[136:137]
	v_add_f64_e32 v[126:127], v[12:13], v[126:127]
	v_add_f64_e32 v[132:133], v[14:15], v[164:165]
	ds_load_b128 v[4:7], v2 offset:1632
	ds_load_b128 v[12:15], v2 offset:1648
	s_wait_loadcnt_dscnt 0x601
	v_mul_f64_e32 v[154:155], v[4:5], v[140:141]
	v_mul_f64_e32 v[140:141], v[6:7], v[140:141]
	v_add_f64_e32 v[10:11], v[126:127], v[130:131]
	v_add_f64_e32 v[126:127], v[132:133], v[174:175]
	s_wait_loadcnt_dscnt 0x500
	v_mul_f64_e32 v[130:131], v[12:13], v[144:145]
	v_mul_f64_e32 v[132:133], v[14:15], v[144:145]
	v_fmac_f64_e32 v[154:155], v[6:7], v[138:139]
	v_fma_f64 v[134:135], v[4:5], v[138:139], -v[140:141]
	v_add_f64_e32 v[136:137], v[10:11], v[8:9]
	v_add_f64_e32 v[126:127], v[126:127], v[128:129]
	ds_load_b128 v[4:7], v2 offset:1664
	ds_load_b128 v[8:11], v2 offset:1680
	v_fmac_f64_e32 v[130:131], v[14:15], v[142:143]
	v_fma_f64 v[12:13], v[12:13], v[142:143], -v[132:133]
	s_wait_loadcnt_dscnt 0x401
	v_mul_f64_e32 v[128:129], v[4:5], v[148:149]
	v_mul_f64_e32 v[138:139], v[6:7], v[148:149]
	s_wait_loadcnt_dscnt 0x300
	v_mul_f64_e32 v[132:133], v[8:9], v[152:153]
	v_add_f64_e32 v[14:15], v[136:137], v[134:135]
	v_add_f64_e32 v[126:127], v[126:127], v[154:155]
	v_mul_f64_e32 v[134:135], v[10:11], v[152:153]
	v_fmac_f64_e32 v[128:129], v[6:7], v[146:147]
	v_fma_f64 v[136:137], v[4:5], v[146:147], -v[138:139]
	v_fmac_f64_e32 v[132:133], v[10:11], v[150:151]
	v_add_f64_e32 v[138:139], v[14:15], v[12:13]
	v_add_f64_e32 v[126:127], v[126:127], v[130:131]
	ds_load_b128 v[4:7], v2 offset:1696
	ds_load_b128 v[12:15], v2 offset:1712
	v_fma_f64 v[8:9], v[8:9], v[150:151], -v[134:135]
	s_wait_loadcnt_dscnt 0x201
	v_mul_f64_e32 v[2:3], v[4:5], v[160:161]
	v_mul_f64_e32 v[130:131], v[6:7], v[160:161]
	s_wait_loadcnt_dscnt 0x0
	v_mul_f64_e32 v[134:135], v[14:15], v[172:173]
	v_add_f64_e32 v[10:11], v[138:139], v[136:137]
	v_add_f64_e32 v[126:127], v[126:127], v[128:129]
	v_mul_f64_e32 v[128:129], v[12:13], v[172:173]
	v_fmac_f64_e32 v[2:3], v[6:7], v[158:159]
	v_fma_f64 v[4:5], v[4:5], v[158:159], -v[130:131]
	v_add_f64_e32 v[6:7], v[10:11], v[8:9]
	v_add_f64_e32 v[8:9], v[126:127], v[132:133]
	v_fmac_f64_e32 v[128:129], v[14:15], v[170:171]
	v_fma_f64 v[10:11], v[12:13], v[170:171], -v[134:135]
	s_delay_alu instid0(VALU_DEP_4) | instskip(NEXT) | instid1(VALU_DEP_4)
	v_add_f64_e32 v[4:5], v[6:7], v[4:5]
	v_add_f64_e32 v[2:3], v[8:9], v[2:3]
	s_delay_alu instid0(VALU_DEP_2) | instskip(NEXT) | instid1(VALU_DEP_2)
	v_add_f64_e32 v[4:5], v[4:5], v[10:11]
	v_add_f64_e32 v[6:7], v[2:3], v[128:129]
	s_delay_alu instid0(VALU_DEP_2) | instskip(NEXT) | instid1(VALU_DEP_2)
	v_add_f64_e64 v[2:3], v[166:167], -v[4:5]
	v_add_f64_e64 v[4:5], v[168:169], -v[6:7]
	scratch_store_b128 off, v[2:5], off offset:656
	s_wait_xcnt 0x0
	v_cmpx_lt_u32_e32 40, v1
	s_cbranch_execz .LBB117_257
; %bb.256:
	scratch_load_b128 v[2:5], off, s29
	v_mov_b32_e32 v6, 0
	s_delay_alu instid0(VALU_DEP_1)
	v_dual_mov_b32 v7, v6 :: v_dual_mov_b32 v8, v6
	v_mov_b32_e32 v9, v6
	scratch_store_b128 off, v[6:9], off offset:640
	s_wait_loadcnt 0x0
	ds_store_b128 v124, v[2:5]
.LBB117_257:
	s_wait_xcnt 0x0
	s_or_b32 exec_lo, exec_lo, s2
	s_wait_storecnt_dscnt 0x0
	s_barrier_signal -1
	s_barrier_wait -1
	s_clause 0x9
	scratch_load_b128 v[4:7], off, off offset:656
	scratch_load_b128 v[8:11], off, off offset:672
	;; [unrolled: 1-line block ×10, first 2 shown]
	v_mov_b32_e32 v2, 0
	s_mov_b32 s2, exec_lo
	ds_load_b128 v[154:157], v2 offset:1520
	s_clause 0x2
	scratch_load_b128 v[158:161], off, off offset:816
	scratch_load_b128 v[162:165], off, off offset:640
	;; [unrolled: 1-line block ×3, first 2 shown]
	s_wait_loadcnt_dscnt 0xc00
	v_mul_f64_e32 v[174:175], v[156:157], v[6:7]
	v_mul_f64_e32 v[178:179], v[154:155], v[6:7]
	ds_load_b128 v[166:169], v2 offset:1536
	v_fma_f64 v[182:183], v[154:155], v[4:5], -v[174:175]
	v_fmac_f64_e32 v[178:179], v[156:157], v[4:5]
	ds_load_b128 v[4:7], v2 offset:1552
	s_wait_loadcnt_dscnt 0xb01
	v_mul_f64_e32 v[180:181], v[166:167], v[10:11]
	v_mul_f64_e32 v[10:11], v[168:169], v[10:11]
	scratch_load_b128 v[154:157], off, off offset:848
	ds_load_b128 v[174:177], v2 offset:1568
	s_wait_loadcnt_dscnt 0xb01
	v_mul_f64_e32 v[184:185], v[4:5], v[14:15]
	v_mul_f64_e32 v[14:15], v[6:7], v[14:15]
	v_fmac_f64_e32 v[180:181], v[168:169], v[8:9]
	v_fma_f64 v[8:9], v[166:167], v[8:9], -v[10:11]
	v_add_f64_e32 v[10:11], 0, v[182:183]
	v_add_f64_e32 v[166:167], 0, v[178:179]
	s_wait_loadcnt_dscnt 0xa00
	v_mul_f64_e32 v[168:169], v[174:175], v[128:129]
	v_mul_f64_e32 v[128:129], v[176:177], v[128:129]
	v_fmac_f64_e32 v[184:185], v[6:7], v[12:13]
	v_fma_f64 v[12:13], v[4:5], v[12:13], -v[14:15]
	v_add_f64_e32 v[14:15], v[10:11], v[8:9]
	v_add_f64_e32 v[166:167], v[166:167], v[180:181]
	ds_load_b128 v[4:7], v2 offset:1584
	ds_load_b128 v[8:11], v2 offset:1600
	v_fmac_f64_e32 v[168:169], v[176:177], v[126:127]
	v_fma_f64 v[126:127], v[174:175], v[126:127], -v[128:129]
	s_wait_loadcnt_dscnt 0x901
	v_mul_f64_e32 v[178:179], v[4:5], v[132:133]
	v_mul_f64_e32 v[132:133], v[6:7], v[132:133]
	s_wait_loadcnt_dscnt 0x800
	v_mul_f64_e32 v[128:129], v[8:9], v[136:137]
	v_mul_f64_e32 v[136:137], v[10:11], v[136:137]
	v_add_f64_e32 v[12:13], v[14:15], v[12:13]
	v_add_f64_e32 v[14:15], v[166:167], v[184:185]
	v_fmac_f64_e32 v[178:179], v[6:7], v[130:131]
	v_fma_f64 v[130:131], v[4:5], v[130:131], -v[132:133]
	v_fmac_f64_e32 v[128:129], v[10:11], v[134:135]
	v_fma_f64 v[8:9], v[8:9], v[134:135], -v[136:137]
	v_add_f64_e32 v[126:127], v[12:13], v[126:127]
	v_add_f64_e32 v[132:133], v[14:15], v[168:169]
	ds_load_b128 v[4:7], v2 offset:1616
	ds_load_b128 v[12:15], v2 offset:1632
	s_wait_loadcnt_dscnt 0x701
	v_mul_f64_e32 v[166:167], v[4:5], v[140:141]
	v_mul_f64_e32 v[140:141], v[6:7], v[140:141]
	v_add_f64_e32 v[10:11], v[126:127], v[130:131]
	v_add_f64_e32 v[126:127], v[132:133], v[178:179]
	s_wait_loadcnt_dscnt 0x600
	v_mul_f64_e32 v[130:131], v[12:13], v[144:145]
	v_mul_f64_e32 v[132:133], v[14:15], v[144:145]
	v_fmac_f64_e32 v[166:167], v[6:7], v[138:139]
	v_fma_f64 v[134:135], v[4:5], v[138:139], -v[140:141]
	v_add_f64_e32 v[136:137], v[10:11], v[8:9]
	v_add_f64_e32 v[126:127], v[126:127], v[128:129]
	ds_load_b128 v[4:7], v2 offset:1648
	ds_load_b128 v[8:11], v2 offset:1664
	v_fmac_f64_e32 v[130:131], v[14:15], v[142:143]
	v_fma_f64 v[12:13], v[12:13], v[142:143], -v[132:133]
	s_wait_loadcnt_dscnt 0x501
	v_mul_f64_e32 v[128:129], v[4:5], v[148:149]
	v_mul_f64_e32 v[138:139], v[6:7], v[148:149]
	s_wait_loadcnt_dscnt 0x400
	v_mul_f64_e32 v[132:133], v[8:9], v[152:153]
	v_add_f64_e32 v[14:15], v[136:137], v[134:135]
	v_add_f64_e32 v[126:127], v[126:127], v[166:167]
	v_mul_f64_e32 v[134:135], v[10:11], v[152:153]
	v_fmac_f64_e32 v[128:129], v[6:7], v[146:147]
	v_fma_f64 v[136:137], v[4:5], v[146:147], -v[138:139]
	v_fmac_f64_e32 v[132:133], v[10:11], v[150:151]
	v_add_f64_e32 v[138:139], v[14:15], v[12:13]
	v_add_f64_e32 v[126:127], v[126:127], v[130:131]
	ds_load_b128 v[4:7], v2 offset:1680
	ds_load_b128 v[12:15], v2 offset:1696
	v_fma_f64 v[8:9], v[8:9], v[150:151], -v[134:135]
	s_wait_loadcnt_dscnt 0x301
	v_mul_f64_e32 v[130:131], v[4:5], v[160:161]
	v_mul_f64_e32 v[140:141], v[6:7], v[160:161]
	s_wait_loadcnt_dscnt 0x100
	v_mul_f64_e32 v[134:135], v[14:15], v[172:173]
	v_add_f64_e32 v[10:11], v[138:139], v[136:137]
	v_add_f64_e32 v[126:127], v[126:127], v[128:129]
	v_mul_f64_e32 v[128:129], v[12:13], v[172:173]
	v_fmac_f64_e32 v[130:131], v[6:7], v[158:159]
	v_fma_f64 v[136:137], v[4:5], v[158:159], -v[140:141]
	ds_load_b128 v[4:7], v2 offset:1712
	v_fma_f64 v[12:13], v[12:13], v[170:171], -v[134:135]
	v_add_f64_e32 v[8:9], v[10:11], v[8:9]
	v_add_f64_e32 v[10:11], v[126:127], v[132:133]
	v_fmac_f64_e32 v[128:129], v[14:15], v[170:171]
	s_wait_loadcnt_dscnt 0x0
	v_mul_f64_e32 v[126:127], v[4:5], v[156:157]
	v_mul_f64_e32 v[132:133], v[6:7], v[156:157]
	v_add_f64_e32 v[8:9], v[8:9], v[136:137]
	v_add_f64_e32 v[10:11], v[10:11], v[130:131]
	s_delay_alu instid0(VALU_DEP_4) | instskip(NEXT) | instid1(VALU_DEP_4)
	v_fmac_f64_e32 v[126:127], v[6:7], v[154:155]
	v_fma_f64 v[4:5], v[4:5], v[154:155], -v[132:133]
	s_delay_alu instid0(VALU_DEP_4) | instskip(NEXT) | instid1(VALU_DEP_4)
	v_add_f64_e32 v[6:7], v[8:9], v[12:13]
	v_add_f64_e32 v[8:9], v[10:11], v[128:129]
	s_delay_alu instid0(VALU_DEP_2) | instskip(NEXT) | instid1(VALU_DEP_2)
	v_add_f64_e32 v[4:5], v[6:7], v[4:5]
	v_add_f64_e32 v[6:7], v[8:9], v[126:127]
	s_delay_alu instid0(VALU_DEP_2) | instskip(NEXT) | instid1(VALU_DEP_2)
	v_add_f64_e64 v[4:5], v[162:163], -v[4:5]
	v_add_f64_e64 v[6:7], v[164:165], -v[6:7]
	scratch_store_b128 off, v[4:7], off offset:640
	s_wait_xcnt 0x0
	v_cmpx_lt_u32_e32 39, v1
	s_cbranch_execz .LBB117_259
; %bb.258:
	scratch_load_b128 v[6:9], off, s30
	v_dual_mov_b32 v3, v2 :: v_dual_mov_b32 v4, v2
	v_mov_b32_e32 v5, v2
	scratch_store_b128 off, v[2:5], off offset:624
	s_wait_loadcnt 0x0
	ds_store_b128 v124, v[6:9]
.LBB117_259:
	s_wait_xcnt 0x0
	s_or_b32 exec_lo, exec_lo, s2
	s_wait_storecnt_dscnt 0x0
	s_barrier_signal -1
	s_barrier_wait -1
	s_clause 0x9
	scratch_load_b128 v[4:7], off, off offset:640
	scratch_load_b128 v[8:11], off, off offset:656
	;; [unrolled: 1-line block ×10, first 2 shown]
	ds_load_b128 v[154:157], v2 offset:1504
	ds_load_b128 v[162:165], v2 offset:1520
	s_clause 0x2
	scratch_load_b128 v[158:161], off, off offset:800
	scratch_load_b128 v[166:169], off, off offset:624
	;; [unrolled: 1-line block ×3, first 2 shown]
	s_mov_b32 s2, exec_lo
	s_wait_loadcnt_dscnt 0xc01
	v_mul_f64_e32 v[174:175], v[156:157], v[6:7]
	v_mul_f64_e32 v[178:179], v[154:155], v[6:7]
	s_wait_loadcnt_dscnt 0xb00
	v_mul_f64_e32 v[180:181], v[162:163], v[10:11]
	v_mul_f64_e32 v[10:11], v[164:165], v[10:11]
	s_delay_alu instid0(VALU_DEP_4) | instskip(NEXT) | instid1(VALU_DEP_4)
	v_fma_f64 v[182:183], v[154:155], v[4:5], -v[174:175]
	v_fmac_f64_e32 v[178:179], v[156:157], v[4:5]
	ds_load_b128 v[4:7], v2 offset:1536
	ds_load_b128 v[154:157], v2 offset:1552
	scratch_load_b128 v[174:177], off, off offset:832
	v_fmac_f64_e32 v[180:181], v[164:165], v[8:9]
	v_fma_f64 v[162:163], v[162:163], v[8:9], -v[10:11]
	scratch_load_b128 v[8:11], off, off offset:848
	s_wait_loadcnt_dscnt 0xc01
	v_mul_f64_e32 v[184:185], v[4:5], v[14:15]
	v_mul_f64_e32 v[14:15], v[6:7], v[14:15]
	v_add_f64_e32 v[164:165], 0, v[182:183]
	v_add_f64_e32 v[178:179], 0, v[178:179]
	s_wait_loadcnt_dscnt 0xb00
	v_mul_f64_e32 v[182:183], v[154:155], v[128:129]
	v_mul_f64_e32 v[128:129], v[156:157], v[128:129]
	v_fmac_f64_e32 v[184:185], v[6:7], v[12:13]
	v_fma_f64 v[186:187], v[4:5], v[12:13], -v[14:15]
	ds_load_b128 v[4:7], v2 offset:1568
	ds_load_b128 v[12:15], v2 offset:1584
	v_add_f64_e32 v[162:163], v[164:165], v[162:163]
	v_add_f64_e32 v[164:165], v[178:179], v[180:181]
	v_fmac_f64_e32 v[182:183], v[156:157], v[126:127]
	v_fma_f64 v[126:127], v[154:155], v[126:127], -v[128:129]
	s_wait_loadcnt_dscnt 0xa01
	v_mul_f64_e32 v[178:179], v[4:5], v[132:133]
	v_mul_f64_e32 v[132:133], v[6:7], v[132:133]
	s_wait_loadcnt_dscnt 0x900
	v_mul_f64_e32 v[156:157], v[12:13], v[136:137]
	v_mul_f64_e32 v[136:137], v[14:15], v[136:137]
	v_add_f64_e32 v[128:129], v[162:163], v[186:187]
	v_add_f64_e32 v[154:155], v[164:165], v[184:185]
	v_fmac_f64_e32 v[178:179], v[6:7], v[130:131]
	v_fma_f64 v[130:131], v[4:5], v[130:131], -v[132:133]
	v_fmac_f64_e32 v[156:157], v[14:15], v[134:135]
	v_fma_f64 v[12:13], v[12:13], v[134:135], -v[136:137]
	v_add_f64_e32 v[132:133], v[128:129], v[126:127]
	v_add_f64_e32 v[154:155], v[154:155], v[182:183]
	ds_load_b128 v[4:7], v2 offset:1600
	ds_load_b128 v[126:129], v2 offset:1616
	s_wait_loadcnt_dscnt 0x801
	v_mul_f64_e32 v[162:163], v[4:5], v[140:141]
	v_mul_f64_e32 v[140:141], v[6:7], v[140:141]
	s_wait_loadcnt_dscnt 0x700
	v_mul_f64_e32 v[134:135], v[128:129], v[144:145]
	v_add_f64_e32 v[14:15], v[132:133], v[130:131]
	v_add_f64_e32 v[130:131], v[154:155], v[178:179]
	v_mul_f64_e32 v[132:133], v[126:127], v[144:145]
	v_fmac_f64_e32 v[162:163], v[6:7], v[138:139]
	v_fma_f64 v[136:137], v[4:5], v[138:139], -v[140:141]
	v_fma_f64 v[126:127], v[126:127], v[142:143], -v[134:135]
	v_add_f64_e32 v[138:139], v[14:15], v[12:13]
	v_add_f64_e32 v[130:131], v[130:131], v[156:157]
	ds_load_b128 v[4:7], v2 offset:1632
	ds_load_b128 v[12:15], v2 offset:1648
	v_fmac_f64_e32 v[132:133], v[128:129], v[142:143]
	s_wait_loadcnt_dscnt 0x601
	v_mul_f64_e32 v[140:141], v[4:5], v[148:149]
	v_mul_f64_e32 v[144:145], v[6:7], v[148:149]
	s_wait_loadcnt_dscnt 0x500
	v_mul_f64_e32 v[134:135], v[12:13], v[152:153]
	v_add_f64_e32 v[128:129], v[138:139], v[136:137]
	v_add_f64_e32 v[130:131], v[130:131], v[162:163]
	v_mul_f64_e32 v[136:137], v[14:15], v[152:153]
	v_fmac_f64_e32 v[140:141], v[6:7], v[146:147]
	v_fma_f64 v[138:139], v[4:5], v[146:147], -v[144:145]
	v_fmac_f64_e32 v[134:135], v[14:15], v[150:151]
	v_add_f64_e32 v[142:143], v[128:129], v[126:127]
	v_add_f64_e32 v[130:131], v[130:131], v[132:133]
	ds_load_b128 v[4:7], v2 offset:1664
	ds_load_b128 v[126:129], v2 offset:1680
	v_fma_f64 v[12:13], v[12:13], v[150:151], -v[136:137]
	s_wait_loadcnt_dscnt 0x401
	v_mul_f64_e32 v[132:133], v[4:5], v[160:161]
	v_mul_f64_e32 v[144:145], v[6:7], v[160:161]
	s_wait_loadcnt_dscnt 0x200
	v_mul_f64_e32 v[136:137], v[126:127], v[172:173]
	v_add_f64_e32 v[14:15], v[142:143], v[138:139]
	v_add_f64_e32 v[130:131], v[130:131], v[140:141]
	v_mul_f64_e32 v[138:139], v[128:129], v[172:173]
	v_fmac_f64_e32 v[132:133], v[6:7], v[158:159]
	v_fma_f64 v[140:141], v[4:5], v[158:159], -v[144:145]
	v_fmac_f64_e32 v[136:137], v[128:129], v[170:171]
	v_add_f64_e32 v[142:143], v[14:15], v[12:13]
	v_add_f64_e32 v[130:131], v[130:131], v[134:135]
	ds_load_b128 v[4:7], v2 offset:1696
	ds_load_b128 v[12:15], v2 offset:1712
	v_fma_f64 v[126:127], v[126:127], v[170:171], -v[138:139]
	s_wait_loadcnt_dscnt 0x101
	v_mul_f64_e32 v[2:3], v[4:5], v[176:177]
	v_mul_f64_e32 v[134:135], v[6:7], v[176:177]
	v_add_f64_e32 v[128:129], v[142:143], v[140:141]
	v_add_f64_e32 v[130:131], v[130:131], v[132:133]
	s_wait_loadcnt_dscnt 0x0
	v_mul_f64_e32 v[132:133], v[12:13], v[10:11]
	v_mul_f64_e32 v[10:11], v[14:15], v[10:11]
	v_fmac_f64_e32 v[2:3], v[6:7], v[174:175]
	v_fma_f64 v[4:5], v[4:5], v[174:175], -v[134:135]
	v_add_f64_e32 v[6:7], v[128:129], v[126:127]
	v_add_f64_e32 v[126:127], v[130:131], v[136:137]
	v_fmac_f64_e32 v[132:133], v[14:15], v[8:9]
	v_fma_f64 v[8:9], v[12:13], v[8:9], -v[10:11]
	s_delay_alu instid0(VALU_DEP_4) | instskip(NEXT) | instid1(VALU_DEP_4)
	v_add_f64_e32 v[4:5], v[6:7], v[4:5]
	v_add_f64_e32 v[2:3], v[126:127], v[2:3]
	s_delay_alu instid0(VALU_DEP_2) | instskip(NEXT) | instid1(VALU_DEP_2)
	v_add_f64_e32 v[4:5], v[4:5], v[8:9]
	v_add_f64_e32 v[6:7], v[2:3], v[132:133]
	s_delay_alu instid0(VALU_DEP_2) | instskip(NEXT) | instid1(VALU_DEP_2)
	v_add_f64_e64 v[2:3], v[166:167], -v[4:5]
	v_add_f64_e64 v[4:5], v[168:169], -v[6:7]
	scratch_store_b128 off, v[2:5], off offset:624
	s_wait_xcnt 0x0
	v_cmpx_lt_u32_e32 38, v1
	s_cbranch_execz .LBB117_261
; %bb.260:
	scratch_load_b128 v[2:5], off, s31
	v_mov_b32_e32 v6, 0
	s_delay_alu instid0(VALU_DEP_1)
	v_dual_mov_b32 v7, v6 :: v_dual_mov_b32 v8, v6
	v_mov_b32_e32 v9, v6
	scratch_store_b128 off, v[6:9], off offset:608
	s_wait_loadcnt 0x0
	ds_store_b128 v124, v[2:5]
.LBB117_261:
	s_wait_xcnt 0x0
	s_or_b32 exec_lo, exec_lo, s2
	s_wait_storecnt_dscnt 0x0
	s_barrier_signal -1
	s_barrier_wait -1
	s_clause 0x9
	scratch_load_b128 v[4:7], off, off offset:624
	scratch_load_b128 v[8:11], off, off offset:640
	;; [unrolled: 1-line block ×10, first 2 shown]
	v_mov_b32_e32 v2, 0
	s_mov_b32 s2, exec_lo
	ds_load_b128 v[154:157], v2 offset:1488
	s_clause 0x2
	scratch_load_b128 v[158:161], off, off offset:784
	scratch_load_b128 v[162:165], off, off offset:608
	;; [unrolled: 1-line block ×3, first 2 shown]
	s_wait_loadcnt_dscnt 0xc00
	v_mul_f64_e32 v[174:175], v[156:157], v[6:7]
	v_mul_f64_e32 v[178:179], v[154:155], v[6:7]
	ds_load_b128 v[166:169], v2 offset:1504
	v_fma_f64 v[182:183], v[154:155], v[4:5], -v[174:175]
	v_fmac_f64_e32 v[178:179], v[156:157], v[4:5]
	ds_load_b128 v[4:7], v2 offset:1520
	s_wait_loadcnt_dscnt 0xb01
	v_mul_f64_e32 v[180:181], v[166:167], v[10:11]
	v_mul_f64_e32 v[10:11], v[168:169], v[10:11]
	scratch_load_b128 v[154:157], off, off offset:816
	ds_load_b128 v[174:177], v2 offset:1536
	s_wait_loadcnt_dscnt 0xb01
	v_mul_f64_e32 v[184:185], v[4:5], v[14:15]
	v_mul_f64_e32 v[14:15], v[6:7], v[14:15]
	v_add_f64_e32 v[178:179], 0, v[178:179]
	v_fmac_f64_e32 v[180:181], v[168:169], v[8:9]
	v_fma_f64 v[166:167], v[166:167], v[8:9], -v[10:11]
	v_add_f64_e32 v[168:169], 0, v[182:183]
	scratch_load_b128 v[8:11], off, off offset:832
	v_fmac_f64_e32 v[184:185], v[6:7], v[12:13]
	v_fma_f64 v[186:187], v[4:5], v[12:13], -v[14:15]
	ds_load_b128 v[4:7], v2 offset:1552
	s_wait_loadcnt_dscnt 0xb01
	v_mul_f64_e32 v[182:183], v[174:175], v[128:129]
	v_mul_f64_e32 v[128:129], v[176:177], v[128:129]
	scratch_load_b128 v[12:15], off, off offset:848
	v_add_f64_e32 v[178:179], v[178:179], v[180:181]
	v_add_f64_e32 v[188:189], v[168:169], v[166:167]
	ds_load_b128 v[166:169], v2 offset:1568
	s_wait_loadcnt_dscnt 0xb01
	v_mul_f64_e32 v[180:181], v[4:5], v[132:133]
	v_mul_f64_e32 v[132:133], v[6:7], v[132:133]
	v_fmac_f64_e32 v[182:183], v[176:177], v[126:127]
	v_fma_f64 v[126:127], v[174:175], v[126:127], -v[128:129]
	s_wait_loadcnt_dscnt 0xa00
	v_mul_f64_e32 v[176:177], v[166:167], v[136:137]
	v_mul_f64_e32 v[136:137], v[168:169], v[136:137]
	v_add_f64_e32 v[174:175], v[178:179], v[184:185]
	v_add_f64_e32 v[128:129], v[188:189], v[186:187]
	v_fmac_f64_e32 v[180:181], v[6:7], v[130:131]
	v_fma_f64 v[130:131], v[4:5], v[130:131], -v[132:133]
	v_fmac_f64_e32 v[176:177], v[168:169], v[134:135]
	v_fma_f64 v[134:135], v[166:167], v[134:135], -v[136:137]
	v_add_f64_e32 v[174:175], v[174:175], v[182:183]
	v_add_f64_e32 v[132:133], v[128:129], v[126:127]
	ds_load_b128 v[4:7], v2 offset:1584
	ds_load_b128 v[126:129], v2 offset:1600
	s_wait_loadcnt_dscnt 0x901
	v_mul_f64_e32 v[178:179], v[4:5], v[140:141]
	v_mul_f64_e32 v[140:141], v[6:7], v[140:141]
	s_wait_loadcnt_dscnt 0x800
	v_mul_f64_e32 v[136:137], v[126:127], v[144:145]
	v_mul_f64_e32 v[144:145], v[128:129], v[144:145]
	v_add_f64_e32 v[130:131], v[132:133], v[130:131]
	v_add_f64_e32 v[132:133], v[174:175], v[180:181]
	v_fmac_f64_e32 v[178:179], v[6:7], v[138:139]
	v_fma_f64 v[138:139], v[4:5], v[138:139], -v[140:141]
	v_fmac_f64_e32 v[136:137], v[128:129], v[142:143]
	v_fma_f64 v[126:127], v[126:127], v[142:143], -v[144:145]
	v_add_f64_e32 v[134:135], v[130:131], v[134:135]
	v_add_f64_e32 v[140:141], v[132:133], v[176:177]
	ds_load_b128 v[4:7], v2 offset:1616
	ds_load_b128 v[130:133], v2 offset:1632
	s_wait_loadcnt_dscnt 0x701
	v_mul_f64_e32 v[166:167], v[4:5], v[148:149]
	v_mul_f64_e32 v[148:149], v[6:7], v[148:149]
	v_add_f64_e32 v[128:129], v[134:135], v[138:139]
	v_add_f64_e32 v[134:135], v[140:141], v[178:179]
	s_wait_loadcnt_dscnt 0x600
	v_mul_f64_e32 v[138:139], v[130:131], v[152:153]
	v_mul_f64_e32 v[140:141], v[132:133], v[152:153]
	v_fmac_f64_e32 v[166:167], v[6:7], v[146:147]
	v_fma_f64 v[142:143], v[4:5], v[146:147], -v[148:149]
	v_add_f64_e32 v[144:145], v[128:129], v[126:127]
	v_add_f64_e32 v[134:135], v[134:135], v[136:137]
	ds_load_b128 v[4:7], v2 offset:1648
	ds_load_b128 v[126:129], v2 offset:1664
	v_fmac_f64_e32 v[138:139], v[132:133], v[150:151]
	v_fma_f64 v[130:131], v[130:131], v[150:151], -v[140:141]
	s_wait_loadcnt_dscnt 0x501
	v_mul_f64_e32 v[136:137], v[4:5], v[160:161]
	v_mul_f64_e32 v[146:147], v[6:7], v[160:161]
	s_wait_loadcnt_dscnt 0x300
	v_mul_f64_e32 v[140:141], v[126:127], v[172:173]
	v_add_f64_e32 v[132:133], v[144:145], v[142:143]
	v_add_f64_e32 v[134:135], v[134:135], v[166:167]
	v_mul_f64_e32 v[142:143], v[128:129], v[172:173]
	v_fmac_f64_e32 v[136:137], v[6:7], v[158:159]
	v_fma_f64 v[144:145], v[4:5], v[158:159], -v[146:147]
	v_fmac_f64_e32 v[140:141], v[128:129], v[170:171]
	v_add_f64_e32 v[146:147], v[132:133], v[130:131]
	v_add_f64_e32 v[134:135], v[134:135], v[138:139]
	ds_load_b128 v[4:7], v2 offset:1680
	ds_load_b128 v[130:133], v2 offset:1696
	v_fma_f64 v[126:127], v[126:127], v[170:171], -v[142:143]
	s_wait_loadcnt_dscnt 0x201
	v_mul_f64_e32 v[138:139], v[4:5], v[156:157]
	v_mul_f64_e32 v[148:149], v[6:7], v[156:157]
	v_add_f64_e32 v[128:129], v[146:147], v[144:145]
	v_add_f64_e32 v[134:135], v[134:135], v[136:137]
	s_wait_loadcnt_dscnt 0x100
	v_mul_f64_e32 v[136:137], v[130:131], v[10:11]
	v_mul_f64_e32 v[10:11], v[132:133], v[10:11]
	v_fmac_f64_e32 v[138:139], v[6:7], v[154:155]
	v_fma_f64 v[142:143], v[4:5], v[154:155], -v[148:149]
	ds_load_b128 v[4:7], v2 offset:1712
	v_add_f64_e32 v[126:127], v[128:129], v[126:127]
	v_add_f64_e32 v[128:129], v[134:135], v[140:141]
	v_fmac_f64_e32 v[136:137], v[132:133], v[8:9]
	v_fma_f64 v[8:9], v[130:131], v[8:9], -v[10:11]
	s_wait_loadcnt_dscnt 0x0
	v_mul_f64_e32 v[134:135], v[4:5], v[14:15]
	v_mul_f64_e32 v[14:15], v[6:7], v[14:15]
	v_add_f64_e32 v[10:11], v[126:127], v[142:143]
	v_add_f64_e32 v[126:127], v[128:129], v[138:139]
	s_delay_alu instid0(VALU_DEP_4) | instskip(NEXT) | instid1(VALU_DEP_4)
	v_fmac_f64_e32 v[134:135], v[6:7], v[12:13]
	v_fma_f64 v[4:5], v[4:5], v[12:13], -v[14:15]
	s_delay_alu instid0(VALU_DEP_4) | instskip(NEXT) | instid1(VALU_DEP_4)
	v_add_f64_e32 v[6:7], v[10:11], v[8:9]
	v_add_f64_e32 v[8:9], v[126:127], v[136:137]
	s_delay_alu instid0(VALU_DEP_2) | instskip(NEXT) | instid1(VALU_DEP_2)
	v_add_f64_e32 v[4:5], v[6:7], v[4:5]
	v_add_f64_e32 v[6:7], v[8:9], v[134:135]
	s_delay_alu instid0(VALU_DEP_2) | instskip(NEXT) | instid1(VALU_DEP_2)
	v_add_f64_e64 v[4:5], v[162:163], -v[4:5]
	v_add_f64_e64 v[6:7], v[164:165], -v[6:7]
	scratch_store_b128 off, v[4:7], off offset:608
	s_wait_xcnt 0x0
	v_cmpx_lt_u32_e32 37, v1
	s_cbranch_execz .LBB117_263
; %bb.262:
	scratch_load_b128 v[6:9], off, s33
	v_dual_mov_b32 v3, v2 :: v_dual_mov_b32 v4, v2
	v_mov_b32_e32 v5, v2
	scratch_store_b128 off, v[2:5], off offset:592
	s_wait_loadcnt 0x0
	ds_store_b128 v124, v[6:9]
.LBB117_263:
	s_wait_xcnt 0x0
	s_or_b32 exec_lo, exec_lo, s2
	s_wait_storecnt_dscnt 0x0
	s_barrier_signal -1
	s_barrier_wait -1
	s_clause 0x9
	scratch_load_b128 v[4:7], off, off offset:608
	scratch_load_b128 v[8:11], off, off offset:624
	scratch_load_b128 v[12:15], off, off offset:640
	scratch_load_b128 v[126:129], off, off offset:656
	scratch_load_b128 v[130:133], off, off offset:672
	scratch_load_b128 v[134:137], off, off offset:688
	scratch_load_b128 v[138:141], off, off offset:704
	scratch_load_b128 v[142:145], off, off offset:720
	scratch_load_b128 v[146:149], off, off offset:736
	scratch_load_b128 v[150:153], off, off offset:752
	ds_load_b128 v[154:157], v2 offset:1472
	ds_load_b128 v[162:165], v2 offset:1488
	s_clause 0x2
	scratch_load_b128 v[158:161], off, off offset:768
	scratch_load_b128 v[166:169], off, off offset:592
	;; [unrolled: 1-line block ×3, first 2 shown]
	s_mov_b32 s2, exec_lo
	s_wait_loadcnt_dscnt 0xc01
	v_mul_f64_e32 v[174:175], v[156:157], v[6:7]
	v_mul_f64_e32 v[178:179], v[154:155], v[6:7]
	s_wait_loadcnt_dscnt 0xb00
	v_mul_f64_e32 v[180:181], v[162:163], v[10:11]
	v_mul_f64_e32 v[10:11], v[164:165], v[10:11]
	s_delay_alu instid0(VALU_DEP_4) | instskip(NEXT) | instid1(VALU_DEP_4)
	v_fma_f64 v[182:183], v[154:155], v[4:5], -v[174:175]
	v_fmac_f64_e32 v[178:179], v[156:157], v[4:5]
	ds_load_b128 v[4:7], v2 offset:1504
	ds_load_b128 v[154:157], v2 offset:1520
	scratch_load_b128 v[174:177], off, off offset:800
	v_fmac_f64_e32 v[180:181], v[164:165], v[8:9]
	v_fma_f64 v[162:163], v[162:163], v[8:9], -v[10:11]
	scratch_load_b128 v[8:11], off, off offset:816
	s_wait_loadcnt_dscnt 0xc01
	v_mul_f64_e32 v[184:185], v[4:5], v[14:15]
	v_mul_f64_e32 v[14:15], v[6:7], v[14:15]
	v_add_f64_e32 v[164:165], 0, v[182:183]
	v_add_f64_e32 v[178:179], 0, v[178:179]
	s_wait_loadcnt_dscnt 0xb00
	v_mul_f64_e32 v[182:183], v[154:155], v[128:129]
	v_mul_f64_e32 v[128:129], v[156:157], v[128:129]
	v_fmac_f64_e32 v[184:185], v[6:7], v[12:13]
	v_fma_f64 v[186:187], v[4:5], v[12:13], -v[14:15]
	ds_load_b128 v[4:7], v2 offset:1536
	ds_load_b128 v[12:15], v2 offset:1552
	v_add_f64_e32 v[188:189], v[164:165], v[162:163]
	v_add_f64_e32 v[178:179], v[178:179], v[180:181]
	scratch_load_b128 v[162:165], off, off offset:832
	v_fmac_f64_e32 v[182:183], v[156:157], v[126:127]
	v_fma_f64 v[154:155], v[154:155], v[126:127], -v[128:129]
	scratch_load_b128 v[126:129], off, off offset:848
	s_wait_loadcnt_dscnt 0xc01
	v_mul_f64_e32 v[180:181], v[4:5], v[132:133]
	v_mul_f64_e32 v[132:133], v[6:7], v[132:133]
	v_add_f64_e32 v[156:157], v[188:189], v[186:187]
	v_add_f64_e32 v[178:179], v[178:179], v[184:185]
	s_wait_loadcnt_dscnt 0xb00
	v_mul_f64_e32 v[184:185], v[12:13], v[136:137]
	v_mul_f64_e32 v[136:137], v[14:15], v[136:137]
	v_fmac_f64_e32 v[180:181], v[6:7], v[130:131]
	v_fma_f64 v[186:187], v[4:5], v[130:131], -v[132:133]
	ds_load_b128 v[4:7], v2 offset:1568
	ds_load_b128 v[130:133], v2 offset:1584
	v_add_f64_e32 v[154:155], v[156:157], v[154:155]
	v_add_f64_e32 v[156:157], v[178:179], v[182:183]
	s_wait_loadcnt_dscnt 0xa01
	v_mul_f64_e32 v[178:179], v[4:5], v[140:141]
	v_mul_f64_e32 v[140:141], v[6:7], v[140:141]
	v_fmac_f64_e32 v[184:185], v[14:15], v[134:135]
	v_fma_f64 v[12:13], v[12:13], v[134:135], -v[136:137]
	s_wait_loadcnt_dscnt 0x900
	v_mul_f64_e32 v[136:137], v[130:131], v[144:145]
	v_mul_f64_e32 v[144:145], v[132:133], v[144:145]
	v_add_f64_e32 v[14:15], v[154:155], v[186:187]
	v_add_f64_e32 v[134:135], v[156:157], v[180:181]
	v_fmac_f64_e32 v[178:179], v[6:7], v[138:139]
	v_fma_f64 v[138:139], v[4:5], v[138:139], -v[140:141]
	v_fmac_f64_e32 v[136:137], v[132:133], v[142:143]
	v_fma_f64 v[130:131], v[130:131], v[142:143], -v[144:145]
	v_add_f64_e32 v[140:141], v[14:15], v[12:13]
	v_add_f64_e32 v[134:135], v[134:135], v[184:185]
	ds_load_b128 v[4:7], v2 offset:1600
	ds_load_b128 v[12:15], v2 offset:1616
	s_wait_loadcnt_dscnt 0x801
	v_mul_f64_e32 v[154:155], v[4:5], v[148:149]
	v_mul_f64_e32 v[148:149], v[6:7], v[148:149]
	v_add_f64_e32 v[132:133], v[140:141], v[138:139]
	v_add_f64_e32 v[134:135], v[134:135], v[178:179]
	s_wait_loadcnt_dscnt 0x700
	v_mul_f64_e32 v[138:139], v[12:13], v[152:153]
	v_mul_f64_e32 v[140:141], v[14:15], v[152:153]
	v_fmac_f64_e32 v[154:155], v[6:7], v[146:147]
	v_fma_f64 v[142:143], v[4:5], v[146:147], -v[148:149]
	v_add_f64_e32 v[144:145], v[132:133], v[130:131]
	v_add_f64_e32 v[134:135], v[134:135], v[136:137]
	ds_load_b128 v[4:7], v2 offset:1632
	ds_load_b128 v[130:133], v2 offset:1648
	v_fmac_f64_e32 v[138:139], v[14:15], v[150:151]
	v_fma_f64 v[12:13], v[12:13], v[150:151], -v[140:141]
	s_wait_loadcnt_dscnt 0x601
	v_mul_f64_e32 v[136:137], v[4:5], v[160:161]
	v_mul_f64_e32 v[146:147], v[6:7], v[160:161]
	s_wait_loadcnt_dscnt 0x400
	v_mul_f64_e32 v[140:141], v[130:131], v[172:173]
	v_add_f64_e32 v[14:15], v[144:145], v[142:143]
	v_add_f64_e32 v[134:135], v[134:135], v[154:155]
	v_mul_f64_e32 v[142:143], v[132:133], v[172:173]
	v_fmac_f64_e32 v[136:137], v[6:7], v[158:159]
	v_fma_f64 v[144:145], v[4:5], v[158:159], -v[146:147]
	v_fmac_f64_e32 v[140:141], v[132:133], v[170:171]
	v_add_f64_e32 v[146:147], v[14:15], v[12:13]
	v_add_f64_e32 v[134:135], v[134:135], v[138:139]
	ds_load_b128 v[4:7], v2 offset:1664
	ds_load_b128 v[12:15], v2 offset:1680
	v_fma_f64 v[130:131], v[130:131], v[170:171], -v[142:143]
	s_wait_loadcnt_dscnt 0x301
	v_mul_f64_e32 v[138:139], v[4:5], v[176:177]
	v_mul_f64_e32 v[148:149], v[6:7], v[176:177]
	v_add_f64_e32 v[132:133], v[146:147], v[144:145]
	v_add_f64_e32 v[134:135], v[134:135], v[136:137]
	s_wait_loadcnt_dscnt 0x200
	v_mul_f64_e32 v[136:137], v[12:13], v[10:11]
	v_mul_f64_e32 v[10:11], v[14:15], v[10:11]
	v_fmac_f64_e32 v[138:139], v[6:7], v[174:175]
	v_fma_f64 v[142:143], v[4:5], v[174:175], -v[148:149]
	v_add_f64_e32 v[144:145], v[132:133], v[130:131]
	v_add_f64_e32 v[134:135], v[134:135], v[140:141]
	ds_load_b128 v[4:7], v2 offset:1696
	ds_load_b128 v[130:133], v2 offset:1712
	v_fmac_f64_e32 v[136:137], v[14:15], v[8:9]
	v_fma_f64 v[8:9], v[12:13], v[8:9], -v[10:11]
	s_wait_loadcnt_dscnt 0x101
	v_mul_f64_e32 v[2:3], v[4:5], v[164:165]
	v_mul_f64_e32 v[140:141], v[6:7], v[164:165]
	s_wait_loadcnt_dscnt 0x0
	v_mul_f64_e32 v[14:15], v[130:131], v[128:129]
	v_mul_f64_e32 v[128:129], v[132:133], v[128:129]
	v_add_f64_e32 v[10:11], v[144:145], v[142:143]
	v_add_f64_e32 v[12:13], v[134:135], v[138:139]
	v_fmac_f64_e32 v[2:3], v[6:7], v[162:163]
	v_fma_f64 v[4:5], v[4:5], v[162:163], -v[140:141]
	v_fmac_f64_e32 v[14:15], v[132:133], v[126:127]
	v_add_f64_e32 v[6:7], v[10:11], v[8:9]
	v_add_f64_e32 v[8:9], v[12:13], v[136:137]
	v_fma_f64 v[10:11], v[130:131], v[126:127], -v[128:129]
	s_delay_alu instid0(VALU_DEP_3) | instskip(NEXT) | instid1(VALU_DEP_3)
	v_add_f64_e32 v[4:5], v[6:7], v[4:5]
	v_add_f64_e32 v[2:3], v[8:9], v[2:3]
	s_delay_alu instid0(VALU_DEP_2) | instskip(NEXT) | instid1(VALU_DEP_2)
	v_add_f64_e32 v[4:5], v[4:5], v[10:11]
	v_add_f64_e32 v[6:7], v[2:3], v[14:15]
	s_delay_alu instid0(VALU_DEP_2) | instskip(NEXT) | instid1(VALU_DEP_2)
	v_add_f64_e64 v[2:3], v[166:167], -v[4:5]
	v_add_f64_e64 v[4:5], v[168:169], -v[6:7]
	scratch_store_b128 off, v[2:5], off offset:592
	s_wait_xcnt 0x0
	v_cmpx_lt_u32_e32 36, v1
	s_cbranch_execz .LBB117_265
; %bb.264:
	scratch_load_b128 v[2:5], off, s34
	v_mov_b32_e32 v6, 0
	s_delay_alu instid0(VALU_DEP_1)
	v_dual_mov_b32 v7, v6 :: v_dual_mov_b32 v8, v6
	v_mov_b32_e32 v9, v6
	scratch_store_b128 off, v[6:9], off offset:576
	s_wait_loadcnt 0x0
	ds_store_b128 v124, v[2:5]
.LBB117_265:
	s_wait_xcnt 0x0
	s_or_b32 exec_lo, exec_lo, s2
	s_wait_storecnt_dscnt 0x0
	s_barrier_signal -1
	s_barrier_wait -1
	s_clause 0x9
	scratch_load_b128 v[4:7], off, off offset:592
	scratch_load_b128 v[8:11], off, off offset:608
	;; [unrolled: 1-line block ×10, first 2 shown]
	v_mov_b32_e32 v2, 0
	s_mov_b32 s2, exec_lo
	ds_load_b128 v[154:157], v2 offset:1456
	s_clause 0x2
	scratch_load_b128 v[158:161], off, off offset:752
	scratch_load_b128 v[162:165], off, off offset:576
	scratch_load_b128 v[170:173], off, off offset:768
	s_wait_loadcnt_dscnt 0xc00
	v_mul_f64_e32 v[174:175], v[156:157], v[6:7]
	v_mul_f64_e32 v[178:179], v[154:155], v[6:7]
	ds_load_b128 v[166:169], v2 offset:1472
	v_fma_f64 v[182:183], v[154:155], v[4:5], -v[174:175]
	v_fmac_f64_e32 v[178:179], v[156:157], v[4:5]
	ds_load_b128 v[4:7], v2 offset:1488
	s_wait_loadcnt_dscnt 0xb01
	v_mul_f64_e32 v[180:181], v[166:167], v[10:11]
	v_mul_f64_e32 v[10:11], v[168:169], v[10:11]
	scratch_load_b128 v[154:157], off, off offset:784
	ds_load_b128 v[174:177], v2 offset:1504
	s_wait_loadcnt_dscnt 0xb01
	v_mul_f64_e32 v[184:185], v[4:5], v[14:15]
	v_mul_f64_e32 v[14:15], v[6:7], v[14:15]
	v_add_f64_e32 v[178:179], 0, v[178:179]
	v_fmac_f64_e32 v[180:181], v[168:169], v[8:9]
	v_fma_f64 v[166:167], v[166:167], v[8:9], -v[10:11]
	v_add_f64_e32 v[168:169], 0, v[182:183]
	scratch_load_b128 v[8:11], off, off offset:800
	v_fmac_f64_e32 v[184:185], v[6:7], v[12:13]
	v_fma_f64 v[186:187], v[4:5], v[12:13], -v[14:15]
	ds_load_b128 v[4:7], v2 offset:1520
	s_wait_loadcnt_dscnt 0xb01
	v_mul_f64_e32 v[182:183], v[174:175], v[128:129]
	v_mul_f64_e32 v[128:129], v[176:177], v[128:129]
	scratch_load_b128 v[12:15], off, off offset:816
	v_add_f64_e32 v[178:179], v[178:179], v[180:181]
	v_add_f64_e32 v[188:189], v[168:169], v[166:167]
	ds_load_b128 v[166:169], v2 offset:1536
	s_wait_loadcnt_dscnt 0xb01
	v_mul_f64_e32 v[180:181], v[4:5], v[132:133]
	v_mul_f64_e32 v[132:133], v[6:7], v[132:133]
	v_fmac_f64_e32 v[182:183], v[176:177], v[126:127]
	v_fma_f64 v[174:175], v[174:175], v[126:127], -v[128:129]
	scratch_load_b128 v[126:129], off, off offset:832
	v_add_f64_e32 v[178:179], v[178:179], v[184:185]
	v_add_f64_e32 v[176:177], v[188:189], v[186:187]
	v_fmac_f64_e32 v[180:181], v[6:7], v[130:131]
	v_fma_f64 v[186:187], v[4:5], v[130:131], -v[132:133]
	ds_load_b128 v[4:7], v2 offset:1552
	s_wait_loadcnt_dscnt 0xb01
	v_mul_f64_e32 v[184:185], v[166:167], v[136:137]
	v_mul_f64_e32 v[136:137], v[168:169], v[136:137]
	scratch_load_b128 v[130:133], off, off offset:848
	v_add_f64_e32 v[178:179], v[178:179], v[182:183]
	s_wait_loadcnt_dscnt 0xb00
	v_mul_f64_e32 v[182:183], v[4:5], v[140:141]
	v_add_f64_e32 v[188:189], v[176:177], v[174:175]
	v_mul_f64_e32 v[140:141], v[6:7], v[140:141]
	ds_load_b128 v[174:177], v2 offset:1568
	v_fmac_f64_e32 v[184:185], v[168:169], v[134:135]
	v_fma_f64 v[134:135], v[166:167], v[134:135], -v[136:137]
	s_wait_loadcnt_dscnt 0xa00
	v_mul_f64_e32 v[168:169], v[174:175], v[144:145]
	v_mul_f64_e32 v[144:145], v[176:177], v[144:145]
	v_add_f64_e32 v[166:167], v[178:179], v[180:181]
	v_fmac_f64_e32 v[182:183], v[6:7], v[138:139]
	v_add_f64_e32 v[136:137], v[188:189], v[186:187]
	v_fma_f64 v[138:139], v[4:5], v[138:139], -v[140:141]
	v_fmac_f64_e32 v[168:169], v[176:177], v[142:143]
	v_fma_f64 v[142:143], v[174:175], v[142:143], -v[144:145]
	v_add_f64_e32 v[166:167], v[166:167], v[184:185]
	v_add_f64_e32 v[140:141], v[136:137], v[134:135]
	ds_load_b128 v[4:7], v2 offset:1584
	ds_load_b128 v[134:137], v2 offset:1600
	s_wait_loadcnt_dscnt 0x901
	v_mul_f64_e32 v[178:179], v[4:5], v[148:149]
	v_mul_f64_e32 v[148:149], v[6:7], v[148:149]
	s_wait_loadcnt_dscnt 0x800
	v_mul_f64_e32 v[144:145], v[134:135], v[152:153]
	v_mul_f64_e32 v[152:153], v[136:137], v[152:153]
	v_add_f64_e32 v[138:139], v[140:141], v[138:139]
	v_add_f64_e32 v[140:141], v[166:167], v[182:183]
	v_fmac_f64_e32 v[178:179], v[6:7], v[146:147]
	v_fma_f64 v[146:147], v[4:5], v[146:147], -v[148:149]
	v_fmac_f64_e32 v[144:145], v[136:137], v[150:151]
	v_fma_f64 v[134:135], v[134:135], v[150:151], -v[152:153]
	v_add_f64_e32 v[142:143], v[138:139], v[142:143]
	v_add_f64_e32 v[148:149], v[140:141], v[168:169]
	ds_load_b128 v[4:7], v2 offset:1616
	ds_load_b128 v[138:141], v2 offset:1632
	s_wait_loadcnt_dscnt 0x701
	v_mul_f64_e32 v[166:167], v[4:5], v[160:161]
	v_mul_f64_e32 v[160:161], v[6:7], v[160:161]
	v_add_f64_e32 v[136:137], v[142:143], v[146:147]
	v_add_f64_e32 v[142:143], v[148:149], v[178:179]
	s_wait_loadcnt_dscnt 0x500
	v_mul_f64_e32 v[146:147], v[138:139], v[172:173]
	v_mul_f64_e32 v[148:149], v[140:141], v[172:173]
	v_fmac_f64_e32 v[166:167], v[6:7], v[158:159]
	v_fma_f64 v[150:151], v[4:5], v[158:159], -v[160:161]
	v_add_f64_e32 v[152:153], v[136:137], v[134:135]
	v_add_f64_e32 v[142:143], v[142:143], v[144:145]
	ds_load_b128 v[4:7], v2 offset:1648
	ds_load_b128 v[134:137], v2 offset:1664
	v_fmac_f64_e32 v[146:147], v[140:141], v[170:171]
	v_fma_f64 v[138:139], v[138:139], v[170:171], -v[148:149]
	s_wait_loadcnt_dscnt 0x401
	v_mul_f64_e32 v[144:145], v[4:5], v[156:157]
	v_mul_f64_e32 v[156:157], v[6:7], v[156:157]
	v_add_f64_e32 v[140:141], v[152:153], v[150:151]
	v_add_f64_e32 v[142:143], v[142:143], v[166:167]
	s_wait_loadcnt_dscnt 0x300
	v_mul_f64_e32 v[148:149], v[134:135], v[10:11]
	v_mul_f64_e32 v[10:11], v[136:137], v[10:11]
	v_fmac_f64_e32 v[144:145], v[6:7], v[154:155]
	v_fma_f64 v[150:151], v[4:5], v[154:155], -v[156:157]
	v_add_f64_e32 v[152:153], v[140:141], v[138:139]
	v_add_f64_e32 v[142:143], v[142:143], v[146:147]
	ds_load_b128 v[4:7], v2 offset:1680
	ds_load_b128 v[138:141], v2 offset:1696
	v_fmac_f64_e32 v[148:149], v[136:137], v[8:9]
	v_fma_f64 v[8:9], v[134:135], v[8:9], -v[10:11]
	s_wait_loadcnt_dscnt 0x201
	v_mul_f64_e32 v[146:147], v[4:5], v[14:15]
	v_mul_f64_e32 v[14:15], v[6:7], v[14:15]
	s_wait_loadcnt_dscnt 0x100
	v_mul_f64_e32 v[136:137], v[138:139], v[128:129]
	v_mul_f64_e32 v[128:129], v[140:141], v[128:129]
	v_add_f64_e32 v[10:11], v[152:153], v[150:151]
	v_add_f64_e32 v[134:135], v[142:143], v[144:145]
	v_fmac_f64_e32 v[146:147], v[6:7], v[12:13]
	v_fma_f64 v[12:13], v[4:5], v[12:13], -v[14:15]
	ds_load_b128 v[4:7], v2 offset:1712
	v_fmac_f64_e32 v[136:137], v[140:141], v[126:127]
	v_fma_f64 v[126:127], v[138:139], v[126:127], -v[128:129]
	v_add_f64_e32 v[8:9], v[10:11], v[8:9]
	v_add_f64_e32 v[10:11], v[134:135], v[148:149]
	s_wait_loadcnt_dscnt 0x0
	v_mul_f64_e32 v[14:15], v[4:5], v[132:133]
	v_mul_f64_e32 v[132:133], v[6:7], v[132:133]
	s_delay_alu instid0(VALU_DEP_4) | instskip(NEXT) | instid1(VALU_DEP_4)
	v_add_f64_e32 v[8:9], v[8:9], v[12:13]
	v_add_f64_e32 v[10:11], v[10:11], v[146:147]
	s_delay_alu instid0(VALU_DEP_4) | instskip(NEXT) | instid1(VALU_DEP_4)
	v_fmac_f64_e32 v[14:15], v[6:7], v[130:131]
	v_fma_f64 v[4:5], v[4:5], v[130:131], -v[132:133]
	s_delay_alu instid0(VALU_DEP_4) | instskip(NEXT) | instid1(VALU_DEP_4)
	v_add_f64_e32 v[6:7], v[8:9], v[126:127]
	v_add_f64_e32 v[8:9], v[10:11], v[136:137]
	s_delay_alu instid0(VALU_DEP_2) | instskip(NEXT) | instid1(VALU_DEP_2)
	v_add_f64_e32 v[4:5], v[6:7], v[4:5]
	v_add_f64_e32 v[6:7], v[8:9], v[14:15]
	s_delay_alu instid0(VALU_DEP_2) | instskip(NEXT) | instid1(VALU_DEP_2)
	v_add_f64_e64 v[4:5], v[162:163], -v[4:5]
	v_add_f64_e64 v[6:7], v[164:165], -v[6:7]
	scratch_store_b128 off, v[4:7], off offset:576
	s_wait_xcnt 0x0
	v_cmpx_lt_u32_e32 35, v1
	s_cbranch_execz .LBB117_267
; %bb.266:
	scratch_load_b128 v[6:9], off, s35
	v_dual_mov_b32 v3, v2 :: v_dual_mov_b32 v4, v2
	v_mov_b32_e32 v5, v2
	scratch_store_b128 off, v[2:5], off offset:560
	s_wait_loadcnt 0x0
	ds_store_b128 v124, v[6:9]
.LBB117_267:
	s_wait_xcnt 0x0
	s_or_b32 exec_lo, exec_lo, s2
	s_wait_storecnt_dscnt 0x0
	s_barrier_signal -1
	s_barrier_wait -1
	s_clause 0x9
	scratch_load_b128 v[4:7], off, off offset:576
	scratch_load_b128 v[8:11], off, off offset:592
	;; [unrolled: 1-line block ×10, first 2 shown]
	ds_load_b128 v[154:157], v2 offset:1440
	ds_load_b128 v[162:165], v2 offset:1456
	s_clause 0x2
	scratch_load_b128 v[158:161], off, off offset:736
	scratch_load_b128 v[166:169], off, off offset:560
	scratch_load_b128 v[170:173], off, off offset:752
	s_mov_b32 s2, exec_lo
	s_wait_loadcnt_dscnt 0xc01
	v_mul_f64_e32 v[174:175], v[156:157], v[6:7]
	v_mul_f64_e32 v[178:179], v[154:155], v[6:7]
	s_wait_loadcnt_dscnt 0xb00
	v_mul_f64_e32 v[180:181], v[162:163], v[10:11]
	v_mul_f64_e32 v[10:11], v[164:165], v[10:11]
	s_delay_alu instid0(VALU_DEP_4) | instskip(NEXT) | instid1(VALU_DEP_4)
	v_fma_f64 v[182:183], v[154:155], v[4:5], -v[174:175]
	v_fmac_f64_e32 v[178:179], v[156:157], v[4:5]
	ds_load_b128 v[4:7], v2 offset:1472
	ds_load_b128 v[154:157], v2 offset:1488
	scratch_load_b128 v[174:177], off, off offset:768
	v_fmac_f64_e32 v[180:181], v[164:165], v[8:9]
	v_fma_f64 v[162:163], v[162:163], v[8:9], -v[10:11]
	scratch_load_b128 v[8:11], off, off offset:784
	s_wait_loadcnt_dscnt 0xc01
	v_mul_f64_e32 v[184:185], v[4:5], v[14:15]
	v_mul_f64_e32 v[14:15], v[6:7], v[14:15]
	v_add_f64_e32 v[164:165], 0, v[182:183]
	v_add_f64_e32 v[178:179], 0, v[178:179]
	s_wait_loadcnt_dscnt 0xb00
	v_mul_f64_e32 v[182:183], v[154:155], v[128:129]
	v_mul_f64_e32 v[128:129], v[156:157], v[128:129]
	v_fmac_f64_e32 v[184:185], v[6:7], v[12:13]
	v_fma_f64 v[186:187], v[4:5], v[12:13], -v[14:15]
	ds_load_b128 v[4:7], v2 offset:1504
	ds_load_b128 v[12:15], v2 offset:1520
	v_add_f64_e32 v[188:189], v[164:165], v[162:163]
	v_add_f64_e32 v[178:179], v[178:179], v[180:181]
	scratch_load_b128 v[162:165], off, off offset:800
	v_fmac_f64_e32 v[182:183], v[156:157], v[126:127]
	v_fma_f64 v[154:155], v[154:155], v[126:127], -v[128:129]
	scratch_load_b128 v[126:129], off, off offset:816
	s_wait_loadcnt_dscnt 0xc01
	v_mul_f64_e32 v[180:181], v[4:5], v[132:133]
	v_mul_f64_e32 v[132:133], v[6:7], v[132:133]
	v_add_f64_e32 v[156:157], v[188:189], v[186:187]
	v_add_f64_e32 v[178:179], v[178:179], v[184:185]
	s_wait_loadcnt_dscnt 0xb00
	v_mul_f64_e32 v[184:185], v[12:13], v[136:137]
	v_mul_f64_e32 v[136:137], v[14:15], v[136:137]
	v_fmac_f64_e32 v[180:181], v[6:7], v[130:131]
	v_fma_f64 v[186:187], v[4:5], v[130:131], -v[132:133]
	ds_load_b128 v[4:7], v2 offset:1536
	ds_load_b128 v[130:133], v2 offset:1552
	v_add_f64_e32 v[188:189], v[156:157], v[154:155]
	v_add_f64_e32 v[178:179], v[178:179], v[182:183]
	scratch_load_b128 v[154:157], off, off offset:832
	s_wait_loadcnt_dscnt 0xb01
	v_mul_f64_e32 v[182:183], v[4:5], v[140:141]
	v_mul_f64_e32 v[140:141], v[6:7], v[140:141]
	v_fmac_f64_e32 v[184:185], v[14:15], v[134:135]
	v_fma_f64 v[134:135], v[12:13], v[134:135], -v[136:137]
	scratch_load_b128 v[12:15], off, off offset:848
	v_add_f64_e32 v[136:137], v[188:189], v[186:187]
	v_add_f64_e32 v[178:179], v[178:179], v[180:181]
	s_wait_loadcnt_dscnt 0xb00
	v_mul_f64_e32 v[180:181], v[130:131], v[144:145]
	v_mul_f64_e32 v[144:145], v[132:133], v[144:145]
	v_fmac_f64_e32 v[182:183], v[6:7], v[138:139]
	v_fma_f64 v[138:139], v[4:5], v[138:139], -v[140:141]
	v_add_f64_e32 v[140:141], v[136:137], v[134:135]
	v_add_f64_e32 v[178:179], v[178:179], v[184:185]
	ds_load_b128 v[4:7], v2 offset:1568
	ds_load_b128 v[134:137], v2 offset:1584
	v_fmac_f64_e32 v[180:181], v[132:133], v[142:143]
	v_fma_f64 v[130:131], v[130:131], v[142:143], -v[144:145]
	s_wait_loadcnt_dscnt 0xa01
	v_mul_f64_e32 v[184:185], v[4:5], v[148:149]
	v_mul_f64_e32 v[148:149], v[6:7], v[148:149]
	s_wait_loadcnt_dscnt 0x900
	v_mul_f64_e32 v[142:143], v[136:137], v[152:153]
	v_add_f64_e32 v[132:133], v[140:141], v[138:139]
	v_add_f64_e32 v[138:139], v[178:179], v[182:183]
	v_mul_f64_e32 v[140:141], v[134:135], v[152:153]
	v_fmac_f64_e32 v[184:185], v[6:7], v[146:147]
	v_fma_f64 v[144:145], v[4:5], v[146:147], -v[148:149]
	v_fma_f64 v[134:135], v[134:135], v[150:151], -v[142:143]
	v_add_f64_e32 v[146:147], v[132:133], v[130:131]
	v_add_f64_e32 v[138:139], v[138:139], v[180:181]
	ds_load_b128 v[4:7], v2 offset:1600
	ds_load_b128 v[130:133], v2 offset:1616
	v_fmac_f64_e32 v[140:141], v[136:137], v[150:151]
	s_wait_loadcnt_dscnt 0x801
	v_mul_f64_e32 v[148:149], v[4:5], v[160:161]
	v_mul_f64_e32 v[152:153], v[6:7], v[160:161]
	s_wait_loadcnt_dscnt 0x600
	v_mul_f64_e32 v[142:143], v[130:131], v[172:173]
	v_add_f64_e32 v[136:137], v[146:147], v[144:145]
	v_add_f64_e32 v[138:139], v[138:139], v[184:185]
	v_mul_f64_e32 v[144:145], v[132:133], v[172:173]
	v_fmac_f64_e32 v[148:149], v[6:7], v[158:159]
	v_fma_f64 v[146:147], v[4:5], v[158:159], -v[152:153]
	v_fmac_f64_e32 v[142:143], v[132:133], v[170:171]
	v_add_f64_e32 v[150:151], v[136:137], v[134:135]
	v_add_f64_e32 v[138:139], v[138:139], v[140:141]
	ds_load_b128 v[4:7], v2 offset:1632
	ds_load_b128 v[134:137], v2 offset:1648
	v_fma_f64 v[130:131], v[130:131], v[170:171], -v[144:145]
	s_wait_loadcnt_dscnt 0x501
	v_mul_f64_e32 v[140:141], v[4:5], v[176:177]
	v_mul_f64_e32 v[152:153], v[6:7], v[176:177]
	s_wait_loadcnt_dscnt 0x400
	v_mul_f64_e32 v[144:145], v[134:135], v[10:11]
	v_mul_f64_e32 v[10:11], v[136:137], v[10:11]
	v_add_f64_e32 v[132:133], v[150:151], v[146:147]
	v_add_f64_e32 v[138:139], v[138:139], v[148:149]
	v_fmac_f64_e32 v[140:141], v[6:7], v[174:175]
	v_fma_f64 v[146:147], v[4:5], v[174:175], -v[152:153]
	v_fmac_f64_e32 v[144:145], v[136:137], v[8:9]
	v_fma_f64 v[8:9], v[134:135], v[8:9], -v[10:11]
	v_add_f64_e32 v[148:149], v[132:133], v[130:131]
	v_add_f64_e32 v[138:139], v[138:139], v[142:143]
	ds_load_b128 v[4:7], v2 offset:1664
	ds_load_b128 v[130:133], v2 offset:1680
	s_wait_loadcnt_dscnt 0x301
	v_mul_f64_e32 v[142:143], v[4:5], v[164:165]
	v_mul_f64_e32 v[150:151], v[6:7], v[164:165]
	s_wait_loadcnt_dscnt 0x200
	v_mul_f64_e32 v[136:137], v[130:131], v[128:129]
	v_mul_f64_e32 v[128:129], v[132:133], v[128:129]
	v_add_f64_e32 v[10:11], v[148:149], v[146:147]
	v_add_f64_e32 v[134:135], v[138:139], v[140:141]
	v_fmac_f64_e32 v[142:143], v[6:7], v[162:163]
	v_fma_f64 v[138:139], v[4:5], v[162:163], -v[150:151]
	v_fmac_f64_e32 v[136:137], v[132:133], v[126:127]
	v_fma_f64 v[126:127], v[130:131], v[126:127], -v[128:129]
	v_add_f64_e32 v[140:141], v[10:11], v[8:9]
	v_add_f64_e32 v[134:135], v[134:135], v[144:145]
	ds_load_b128 v[4:7], v2 offset:1696
	ds_load_b128 v[8:11], v2 offset:1712
	s_wait_loadcnt_dscnt 0x101
	v_mul_f64_e32 v[2:3], v[4:5], v[156:157]
	v_mul_f64_e32 v[144:145], v[6:7], v[156:157]
	s_wait_loadcnt_dscnt 0x0
	v_mul_f64_e32 v[132:133], v[8:9], v[14:15]
	v_mul_f64_e32 v[14:15], v[10:11], v[14:15]
	v_add_f64_e32 v[128:129], v[140:141], v[138:139]
	v_add_f64_e32 v[130:131], v[134:135], v[142:143]
	v_fmac_f64_e32 v[2:3], v[6:7], v[154:155]
	v_fma_f64 v[4:5], v[4:5], v[154:155], -v[144:145]
	v_fmac_f64_e32 v[132:133], v[10:11], v[12:13]
	v_fma_f64 v[8:9], v[8:9], v[12:13], -v[14:15]
	v_add_f64_e32 v[6:7], v[128:129], v[126:127]
	v_add_f64_e32 v[126:127], v[130:131], v[136:137]
	s_delay_alu instid0(VALU_DEP_2) | instskip(NEXT) | instid1(VALU_DEP_2)
	v_add_f64_e32 v[4:5], v[6:7], v[4:5]
	v_add_f64_e32 v[2:3], v[126:127], v[2:3]
	s_delay_alu instid0(VALU_DEP_2) | instskip(NEXT) | instid1(VALU_DEP_2)
	;; [unrolled: 3-line block ×3, first 2 shown]
	v_add_f64_e64 v[2:3], v[166:167], -v[4:5]
	v_add_f64_e64 v[4:5], v[168:169], -v[6:7]
	scratch_store_b128 off, v[2:5], off offset:560
	s_wait_xcnt 0x0
	v_cmpx_lt_u32_e32 34, v1
	s_cbranch_execz .LBB117_269
; %bb.268:
	scratch_load_b128 v[2:5], off, s36
	v_mov_b32_e32 v6, 0
	s_delay_alu instid0(VALU_DEP_1)
	v_dual_mov_b32 v7, v6 :: v_dual_mov_b32 v8, v6
	v_mov_b32_e32 v9, v6
	scratch_store_b128 off, v[6:9], off offset:544
	s_wait_loadcnt 0x0
	ds_store_b128 v124, v[2:5]
.LBB117_269:
	s_wait_xcnt 0x0
	s_or_b32 exec_lo, exec_lo, s2
	s_wait_storecnt_dscnt 0x0
	s_barrier_signal -1
	s_barrier_wait -1
	s_clause 0x9
	scratch_load_b128 v[4:7], off, off offset:560
	scratch_load_b128 v[8:11], off, off offset:576
	;; [unrolled: 1-line block ×10, first 2 shown]
	v_mov_b32_e32 v2, 0
	s_mov_b32 s2, exec_lo
	ds_load_b128 v[154:157], v2 offset:1424
	s_clause 0x2
	scratch_load_b128 v[158:161], off, off offset:720
	scratch_load_b128 v[162:165], off, off offset:544
	scratch_load_b128 v[170:173], off, off offset:736
	s_wait_loadcnt_dscnt 0xc00
	v_mul_f64_e32 v[174:175], v[156:157], v[6:7]
	v_mul_f64_e32 v[178:179], v[154:155], v[6:7]
	ds_load_b128 v[166:169], v2 offset:1440
	v_fma_f64 v[182:183], v[154:155], v[4:5], -v[174:175]
	v_fmac_f64_e32 v[178:179], v[156:157], v[4:5]
	ds_load_b128 v[4:7], v2 offset:1456
	s_wait_loadcnt_dscnt 0xb01
	v_mul_f64_e32 v[180:181], v[166:167], v[10:11]
	v_mul_f64_e32 v[10:11], v[168:169], v[10:11]
	scratch_load_b128 v[154:157], off, off offset:752
	ds_load_b128 v[174:177], v2 offset:1472
	s_wait_loadcnt_dscnt 0xb01
	v_mul_f64_e32 v[184:185], v[4:5], v[14:15]
	v_mul_f64_e32 v[14:15], v[6:7], v[14:15]
	v_add_f64_e32 v[178:179], 0, v[178:179]
	v_fmac_f64_e32 v[180:181], v[168:169], v[8:9]
	v_fma_f64 v[166:167], v[166:167], v[8:9], -v[10:11]
	v_add_f64_e32 v[168:169], 0, v[182:183]
	scratch_load_b128 v[8:11], off, off offset:768
	v_fmac_f64_e32 v[184:185], v[6:7], v[12:13]
	v_fma_f64 v[186:187], v[4:5], v[12:13], -v[14:15]
	ds_load_b128 v[4:7], v2 offset:1488
	s_wait_loadcnt_dscnt 0xb01
	v_mul_f64_e32 v[182:183], v[174:175], v[128:129]
	v_mul_f64_e32 v[128:129], v[176:177], v[128:129]
	scratch_load_b128 v[12:15], off, off offset:784
	v_add_f64_e32 v[178:179], v[178:179], v[180:181]
	v_add_f64_e32 v[188:189], v[168:169], v[166:167]
	ds_load_b128 v[166:169], v2 offset:1504
	s_wait_loadcnt_dscnt 0xb01
	v_mul_f64_e32 v[180:181], v[4:5], v[132:133]
	v_mul_f64_e32 v[132:133], v[6:7], v[132:133]
	v_fmac_f64_e32 v[182:183], v[176:177], v[126:127]
	v_fma_f64 v[174:175], v[174:175], v[126:127], -v[128:129]
	scratch_load_b128 v[126:129], off, off offset:800
	v_add_f64_e32 v[178:179], v[178:179], v[184:185]
	v_add_f64_e32 v[176:177], v[188:189], v[186:187]
	v_fmac_f64_e32 v[180:181], v[6:7], v[130:131]
	v_fma_f64 v[186:187], v[4:5], v[130:131], -v[132:133]
	ds_load_b128 v[4:7], v2 offset:1520
	s_wait_loadcnt_dscnt 0xb01
	v_mul_f64_e32 v[184:185], v[166:167], v[136:137]
	v_mul_f64_e32 v[136:137], v[168:169], v[136:137]
	scratch_load_b128 v[130:133], off, off offset:816
	v_add_f64_e32 v[178:179], v[178:179], v[182:183]
	s_wait_loadcnt_dscnt 0xb00
	v_mul_f64_e32 v[182:183], v[4:5], v[140:141]
	v_add_f64_e32 v[188:189], v[176:177], v[174:175]
	v_mul_f64_e32 v[140:141], v[6:7], v[140:141]
	ds_load_b128 v[174:177], v2 offset:1536
	v_fmac_f64_e32 v[184:185], v[168:169], v[134:135]
	v_fma_f64 v[166:167], v[166:167], v[134:135], -v[136:137]
	scratch_load_b128 v[134:137], off, off offset:832
	v_add_f64_e32 v[178:179], v[178:179], v[180:181]
	v_fmac_f64_e32 v[182:183], v[6:7], v[138:139]
	v_add_f64_e32 v[168:169], v[188:189], v[186:187]
	v_fma_f64 v[186:187], v[4:5], v[138:139], -v[140:141]
	ds_load_b128 v[4:7], v2 offset:1552
	s_wait_loadcnt_dscnt 0xb01
	v_mul_f64_e32 v[180:181], v[174:175], v[144:145]
	v_mul_f64_e32 v[144:145], v[176:177], v[144:145]
	scratch_load_b128 v[138:141], off, off offset:848
	v_add_f64_e32 v[178:179], v[178:179], v[184:185]
	s_wait_loadcnt_dscnt 0xb00
	v_mul_f64_e32 v[184:185], v[4:5], v[148:149]
	v_add_f64_e32 v[188:189], v[168:169], v[166:167]
	v_mul_f64_e32 v[148:149], v[6:7], v[148:149]
	ds_load_b128 v[166:169], v2 offset:1568
	v_fmac_f64_e32 v[180:181], v[176:177], v[142:143]
	v_fma_f64 v[142:143], v[174:175], v[142:143], -v[144:145]
	s_wait_loadcnt_dscnt 0xa00
	v_mul_f64_e32 v[176:177], v[166:167], v[152:153]
	v_mul_f64_e32 v[152:153], v[168:169], v[152:153]
	v_add_f64_e32 v[174:175], v[178:179], v[182:183]
	v_fmac_f64_e32 v[184:185], v[6:7], v[146:147]
	v_add_f64_e32 v[144:145], v[188:189], v[186:187]
	v_fma_f64 v[146:147], v[4:5], v[146:147], -v[148:149]
	v_fmac_f64_e32 v[176:177], v[168:169], v[150:151]
	v_fma_f64 v[150:151], v[166:167], v[150:151], -v[152:153]
	v_add_f64_e32 v[174:175], v[174:175], v[180:181]
	v_add_f64_e32 v[148:149], v[144:145], v[142:143]
	ds_load_b128 v[4:7], v2 offset:1584
	ds_load_b128 v[142:145], v2 offset:1600
	s_wait_loadcnt_dscnt 0x901
	v_mul_f64_e32 v[178:179], v[4:5], v[160:161]
	v_mul_f64_e32 v[160:161], v[6:7], v[160:161]
	s_wait_loadcnt_dscnt 0x700
	v_mul_f64_e32 v[152:153], v[142:143], v[172:173]
	v_mul_f64_e32 v[166:167], v[144:145], v[172:173]
	v_add_f64_e32 v[146:147], v[148:149], v[146:147]
	v_add_f64_e32 v[148:149], v[174:175], v[184:185]
	v_fmac_f64_e32 v[178:179], v[6:7], v[158:159]
	v_fma_f64 v[158:159], v[4:5], v[158:159], -v[160:161]
	v_fmac_f64_e32 v[152:153], v[144:145], v[170:171]
	v_fma_f64 v[142:143], v[142:143], v[170:171], -v[166:167]
	v_add_f64_e32 v[150:151], v[146:147], v[150:151]
	v_add_f64_e32 v[160:161], v[148:149], v[176:177]
	ds_load_b128 v[4:7], v2 offset:1616
	ds_load_b128 v[146:149], v2 offset:1632
	s_wait_loadcnt_dscnt 0x601
	v_mul_f64_e32 v[168:169], v[4:5], v[156:157]
	v_mul_f64_e32 v[156:157], v[6:7], v[156:157]
	v_add_f64_e32 v[144:145], v[150:151], v[158:159]
	v_add_f64_e32 v[150:151], v[160:161], v[178:179]
	s_wait_loadcnt_dscnt 0x500
	v_mul_f64_e32 v[158:159], v[146:147], v[10:11]
	v_mul_f64_e32 v[10:11], v[148:149], v[10:11]
	v_fmac_f64_e32 v[168:169], v[6:7], v[154:155]
	v_fma_f64 v[154:155], v[4:5], v[154:155], -v[156:157]
	v_add_f64_e32 v[156:157], v[144:145], v[142:143]
	v_add_f64_e32 v[150:151], v[150:151], v[152:153]
	ds_load_b128 v[4:7], v2 offset:1648
	ds_load_b128 v[142:145], v2 offset:1664
	v_fmac_f64_e32 v[158:159], v[148:149], v[8:9]
	v_fma_f64 v[8:9], v[146:147], v[8:9], -v[10:11]
	s_wait_loadcnt_dscnt 0x401
	v_mul_f64_e32 v[152:153], v[4:5], v[14:15]
	v_mul_f64_e32 v[14:15], v[6:7], v[14:15]
	s_wait_loadcnt_dscnt 0x300
	v_mul_f64_e32 v[148:149], v[142:143], v[128:129]
	v_mul_f64_e32 v[128:129], v[144:145], v[128:129]
	v_add_f64_e32 v[10:11], v[156:157], v[154:155]
	v_add_f64_e32 v[146:147], v[150:151], v[168:169]
	v_fmac_f64_e32 v[152:153], v[6:7], v[12:13]
	v_fma_f64 v[12:13], v[4:5], v[12:13], -v[14:15]
	v_fmac_f64_e32 v[148:149], v[144:145], v[126:127]
	v_fma_f64 v[126:127], v[142:143], v[126:127], -v[128:129]
	v_add_f64_e32 v[14:15], v[10:11], v[8:9]
	v_add_f64_e32 v[146:147], v[146:147], v[158:159]
	ds_load_b128 v[4:7], v2 offset:1680
	ds_load_b128 v[8:11], v2 offset:1696
	s_wait_loadcnt_dscnt 0x201
	v_mul_f64_e32 v[150:151], v[4:5], v[132:133]
	v_mul_f64_e32 v[132:133], v[6:7], v[132:133]
	s_wait_loadcnt_dscnt 0x100
	v_mul_f64_e32 v[128:129], v[8:9], v[136:137]
	v_mul_f64_e32 v[136:137], v[10:11], v[136:137]
	v_add_f64_e32 v[12:13], v[14:15], v[12:13]
	v_add_f64_e32 v[14:15], v[146:147], v[152:153]
	v_fmac_f64_e32 v[150:151], v[6:7], v[130:131]
	v_fma_f64 v[130:131], v[4:5], v[130:131], -v[132:133]
	ds_load_b128 v[4:7], v2 offset:1712
	v_fmac_f64_e32 v[128:129], v[10:11], v[134:135]
	v_fma_f64 v[8:9], v[8:9], v[134:135], -v[136:137]
	v_add_f64_e32 v[12:13], v[12:13], v[126:127]
	v_add_f64_e32 v[14:15], v[14:15], v[148:149]
	s_wait_loadcnt_dscnt 0x0
	v_mul_f64_e32 v[126:127], v[4:5], v[140:141]
	v_mul_f64_e32 v[132:133], v[6:7], v[140:141]
	s_delay_alu instid0(VALU_DEP_4) | instskip(NEXT) | instid1(VALU_DEP_4)
	v_add_f64_e32 v[10:11], v[12:13], v[130:131]
	v_add_f64_e32 v[12:13], v[14:15], v[150:151]
	s_delay_alu instid0(VALU_DEP_4) | instskip(NEXT) | instid1(VALU_DEP_4)
	v_fmac_f64_e32 v[126:127], v[6:7], v[138:139]
	v_fma_f64 v[4:5], v[4:5], v[138:139], -v[132:133]
	s_delay_alu instid0(VALU_DEP_4) | instskip(NEXT) | instid1(VALU_DEP_4)
	v_add_f64_e32 v[6:7], v[10:11], v[8:9]
	v_add_f64_e32 v[8:9], v[12:13], v[128:129]
	s_delay_alu instid0(VALU_DEP_2) | instskip(NEXT) | instid1(VALU_DEP_2)
	v_add_f64_e32 v[4:5], v[6:7], v[4:5]
	v_add_f64_e32 v[6:7], v[8:9], v[126:127]
	s_delay_alu instid0(VALU_DEP_2) | instskip(NEXT) | instid1(VALU_DEP_2)
	v_add_f64_e64 v[4:5], v[162:163], -v[4:5]
	v_add_f64_e64 v[6:7], v[164:165], -v[6:7]
	scratch_store_b128 off, v[4:7], off offset:544
	s_wait_xcnt 0x0
	v_cmpx_lt_u32_e32 33, v1
	s_cbranch_execz .LBB117_271
; %bb.270:
	scratch_load_b128 v[6:9], off, s37
	v_dual_mov_b32 v3, v2 :: v_dual_mov_b32 v4, v2
	v_mov_b32_e32 v5, v2
	scratch_store_b128 off, v[2:5], off offset:528
	s_wait_loadcnt 0x0
	ds_store_b128 v124, v[6:9]
.LBB117_271:
	s_wait_xcnt 0x0
	s_or_b32 exec_lo, exec_lo, s2
	s_wait_storecnt_dscnt 0x0
	s_barrier_signal -1
	s_barrier_wait -1
	s_clause 0x9
	scratch_load_b128 v[4:7], off, off offset:544
	scratch_load_b128 v[8:11], off, off offset:560
	;; [unrolled: 1-line block ×10, first 2 shown]
	ds_load_b128 v[154:157], v2 offset:1408
	ds_load_b128 v[162:165], v2 offset:1424
	s_clause 0x2
	scratch_load_b128 v[158:161], off, off offset:704
	scratch_load_b128 v[166:169], off, off offset:528
	;; [unrolled: 1-line block ×3, first 2 shown]
	s_mov_b32 s2, exec_lo
	s_wait_loadcnt_dscnt 0xc01
	v_mul_f64_e32 v[174:175], v[156:157], v[6:7]
	v_mul_f64_e32 v[178:179], v[154:155], v[6:7]
	s_wait_loadcnt_dscnt 0xb00
	v_mul_f64_e32 v[180:181], v[162:163], v[10:11]
	v_mul_f64_e32 v[10:11], v[164:165], v[10:11]
	s_delay_alu instid0(VALU_DEP_4) | instskip(NEXT) | instid1(VALU_DEP_4)
	v_fma_f64 v[182:183], v[154:155], v[4:5], -v[174:175]
	v_fmac_f64_e32 v[178:179], v[156:157], v[4:5]
	ds_load_b128 v[4:7], v2 offset:1440
	ds_load_b128 v[154:157], v2 offset:1456
	scratch_load_b128 v[174:177], off, off offset:736
	v_fmac_f64_e32 v[180:181], v[164:165], v[8:9]
	v_fma_f64 v[162:163], v[162:163], v[8:9], -v[10:11]
	scratch_load_b128 v[8:11], off, off offset:752
	s_wait_loadcnt_dscnt 0xc01
	v_mul_f64_e32 v[184:185], v[4:5], v[14:15]
	v_mul_f64_e32 v[14:15], v[6:7], v[14:15]
	v_add_f64_e32 v[164:165], 0, v[182:183]
	v_add_f64_e32 v[178:179], 0, v[178:179]
	s_wait_loadcnt_dscnt 0xb00
	v_mul_f64_e32 v[182:183], v[154:155], v[128:129]
	v_mul_f64_e32 v[128:129], v[156:157], v[128:129]
	v_fmac_f64_e32 v[184:185], v[6:7], v[12:13]
	v_fma_f64 v[186:187], v[4:5], v[12:13], -v[14:15]
	ds_load_b128 v[4:7], v2 offset:1472
	ds_load_b128 v[12:15], v2 offset:1488
	v_add_f64_e32 v[188:189], v[164:165], v[162:163]
	v_add_f64_e32 v[178:179], v[178:179], v[180:181]
	scratch_load_b128 v[162:165], off, off offset:768
	v_fmac_f64_e32 v[182:183], v[156:157], v[126:127]
	v_fma_f64 v[154:155], v[154:155], v[126:127], -v[128:129]
	scratch_load_b128 v[126:129], off, off offset:784
	s_wait_loadcnt_dscnt 0xc01
	v_mul_f64_e32 v[180:181], v[4:5], v[132:133]
	v_mul_f64_e32 v[132:133], v[6:7], v[132:133]
	v_add_f64_e32 v[156:157], v[188:189], v[186:187]
	v_add_f64_e32 v[178:179], v[178:179], v[184:185]
	s_wait_loadcnt_dscnt 0xb00
	v_mul_f64_e32 v[184:185], v[12:13], v[136:137]
	v_mul_f64_e32 v[136:137], v[14:15], v[136:137]
	v_fmac_f64_e32 v[180:181], v[6:7], v[130:131]
	v_fma_f64 v[186:187], v[4:5], v[130:131], -v[132:133]
	ds_load_b128 v[4:7], v2 offset:1504
	ds_load_b128 v[130:133], v2 offset:1520
	v_add_f64_e32 v[188:189], v[156:157], v[154:155]
	v_add_f64_e32 v[178:179], v[178:179], v[182:183]
	scratch_load_b128 v[154:157], off, off offset:800
	s_wait_loadcnt_dscnt 0xb01
	v_mul_f64_e32 v[182:183], v[4:5], v[140:141]
	v_mul_f64_e32 v[140:141], v[6:7], v[140:141]
	v_fmac_f64_e32 v[184:185], v[14:15], v[134:135]
	v_fma_f64 v[134:135], v[12:13], v[134:135], -v[136:137]
	scratch_load_b128 v[12:15], off, off offset:816
	v_add_f64_e32 v[136:137], v[188:189], v[186:187]
	v_add_f64_e32 v[178:179], v[178:179], v[180:181]
	s_wait_loadcnt_dscnt 0xb00
	v_mul_f64_e32 v[180:181], v[130:131], v[144:145]
	v_mul_f64_e32 v[144:145], v[132:133], v[144:145]
	v_fmac_f64_e32 v[182:183], v[6:7], v[138:139]
	v_fma_f64 v[186:187], v[4:5], v[138:139], -v[140:141]
	v_add_f64_e32 v[188:189], v[136:137], v[134:135]
	v_add_f64_e32 v[178:179], v[178:179], v[184:185]
	ds_load_b128 v[4:7], v2 offset:1536
	ds_load_b128 v[134:137], v2 offset:1552
	scratch_load_b128 v[138:141], off, off offset:832
	v_fmac_f64_e32 v[180:181], v[132:133], v[142:143]
	v_fma_f64 v[142:143], v[130:131], v[142:143], -v[144:145]
	scratch_load_b128 v[130:133], off, off offset:848
	s_wait_loadcnt_dscnt 0xc01
	v_mul_f64_e32 v[184:185], v[4:5], v[148:149]
	v_mul_f64_e32 v[148:149], v[6:7], v[148:149]
	v_add_f64_e32 v[144:145], v[188:189], v[186:187]
	v_add_f64_e32 v[178:179], v[178:179], v[182:183]
	s_wait_loadcnt_dscnt 0xb00
	v_mul_f64_e32 v[182:183], v[134:135], v[152:153]
	v_mul_f64_e32 v[152:153], v[136:137], v[152:153]
	v_fmac_f64_e32 v[184:185], v[6:7], v[146:147]
	v_fma_f64 v[146:147], v[4:5], v[146:147], -v[148:149]
	v_add_f64_e32 v[148:149], v[144:145], v[142:143]
	v_add_f64_e32 v[178:179], v[178:179], v[180:181]
	ds_load_b128 v[4:7], v2 offset:1568
	ds_load_b128 v[142:145], v2 offset:1584
	v_fmac_f64_e32 v[182:183], v[136:137], v[150:151]
	v_fma_f64 v[134:135], v[134:135], v[150:151], -v[152:153]
	s_wait_loadcnt_dscnt 0xa01
	v_mul_f64_e32 v[180:181], v[4:5], v[160:161]
	v_mul_f64_e32 v[160:161], v[6:7], v[160:161]
	s_wait_loadcnt_dscnt 0x800
	v_mul_f64_e32 v[150:151], v[144:145], v[172:173]
	v_add_f64_e32 v[136:137], v[148:149], v[146:147]
	v_add_f64_e32 v[146:147], v[178:179], v[184:185]
	v_mul_f64_e32 v[148:149], v[142:143], v[172:173]
	v_fmac_f64_e32 v[180:181], v[6:7], v[158:159]
	v_fma_f64 v[152:153], v[4:5], v[158:159], -v[160:161]
	v_fma_f64 v[142:143], v[142:143], v[170:171], -v[150:151]
	v_add_f64_e32 v[158:159], v[136:137], v[134:135]
	v_add_f64_e32 v[146:147], v[146:147], v[182:183]
	ds_load_b128 v[4:7], v2 offset:1600
	ds_load_b128 v[134:137], v2 offset:1616
	v_fmac_f64_e32 v[148:149], v[144:145], v[170:171]
	s_wait_loadcnt_dscnt 0x701
	v_mul_f64_e32 v[160:161], v[4:5], v[176:177]
	v_mul_f64_e32 v[172:173], v[6:7], v[176:177]
	s_wait_loadcnt_dscnt 0x600
	v_mul_f64_e32 v[150:151], v[134:135], v[10:11]
	v_mul_f64_e32 v[10:11], v[136:137], v[10:11]
	v_add_f64_e32 v[144:145], v[158:159], v[152:153]
	v_add_f64_e32 v[146:147], v[146:147], v[180:181]
	v_fmac_f64_e32 v[160:161], v[6:7], v[174:175]
	v_fma_f64 v[152:153], v[4:5], v[174:175], -v[172:173]
	v_fmac_f64_e32 v[150:151], v[136:137], v[8:9]
	v_fma_f64 v[8:9], v[134:135], v[8:9], -v[10:11]
	v_add_f64_e32 v[158:159], v[144:145], v[142:143]
	v_add_f64_e32 v[146:147], v[146:147], v[148:149]
	ds_load_b128 v[4:7], v2 offset:1632
	ds_load_b128 v[142:145], v2 offset:1648
	s_wait_loadcnt_dscnt 0x501
	v_mul_f64_e32 v[148:149], v[4:5], v[164:165]
	v_mul_f64_e32 v[164:165], v[6:7], v[164:165]
	s_wait_loadcnt_dscnt 0x400
	v_mul_f64_e32 v[136:137], v[142:143], v[128:129]
	v_mul_f64_e32 v[128:129], v[144:145], v[128:129]
	v_add_f64_e32 v[10:11], v[158:159], v[152:153]
	v_add_f64_e32 v[134:135], v[146:147], v[160:161]
	v_fmac_f64_e32 v[148:149], v[6:7], v[162:163]
	v_fma_f64 v[146:147], v[4:5], v[162:163], -v[164:165]
	v_fmac_f64_e32 v[136:137], v[144:145], v[126:127]
	v_fma_f64 v[126:127], v[142:143], v[126:127], -v[128:129]
	v_add_f64_e32 v[152:153], v[10:11], v[8:9]
	v_add_f64_e32 v[134:135], v[134:135], v[150:151]
	ds_load_b128 v[4:7], v2 offset:1664
	ds_load_b128 v[8:11], v2 offset:1680
	;; [unrolled: 16-line block ×3, first 2 shown]
	s_wait_loadcnt_dscnt 0x101
	v_mul_f64_e32 v[2:3], v[4:5], v[140:141]
	v_mul_f64_e32 v[136:137], v[6:7], v[140:141]
	s_wait_loadcnt_dscnt 0x0
	v_mul_f64_e32 v[14:15], v[126:127], v[132:133]
	v_mul_f64_e32 v[132:133], v[128:129], v[132:133]
	v_add_f64_e32 v[10:11], v[146:147], v[144:145]
	v_add_f64_e32 v[12:13], v[134:135], v[150:151]
	v_fmac_f64_e32 v[2:3], v[6:7], v[138:139]
	v_fma_f64 v[4:5], v[4:5], v[138:139], -v[136:137]
	v_fmac_f64_e32 v[14:15], v[128:129], v[130:131]
	v_add_f64_e32 v[6:7], v[10:11], v[8:9]
	v_add_f64_e32 v[8:9], v[12:13], v[142:143]
	v_fma_f64 v[10:11], v[126:127], v[130:131], -v[132:133]
	s_delay_alu instid0(VALU_DEP_3) | instskip(NEXT) | instid1(VALU_DEP_3)
	v_add_f64_e32 v[4:5], v[6:7], v[4:5]
	v_add_f64_e32 v[2:3], v[8:9], v[2:3]
	s_delay_alu instid0(VALU_DEP_2) | instskip(NEXT) | instid1(VALU_DEP_2)
	v_add_f64_e32 v[4:5], v[4:5], v[10:11]
	v_add_f64_e32 v[6:7], v[2:3], v[14:15]
	s_delay_alu instid0(VALU_DEP_2) | instskip(NEXT) | instid1(VALU_DEP_2)
	v_add_f64_e64 v[2:3], v[166:167], -v[4:5]
	v_add_f64_e64 v[4:5], v[168:169], -v[6:7]
	scratch_store_b128 off, v[2:5], off offset:528
	s_wait_xcnt 0x0
	v_cmpx_lt_u32_e32 32, v1
	s_cbranch_execz .LBB117_273
; %bb.272:
	scratch_load_b128 v[2:5], off, s38
	v_mov_b32_e32 v6, 0
	s_delay_alu instid0(VALU_DEP_1)
	v_dual_mov_b32 v7, v6 :: v_dual_mov_b32 v8, v6
	v_mov_b32_e32 v9, v6
	scratch_store_b128 off, v[6:9], off offset:512
	s_wait_loadcnt 0x0
	ds_store_b128 v124, v[2:5]
.LBB117_273:
	s_wait_xcnt 0x0
	s_or_b32 exec_lo, exec_lo, s2
	s_wait_storecnt_dscnt 0x0
	s_barrier_signal -1
	s_barrier_wait -1
	s_clause 0x9
	scratch_load_b128 v[4:7], off, off offset:528
	scratch_load_b128 v[8:11], off, off offset:544
	;; [unrolled: 1-line block ×10, first 2 shown]
	v_mov_b32_e32 v2, 0
	s_mov_b32 s2, exec_lo
	ds_load_b128 v[154:157], v2 offset:1392
	s_clause 0x2
	scratch_load_b128 v[158:161], off, off offset:688
	scratch_load_b128 v[162:165], off, off offset:512
	;; [unrolled: 1-line block ×3, first 2 shown]
	s_wait_loadcnt_dscnt 0xc00
	v_mul_f64_e32 v[174:175], v[156:157], v[6:7]
	v_mul_f64_e32 v[178:179], v[154:155], v[6:7]
	ds_load_b128 v[166:169], v2 offset:1408
	v_fma_f64 v[182:183], v[154:155], v[4:5], -v[174:175]
	v_fmac_f64_e32 v[178:179], v[156:157], v[4:5]
	ds_load_b128 v[4:7], v2 offset:1424
	s_wait_loadcnt_dscnt 0xb01
	v_mul_f64_e32 v[180:181], v[166:167], v[10:11]
	v_mul_f64_e32 v[10:11], v[168:169], v[10:11]
	scratch_load_b128 v[154:157], off, off offset:720
	ds_load_b128 v[174:177], v2 offset:1440
	s_wait_loadcnt_dscnt 0xb01
	v_mul_f64_e32 v[184:185], v[4:5], v[14:15]
	v_mul_f64_e32 v[14:15], v[6:7], v[14:15]
	v_add_f64_e32 v[178:179], 0, v[178:179]
	v_fmac_f64_e32 v[180:181], v[168:169], v[8:9]
	v_fma_f64 v[166:167], v[166:167], v[8:9], -v[10:11]
	v_add_f64_e32 v[168:169], 0, v[182:183]
	scratch_load_b128 v[8:11], off, off offset:736
	v_fmac_f64_e32 v[184:185], v[6:7], v[12:13]
	v_fma_f64 v[186:187], v[4:5], v[12:13], -v[14:15]
	ds_load_b128 v[4:7], v2 offset:1456
	s_wait_loadcnt_dscnt 0xb01
	v_mul_f64_e32 v[182:183], v[174:175], v[128:129]
	v_mul_f64_e32 v[128:129], v[176:177], v[128:129]
	scratch_load_b128 v[12:15], off, off offset:752
	v_add_f64_e32 v[178:179], v[178:179], v[180:181]
	v_add_f64_e32 v[188:189], v[168:169], v[166:167]
	ds_load_b128 v[166:169], v2 offset:1472
	s_wait_loadcnt_dscnt 0xb01
	v_mul_f64_e32 v[180:181], v[4:5], v[132:133]
	v_mul_f64_e32 v[132:133], v[6:7], v[132:133]
	v_fmac_f64_e32 v[182:183], v[176:177], v[126:127]
	v_fma_f64 v[174:175], v[174:175], v[126:127], -v[128:129]
	scratch_load_b128 v[126:129], off, off offset:768
	v_add_f64_e32 v[178:179], v[178:179], v[184:185]
	v_add_f64_e32 v[176:177], v[188:189], v[186:187]
	v_fmac_f64_e32 v[180:181], v[6:7], v[130:131]
	v_fma_f64 v[186:187], v[4:5], v[130:131], -v[132:133]
	ds_load_b128 v[4:7], v2 offset:1488
	s_wait_loadcnt_dscnt 0xb01
	v_mul_f64_e32 v[184:185], v[166:167], v[136:137]
	v_mul_f64_e32 v[136:137], v[168:169], v[136:137]
	scratch_load_b128 v[130:133], off, off offset:784
	v_add_f64_e32 v[178:179], v[178:179], v[182:183]
	s_wait_loadcnt_dscnt 0xb00
	v_mul_f64_e32 v[182:183], v[4:5], v[140:141]
	v_add_f64_e32 v[188:189], v[176:177], v[174:175]
	v_mul_f64_e32 v[140:141], v[6:7], v[140:141]
	ds_load_b128 v[174:177], v2 offset:1504
	v_fmac_f64_e32 v[184:185], v[168:169], v[134:135]
	v_fma_f64 v[166:167], v[166:167], v[134:135], -v[136:137]
	scratch_load_b128 v[134:137], off, off offset:800
	v_add_f64_e32 v[178:179], v[178:179], v[180:181]
	v_fmac_f64_e32 v[182:183], v[6:7], v[138:139]
	v_add_f64_e32 v[168:169], v[188:189], v[186:187]
	v_fma_f64 v[186:187], v[4:5], v[138:139], -v[140:141]
	ds_load_b128 v[4:7], v2 offset:1520
	s_wait_loadcnt_dscnt 0xb01
	v_mul_f64_e32 v[180:181], v[174:175], v[144:145]
	v_mul_f64_e32 v[144:145], v[176:177], v[144:145]
	scratch_load_b128 v[138:141], off, off offset:816
	v_add_f64_e32 v[178:179], v[178:179], v[184:185]
	s_wait_loadcnt_dscnt 0xb00
	v_mul_f64_e32 v[184:185], v[4:5], v[148:149]
	v_add_f64_e32 v[188:189], v[168:169], v[166:167]
	v_mul_f64_e32 v[148:149], v[6:7], v[148:149]
	ds_load_b128 v[166:169], v2 offset:1536
	v_fmac_f64_e32 v[180:181], v[176:177], v[142:143]
	v_fma_f64 v[174:175], v[174:175], v[142:143], -v[144:145]
	scratch_load_b128 v[142:145], off, off offset:832
	v_add_f64_e32 v[178:179], v[178:179], v[182:183]
	v_fmac_f64_e32 v[184:185], v[6:7], v[146:147]
	v_add_f64_e32 v[176:177], v[188:189], v[186:187]
	v_fma_f64 v[186:187], v[4:5], v[146:147], -v[148:149]
	ds_load_b128 v[4:7], v2 offset:1552
	s_wait_loadcnt_dscnt 0xb01
	v_mul_f64_e32 v[182:183], v[166:167], v[152:153]
	v_mul_f64_e32 v[152:153], v[168:169], v[152:153]
	scratch_load_b128 v[146:149], off, off offset:848
	v_add_f64_e32 v[178:179], v[178:179], v[180:181]
	s_wait_loadcnt_dscnt 0xb00
	v_mul_f64_e32 v[180:181], v[4:5], v[160:161]
	v_add_f64_e32 v[188:189], v[176:177], v[174:175]
	v_mul_f64_e32 v[160:161], v[6:7], v[160:161]
	ds_load_b128 v[174:177], v2 offset:1568
	v_fmac_f64_e32 v[182:183], v[168:169], v[150:151]
	v_fma_f64 v[150:151], v[166:167], v[150:151], -v[152:153]
	s_wait_loadcnt_dscnt 0x900
	v_mul_f64_e32 v[168:169], v[174:175], v[172:173]
	v_mul_f64_e32 v[172:173], v[176:177], v[172:173]
	v_add_f64_e32 v[166:167], v[178:179], v[184:185]
	v_fmac_f64_e32 v[180:181], v[6:7], v[158:159]
	v_add_f64_e32 v[152:153], v[188:189], v[186:187]
	v_fma_f64 v[158:159], v[4:5], v[158:159], -v[160:161]
	v_fmac_f64_e32 v[168:169], v[176:177], v[170:171]
	v_fma_f64 v[170:171], v[174:175], v[170:171], -v[172:173]
	v_add_f64_e32 v[166:167], v[166:167], v[182:183]
	v_add_f64_e32 v[160:161], v[152:153], v[150:151]
	ds_load_b128 v[4:7], v2 offset:1584
	ds_load_b128 v[150:153], v2 offset:1600
	s_wait_loadcnt_dscnt 0x801
	v_mul_f64_e32 v[178:179], v[4:5], v[156:157]
	v_mul_f64_e32 v[156:157], v[6:7], v[156:157]
	v_add_f64_e32 v[158:159], v[160:161], v[158:159]
	v_add_f64_e32 v[160:161], v[166:167], v[180:181]
	s_wait_loadcnt_dscnt 0x700
	v_mul_f64_e32 v[166:167], v[150:151], v[10:11]
	v_mul_f64_e32 v[10:11], v[152:153], v[10:11]
	v_fmac_f64_e32 v[178:179], v[6:7], v[154:155]
	v_fma_f64 v[172:173], v[4:5], v[154:155], -v[156:157]
	ds_load_b128 v[4:7], v2 offset:1616
	ds_load_b128 v[154:157], v2 offset:1632
	v_add_f64_e32 v[158:159], v[158:159], v[170:171]
	v_add_f64_e32 v[160:161], v[160:161], v[168:169]
	v_fmac_f64_e32 v[166:167], v[152:153], v[8:9]
	v_fma_f64 v[8:9], v[150:151], v[8:9], -v[10:11]
	s_wait_loadcnt_dscnt 0x601
	v_mul_f64_e32 v[168:169], v[4:5], v[14:15]
	v_mul_f64_e32 v[14:15], v[6:7], v[14:15]
	s_wait_loadcnt_dscnt 0x500
	v_mul_f64_e32 v[152:153], v[154:155], v[128:129]
	v_mul_f64_e32 v[128:129], v[156:157], v[128:129]
	v_add_f64_e32 v[10:11], v[158:159], v[172:173]
	v_add_f64_e32 v[150:151], v[160:161], v[178:179]
	v_fmac_f64_e32 v[168:169], v[6:7], v[12:13]
	v_fma_f64 v[12:13], v[4:5], v[12:13], -v[14:15]
	v_fmac_f64_e32 v[152:153], v[156:157], v[126:127]
	v_fma_f64 v[126:127], v[154:155], v[126:127], -v[128:129]
	v_add_f64_e32 v[14:15], v[10:11], v[8:9]
	v_add_f64_e32 v[150:151], v[150:151], v[166:167]
	ds_load_b128 v[4:7], v2 offset:1648
	ds_load_b128 v[8:11], v2 offset:1664
	s_wait_loadcnt_dscnt 0x401
	v_mul_f64_e32 v[158:159], v[4:5], v[132:133]
	v_mul_f64_e32 v[132:133], v[6:7], v[132:133]
	s_wait_loadcnt_dscnt 0x300
	v_mul_f64_e32 v[128:129], v[8:9], v[136:137]
	v_mul_f64_e32 v[136:137], v[10:11], v[136:137]
	v_add_f64_e32 v[12:13], v[14:15], v[12:13]
	v_add_f64_e32 v[14:15], v[150:151], v[168:169]
	v_fmac_f64_e32 v[158:159], v[6:7], v[130:131]
	v_fma_f64 v[130:131], v[4:5], v[130:131], -v[132:133]
	v_fmac_f64_e32 v[128:129], v[10:11], v[134:135]
	v_fma_f64 v[8:9], v[8:9], v[134:135], -v[136:137]
	v_add_f64_e32 v[126:127], v[12:13], v[126:127]
	v_add_f64_e32 v[132:133], v[14:15], v[152:153]
	ds_load_b128 v[4:7], v2 offset:1680
	ds_load_b128 v[12:15], v2 offset:1696
	s_wait_loadcnt_dscnt 0x201
	v_mul_f64_e32 v[150:151], v[4:5], v[140:141]
	v_mul_f64_e32 v[140:141], v[6:7], v[140:141]
	v_add_f64_e32 v[10:11], v[126:127], v[130:131]
	v_add_f64_e32 v[126:127], v[132:133], v[158:159]
	s_wait_loadcnt_dscnt 0x100
	v_mul_f64_e32 v[130:131], v[12:13], v[144:145]
	v_mul_f64_e32 v[132:133], v[14:15], v[144:145]
	v_fmac_f64_e32 v[150:151], v[6:7], v[138:139]
	v_fma_f64 v[134:135], v[4:5], v[138:139], -v[140:141]
	ds_load_b128 v[4:7], v2 offset:1712
	v_add_f64_e32 v[8:9], v[10:11], v[8:9]
	v_add_f64_e32 v[10:11], v[126:127], v[128:129]
	v_fmac_f64_e32 v[130:131], v[14:15], v[142:143]
	v_fma_f64 v[12:13], v[12:13], v[142:143], -v[132:133]
	s_wait_loadcnt_dscnt 0x0
	v_mul_f64_e32 v[126:127], v[4:5], v[148:149]
	v_mul_f64_e32 v[128:129], v[6:7], v[148:149]
	v_add_f64_e32 v[8:9], v[8:9], v[134:135]
	v_add_f64_e32 v[10:11], v[10:11], v[150:151]
	s_delay_alu instid0(VALU_DEP_4) | instskip(NEXT) | instid1(VALU_DEP_4)
	v_fmac_f64_e32 v[126:127], v[6:7], v[146:147]
	v_fma_f64 v[4:5], v[4:5], v[146:147], -v[128:129]
	s_delay_alu instid0(VALU_DEP_4) | instskip(NEXT) | instid1(VALU_DEP_4)
	v_add_f64_e32 v[6:7], v[8:9], v[12:13]
	v_add_f64_e32 v[8:9], v[10:11], v[130:131]
	s_delay_alu instid0(VALU_DEP_2) | instskip(NEXT) | instid1(VALU_DEP_2)
	v_add_f64_e32 v[4:5], v[6:7], v[4:5]
	v_add_f64_e32 v[6:7], v[8:9], v[126:127]
	s_delay_alu instid0(VALU_DEP_2) | instskip(NEXT) | instid1(VALU_DEP_2)
	v_add_f64_e64 v[4:5], v[162:163], -v[4:5]
	v_add_f64_e64 v[6:7], v[164:165], -v[6:7]
	scratch_store_b128 off, v[4:7], off offset:512
	s_wait_xcnt 0x0
	v_cmpx_lt_u32_e32 31, v1
	s_cbranch_execz .LBB117_275
; %bb.274:
	scratch_load_b128 v[6:9], off, s39
	v_dual_mov_b32 v3, v2 :: v_dual_mov_b32 v4, v2
	v_mov_b32_e32 v5, v2
	scratch_store_b128 off, v[2:5], off offset:496
	s_wait_loadcnt 0x0
	ds_store_b128 v124, v[6:9]
.LBB117_275:
	s_wait_xcnt 0x0
	s_or_b32 exec_lo, exec_lo, s2
	s_wait_storecnt_dscnt 0x0
	s_barrier_signal -1
	s_barrier_wait -1
	s_clause 0x9
	scratch_load_b128 v[4:7], off, off offset:512
	scratch_load_b128 v[8:11], off, off offset:528
	scratch_load_b128 v[12:15], off, off offset:544
	scratch_load_b128 v[126:129], off, off offset:560
	scratch_load_b128 v[130:133], off, off offset:576
	scratch_load_b128 v[134:137], off, off offset:592
	scratch_load_b128 v[138:141], off, off offset:608
	scratch_load_b128 v[142:145], off, off offset:624
	scratch_load_b128 v[146:149], off, off offset:640
	scratch_load_b128 v[150:153], off, off offset:656
	ds_load_b128 v[154:157], v2 offset:1376
	ds_load_b128 v[162:165], v2 offset:1392
	s_clause 0x2
	scratch_load_b128 v[158:161], off, off offset:672
	scratch_load_b128 v[166:169], off, off offset:496
	;; [unrolled: 1-line block ×3, first 2 shown]
	s_mov_b32 s2, exec_lo
	s_wait_loadcnt_dscnt 0xc01
	v_mul_f64_e32 v[174:175], v[156:157], v[6:7]
	v_mul_f64_e32 v[178:179], v[154:155], v[6:7]
	s_wait_loadcnt_dscnt 0xb00
	v_mul_f64_e32 v[180:181], v[162:163], v[10:11]
	v_mul_f64_e32 v[10:11], v[164:165], v[10:11]
	s_delay_alu instid0(VALU_DEP_4) | instskip(NEXT) | instid1(VALU_DEP_4)
	v_fma_f64 v[182:183], v[154:155], v[4:5], -v[174:175]
	v_fmac_f64_e32 v[178:179], v[156:157], v[4:5]
	ds_load_b128 v[4:7], v2 offset:1408
	ds_load_b128 v[154:157], v2 offset:1424
	scratch_load_b128 v[174:177], off, off offset:704
	v_fmac_f64_e32 v[180:181], v[164:165], v[8:9]
	v_fma_f64 v[162:163], v[162:163], v[8:9], -v[10:11]
	scratch_load_b128 v[8:11], off, off offset:720
	s_wait_loadcnt_dscnt 0xc01
	v_mul_f64_e32 v[184:185], v[4:5], v[14:15]
	v_mul_f64_e32 v[14:15], v[6:7], v[14:15]
	v_add_f64_e32 v[164:165], 0, v[182:183]
	v_add_f64_e32 v[178:179], 0, v[178:179]
	s_wait_loadcnt_dscnt 0xb00
	v_mul_f64_e32 v[182:183], v[154:155], v[128:129]
	v_mul_f64_e32 v[128:129], v[156:157], v[128:129]
	v_fmac_f64_e32 v[184:185], v[6:7], v[12:13]
	v_fma_f64 v[186:187], v[4:5], v[12:13], -v[14:15]
	ds_load_b128 v[4:7], v2 offset:1440
	ds_load_b128 v[12:15], v2 offset:1456
	v_add_f64_e32 v[188:189], v[164:165], v[162:163]
	v_add_f64_e32 v[178:179], v[178:179], v[180:181]
	scratch_load_b128 v[162:165], off, off offset:736
	v_fmac_f64_e32 v[182:183], v[156:157], v[126:127]
	v_fma_f64 v[154:155], v[154:155], v[126:127], -v[128:129]
	scratch_load_b128 v[126:129], off, off offset:752
	s_wait_loadcnt_dscnt 0xc01
	v_mul_f64_e32 v[180:181], v[4:5], v[132:133]
	v_mul_f64_e32 v[132:133], v[6:7], v[132:133]
	v_add_f64_e32 v[156:157], v[188:189], v[186:187]
	v_add_f64_e32 v[178:179], v[178:179], v[184:185]
	s_wait_loadcnt_dscnt 0xb00
	v_mul_f64_e32 v[184:185], v[12:13], v[136:137]
	v_mul_f64_e32 v[136:137], v[14:15], v[136:137]
	v_fmac_f64_e32 v[180:181], v[6:7], v[130:131]
	v_fma_f64 v[186:187], v[4:5], v[130:131], -v[132:133]
	ds_load_b128 v[4:7], v2 offset:1472
	ds_load_b128 v[130:133], v2 offset:1488
	v_add_f64_e32 v[188:189], v[156:157], v[154:155]
	v_add_f64_e32 v[178:179], v[178:179], v[182:183]
	scratch_load_b128 v[154:157], off, off offset:768
	s_wait_loadcnt_dscnt 0xb01
	v_mul_f64_e32 v[182:183], v[4:5], v[140:141]
	v_mul_f64_e32 v[140:141], v[6:7], v[140:141]
	v_fmac_f64_e32 v[184:185], v[14:15], v[134:135]
	v_fma_f64 v[134:135], v[12:13], v[134:135], -v[136:137]
	scratch_load_b128 v[12:15], off, off offset:784
	v_add_f64_e32 v[136:137], v[188:189], v[186:187]
	v_add_f64_e32 v[178:179], v[178:179], v[180:181]
	s_wait_loadcnt_dscnt 0xb00
	v_mul_f64_e32 v[180:181], v[130:131], v[144:145]
	v_mul_f64_e32 v[144:145], v[132:133], v[144:145]
	v_fmac_f64_e32 v[182:183], v[6:7], v[138:139]
	v_fma_f64 v[186:187], v[4:5], v[138:139], -v[140:141]
	v_add_f64_e32 v[188:189], v[136:137], v[134:135]
	v_add_f64_e32 v[178:179], v[178:179], v[184:185]
	ds_load_b128 v[4:7], v2 offset:1504
	ds_load_b128 v[134:137], v2 offset:1520
	scratch_load_b128 v[138:141], off, off offset:800
	v_fmac_f64_e32 v[180:181], v[132:133], v[142:143]
	v_fma_f64 v[142:143], v[130:131], v[142:143], -v[144:145]
	scratch_load_b128 v[130:133], off, off offset:816
	s_wait_loadcnt_dscnt 0xc01
	v_mul_f64_e32 v[184:185], v[4:5], v[148:149]
	v_mul_f64_e32 v[148:149], v[6:7], v[148:149]
	v_add_f64_e32 v[144:145], v[188:189], v[186:187]
	v_add_f64_e32 v[178:179], v[178:179], v[182:183]
	s_wait_loadcnt_dscnt 0xb00
	v_mul_f64_e32 v[182:183], v[134:135], v[152:153]
	v_mul_f64_e32 v[152:153], v[136:137], v[152:153]
	v_fmac_f64_e32 v[184:185], v[6:7], v[146:147]
	v_fma_f64 v[186:187], v[4:5], v[146:147], -v[148:149]
	v_add_f64_e32 v[188:189], v[144:145], v[142:143]
	v_add_f64_e32 v[178:179], v[178:179], v[180:181]
	ds_load_b128 v[4:7], v2 offset:1536
	ds_load_b128 v[142:145], v2 offset:1552
	scratch_load_b128 v[146:149], off, off offset:832
	v_fmac_f64_e32 v[182:183], v[136:137], v[150:151]
	v_fma_f64 v[150:151], v[134:135], v[150:151], -v[152:153]
	scratch_load_b128 v[134:137], off, off offset:848
	s_wait_loadcnt_dscnt 0xc01
	v_mul_f64_e32 v[180:181], v[4:5], v[160:161]
	v_mul_f64_e32 v[160:161], v[6:7], v[160:161]
	v_add_f64_e32 v[152:153], v[188:189], v[186:187]
	v_add_f64_e32 v[178:179], v[178:179], v[184:185]
	s_wait_loadcnt_dscnt 0xa00
	v_mul_f64_e32 v[184:185], v[142:143], v[172:173]
	v_mul_f64_e32 v[172:173], v[144:145], v[172:173]
	v_fmac_f64_e32 v[180:181], v[6:7], v[158:159]
	v_fma_f64 v[158:159], v[4:5], v[158:159], -v[160:161]
	v_add_f64_e32 v[160:161], v[152:153], v[150:151]
	v_add_f64_e32 v[178:179], v[178:179], v[182:183]
	ds_load_b128 v[4:7], v2 offset:1568
	ds_load_b128 v[150:153], v2 offset:1584
	v_fmac_f64_e32 v[184:185], v[144:145], v[170:171]
	v_fma_f64 v[142:143], v[142:143], v[170:171], -v[172:173]
	s_wait_loadcnt_dscnt 0x901
	v_mul_f64_e32 v[182:183], v[4:5], v[176:177]
	v_mul_f64_e32 v[176:177], v[6:7], v[176:177]
	v_add_f64_e32 v[144:145], v[160:161], v[158:159]
	v_add_f64_e32 v[158:159], v[178:179], v[180:181]
	s_wait_loadcnt_dscnt 0x800
	v_mul_f64_e32 v[160:161], v[150:151], v[10:11]
	v_mul_f64_e32 v[10:11], v[152:153], v[10:11]
	v_fmac_f64_e32 v[182:183], v[6:7], v[174:175]
	v_fma_f64 v[170:171], v[4:5], v[174:175], -v[176:177]
	v_add_f64_e32 v[172:173], v[144:145], v[142:143]
	v_add_f64_e32 v[158:159], v[158:159], v[184:185]
	ds_load_b128 v[4:7], v2 offset:1600
	ds_load_b128 v[142:145], v2 offset:1616
	v_fmac_f64_e32 v[160:161], v[152:153], v[8:9]
	v_fma_f64 v[8:9], v[150:151], v[8:9], -v[10:11]
	s_wait_loadcnt_dscnt 0x701
	v_mul_f64_e32 v[174:175], v[4:5], v[164:165]
	v_mul_f64_e32 v[164:165], v[6:7], v[164:165]
	s_wait_loadcnt_dscnt 0x600
	v_mul_f64_e32 v[152:153], v[142:143], v[128:129]
	v_mul_f64_e32 v[128:129], v[144:145], v[128:129]
	v_add_f64_e32 v[10:11], v[172:173], v[170:171]
	v_add_f64_e32 v[150:151], v[158:159], v[182:183]
	v_fmac_f64_e32 v[174:175], v[6:7], v[162:163]
	v_fma_f64 v[158:159], v[4:5], v[162:163], -v[164:165]
	v_fmac_f64_e32 v[152:153], v[144:145], v[126:127]
	v_fma_f64 v[126:127], v[142:143], v[126:127], -v[128:129]
	v_add_f64_e32 v[162:163], v[10:11], v[8:9]
	v_add_f64_e32 v[150:151], v[150:151], v[160:161]
	ds_load_b128 v[4:7], v2 offset:1632
	ds_load_b128 v[8:11], v2 offset:1648
	s_wait_loadcnt_dscnt 0x501
	v_mul_f64_e32 v[160:161], v[4:5], v[156:157]
	v_mul_f64_e32 v[156:157], v[6:7], v[156:157]
	s_wait_loadcnt_dscnt 0x400
	v_mul_f64_e32 v[144:145], v[8:9], v[14:15]
	v_mul_f64_e32 v[14:15], v[10:11], v[14:15]
	v_add_f64_e32 v[128:129], v[162:163], v[158:159]
	v_add_f64_e32 v[142:143], v[150:151], v[174:175]
	v_fmac_f64_e32 v[160:161], v[6:7], v[154:155]
	v_fma_f64 v[150:151], v[4:5], v[154:155], -v[156:157]
	v_fmac_f64_e32 v[144:145], v[10:11], v[12:13]
	v_fma_f64 v[8:9], v[8:9], v[12:13], -v[14:15]
	v_add_f64_e32 v[154:155], v[128:129], v[126:127]
	v_add_f64_e32 v[142:143], v[142:143], v[152:153]
	ds_load_b128 v[4:7], v2 offset:1664
	ds_load_b128 v[126:129], v2 offset:1680
	;; [unrolled: 16-line block ×3, first 2 shown]
	s_wait_loadcnt_dscnt 0x101
	v_mul_f64_e32 v[2:3], v[4:5], v[148:149]
	v_mul_f64_e32 v[142:143], v[6:7], v[148:149]
	s_wait_loadcnt_dscnt 0x0
	v_mul_f64_e32 v[130:131], v[8:9], v[136:137]
	v_mul_f64_e32 v[132:133], v[10:11], v[136:137]
	v_add_f64_e32 v[128:129], v[140:141], v[138:139]
	v_add_f64_e32 v[12:13], v[12:13], v[152:153]
	v_fmac_f64_e32 v[2:3], v[6:7], v[146:147]
	v_fma_f64 v[4:5], v[4:5], v[146:147], -v[142:143]
	v_fmac_f64_e32 v[130:131], v[10:11], v[134:135]
	v_fma_f64 v[8:9], v[8:9], v[134:135], -v[132:133]
	v_add_f64_e32 v[6:7], v[128:129], v[126:127]
	v_add_f64_e32 v[12:13], v[12:13], v[14:15]
	s_delay_alu instid0(VALU_DEP_2) | instskip(NEXT) | instid1(VALU_DEP_2)
	v_add_f64_e32 v[4:5], v[6:7], v[4:5]
	v_add_f64_e32 v[2:3], v[12:13], v[2:3]
	s_delay_alu instid0(VALU_DEP_2) | instskip(NEXT) | instid1(VALU_DEP_2)
	;; [unrolled: 3-line block ×3, first 2 shown]
	v_add_f64_e64 v[2:3], v[166:167], -v[4:5]
	v_add_f64_e64 v[4:5], v[168:169], -v[6:7]
	scratch_store_b128 off, v[2:5], off offset:496
	s_wait_xcnt 0x0
	v_cmpx_lt_u32_e32 30, v1
	s_cbranch_execz .LBB117_277
; %bb.276:
	scratch_load_b128 v[2:5], off, s40
	v_mov_b32_e32 v6, 0
	s_delay_alu instid0(VALU_DEP_1)
	v_dual_mov_b32 v7, v6 :: v_dual_mov_b32 v8, v6
	v_mov_b32_e32 v9, v6
	scratch_store_b128 off, v[6:9], off offset:480
	s_wait_loadcnt 0x0
	ds_store_b128 v124, v[2:5]
.LBB117_277:
	s_wait_xcnt 0x0
	s_or_b32 exec_lo, exec_lo, s2
	s_wait_storecnt_dscnt 0x0
	s_barrier_signal -1
	s_barrier_wait -1
	s_clause 0x9
	scratch_load_b128 v[4:7], off, off offset:496
	scratch_load_b128 v[8:11], off, off offset:512
	;; [unrolled: 1-line block ×10, first 2 shown]
	v_mov_b32_e32 v2, 0
	s_mov_b32 s2, exec_lo
	ds_load_b128 v[154:157], v2 offset:1360
	s_clause 0x2
	scratch_load_b128 v[158:161], off, off offset:656
	scratch_load_b128 v[162:165], off, off offset:480
	;; [unrolled: 1-line block ×3, first 2 shown]
	s_wait_loadcnt_dscnt 0xc00
	v_mul_f64_e32 v[174:175], v[156:157], v[6:7]
	v_mul_f64_e32 v[178:179], v[154:155], v[6:7]
	ds_load_b128 v[166:169], v2 offset:1376
	v_fma_f64 v[182:183], v[154:155], v[4:5], -v[174:175]
	v_fmac_f64_e32 v[178:179], v[156:157], v[4:5]
	ds_load_b128 v[4:7], v2 offset:1392
	s_wait_loadcnt_dscnt 0xb01
	v_mul_f64_e32 v[180:181], v[166:167], v[10:11]
	v_mul_f64_e32 v[10:11], v[168:169], v[10:11]
	scratch_load_b128 v[154:157], off, off offset:688
	ds_load_b128 v[174:177], v2 offset:1408
	s_wait_loadcnt_dscnt 0xb01
	v_mul_f64_e32 v[184:185], v[4:5], v[14:15]
	v_mul_f64_e32 v[14:15], v[6:7], v[14:15]
	v_add_f64_e32 v[178:179], 0, v[178:179]
	v_fmac_f64_e32 v[180:181], v[168:169], v[8:9]
	v_fma_f64 v[166:167], v[166:167], v[8:9], -v[10:11]
	v_add_f64_e32 v[168:169], 0, v[182:183]
	scratch_load_b128 v[8:11], off, off offset:704
	v_fmac_f64_e32 v[184:185], v[6:7], v[12:13]
	v_fma_f64 v[186:187], v[4:5], v[12:13], -v[14:15]
	ds_load_b128 v[4:7], v2 offset:1424
	s_wait_loadcnt_dscnt 0xb01
	v_mul_f64_e32 v[182:183], v[174:175], v[128:129]
	v_mul_f64_e32 v[128:129], v[176:177], v[128:129]
	scratch_load_b128 v[12:15], off, off offset:720
	v_add_f64_e32 v[178:179], v[178:179], v[180:181]
	v_add_f64_e32 v[188:189], v[168:169], v[166:167]
	ds_load_b128 v[166:169], v2 offset:1440
	s_wait_loadcnt_dscnt 0xb01
	v_mul_f64_e32 v[180:181], v[4:5], v[132:133]
	v_mul_f64_e32 v[132:133], v[6:7], v[132:133]
	v_fmac_f64_e32 v[182:183], v[176:177], v[126:127]
	v_fma_f64 v[174:175], v[174:175], v[126:127], -v[128:129]
	scratch_load_b128 v[126:129], off, off offset:736
	v_add_f64_e32 v[178:179], v[178:179], v[184:185]
	v_add_f64_e32 v[176:177], v[188:189], v[186:187]
	v_fmac_f64_e32 v[180:181], v[6:7], v[130:131]
	v_fma_f64 v[186:187], v[4:5], v[130:131], -v[132:133]
	ds_load_b128 v[4:7], v2 offset:1456
	s_wait_loadcnt_dscnt 0xb01
	v_mul_f64_e32 v[184:185], v[166:167], v[136:137]
	v_mul_f64_e32 v[136:137], v[168:169], v[136:137]
	scratch_load_b128 v[130:133], off, off offset:752
	v_add_f64_e32 v[178:179], v[178:179], v[182:183]
	s_wait_loadcnt_dscnt 0xb00
	v_mul_f64_e32 v[182:183], v[4:5], v[140:141]
	v_add_f64_e32 v[188:189], v[176:177], v[174:175]
	v_mul_f64_e32 v[140:141], v[6:7], v[140:141]
	ds_load_b128 v[174:177], v2 offset:1472
	v_fmac_f64_e32 v[184:185], v[168:169], v[134:135]
	v_fma_f64 v[166:167], v[166:167], v[134:135], -v[136:137]
	scratch_load_b128 v[134:137], off, off offset:768
	v_add_f64_e32 v[178:179], v[178:179], v[180:181]
	v_fmac_f64_e32 v[182:183], v[6:7], v[138:139]
	v_add_f64_e32 v[168:169], v[188:189], v[186:187]
	v_fma_f64 v[186:187], v[4:5], v[138:139], -v[140:141]
	ds_load_b128 v[4:7], v2 offset:1488
	s_wait_loadcnt_dscnt 0xb01
	v_mul_f64_e32 v[180:181], v[174:175], v[144:145]
	v_mul_f64_e32 v[144:145], v[176:177], v[144:145]
	scratch_load_b128 v[138:141], off, off offset:784
	v_add_f64_e32 v[178:179], v[178:179], v[184:185]
	s_wait_loadcnt_dscnt 0xb00
	v_mul_f64_e32 v[184:185], v[4:5], v[148:149]
	v_add_f64_e32 v[188:189], v[168:169], v[166:167]
	v_mul_f64_e32 v[148:149], v[6:7], v[148:149]
	ds_load_b128 v[166:169], v2 offset:1504
	v_fmac_f64_e32 v[180:181], v[176:177], v[142:143]
	v_fma_f64 v[174:175], v[174:175], v[142:143], -v[144:145]
	scratch_load_b128 v[142:145], off, off offset:800
	v_add_f64_e32 v[178:179], v[178:179], v[182:183]
	v_fmac_f64_e32 v[184:185], v[6:7], v[146:147]
	v_add_f64_e32 v[176:177], v[188:189], v[186:187]
	;; [unrolled: 18-line block ×3, first 2 shown]
	v_fma_f64 v[186:187], v[4:5], v[158:159], -v[160:161]
	ds_load_b128 v[4:7], v2 offset:1552
	s_wait_loadcnt_dscnt 0xa01
	v_mul_f64_e32 v[184:185], v[174:175], v[172:173]
	v_mul_f64_e32 v[172:173], v[176:177], v[172:173]
	scratch_load_b128 v[158:161], off, off offset:848
	v_add_f64_e32 v[178:179], v[178:179], v[182:183]
	v_add_f64_e32 v[188:189], v[168:169], v[166:167]
	s_wait_loadcnt_dscnt 0xa00
	v_mul_f64_e32 v[182:183], v[4:5], v[156:157]
	v_mul_f64_e32 v[156:157], v[6:7], v[156:157]
	v_fmac_f64_e32 v[184:185], v[176:177], v[170:171]
	v_fma_f64 v[170:171], v[174:175], v[170:171], -v[172:173]
	ds_load_b128 v[166:169], v2 offset:1568
	v_add_f64_e32 v[174:175], v[178:179], v[180:181]
	v_add_f64_e32 v[172:173], v[188:189], v[186:187]
	s_wait_loadcnt_dscnt 0x900
	v_mul_f64_e32 v[176:177], v[166:167], v[10:11]
	v_mul_f64_e32 v[10:11], v[168:169], v[10:11]
	v_fmac_f64_e32 v[182:183], v[6:7], v[154:155]
	v_fma_f64 v[178:179], v[4:5], v[154:155], -v[156:157]
	ds_load_b128 v[4:7], v2 offset:1584
	ds_load_b128 v[154:157], v2 offset:1600
	v_add_f64_e32 v[170:171], v[172:173], v[170:171]
	v_add_f64_e32 v[172:173], v[174:175], v[184:185]
	s_wait_loadcnt_dscnt 0x801
	v_mul_f64_e32 v[174:175], v[4:5], v[14:15]
	v_mul_f64_e32 v[14:15], v[6:7], v[14:15]
	v_fmac_f64_e32 v[176:177], v[168:169], v[8:9]
	v_fma_f64 v[8:9], v[166:167], v[8:9], -v[10:11]
	s_wait_loadcnt_dscnt 0x700
	v_mul_f64_e32 v[168:169], v[154:155], v[128:129]
	v_mul_f64_e32 v[128:129], v[156:157], v[128:129]
	v_add_f64_e32 v[10:11], v[170:171], v[178:179]
	v_add_f64_e32 v[166:167], v[172:173], v[182:183]
	v_fmac_f64_e32 v[174:175], v[6:7], v[12:13]
	v_fma_f64 v[12:13], v[4:5], v[12:13], -v[14:15]
	v_fmac_f64_e32 v[168:169], v[156:157], v[126:127]
	v_fma_f64 v[126:127], v[154:155], v[126:127], -v[128:129]
	v_add_f64_e32 v[14:15], v[10:11], v[8:9]
	v_add_f64_e32 v[166:167], v[166:167], v[176:177]
	ds_load_b128 v[4:7], v2 offset:1616
	ds_load_b128 v[8:11], v2 offset:1632
	s_wait_loadcnt_dscnt 0x601
	v_mul_f64_e32 v[170:171], v[4:5], v[132:133]
	v_mul_f64_e32 v[132:133], v[6:7], v[132:133]
	s_wait_loadcnt_dscnt 0x500
	v_mul_f64_e32 v[128:129], v[8:9], v[136:137]
	v_mul_f64_e32 v[136:137], v[10:11], v[136:137]
	v_add_f64_e32 v[12:13], v[14:15], v[12:13]
	v_add_f64_e32 v[14:15], v[166:167], v[174:175]
	v_fmac_f64_e32 v[170:171], v[6:7], v[130:131]
	v_fma_f64 v[130:131], v[4:5], v[130:131], -v[132:133]
	v_fmac_f64_e32 v[128:129], v[10:11], v[134:135]
	v_fma_f64 v[8:9], v[8:9], v[134:135], -v[136:137]
	v_add_f64_e32 v[126:127], v[12:13], v[126:127]
	v_add_f64_e32 v[132:133], v[14:15], v[168:169]
	ds_load_b128 v[4:7], v2 offset:1648
	ds_load_b128 v[12:15], v2 offset:1664
	s_wait_loadcnt_dscnt 0x401
	v_mul_f64_e32 v[154:155], v[4:5], v[140:141]
	v_mul_f64_e32 v[140:141], v[6:7], v[140:141]
	v_add_f64_e32 v[10:11], v[126:127], v[130:131]
	v_add_f64_e32 v[126:127], v[132:133], v[170:171]
	s_wait_loadcnt_dscnt 0x300
	v_mul_f64_e32 v[130:131], v[12:13], v[144:145]
	v_mul_f64_e32 v[132:133], v[14:15], v[144:145]
	v_fmac_f64_e32 v[154:155], v[6:7], v[138:139]
	v_fma_f64 v[134:135], v[4:5], v[138:139], -v[140:141]
	v_add_f64_e32 v[136:137], v[10:11], v[8:9]
	v_add_f64_e32 v[126:127], v[126:127], v[128:129]
	ds_load_b128 v[4:7], v2 offset:1680
	ds_load_b128 v[8:11], v2 offset:1696
	v_fmac_f64_e32 v[130:131], v[14:15], v[142:143]
	v_fma_f64 v[12:13], v[12:13], v[142:143], -v[132:133]
	s_wait_loadcnt_dscnt 0x201
	v_mul_f64_e32 v[128:129], v[4:5], v[148:149]
	v_mul_f64_e32 v[138:139], v[6:7], v[148:149]
	s_wait_loadcnt_dscnt 0x100
	v_mul_f64_e32 v[132:133], v[8:9], v[152:153]
	v_add_f64_e32 v[14:15], v[136:137], v[134:135]
	v_add_f64_e32 v[126:127], v[126:127], v[154:155]
	v_mul_f64_e32 v[134:135], v[10:11], v[152:153]
	v_fmac_f64_e32 v[128:129], v[6:7], v[146:147]
	v_fma_f64 v[136:137], v[4:5], v[146:147], -v[138:139]
	ds_load_b128 v[4:7], v2 offset:1712
	v_fmac_f64_e32 v[132:133], v[10:11], v[150:151]
	v_add_f64_e32 v[12:13], v[14:15], v[12:13]
	v_add_f64_e32 v[14:15], v[126:127], v[130:131]
	v_fma_f64 v[8:9], v[8:9], v[150:151], -v[134:135]
	s_wait_loadcnt_dscnt 0x0
	v_mul_f64_e32 v[126:127], v[4:5], v[160:161]
	v_mul_f64_e32 v[130:131], v[6:7], v[160:161]
	v_add_f64_e32 v[10:11], v[12:13], v[136:137]
	v_add_f64_e32 v[12:13], v[14:15], v[128:129]
	s_delay_alu instid0(VALU_DEP_4) | instskip(NEXT) | instid1(VALU_DEP_4)
	v_fmac_f64_e32 v[126:127], v[6:7], v[158:159]
	v_fma_f64 v[4:5], v[4:5], v[158:159], -v[130:131]
	s_delay_alu instid0(VALU_DEP_4) | instskip(NEXT) | instid1(VALU_DEP_4)
	v_add_f64_e32 v[6:7], v[10:11], v[8:9]
	v_add_f64_e32 v[8:9], v[12:13], v[132:133]
	s_delay_alu instid0(VALU_DEP_2) | instskip(NEXT) | instid1(VALU_DEP_2)
	v_add_f64_e32 v[4:5], v[6:7], v[4:5]
	v_add_f64_e32 v[6:7], v[8:9], v[126:127]
	s_delay_alu instid0(VALU_DEP_2) | instskip(NEXT) | instid1(VALU_DEP_2)
	v_add_f64_e64 v[4:5], v[162:163], -v[4:5]
	v_add_f64_e64 v[6:7], v[164:165], -v[6:7]
	scratch_store_b128 off, v[4:7], off offset:480
	s_wait_xcnt 0x0
	v_cmpx_lt_u32_e32 29, v1
	s_cbranch_execz .LBB117_279
; %bb.278:
	scratch_load_b128 v[6:9], off, s41
	v_dual_mov_b32 v3, v2 :: v_dual_mov_b32 v4, v2
	v_mov_b32_e32 v5, v2
	scratch_store_b128 off, v[2:5], off offset:464
	s_wait_loadcnt 0x0
	ds_store_b128 v124, v[6:9]
.LBB117_279:
	s_wait_xcnt 0x0
	s_or_b32 exec_lo, exec_lo, s2
	s_wait_storecnt_dscnt 0x0
	s_barrier_signal -1
	s_barrier_wait -1
	s_clause 0x9
	scratch_load_b128 v[4:7], off, off offset:480
	scratch_load_b128 v[8:11], off, off offset:496
	;; [unrolled: 1-line block ×10, first 2 shown]
	ds_load_b128 v[154:157], v2 offset:1344
	ds_load_b128 v[162:165], v2 offset:1360
	s_clause 0x2
	scratch_load_b128 v[158:161], off, off offset:640
	scratch_load_b128 v[166:169], off, off offset:464
	;; [unrolled: 1-line block ×3, first 2 shown]
	s_mov_b32 s2, exec_lo
	s_wait_loadcnt_dscnt 0xc01
	v_mul_f64_e32 v[174:175], v[156:157], v[6:7]
	v_mul_f64_e32 v[178:179], v[154:155], v[6:7]
	s_wait_loadcnt_dscnt 0xb00
	v_mul_f64_e32 v[180:181], v[162:163], v[10:11]
	v_mul_f64_e32 v[10:11], v[164:165], v[10:11]
	s_delay_alu instid0(VALU_DEP_4) | instskip(NEXT) | instid1(VALU_DEP_4)
	v_fma_f64 v[182:183], v[154:155], v[4:5], -v[174:175]
	v_fmac_f64_e32 v[178:179], v[156:157], v[4:5]
	ds_load_b128 v[4:7], v2 offset:1376
	ds_load_b128 v[154:157], v2 offset:1392
	scratch_load_b128 v[174:177], off, off offset:672
	v_fmac_f64_e32 v[180:181], v[164:165], v[8:9]
	v_fma_f64 v[162:163], v[162:163], v[8:9], -v[10:11]
	scratch_load_b128 v[8:11], off, off offset:688
	s_wait_loadcnt_dscnt 0xc01
	v_mul_f64_e32 v[184:185], v[4:5], v[14:15]
	v_mul_f64_e32 v[14:15], v[6:7], v[14:15]
	v_add_f64_e32 v[164:165], 0, v[182:183]
	v_add_f64_e32 v[178:179], 0, v[178:179]
	s_wait_loadcnt_dscnt 0xb00
	v_mul_f64_e32 v[182:183], v[154:155], v[128:129]
	v_mul_f64_e32 v[128:129], v[156:157], v[128:129]
	v_fmac_f64_e32 v[184:185], v[6:7], v[12:13]
	v_fma_f64 v[186:187], v[4:5], v[12:13], -v[14:15]
	ds_load_b128 v[4:7], v2 offset:1408
	ds_load_b128 v[12:15], v2 offset:1424
	v_add_f64_e32 v[188:189], v[164:165], v[162:163]
	v_add_f64_e32 v[178:179], v[178:179], v[180:181]
	scratch_load_b128 v[162:165], off, off offset:704
	v_fmac_f64_e32 v[182:183], v[156:157], v[126:127]
	v_fma_f64 v[154:155], v[154:155], v[126:127], -v[128:129]
	scratch_load_b128 v[126:129], off, off offset:720
	s_wait_loadcnt_dscnt 0xc01
	v_mul_f64_e32 v[180:181], v[4:5], v[132:133]
	v_mul_f64_e32 v[132:133], v[6:7], v[132:133]
	v_add_f64_e32 v[156:157], v[188:189], v[186:187]
	v_add_f64_e32 v[178:179], v[178:179], v[184:185]
	s_wait_loadcnt_dscnt 0xb00
	v_mul_f64_e32 v[184:185], v[12:13], v[136:137]
	v_mul_f64_e32 v[136:137], v[14:15], v[136:137]
	v_fmac_f64_e32 v[180:181], v[6:7], v[130:131]
	v_fma_f64 v[186:187], v[4:5], v[130:131], -v[132:133]
	ds_load_b128 v[4:7], v2 offset:1440
	ds_load_b128 v[130:133], v2 offset:1456
	v_add_f64_e32 v[188:189], v[156:157], v[154:155]
	v_add_f64_e32 v[178:179], v[178:179], v[182:183]
	scratch_load_b128 v[154:157], off, off offset:736
	s_wait_loadcnt_dscnt 0xb01
	v_mul_f64_e32 v[182:183], v[4:5], v[140:141]
	v_mul_f64_e32 v[140:141], v[6:7], v[140:141]
	v_fmac_f64_e32 v[184:185], v[14:15], v[134:135]
	v_fma_f64 v[134:135], v[12:13], v[134:135], -v[136:137]
	scratch_load_b128 v[12:15], off, off offset:752
	v_add_f64_e32 v[136:137], v[188:189], v[186:187]
	v_add_f64_e32 v[178:179], v[178:179], v[180:181]
	s_wait_loadcnt_dscnt 0xb00
	v_mul_f64_e32 v[180:181], v[130:131], v[144:145]
	v_mul_f64_e32 v[144:145], v[132:133], v[144:145]
	v_fmac_f64_e32 v[182:183], v[6:7], v[138:139]
	v_fma_f64 v[186:187], v[4:5], v[138:139], -v[140:141]
	v_add_f64_e32 v[188:189], v[136:137], v[134:135]
	v_add_f64_e32 v[178:179], v[178:179], v[184:185]
	ds_load_b128 v[4:7], v2 offset:1472
	ds_load_b128 v[134:137], v2 offset:1488
	scratch_load_b128 v[138:141], off, off offset:768
	v_fmac_f64_e32 v[180:181], v[132:133], v[142:143]
	v_fma_f64 v[142:143], v[130:131], v[142:143], -v[144:145]
	scratch_load_b128 v[130:133], off, off offset:784
	s_wait_loadcnt_dscnt 0xc01
	v_mul_f64_e32 v[184:185], v[4:5], v[148:149]
	v_mul_f64_e32 v[148:149], v[6:7], v[148:149]
	v_add_f64_e32 v[144:145], v[188:189], v[186:187]
	v_add_f64_e32 v[178:179], v[178:179], v[182:183]
	s_wait_loadcnt_dscnt 0xb00
	v_mul_f64_e32 v[182:183], v[134:135], v[152:153]
	v_mul_f64_e32 v[152:153], v[136:137], v[152:153]
	v_fmac_f64_e32 v[184:185], v[6:7], v[146:147]
	v_fma_f64 v[186:187], v[4:5], v[146:147], -v[148:149]
	v_add_f64_e32 v[188:189], v[144:145], v[142:143]
	v_add_f64_e32 v[178:179], v[178:179], v[180:181]
	ds_load_b128 v[4:7], v2 offset:1504
	ds_load_b128 v[142:145], v2 offset:1520
	scratch_load_b128 v[146:149], off, off offset:800
	v_fmac_f64_e32 v[182:183], v[136:137], v[150:151]
	v_fma_f64 v[150:151], v[134:135], v[150:151], -v[152:153]
	scratch_load_b128 v[134:137], off, off offset:816
	s_wait_loadcnt_dscnt 0xc01
	v_mul_f64_e32 v[180:181], v[4:5], v[160:161]
	v_mul_f64_e32 v[160:161], v[6:7], v[160:161]
	;; [unrolled: 18-line block ×3, first 2 shown]
	v_add_f64_e32 v[172:173], v[188:189], v[186:187]
	v_add_f64_e32 v[178:179], v[178:179], v[180:181]
	s_wait_loadcnt_dscnt 0xa00
	v_mul_f64_e32 v[180:181], v[150:151], v[10:11]
	v_mul_f64_e32 v[10:11], v[152:153], v[10:11]
	v_fmac_f64_e32 v[182:183], v[6:7], v[174:175]
	v_fma_f64 v[174:175], v[4:5], v[174:175], -v[176:177]
	v_add_f64_e32 v[176:177], v[172:173], v[170:171]
	v_add_f64_e32 v[178:179], v[178:179], v[184:185]
	ds_load_b128 v[4:7], v2 offset:1568
	ds_load_b128 v[170:173], v2 offset:1584
	v_fmac_f64_e32 v[180:181], v[152:153], v[8:9]
	v_fma_f64 v[8:9], v[150:151], v[8:9], -v[10:11]
	s_wait_loadcnt_dscnt 0x901
	v_mul_f64_e32 v[184:185], v[4:5], v[164:165]
	v_mul_f64_e32 v[164:165], v[6:7], v[164:165]
	s_wait_loadcnt_dscnt 0x800
	v_mul_f64_e32 v[152:153], v[170:171], v[128:129]
	v_mul_f64_e32 v[128:129], v[172:173], v[128:129]
	v_add_f64_e32 v[10:11], v[176:177], v[174:175]
	v_add_f64_e32 v[150:151], v[178:179], v[182:183]
	v_fmac_f64_e32 v[184:185], v[6:7], v[162:163]
	v_fma_f64 v[162:163], v[4:5], v[162:163], -v[164:165]
	v_fmac_f64_e32 v[152:153], v[172:173], v[126:127]
	v_fma_f64 v[126:127], v[170:171], v[126:127], -v[128:129]
	v_add_f64_e32 v[164:165], v[10:11], v[8:9]
	v_add_f64_e32 v[150:151], v[150:151], v[180:181]
	ds_load_b128 v[4:7], v2 offset:1600
	ds_load_b128 v[8:11], v2 offset:1616
	s_wait_loadcnt_dscnt 0x701
	v_mul_f64_e32 v[174:175], v[4:5], v[156:157]
	v_mul_f64_e32 v[156:157], v[6:7], v[156:157]
	v_add_f64_e32 v[128:129], v[164:165], v[162:163]
	v_add_f64_e32 v[150:151], v[150:151], v[184:185]
	s_wait_loadcnt_dscnt 0x600
	v_mul_f64_e32 v[162:163], v[8:9], v[14:15]
	v_mul_f64_e32 v[14:15], v[10:11], v[14:15]
	v_fmac_f64_e32 v[174:175], v[6:7], v[154:155]
	v_fma_f64 v[154:155], v[4:5], v[154:155], -v[156:157]
	v_add_f64_e32 v[156:157], v[128:129], v[126:127]
	v_add_f64_e32 v[150:151], v[150:151], v[152:153]
	ds_load_b128 v[4:7], v2 offset:1632
	ds_load_b128 v[126:129], v2 offset:1648
	v_fmac_f64_e32 v[162:163], v[10:11], v[12:13]
	v_fma_f64 v[8:9], v[8:9], v[12:13], -v[14:15]
	s_wait_loadcnt_dscnt 0x501
	v_mul_f64_e32 v[152:153], v[4:5], v[140:141]
	v_mul_f64_e32 v[140:141], v[6:7], v[140:141]
	s_wait_loadcnt_dscnt 0x400
	v_mul_f64_e32 v[14:15], v[126:127], v[132:133]
	v_mul_f64_e32 v[132:133], v[128:129], v[132:133]
	v_add_f64_e32 v[10:11], v[156:157], v[154:155]
	v_add_f64_e32 v[12:13], v[150:151], v[174:175]
	v_fmac_f64_e32 v[152:153], v[6:7], v[138:139]
	v_fma_f64 v[138:139], v[4:5], v[138:139], -v[140:141]
	v_fmac_f64_e32 v[14:15], v[128:129], v[130:131]
	v_fma_f64 v[126:127], v[126:127], v[130:131], -v[132:133]
	v_add_f64_e32 v[140:141], v[10:11], v[8:9]
	v_add_f64_e32 v[12:13], v[12:13], v[162:163]
	ds_load_b128 v[4:7], v2 offset:1664
	ds_load_b128 v[8:11], v2 offset:1680
	s_wait_loadcnt_dscnt 0x301
	v_mul_f64_e32 v[150:151], v[4:5], v[148:149]
	v_mul_f64_e32 v[148:149], v[6:7], v[148:149]
	s_wait_loadcnt_dscnt 0x200
	v_mul_f64_e32 v[130:131], v[8:9], v[136:137]
	v_mul_f64_e32 v[132:133], v[10:11], v[136:137]
	v_add_f64_e32 v[128:129], v[140:141], v[138:139]
	v_add_f64_e32 v[12:13], v[12:13], v[152:153]
	v_fmac_f64_e32 v[150:151], v[6:7], v[146:147]
	v_fma_f64 v[136:137], v[4:5], v[146:147], -v[148:149]
	v_fmac_f64_e32 v[130:131], v[10:11], v[134:135]
	v_fma_f64 v[8:9], v[8:9], v[134:135], -v[132:133]
	v_add_f64_e32 v[126:127], v[128:129], v[126:127]
	v_add_f64_e32 v[128:129], v[12:13], v[14:15]
	ds_load_b128 v[4:7], v2 offset:1696
	ds_load_b128 v[12:15], v2 offset:1712
	s_wait_loadcnt_dscnt 0x101
	v_mul_f64_e32 v[2:3], v[4:5], v[160:161]
	v_mul_f64_e32 v[138:139], v[6:7], v[160:161]
	s_wait_loadcnt_dscnt 0x0
	v_mul_f64_e32 v[132:133], v[14:15], v[144:145]
	v_add_f64_e32 v[10:11], v[126:127], v[136:137]
	v_add_f64_e32 v[126:127], v[128:129], v[150:151]
	v_mul_f64_e32 v[128:129], v[12:13], v[144:145]
	v_fmac_f64_e32 v[2:3], v[6:7], v[158:159]
	v_fma_f64 v[4:5], v[4:5], v[158:159], -v[138:139]
	v_add_f64_e32 v[6:7], v[10:11], v[8:9]
	v_add_f64_e32 v[8:9], v[126:127], v[130:131]
	v_fmac_f64_e32 v[128:129], v[14:15], v[142:143]
	v_fma_f64 v[10:11], v[12:13], v[142:143], -v[132:133]
	s_delay_alu instid0(VALU_DEP_4) | instskip(NEXT) | instid1(VALU_DEP_4)
	v_add_f64_e32 v[4:5], v[6:7], v[4:5]
	v_add_f64_e32 v[2:3], v[8:9], v[2:3]
	s_delay_alu instid0(VALU_DEP_2) | instskip(NEXT) | instid1(VALU_DEP_2)
	v_add_f64_e32 v[4:5], v[4:5], v[10:11]
	v_add_f64_e32 v[6:7], v[2:3], v[128:129]
	s_delay_alu instid0(VALU_DEP_2) | instskip(NEXT) | instid1(VALU_DEP_2)
	v_add_f64_e64 v[2:3], v[166:167], -v[4:5]
	v_add_f64_e64 v[4:5], v[168:169], -v[6:7]
	scratch_store_b128 off, v[2:5], off offset:464
	s_wait_xcnt 0x0
	v_cmpx_lt_u32_e32 28, v1
	s_cbranch_execz .LBB117_281
; %bb.280:
	scratch_load_b128 v[2:5], off, s42
	v_mov_b32_e32 v6, 0
	s_delay_alu instid0(VALU_DEP_1)
	v_dual_mov_b32 v7, v6 :: v_dual_mov_b32 v8, v6
	v_mov_b32_e32 v9, v6
	scratch_store_b128 off, v[6:9], off offset:448
	s_wait_loadcnt 0x0
	ds_store_b128 v124, v[2:5]
.LBB117_281:
	s_wait_xcnt 0x0
	s_or_b32 exec_lo, exec_lo, s2
	s_wait_storecnt_dscnt 0x0
	s_barrier_signal -1
	s_barrier_wait -1
	s_clause 0x9
	scratch_load_b128 v[4:7], off, off offset:464
	scratch_load_b128 v[8:11], off, off offset:480
	;; [unrolled: 1-line block ×10, first 2 shown]
	v_mov_b32_e32 v2, 0
	s_mov_b32 s2, exec_lo
	ds_load_b128 v[154:157], v2 offset:1328
	s_clause 0x2
	scratch_load_b128 v[158:161], off, off offset:624
	scratch_load_b128 v[162:165], off, off offset:448
	;; [unrolled: 1-line block ×3, first 2 shown]
	s_wait_loadcnt_dscnt 0xc00
	v_mul_f64_e32 v[174:175], v[156:157], v[6:7]
	v_mul_f64_e32 v[178:179], v[154:155], v[6:7]
	ds_load_b128 v[166:169], v2 offset:1344
	v_fma_f64 v[182:183], v[154:155], v[4:5], -v[174:175]
	v_fmac_f64_e32 v[178:179], v[156:157], v[4:5]
	ds_load_b128 v[4:7], v2 offset:1360
	s_wait_loadcnt_dscnt 0xb01
	v_mul_f64_e32 v[180:181], v[166:167], v[10:11]
	v_mul_f64_e32 v[10:11], v[168:169], v[10:11]
	scratch_load_b128 v[154:157], off, off offset:656
	ds_load_b128 v[174:177], v2 offset:1376
	s_wait_loadcnt_dscnt 0xb01
	v_mul_f64_e32 v[184:185], v[4:5], v[14:15]
	v_mul_f64_e32 v[14:15], v[6:7], v[14:15]
	v_add_f64_e32 v[178:179], 0, v[178:179]
	v_fmac_f64_e32 v[180:181], v[168:169], v[8:9]
	v_fma_f64 v[166:167], v[166:167], v[8:9], -v[10:11]
	v_add_f64_e32 v[168:169], 0, v[182:183]
	scratch_load_b128 v[8:11], off, off offset:672
	v_fmac_f64_e32 v[184:185], v[6:7], v[12:13]
	v_fma_f64 v[186:187], v[4:5], v[12:13], -v[14:15]
	ds_load_b128 v[4:7], v2 offset:1392
	s_wait_loadcnt_dscnt 0xb01
	v_mul_f64_e32 v[182:183], v[174:175], v[128:129]
	v_mul_f64_e32 v[128:129], v[176:177], v[128:129]
	scratch_load_b128 v[12:15], off, off offset:688
	v_add_f64_e32 v[178:179], v[178:179], v[180:181]
	v_add_f64_e32 v[188:189], v[168:169], v[166:167]
	ds_load_b128 v[166:169], v2 offset:1408
	s_wait_loadcnt_dscnt 0xb01
	v_mul_f64_e32 v[180:181], v[4:5], v[132:133]
	v_mul_f64_e32 v[132:133], v[6:7], v[132:133]
	v_fmac_f64_e32 v[182:183], v[176:177], v[126:127]
	v_fma_f64 v[174:175], v[174:175], v[126:127], -v[128:129]
	scratch_load_b128 v[126:129], off, off offset:704
	v_add_f64_e32 v[178:179], v[178:179], v[184:185]
	v_add_f64_e32 v[176:177], v[188:189], v[186:187]
	v_fmac_f64_e32 v[180:181], v[6:7], v[130:131]
	v_fma_f64 v[186:187], v[4:5], v[130:131], -v[132:133]
	ds_load_b128 v[4:7], v2 offset:1424
	s_wait_loadcnt_dscnt 0xb01
	v_mul_f64_e32 v[184:185], v[166:167], v[136:137]
	v_mul_f64_e32 v[136:137], v[168:169], v[136:137]
	scratch_load_b128 v[130:133], off, off offset:720
	v_add_f64_e32 v[178:179], v[178:179], v[182:183]
	s_wait_loadcnt_dscnt 0xb00
	v_mul_f64_e32 v[182:183], v[4:5], v[140:141]
	v_add_f64_e32 v[188:189], v[176:177], v[174:175]
	v_mul_f64_e32 v[140:141], v[6:7], v[140:141]
	ds_load_b128 v[174:177], v2 offset:1440
	v_fmac_f64_e32 v[184:185], v[168:169], v[134:135]
	v_fma_f64 v[166:167], v[166:167], v[134:135], -v[136:137]
	scratch_load_b128 v[134:137], off, off offset:736
	v_add_f64_e32 v[178:179], v[178:179], v[180:181]
	v_fmac_f64_e32 v[182:183], v[6:7], v[138:139]
	v_add_f64_e32 v[168:169], v[188:189], v[186:187]
	v_fma_f64 v[186:187], v[4:5], v[138:139], -v[140:141]
	ds_load_b128 v[4:7], v2 offset:1456
	s_wait_loadcnt_dscnt 0xb01
	v_mul_f64_e32 v[180:181], v[174:175], v[144:145]
	v_mul_f64_e32 v[144:145], v[176:177], v[144:145]
	scratch_load_b128 v[138:141], off, off offset:752
	v_add_f64_e32 v[178:179], v[178:179], v[184:185]
	s_wait_loadcnt_dscnt 0xb00
	v_mul_f64_e32 v[184:185], v[4:5], v[148:149]
	v_add_f64_e32 v[188:189], v[168:169], v[166:167]
	v_mul_f64_e32 v[148:149], v[6:7], v[148:149]
	ds_load_b128 v[166:169], v2 offset:1472
	v_fmac_f64_e32 v[180:181], v[176:177], v[142:143]
	v_fma_f64 v[174:175], v[174:175], v[142:143], -v[144:145]
	scratch_load_b128 v[142:145], off, off offset:768
	v_add_f64_e32 v[178:179], v[178:179], v[182:183]
	v_fmac_f64_e32 v[184:185], v[6:7], v[146:147]
	v_add_f64_e32 v[176:177], v[188:189], v[186:187]
	;; [unrolled: 18-line block ×3, first 2 shown]
	v_fma_f64 v[186:187], v[4:5], v[158:159], -v[160:161]
	ds_load_b128 v[4:7], v2 offset:1520
	s_wait_loadcnt_dscnt 0xa01
	v_mul_f64_e32 v[184:185], v[174:175], v[172:173]
	v_mul_f64_e32 v[172:173], v[176:177], v[172:173]
	scratch_load_b128 v[158:161], off, off offset:816
	v_add_f64_e32 v[178:179], v[178:179], v[182:183]
	v_add_f64_e32 v[188:189], v[168:169], v[166:167]
	s_wait_loadcnt_dscnt 0xa00
	v_mul_f64_e32 v[182:183], v[4:5], v[156:157]
	v_mul_f64_e32 v[156:157], v[6:7], v[156:157]
	v_fmac_f64_e32 v[184:185], v[176:177], v[170:171]
	v_fma_f64 v[174:175], v[174:175], v[170:171], -v[172:173]
	ds_load_b128 v[166:169], v2 offset:1536
	scratch_load_b128 v[170:173], off, off offset:832
	v_add_f64_e32 v[178:179], v[178:179], v[180:181]
	v_add_f64_e32 v[176:177], v[188:189], v[186:187]
	v_fmac_f64_e32 v[182:183], v[6:7], v[154:155]
	v_fma_f64 v[186:187], v[4:5], v[154:155], -v[156:157]
	ds_load_b128 v[4:7], v2 offset:1552
	s_wait_loadcnt_dscnt 0xa01
	v_mul_f64_e32 v[180:181], v[166:167], v[10:11]
	v_mul_f64_e32 v[10:11], v[168:169], v[10:11]
	scratch_load_b128 v[154:157], off, off offset:848
	v_add_f64_e32 v[178:179], v[178:179], v[184:185]
	s_wait_loadcnt_dscnt 0xa00
	v_mul_f64_e32 v[184:185], v[4:5], v[14:15]
	v_add_f64_e32 v[188:189], v[176:177], v[174:175]
	v_mul_f64_e32 v[14:15], v[6:7], v[14:15]
	ds_load_b128 v[174:177], v2 offset:1568
	v_fmac_f64_e32 v[180:181], v[168:169], v[8:9]
	v_fma_f64 v[8:9], v[166:167], v[8:9], -v[10:11]
	s_wait_loadcnt_dscnt 0x900
	v_mul_f64_e32 v[168:169], v[174:175], v[128:129]
	v_mul_f64_e32 v[128:129], v[176:177], v[128:129]
	v_add_f64_e32 v[166:167], v[178:179], v[182:183]
	v_fmac_f64_e32 v[184:185], v[6:7], v[12:13]
	v_add_f64_e32 v[10:11], v[188:189], v[186:187]
	v_fma_f64 v[12:13], v[4:5], v[12:13], -v[14:15]
	v_fmac_f64_e32 v[168:169], v[176:177], v[126:127]
	v_fma_f64 v[126:127], v[174:175], v[126:127], -v[128:129]
	v_add_f64_e32 v[166:167], v[166:167], v[180:181]
	v_add_f64_e32 v[14:15], v[10:11], v[8:9]
	ds_load_b128 v[4:7], v2 offset:1584
	ds_load_b128 v[8:11], v2 offset:1600
	s_wait_loadcnt_dscnt 0x801
	v_mul_f64_e32 v[178:179], v[4:5], v[132:133]
	v_mul_f64_e32 v[132:133], v[6:7], v[132:133]
	s_wait_loadcnt_dscnt 0x700
	v_mul_f64_e32 v[128:129], v[8:9], v[136:137]
	v_mul_f64_e32 v[136:137], v[10:11], v[136:137]
	v_add_f64_e32 v[12:13], v[14:15], v[12:13]
	v_add_f64_e32 v[14:15], v[166:167], v[184:185]
	v_fmac_f64_e32 v[178:179], v[6:7], v[130:131]
	v_fma_f64 v[130:131], v[4:5], v[130:131], -v[132:133]
	v_fmac_f64_e32 v[128:129], v[10:11], v[134:135]
	v_fma_f64 v[8:9], v[8:9], v[134:135], -v[136:137]
	v_add_f64_e32 v[126:127], v[12:13], v[126:127]
	v_add_f64_e32 v[132:133], v[14:15], v[168:169]
	ds_load_b128 v[4:7], v2 offset:1616
	ds_load_b128 v[12:15], v2 offset:1632
	s_wait_loadcnt_dscnt 0x601
	v_mul_f64_e32 v[166:167], v[4:5], v[140:141]
	v_mul_f64_e32 v[140:141], v[6:7], v[140:141]
	v_add_f64_e32 v[10:11], v[126:127], v[130:131]
	v_add_f64_e32 v[126:127], v[132:133], v[178:179]
	s_wait_loadcnt_dscnt 0x500
	v_mul_f64_e32 v[130:131], v[12:13], v[144:145]
	v_mul_f64_e32 v[132:133], v[14:15], v[144:145]
	v_fmac_f64_e32 v[166:167], v[6:7], v[138:139]
	v_fma_f64 v[134:135], v[4:5], v[138:139], -v[140:141]
	v_add_f64_e32 v[136:137], v[10:11], v[8:9]
	v_add_f64_e32 v[126:127], v[126:127], v[128:129]
	ds_load_b128 v[4:7], v2 offset:1648
	ds_load_b128 v[8:11], v2 offset:1664
	v_fmac_f64_e32 v[130:131], v[14:15], v[142:143]
	v_fma_f64 v[12:13], v[12:13], v[142:143], -v[132:133]
	s_wait_loadcnt_dscnt 0x401
	v_mul_f64_e32 v[128:129], v[4:5], v[148:149]
	v_mul_f64_e32 v[138:139], v[6:7], v[148:149]
	s_wait_loadcnt_dscnt 0x300
	v_mul_f64_e32 v[132:133], v[8:9], v[152:153]
	v_add_f64_e32 v[14:15], v[136:137], v[134:135]
	v_add_f64_e32 v[126:127], v[126:127], v[166:167]
	v_mul_f64_e32 v[134:135], v[10:11], v[152:153]
	v_fmac_f64_e32 v[128:129], v[6:7], v[146:147]
	v_fma_f64 v[136:137], v[4:5], v[146:147], -v[138:139]
	v_fmac_f64_e32 v[132:133], v[10:11], v[150:151]
	v_add_f64_e32 v[138:139], v[14:15], v[12:13]
	v_add_f64_e32 v[126:127], v[126:127], v[130:131]
	ds_load_b128 v[4:7], v2 offset:1680
	ds_load_b128 v[12:15], v2 offset:1696
	v_fma_f64 v[8:9], v[8:9], v[150:151], -v[134:135]
	s_wait_loadcnt_dscnt 0x201
	v_mul_f64_e32 v[130:131], v[4:5], v[160:161]
	v_mul_f64_e32 v[140:141], v[6:7], v[160:161]
	s_wait_loadcnt_dscnt 0x100
	v_mul_f64_e32 v[134:135], v[14:15], v[172:173]
	v_add_f64_e32 v[10:11], v[138:139], v[136:137]
	v_add_f64_e32 v[126:127], v[126:127], v[128:129]
	v_mul_f64_e32 v[128:129], v[12:13], v[172:173]
	v_fmac_f64_e32 v[130:131], v[6:7], v[158:159]
	v_fma_f64 v[136:137], v[4:5], v[158:159], -v[140:141]
	ds_load_b128 v[4:7], v2 offset:1712
	v_fma_f64 v[12:13], v[12:13], v[170:171], -v[134:135]
	v_add_f64_e32 v[8:9], v[10:11], v[8:9]
	v_add_f64_e32 v[10:11], v[126:127], v[132:133]
	v_fmac_f64_e32 v[128:129], v[14:15], v[170:171]
	s_wait_loadcnt_dscnt 0x0
	v_mul_f64_e32 v[126:127], v[4:5], v[156:157]
	v_mul_f64_e32 v[132:133], v[6:7], v[156:157]
	v_add_f64_e32 v[8:9], v[8:9], v[136:137]
	v_add_f64_e32 v[10:11], v[10:11], v[130:131]
	s_delay_alu instid0(VALU_DEP_4) | instskip(NEXT) | instid1(VALU_DEP_4)
	v_fmac_f64_e32 v[126:127], v[6:7], v[154:155]
	v_fma_f64 v[4:5], v[4:5], v[154:155], -v[132:133]
	s_delay_alu instid0(VALU_DEP_4) | instskip(NEXT) | instid1(VALU_DEP_4)
	v_add_f64_e32 v[6:7], v[8:9], v[12:13]
	v_add_f64_e32 v[8:9], v[10:11], v[128:129]
	s_delay_alu instid0(VALU_DEP_2) | instskip(NEXT) | instid1(VALU_DEP_2)
	v_add_f64_e32 v[4:5], v[6:7], v[4:5]
	v_add_f64_e32 v[6:7], v[8:9], v[126:127]
	s_delay_alu instid0(VALU_DEP_2) | instskip(NEXT) | instid1(VALU_DEP_2)
	v_add_f64_e64 v[4:5], v[162:163], -v[4:5]
	v_add_f64_e64 v[6:7], v[164:165], -v[6:7]
	scratch_store_b128 off, v[4:7], off offset:448
	s_wait_xcnt 0x0
	v_cmpx_lt_u32_e32 27, v1
	s_cbranch_execz .LBB117_283
; %bb.282:
	scratch_load_b128 v[6:9], off, s43
	v_dual_mov_b32 v3, v2 :: v_dual_mov_b32 v4, v2
	v_mov_b32_e32 v5, v2
	scratch_store_b128 off, v[2:5], off offset:432
	s_wait_loadcnt 0x0
	ds_store_b128 v124, v[6:9]
.LBB117_283:
	s_wait_xcnt 0x0
	s_or_b32 exec_lo, exec_lo, s2
	s_wait_storecnt_dscnt 0x0
	s_barrier_signal -1
	s_barrier_wait -1
	s_clause 0x9
	scratch_load_b128 v[4:7], off, off offset:448
	scratch_load_b128 v[8:11], off, off offset:464
	;; [unrolled: 1-line block ×10, first 2 shown]
	ds_load_b128 v[154:157], v2 offset:1312
	ds_load_b128 v[162:165], v2 offset:1328
	s_clause 0x2
	scratch_load_b128 v[158:161], off, off offset:608
	scratch_load_b128 v[166:169], off, off offset:432
	;; [unrolled: 1-line block ×3, first 2 shown]
	s_mov_b32 s2, exec_lo
	s_wait_loadcnt_dscnt 0xc01
	v_mul_f64_e32 v[174:175], v[156:157], v[6:7]
	v_mul_f64_e32 v[178:179], v[154:155], v[6:7]
	s_wait_loadcnt_dscnt 0xb00
	v_mul_f64_e32 v[180:181], v[162:163], v[10:11]
	v_mul_f64_e32 v[10:11], v[164:165], v[10:11]
	s_delay_alu instid0(VALU_DEP_4) | instskip(NEXT) | instid1(VALU_DEP_4)
	v_fma_f64 v[182:183], v[154:155], v[4:5], -v[174:175]
	v_fmac_f64_e32 v[178:179], v[156:157], v[4:5]
	ds_load_b128 v[4:7], v2 offset:1344
	ds_load_b128 v[154:157], v2 offset:1360
	scratch_load_b128 v[174:177], off, off offset:640
	v_fmac_f64_e32 v[180:181], v[164:165], v[8:9]
	v_fma_f64 v[162:163], v[162:163], v[8:9], -v[10:11]
	scratch_load_b128 v[8:11], off, off offset:656
	s_wait_loadcnt_dscnt 0xc01
	v_mul_f64_e32 v[184:185], v[4:5], v[14:15]
	v_mul_f64_e32 v[14:15], v[6:7], v[14:15]
	v_add_f64_e32 v[164:165], 0, v[182:183]
	v_add_f64_e32 v[178:179], 0, v[178:179]
	s_wait_loadcnt_dscnt 0xb00
	v_mul_f64_e32 v[182:183], v[154:155], v[128:129]
	v_mul_f64_e32 v[128:129], v[156:157], v[128:129]
	v_fmac_f64_e32 v[184:185], v[6:7], v[12:13]
	v_fma_f64 v[186:187], v[4:5], v[12:13], -v[14:15]
	ds_load_b128 v[4:7], v2 offset:1376
	ds_load_b128 v[12:15], v2 offset:1392
	v_add_f64_e32 v[188:189], v[164:165], v[162:163]
	v_add_f64_e32 v[178:179], v[178:179], v[180:181]
	scratch_load_b128 v[162:165], off, off offset:672
	v_fmac_f64_e32 v[182:183], v[156:157], v[126:127]
	v_fma_f64 v[154:155], v[154:155], v[126:127], -v[128:129]
	scratch_load_b128 v[126:129], off, off offset:688
	s_wait_loadcnt_dscnt 0xc01
	v_mul_f64_e32 v[180:181], v[4:5], v[132:133]
	v_mul_f64_e32 v[132:133], v[6:7], v[132:133]
	v_add_f64_e32 v[156:157], v[188:189], v[186:187]
	v_add_f64_e32 v[178:179], v[178:179], v[184:185]
	s_wait_loadcnt_dscnt 0xb00
	v_mul_f64_e32 v[184:185], v[12:13], v[136:137]
	v_mul_f64_e32 v[136:137], v[14:15], v[136:137]
	v_fmac_f64_e32 v[180:181], v[6:7], v[130:131]
	v_fma_f64 v[186:187], v[4:5], v[130:131], -v[132:133]
	ds_load_b128 v[4:7], v2 offset:1408
	ds_load_b128 v[130:133], v2 offset:1424
	v_add_f64_e32 v[188:189], v[156:157], v[154:155]
	v_add_f64_e32 v[178:179], v[178:179], v[182:183]
	scratch_load_b128 v[154:157], off, off offset:704
	s_wait_loadcnt_dscnt 0xb01
	v_mul_f64_e32 v[182:183], v[4:5], v[140:141]
	v_mul_f64_e32 v[140:141], v[6:7], v[140:141]
	v_fmac_f64_e32 v[184:185], v[14:15], v[134:135]
	v_fma_f64 v[134:135], v[12:13], v[134:135], -v[136:137]
	scratch_load_b128 v[12:15], off, off offset:720
	v_add_f64_e32 v[136:137], v[188:189], v[186:187]
	v_add_f64_e32 v[178:179], v[178:179], v[180:181]
	s_wait_loadcnt_dscnt 0xb00
	v_mul_f64_e32 v[180:181], v[130:131], v[144:145]
	v_mul_f64_e32 v[144:145], v[132:133], v[144:145]
	v_fmac_f64_e32 v[182:183], v[6:7], v[138:139]
	v_fma_f64 v[186:187], v[4:5], v[138:139], -v[140:141]
	v_add_f64_e32 v[188:189], v[136:137], v[134:135]
	v_add_f64_e32 v[178:179], v[178:179], v[184:185]
	ds_load_b128 v[4:7], v2 offset:1440
	ds_load_b128 v[134:137], v2 offset:1456
	scratch_load_b128 v[138:141], off, off offset:736
	v_fmac_f64_e32 v[180:181], v[132:133], v[142:143]
	v_fma_f64 v[142:143], v[130:131], v[142:143], -v[144:145]
	scratch_load_b128 v[130:133], off, off offset:752
	s_wait_loadcnt_dscnt 0xc01
	v_mul_f64_e32 v[184:185], v[4:5], v[148:149]
	v_mul_f64_e32 v[148:149], v[6:7], v[148:149]
	v_add_f64_e32 v[144:145], v[188:189], v[186:187]
	v_add_f64_e32 v[178:179], v[178:179], v[182:183]
	s_wait_loadcnt_dscnt 0xb00
	v_mul_f64_e32 v[182:183], v[134:135], v[152:153]
	v_mul_f64_e32 v[152:153], v[136:137], v[152:153]
	v_fmac_f64_e32 v[184:185], v[6:7], v[146:147]
	v_fma_f64 v[186:187], v[4:5], v[146:147], -v[148:149]
	v_add_f64_e32 v[188:189], v[144:145], v[142:143]
	v_add_f64_e32 v[178:179], v[178:179], v[180:181]
	ds_load_b128 v[4:7], v2 offset:1472
	ds_load_b128 v[142:145], v2 offset:1488
	scratch_load_b128 v[146:149], off, off offset:768
	v_fmac_f64_e32 v[182:183], v[136:137], v[150:151]
	v_fma_f64 v[150:151], v[134:135], v[150:151], -v[152:153]
	scratch_load_b128 v[134:137], off, off offset:784
	s_wait_loadcnt_dscnt 0xc01
	v_mul_f64_e32 v[180:181], v[4:5], v[160:161]
	v_mul_f64_e32 v[160:161], v[6:7], v[160:161]
	;; [unrolled: 18-line block ×4, first 2 shown]
	v_add_f64_e32 v[152:153], v[188:189], v[186:187]
	v_add_f64_e32 v[178:179], v[178:179], v[182:183]
	s_wait_loadcnt_dscnt 0xa00
	v_mul_f64_e32 v[182:183], v[170:171], v[128:129]
	v_mul_f64_e32 v[128:129], v[172:173], v[128:129]
	v_fmac_f64_e32 v[184:185], v[6:7], v[162:163]
	v_fma_f64 v[162:163], v[4:5], v[162:163], -v[164:165]
	v_add_f64_e32 v[164:165], v[152:153], v[150:151]
	v_add_f64_e32 v[178:179], v[178:179], v[180:181]
	ds_load_b128 v[4:7], v2 offset:1568
	ds_load_b128 v[150:153], v2 offset:1584
	v_fmac_f64_e32 v[182:183], v[172:173], v[126:127]
	v_fma_f64 v[126:127], v[170:171], v[126:127], -v[128:129]
	s_wait_loadcnt_dscnt 0x901
	v_mul_f64_e32 v[180:181], v[4:5], v[156:157]
	v_mul_f64_e32 v[156:157], v[6:7], v[156:157]
	v_add_f64_e32 v[128:129], v[164:165], v[162:163]
	v_add_f64_e32 v[162:163], v[178:179], v[184:185]
	s_wait_loadcnt_dscnt 0x800
	v_mul_f64_e32 v[164:165], v[150:151], v[14:15]
	v_mul_f64_e32 v[14:15], v[152:153], v[14:15]
	v_fmac_f64_e32 v[180:181], v[6:7], v[154:155]
	v_fma_f64 v[154:155], v[4:5], v[154:155], -v[156:157]
	v_add_f64_e32 v[156:157], v[128:129], v[126:127]
	v_add_f64_e32 v[162:163], v[162:163], v[182:183]
	ds_load_b128 v[4:7], v2 offset:1600
	ds_load_b128 v[126:129], v2 offset:1616
	v_fmac_f64_e32 v[164:165], v[152:153], v[12:13]
	v_fma_f64 v[12:13], v[150:151], v[12:13], -v[14:15]
	s_wait_loadcnt_dscnt 0x701
	v_mul_f64_e32 v[170:171], v[4:5], v[140:141]
	v_mul_f64_e32 v[140:141], v[6:7], v[140:141]
	s_wait_loadcnt_dscnt 0x600
	v_mul_f64_e32 v[152:153], v[126:127], v[132:133]
	v_mul_f64_e32 v[132:133], v[128:129], v[132:133]
	v_add_f64_e32 v[14:15], v[156:157], v[154:155]
	v_add_f64_e32 v[150:151], v[162:163], v[180:181]
	v_fmac_f64_e32 v[170:171], v[6:7], v[138:139]
	v_fma_f64 v[138:139], v[4:5], v[138:139], -v[140:141]
	v_fmac_f64_e32 v[152:153], v[128:129], v[130:131]
	v_fma_f64 v[126:127], v[126:127], v[130:131], -v[132:133]
	v_add_f64_e32 v[140:141], v[14:15], v[12:13]
	v_add_f64_e32 v[150:151], v[150:151], v[164:165]
	ds_load_b128 v[4:7], v2 offset:1632
	ds_load_b128 v[12:15], v2 offset:1648
	s_wait_loadcnt_dscnt 0x501
	v_mul_f64_e32 v[154:155], v[4:5], v[148:149]
	v_mul_f64_e32 v[148:149], v[6:7], v[148:149]
	s_wait_loadcnt_dscnt 0x400
	v_mul_f64_e32 v[132:133], v[12:13], v[136:137]
	v_mul_f64_e32 v[136:137], v[14:15], v[136:137]
	v_add_f64_e32 v[128:129], v[140:141], v[138:139]
	v_add_f64_e32 v[130:131], v[150:151], v[170:171]
	v_fmac_f64_e32 v[154:155], v[6:7], v[146:147]
	v_fma_f64 v[138:139], v[4:5], v[146:147], -v[148:149]
	v_fmac_f64_e32 v[132:133], v[14:15], v[134:135]
	v_fma_f64 v[12:13], v[12:13], v[134:135], -v[136:137]
	v_add_f64_e32 v[140:141], v[128:129], v[126:127]
	v_add_f64_e32 v[130:131], v[130:131], v[152:153]
	ds_load_b128 v[4:7], v2 offset:1664
	ds_load_b128 v[126:129], v2 offset:1680
	;; [unrolled: 16-line block ×3, first 2 shown]
	s_wait_loadcnt_dscnt 0x101
	v_mul_f64_e32 v[2:3], v[4:5], v[176:177]
	v_mul_f64_e32 v[132:133], v[6:7], v[176:177]
	s_wait_loadcnt_dscnt 0x0
	v_mul_f64_e32 v[136:137], v[12:13], v[10:11]
	v_mul_f64_e32 v[10:11], v[14:15], v[10:11]
	v_add_f64_e32 v[128:129], v[140:141], v[138:139]
	v_add_f64_e32 v[130:131], v[130:131], v[146:147]
	v_fmac_f64_e32 v[2:3], v[6:7], v[174:175]
	v_fma_f64 v[4:5], v[4:5], v[174:175], -v[132:133]
	v_fmac_f64_e32 v[136:137], v[14:15], v[8:9]
	v_fma_f64 v[8:9], v[12:13], v[8:9], -v[10:11]
	v_add_f64_e32 v[6:7], v[128:129], v[126:127]
	v_add_f64_e32 v[126:127], v[130:131], v[134:135]
	s_delay_alu instid0(VALU_DEP_2) | instskip(NEXT) | instid1(VALU_DEP_2)
	v_add_f64_e32 v[4:5], v[6:7], v[4:5]
	v_add_f64_e32 v[2:3], v[126:127], v[2:3]
	s_delay_alu instid0(VALU_DEP_2) | instskip(NEXT) | instid1(VALU_DEP_2)
	;; [unrolled: 3-line block ×3, first 2 shown]
	v_add_f64_e64 v[2:3], v[166:167], -v[4:5]
	v_add_f64_e64 v[4:5], v[168:169], -v[6:7]
	scratch_store_b128 off, v[2:5], off offset:432
	s_wait_xcnt 0x0
	v_cmpx_lt_u32_e32 26, v1
	s_cbranch_execz .LBB117_285
; %bb.284:
	scratch_load_b128 v[2:5], off, s44
	v_mov_b32_e32 v6, 0
	s_delay_alu instid0(VALU_DEP_1)
	v_dual_mov_b32 v7, v6 :: v_dual_mov_b32 v8, v6
	v_mov_b32_e32 v9, v6
	scratch_store_b128 off, v[6:9], off offset:416
	s_wait_loadcnt 0x0
	ds_store_b128 v124, v[2:5]
.LBB117_285:
	s_wait_xcnt 0x0
	s_or_b32 exec_lo, exec_lo, s2
	s_wait_storecnt_dscnt 0x0
	s_barrier_signal -1
	s_barrier_wait -1
	s_clause 0x9
	scratch_load_b128 v[4:7], off, off offset:432
	scratch_load_b128 v[8:11], off, off offset:448
	;; [unrolled: 1-line block ×10, first 2 shown]
	v_mov_b32_e32 v2, 0
	s_mov_b32 s2, exec_lo
	ds_load_b128 v[154:157], v2 offset:1296
	s_clause 0x2
	scratch_load_b128 v[158:161], off, off offset:592
	scratch_load_b128 v[162:165], off, off offset:416
	;; [unrolled: 1-line block ×3, first 2 shown]
	s_wait_loadcnt_dscnt 0xc00
	v_mul_f64_e32 v[174:175], v[156:157], v[6:7]
	v_mul_f64_e32 v[178:179], v[154:155], v[6:7]
	ds_load_b128 v[166:169], v2 offset:1312
	v_fma_f64 v[182:183], v[154:155], v[4:5], -v[174:175]
	v_fmac_f64_e32 v[178:179], v[156:157], v[4:5]
	ds_load_b128 v[4:7], v2 offset:1328
	s_wait_loadcnt_dscnt 0xb01
	v_mul_f64_e32 v[180:181], v[166:167], v[10:11]
	v_mul_f64_e32 v[10:11], v[168:169], v[10:11]
	scratch_load_b128 v[154:157], off, off offset:624
	ds_load_b128 v[174:177], v2 offset:1344
	s_wait_loadcnt_dscnt 0xb01
	v_mul_f64_e32 v[184:185], v[4:5], v[14:15]
	v_mul_f64_e32 v[14:15], v[6:7], v[14:15]
	v_add_f64_e32 v[178:179], 0, v[178:179]
	v_fmac_f64_e32 v[180:181], v[168:169], v[8:9]
	v_fma_f64 v[166:167], v[166:167], v[8:9], -v[10:11]
	v_add_f64_e32 v[168:169], 0, v[182:183]
	scratch_load_b128 v[8:11], off, off offset:640
	v_fmac_f64_e32 v[184:185], v[6:7], v[12:13]
	v_fma_f64 v[186:187], v[4:5], v[12:13], -v[14:15]
	ds_load_b128 v[4:7], v2 offset:1360
	s_wait_loadcnt_dscnt 0xb01
	v_mul_f64_e32 v[182:183], v[174:175], v[128:129]
	v_mul_f64_e32 v[128:129], v[176:177], v[128:129]
	scratch_load_b128 v[12:15], off, off offset:656
	v_add_f64_e32 v[178:179], v[178:179], v[180:181]
	v_add_f64_e32 v[188:189], v[168:169], v[166:167]
	ds_load_b128 v[166:169], v2 offset:1376
	s_wait_loadcnt_dscnt 0xb01
	v_mul_f64_e32 v[180:181], v[4:5], v[132:133]
	v_mul_f64_e32 v[132:133], v[6:7], v[132:133]
	v_fmac_f64_e32 v[182:183], v[176:177], v[126:127]
	v_fma_f64 v[174:175], v[174:175], v[126:127], -v[128:129]
	scratch_load_b128 v[126:129], off, off offset:672
	v_add_f64_e32 v[178:179], v[178:179], v[184:185]
	v_add_f64_e32 v[176:177], v[188:189], v[186:187]
	v_fmac_f64_e32 v[180:181], v[6:7], v[130:131]
	v_fma_f64 v[186:187], v[4:5], v[130:131], -v[132:133]
	ds_load_b128 v[4:7], v2 offset:1392
	s_wait_loadcnt_dscnt 0xb01
	v_mul_f64_e32 v[184:185], v[166:167], v[136:137]
	v_mul_f64_e32 v[136:137], v[168:169], v[136:137]
	scratch_load_b128 v[130:133], off, off offset:688
	v_add_f64_e32 v[178:179], v[178:179], v[182:183]
	s_wait_loadcnt_dscnt 0xb00
	v_mul_f64_e32 v[182:183], v[4:5], v[140:141]
	v_add_f64_e32 v[188:189], v[176:177], v[174:175]
	v_mul_f64_e32 v[140:141], v[6:7], v[140:141]
	ds_load_b128 v[174:177], v2 offset:1408
	v_fmac_f64_e32 v[184:185], v[168:169], v[134:135]
	v_fma_f64 v[166:167], v[166:167], v[134:135], -v[136:137]
	scratch_load_b128 v[134:137], off, off offset:704
	v_add_f64_e32 v[178:179], v[178:179], v[180:181]
	v_fmac_f64_e32 v[182:183], v[6:7], v[138:139]
	v_add_f64_e32 v[168:169], v[188:189], v[186:187]
	v_fma_f64 v[186:187], v[4:5], v[138:139], -v[140:141]
	ds_load_b128 v[4:7], v2 offset:1424
	s_wait_loadcnt_dscnt 0xb01
	v_mul_f64_e32 v[180:181], v[174:175], v[144:145]
	v_mul_f64_e32 v[144:145], v[176:177], v[144:145]
	scratch_load_b128 v[138:141], off, off offset:720
	v_add_f64_e32 v[178:179], v[178:179], v[184:185]
	s_wait_loadcnt_dscnt 0xb00
	v_mul_f64_e32 v[184:185], v[4:5], v[148:149]
	v_add_f64_e32 v[188:189], v[168:169], v[166:167]
	v_mul_f64_e32 v[148:149], v[6:7], v[148:149]
	ds_load_b128 v[166:169], v2 offset:1440
	v_fmac_f64_e32 v[180:181], v[176:177], v[142:143]
	v_fma_f64 v[174:175], v[174:175], v[142:143], -v[144:145]
	scratch_load_b128 v[142:145], off, off offset:736
	v_add_f64_e32 v[178:179], v[178:179], v[182:183]
	v_fmac_f64_e32 v[184:185], v[6:7], v[146:147]
	v_add_f64_e32 v[176:177], v[188:189], v[186:187]
	;; [unrolled: 18-line block ×3, first 2 shown]
	v_fma_f64 v[186:187], v[4:5], v[158:159], -v[160:161]
	ds_load_b128 v[4:7], v2 offset:1488
	s_wait_loadcnt_dscnt 0xa01
	v_mul_f64_e32 v[184:185], v[174:175], v[172:173]
	v_mul_f64_e32 v[172:173], v[176:177], v[172:173]
	scratch_load_b128 v[158:161], off, off offset:784
	v_add_f64_e32 v[178:179], v[178:179], v[182:183]
	v_add_f64_e32 v[188:189], v[168:169], v[166:167]
	s_wait_loadcnt_dscnt 0xa00
	v_mul_f64_e32 v[182:183], v[4:5], v[156:157]
	v_mul_f64_e32 v[156:157], v[6:7], v[156:157]
	v_fmac_f64_e32 v[184:185], v[176:177], v[170:171]
	v_fma_f64 v[174:175], v[174:175], v[170:171], -v[172:173]
	ds_load_b128 v[166:169], v2 offset:1504
	scratch_load_b128 v[170:173], off, off offset:800
	v_add_f64_e32 v[178:179], v[178:179], v[180:181]
	v_add_f64_e32 v[176:177], v[188:189], v[186:187]
	v_fmac_f64_e32 v[182:183], v[6:7], v[154:155]
	v_fma_f64 v[186:187], v[4:5], v[154:155], -v[156:157]
	ds_load_b128 v[4:7], v2 offset:1520
	s_wait_loadcnt_dscnt 0xa01
	v_mul_f64_e32 v[180:181], v[166:167], v[10:11]
	v_mul_f64_e32 v[10:11], v[168:169], v[10:11]
	scratch_load_b128 v[154:157], off, off offset:816
	v_add_f64_e32 v[178:179], v[178:179], v[184:185]
	s_wait_loadcnt_dscnt 0xa00
	v_mul_f64_e32 v[184:185], v[4:5], v[14:15]
	v_add_f64_e32 v[188:189], v[176:177], v[174:175]
	v_mul_f64_e32 v[14:15], v[6:7], v[14:15]
	ds_load_b128 v[174:177], v2 offset:1536
	v_fmac_f64_e32 v[180:181], v[168:169], v[8:9]
	v_fma_f64 v[166:167], v[166:167], v[8:9], -v[10:11]
	scratch_load_b128 v[8:11], off, off offset:832
	v_add_f64_e32 v[178:179], v[178:179], v[182:183]
	v_fmac_f64_e32 v[184:185], v[6:7], v[12:13]
	v_add_f64_e32 v[168:169], v[188:189], v[186:187]
	v_fma_f64 v[186:187], v[4:5], v[12:13], -v[14:15]
	ds_load_b128 v[4:7], v2 offset:1552
	s_wait_loadcnt_dscnt 0xa01
	v_mul_f64_e32 v[182:183], v[174:175], v[128:129]
	v_mul_f64_e32 v[128:129], v[176:177], v[128:129]
	scratch_load_b128 v[12:15], off, off offset:848
	v_add_f64_e32 v[178:179], v[178:179], v[180:181]
	s_wait_loadcnt_dscnt 0xa00
	v_mul_f64_e32 v[180:181], v[4:5], v[132:133]
	v_add_f64_e32 v[188:189], v[168:169], v[166:167]
	v_mul_f64_e32 v[132:133], v[6:7], v[132:133]
	ds_load_b128 v[166:169], v2 offset:1568
	v_fmac_f64_e32 v[182:183], v[176:177], v[126:127]
	v_fma_f64 v[126:127], v[174:175], v[126:127], -v[128:129]
	s_wait_loadcnt_dscnt 0x900
	v_mul_f64_e32 v[176:177], v[166:167], v[136:137]
	v_mul_f64_e32 v[136:137], v[168:169], v[136:137]
	v_add_f64_e32 v[174:175], v[178:179], v[184:185]
	v_fmac_f64_e32 v[180:181], v[6:7], v[130:131]
	v_add_f64_e32 v[128:129], v[188:189], v[186:187]
	v_fma_f64 v[130:131], v[4:5], v[130:131], -v[132:133]
	v_fmac_f64_e32 v[176:177], v[168:169], v[134:135]
	v_fma_f64 v[134:135], v[166:167], v[134:135], -v[136:137]
	v_add_f64_e32 v[174:175], v[174:175], v[182:183]
	v_add_f64_e32 v[132:133], v[128:129], v[126:127]
	ds_load_b128 v[4:7], v2 offset:1584
	ds_load_b128 v[126:129], v2 offset:1600
	s_wait_loadcnt_dscnt 0x801
	v_mul_f64_e32 v[178:179], v[4:5], v[140:141]
	v_mul_f64_e32 v[140:141], v[6:7], v[140:141]
	s_wait_loadcnt_dscnt 0x700
	v_mul_f64_e32 v[136:137], v[126:127], v[144:145]
	v_mul_f64_e32 v[144:145], v[128:129], v[144:145]
	v_add_f64_e32 v[130:131], v[132:133], v[130:131]
	v_add_f64_e32 v[132:133], v[174:175], v[180:181]
	v_fmac_f64_e32 v[178:179], v[6:7], v[138:139]
	v_fma_f64 v[138:139], v[4:5], v[138:139], -v[140:141]
	v_fmac_f64_e32 v[136:137], v[128:129], v[142:143]
	v_fma_f64 v[126:127], v[126:127], v[142:143], -v[144:145]
	v_add_f64_e32 v[134:135], v[130:131], v[134:135]
	v_add_f64_e32 v[140:141], v[132:133], v[176:177]
	ds_load_b128 v[4:7], v2 offset:1616
	ds_load_b128 v[130:133], v2 offset:1632
	s_wait_loadcnt_dscnt 0x601
	v_mul_f64_e32 v[166:167], v[4:5], v[148:149]
	v_mul_f64_e32 v[148:149], v[6:7], v[148:149]
	v_add_f64_e32 v[128:129], v[134:135], v[138:139]
	v_add_f64_e32 v[134:135], v[140:141], v[178:179]
	s_wait_loadcnt_dscnt 0x500
	v_mul_f64_e32 v[138:139], v[130:131], v[152:153]
	v_mul_f64_e32 v[140:141], v[132:133], v[152:153]
	v_fmac_f64_e32 v[166:167], v[6:7], v[146:147]
	v_fma_f64 v[142:143], v[4:5], v[146:147], -v[148:149]
	v_add_f64_e32 v[144:145], v[128:129], v[126:127]
	v_add_f64_e32 v[134:135], v[134:135], v[136:137]
	ds_load_b128 v[4:7], v2 offset:1648
	ds_load_b128 v[126:129], v2 offset:1664
	v_fmac_f64_e32 v[138:139], v[132:133], v[150:151]
	v_fma_f64 v[130:131], v[130:131], v[150:151], -v[140:141]
	s_wait_loadcnt_dscnt 0x401
	v_mul_f64_e32 v[136:137], v[4:5], v[160:161]
	v_mul_f64_e32 v[146:147], v[6:7], v[160:161]
	s_wait_loadcnt_dscnt 0x300
	v_mul_f64_e32 v[140:141], v[126:127], v[172:173]
	v_add_f64_e32 v[132:133], v[144:145], v[142:143]
	v_add_f64_e32 v[134:135], v[134:135], v[166:167]
	v_mul_f64_e32 v[142:143], v[128:129], v[172:173]
	v_fmac_f64_e32 v[136:137], v[6:7], v[158:159]
	v_fma_f64 v[144:145], v[4:5], v[158:159], -v[146:147]
	v_fmac_f64_e32 v[140:141], v[128:129], v[170:171]
	v_add_f64_e32 v[146:147], v[132:133], v[130:131]
	v_add_f64_e32 v[134:135], v[134:135], v[138:139]
	ds_load_b128 v[4:7], v2 offset:1680
	ds_load_b128 v[130:133], v2 offset:1696
	v_fma_f64 v[126:127], v[126:127], v[170:171], -v[142:143]
	s_wait_loadcnt_dscnt 0x201
	v_mul_f64_e32 v[138:139], v[4:5], v[156:157]
	v_mul_f64_e32 v[148:149], v[6:7], v[156:157]
	v_add_f64_e32 v[128:129], v[146:147], v[144:145]
	v_add_f64_e32 v[134:135], v[134:135], v[136:137]
	s_wait_loadcnt_dscnt 0x100
	v_mul_f64_e32 v[136:137], v[130:131], v[10:11]
	v_mul_f64_e32 v[10:11], v[132:133], v[10:11]
	v_fmac_f64_e32 v[138:139], v[6:7], v[154:155]
	v_fma_f64 v[142:143], v[4:5], v[154:155], -v[148:149]
	ds_load_b128 v[4:7], v2 offset:1712
	v_add_f64_e32 v[126:127], v[128:129], v[126:127]
	v_add_f64_e32 v[128:129], v[134:135], v[140:141]
	v_fmac_f64_e32 v[136:137], v[132:133], v[8:9]
	v_fma_f64 v[8:9], v[130:131], v[8:9], -v[10:11]
	s_wait_loadcnt_dscnt 0x0
	v_mul_f64_e32 v[134:135], v[4:5], v[14:15]
	v_mul_f64_e32 v[14:15], v[6:7], v[14:15]
	v_add_f64_e32 v[10:11], v[126:127], v[142:143]
	v_add_f64_e32 v[126:127], v[128:129], v[138:139]
	s_delay_alu instid0(VALU_DEP_4) | instskip(NEXT) | instid1(VALU_DEP_4)
	v_fmac_f64_e32 v[134:135], v[6:7], v[12:13]
	v_fma_f64 v[4:5], v[4:5], v[12:13], -v[14:15]
	s_delay_alu instid0(VALU_DEP_4) | instskip(NEXT) | instid1(VALU_DEP_4)
	v_add_f64_e32 v[6:7], v[10:11], v[8:9]
	v_add_f64_e32 v[8:9], v[126:127], v[136:137]
	s_delay_alu instid0(VALU_DEP_2) | instskip(NEXT) | instid1(VALU_DEP_2)
	v_add_f64_e32 v[4:5], v[6:7], v[4:5]
	v_add_f64_e32 v[6:7], v[8:9], v[134:135]
	s_delay_alu instid0(VALU_DEP_2) | instskip(NEXT) | instid1(VALU_DEP_2)
	v_add_f64_e64 v[4:5], v[162:163], -v[4:5]
	v_add_f64_e64 v[6:7], v[164:165], -v[6:7]
	scratch_store_b128 off, v[4:7], off offset:416
	s_wait_xcnt 0x0
	v_cmpx_lt_u32_e32 25, v1
	s_cbranch_execz .LBB117_287
; %bb.286:
	scratch_load_b128 v[6:9], off, s45
	v_dual_mov_b32 v3, v2 :: v_dual_mov_b32 v4, v2
	v_mov_b32_e32 v5, v2
	scratch_store_b128 off, v[2:5], off offset:400
	s_wait_loadcnt 0x0
	ds_store_b128 v124, v[6:9]
.LBB117_287:
	s_wait_xcnt 0x0
	s_or_b32 exec_lo, exec_lo, s2
	s_wait_storecnt_dscnt 0x0
	s_barrier_signal -1
	s_barrier_wait -1
	s_clause 0x9
	scratch_load_b128 v[4:7], off, off offset:416
	scratch_load_b128 v[8:11], off, off offset:432
	;; [unrolled: 1-line block ×10, first 2 shown]
	ds_load_b128 v[154:157], v2 offset:1280
	ds_load_b128 v[162:165], v2 offset:1296
	s_clause 0x2
	scratch_load_b128 v[158:161], off, off offset:576
	scratch_load_b128 v[166:169], off, off offset:400
	scratch_load_b128 v[170:173], off, off offset:592
	s_mov_b32 s2, exec_lo
	s_wait_loadcnt_dscnt 0xc01
	v_mul_f64_e32 v[174:175], v[156:157], v[6:7]
	v_mul_f64_e32 v[178:179], v[154:155], v[6:7]
	s_wait_loadcnt_dscnt 0xb00
	v_mul_f64_e32 v[180:181], v[162:163], v[10:11]
	v_mul_f64_e32 v[10:11], v[164:165], v[10:11]
	s_delay_alu instid0(VALU_DEP_4) | instskip(NEXT) | instid1(VALU_DEP_4)
	v_fma_f64 v[182:183], v[154:155], v[4:5], -v[174:175]
	v_fmac_f64_e32 v[178:179], v[156:157], v[4:5]
	ds_load_b128 v[4:7], v2 offset:1312
	ds_load_b128 v[154:157], v2 offset:1328
	scratch_load_b128 v[174:177], off, off offset:608
	v_fmac_f64_e32 v[180:181], v[164:165], v[8:9]
	v_fma_f64 v[162:163], v[162:163], v[8:9], -v[10:11]
	scratch_load_b128 v[8:11], off, off offset:624
	s_wait_loadcnt_dscnt 0xc01
	v_mul_f64_e32 v[184:185], v[4:5], v[14:15]
	v_mul_f64_e32 v[14:15], v[6:7], v[14:15]
	v_add_f64_e32 v[164:165], 0, v[182:183]
	v_add_f64_e32 v[178:179], 0, v[178:179]
	s_wait_loadcnt_dscnt 0xb00
	v_mul_f64_e32 v[182:183], v[154:155], v[128:129]
	v_mul_f64_e32 v[128:129], v[156:157], v[128:129]
	v_fmac_f64_e32 v[184:185], v[6:7], v[12:13]
	v_fma_f64 v[186:187], v[4:5], v[12:13], -v[14:15]
	ds_load_b128 v[4:7], v2 offset:1344
	ds_load_b128 v[12:15], v2 offset:1360
	v_add_f64_e32 v[188:189], v[164:165], v[162:163]
	v_add_f64_e32 v[178:179], v[178:179], v[180:181]
	scratch_load_b128 v[162:165], off, off offset:640
	v_fmac_f64_e32 v[182:183], v[156:157], v[126:127]
	v_fma_f64 v[154:155], v[154:155], v[126:127], -v[128:129]
	scratch_load_b128 v[126:129], off, off offset:656
	s_wait_loadcnt_dscnt 0xc01
	v_mul_f64_e32 v[180:181], v[4:5], v[132:133]
	v_mul_f64_e32 v[132:133], v[6:7], v[132:133]
	v_add_f64_e32 v[156:157], v[188:189], v[186:187]
	v_add_f64_e32 v[178:179], v[178:179], v[184:185]
	s_wait_loadcnt_dscnt 0xb00
	v_mul_f64_e32 v[184:185], v[12:13], v[136:137]
	v_mul_f64_e32 v[136:137], v[14:15], v[136:137]
	v_fmac_f64_e32 v[180:181], v[6:7], v[130:131]
	v_fma_f64 v[186:187], v[4:5], v[130:131], -v[132:133]
	ds_load_b128 v[4:7], v2 offset:1376
	ds_load_b128 v[130:133], v2 offset:1392
	v_add_f64_e32 v[188:189], v[156:157], v[154:155]
	v_add_f64_e32 v[178:179], v[178:179], v[182:183]
	scratch_load_b128 v[154:157], off, off offset:672
	s_wait_loadcnt_dscnt 0xb01
	v_mul_f64_e32 v[182:183], v[4:5], v[140:141]
	v_mul_f64_e32 v[140:141], v[6:7], v[140:141]
	v_fmac_f64_e32 v[184:185], v[14:15], v[134:135]
	v_fma_f64 v[134:135], v[12:13], v[134:135], -v[136:137]
	scratch_load_b128 v[12:15], off, off offset:688
	v_add_f64_e32 v[136:137], v[188:189], v[186:187]
	v_add_f64_e32 v[178:179], v[178:179], v[180:181]
	s_wait_loadcnt_dscnt 0xb00
	v_mul_f64_e32 v[180:181], v[130:131], v[144:145]
	v_mul_f64_e32 v[144:145], v[132:133], v[144:145]
	v_fmac_f64_e32 v[182:183], v[6:7], v[138:139]
	v_fma_f64 v[186:187], v[4:5], v[138:139], -v[140:141]
	v_add_f64_e32 v[188:189], v[136:137], v[134:135]
	v_add_f64_e32 v[178:179], v[178:179], v[184:185]
	ds_load_b128 v[4:7], v2 offset:1408
	ds_load_b128 v[134:137], v2 offset:1424
	scratch_load_b128 v[138:141], off, off offset:704
	v_fmac_f64_e32 v[180:181], v[132:133], v[142:143]
	v_fma_f64 v[142:143], v[130:131], v[142:143], -v[144:145]
	scratch_load_b128 v[130:133], off, off offset:720
	s_wait_loadcnt_dscnt 0xc01
	v_mul_f64_e32 v[184:185], v[4:5], v[148:149]
	v_mul_f64_e32 v[148:149], v[6:7], v[148:149]
	v_add_f64_e32 v[144:145], v[188:189], v[186:187]
	v_add_f64_e32 v[178:179], v[178:179], v[182:183]
	s_wait_loadcnt_dscnt 0xb00
	v_mul_f64_e32 v[182:183], v[134:135], v[152:153]
	v_mul_f64_e32 v[152:153], v[136:137], v[152:153]
	v_fmac_f64_e32 v[184:185], v[6:7], v[146:147]
	v_fma_f64 v[186:187], v[4:5], v[146:147], -v[148:149]
	v_add_f64_e32 v[188:189], v[144:145], v[142:143]
	v_add_f64_e32 v[178:179], v[178:179], v[180:181]
	ds_load_b128 v[4:7], v2 offset:1440
	ds_load_b128 v[142:145], v2 offset:1456
	scratch_load_b128 v[146:149], off, off offset:736
	v_fmac_f64_e32 v[182:183], v[136:137], v[150:151]
	v_fma_f64 v[150:151], v[134:135], v[150:151], -v[152:153]
	scratch_load_b128 v[134:137], off, off offset:752
	s_wait_loadcnt_dscnt 0xc01
	v_mul_f64_e32 v[180:181], v[4:5], v[160:161]
	v_mul_f64_e32 v[160:161], v[6:7], v[160:161]
	;; [unrolled: 18-line block ×5, first 2 shown]
	v_add_f64_e32 v[172:173], v[188:189], v[186:187]
	v_add_f64_e32 v[178:179], v[178:179], v[184:185]
	s_wait_loadcnt_dscnt 0xa00
	v_mul_f64_e32 v[184:185], v[150:151], v[14:15]
	v_mul_f64_e32 v[14:15], v[152:153], v[14:15]
	v_fmac_f64_e32 v[180:181], v[6:7], v[154:155]
	v_fma_f64 v[186:187], v[4:5], v[154:155], -v[156:157]
	ds_load_b128 v[4:7], v2 offset:1568
	ds_load_b128 v[154:157], v2 offset:1584
	v_add_f64_e32 v[170:171], v[172:173], v[170:171]
	v_add_f64_e32 v[172:173], v[178:179], v[182:183]
	v_fmac_f64_e32 v[184:185], v[152:153], v[12:13]
	v_fma_f64 v[12:13], v[150:151], v[12:13], -v[14:15]
	s_wait_loadcnt_dscnt 0x901
	v_mul_f64_e32 v[178:179], v[4:5], v[140:141]
	v_mul_f64_e32 v[140:141], v[6:7], v[140:141]
	s_wait_loadcnt_dscnt 0x800
	v_mul_f64_e32 v[152:153], v[154:155], v[132:133]
	v_mul_f64_e32 v[132:133], v[156:157], v[132:133]
	v_add_f64_e32 v[14:15], v[170:171], v[186:187]
	v_add_f64_e32 v[150:151], v[172:173], v[180:181]
	v_fmac_f64_e32 v[178:179], v[6:7], v[138:139]
	v_fma_f64 v[138:139], v[4:5], v[138:139], -v[140:141]
	v_fmac_f64_e32 v[152:153], v[156:157], v[130:131]
	v_fma_f64 v[130:131], v[154:155], v[130:131], -v[132:133]
	v_add_f64_e32 v[140:141], v[14:15], v[12:13]
	v_add_f64_e32 v[150:151], v[150:151], v[184:185]
	ds_load_b128 v[4:7], v2 offset:1600
	ds_load_b128 v[12:15], v2 offset:1616
	s_wait_loadcnt_dscnt 0x701
	v_mul_f64_e32 v[170:171], v[4:5], v[148:149]
	v_mul_f64_e32 v[148:149], v[6:7], v[148:149]
	v_add_f64_e32 v[132:133], v[140:141], v[138:139]
	v_add_f64_e32 v[138:139], v[150:151], v[178:179]
	s_wait_loadcnt_dscnt 0x600
	v_mul_f64_e32 v[140:141], v[12:13], v[136:137]
	v_mul_f64_e32 v[136:137], v[14:15], v[136:137]
	v_fmac_f64_e32 v[170:171], v[6:7], v[146:147]
	v_fma_f64 v[146:147], v[4:5], v[146:147], -v[148:149]
	v_add_f64_e32 v[148:149], v[132:133], v[130:131]
	v_add_f64_e32 v[138:139], v[138:139], v[152:153]
	ds_load_b128 v[4:7], v2 offset:1632
	ds_load_b128 v[130:133], v2 offset:1648
	v_fmac_f64_e32 v[140:141], v[14:15], v[134:135]
	v_fma_f64 v[12:13], v[12:13], v[134:135], -v[136:137]
	s_wait_loadcnt_dscnt 0x501
	v_mul_f64_e32 v[150:151], v[4:5], v[160:161]
	v_mul_f64_e32 v[152:153], v[6:7], v[160:161]
	s_wait_loadcnt_dscnt 0x400
	v_mul_f64_e32 v[136:137], v[130:131], v[144:145]
	v_add_f64_e32 v[14:15], v[148:149], v[146:147]
	v_add_f64_e32 v[134:135], v[138:139], v[170:171]
	v_mul_f64_e32 v[138:139], v[132:133], v[144:145]
	v_fmac_f64_e32 v[150:151], v[6:7], v[158:159]
	v_fma_f64 v[144:145], v[4:5], v[158:159], -v[152:153]
	v_fmac_f64_e32 v[136:137], v[132:133], v[142:143]
	v_add_f64_e32 v[146:147], v[14:15], v[12:13]
	v_add_f64_e32 v[134:135], v[134:135], v[140:141]
	ds_load_b128 v[4:7], v2 offset:1664
	ds_load_b128 v[12:15], v2 offset:1680
	v_fma_f64 v[130:131], v[130:131], v[142:143], -v[138:139]
	s_wait_loadcnt_dscnt 0x301
	v_mul_f64_e32 v[140:141], v[4:5], v[176:177]
	v_mul_f64_e32 v[148:149], v[6:7], v[176:177]
	s_wait_loadcnt_dscnt 0x200
	v_mul_f64_e32 v[138:139], v[12:13], v[10:11]
	v_mul_f64_e32 v[10:11], v[14:15], v[10:11]
	v_add_f64_e32 v[132:133], v[146:147], v[144:145]
	v_add_f64_e32 v[134:135], v[134:135], v[150:151]
	v_fmac_f64_e32 v[140:141], v[6:7], v[174:175]
	v_fma_f64 v[142:143], v[4:5], v[174:175], -v[148:149]
	v_fmac_f64_e32 v[138:139], v[14:15], v[8:9]
	v_fma_f64 v[8:9], v[12:13], v[8:9], -v[10:11]
	v_add_f64_e32 v[144:145], v[132:133], v[130:131]
	v_add_f64_e32 v[134:135], v[134:135], v[136:137]
	ds_load_b128 v[4:7], v2 offset:1696
	ds_load_b128 v[130:133], v2 offset:1712
	s_wait_loadcnt_dscnt 0x101
	v_mul_f64_e32 v[2:3], v[4:5], v[164:165]
	v_mul_f64_e32 v[136:137], v[6:7], v[164:165]
	s_wait_loadcnt_dscnt 0x0
	v_mul_f64_e32 v[14:15], v[130:131], v[128:129]
	v_mul_f64_e32 v[128:129], v[132:133], v[128:129]
	v_add_f64_e32 v[10:11], v[144:145], v[142:143]
	v_add_f64_e32 v[12:13], v[134:135], v[140:141]
	v_fmac_f64_e32 v[2:3], v[6:7], v[162:163]
	v_fma_f64 v[4:5], v[4:5], v[162:163], -v[136:137]
	v_fmac_f64_e32 v[14:15], v[132:133], v[126:127]
	v_add_f64_e32 v[6:7], v[10:11], v[8:9]
	v_add_f64_e32 v[8:9], v[12:13], v[138:139]
	v_fma_f64 v[10:11], v[130:131], v[126:127], -v[128:129]
	s_delay_alu instid0(VALU_DEP_3) | instskip(NEXT) | instid1(VALU_DEP_3)
	v_add_f64_e32 v[4:5], v[6:7], v[4:5]
	v_add_f64_e32 v[2:3], v[8:9], v[2:3]
	s_delay_alu instid0(VALU_DEP_2) | instskip(NEXT) | instid1(VALU_DEP_2)
	v_add_f64_e32 v[4:5], v[4:5], v[10:11]
	v_add_f64_e32 v[6:7], v[2:3], v[14:15]
	s_delay_alu instid0(VALU_DEP_2) | instskip(NEXT) | instid1(VALU_DEP_2)
	v_add_f64_e64 v[2:3], v[166:167], -v[4:5]
	v_add_f64_e64 v[4:5], v[168:169], -v[6:7]
	scratch_store_b128 off, v[2:5], off offset:400
	s_wait_xcnt 0x0
	v_cmpx_lt_u32_e32 24, v1
	s_cbranch_execz .LBB117_289
; %bb.288:
	scratch_load_b128 v[2:5], off, s46
	v_mov_b32_e32 v6, 0
	s_delay_alu instid0(VALU_DEP_1)
	v_dual_mov_b32 v7, v6 :: v_dual_mov_b32 v8, v6
	v_mov_b32_e32 v9, v6
	scratch_store_b128 off, v[6:9], off offset:384
	s_wait_loadcnt 0x0
	ds_store_b128 v124, v[2:5]
.LBB117_289:
	s_wait_xcnt 0x0
	s_or_b32 exec_lo, exec_lo, s2
	s_wait_storecnt_dscnt 0x0
	s_barrier_signal -1
	s_barrier_wait -1
	s_clause 0x9
	scratch_load_b128 v[4:7], off, off offset:400
	scratch_load_b128 v[8:11], off, off offset:416
	;; [unrolled: 1-line block ×10, first 2 shown]
	v_mov_b32_e32 v2, 0
	s_mov_b32 s2, exec_lo
	ds_load_b128 v[154:157], v2 offset:1264
	s_clause 0x2
	scratch_load_b128 v[158:161], off, off offset:560
	scratch_load_b128 v[162:165], off, off offset:384
	;; [unrolled: 1-line block ×3, first 2 shown]
	s_wait_loadcnt_dscnt 0xc00
	v_mul_f64_e32 v[174:175], v[156:157], v[6:7]
	v_mul_f64_e32 v[178:179], v[154:155], v[6:7]
	ds_load_b128 v[166:169], v2 offset:1280
	v_fma_f64 v[182:183], v[154:155], v[4:5], -v[174:175]
	v_fmac_f64_e32 v[178:179], v[156:157], v[4:5]
	ds_load_b128 v[4:7], v2 offset:1296
	s_wait_loadcnt_dscnt 0xb01
	v_mul_f64_e32 v[180:181], v[166:167], v[10:11]
	v_mul_f64_e32 v[10:11], v[168:169], v[10:11]
	scratch_load_b128 v[154:157], off, off offset:592
	ds_load_b128 v[174:177], v2 offset:1312
	s_wait_loadcnt_dscnt 0xb01
	v_mul_f64_e32 v[184:185], v[4:5], v[14:15]
	v_mul_f64_e32 v[14:15], v[6:7], v[14:15]
	v_add_f64_e32 v[178:179], 0, v[178:179]
	v_fmac_f64_e32 v[180:181], v[168:169], v[8:9]
	v_fma_f64 v[166:167], v[166:167], v[8:9], -v[10:11]
	v_add_f64_e32 v[168:169], 0, v[182:183]
	scratch_load_b128 v[8:11], off, off offset:608
	v_fmac_f64_e32 v[184:185], v[6:7], v[12:13]
	v_fma_f64 v[186:187], v[4:5], v[12:13], -v[14:15]
	ds_load_b128 v[4:7], v2 offset:1328
	s_wait_loadcnt_dscnt 0xb01
	v_mul_f64_e32 v[182:183], v[174:175], v[128:129]
	v_mul_f64_e32 v[128:129], v[176:177], v[128:129]
	scratch_load_b128 v[12:15], off, off offset:624
	v_add_f64_e32 v[178:179], v[178:179], v[180:181]
	v_add_f64_e32 v[188:189], v[168:169], v[166:167]
	ds_load_b128 v[166:169], v2 offset:1344
	s_wait_loadcnt_dscnt 0xb01
	v_mul_f64_e32 v[180:181], v[4:5], v[132:133]
	v_mul_f64_e32 v[132:133], v[6:7], v[132:133]
	v_fmac_f64_e32 v[182:183], v[176:177], v[126:127]
	v_fma_f64 v[174:175], v[174:175], v[126:127], -v[128:129]
	scratch_load_b128 v[126:129], off, off offset:640
	v_add_f64_e32 v[178:179], v[178:179], v[184:185]
	v_add_f64_e32 v[176:177], v[188:189], v[186:187]
	v_fmac_f64_e32 v[180:181], v[6:7], v[130:131]
	v_fma_f64 v[186:187], v[4:5], v[130:131], -v[132:133]
	ds_load_b128 v[4:7], v2 offset:1360
	s_wait_loadcnt_dscnt 0xb01
	v_mul_f64_e32 v[184:185], v[166:167], v[136:137]
	v_mul_f64_e32 v[136:137], v[168:169], v[136:137]
	scratch_load_b128 v[130:133], off, off offset:656
	v_add_f64_e32 v[178:179], v[178:179], v[182:183]
	s_wait_loadcnt_dscnt 0xb00
	v_mul_f64_e32 v[182:183], v[4:5], v[140:141]
	v_add_f64_e32 v[188:189], v[176:177], v[174:175]
	v_mul_f64_e32 v[140:141], v[6:7], v[140:141]
	ds_load_b128 v[174:177], v2 offset:1376
	v_fmac_f64_e32 v[184:185], v[168:169], v[134:135]
	v_fma_f64 v[166:167], v[166:167], v[134:135], -v[136:137]
	scratch_load_b128 v[134:137], off, off offset:672
	v_add_f64_e32 v[178:179], v[178:179], v[180:181]
	v_fmac_f64_e32 v[182:183], v[6:7], v[138:139]
	v_add_f64_e32 v[168:169], v[188:189], v[186:187]
	v_fma_f64 v[186:187], v[4:5], v[138:139], -v[140:141]
	ds_load_b128 v[4:7], v2 offset:1392
	s_wait_loadcnt_dscnt 0xb01
	v_mul_f64_e32 v[180:181], v[174:175], v[144:145]
	v_mul_f64_e32 v[144:145], v[176:177], v[144:145]
	scratch_load_b128 v[138:141], off, off offset:688
	v_add_f64_e32 v[178:179], v[178:179], v[184:185]
	s_wait_loadcnt_dscnt 0xb00
	v_mul_f64_e32 v[184:185], v[4:5], v[148:149]
	v_add_f64_e32 v[188:189], v[168:169], v[166:167]
	v_mul_f64_e32 v[148:149], v[6:7], v[148:149]
	ds_load_b128 v[166:169], v2 offset:1408
	v_fmac_f64_e32 v[180:181], v[176:177], v[142:143]
	v_fma_f64 v[174:175], v[174:175], v[142:143], -v[144:145]
	scratch_load_b128 v[142:145], off, off offset:704
	v_add_f64_e32 v[178:179], v[178:179], v[182:183]
	v_fmac_f64_e32 v[184:185], v[6:7], v[146:147]
	v_add_f64_e32 v[176:177], v[188:189], v[186:187]
	;; [unrolled: 18-line block ×3, first 2 shown]
	v_fma_f64 v[186:187], v[4:5], v[158:159], -v[160:161]
	ds_load_b128 v[4:7], v2 offset:1456
	s_wait_loadcnt_dscnt 0xa01
	v_mul_f64_e32 v[184:185], v[174:175], v[172:173]
	v_mul_f64_e32 v[172:173], v[176:177], v[172:173]
	scratch_load_b128 v[158:161], off, off offset:752
	v_add_f64_e32 v[178:179], v[178:179], v[182:183]
	v_add_f64_e32 v[188:189], v[168:169], v[166:167]
	s_wait_loadcnt_dscnt 0xa00
	v_mul_f64_e32 v[182:183], v[4:5], v[156:157]
	v_mul_f64_e32 v[156:157], v[6:7], v[156:157]
	v_fmac_f64_e32 v[184:185], v[176:177], v[170:171]
	v_fma_f64 v[174:175], v[174:175], v[170:171], -v[172:173]
	ds_load_b128 v[166:169], v2 offset:1472
	scratch_load_b128 v[170:173], off, off offset:768
	v_add_f64_e32 v[178:179], v[178:179], v[180:181]
	v_add_f64_e32 v[176:177], v[188:189], v[186:187]
	v_fmac_f64_e32 v[182:183], v[6:7], v[154:155]
	v_fma_f64 v[186:187], v[4:5], v[154:155], -v[156:157]
	ds_load_b128 v[4:7], v2 offset:1488
	s_wait_loadcnt_dscnt 0xa01
	v_mul_f64_e32 v[180:181], v[166:167], v[10:11]
	v_mul_f64_e32 v[10:11], v[168:169], v[10:11]
	scratch_load_b128 v[154:157], off, off offset:784
	v_add_f64_e32 v[178:179], v[178:179], v[184:185]
	s_wait_loadcnt_dscnt 0xa00
	v_mul_f64_e32 v[184:185], v[4:5], v[14:15]
	v_add_f64_e32 v[188:189], v[176:177], v[174:175]
	v_mul_f64_e32 v[14:15], v[6:7], v[14:15]
	ds_load_b128 v[174:177], v2 offset:1504
	v_fmac_f64_e32 v[180:181], v[168:169], v[8:9]
	v_fma_f64 v[166:167], v[166:167], v[8:9], -v[10:11]
	scratch_load_b128 v[8:11], off, off offset:800
	v_add_f64_e32 v[178:179], v[178:179], v[182:183]
	v_fmac_f64_e32 v[184:185], v[6:7], v[12:13]
	v_add_f64_e32 v[168:169], v[188:189], v[186:187]
	v_fma_f64 v[186:187], v[4:5], v[12:13], -v[14:15]
	ds_load_b128 v[4:7], v2 offset:1520
	s_wait_loadcnt_dscnt 0xa01
	v_mul_f64_e32 v[182:183], v[174:175], v[128:129]
	v_mul_f64_e32 v[128:129], v[176:177], v[128:129]
	scratch_load_b128 v[12:15], off, off offset:816
	v_add_f64_e32 v[178:179], v[178:179], v[180:181]
	s_wait_loadcnt_dscnt 0xa00
	v_mul_f64_e32 v[180:181], v[4:5], v[132:133]
	v_add_f64_e32 v[188:189], v[168:169], v[166:167]
	v_mul_f64_e32 v[132:133], v[6:7], v[132:133]
	ds_load_b128 v[166:169], v2 offset:1536
	v_fmac_f64_e32 v[182:183], v[176:177], v[126:127]
	v_fma_f64 v[174:175], v[174:175], v[126:127], -v[128:129]
	scratch_load_b128 v[126:129], off, off offset:832
	v_add_f64_e32 v[178:179], v[178:179], v[184:185]
	v_fmac_f64_e32 v[180:181], v[6:7], v[130:131]
	v_add_f64_e32 v[176:177], v[188:189], v[186:187]
	v_fma_f64 v[186:187], v[4:5], v[130:131], -v[132:133]
	ds_load_b128 v[4:7], v2 offset:1552
	s_wait_loadcnt_dscnt 0xa01
	v_mul_f64_e32 v[184:185], v[166:167], v[136:137]
	v_mul_f64_e32 v[136:137], v[168:169], v[136:137]
	scratch_load_b128 v[130:133], off, off offset:848
	v_add_f64_e32 v[178:179], v[178:179], v[182:183]
	s_wait_loadcnt_dscnt 0xa00
	v_mul_f64_e32 v[182:183], v[4:5], v[140:141]
	v_add_f64_e32 v[188:189], v[176:177], v[174:175]
	v_mul_f64_e32 v[140:141], v[6:7], v[140:141]
	ds_load_b128 v[174:177], v2 offset:1568
	v_fmac_f64_e32 v[184:185], v[168:169], v[134:135]
	v_fma_f64 v[134:135], v[166:167], v[134:135], -v[136:137]
	s_wait_loadcnt_dscnt 0x900
	v_mul_f64_e32 v[168:169], v[174:175], v[144:145]
	v_mul_f64_e32 v[144:145], v[176:177], v[144:145]
	v_add_f64_e32 v[166:167], v[178:179], v[180:181]
	v_fmac_f64_e32 v[182:183], v[6:7], v[138:139]
	v_add_f64_e32 v[136:137], v[188:189], v[186:187]
	v_fma_f64 v[138:139], v[4:5], v[138:139], -v[140:141]
	v_fmac_f64_e32 v[168:169], v[176:177], v[142:143]
	v_fma_f64 v[142:143], v[174:175], v[142:143], -v[144:145]
	v_add_f64_e32 v[166:167], v[166:167], v[184:185]
	v_add_f64_e32 v[140:141], v[136:137], v[134:135]
	ds_load_b128 v[4:7], v2 offset:1584
	ds_load_b128 v[134:137], v2 offset:1600
	s_wait_loadcnt_dscnt 0x801
	v_mul_f64_e32 v[178:179], v[4:5], v[148:149]
	v_mul_f64_e32 v[148:149], v[6:7], v[148:149]
	s_wait_loadcnt_dscnt 0x700
	v_mul_f64_e32 v[144:145], v[134:135], v[152:153]
	v_mul_f64_e32 v[152:153], v[136:137], v[152:153]
	v_add_f64_e32 v[138:139], v[140:141], v[138:139]
	v_add_f64_e32 v[140:141], v[166:167], v[182:183]
	v_fmac_f64_e32 v[178:179], v[6:7], v[146:147]
	v_fma_f64 v[146:147], v[4:5], v[146:147], -v[148:149]
	v_fmac_f64_e32 v[144:145], v[136:137], v[150:151]
	v_fma_f64 v[134:135], v[134:135], v[150:151], -v[152:153]
	v_add_f64_e32 v[142:143], v[138:139], v[142:143]
	v_add_f64_e32 v[148:149], v[140:141], v[168:169]
	ds_load_b128 v[4:7], v2 offset:1616
	ds_load_b128 v[138:141], v2 offset:1632
	s_wait_loadcnt_dscnt 0x601
	v_mul_f64_e32 v[166:167], v[4:5], v[160:161]
	v_mul_f64_e32 v[160:161], v[6:7], v[160:161]
	v_add_f64_e32 v[136:137], v[142:143], v[146:147]
	v_add_f64_e32 v[142:143], v[148:149], v[178:179]
	s_wait_loadcnt_dscnt 0x500
	v_mul_f64_e32 v[146:147], v[138:139], v[172:173]
	v_mul_f64_e32 v[148:149], v[140:141], v[172:173]
	v_fmac_f64_e32 v[166:167], v[6:7], v[158:159]
	v_fma_f64 v[150:151], v[4:5], v[158:159], -v[160:161]
	v_add_f64_e32 v[152:153], v[136:137], v[134:135]
	v_add_f64_e32 v[142:143], v[142:143], v[144:145]
	ds_load_b128 v[4:7], v2 offset:1648
	ds_load_b128 v[134:137], v2 offset:1664
	v_fmac_f64_e32 v[146:147], v[140:141], v[170:171]
	v_fma_f64 v[138:139], v[138:139], v[170:171], -v[148:149]
	s_wait_loadcnt_dscnt 0x401
	v_mul_f64_e32 v[144:145], v[4:5], v[156:157]
	v_mul_f64_e32 v[156:157], v[6:7], v[156:157]
	s_wait_loadcnt_dscnt 0x300
	v_mul_f64_e32 v[148:149], v[134:135], v[10:11]
	v_mul_f64_e32 v[10:11], v[136:137], v[10:11]
	v_add_f64_e32 v[140:141], v[152:153], v[150:151]
	v_add_f64_e32 v[142:143], v[142:143], v[166:167]
	v_fmac_f64_e32 v[144:145], v[6:7], v[154:155]
	v_fma_f64 v[150:151], v[4:5], v[154:155], -v[156:157]
	v_fmac_f64_e32 v[148:149], v[136:137], v[8:9]
	v_fma_f64 v[8:9], v[134:135], v[8:9], -v[10:11]
	v_add_f64_e32 v[152:153], v[140:141], v[138:139]
	v_add_f64_e32 v[142:143], v[142:143], v[146:147]
	ds_load_b128 v[4:7], v2 offset:1680
	ds_load_b128 v[138:141], v2 offset:1696
	s_wait_loadcnt_dscnt 0x201
	v_mul_f64_e32 v[146:147], v[4:5], v[14:15]
	v_mul_f64_e32 v[14:15], v[6:7], v[14:15]
	s_wait_loadcnt_dscnt 0x100
	v_mul_f64_e32 v[136:137], v[138:139], v[128:129]
	v_mul_f64_e32 v[128:129], v[140:141], v[128:129]
	v_add_f64_e32 v[10:11], v[152:153], v[150:151]
	v_add_f64_e32 v[134:135], v[142:143], v[144:145]
	v_fmac_f64_e32 v[146:147], v[6:7], v[12:13]
	v_fma_f64 v[12:13], v[4:5], v[12:13], -v[14:15]
	ds_load_b128 v[4:7], v2 offset:1712
	v_fmac_f64_e32 v[136:137], v[140:141], v[126:127]
	v_fma_f64 v[126:127], v[138:139], v[126:127], -v[128:129]
	v_add_f64_e32 v[8:9], v[10:11], v[8:9]
	v_add_f64_e32 v[10:11], v[134:135], v[148:149]
	s_wait_loadcnt_dscnt 0x0
	v_mul_f64_e32 v[14:15], v[4:5], v[132:133]
	v_mul_f64_e32 v[132:133], v[6:7], v[132:133]
	s_delay_alu instid0(VALU_DEP_4) | instskip(NEXT) | instid1(VALU_DEP_4)
	v_add_f64_e32 v[8:9], v[8:9], v[12:13]
	v_add_f64_e32 v[10:11], v[10:11], v[146:147]
	s_delay_alu instid0(VALU_DEP_4) | instskip(NEXT) | instid1(VALU_DEP_4)
	v_fmac_f64_e32 v[14:15], v[6:7], v[130:131]
	v_fma_f64 v[4:5], v[4:5], v[130:131], -v[132:133]
	s_delay_alu instid0(VALU_DEP_4) | instskip(NEXT) | instid1(VALU_DEP_4)
	v_add_f64_e32 v[6:7], v[8:9], v[126:127]
	v_add_f64_e32 v[8:9], v[10:11], v[136:137]
	s_delay_alu instid0(VALU_DEP_2) | instskip(NEXT) | instid1(VALU_DEP_2)
	v_add_f64_e32 v[4:5], v[6:7], v[4:5]
	v_add_f64_e32 v[6:7], v[8:9], v[14:15]
	s_delay_alu instid0(VALU_DEP_2) | instskip(NEXT) | instid1(VALU_DEP_2)
	v_add_f64_e64 v[4:5], v[162:163], -v[4:5]
	v_add_f64_e64 v[6:7], v[164:165], -v[6:7]
	scratch_store_b128 off, v[4:7], off offset:384
	s_wait_xcnt 0x0
	v_cmpx_lt_u32_e32 23, v1
	s_cbranch_execz .LBB117_291
; %bb.290:
	scratch_load_b128 v[6:9], off, s47
	v_dual_mov_b32 v3, v2 :: v_dual_mov_b32 v4, v2
	v_mov_b32_e32 v5, v2
	scratch_store_b128 off, v[2:5], off offset:368
	s_wait_loadcnt 0x0
	ds_store_b128 v124, v[6:9]
.LBB117_291:
	s_wait_xcnt 0x0
	s_or_b32 exec_lo, exec_lo, s2
	s_wait_storecnt_dscnt 0x0
	s_barrier_signal -1
	s_barrier_wait -1
	s_clause 0x9
	scratch_load_b128 v[4:7], off, off offset:384
	scratch_load_b128 v[8:11], off, off offset:400
	;; [unrolled: 1-line block ×10, first 2 shown]
	ds_load_b128 v[154:157], v2 offset:1248
	ds_load_b128 v[162:165], v2 offset:1264
	s_clause 0x2
	scratch_load_b128 v[158:161], off, off offset:544
	scratch_load_b128 v[166:169], off, off offset:368
	;; [unrolled: 1-line block ×3, first 2 shown]
	s_mov_b32 s2, exec_lo
	s_wait_loadcnt_dscnt 0xc01
	v_mul_f64_e32 v[174:175], v[156:157], v[6:7]
	v_mul_f64_e32 v[178:179], v[154:155], v[6:7]
	s_wait_loadcnt_dscnt 0xb00
	v_mul_f64_e32 v[180:181], v[162:163], v[10:11]
	v_mul_f64_e32 v[10:11], v[164:165], v[10:11]
	s_delay_alu instid0(VALU_DEP_4) | instskip(NEXT) | instid1(VALU_DEP_4)
	v_fma_f64 v[182:183], v[154:155], v[4:5], -v[174:175]
	v_fmac_f64_e32 v[178:179], v[156:157], v[4:5]
	ds_load_b128 v[4:7], v2 offset:1280
	ds_load_b128 v[154:157], v2 offset:1296
	scratch_load_b128 v[174:177], off, off offset:576
	v_fmac_f64_e32 v[180:181], v[164:165], v[8:9]
	v_fma_f64 v[162:163], v[162:163], v[8:9], -v[10:11]
	scratch_load_b128 v[8:11], off, off offset:592
	s_wait_loadcnt_dscnt 0xc01
	v_mul_f64_e32 v[184:185], v[4:5], v[14:15]
	v_mul_f64_e32 v[14:15], v[6:7], v[14:15]
	v_add_f64_e32 v[164:165], 0, v[182:183]
	v_add_f64_e32 v[178:179], 0, v[178:179]
	s_wait_loadcnt_dscnt 0xb00
	v_mul_f64_e32 v[182:183], v[154:155], v[128:129]
	v_mul_f64_e32 v[128:129], v[156:157], v[128:129]
	v_fmac_f64_e32 v[184:185], v[6:7], v[12:13]
	v_fma_f64 v[186:187], v[4:5], v[12:13], -v[14:15]
	ds_load_b128 v[4:7], v2 offset:1312
	ds_load_b128 v[12:15], v2 offset:1328
	v_add_f64_e32 v[188:189], v[164:165], v[162:163]
	v_add_f64_e32 v[178:179], v[178:179], v[180:181]
	scratch_load_b128 v[162:165], off, off offset:608
	v_fmac_f64_e32 v[182:183], v[156:157], v[126:127]
	v_fma_f64 v[154:155], v[154:155], v[126:127], -v[128:129]
	scratch_load_b128 v[126:129], off, off offset:624
	s_wait_loadcnt_dscnt 0xc01
	v_mul_f64_e32 v[180:181], v[4:5], v[132:133]
	v_mul_f64_e32 v[132:133], v[6:7], v[132:133]
	v_add_f64_e32 v[156:157], v[188:189], v[186:187]
	v_add_f64_e32 v[178:179], v[178:179], v[184:185]
	s_wait_loadcnt_dscnt 0xb00
	v_mul_f64_e32 v[184:185], v[12:13], v[136:137]
	v_mul_f64_e32 v[136:137], v[14:15], v[136:137]
	v_fmac_f64_e32 v[180:181], v[6:7], v[130:131]
	v_fma_f64 v[186:187], v[4:5], v[130:131], -v[132:133]
	ds_load_b128 v[4:7], v2 offset:1344
	ds_load_b128 v[130:133], v2 offset:1360
	v_add_f64_e32 v[188:189], v[156:157], v[154:155]
	v_add_f64_e32 v[178:179], v[178:179], v[182:183]
	scratch_load_b128 v[154:157], off, off offset:640
	s_wait_loadcnt_dscnt 0xb01
	v_mul_f64_e32 v[182:183], v[4:5], v[140:141]
	v_mul_f64_e32 v[140:141], v[6:7], v[140:141]
	v_fmac_f64_e32 v[184:185], v[14:15], v[134:135]
	v_fma_f64 v[134:135], v[12:13], v[134:135], -v[136:137]
	scratch_load_b128 v[12:15], off, off offset:656
	v_add_f64_e32 v[136:137], v[188:189], v[186:187]
	v_add_f64_e32 v[178:179], v[178:179], v[180:181]
	s_wait_loadcnt_dscnt 0xb00
	v_mul_f64_e32 v[180:181], v[130:131], v[144:145]
	v_mul_f64_e32 v[144:145], v[132:133], v[144:145]
	v_fmac_f64_e32 v[182:183], v[6:7], v[138:139]
	v_fma_f64 v[186:187], v[4:5], v[138:139], -v[140:141]
	v_add_f64_e32 v[188:189], v[136:137], v[134:135]
	v_add_f64_e32 v[178:179], v[178:179], v[184:185]
	ds_load_b128 v[4:7], v2 offset:1376
	ds_load_b128 v[134:137], v2 offset:1392
	scratch_load_b128 v[138:141], off, off offset:672
	v_fmac_f64_e32 v[180:181], v[132:133], v[142:143]
	v_fma_f64 v[142:143], v[130:131], v[142:143], -v[144:145]
	scratch_load_b128 v[130:133], off, off offset:688
	s_wait_loadcnt_dscnt 0xc01
	v_mul_f64_e32 v[184:185], v[4:5], v[148:149]
	v_mul_f64_e32 v[148:149], v[6:7], v[148:149]
	v_add_f64_e32 v[144:145], v[188:189], v[186:187]
	v_add_f64_e32 v[178:179], v[178:179], v[182:183]
	s_wait_loadcnt_dscnt 0xb00
	v_mul_f64_e32 v[182:183], v[134:135], v[152:153]
	v_mul_f64_e32 v[152:153], v[136:137], v[152:153]
	v_fmac_f64_e32 v[184:185], v[6:7], v[146:147]
	v_fma_f64 v[186:187], v[4:5], v[146:147], -v[148:149]
	v_add_f64_e32 v[188:189], v[144:145], v[142:143]
	v_add_f64_e32 v[178:179], v[178:179], v[180:181]
	ds_load_b128 v[4:7], v2 offset:1408
	ds_load_b128 v[142:145], v2 offset:1424
	scratch_load_b128 v[146:149], off, off offset:704
	v_fmac_f64_e32 v[182:183], v[136:137], v[150:151]
	v_fma_f64 v[150:151], v[134:135], v[150:151], -v[152:153]
	scratch_load_b128 v[134:137], off, off offset:720
	s_wait_loadcnt_dscnt 0xc01
	v_mul_f64_e32 v[180:181], v[4:5], v[160:161]
	v_mul_f64_e32 v[160:161], v[6:7], v[160:161]
	;; [unrolled: 18-line block ×5, first 2 shown]
	v_add_f64_e32 v[172:173], v[188:189], v[186:187]
	v_add_f64_e32 v[178:179], v[178:179], v[184:185]
	s_wait_loadcnt_dscnt 0xa00
	v_mul_f64_e32 v[184:185], v[150:151], v[14:15]
	v_mul_f64_e32 v[14:15], v[152:153], v[14:15]
	v_fmac_f64_e32 v[180:181], v[6:7], v[154:155]
	v_fma_f64 v[186:187], v[4:5], v[154:155], -v[156:157]
	ds_load_b128 v[4:7], v2 offset:1536
	ds_load_b128 v[154:157], v2 offset:1552
	v_add_f64_e32 v[188:189], v[172:173], v[170:171]
	v_add_f64_e32 v[178:179], v[178:179], v[182:183]
	scratch_load_b128 v[170:173], off, off offset:832
	v_fmac_f64_e32 v[184:185], v[152:153], v[12:13]
	v_fma_f64 v[150:151], v[150:151], v[12:13], -v[14:15]
	scratch_load_b128 v[12:15], off, off offset:848
	s_wait_loadcnt_dscnt 0xb01
	v_mul_f64_e32 v[182:183], v[4:5], v[140:141]
	v_mul_f64_e32 v[140:141], v[6:7], v[140:141]
	v_add_f64_e32 v[152:153], v[188:189], v[186:187]
	v_add_f64_e32 v[178:179], v[178:179], v[180:181]
	s_wait_loadcnt_dscnt 0xa00
	v_mul_f64_e32 v[180:181], v[154:155], v[132:133]
	v_mul_f64_e32 v[132:133], v[156:157], v[132:133]
	v_fmac_f64_e32 v[182:183], v[6:7], v[138:139]
	v_fma_f64 v[186:187], v[4:5], v[138:139], -v[140:141]
	ds_load_b128 v[4:7], v2 offset:1568
	ds_load_b128 v[138:141], v2 offset:1584
	v_add_f64_e32 v[150:151], v[152:153], v[150:151]
	v_add_f64_e32 v[152:153], v[178:179], v[184:185]
	v_fmac_f64_e32 v[180:181], v[156:157], v[130:131]
	s_wait_loadcnt_dscnt 0x901
	v_mul_f64_e32 v[178:179], v[4:5], v[148:149]
	v_mul_f64_e32 v[148:149], v[6:7], v[148:149]
	v_fma_f64 v[130:131], v[154:155], v[130:131], -v[132:133]
	v_add_f64_e32 v[132:133], v[150:151], v[186:187]
	v_add_f64_e32 v[150:151], v[152:153], v[182:183]
	s_wait_loadcnt_dscnt 0x800
	v_mul_f64_e32 v[152:153], v[138:139], v[136:137]
	v_mul_f64_e32 v[136:137], v[140:141], v[136:137]
	v_fmac_f64_e32 v[178:179], v[6:7], v[146:147]
	v_fma_f64 v[146:147], v[4:5], v[146:147], -v[148:149]
	v_add_f64_e32 v[148:149], v[132:133], v[130:131]
	v_add_f64_e32 v[150:151], v[150:151], v[180:181]
	ds_load_b128 v[4:7], v2 offset:1600
	ds_load_b128 v[130:133], v2 offset:1616
	v_fmac_f64_e32 v[152:153], v[140:141], v[134:135]
	v_fma_f64 v[134:135], v[138:139], v[134:135], -v[136:137]
	s_wait_loadcnt_dscnt 0x701
	v_mul_f64_e32 v[154:155], v[4:5], v[160:161]
	v_mul_f64_e32 v[156:157], v[6:7], v[160:161]
	s_wait_loadcnt_dscnt 0x600
	v_mul_f64_e32 v[140:141], v[130:131], v[144:145]
	v_mul_f64_e32 v[144:145], v[132:133], v[144:145]
	v_add_f64_e32 v[136:137], v[148:149], v[146:147]
	v_add_f64_e32 v[138:139], v[150:151], v[178:179]
	v_fmac_f64_e32 v[154:155], v[6:7], v[158:159]
	v_fma_f64 v[146:147], v[4:5], v[158:159], -v[156:157]
	v_fmac_f64_e32 v[140:141], v[132:133], v[142:143]
	v_fma_f64 v[130:131], v[130:131], v[142:143], -v[144:145]
	v_add_f64_e32 v[148:149], v[136:137], v[134:135]
	v_add_f64_e32 v[138:139], v[138:139], v[152:153]
	ds_load_b128 v[4:7], v2 offset:1632
	ds_load_b128 v[134:137], v2 offset:1648
	s_wait_loadcnt_dscnt 0x501
	v_mul_f64_e32 v[150:151], v[4:5], v[176:177]
	v_mul_f64_e32 v[152:153], v[6:7], v[176:177]
	s_wait_loadcnt_dscnt 0x400
	v_mul_f64_e32 v[142:143], v[134:135], v[10:11]
	v_mul_f64_e32 v[10:11], v[136:137], v[10:11]
	v_add_f64_e32 v[132:133], v[148:149], v[146:147]
	v_add_f64_e32 v[138:139], v[138:139], v[154:155]
	v_fmac_f64_e32 v[150:151], v[6:7], v[174:175]
	v_fma_f64 v[144:145], v[4:5], v[174:175], -v[152:153]
	v_fmac_f64_e32 v[142:143], v[136:137], v[8:9]
	v_fma_f64 v[8:9], v[134:135], v[8:9], -v[10:11]
	v_add_f64_e32 v[146:147], v[132:133], v[130:131]
	v_add_f64_e32 v[138:139], v[138:139], v[140:141]
	ds_load_b128 v[4:7], v2 offset:1664
	ds_load_b128 v[130:133], v2 offset:1680
	;; [unrolled: 16-line block ×3, first 2 shown]
	s_wait_loadcnt_dscnt 0x101
	v_mul_f64_e32 v[2:3], v[4:5], v[172:173]
	v_mul_f64_e32 v[142:143], v[6:7], v[172:173]
	s_wait_loadcnt_dscnt 0x0
	v_mul_f64_e32 v[132:133], v[8:9], v[14:15]
	v_mul_f64_e32 v[14:15], v[10:11], v[14:15]
	v_add_f64_e32 v[128:129], v[144:145], v[138:139]
	v_add_f64_e32 v[130:131], v[134:135], v[140:141]
	v_fmac_f64_e32 v[2:3], v[6:7], v[170:171]
	v_fma_f64 v[4:5], v[4:5], v[170:171], -v[142:143]
	v_fmac_f64_e32 v[132:133], v[10:11], v[12:13]
	v_fma_f64 v[8:9], v[8:9], v[12:13], -v[14:15]
	v_add_f64_e32 v[6:7], v[128:129], v[126:127]
	v_add_f64_e32 v[126:127], v[130:131], v[136:137]
	s_delay_alu instid0(VALU_DEP_2) | instskip(NEXT) | instid1(VALU_DEP_2)
	v_add_f64_e32 v[4:5], v[6:7], v[4:5]
	v_add_f64_e32 v[2:3], v[126:127], v[2:3]
	s_delay_alu instid0(VALU_DEP_2) | instskip(NEXT) | instid1(VALU_DEP_2)
	;; [unrolled: 3-line block ×3, first 2 shown]
	v_add_f64_e64 v[2:3], v[166:167], -v[4:5]
	v_add_f64_e64 v[4:5], v[168:169], -v[6:7]
	scratch_store_b128 off, v[2:5], off offset:368
	s_wait_xcnt 0x0
	v_cmpx_lt_u32_e32 22, v1
	s_cbranch_execz .LBB117_293
; %bb.292:
	scratch_load_b128 v[2:5], off, s48
	v_mov_b32_e32 v6, 0
	s_delay_alu instid0(VALU_DEP_1)
	v_dual_mov_b32 v7, v6 :: v_dual_mov_b32 v8, v6
	v_mov_b32_e32 v9, v6
	scratch_store_b128 off, v[6:9], off offset:352
	s_wait_loadcnt 0x0
	ds_store_b128 v124, v[2:5]
.LBB117_293:
	s_wait_xcnt 0x0
	s_or_b32 exec_lo, exec_lo, s2
	s_wait_storecnt_dscnt 0x0
	s_barrier_signal -1
	s_barrier_wait -1
	s_clause 0x9
	scratch_load_b128 v[4:7], off, off offset:368
	scratch_load_b128 v[8:11], off, off offset:384
	scratch_load_b128 v[12:15], off, off offset:400
	scratch_load_b128 v[126:129], off, off offset:416
	scratch_load_b128 v[130:133], off, off offset:432
	scratch_load_b128 v[134:137], off, off offset:448
	scratch_load_b128 v[138:141], off, off offset:464
	scratch_load_b128 v[142:145], off, off offset:480
	scratch_load_b128 v[146:149], off, off offset:496
	scratch_load_b128 v[150:153], off, off offset:512
	v_mov_b32_e32 v2, 0
	s_mov_b32 s2, exec_lo
	ds_load_b128 v[154:157], v2 offset:1232
	s_clause 0x2
	scratch_load_b128 v[158:161], off, off offset:528
	scratch_load_b128 v[162:165], off, off offset:352
	;; [unrolled: 1-line block ×3, first 2 shown]
	s_wait_loadcnt_dscnt 0xc00
	v_mul_f64_e32 v[174:175], v[156:157], v[6:7]
	v_mul_f64_e32 v[178:179], v[154:155], v[6:7]
	ds_load_b128 v[166:169], v2 offset:1248
	v_fma_f64 v[182:183], v[154:155], v[4:5], -v[174:175]
	v_fmac_f64_e32 v[178:179], v[156:157], v[4:5]
	ds_load_b128 v[4:7], v2 offset:1264
	s_wait_loadcnt_dscnt 0xb01
	v_mul_f64_e32 v[180:181], v[166:167], v[10:11]
	v_mul_f64_e32 v[10:11], v[168:169], v[10:11]
	scratch_load_b128 v[154:157], off, off offset:560
	ds_load_b128 v[174:177], v2 offset:1280
	s_wait_loadcnt_dscnt 0xb01
	v_mul_f64_e32 v[184:185], v[4:5], v[14:15]
	v_mul_f64_e32 v[14:15], v[6:7], v[14:15]
	v_add_f64_e32 v[178:179], 0, v[178:179]
	v_fmac_f64_e32 v[180:181], v[168:169], v[8:9]
	v_fma_f64 v[166:167], v[166:167], v[8:9], -v[10:11]
	v_add_f64_e32 v[168:169], 0, v[182:183]
	scratch_load_b128 v[8:11], off, off offset:576
	v_fmac_f64_e32 v[184:185], v[6:7], v[12:13]
	v_fma_f64 v[186:187], v[4:5], v[12:13], -v[14:15]
	ds_load_b128 v[4:7], v2 offset:1296
	s_wait_loadcnt_dscnt 0xb01
	v_mul_f64_e32 v[182:183], v[174:175], v[128:129]
	v_mul_f64_e32 v[128:129], v[176:177], v[128:129]
	scratch_load_b128 v[12:15], off, off offset:592
	v_add_f64_e32 v[178:179], v[178:179], v[180:181]
	v_add_f64_e32 v[188:189], v[168:169], v[166:167]
	ds_load_b128 v[166:169], v2 offset:1312
	s_wait_loadcnt_dscnt 0xb01
	v_mul_f64_e32 v[180:181], v[4:5], v[132:133]
	v_mul_f64_e32 v[132:133], v[6:7], v[132:133]
	v_fmac_f64_e32 v[182:183], v[176:177], v[126:127]
	v_fma_f64 v[174:175], v[174:175], v[126:127], -v[128:129]
	scratch_load_b128 v[126:129], off, off offset:608
	v_add_f64_e32 v[178:179], v[178:179], v[184:185]
	v_add_f64_e32 v[176:177], v[188:189], v[186:187]
	v_fmac_f64_e32 v[180:181], v[6:7], v[130:131]
	v_fma_f64 v[186:187], v[4:5], v[130:131], -v[132:133]
	ds_load_b128 v[4:7], v2 offset:1328
	s_wait_loadcnt_dscnt 0xb01
	v_mul_f64_e32 v[184:185], v[166:167], v[136:137]
	v_mul_f64_e32 v[136:137], v[168:169], v[136:137]
	scratch_load_b128 v[130:133], off, off offset:624
	v_add_f64_e32 v[178:179], v[178:179], v[182:183]
	s_wait_loadcnt_dscnt 0xb00
	v_mul_f64_e32 v[182:183], v[4:5], v[140:141]
	v_add_f64_e32 v[188:189], v[176:177], v[174:175]
	v_mul_f64_e32 v[140:141], v[6:7], v[140:141]
	ds_load_b128 v[174:177], v2 offset:1344
	v_fmac_f64_e32 v[184:185], v[168:169], v[134:135]
	v_fma_f64 v[166:167], v[166:167], v[134:135], -v[136:137]
	scratch_load_b128 v[134:137], off, off offset:640
	v_add_f64_e32 v[178:179], v[178:179], v[180:181]
	v_fmac_f64_e32 v[182:183], v[6:7], v[138:139]
	v_add_f64_e32 v[168:169], v[188:189], v[186:187]
	v_fma_f64 v[186:187], v[4:5], v[138:139], -v[140:141]
	ds_load_b128 v[4:7], v2 offset:1360
	s_wait_loadcnt_dscnt 0xb01
	v_mul_f64_e32 v[180:181], v[174:175], v[144:145]
	v_mul_f64_e32 v[144:145], v[176:177], v[144:145]
	scratch_load_b128 v[138:141], off, off offset:656
	v_add_f64_e32 v[178:179], v[178:179], v[184:185]
	s_wait_loadcnt_dscnt 0xb00
	v_mul_f64_e32 v[184:185], v[4:5], v[148:149]
	v_add_f64_e32 v[188:189], v[168:169], v[166:167]
	v_mul_f64_e32 v[148:149], v[6:7], v[148:149]
	ds_load_b128 v[166:169], v2 offset:1376
	v_fmac_f64_e32 v[180:181], v[176:177], v[142:143]
	v_fma_f64 v[174:175], v[174:175], v[142:143], -v[144:145]
	scratch_load_b128 v[142:145], off, off offset:672
	v_add_f64_e32 v[178:179], v[178:179], v[182:183]
	v_fmac_f64_e32 v[184:185], v[6:7], v[146:147]
	v_add_f64_e32 v[176:177], v[188:189], v[186:187]
	;; [unrolled: 18-line block ×3, first 2 shown]
	v_fma_f64 v[186:187], v[4:5], v[158:159], -v[160:161]
	ds_load_b128 v[4:7], v2 offset:1424
	s_wait_loadcnt_dscnt 0xa01
	v_mul_f64_e32 v[184:185], v[174:175], v[172:173]
	v_mul_f64_e32 v[172:173], v[176:177], v[172:173]
	scratch_load_b128 v[158:161], off, off offset:720
	v_add_f64_e32 v[178:179], v[178:179], v[182:183]
	v_add_f64_e32 v[188:189], v[168:169], v[166:167]
	s_wait_loadcnt_dscnt 0xa00
	v_mul_f64_e32 v[182:183], v[4:5], v[156:157]
	v_mul_f64_e32 v[156:157], v[6:7], v[156:157]
	v_fmac_f64_e32 v[184:185], v[176:177], v[170:171]
	v_fma_f64 v[174:175], v[174:175], v[170:171], -v[172:173]
	ds_load_b128 v[166:169], v2 offset:1440
	scratch_load_b128 v[170:173], off, off offset:736
	v_add_f64_e32 v[178:179], v[178:179], v[180:181]
	v_add_f64_e32 v[176:177], v[188:189], v[186:187]
	v_fmac_f64_e32 v[182:183], v[6:7], v[154:155]
	v_fma_f64 v[186:187], v[4:5], v[154:155], -v[156:157]
	ds_load_b128 v[4:7], v2 offset:1456
	s_wait_loadcnt_dscnt 0xa01
	v_mul_f64_e32 v[180:181], v[166:167], v[10:11]
	v_mul_f64_e32 v[10:11], v[168:169], v[10:11]
	scratch_load_b128 v[154:157], off, off offset:752
	v_add_f64_e32 v[178:179], v[178:179], v[184:185]
	s_wait_loadcnt_dscnt 0xa00
	v_mul_f64_e32 v[184:185], v[4:5], v[14:15]
	v_add_f64_e32 v[188:189], v[176:177], v[174:175]
	v_mul_f64_e32 v[14:15], v[6:7], v[14:15]
	ds_load_b128 v[174:177], v2 offset:1472
	v_fmac_f64_e32 v[180:181], v[168:169], v[8:9]
	v_fma_f64 v[166:167], v[166:167], v[8:9], -v[10:11]
	scratch_load_b128 v[8:11], off, off offset:768
	v_add_f64_e32 v[178:179], v[178:179], v[182:183]
	v_fmac_f64_e32 v[184:185], v[6:7], v[12:13]
	v_add_f64_e32 v[168:169], v[188:189], v[186:187]
	v_fma_f64 v[186:187], v[4:5], v[12:13], -v[14:15]
	ds_load_b128 v[4:7], v2 offset:1488
	s_wait_loadcnt_dscnt 0xa01
	v_mul_f64_e32 v[182:183], v[174:175], v[128:129]
	v_mul_f64_e32 v[128:129], v[176:177], v[128:129]
	scratch_load_b128 v[12:15], off, off offset:784
	v_add_f64_e32 v[178:179], v[178:179], v[180:181]
	s_wait_loadcnt_dscnt 0xa00
	v_mul_f64_e32 v[180:181], v[4:5], v[132:133]
	v_add_f64_e32 v[188:189], v[168:169], v[166:167]
	v_mul_f64_e32 v[132:133], v[6:7], v[132:133]
	ds_load_b128 v[166:169], v2 offset:1504
	v_fmac_f64_e32 v[182:183], v[176:177], v[126:127]
	v_fma_f64 v[174:175], v[174:175], v[126:127], -v[128:129]
	scratch_load_b128 v[126:129], off, off offset:800
	v_add_f64_e32 v[178:179], v[178:179], v[184:185]
	v_fmac_f64_e32 v[180:181], v[6:7], v[130:131]
	v_add_f64_e32 v[176:177], v[188:189], v[186:187]
	;; [unrolled: 18-line block ×3, first 2 shown]
	v_fma_f64 v[186:187], v[4:5], v[138:139], -v[140:141]
	ds_load_b128 v[4:7], v2 offset:1552
	s_wait_loadcnt_dscnt 0xa01
	v_mul_f64_e32 v[180:181], v[174:175], v[144:145]
	v_mul_f64_e32 v[144:145], v[176:177], v[144:145]
	scratch_load_b128 v[138:141], off, off offset:848
	v_add_f64_e32 v[178:179], v[178:179], v[184:185]
	s_wait_loadcnt_dscnt 0xa00
	v_mul_f64_e32 v[184:185], v[4:5], v[148:149]
	v_add_f64_e32 v[188:189], v[168:169], v[166:167]
	v_mul_f64_e32 v[148:149], v[6:7], v[148:149]
	ds_load_b128 v[166:169], v2 offset:1568
	v_fmac_f64_e32 v[180:181], v[176:177], v[142:143]
	v_fma_f64 v[142:143], v[174:175], v[142:143], -v[144:145]
	s_wait_loadcnt_dscnt 0x900
	v_mul_f64_e32 v[176:177], v[166:167], v[152:153]
	v_mul_f64_e32 v[152:153], v[168:169], v[152:153]
	v_add_f64_e32 v[174:175], v[178:179], v[182:183]
	v_fmac_f64_e32 v[184:185], v[6:7], v[146:147]
	v_add_f64_e32 v[144:145], v[188:189], v[186:187]
	v_fma_f64 v[146:147], v[4:5], v[146:147], -v[148:149]
	v_fmac_f64_e32 v[176:177], v[168:169], v[150:151]
	v_fma_f64 v[150:151], v[166:167], v[150:151], -v[152:153]
	v_add_f64_e32 v[174:175], v[174:175], v[180:181]
	v_add_f64_e32 v[148:149], v[144:145], v[142:143]
	ds_load_b128 v[4:7], v2 offset:1584
	ds_load_b128 v[142:145], v2 offset:1600
	s_wait_loadcnt_dscnt 0x801
	v_mul_f64_e32 v[178:179], v[4:5], v[160:161]
	v_mul_f64_e32 v[160:161], v[6:7], v[160:161]
	s_wait_loadcnt_dscnt 0x700
	v_mul_f64_e32 v[152:153], v[142:143], v[172:173]
	v_mul_f64_e32 v[166:167], v[144:145], v[172:173]
	v_add_f64_e32 v[146:147], v[148:149], v[146:147]
	v_add_f64_e32 v[148:149], v[174:175], v[184:185]
	v_fmac_f64_e32 v[178:179], v[6:7], v[158:159]
	v_fma_f64 v[158:159], v[4:5], v[158:159], -v[160:161]
	v_fmac_f64_e32 v[152:153], v[144:145], v[170:171]
	v_fma_f64 v[142:143], v[142:143], v[170:171], -v[166:167]
	v_add_f64_e32 v[150:151], v[146:147], v[150:151]
	v_add_f64_e32 v[160:161], v[148:149], v[176:177]
	ds_load_b128 v[4:7], v2 offset:1616
	ds_load_b128 v[146:149], v2 offset:1632
	s_wait_loadcnt_dscnt 0x601
	v_mul_f64_e32 v[168:169], v[4:5], v[156:157]
	v_mul_f64_e32 v[156:157], v[6:7], v[156:157]
	v_add_f64_e32 v[144:145], v[150:151], v[158:159]
	v_add_f64_e32 v[150:151], v[160:161], v[178:179]
	s_wait_loadcnt_dscnt 0x500
	v_mul_f64_e32 v[158:159], v[146:147], v[10:11]
	v_mul_f64_e32 v[10:11], v[148:149], v[10:11]
	v_fmac_f64_e32 v[168:169], v[6:7], v[154:155]
	v_fma_f64 v[154:155], v[4:5], v[154:155], -v[156:157]
	v_add_f64_e32 v[156:157], v[144:145], v[142:143]
	v_add_f64_e32 v[150:151], v[150:151], v[152:153]
	ds_load_b128 v[4:7], v2 offset:1648
	ds_load_b128 v[142:145], v2 offset:1664
	v_fmac_f64_e32 v[158:159], v[148:149], v[8:9]
	v_fma_f64 v[8:9], v[146:147], v[8:9], -v[10:11]
	s_wait_loadcnt_dscnt 0x401
	v_mul_f64_e32 v[152:153], v[4:5], v[14:15]
	v_mul_f64_e32 v[14:15], v[6:7], v[14:15]
	s_wait_loadcnt_dscnt 0x300
	v_mul_f64_e32 v[148:149], v[142:143], v[128:129]
	v_mul_f64_e32 v[128:129], v[144:145], v[128:129]
	v_add_f64_e32 v[10:11], v[156:157], v[154:155]
	v_add_f64_e32 v[146:147], v[150:151], v[168:169]
	v_fmac_f64_e32 v[152:153], v[6:7], v[12:13]
	v_fma_f64 v[12:13], v[4:5], v[12:13], -v[14:15]
	v_fmac_f64_e32 v[148:149], v[144:145], v[126:127]
	v_fma_f64 v[126:127], v[142:143], v[126:127], -v[128:129]
	v_add_f64_e32 v[14:15], v[10:11], v[8:9]
	v_add_f64_e32 v[146:147], v[146:147], v[158:159]
	ds_load_b128 v[4:7], v2 offset:1680
	ds_load_b128 v[8:11], v2 offset:1696
	s_wait_loadcnt_dscnt 0x201
	v_mul_f64_e32 v[150:151], v[4:5], v[132:133]
	v_mul_f64_e32 v[132:133], v[6:7], v[132:133]
	s_wait_loadcnt_dscnt 0x100
	v_mul_f64_e32 v[128:129], v[8:9], v[136:137]
	v_mul_f64_e32 v[136:137], v[10:11], v[136:137]
	v_add_f64_e32 v[12:13], v[14:15], v[12:13]
	v_add_f64_e32 v[14:15], v[146:147], v[152:153]
	v_fmac_f64_e32 v[150:151], v[6:7], v[130:131]
	v_fma_f64 v[130:131], v[4:5], v[130:131], -v[132:133]
	ds_load_b128 v[4:7], v2 offset:1712
	v_fmac_f64_e32 v[128:129], v[10:11], v[134:135]
	v_fma_f64 v[8:9], v[8:9], v[134:135], -v[136:137]
	v_add_f64_e32 v[12:13], v[12:13], v[126:127]
	v_add_f64_e32 v[14:15], v[14:15], v[148:149]
	s_wait_loadcnt_dscnt 0x0
	v_mul_f64_e32 v[126:127], v[4:5], v[140:141]
	v_mul_f64_e32 v[132:133], v[6:7], v[140:141]
	s_delay_alu instid0(VALU_DEP_4) | instskip(NEXT) | instid1(VALU_DEP_4)
	v_add_f64_e32 v[10:11], v[12:13], v[130:131]
	v_add_f64_e32 v[12:13], v[14:15], v[150:151]
	s_delay_alu instid0(VALU_DEP_4) | instskip(NEXT) | instid1(VALU_DEP_4)
	v_fmac_f64_e32 v[126:127], v[6:7], v[138:139]
	v_fma_f64 v[4:5], v[4:5], v[138:139], -v[132:133]
	s_delay_alu instid0(VALU_DEP_4) | instskip(NEXT) | instid1(VALU_DEP_4)
	v_add_f64_e32 v[6:7], v[10:11], v[8:9]
	v_add_f64_e32 v[8:9], v[12:13], v[128:129]
	s_delay_alu instid0(VALU_DEP_2) | instskip(NEXT) | instid1(VALU_DEP_2)
	v_add_f64_e32 v[4:5], v[6:7], v[4:5]
	v_add_f64_e32 v[6:7], v[8:9], v[126:127]
	s_delay_alu instid0(VALU_DEP_2) | instskip(NEXT) | instid1(VALU_DEP_2)
	v_add_f64_e64 v[4:5], v[162:163], -v[4:5]
	v_add_f64_e64 v[6:7], v[164:165], -v[6:7]
	scratch_store_b128 off, v[4:7], off offset:352
	s_wait_xcnt 0x0
	v_cmpx_lt_u32_e32 21, v1
	s_cbranch_execz .LBB117_295
; %bb.294:
	scratch_load_b128 v[6:9], off, s49
	v_dual_mov_b32 v3, v2 :: v_dual_mov_b32 v4, v2
	v_mov_b32_e32 v5, v2
	scratch_store_b128 off, v[2:5], off offset:336
	s_wait_loadcnt 0x0
	ds_store_b128 v124, v[6:9]
.LBB117_295:
	s_wait_xcnt 0x0
	s_or_b32 exec_lo, exec_lo, s2
	s_wait_storecnt_dscnt 0x0
	s_barrier_signal -1
	s_barrier_wait -1
	s_clause 0x9
	scratch_load_b128 v[4:7], off, off offset:352
	scratch_load_b128 v[8:11], off, off offset:368
	;; [unrolled: 1-line block ×10, first 2 shown]
	ds_load_b128 v[154:157], v2 offset:1216
	ds_load_b128 v[162:165], v2 offset:1232
	s_clause 0x2
	scratch_load_b128 v[158:161], off, off offset:512
	scratch_load_b128 v[166:169], off, off offset:336
	;; [unrolled: 1-line block ×3, first 2 shown]
	s_mov_b32 s2, exec_lo
	s_wait_loadcnt_dscnt 0xc01
	v_mul_f64_e32 v[174:175], v[156:157], v[6:7]
	v_mul_f64_e32 v[178:179], v[154:155], v[6:7]
	s_wait_loadcnt_dscnt 0xb00
	v_mul_f64_e32 v[180:181], v[162:163], v[10:11]
	v_mul_f64_e32 v[10:11], v[164:165], v[10:11]
	s_delay_alu instid0(VALU_DEP_4) | instskip(NEXT) | instid1(VALU_DEP_4)
	v_fma_f64 v[182:183], v[154:155], v[4:5], -v[174:175]
	v_fmac_f64_e32 v[178:179], v[156:157], v[4:5]
	ds_load_b128 v[4:7], v2 offset:1248
	ds_load_b128 v[154:157], v2 offset:1264
	scratch_load_b128 v[174:177], off, off offset:544
	v_fmac_f64_e32 v[180:181], v[164:165], v[8:9]
	v_fma_f64 v[162:163], v[162:163], v[8:9], -v[10:11]
	scratch_load_b128 v[8:11], off, off offset:560
	s_wait_loadcnt_dscnt 0xc01
	v_mul_f64_e32 v[184:185], v[4:5], v[14:15]
	v_mul_f64_e32 v[14:15], v[6:7], v[14:15]
	v_add_f64_e32 v[164:165], 0, v[182:183]
	v_add_f64_e32 v[178:179], 0, v[178:179]
	s_wait_loadcnt_dscnt 0xb00
	v_mul_f64_e32 v[182:183], v[154:155], v[128:129]
	v_mul_f64_e32 v[128:129], v[156:157], v[128:129]
	v_fmac_f64_e32 v[184:185], v[6:7], v[12:13]
	v_fma_f64 v[186:187], v[4:5], v[12:13], -v[14:15]
	ds_load_b128 v[4:7], v2 offset:1280
	ds_load_b128 v[12:15], v2 offset:1296
	v_add_f64_e32 v[188:189], v[164:165], v[162:163]
	v_add_f64_e32 v[178:179], v[178:179], v[180:181]
	scratch_load_b128 v[162:165], off, off offset:576
	v_fmac_f64_e32 v[182:183], v[156:157], v[126:127]
	v_fma_f64 v[154:155], v[154:155], v[126:127], -v[128:129]
	scratch_load_b128 v[126:129], off, off offset:592
	s_wait_loadcnt_dscnt 0xc01
	v_mul_f64_e32 v[180:181], v[4:5], v[132:133]
	v_mul_f64_e32 v[132:133], v[6:7], v[132:133]
	v_add_f64_e32 v[156:157], v[188:189], v[186:187]
	v_add_f64_e32 v[178:179], v[178:179], v[184:185]
	s_wait_loadcnt_dscnt 0xb00
	v_mul_f64_e32 v[184:185], v[12:13], v[136:137]
	v_mul_f64_e32 v[136:137], v[14:15], v[136:137]
	v_fmac_f64_e32 v[180:181], v[6:7], v[130:131]
	v_fma_f64 v[186:187], v[4:5], v[130:131], -v[132:133]
	ds_load_b128 v[4:7], v2 offset:1312
	ds_load_b128 v[130:133], v2 offset:1328
	v_add_f64_e32 v[188:189], v[156:157], v[154:155]
	v_add_f64_e32 v[178:179], v[178:179], v[182:183]
	scratch_load_b128 v[154:157], off, off offset:608
	s_wait_loadcnt_dscnt 0xb01
	v_mul_f64_e32 v[182:183], v[4:5], v[140:141]
	v_mul_f64_e32 v[140:141], v[6:7], v[140:141]
	v_fmac_f64_e32 v[184:185], v[14:15], v[134:135]
	v_fma_f64 v[134:135], v[12:13], v[134:135], -v[136:137]
	scratch_load_b128 v[12:15], off, off offset:624
	v_add_f64_e32 v[136:137], v[188:189], v[186:187]
	v_add_f64_e32 v[178:179], v[178:179], v[180:181]
	s_wait_loadcnt_dscnt 0xb00
	v_mul_f64_e32 v[180:181], v[130:131], v[144:145]
	v_mul_f64_e32 v[144:145], v[132:133], v[144:145]
	v_fmac_f64_e32 v[182:183], v[6:7], v[138:139]
	v_fma_f64 v[186:187], v[4:5], v[138:139], -v[140:141]
	v_add_f64_e32 v[188:189], v[136:137], v[134:135]
	v_add_f64_e32 v[178:179], v[178:179], v[184:185]
	ds_load_b128 v[4:7], v2 offset:1344
	ds_load_b128 v[134:137], v2 offset:1360
	scratch_load_b128 v[138:141], off, off offset:640
	v_fmac_f64_e32 v[180:181], v[132:133], v[142:143]
	v_fma_f64 v[142:143], v[130:131], v[142:143], -v[144:145]
	scratch_load_b128 v[130:133], off, off offset:656
	s_wait_loadcnt_dscnt 0xc01
	v_mul_f64_e32 v[184:185], v[4:5], v[148:149]
	v_mul_f64_e32 v[148:149], v[6:7], v[148:149]
	v_add_f64_e32 v[144:145], v[188:189], v[186:187]
	v_add_f64_e32 v[178:179], v[178:179], v[182:183]
	s_wait_loadcnt_dscnt 0xb00
	v_mul_f64_e32 v[182:183], v[134:135], v[152:153]
	v_mul_f64_e32 v[152:153], v[136:137], v[152:153]
	v_fmac_f64_e32 v[184:185], v[6:7], v[146:147]
	v_fma_f64 v[186:187], v[4:5], v[146:147], -v[148:149]
	v_add_f64_e32 v[188:189], v[144:145], v[142:143]
	v_add_f64_e32 v[178:179], v[178:179], v[180:181]
	ds_load_b128 v[4:7], v2 offset:1376
	ds_load_b128 v[142:145], v2 offset:1392
	scratch_load_b128 v[146:149], off, off offset:672
	v_fmac_f64_e32 v[182:183], v[136:137], v[150:151]
	v_fma_f64 v[150:151], v[134:135], v[150:151], -v[152:153]
	scratch_load_b128 v[134:137], off, off offset:688
	s_wait_loadcnt_dscnt 0xc01
	v_mul_f64_e32 v[180:181], v[4:5], v[160:161]
	v_mul_f64_e32 v[160:161], v[6:7], v[160:161]
	;; [unrolled: 18-line block ×5, first 2 shown]
	v_add_f64_e32 v[172:173], v[188:189], v[186:187]
	v_add_f64_e32 v[178:179], v[178:179], v[184:185]
	s_wait_loadcnt_dscnt 0xa00
	v_mul_f64_e32 v[184:185], v[150:151], v[14:15]
	v_mul_f64_e32 v[14:15], v[152:153], v[14:15]
	v_fmac_f64_e32 v[180:181], v[6:7], v[154:155]
	v_fma_f64 v[186:187], v[4:5], v[154:155], -v[156:157]
	ds_load_b128 v[4:7], v2 offset:1504
	ds_load_b128 v[154:157], v2 offset:1520
	v_add_f64_e32 v[188:189], v[172:173], v[170:171]
	v_add_f64_e32 v[178:179], v[178:179], v[182:183]
	scratch_load_b128 v[170:173], off, off offset:800
	v_fmac_f64_e32 v[184:185], v[152:153], v[12:13]
	v_fma_f64 v[150:151], v[150:151], v[12:13], -v[14:15]
	scratch_load_b128 v[12:15], off, off offset:816
	s_wait_loadcnt_dscnt 0xb01
	v_mul_f64_e32 v[182:183], v[4:5], v[140:141]
	v_mul_f64_e32 v[140:141], v[6:7], v[140:141]
	v_add_f64_e32 v[152:153], v[188:189], v[186:187]
	v_add_f64_e32 v[178:179], v[178:179], v[180:181]
	s_wait_loadcnt_dscnt 0xa00
	v_mul_f64_e32 v[180:181], v[154:155], v[132:133]
	v_mul_f64_e32 v[132:133], v[156:157], v[132:133]
	v_fmac_f64_e32 v[182:183], v[6:7], v[138:139]
	v_fma_f64 v[186:187], v[4:5], v[138:139], -v[140:141]
	ds_load_b128 v[4:7], v2 offset:1536
	ds_load_b128 v[138:141], v2 offset:1552
	v_add_f64_e32 v[188:189], v[152:153], v[150:151]
	v_add_f64_e32 v[178:179], v[178:179], v[184:185]
	scratch_load_b128 v[150:153], off, off offset:832
	s_wait_loadcnt_dscnt 0xa01
	v_mul_f64_e32 v[184:185], v[4:5], v[148:149]
	v_mul_f64_e32 v[148:149], v[6:7], v[148:149]
	v_fmac_f64_e32 v[180:181], v[156:157], v[130:131]
	v_fma_f64 v[154:155], v[154:155], v[130:131], -v[132:133]
	scratch_load_b128 v[130:133], off, off offset:848
	v_add_f64_e32 v[156:157], v[188:189], v[186:187]
	v_add_f64_e32 v[178:179], v[178:179], v[182:183]
	s_wait_loadcnt_dscnt 0xa00
	v_mul_f64_e32 v[182:183], v[138:139], v[136:137]
	v_mul_f64_e32 v[136:137], v[140:141], v[136:137]
	v_fmac_f64_e32 v[184:185], v[6:7], v[146:147]
	v_fma_f64 v[186:187], v[4:5], v[146:147], -v[148:149]
	ds_load_b128 v[4:7], v2 offset:1568
	ds_load_b128 v[146:149], v2 offset:1584
	v_add_f64_e32 v[154:155], v[156:157], v[154:155]
	v_add_f64_e32 v[156:157], v[178:179], v[180:181]
	v_fmac_f64_e32 v[182:183], v[140:141], v[134:135]
	s_wait_loadcnt_dscnt 0x901
	v_mul_f64_e32 v[178:179], v[4:5], v[160:161]
	v_mul_f64_e32 v[160:161], v[6:7], v[160:161]
	v_fma_f64 v[134:135], v[138:139], v[134:135], -v[136:137]
	s_wait_loadcnt_dscnt 0x800
	v_mul_f64_e32 v[140:141], v[146:147], v[144:145]
	v_mul_f64_e32 v[144:145], v[148:149], v[144:145]
	v_add_f64_e32 v[136:137], v[154:155], v[186:187]
	v_add_f64_e32 v[138:139], v[156:157], v[184:185]
	v_fmac_f64_e32 v[178:179], v[6:7], v[158:159]
	v_fma_f64 v[154:155], v[4:5], v[158:159], -v[160:161]
	v_fmac_f64_e32 v[140:141], v[148:149], v[142:143]
	v_fma_f64 v[142:143], v[146:147], v[142:143], -v[144:145]
	v_add_f64_e32 v[156:157], v[136:137], v[134:135]
	v_add_f64_e32 v[138:139], v[138:139], v[182:183]
	ds_load_b128 v[4:7], v2 offset:1600
	ds_load_b128 v[134:137], v2 offset:1616
	s_wait_loadcnt_dscnt 0x701
	v_mul_f64_e32 v[158:159], v[4:5], v[176:177]
	v_mul_f64_e32 v[160:161], v[6:7], v[176:177]
	s_wait_loadcnt_dscnt 0x600
	v_mul_f64_e32 v[146:147], v[134:135], v[10:11]
	v_mul_f64_e32 v[10:11], v[136:137], v[10:11]
	v_add_f64_e32 v[144:145], v[156:157], v[154:155]
	v_add_f64_e32 v[138:139], v[138:139], v[178:179]
	v_fmac_f64_e32 v[158:159], v[6:7], v[174:175]
	v_fma_f64 v[148:149], v[4:5], v[174:175], -v[160:161]
	v_fmac_f64_e32 v[146:147], v[136:137], v[8:9]
	v_fma_f64 v[8:9], v[134:135], v[8:9], -v[10:11]
	v_add_f64_e32 v[142:143], v[144:145], v[142:143]
	v_add_f64_e32 v[144:145], v[138:139], v[140:141]
	ds_load_b128 v[4:7], v2 offset:1632
	ds_load_b128 v[138:141], v2 offset:1648
	s_wait_loadcnt_dscnt 0x501
	v_mul_f64_e32 v[154:155], v[4:5], v[164:165]
	v_mul_f64_e32 v[156:157], v[6:7], v[164:165]
	;; [unrolled: 16-line block ×4, first 2 shown]
	s_wait_loadcnt_dscnt 0x0
	v_mul_f64_e32 v[14:15], v[126:127], v[132:133]
	v_mul_f64_e32 v[132:133], v[128:129], v[132:133]
	v_add_f64_e32 v[10:11], v[142:143], v[140:141]
	v_add_f64_e32 v[12:13], v[134:135], v[146:147]
	v_fmac_f64_e32 v[2:3], v[6:7], v[150:151]
	v_fma_f64 v[4:5], v[4:5], v[150:151], -v[136:137]
	v_fmac_f64_e32 v[14:15], v[128:129], v[130:131]
	v_add_f64_e32 v[6:7], v[10:11], v[8:9]
	v_add_f64_e32 v[8:9], v[12:13], v[138:139]
	v_fma_f64 v[10:11], v[126:127], v[130:131], -v[132:133]
	s_delay_alu instid0(VALU_DEP_3) | instskip(NEXT) | instid1(VALU_DEP_3)
	v_add_f64_e32 v[4:5], v[6:7], v[4:5]
	v_add_f64_e32 v[2:3], v[8:9], v[2:3]
	s_delay_alu instid0(VALU_DEP_2) | instskip(NEXT) | instid1(VALU_DEP_2)
	v_add_f64_e32 v[4:5], v[4:5], v[10:11]
	v_add_f64_e32 v[6:7], v[2:3], v[14:15]
	s_delay_alu instid0(VALU_DEP_2) | instskip(NEXT) | instid1(VALU_DEP_2)
	v_add_f64_e64 v[2:3], v[166:167], -v[4:5]
	v_add_f64_e64 v[4:5], v[168:169], -v[6:7]
	scratch_store_b128 off, v[2:5], off offset:336
	s_wait_xcnt 0x0
	v_cmpx_lt_u32_e32 20, v1
	s_cbranch_execz .LBB117_297
; %bb.296:
	scratch_load_b128 v[2:5], off, s50
	v_mov_b32_e32 v6, 0
	s_delay_alu instid0(VALU_DEP_1)
	v_dual_mov_b32 v7, v6 :: v_dual_mov_b32 v8, v6
	v_mov_b32_e32 v9, v6
	scratch_store_b128 off, v[6:9], off offset:320
	s_wait_loadcnt 0x0
	ds_store_b128 v124, v[2:5]
.LBB117_297:
	s_wait_xcnt 0x0
	s_or_b32 exec_lo, exec_lo, s2
	s_wait_storecnt_dscnt 0x0
	s_barrier_signal -1
	s_barrier_wait -1
	s_clause 0x9
	scratch_load_b128 v[4:7], off, off offset:336
	scratch_load_b128 v[8:11], off, off offset:352
	;; [unrolled: 1-line block ×10, first 2 shown]
	v_mov_b32_e32 v2, 0
	s_mov_b32 s2, exec_lo
	ds_load_b128 v[154:157], v2 offset:1200
	s_clause 0x2
	scratch_load_b128 v[158:161], off, off offset:496
	scratch_load_b128 v[162:165], off, off offset:320
	;; [unrolled: 1-line block ×3, first 2 shown]
	s_wait_loadcnt_dscnt 0xc00
	v_mul_f64_e32 v[174:175], v[156:157], v[6:7]
	v_mul_f64_e32 v[178:179], v[154:155], v[6:7]
	ds_load_b128 v[166:169], v2 offset:1216
	v_fma_f64 v[182:183], v[154:155], v[4:5], -v[174:175]
	v_fmac_f64_e32 v[178:179], v[156:157], v[4:5]
	ds_load_b128 v[4:7], v2 offset:1232
	s_wait_loadcnt_dscnt 0xb01
	v_mul_f64_e32 v[180:181], v[166:167], v[10:11]
	v_mul_f64_e32 v[10:11], v[168:169], v[10:11]
	scratch_load_b128 v[154:157], off, off offset:528
	ds_load_b128 v[174:177], v2 offset:1248
	s_wait_loadcnt_dscnt 0xb01
	v_mul_f64_e32 v[184:185], v[4:5], v[14:15]
	v_mul_f64_e32 v[14:15], v[6:7], v[14:15]
	v_add_f64_e32 v[178:179], 0, v[178:179]
	v_fmac_f64_e32 v[180:181], v[168:169], v[8:9]
	v_fma_f64 v[166:167], v[166:167], v[8:9], -v[10:11]
	v_add_f64_e32 v[168:169], 0, v[182:183]
	scratch_load_b128 v[8:11], off, off offset:544
	v_fmac_f64_e32 v[184:185], v[6:7], v[12:13]
	v_fma_f64 v[186:187], v[4:5], v[12:13], -v[14:15]
	ds_load_b128 v[4:7], v2 offset:1264
	s_wait_loadcnt_dscnt 0xb01
	v_mul_f64_e32 v[182:183], v[174:175], v[128:129]
	v_mul_f64_e32 v[128:129], v[176:177], v[128:129]
	scratch_load_b128 v[12:15], off, off offset:560
	v_add_f64_e32 v[178:179], v[178:179], v[180:181]
	v_add_f64_e32 v[188:189], v[168:169], v[166:167]
	ds_load_b128 v[166:169], v2 offset:1280
	s_wait_loadcnt_dscnt 0xb01
	v_mul_f64_e32 v[180:181], v[4:5], v[132:133]
	v_mul_f64_e32 v[132:133], v[6:7], v[132:133]
	v_fmac_f64_e32 v[182:183], v[176:177], v[126:127]
	v_fma_f64 v[174:175], v[174:175], v[126:127], -v[128:129]
	scratch_load_b128 v[126:129], off, off offset:576
	v_add_f64_e32 v[178:179], v[178:179], v[184:185]
	v_add_f64_e32 v[176:177], v[188:189], v[186:187]
	v_fmac_f64_e32 v[180:181], v[6:7], v[130:131]
	v_fma_f64 v[186:187], v[4:5], v[130:131], -v[132:133]
	ds_load_b128 v[4:7], v2 offset:1296
	s_wait_loadcnt_dscnt 0xb01
	v_mul_f64_e32 v[184:185], v[166:167], v[136:137]
	v_mul_f64_e32 v[136:137], v[168:169], v[136:137]
	scratch_load_b128 v[130:133], off, off offset:592
	v_add_f64_e32 v[178:179], v[178:179], v[182:183]
	s_wait_loadcnt_dscnt 0xb00
	v_mul_f64_e32 v[182:183], v[4:5], v[140:141]
	v_add_f64_e32 v[188:189], v[176:177], v[174:175]
	v_mul_f64_e32 v[140:141], v[6:7], v[140:141]
	ds_load_b128 v[174:177], v2 offset:1312
	v_fmac_f64_e32 v[184:185], v[168:169], v[134:135]
	v_fma_f64 v[166:167], v[166:167], v[134:135], -v[136:137]
	scratch_load_b128 v[134:137], off, off offset:608
	v_add_f64_e32 v[178:179], v[178:179], v[180:181]
	v_fmac_f64_e32 v[182:183], v[6:7], v[138:139]
	v_add_f64_e32 v[168:169], v[188:189], v[186:187]
	v_fma_f64 v[186:187], v[4:5], v[138:139], -v[140:141]
	ds_load_b128 v[4:7], v2 offset:1328
	s_wait_loadcnt_dscnt 0xb01
	v_mul_f64_e32 v[180:181], v[174:175], v[144:145]
	v_mul_f64_e32 v[144:145], v[176:177], v[144:145]
	scratch_load_b128 v[138:141], off, off offset:624
	v_add_f64_e32 v[178:179], v[178:179], v[184:185]
	s_wait_loadcnt_dscnt 0xb00
	v_mul_f64_e32 v[184:185], v[4:5], v[148:149]
	v_add_f64_e32 v[188:189], v[168:169], v[166:167]
	v_mul_f64_e32 v[148:149], v[6:7], v[148:149]
	ds_load_b128 v[166:169], v2 offset:1344
	v_fmac_f64_e32 v[180:181], v[176:177], v[142:143]
	v_fma_f64 v[174:175], v[174:175], v[142:143], -v[144:145]
	scratch_load_b128 v[142:145], off, off offset:640
	v_add_f64_e32 v[178:179], v[178:179], v[182:183]
	v_fmac_f64_e32 v[184:185], v[6:7], v[146:147]
	v_add_f64_e32 v[176:177], v[188:189], v[186:187]
	;; [unrolled: 18-line block ×3, first 2 shown]
	v_fma_f64 v[186:187], v[4:5], v[158:159], -v[160:161]
	ds_load_b128 v[4:7], v2 offset:1392
	s_wait_loadcnt_dscnt 0xa01
	v_mul_f64_e32 v[184:185], v[174:175], v[172:173]
	v_mul_f64_e32 v[172:173], v[176:177], v[172:173]
	scratch_load_b128 v[158:161], off, off offset:688
	v_add_f64_e32 v[178:179], v[178:179], v[182:183]
	v_add_f64_e32 v[188:189], v[168:169], v[166:167]
	s_wait_loadcnt_dscnt 0xa00
	v_mul_f64_e32 v[182:183], v[4:5], v[156:157]
	v_mul_f64_e32 v[156:157], v[6:7], v[156:157]
	v_fmac_f64_e32 v[184:185], v[176:177], v[170:171]
	v_fma_f64 v[174:175], v[174:175], v[170:171], -v[172:173]
	ds_load_b128 v[166:169], v2 offset:1408
	scratch_load_b128 v[170:173], off, off offset:704
	v_add_f64_e32 v[178:179], v[178:179], v[180:181]
	v_add_f64_e32 v[176:177], v[188:189], v[186:187]
	v_fmac_f64_e32 v[182:183], v[6:7], v[154:155]
	v_fma_f64 v[186:187], v[4:5], v[154:155], -v[156:157]
	ds_load_b128 v[4:7], v2 offset:1424
	s_wait_loadcnt_dscnt 0xa01
	v_mul_f64_e32 v[180:181], v[166:167], v[10:11]
	v_mul_f64_e32 v[10:11], v[168:169], v[10:11]
	scratch_load_b128 v[154:157], off, off offset:720
	v_add_f64_e32 v[178:179], v[178:179], v[184:185]
	s_wait_loadcnt_dscnt 0xa00
	v_mul_f64_e32 v[184:185], v[4:5], v[14:15]
	v_add_f64_e32 v[188:189], v[176:177], v[174:175]
	v_mul_f64_e32 v[14:15], v[6:7], v[14:15]
	ds_load_b128 v[174:177], v2 offset:1440
	v_fmac_f64_e32 v[180:181], v[168:169], v[8:9]
	v_fma_f64 v[166:167], v[166:167], v[8:9], -v[10:11]
	scratch_load_b128 v[8:11], off, off offset:736
	v_add_f64_e32 v[178:179], v[178:179], v[182:183]
	v_fmac_f64_e32 v[184:185], v[6:7], v[12:13]
	v_add_f64_e32 v[168:169], v[188:189], v[186:187]
	v_fma_f64 v[186:187], v[4:5], v[12:13], -v[14:15]
	ds_load_b128 v[4:7], v2 offset:1456
	s_wait_loadcnt_dscnt 0xa01
	v_mul_f64_e32 v[182:183], v[174:175], v[128:129]
	v_mul_f64_e32 v[128:129], v[176:177], v[128:129]
	scratch_load_b128 v[12:15], off, off offset:752
	v_add_f64_e32 v[178:179], v[178:179], v[180:181]
	s_wait_loadcnt_dscnt 0xa00
	v_mul_f64_e32 v[180:181], v[4:5], v[132:133]
	v_add_f64_e32 v[188:189], v[168:169], v[166:167]
	v_mul_f64_e32 v[132:133], v[6:7], v[132:133]
	ds_load_b128 v[166:169], v2 offset:1472
	v_fmac_f64_e32 v[182:183], v[176:177], v[126:127]
	v_fma_f64 v[174:175], v[174:175], v[126:127], -v[128:129]
	scratch_load_b128 v[126:129], off, off offset:768
	v_add_f64_e32 v[178:179], v[178:179], v[184:185]
	v_fmac_f64_e32 v[180:181], v[6:7], v[130:131]
	v_add_f64_e32 v[176:177], v[188:189], v[186:187]
	;; [unrolled: 18-line block ×4, first 2 shown]
	v_fma_f64 v[186:187], v[4:5], v[146:147], -v[148:149]
	ds_load_b128 v[4:7], v2 offset:1552
	s_wait_loadcnt_dscnt 0xa01
	v_mul_f64_e32 v[182:183], v[166:167], v[152:153]
	v_mul_f64_e32 v[152:153], v[168:169], v[152:153]
	scratch_load_b128 v[146:149], off, off offset:848
	v_add_f64_e32 v[178:179], v[178:179], v[180:181]
	s_wait_loadcnt_dscnt 0xa00
	v_mul_f64_e32 v[180:181], v[4:5], v[160:161]
	v_add_f64_e32 v[188:189], v[176:177], v[174:175]
	v_mul_f64_e32 v[160:161], v[6:7], v[160:161]
	ds_load_b128 v[174:177], v2 offset:1568
	v_fmac_f64_e32 v[182:183], v[168:169], v[150:151]
	v_fma_f64 v[150:151], v[166:167], v[150:151], -v[152:153]
	s_wait_loadcnt_dscnt 0x900
	v_mul_f64_e32 v[168:169], v[174:175], v[172:173]
	v_mul_f64_e32 v[172:173], v[176:177], v[172:173]
	v_add_f64_e32 v[166:167], v[178:179], v[184:185]
	v_fmac_f64_e32 v[180:181], v[6:7], v[158:159]
	v_add_f64_e32 v[152:153], v[188:189], v[186:187]
	v_fma_f64 v[158:159], v[4:5], v[158:159], -v[160:161]
	v_fmac_f64_e32 v[168:169], v[176:177], v[170:171]
	v_fma_f64 v[170:171], v[174:175], v[170:171], -v[172:173]
	v_add_f64_e32 v[166:167], v[166:167], v[182:183]
	v_add_f64_e32 v[160:161], v[152:153], v[150:151]
	ds_load_b128 v[4:7], v2 offset:1584
	ds_load_b128 v[150:153], v2 offset:1600
	s_wait_loadcnt_dscnt 0x801
	v_mul_f64_e32 v[178:179], v[4:5], v[156:157]
	v_mul_f64_e32 v[156:157], v[6:7], v[156:157]
	v_add_f64_e32 v[158:159], v[160:161], v[158:159]
	v_add_f64_e32 v[160:161], v[166:167], v[180:181]
	s_wait_loadcnt_dscnt 0x700
	v_mul_f64_e32 v[166:167], v[150:151], v[10:11]
	v_mul_f64_e32 v[10:11], v[152:153], v[10:11]
	v_fmac_f64_e32 v[178:179], v[6:7], v[154:155]
	v_fma_f64 v[172:173], v[4:5], v[154:155], -v[156:157]
	ds_load_b128 v[4:7], v2 offset:1616
	ds_load_b128 v[154:157], v2 offset:1632
	v_add_f64_e32 v[158:159], v[158:159], v[170:171]
	v_add_f64_e32 v[160:161], v[160:161], v[168:169]
	v_fmac_f64_e32 v[166:167], v[152:153], v[8:9]
	v_fma_f64 v[8:9], v[150:151], v[8:9], -v[10:11]
	s_wait_loadcnt_dscnt 0x601
	v_mul_f64_e32 v[168:169], v[4:5], v[14:15]
	v_mul_f64_e32 v[14:15], v[6:7], v[14:15]
	s_wait_loadcnt_dscnt 0x500
	v_mul_f64_e32 v[152:153], v[154:155], v[128:129]
	v_mul_f64_e32 v[128:129], v[156:157], v[128:129]
	v_add_f64_e32 v[10:11], v[158:159], v[172:173]
	v_add_f64_e32 v[150:151], v[160:161], v[178:179]
	v_fmac_f64_e32 v[168:169], v[6:7], v[12:13]
	v_fma_f64 v[12:13], v[4:5], v[12:13], -v[14:15]
	v_fmac_f64_e32 v[152:153], v[156:157], v[126:127]
	v_fma_f64 v[126:127], v[154:155], v[126:127], -v[128:129]
	v_add_f64_e32 v[14:15], v[10:11], v[8:9]
	v_add_f64_e32 v[150:151], v[150:151], v[166:167]
	ds_load_b128 v[4:7], v2 offset:1648
	ds_load_b128 v[8:11], v2 offset:1664
	s_wait_loadcnt_dscnt 0x401
	v_mul_f64_e32 v[158:159], v[4:5], v[132:133]
	v_mul_f64_e32 v[132:133], v[6:7], v[132:133]
	s_wait_loadcnt_dscnt 0x300
	v_mul_f64_e32 v[128:129], v[8:9], v[136:137]
	v_mul_f64_e32 v[136:137], v[10:11], v[136:137]
	v_add_f64_e32 v[12:13], v[14:15], v[12:13]
	v_add_f64_e32 v[14:15], v[150:151], v[168:169]
	v_fmac_f64_e32 v[158:159], v[6:7], v[130:131]
	v_fma_f64 v[130:131], v[4:5], v[130:131], -v[132:133]
	v_fmac_f64_e32 v[128:129], v[10:11], v[134:135]
	v_fma_f64 v[8:9], v[8:9], v[134:135], -v[136:137]
	v_add_f64_e32 v[126:127], v[12:13], v[126:127]
	v_add_f64_e32 v[132:133], v[14:15], v[152:153]
	ds_load_b128 v[4:7], v2 offset:1680
	ds_load_b128 v[12:15], v2 offset:1696
	s_wait_loadcnt_dscnt 0x201
	v_mul_f64_e32 v[150:151], v[4:5], v[140:141]
	v_mul_f64_e32 v[140:141], v[6:7], v[140:141]
	v_add_f64_e32 v[10:11], v[126:127], v[130:131]
	v_add_f64_e32 v[126:127], v[132:133], v[158:159]
	s_wait_loadcnt_dscnt 0x100
	v_mul_f64_e32 v[130:131], v[12:13], v[144:145]
	v_mul_f64_e32 v[132:133], v[14:15], v[144:145]
	v_fmac_f64_e32 v[150:151], v[6:7], v[138:139]
	v_fma_f64 v[134:135], v[4:5], v[138:139], -v[140:141]
	ds_load_b128 v[4:7], v2 offset:1712
	v_add_f64_e32 v[8:9], v[10:11], v[8:9]
	v_add_f64_e32 v[10:11], v[126:127], v[128:129]
	v_fmac_f64_e32 v[130:131], v[14:15], v[142:143]
	v_fma_f64 v[12:13], v[12:13], v[142:143], -v[132:133]
	s_wait_loadcnt_dscnt 0x0
	v_mul_f64_e32 v[126:127], v[4:5], v[148:149]
	v_mul_f64_e32 v[128:129], v[6:7], v[148:149]
	v_add_f64_e32 v[8:9], v[8:9], v[134:135]
	v_add_f64_e32 v[10:11], v[10:11], v[150:151]
	s_delay_alu instid0(VALU_DEP_4) | instskip(NEXT) | instid1(VALU_DEP_4)
	v_fmac_f64_e32 v[126:127], v[6:7], v[146:147]
	v_fma_f64 v[4:5], v[4:5], v[146:147], -v[128:129]
	s_delay_alu instid0(VALU_DEP_4) | instskip(NEXT) | instid1(VALU_DEP_4)
	v_add_f64_e32 v[6:7], v[8:9], v[12:13]
	v_add_f64_e32 v[8:9], v[10:11], v[130:131]
	s_delay_alu instid0(VALU_DEP_2) | instskip(NEXT) | instid1(VALU_DEP_2)
	v_add_f64_e32 v[4:5], v[6:7], v[4:5]
	v_add_f64_e32 v[6:7], v[8:9], v[126:127]
	s_delay_alu instid0(VALU_DEP_2) | instskip(NEXT) | instid1(VALU_DEP_2)
	v_add_f64_e64 v[4:5], v[162:163], -v[4:5]
	v_add_f64_e64 v[6:7], v[164:165], -v[6:7]
	scratch_store_b128 off, v[4:7], off offset:320
	s_wait_xcnt 0x0
	v_cmpx_lt_u32_e32 19, v1
	s_cbranch_execz .LBB117_299
; %bb.298:
	scratch_load_b128 v[6:9], off, s51
	v_dual_mov_b32 v3, v2 :: v_dual_mov_b32 v4, v2
	v_mov_b32_e32 v5, v2
	scratch_store_b128 off, v[2:5], off offset:304
	s_wait_loadcnt 0x0
	ds_store_b128 v124, v[6:9]
.LBB117_299:
	s_wait_xcnt 0x0
	s_or_b32 exec_lo, exec_lo, s2
	s_wait_storecnt_dscnt 0x0
	s_barrier_signal -1
	s_barrier_wait -1
	s_clause 0x9
	scratch_load_b128 v[4:7], off, off offset:320
	scratch_load_b128 v[8:11], off, off offset:336
	;; [unrolled: 1-line block ×10, first 2 shown]
	ds_load_b128 v[154:157], v2 offset:1184
	ds_load_b128 v[162:165], v2 offset:1200
	s_clause 0x2
	scratch_load_b128 v[158:161], off, off offset:480
	scratch_load_b128 v[166:169], off, off offset:304
	;; [unrolled: 1-line block ×3, first 2 shown]
	s_mov_b32 s2, exec_lo
	s_wait_loadcnt_dscnt 0xc01
	v_mul_f64_e32 v[174:175], v[156:157], v[6:7]
	v_mul_f64_e32 v[178:179], v[154:155], v[6:7]
	s_wait_loadcnt_dscnt 0xb00
	v_mul_f64_e32 v[180:181], v[162:163], v[10:11]
	v_mul_f64_e32 v[10:11], v[164:165], v[10:11]
	s_delay_alu instid0(VALU_DEP_4) | instskip(NEXT) | instid1(VALU_DEP_4)
	v_fma_f64 v[182:183], v[154:155], v[4:5], -v[174:175]
	v_fmac_f64_e32 v[178:179], v[156:157], v[4:5]
	ds_load_b128 v[4:7], v2 offset:1216
	ds_load_b128 v[154:157], v2 offset:1232
	scratch_load_b128 v[174:177], off, off offset:512
	v_fmac_f64_e32 v[180:181], v[164:165], v[8:9]
	v_fma_f64 v[162:163], v[162:163], v[8:9], -v[10:11]
	scratch_load_b128 v[8:11], off, off offset:528
	s_wait_loadcnt_dscnt 0xc01
	v_mul_f64_e32 v[184:185], v[4:5], v[14:15]
	v_mul_f64_e32 v[14:15], v[6:7], v[14:15]
	v_add_f64_e32 v[164:165], 0, v[182:183]
	v_add_f64_e32 v[178:179], 0, v[178:179]
	s_wait_loadcnt_dscnt 0xb00
	v_mul_f64_e32 v[182:183], v[154:155], v[128:129]
	v_mul_f64_e32 v[128:129], v[156:157], v[128:129]
	v_fmac_f64_e32 v[184:185], v[6:7], v[12:13]
	v_fma_f64 v[186:187], v[4:5], v[12:13], -v[14:15]
	ds_load_b128 v[4:7], v2 offset:1248
	ds_load_b128 v[12:15], v2 offset:1264
	v_add_f64_e32 v[188:189], v[164:165], v[162:163]
	v_add_f64_e32 v[178:179], v[178:179], v[180:181]
	scratch_load_b128 v[162:165], off, off offset:544
	v_fmac_f64_e32 v[182:183], v[156:157], v[126:127]
	v_fma_f64 v[154:155], v[154:155], v[126:127], -v[128:129]
	scratch_load_b128 v[126:129], off, off offset:560
	s_wait_loadcnt_dscnt 0xc01
	v_mul_f64_e32 v[180:181], v[4:5], v[132:133]
	v_mul_f64_e32 v[132:133], v[6:7], v[132:133]
	v_add_f64_e32 v[156:157], v[188:189], v[186:187]
	v_add_f64_e32 v[178:179], v[178:179], v[184:185]
	s_wait_loadcnt_dscnt 0xb00
	v_mul_f64_e32 v[184:185], v[12:13], v[136:137]
	v_mul_f64_e32 v[136:137], v[14:15], v[136:137]
	v_fmac_f64_e32 v[180:181], v[6:7], v[130:131]
	v_fma_f64 v[186:187], v[4:5], v[130:131], -v[132:133]
	ds_load_b128 v[4:7], v2 offset:1280
	ds_load_b128 v[130:133], v2 offset:1296
	v_add_f64_e32 v[188:189], v[156:157], v[154:155]
	v_add_f64_e32 v[178:179], v[178:179], v[182:183]
	scratch_load_b128 v[154:157], off, off offset:576
	s_wait_loadcnt_dscnt 0xb01
	v_mul_f64_e32 v[182:183], v[4:5], v[140:141]
	v_mul_f64_e32 v[140:141], v[6:7], v[140:141]
	v_fmac_f64_e32 v[184:185], v[14:15], v[134:135]
	v_fma_f64 v[134:135], v[12:13], v[134:135], -v[136:137]
	scratch_load_b128 v[12:15], off, off offset:592
	v_add_f64_e32 v[136:137], v[188:189], v[186:187]
	v_add_f64_e32 v[178:179], v[178:179], v[180:181]
	s_wait_loadcnt_dscnt 0xb00
	v_mul_f64_e32 v[180:181], v[130:131], v[144:145]
	v_mul_f64_e32 v[144:145], v[132:133], v[144:145]
	v_fmac_f64_e32 v[182:183], v[6:7], v[138:139]
	v_fma_f64 v[186:187], v[4:5], v[138:139], -v[140:141]
	v_add_f64_e32 v[188:189], v[136:137], v[134:135]
	v_add_f64_e32 v[178:179], v[178:179], v[184:185]
	ds_load_b128 v[4:7], v2 offset:1312
	ds_load_b128 v[134:137], v2 offset:1328
	scratch_load_b128 v[138:141], off, off offset:608
	v_fmac_f64_e32 v[180:181], v[132:133], v[142:143]
	v_fma_f64 v[142:143], v[130:131], v[142:143], -v[144:145]
	scratch_load_b128 v[130:133], off, off offset:624
	s_wait_loadcnt_dscnt 0xc01
	v_mul_f64_e32 v[184:185], v[4:5], v[148:149]
	v_mul_f64_e32 v[148:149], v[6:7], v[148:149]
	v_add_f64_e32 v[144:145], v[188:189], v[186:187]
	v_add_f64_e32 v[178:179], v[178:179], v[182:183]
	s_wait_loadcnt_dscnt 0xb00
	v_mul_f64_e32 v[182:183], v[134:135], v[152:153]
	v_mul_f64_e32 v[152:153], v[136:137], v[152:153]
	v_fmac_f64_e32 v[184:185], v[6:7], v[146:147]
	v_fma_f64 v[186:187], v[4:5], v[146:147], -v[148:149]
	v_add_f64_e32 v[188:189], v[144:145], v[142:143]
	v_add_f64_e32 v[178:179], v[178:179], v[180:181]
	ds_load_b128 v[4:7], v2 offset:1344
	ds_load_b128 v[142:145], v2 offset:1360
	scratch_load_b128 v[146:149], off, off offset:640
	v_fmac_f64_e32 v[182:183], v[136:137], v[150:151]
	v_fma_f64 v[150:151], v[134:135], v[150:151], -v[152:153]
	scratch_load_b128 v[134:137], off, off offset:656
	s_wait_loadcnt_dscnt 0xc01
	v_mul_f64_e32 v[180:181], v[4:5], v[160:161]
	v_mul_f64_e32 v[160:161], v[6:7], v[160:161]
	;; [unrolled: 18-line block ×5, first 2 shown]
	v_add_f64_e32 v[172:173], v[188:189], v[186:187]
	v_add_f64_e32 v[178:179], v[178:179], v[184:185]
	s_wait_loadcnt_dscnt 0xa00
	v_mul_f64_e32 v[184:185], v[150:151], v[14:15]
	v_mul_f64_e32 v[14:15], v[152:153], v[14:15]
	v_fmac_f64_e32 v[180:181], v[6:7], v[154:155]
	v_fma_f64 v[186:187], v[4:5], v[154:155], -v[156:157]
	ds_load_b128 v[4:7], v2 offset:1472
	ds_load_b128 v[154:157], v2 offset:1488
	v_add_f64_e32 v[188:189], v[172:173], v[170:171]
	v_add_f64_e32 v[178:179], v[178:179], v[182:183]
	scratch_load_b128 v[170:173], off, off offset:768
	v_fmac_f64_e32 v[184:185], v[152:153], v[12:13]
	v_fma_f64 v[150:151], v[150:151], v[12:13], -v[14:15]
	scratch_load_b128 v[12:15], off, off offset:784
	s_wait_loadcnt_dscnt 0xb01
	v_mul_f64_e32 v[182:183], v[4:5], v[140:141]
	v_mul_f64_e32 v[140:141], v[6:7], v[140:141]
	v_add_f64_e32 v[152:153], v[188:189], v[186:187]
	v_add_f64_e32 v[178:179], v[178:179], v[180:181]
	s_wait_loadcnt_dscnt 0xa00
	v_mul_f64_e32 v[180:181], v[154:155], v[132:133]
	v_mul_f64_e32 v[132:133], v[156:157], v[132:133]
	v_fmac_f64_e32 v[182:183], v[6:7], v[138:139]
	v_fma_f64 v[186:187], v[4:5], v[138:139], -v[140:141]
	ds_load_b128 v[4:7], v2 offset:1504
	ds_load_b128 v[138:141], v2 offset:1520
	v_add_f64_e32 v[188:189], v[152:153], v[150:151]
	v_add_f64_e32 v[178:179], v[178:179], v[184:185]
	scratch_load_b128 v[150:153], off, off offset:800
	s_wait_loadcnt_dscnt 0xa01
	v_mul_f64_e32 v[184:185], v[4:5], v[148:149]
	v_mul_f64_e32 v[148:149], v[6:7], v[148:149]
	v_fmac_f64_e32 v[180:181], v[156:157], v[130:131]
	v_fma_f64 v[154:155], v[154:155], v[130:131], -v[132:133]
	scratch_load_b128 v[130:133], off, off offset:816
	v_add_f64_e32 v[156:157], v[188:189], v[186:187]
	v_add_f64_e32 v[178:179], v[178:179], v[182:183]
	s_wait_loadcnt_dscnt 0xa00
	v_mul_f64_e32 v[182:183], v[138:139], v[136:137]
	v_mul_f64_e32 v[136:137], v[140:141], v[136:137]
	v_fmac_f64_e32 v[184:185], v[6:7], v[146:147]
	v_fma_f64 v[186:187], v[4:5], v[146:147], -v[148:149]
	ds_load_b128 v[4:7], v2 offset:1536
	ds_load_b128 v[146:149], v2 offset:1552
	v_add_f64_e32 v[188:189], v[156:157], v[154:155]
	v_add_f64_e32 v[178:179], v[178:179], v[180:181]
	scratch_load_b128 v[154:157], off, off offset:832
	s_wait_loadcnt_dscnt 0xa01
	v_mul_f64_e32 v[180:181], v[4:5], v[160:161]
	v_mul_f64_e32 v[160:161], v[6:7], v[160:161]
	v_fmac_f64_e32 v[182:183], v[140:141], v[134:135]
	v_fma_f64 v[138:139], v[138:139], v[134:135], -v[136:137]
	scratch_load_b128 v[134:137], off, off offset:848
	v_add_f64_e32 v[140:141], v[188:189], v[186:187]
	v_add_f64_e32 v[178:179], v[178:179], v[184:185]
	s_wait_loadcnt_dscnt 0xa00
	v_mul_f64_e32 v[184:185], v[146:147], v[144:145]
	v_mul_f64_e32 v[144:145], v[148:149], v[144:145]
	v_fmac_f64_e32 v[180:181], v[6:7], v[158:159]
	v_fma_f64 v[158:159], v[4:5], v[158:159], -v[160:161]
	v_add_f64_e32 v[160:161], v[140:141], v[138:139]
	v_add_f64_e32 v[178:179], v[178:179], v[182:183]
	ds_load_b128 v[4:7], v2 offset:1568
	ds_load_b128 v[138:141], v2 offset:1584
	v_fmac_f64_e32 v[184:185], v[148:149], v[142:143]
	v_fma_f64 v[142:143], v[146:147], v[142:143], -v[144:145]
	s_wait_loadcnt_dscnt 0x901
	v_mul_f64_e32 v[182:183], v[4:5], v[176:177]
	v_mul_f64_e32 v[176:177], v[6:7], v[176:177]
	s_wait_loadcnt_dscnt 0x800
	v_mul_f64_e32 v[148:149], v[138:139], v[10:11]
	v_mul_f64_e32 v[10:11], v[140:141], v[10:11]
	v_add_f64_e32 v[144:145], v[160:161], v[158:159]
	v_add_f64_e32 v[146:147], v[178:179], v[180:181]
	v_fmac_f64_e32 v[182:183], v[6:7], v[174:175]
	v_fma_f64 v[158:159], v[4:5], v[174:175], -v[176:177]
	v_fmac_f64_e32 v[148:149], v[140:141], v[8:9]
	v_fma_f64 v[8:9], v[138:139], v[8:9], -v[10:11]
	v_add_f64_e32 v[160:161], v[144:145], v[142:143]
	v_add_f64_e32 v[146:147], v[146:147], v[184:185]
	ds_load_b128 v[4:7], v2 offset:1600
	ds_load_b128 v[142:145], v2 offset:1616
	s_wait_loadcnt_dscnt 0x701
	v_mul_f64_e32 v[174:175], v[4:5], v[164:165]
	v_mul_f64_e32 v[164:165], v[6:7], v[164:165]
	s_wait_loadcnt_dscnt 0x600
	v_mul_f64_e32 v[140:141], v[142:143], v[128:129]
	v_mul_f64_e32 v[128:129], v[144:145], v[128:129]
	v_add_f64_e32 v[10:11], v[160:161], v[158:159]
	v_add_f64_e32 v[138:139], v[146:147], v[182:183]
	v_fmac_f64_e32 v[174:175], v[6:7], v[162:163]
	v_fma_f64 v[146:147], v[4:5], v[162:163], -v[164:165]
	v_fmac_f64_e32 v[140:141], v[144:145], v[126:127]
	v_fma_f64 v[126:127], v[142:143], v[126:127], -v[128:129]
	v_add_f64_e32 v[158:159], v[10:11], v[8:9]
	v_add_f64_e32 v[138:139], v[138:139], v[148:149]
	ds_load_b128 v[4:7], v2 offset:1632
	ds_load_b128 v[8:11], v2 offset:1648
	;; [unrolled: 16-line block ×4, first 2 shown]
	s_wait_loadcnt_dscnt 0x101
	v_mul_f64_e32 v[2:3], v[4:5], v[156:157]
	v_mul_f64_e32 v[142:143], v[6:7], v[156:157]
	s_wait_loadcnt_dscnt 0x0
	v_mul_f64_e32 v[130:131], v[8:9], v[136:137]
	v_mul_f64_e32 v[132:133], v[10:11], v[136:137]
	v_add_f64_e32 v[128:129], v[144:145], v[138:139]
	v_add_f64_e32 v[12:13], v[12:13], v[140:141]
	v_fmac_f64_e32 v[2:3], v[6:7], v[154:155]
	v_fma_f64 v[4:5], v[4:5], v[154:155], -v[142:143]
	v_fmac_f64_e32 v[130:131], v[10:11], v[134:135]
	v_fma_f64 v[8:9], v[8:9], v[134:135], -v[132:133]
	v_add_f64_e32 v[6:7], v[128:129], v[126:127]
	v_add_f64_e32 v[12:13], v[12:13], v[14:15]
	s_delay_alu instid0(VALU_DEP_2) | instskip(NEXT) | instid1(VALU_DEP_2)
	v_add_f64_e32 v[4:5], v[6:7], v[4:5]
	v_add_f64_e32 v[2:3], v[12:13], v[2:3]
	s_delay_alu instid0(VALU_DEP_2) | instskip(NEXT) | instid1(VALU_DEP_2)
	v_add_f64_e32 v[4:5], v[4:5], v[8:9]
	v_add_f64_e32 v[6:7], v[2:3], v[130:131]
	s_delay_alu instid0(VALU_DEP_2) | instskip(NEXT) | instid1(VALU_DEP_2)
	v_add_f64_e64 v[2:3], v[166:167], -v[4:5]
	v_add_f64_e64 v[4:5], v[168:169], -v[6:7]
	scratch_store_b128 off, v[2:5], off offset:304
	s_wait_xcnt 0x0
	v_cmpx_lt_u32_e32 18, v1
	s_cbranch_execz .LBB117_301
; %bb.300:
	scratch_load_b128 v[2:5], off, s52
	v_mov_b32_e32 v6, 0
	s_delay_alu instid0(VALU_DEP_1)
	v_dual_mov_b32 v7, v6 :: v_dual_mov_b32 v8, v6
	v_mov_b32_e32 v9, v6
	scratch_store_b128 off, v[6:9], off offset:288
	s_wait_loadcnt 0x0
	ds_store_b128 v124, v[2:5]
.LBB117_301:
	s_wait_xcnt 0x0
	s_or_b32 exec_lo, exec_lo, s2
	s_wait_storecnt_dscnt 0x0
	s_barrier_signal -1
	s_barrier_wait -1
	s_clause 0x9
	scratch_load_b128 v[4:7], off, off offset:304
	scratch_load_b128 v[8:11], off, off offset:320
	;; [unrolled: 1-line block ×10, first 2 shown]
	v_mov_b32_e32 v2, 0
	s_mov_b32 s2, exec_lo
	ds_load_b128 v[154:157], v2 offset:1168
	s_clause 0x2
	scratch_load_b128 v[158:161], off, off offset:464
	scratch_load_b128 v[162:165], off, off offset:288
	;; [unrolled: 1-line block ×3, first 2 shown]
	s_wait_loadcnt_dscnt 0xc00
	v_mul_f64_e32 v[174:175], v[156:157], v[6:7]
	v_mul_f64_e32 v[178:179], v[154:155], v[6:7]
	ds_load_b128 v[166:169], v2 offset:1184
	v_fma_f64 v[182:183], v[154:155], v[4:5], -v[174:175]
	v_fmac_f64_e32 v[178:179], v[156:157], v[4:5]
	ds_load_b128 v[4:7], v2 offset:1200
	s_wait_loadcnt_dscnt 0xb01
	v_mul_f64_e32 v[180:181], v[166:167], v[10:11]
	v_mul_f64_e32 v[10:11], v[168:169], v[10:11]
	scratch_load_b128 v[154:157], off, off offset:496
	ds_load_b128 v[174:177], v2 offset:1216
	s_wait_loadcnt_dscnt 0xb01
	v_mul_f64_e32 v[184:185], v[4:5], v[14:15]
	v_mul_f64_e32 v[14:15], v[6:7], v[14:15]
	v_add_f64_e32 v[178:179], 0, v[178:179]
	v_fmac_f64_e32 v[180:181], v[168:169], v[8:9]
	v_fma_f64 v[166:167], v[166:167], v[8:9], -v[10:11]
	v_add_f64_e32 v[168:169], 0, v[182:183]
	scratch_load_b128 v[8:11], off, off offset:512
	v_fmac_f64_e32 v[184:185], v[6:7], v[12:13]
	v_fma_f64 v[186:187], v[4:5], v[12:13], -v[14:15]
	ds_load_b128 v[4:7], v2 offset:1232
	s_wait_loadcnt_dscnt 0xb01
	v_mul_f64_e32 v[182:183], v[174:175], v[128:129]
	v_mul_f64_e32 v[128:129], v[176:177], v[128:129]
	scratch_load_b128 v[12:15], off, off offset:528
	v_add_f64_e32 v[178:179], v[178:179], v[180:181]
	v_add_f64_e32 v[188:189], v[168:169], v[166:167]
	ds_load_b128 v[166:169], v2 offset:1248
	s_wait_loadcnt_dscnt 0xb01
	v_mul_f64_e32 v[180:181], v[4:5], v[132:133]
	v_mul_f64_e32 v[132:133], v[6:7], v[132:133]
	v_fmac_f64_e32 v[182:183], v[176:177], v[126:127]
	v_fma_f64 v[174:175], v[174:175], v[126:127], -v[128:129]
	scratch_load_b128 v[126:129], off, off offset:544
	v_add_f64_e32 v[178:179], v[178:179], v[184:185]
	v_add_f64_e32 v[176:177], v[188:189], v[186:187]
	v_fmac_f64_e32 v[180:181], v[6:7], v[130:131]
	v_fma_f64 v[186:187], v[4:5], v[130:131], -v[132:133]
	ds_load_b128 v[4:7], v2 offset:1264
	s_wait_loadcnt_dscnt 0xb01
	v_mul_f64_e32 v[184:185], v[166:167], v[136:137]
	v_mul_f64_e32 v[136:137], v[168:169], v[136:137]
	scratch_load_b128 v[130:133], off, off offset:560
	v_add_f64_e32 v[178:179], v[178:179], v[182:183]
	s_wait_loadcnt_dscnt 0xb00
	v_mul_f64_e32 v[182:183], v[4:5], v[140:141]
	v_add_f64_e32 v[188:189], v[176:177], v[174:175]
	v_mul_f64_e32 v[140:141], v[6:7], v[140:141]
	ds_load_b128 v[174:177], v2 offset:1280
	v_fmac_f64_e32 v[184:185], v[168:169], v[134:135]
	v_fma_f64 v[166:167], v[166:167], v[134:135], -v[136:137]
	scratch_load_b128 v[134:137], off, off offset:576
	v_add_f64_e32 v[178:179], v[178:179], v[180:181]
	v_fmac_f64_e32 v[182:183], v[6:7], v[138:139]
	v_add_f64_e32 v[168:169], v[188:189], v[186:187]
	v_fma_f64 v[186:187], v[4:5], v[138:139], -v[140:141]
	ds_load_b128 v[4:7], v2 offset:1296
	s_wait_loadcnt_dscnt 0xb01
	v_mul_f64_e32 v[180:181], v[174:175], v[144:145]
	v_mul_f64_e32 v[144:145], v[176:177], v[144:145]
	scratch_load_b128 v[138:141], off, off offset:592
	v_add_f64_e32 v[178:179], v[178:179], v[184:185]
	s_wait_loadcnt_dscnt 0xb00
	v_mul_f64_e32 v[184:185], v[4:5], v[148:149]
	v_add_f64_e32 v[188:189], v[168:169], v[166:167]
	v_mul_f64_e32 v[148:149], v[6:7], v[148:149]
	ds_load_b128 v[166:169], v2 offset:1312
	v_fmac_f64_e32 v[180:181], v[176:177], v[142:143]
	v_fma_f64 v[174:175], v[174:175], v[142:143], -v[144:145]
	scratch_load_b128 v[142:145], off, off offset:608
	v_add_f64_e32 v[178:179], v[178:179], v[182:183]
	v_fmac_f64_e32 v[184:185], v[6:7], v[146:147]
	v_add_f64_e32 v[176:177], v[188:189], v[186:187]
	;; [unrolled: 18-line block ×3, first 2 shown]
	v_fma_f64 v[186:187], v[4:5], v[158:159], -v[160:161]
	ds_load_b128 v[4:7], v2 offset:1360
	s_wait_loadcnt_dscnt 0xa01
	v_mul_f64_e32 v[184:185], v[174:175], v[172:173]
	v_mul_f64_e32 v[172:173], v[176:177], v[172:173]
	scratch_load_b128 v[158:161], off, off offset:656
	v_add_f64_e32 v[178:179], v[178:179], v[182:183]
	v_add_f64_e32 v[188:189], v[168:169], v[166:167]
	s_wait_loadcnt_dscnt 0xa00
	v_mul_f64_e32 v[182:183], v[4:5], v[156:157]
	v_mul_f64_e32 v[156:157], v[6:7], v[156:157]
	v_fmac_f64_e32 v[184:185], v[176:177], v[170:171]
	v_fma_f64 v[174:175], v[174:175], v[170:171], -v[172:173]
	ds_load_b128 v[166:169], v2 offset:1376
	scratch_load_b128 v[170:173], off, off offset:672
	v_add_f64_e32 v[178:179], v[178:179], v[180:181]
	v_add_f64_e32 v[176:177], v[188:189], v[186:187]
	v_fmac_f64_e32 v[182:183], v[6:7], v[154:155]
	v_fma_f64 v[186:187], v[4:5], v[154:155], -v[156:157]
	ds_load_b128 v[4:7], v2 offset:1392
	s_wait_loadcnt_dscnt 0xa01
	v_mul_f64_e32 v[180:181], v[166:167], v[10:11]
	v_mul_f64_e32 v[10:11], v[168:169], v[10:11]
	scratch_load_b128 v[154:157], off, off offset:688
	v_add_f64_e32 v[178:179], v[178:179], v[184:185]
	s_wait_loadcnt_dscnt 0xa00
	v_mul_f64_e32 v[184:185], v[4:5], v[14:15]
	v_add_f64_e32 v[188:189], v[176:177], v[174:175]
	v_mul_f64_e32 v[14:15], v[6:7], v[14:15]
	ds_load_b128 v[174:177], v2 offset:1408
	v_fmac_f64_e32 v[180:181], v[168:169], v[8:9]
	v_fma_f64 v[166:167], v[166:167], v[8:9], -v[10:11]
	scratch_load_b128 v[8:11], off, off offset:704
	v_add_f64_e32 v[178:179], v[178:179], v[182:183]
	v_fmac_f64_e32 v[184:185], v[6:7], v[12:13]
	v_add_f64_e32 v[168:169], v[188:189], v[186:187]
	v_fma_f64 v[186:187], v[4:5], v[12:13], -v[14:15]
	ds_load_b128 v[4:7], v2 offset:1424
	s_wait_loadcnt_dscnt 0xa01
	v_mul_f64_e32 v[182:183], v[174:175], v[128:129]
	v_mul_f64_e32 v[128:129], v[176:177], v[128:129]
	scratch_load_b128 v[12:15], off, off offset:720
	v_add_f64_e32 v[178:179], v[178:179], v[180:181]
	s_wait_loadcnt_dscnt 0xa00
	v_mul_f64_e32 v[180:181], v[4:5], v[132:133]
	v_add_f64_e32 v[188:189], v[168:169], v[166:167]
	v_mul_f64_e32 v[132:133], v[6:7], v[132:133]
	ds_load_b128 v[166:169], v2 offset:1440
	v_fmac_f64_e32 v[182:183], v[176:177], v[126:127]
	v_fma_f64 v[174:175], v[174:175], v[126:127], -v[128:129]
	scratch_load_b128 v[126:129], off, off offset:736
	v_add_f64_e32 v[178:179], v[178:179], v[184:185]
	v_fmac_f64_e32 v[180:181], v[6:7], v[130:131]
	v_add_f64_e32 v[176:177], v[188:189], v[186:187]
	;; [unrolled: 18-line block ×5, first 2 shown]
	v_fma_f64 v[186:187], v[4:5], v[158:159], -v[160:161]
	ds_load_b128 v[4:7], v2 offset:1552
	s_wait_loadcnt_dscnt 0xa01
	v_mul_f64_e32 v[184:185], v[174:175], v[172:173]
	v_mul_f64_e32 v[172:173], v[176:177], v[172:173]
	scratch_load_b128 v[158:161], off, off offset:848
	v_add_f64_e32 v[178:179], v[178:179], v[182:183]
	s_wait_loadcnt_dscnt 0xa00
	v_mul_f64_e32 v[182:183], v[4:5], v[156:157]
	v_add_f64_e32 v[188:189], v[168:169], v[166:167]
	v_mul_f64_e32 v[156:157], v[6:7], v[156:157]
	ds_load_b128 v[166:169], v2 offset:1568
	v_fmac_f64_e32 v[184:185], v[176:177], v[170:171]
	v_fma_f64 v[170:171], v[174:175], v[170:171], -v[172:173]
	s_wait_loadcnt_dscnt 0x900
	v_mul_f64_e32 v[176:177], v[166:167], v[10:11]
	v_mul_f64_e32 v[10:11], v[168:169], v[10:11]
	v_add_f64_e32 v[174:175], v[178:179], v[180:181]
	v_fmac_f64_e32 v[182:183], v[6:7], v[154:155]
	v_add_f64_e32 v[172:173], v[188:189], v[186:187]
	v_fma_f64 v[178:179], v[4:5], v[154:155], -v[156:157]
	ds_load_b128 v[4:7], v2 offset:1584
	ds_load_b128 v[154:157], v2 offset:1600
	v_fmac_f64_e32 v[176:177], v[168:169], v[8:9]
	v_fma_f64 v[8:9], v[166:167], v[8:9], -v[10:11]
	v_add_f64_e32 v[170:171], v[172:173], v[170:171]
	v_add_f64_e32 v[172:173], v[174:175], v[184:185]
	s_wait_loadcnt_dscnt 0x801
	v_mul_f64_e32 v[174:175], v[4:5], v[14:15]
	v_mul_f64_e32 v[14:15], v[6:7], v[14:15]
	s_wait_loadcnt_dscnt 0x700
	v_mul_f64_e32 v[168:169], v[154:155], v[128:129]
	v_mul_f64_e32 v[128:129], v[156:157], v[128:129]
	v_add_f64_e32 v[10:11], v[170:171], v[178:179]
	v_add_f64_e32 v[166:167], v[172:173], v[182:183]
	v_fmac_f64_e32 v[174:175], v[6:7], v[12:13]
	v_fma_f64 v[12:13], v[4:5], v[12:13], -v[14:15]
	v_fmac_f64_e32 v[168:169], v[156:157], v[126:127]
	v_fma_f64 v[126:127], v[154:155], v[126:127], -v[128:129]
	v_add_f64_e32 v[14:15], v[10:11], v[8:9]
	v_add_f64_e32 v[166:167], v[166:167], v[176:177]
	ds_load_b128 v[4:7], v2 offset:1616
	ds_load_b128 v[8:11], v2 offset:1632
	s_wait_loadcnt_dscnt 0x601
	v_mul_f64_e32 v[170:171], v[4:5], v[132:133]
	v_mul_f64_e32 v[132:133], v[6:7], v[132:133]
	s_wait_loadcnt_dscnt 0x500
	v_mul_f64_e32 v[128:129], v[8:9], v[136:137]
	v_mul_f64_e32 v[136:137], v[10:11], v[136:137]
	v_add_f64_e32 v[12:13], v[14:15], v[12:13]
	v_add_f64_e32 v[14:15], v[166:167], v[174:175]
	v_fmac_f64_e32 v[170:171], v[6:7], v[130:131]
	v_fma_f64 v[130:131], v[4:5], v[130:131], -v[132:133]
	v_fmac_f64_e32 v[128:129], v[10:11], v[134:135]
	v_fma_f64 v[8:9], v[8:9], v[134:135], -v[136:137]
	v_add_f64_e32 v[126:127], v[12:13], v[126:127]
	v_add_f64_e32 v[132:133], v[14:15], v[168:169]
	ds_load_b128 v[4:7], v2 offset:1648
	ds_load_b128 v[12:15], v2 offset:1664
	s_wait_loadcnt_dscnt 0x401
	v_mul_f64_e32 v[154:155], v[4:5], v[140:141]
	v_mul_f64_e32 v[140:141], v[6:7], v[140:141]
	v_add_f64_e32 v[10:11], v[126:127], v[130:131]
	v_add_f64_e32 v[126:127], v[132:133], v[170:171]
	s_wait_loadcnt_dscnt 0x300
	v_mul_f64_e32 v[130:131], v[12:13], v[144:145]
	v_mul_f64_e32 v[132:133], v[14:15], v[144:145]
	v_fmac_f64_e32 v[154:155], v[6:7], v[138:139]
	v_fma_f64 v[134:135], v[4:5], v[138:139], -v[140:141]
	v_add_f64_e32 v[136:137], v[10:11], v[8:9]
	v_add_f64_e32 v[126:127], v[126:127], v[128:129]
	ds_load_b128 v[4:7], v2 offset:1680
	ds_load_b128 v[8:11], v2 offset:1696
	v_fmac_f64_e32 v[130:131], v[14:15], v[142:143]
	v_fma_f64 v[12:13], v[12:13], v[142:143], -v[132:133]
	s_wait_loadcnt_dscnt 0x201
	v_mul_f64_e32 v[128:129], v[4:5], v[148:149]
	v_mul_f64_e32 v[138:139], v[6:7], v[148:149]
	s_wait_loadcnt_dscnt 0x100
	v_mul_f64_e32 v[132:133], v[8:9], v[152:153]
	v_add_f64_e32 v[14:15], v[136:137], v[134:135]
	v_add_f64_e32 v[126:127], v[126:127], v[154:155]
	v_mul_f64_e32 v[134:135], v[10:11], v[152:153]
	v_fmac_f64_e32 v[128:129], v[6:7], v[146:147]
	v_fma_f64 v[136:137], v[4:5], v[146:147], -v[138:139]
	ds_load_b128 v[4:7], v2 offset:1712
	v_fmac_f64_e32 v[132:133], v[10:11], v[150:151]
	v_add_f64_e32 v[12:13], v[14:15], v[12:13]
	v_add_f64_e32 v[14:15], v[126:127], v[130:131]
	v_fma_f64 v[8:9], v[8:9], v[150:151], -v[134:135]
	s_wait_loadcnt_dscnt 0x0
	v_mul_f64_e32 v[126:127], v[4:5], v[160:161]
	v_mul_f64_e32 v[130:131], v[6:7], v[160:161]
	v_add_f64_e32 v[10:11], v[12:13], v[136:137]
	v_add_f64_e32 v[12:13], v[14:15], v[128:129]
	s_delay_alu instid0(VALU_DEP_4) | instskip(NEXT) | instid1(VALU_DEP_4)
	v_fmac_f64_e32 v[126:127], v[6:7], v[158:159]
	v_fma_f64 v[4:5], v[4:5], v[158:159], -v[130:131]
	s_delay_alu instid0(VALU_DEP_4) | instskip(NEXT) | instid1(VALU_DEP_4)
	v_add_f64_e32 v[6:7], v[10:11], v[8:9]
	v_add_f64_e32 v[8:9], v[12:13], v[132:133]
	s_delay_alu instid0(VALU_DEP_2) | instskip(NEXT) | instid1(VALU_DEP_2)
	v_add_f64_e32 v[4:5], v[6:7], v[4:5]
	v_add_f64_e32 v[6:7], v[8:9], v[126:127]
	s_delay_alu instid0(VALU_DEP_2) | instskip(NEXT) | instid1(VALU_DEP_2)
	v_add_f64_e64 v[4:5], v[162:163], -v[4:5]
	v_add_f64_e64 v[6:7], v[164:165], -v[6:7]
	scratch_store_b128 off, v[4:7], off offset:288
	s_wait_xcnt 0x0
	v_cmpx_lt_u32_e32 17, v1
	s_cbranch_execz .LBB117_303
; %bb.302:
	scratch_load_b128 v[6:9], off, s53
	v_dual_mov_b32 v3, v2 :: v_dual_mov_b32 v4, v2
	v_mov_b32_e32 v5, v2
	scratch_store_b128 off, v[2:5], off offset:272
	s_wait_loadcnt 0x0
	ds_store_b128 v124, v[6:9]
.LBB117_303:
	s_wait_xcnt 0x0
	s_or_b32 exec_lo, exec_lo, s2
	s_wait_storecnt_dscnt 0x0
	s_barrier_signal -1
	s_barrier_wait -1
	s_clause 0x9
	scratch_load_b128 v[4:7], off, off offset:288
	scratch_load_b128 v[8:11], off, off offset:304
	;; [unrolled: 1-line block ×10, first 2 shown]
	ds_load_b128 v[154:157], v2 offset:1152
	ds_load_b128 v[162:165], v2 offset:1168
	s_clause 0x2
	scratch_load_b128 v[158:161], off, off offset:448
	scratch_load_b128 v[166:169], off, off offset:272
	;; [unrolled: 1-line block ×3, first 2 shown]
	s_mov_b32 s2, exec_lo
	s_wait_loadcnt_dscnt 0xc01
	v_mul_f64_e32 v[174:175], v[156:157], v[6:7]
	v_mul_f64_e32 v[178:179], v[154:155], v[6:7]
	s_wait_loadcnt_dscnt 0xb00
	v_mul_f64_e32 v[180:181], v[162:163], v[10:11]
	v_mul_f64_e32 v[10:11], v[164:165], v[10:11]
	s_delay_alu instid0(VALU_DEP_4) | instskip(NEXT) | instid1(VALU_DEP_4)
	v_fma_f64 v[182:183], v[154:155], v[4:5], -v[174:175]
	v_fmac_f64_e32 v[178:179], v[156:157], v[4:5]
	ds_load_b128 v[4:7], v2 offset:1184
	ds_load_b128 v[154:157], v2 offset:1200
	scratch_load_b128 v[174:177], off, off offset:480
	v_fmac_f64_e32 v[180:181], v[164:165], v[8:9]
	v_fma_f64 v[162:163], v[162:163], v[8:9], -v[10:11]
	scratch_load_b128 v[8:11], off, off offset:496
	s_wait_loadcnt_dscnt 0xc01
	v_mul_f64_e32 v[184:185], v[4:5], v[14:15]
	v_mul_f64_e32 v[14:15], v[6:7], v[14:15]
	v_add_f64_e32 v[164:165], 0, v[182:183]
	v_add_f64_e32 v[178:179], 0, v[178:179]
	s_wait_loadcnt_dscnt 0xb00
	v_mul_f64_e32 v[182:183], v[154:155], v[128:129]
	v_mul_f64_e32 v[128:129], v[156:157], v[128:129]
	v_fmac_f64_e32 v[184:185], v[6:7], v[12:13]
	v_fma_f64 v[186:187], v[4:5], v[12:13], -v[14:15]
	ds_load_b128 v[4:7], v2 offset:1216
	ds_load_b128 v[12:15], v2 offset:1232
	v_add_f64_e32 v[188:189], v[164:165], v[162:163]
	v_add_f64_e32 v[178:179], v[178:179], v[180:181]
	scratch_load_b128 v[162:165], off, off offset:512
	v_fmac_f64_e32 v[182:183], v[156:157], v[126:127]
	v_fma_f64 v[154:155], v[154:155], v[126:127], -v[128:129]
	scratch_load_b128 v[126:129], off, off offset:528
	s_wait_loadcnt_dscnt 0xc01
	v_mul_f64_e32 v[180:181], v[4:5], v[132:133]
	v_mul_f64_e32 v[132:133], v[6:7], v[132:133]
	v_add_f64_e32 v[156:157], v[188:189], v[186:187]
	v_add_f64_e32 v[178:179], v[178:179], v[184:185]
	s_wait_loadcnt_dscnt 0xb00
	v_mul_f64_e32 v[184:185], v[12:13], v[136:137]
	v_mul_f64_e32 v[136:137], v[14:15], v[136:137]
	v_fmac_f64_e32 v[180:181], v[6:7], v[130:131]
	v_fma_f64 v[186:187], v[4:5], v[130:131], -v[132:133]
	ds_load_b128 v[4:7], v2 offset:1248
	ds_load_b128 v[130:133], v2 offset:1264
	v_add_f64_e32 v[188:189], v[156:157], v[154:155]
	v_add_f64_e32 v[178:179], v[178:179], v[182:183]
	scratch_load_b128 v[154:157], off, off offset:544
	s_wait_loadcnt_dscnt 0xb01
	v_mul_f64_e32 v[182:183], v[4:5], v[140:141]
	v_mul_f64_e32 v[140:141], v[6:7], v[140:141]
	v_fmac_f64_e32 v[184:185], v[14:15], v[134:135]
	v_fma_f64 v[134:135], v[12:13], v[134:135], -v[136:137]
	scratch_load_b128 v[12:15], off, off offset:560
	v_add_f64_e32 v[136:137], v[188:189], v[186:187]
	v_add_f64_e32 v[178:179], v[178:179], v[180:181]
	s_wait_loadcnt_dscnt 0xb00
	v_mul_f64_e32 v[180:181], v[130:131], v[144:145]
	v_mul_f64_e32 v[144:145], v[132:133], v[144:145]
	v_fmac_f64_e32 v[182:183], v[6:7], v[138:139]
	v_fma_f64 v[186:187], v[4:5], v[138:139], -v[140:141]
	v_add_f64_e32 v[188:189], v[136:137], v[134:135]
	v_add_f64_e32 v[178:179], v[178:179], v[184:185]
	ds_load_b128 v[4:7], v2 offset:1280
	ds_load_b128 v[134:137], v2 offset:1296
	scratch_load_b128 v[138:141], off, off offset:576
	v_fmac_f64_e32 v[180:181], v[132:133], v[142:143]
	v_fma_f64 v[142:143], v[130:131], v[142:143], -v[144:145]
	scratch_load_b128 v[130:133], off, off offset:592
	s_wait_loadcnt_dscnt 0xc01
	v_mul_f64_e32 v[184:185], v[4:5], v[148:149]
	v_mul_f64_e32 v[148:149], v[6:7], v[148:149]
	v_add_f64_e32 v[144:145], v[188:189], v[186:187]
	v_add_f64_e32 v[178:179], v[178:179], v[182:183]
	s_wait_loadcnt_dscnt 0xb00
	v_mul_f64_e32 v[182:183], v[134:135], v[152:153]
	v_mul_f64_e32 v[152:153], v[136:137], v[152:153]
	v_fmac_f64_e32 v[184:185], v[6:7], v[146:147]
	v_fma_f64 v[186:187], v[4:5], v[146:147], -v[148:149]
	v_add_f64_e32 v[188:189], v[144:145], v[142:143]
	v_add_f64_e32 v[178:179], v[178:179], v[180:181]
	ds_load_b128 v[4:7], v2 offset:1312
	ds_load_b128 v[142:145], v2 offset:1328
	scratch_load_b128 v[146:149], off, off offset:608
	v_fmac_f64_e32 v[182:183], v[136:137], v[150:151]
	v_fma_f64 v[150:151], v[134:135], v[150:151], -v[152:153]
	scratch_load_b128 v[134:137], off, off offset:624
	s_wait_loadcnt_dscnt 0xc01
	v_mul_f64_e32 v[180:181], v[4:5], v[160:161]
	v_mul_f64_e32 v[160:161], v[6:7], v[160:161]
	v_add_f64_e32 v[152:153], v[188:189], v[186:187]
	v_add_f64_e32 v[178:179], v[178:179], v[184:185]
	s_wait_loadcnt_dscnt 0xa00
	v_mul_f64_e32 v[184:185], v[142:143], v[172:173]
	v_mul_f64_e32 v[172:173], v[144:145], v[172:173]
	v_fmac_f64_e32 v[180:181], v[6:7], v[158:159]
	v_fma_f64 v[186:187], v[4:5], v[158:159], -v[160:161]
	v_add_f64_e32 v[188:189], v[152:153], v[150:151]
	v_add_f64_e32 v[178:179], v[178:179], v[182:183]
	ds_load_b128 v[4:7], v2 offset:1344
	ds_load_b128 v[150:153], v2 offset:1360
	scratch_load_b128 v[158:161], off, off offset:640
	v_fmac_f64_e32 v[184:185], v[144:145], v[170:171]
	v_fma_f64 v[170:171], v[142:143], v[170:171], -v[172:173]
	scratch_load_b128 v[142:145], off, off offset:656
	s_wait_loadcnt_dscnt 0xb01
	v_mul_f64_e32 v[182:183], v[4:5], v[176:177]
	v_mul_f64_e32 v[176:177], v[6:7], v[176:177]
	v_add_f64_e32 v[172:173], v[188:189], v[186:187]
	v_add_f64_e32 v[178:179], v[178:179], v[180:181]
	s_wait_loadcnt_dscnt 0xa00
	v_mul_f64_e32 v[180:181], v[150:151], v[10:11]
	v_mul_f64_e32 v[10:11], v[152:153], v[10:11]
	v_fmac_f64_e32 v[182:183], v[6:7], v[174:175]
	v_fma_f64 v[186:187], v[4:5], v[174:175], -v[176:177]
	v_add_f64_e32 v[188:189], v[172:173], v[170:171]
	v_add_f64_e32 v[178:179], v[178:179], v[184:185]
	ds_load_b128 v[4:7], v2 offset:1376
	ds_load_b128 v[170:173], v2 offset:1392
	scratch_load_b128 v[174:177], off, off offset:672
	v_fmac_f64_e32 v[180:181], v[152:153], v[8:9]
	v_fma_f64 v[150:151], v[150:151], v[8:9], -v[10:11]
	scratch_load_b128 v[8:11], off, off offset:688
	s_wait_loadcnt_dscnt 0xb01
	v_mul_f64_e32 v[184:185], v[4:5], v[164:165]
	v_mul_f64_e32 v[164:165], v[6:7], v[164:165]
	v_add_f64_e32 v[152:153], v[188:189], v[186:187]
	v_add_f64_e32 v[178:179], v[178:179], v[182:183]
	s_wait_loadcnt_dscnt 0xa00
	v_mul_f64_e32 v[182:183], v[170:171], v[128:129]
	v_mul_f64_e32 v[128:129], v[172:173], v[128:129]
	v_fmac_f64_e32 v[184:185], v[6:7], v[162:163]
	v_fma_f64 v[186:187], v[4:5], v[162:163], -v[164:165]
	v_add_f64_e32 v[188:189], v[152:153], v[150:151]
	v_add_f64_e32 v[178:179], v[178:179], v[180:181]
	ds_load_b128 v[4:7], v2 offset:1408
	ds_load_b128 v[150:153], v2 offset:1424
	scratch_load_b128 v[162:165], off, off offset:704
	v_fmac_f64_e32 v[182:183], v[172:173], v[126:127]
	v_fma_f64 v[170:171], v[170:171], v[126:127], -v[128:129]
	scratch_load_b128 v[126:129], off, off offset:720
	s_wait_loadcnt_dscnt 0xb01
	v_mul_f64_e32 v[180:181], v[4:5], v[156:157]
	v_mul_f64_e32 v[156:157], v[6:7], v[156:157]
	v_add_f64_e32 v[172:173], v[188:189], v[186:187]
	v_add_f64_e32 v[178:179], v[178:179], v[184:185]
	s_wait_loadcnt_dscnt 0xa00
	v_mul_f64_e32 v[184:185], v[150:151], v[14:15]
	v_mul_f64_e32 v[14:15], v[152:153], v[14:15]
	v_fmac_f64_e32 v[180:181], v[6:7], v[154:155]
	v_fma_f64 v[186:187], v[4:5], v[154:155], -v[156:157]
	ds_load_b128 v[4:7], v2 offset:1440
	ds_load_b128 v[154:157], v2 offset:1456
	v_add_f64_e32 v[188:189], v[172:173], v[170:171]
	v_add_f64_e32 v[178:179], v[178:179], v[182:183]
	scratch_load_b128 v[170:173], off, off offset:736
	v_fmac_f64_e32 v[184:185], v[152:153], v[12:13]
	v_fma_f64 v[150:151], v[150:151], v[12:13], -v[14:15]
	scratch_load_b128 v[12:15], off, off offset:752
	s_wait_loadcnt_dscnt 0xb01
	v_mul_f64_e32 v[182:183], v[4:5], v[140:141]
	v_mul_f64_e32 v[140:141], v[6:7], v[140:141]
	v_add_f64_e32 v[152:153], v[188:189], v[186:187]
	v_add_f64_e32 v[178:179], v[178:179], v[180:181]
	s_wait_loadcnt_dscnt 0xa00
	v_mul_f64_e32 v[180:181], v[154:155], v[132:133]
	v_mul_f64_e32 v[132:133], v[156:157], v[132:133]
	v_fmac_f64_e32 v[182:183], v[6:7], v[138:139]
	v_fma_f64 v[186:187], v[4:5], v[138:139], -v[140:141]
	ds_load_b128 v[4:7], v2 offset:1472
	ds_load_b128 v[138:141], v2 offset:1488
	v_add_f64_e32 v[188:189], v[152:153], v[150:151]
	v_add_f64_e32 v[178:179], v[178:179], v[184:185]
	scratch_load_b128 v[150:153], off, off offset:768
	s_wait_loadcnt_dscnt 0xa01
	v_mul_f64_e32 v[184:185], v[4:5], v[148:149]
	v_mul_f64_e32 v[148:149], v[6:7], v[148:149]
	v_fmac_f64_e32 v[180:181], v[156:157], v[130:131]
	v_fma_f64 v[154:155], v[154:155], v[130:131], -v[132:133]
	scratch_load_b128 v[130:133], off, off offset:784
	v_add_f64_e32 v[156:157], v[188:189], v[186:187]
	v_add_f64_e32 v[178:179], v[178:179], v[182:183]
	s_wait_loadcnt_dscnt 0xa00
	v_mul_f64_e32 v[182:183], v[138:139], v[136:137]
	v_mul_f64_e32 v[136:137], v[140:141], v[136:137]
	v_fmac_f64_e32 v[184:185], v[6:7], v[146:147]
	v_fma_f64 v[186:187], v[4:5], v[146:147], -v[148:149]
	ds_load_b128 v[4:7], v2 offset:1504
	ds_load_b128 v[146:149], v2 offset:1520
	v_add_f64_e32 v[188:189], v[156:157], v[154:155]
	v_add_f64_e32 v[178:179], v[178:179], v[180:181]
	scratch_load_b128 v[154:157], off, off offset:800
	s_wait_loadcnt_dscnt 0xa01
	v_mul_f64_e32 v[180:181], v[4:5], v[160:161]
	v_mul_f64_e32 v[160:161], v[6:7], v[160:161]
	v_fmac_f64_e32 v[182:183], v[140:141], v[134:135]
	v_fma_f64 v[138:139], v[138:139], v[134:135], -v[136:137]
	scratch_load_b128 v[134:137], off, off offset:816
	v_add_f64_e32 v[140:141], v[188:189], v[186:187]
	v_add_f64_e32 v[178:179], v[178:179], v[184:185]
	s_wait_loadcnt_dscnt 0xa00
	v_mul_f64_e32 v[184:185], v[146:147], v[144:145]
	v_mul_f64_e32 v[144:145], v[148:149], v[144:145]
	v_fmac_f64_e32 v[180:181], v[6:7], v[158:159]
	v_fma_f64 v[186:187], v[4:5], v[158:159], -v[160:161]
	v_add_f64_e32 v[188:189], v[140:141], v[138:139]
	v_add_f64_e32 v[178:179], v[178:179], v[182:183]
	ds_load_b128 v[4:7], v2 offset:1536
	ds_load_b128 v[138:141], v2 offset:1552
	scratch_load_b128 v[158:161], off, off offset:832
	v_fmac_f64_e32 v[184:185], v[148:149], v[142:143]
	v_fma_f64 v[146:147], v[146:147], v[142:143], -v[144:145]
	scratch_load_b128 v[142:145], off, off offset:848
	s_wait_loadcnt_dscnt 0xb01
	v_mul_f64_e32 v[182:183], v[4:5], v[176:177]
	v_mul_f64_e32 v[176:177], v[6:7], v[176:177]
	v_add_f64_e32 v[148:149], v[188:189], v[186:187]
	v_add_f64_e32 v[178:179], v[178:179], v[180:181]
	s_wait_loadcnt_dscnt 0xa00
	v_mul_f64_e32 v[180:181], v[138:139], v[10:11]
	v_mul_f64_e32 v[10:11], v[140:141], v[10:11]
	v_fmac_f64_e32 v[182:183], v[6:7], v[174:175]
	v_fma_f64 v[174:175], v[4:5], v[174:175], -v[176:177]
	v_add_f64_e32 v[176:177], v[148:149], v[146:147]
	v_add_f64_e32 v[178:179], v[178:179], v[184:185]
	ds_load_b128 v[4:7], v2 offset:1568
	ds_load_b128 v[146:149], v2 offset:1584
	v_fmac_f64_e32 v[180:181], v[140:141], v[8:9]
	v_fma_f64 v[8:9], v[138:139], v[8:9], -v[10:11]
	s_wait_loadcnt_dscnt 0x901
	v_mul_f64_e32 v[184:185], v[4:5], v[164:165]
	v_mul_f64_e32 v[164:165], v[6:7], v[164:165]
	s_wait_loadcnt_dscnt 0x800
	v_mul_f64_e32 v[140:141], v[146:147], v[128:129]
	v_mul_f64_e32 v[128:129], v[148:149], v[128:129]
	v_add_f64_e32 v[10:11], v[176:177], v[174:175]
	v_add_f64_e32 v[138:139], v[178:179], v[182:183]
	v_fmac_f64_e32 v[184:185], v[6:7], v[162:163]
	v_fma_f64 v[162:163], v[4:5], v[162:163], -v[164:165]
	v_fmac_f64_e32 v[140:141], v[148:149], v[126:127]
	v_fma_f64 v[126:127], v[146:147], v[126:127], -v[128:129]
	v_add_f64_e32 v[164:165], v[10:11], v[8:9]
	v_add_f64_e32 v[138:139], v[138:139], v[180:181]
	ds_load_b128 v[4:7], v2 offset:1600
	ds_load_b128 v[8:11], v2 offset:1616
	s_wait_loadcnt_dscnt 0x701
	v_mul_f64_e32 v[174:175], v[4:5], v[172:173]
	v_mul_f64_e32 v[172:173], v[6:7], v[172:173]
	s_wait_loadcnt_dscnt 0x600
	v_mul_f64_e32 v[146:147], v[8:9], v[14:15]
	v_mul_f64_e32 v[14:15], v[10:11], v[14:15]
	v_add_f64_e32 v[128:129], v[164:165], v[162:163]
	v_add_f64_e32 v[138:139], v[138:139], v[184:185]
	v_fmac_f64_e32 v[174:175], v[6:7], v[170:171]
	v_fma_f64 v[148:149], v[4:5], v[170:171], -v[172:173]
	v_fmac_f64_e32 v[146:147], v[10:11], v[12:13]
	v_fma_f64 v[8:9], v[8:9], v[12:13], -v[14:15]
	v_add_f64_e32 v[162:163], v[128:129], v[126:127]
	v_add_f64_e32 v[138:139], v[138:139], v[140:141]
	ds_load_b128 v[4:7], v2 offset:1632
	ds_load_b128 v[126:129], v2 offset:1648
	;; [unrolled: 16-line block ×4, first 2 shown]
	s_wait_loadcnt_dscnt 0x101
	v_mul_f64_e32 v[2:3], v[4:5], v[160:161]
	v_mul_f64_e32 v[138:139], v[6:7], v[160:161]
	s_wait_loadcnt_dscnt 0x0
	v_mul_f64_e32 v[132:133], v[14:15], v[144:145]
	v_add_f64_e32 v[10:11], v[126:127], v[136:137]
	v_add_f64_e32 v[126:127], v[128:129], v[146:147]
	v_mul_f64_e32 v[128:129], v[12:13], v[144:145]
	v_fmac_f64_e32 v[2:3], v[6:7], v[158:159]
	v_fma_f64 v[4:5], v[4:5], v[158:159], -v[138:139]
	v_add_f64_e32 v[6:7], v[10:11], v[8:9]
	v_add_f64_e32 v[8:9], v[126:127], v[130:131]
	v_fmac_f64_e32 v[128:129], v[14:15], v[142:143]
	v_fma_f64 v[10:11], v[12:13], v[142:143], -v[132:133]
	s_delay_alu instid0(VALU_DEP_4) | instskip(NEXT) | instid1(VALU_DEP_4)
	v_add_f64_e32 v[4:5], v[6:7], v[4:5]
	v_add_f64_e32 v[2:3], v[8:9], v[2:3]
	s_delay_alu instid0(VALU_DEP_2) | instskip(NEXT) | instid1(VALU_DEP_2)
	v_add_f64_e32 v[4:5], v[4:5], v[10:11]
	v_add_f64_e32 v[6:7], v[2:3], v[128:129]
	s_delay_alu instid0(VALU_DEP_2) | instskip(NEXT) | instid1(VALU_DEP_2)
	v_add_f64_e64 v[2:3], v[166:167], -v[4:5]
	v_add_f64_e64 v[4:5], v[168:169], -v[6:7]
	scratch_store_b128 off, v[2:5], off offset:272
	s_wait_xcnt 0x0
	v_cmpx_lt_u32_e32 16, v1
	s_cbranch_execz .LBB117_305
; %bb.304:
	scratch_load_b128 v[2:5], off, s54
	v_mov_b32_e32 v6, 0
	s_delay_alu instid0(VALU_DEP_1)
	v_dual_mov_b32 v7, v6 :: v_dual_mov_b32 v8, v6
	v_mov_b32_e32 v9, v6
	scratch_store_b128 off, v[6:9], off offset:256
	s_wait_loadcnt 0x0
	ds_store_b128 v124, v[2:5]
.LBB117_305:
	s_wait_xcnt 0x0
	s_or_b32 exec_lo, exec_lo, s2
	s_wait_storecnt_dscnt 0x0
	s_barrier_signal -1
	s_barrier_wait -1
	s_clause 0x9
	scratch_load_b128 v[4:7], off, off offset:272
	scratch_load_b128 v[8:11], off, off offset:288
	;; [unrolled: 1-line block ×10, first 2 shown]
	v_mov_b32_e32 v2, 0
	s_mov_b32 s2, exec_lo
	ds_load_b128 v[154:157], v2 offset:1136
	s_clause 0x2
	scratch_load_b128 v[158:161], off, off offset:432
	scratch_load_b128 v[162:165], off, off offset:256
	;; [unrolled: 1-line block ×3, first 2 shown]
	s_wait_loadcnt_dscnt 0xc00
	v_mul_f64_e32 v[174:175], v[156:157], v[6:7]
	v_mul_f64_e32 v[178:179], v[154:155], v[6:7]
	ds_load_b128 v[166:169], v2 offset:1152
	v_fma_f64 v[182:183], v[154:155], v[4:5], -v[174:175]
	v_fmac_f64_e32 v[178:179], v[156:157], v[4:5]
	ds_load_b128 v[4:7], v2 offset:1168
	s_wait_loadcnt_dscnt 0xb01
	v_mul_f64_e32 v[180:181], v[166:167], v[10:11]
	v_mul_f64_e32 v[10:11], v[168:169], v[10:11]
	scratch_load_b128 v[154:157], off, off offset:464
	ds_load_b128 v[174:177], v2 offset:1184
	s_wait_loadcnt_dscnt 0xb01
	v_mul_f64_e32 v[184:185], v[4:5], v[14:15]
	v_mul_f64_e32 v[14:15], v[6:7], v[14:15]
	v_add_f64_e32 v[178:179], 0, v[178:179]
	v_fmac_f64_e32 v[180:181], v[168:169], v[8:9]
	v_fma_f64 v[166:167], v[166:167], v[8:9], -v[10:11]
	v_add_f64_e32 v[168:169], 0, v[182:183]
	scratch_load_b128 v[8:11], off, off offset:480
	v_fmac_f64_e32 v[184:185], v[6:7], v[12:13]
	v_fma_f64 v[186:187], v[4:5], v[12:13], -v[14:15]
	ds_load_b128 v[4:7], v2 offset:1200
	s_wait_loadcnt_dscnt 0xb01
	v_mul_f64_e32 v[182:183], v[174:175], v[128:129]
	v_mul_f64_e32 v[128:129], v[176:177], v[128:129]
	scratch_load_b128 v[12:15], off, off offset:496
	v_add_f64_e32 v[178:179], v[178:179], v[180:181]
	v_add_f64_e32 v[188:189], v[168:169], v[166:167]
	ds_load_b128 v[166:169], v2 offset:1216
	s_wait_loadcnt_dscnt 0xb01
	v_mul_f64_e32 v[180:181], v[4:5], v[132:133]
	v_mul_f64_e32 v[132:133], v[6:7], v[132:133]
	v_fmac_f64_e32 v[182:183], v[176:177], v[126:127]
	v_fma_f64 v[174:175], v[174:175], v[126:127], -v[128:129]
	scratch_load_b128 v[126:129], off, off offset:512
	v_add_f64_e32 v[178:179], v[178:179], v[184:185]
	v_add_f64_e32 v[176:177], v[188:189], v[186:187]
	v_fmac_f64_e32 v[180:181], v[6:7], v[130:131]
	v_fma_f64 v[186:187], v[4:5], v[130:131], -v[132:133]
	ds_load_b128 v[4:7], v2 offset:1232
	s_wait_loadcnt_dscnt 0xb01
	v_mul_f64_e32 v[184:185], v[166:167], v[136:137]
	v_mul_f64_e32 v[136:137], v[168:169], v[136:137]
	scratch_load_b128 v[130:133], off, off offset:528
	v_add_f64_e32 v[178:179], v[178:179], v[182:183]
	s_wait_loadcnt_dscnt 0xb00
	v_mul_f64_e32 v[182:183], v[4:5], v[140:141]
	v_add_f64_e32 v[188:189], v[176:177], v[174:175]
	v_mul_f64_e32 v[140:141], v[6:7], v[140:141]
	ds_load_b128 v[174:177], v2 offset:1248
	v_fmac_f64_e32 v[184:185], v[168:169], v[134:135]
	v_fma_f64 v[166:167], v[166:167], v[134:135], -v[136:137]
	scratch_load_b128 v[134:137], off, off offset:544
	v_add_f64_e32 v[178:179], v[178:179], v[180:181]
	v_fmac_f64_e32 v[182:183], v[6:7], v[138:139]
	v_add_f64_e32 v[168:169], v[188:189], v[186:187]
	v_fma_f64 v[186:187], v[4:5], v[138:139], -v[140:141]
	ds_load_b128 v[4:7], v2 offset:1264
	s_wait_loadcnt_dscnt 0xb01
	v_mul_f64_e32 v[180:181], v[174:175], v[144:145]
	v_mul_f64_e32 v[144:145], v[176:177], v[144:145]
	scratch_load_b128 v[138:141], off, off offset:560
	v_add_f64_e32 v[178:179], v[178:179], v[184:185]
	s_wait_loadcnt_dscnt 0xb00
	v_mul_f64_e32 v[184:185], v[4:5], v[148:149]
	v_add_f64_e32 v[188:189], v[168:169], v[166:167]
	v_mul_f64_e32 v[148:149], v[6:7], v[148:149]
	ds_load_b128 v[166:169], v2 offset:1280
	v_fmac_f64_e32 v[180:181], v[176:177], v[142:143]
	v_fma_f64 v[174:175], v[174:175], v[142:143], -v[144:145]
	scratch_load_b128 v[142:145], off, off offset:576
	v_add_f64_e32 v[178:179], v[178:179], v[182:183]
	v_fmac_f64_e32 v[184:185], v[6:7], v[146:147]
	v_add_f64_e32 v[176:177], v[188:189], v[186:187]
	v_fma_f64 v[186:187], v[4:5], v[146:147], -v[148:149]
	ds_load_b128 v[4:7], v2 offset:1296
	s_wait_loadcnt_dscnt 0xb01
	v_mul_f64_e32 v[182:183], v[166:167], v[152:153]
	v_mul_f64_e32 v[152:153], v[168:169], v[152:153]
	scratch_load_b128 v[146:149], off, off offset:592
	v_add_f64_e32 v[178:179], v[178:179], v[180:181]
	s_wait_loadcnt_dscnt 0xb00
	v_mul_f64_e32 v[180:181], v[4:5], v[160:161]
	v_add_f64_e32 v[188:189], v[176:177], v[174:175]
	v_mul_f64_e32 v[160:161], v[6:7], v[160:161]
	ds_load_b128 v[174:177], v2 offset:1312
	v_fmac_f64_e32 v[182:183], v[168:169], v[150:151]
	v_fma_f64 v[166:167], v[166:167], v[150:151], -v[152:153]
	scratch_load_b128 v[150:153], off, off offset:608
	v_add_f64_e32 v[178:179], v[178:179], v[184:185]
	v_fmac_f64_e32 v[180:181], v[6:7], v[158:159]
	v_add_f64_e32 v[168:169], v[188:189], v[186:187]
	v_fma_f64 v[186:187], v[4:5], v[158:159], -v[160:161]
	ds_load_b128 v[4:7], v2 offset:1328
	s_wait_loadcnt_dscnt 0xa01
	v_mul_f64_e32 v[184:185], v[174:175], v[172:173]
	v_mul_f64_e32 v[172:173], v[176:177], v[172:173]
	scratch_load_b128 v[158:161], off, off offset:624
	v_add_f64_e32 v[178:179], v[178:179], v[182:183]
	v_add_f64_e32 v[188:189], v[168:169], v[166:167]
	s_wait_loadcnt_dscnt 0xa00
	v_mul_f64_e32 v[182:183], v[4:5], v[156:157]
	v_mul_f64_e32 v[156:157], v[6:7], v[156:157]
	v_fmac_f64_e32 v[184:185], v[176:177], v[170:171]
	v_fma_f64 v[174:175], v[174:175], v[170:171], -v[172:173]
	ds_load_b128 v[166:169], v2 offset:1344
	scratch_load_b128 v[170:173], off, off offset:640
	v_add_f64_e32 v[178:179], v[178:179], v[180:181]
	v_add_f64_e32 v[176:177], v[188:189], v[186:187]
	v_fmac_f64_e32 v[182:183], v[6:7], v[154:155]
	v_fma_f64 v[186:187], v[4:5], v[154:155], -v[156:157]
	ds_load_b128 v[4:7], v2 offset:1360
	s_wait_loadcnt_dscnt 0xa01
	v_mul_f64_e32 v[180:181], v[166:167], v[10:11]
	v_mul_f64_e32 v[10:11], v[168:169], v[10:11]
	scratch_load_b128 v[154:157], off, off offset:656
	v_add_f64_e32 v[178:179], v[178:179], v[184:185]
	s_wait_loadcnt_dscnt 0xa00
	v_mul_f64_e32 v[184:185], v[4:5], v[14:15]
	v_add_f64_e32 v[188:189], v[176:177], v[174:175]
	v_mul_f64_e32 v[14:15], v[6:7], v[14:15]
	ds_load_b128 v[174:177], v2 offset:1376
	v_fmac_f64_e32 v[180:181], v[168:169], v[8:9]
	v_fma_f64 v[166:167], v[166:167], v[8:9], -v[10:11]
	scratch_load_b128 v[8:11], off, off offset:672
	v_add_f64_e32 v[178:179], v[178:179], v[182:183]
	v_fmac_f64_e32 v[184:185], v[6:7], v[12:13]
	v_add_f64_e32 v[168:169], v[188:189], v[186:187]
	v_fma_f64 v[186:187], v[4:5], v[12:13], -v[14:15]
	ds_load_b128 v[4:7], v2 offset:1392
	s_wait_loadcnt_dscnt 0xa01
	v_mul_f64_e32 v[182:183], v[174:175], v[128:129]
	v_mul_f64_e32 v[128:129], v[176:177], v[128:129]
	scratch_load_b128 v[12:15], off, off offset:688
	v_add_f64_e32 v[178:179], v[178:179], v[180:181]
	s_wait_loadcnt_dscnt 0xa00
	v_mul_f64_e32 v[180:181], v[4:5], v[132:133]
	v_add_f64_e32 v[188:189], v[168:169], v[166:167]
	v_mul_f64_e32 v[132:133], v[6:7], v[132:133]
	ds_load_b128 v[166:169], v2 offset:1408
	v_fmac_f64_e32 v[182:183], v[176:177], v[126:127]
	v_fma_f64 v[174:175], v[174:175], v[126:127], -v[128:129]
	scratch_load_b128 v[126:129], off, off offset:704
	v_add_f64_e32 v[178:179], v[178:179], v[184:185]
	v_fmac_f64_e32 v[180:181], v[6:7], v[130:131]
	v_add_f64_e32 v[176:177], v[188:189], v[186:187]
	;; [unrolled: 18-line block ×6, first 2 shown]
	v_fma_f64 v[186:187], v[4:5], v[154:155], -v[156:157]
	ds_load_b128 v[4:7], v2 offset:1552
	s_wait_loadcnt_dscnt 0xa01
	v_mul_f64_e32 v[180:181], v[166:167], v[10:11]
	v_mul_f64_e32 v[10:11], v[168:169], v[10:11]
	scratch_load_b128 v[154:157], off, off offset:848
	v_add_f64_e32 v[178:179], v[178:179], v[184:185]
	s_wait_loadcnt_dscnt 0xa00
	v_mul_f64_e32 v[184:185], v[4:5], v[14:15]
	v_add_f64_e32 v[188:189], v[176:177], v[174:175]
	v_mul_f64_e32 v[14:15], v[6:7], v[14:15]
	ds_load_b128 v[174:177], v2 offset:1568
	v_fmac_f64_e32 v[180:181], v[168:169], v[8:9]
	v_fma_f64 v[8:9], v[166:167], v[8:9], -v[10:11]
	s_wait_loadcnt_dscnt 0x900
	v_mul_f64_e32 v[168:169], v[174:175], v[128:129]
	v_mul_f64_e32 v[128:129], v[176:177], v[128:129]
	v_add_f64_e32 v[166:167], v[178:179], v[182:183]
	v_fmac_f64_e32 v[184:185], v[6:7], v[12:13]
	v_add_f64_e32 v[10:11], v[188:189], v[186:187]
	v_fma_f64 v[12:13], v[4:5], v[12:13], -v[14:15]
	v_fmac_f64_e32 v[168:169], v[176:177], v[126:127]
	v_fma_f64 v[126:127], v[174:175], v[126:127], -v[128:129]
	v_add_f64_e32 v[166:167], v[166:167], v[180:181]
	v_add_f64_e32 v[14:15], v[10:11], v[8:9]
	ds_load_b128 v[4:7], v2 offset:1584
	ds_load_b128 v[8:11], v2 offset:1600
	s_wait_loadcnt_dscnt 0x801
	v_mul_f64_e32 v[178:179], v[4:5], v[132:133]
	v_mul_f64_e32 v[132:133], v[6:7], v[132:133]
	s_wait_loadcnt_dscnt 0x700
	v_mul_f64_e32 v[128:129], v[8:9], v[136:137]
	v_mul_f64_e32 v[136:137], v[10:11], v[136:137]
	v_add_f64_e32 v[12:13], v[14:15], v[12:13]
	v_add_f64_e32 v[14:15], v[166:167], v[184:185]
	v_fmac_f64_e32 v[178:179], v[6:7], v[130:131]
	v_fma_f64 v[130:131], v[4:5], v[130:131], -v[132:133]
	v_fmac_f64_e32 v[128:129], v[10:11], v[134:135]
	v_fma_f64 v[8:9], v[8:9], v[134:135], -v[136:137]
	v_add_f64_e32 v[126:127], v[12:13], v[126:127]
	v_add_f64_e32 v[132:133], v[14:15], v[168:169]
	ds_load_b128 v[4:7], v2 offset:1616
	ds_load_b128 v[12:15], v2 offset:1632
	s_wait_loadcnt_dscnt 0x601
	v_mul_f64_e32 v[166:167], v[4:5], v[140:141]
	v_mul_f64_e32 v[140:141], v[6:7], v[140:141]
	v_add_f64_e32 v[10:11], v[126:127], v[130:131]
	v_add_f64_e32 v[126:127], v[132:133], v[178:179]
	s_wait_loadcnt_dscnt 0x500
	v_mul_f64_e32 v[130:131], v[12:13], v[144:145]
	v_mul_f64_e32 v[132:133], v[14:15], v[144:145]
	v_fmac_f64_e32 v[166:167], v[6:7], v[138:139]
	v_fma_f64 v[134:135], v[4:5], v[138:139], -v[140:141]
	v_add_f64_e32 v[136:137], v[10:11], v[8:9]
	v_add_f64_e32 v[126:127], v[126:127], v[128:129]
	ds_load_b128 v[4:7], v2 offset:1648
	ds_load_b128 v[8:11], v2 offset:1664
	v_fmac_f64_e32 v[130:131], v[14:15], v[142:143]
	v_fma_f64 v[12:13], v[12:13], v[142:143], -v[132:133]
	s_wait_loadcnt_dscnt 0x401
	v_mul_f64_e32 v[128:129], v[4:5], v[148:149]
	v_mul_f64_e32 v[138:139], v[6:7], v[148:149]
	s_wait_loadcnt_dscnt 0x300
	v_mul_f64_e32 v[132:133], v[8:9], v[152:153]
	v_add_f64_e32 v[14:15], v[136:137], v[134:135]
	v_add_f64_e32 v[126:127], v[126:127], v[166:167]
	v_mul_f64_e32 v[134:135], v[10:11], v[152:153]
	v_fmac_f64_e32 v[128:129], v[6:7], v[146:147]
	v_fma_f64 v[136:137], v[4:5], v[146:147], -v[138:139]
	v_fmac_f64_e32 v[132:133], v[10:11], v[150:151]
	v_add_f64_e32 v[138:139], v[14:15], v[12:13]
	v_add_f64_e32 v[126:127], v[126:127], v[130:131]
	ds_load_b128 v[4:7], v2 offset:1680
	ds_load_b128 v[12:15], v2 offset:1696
	v_fma_f64 v[8:9], v[8:9], v[150:151], -v[134:135]
	s_wait_loadcnt_dscnt 0x201
	v_mul_f64_e32 v[130:131], v[4:5], v[160:161]
	v_mul_f64_e32 v[140:141], v[6:7], v[160:161]
	s_wait_loadcnt_dscnt 0x100
	v_mul_f64_e32 v[134:135], v[14:15], v[172:173]
	v_add_f64_e32 v[10:11], v[138:139], v[136:137]
	v_add_f64_e32 v[126:127], v[126:127], v[128:129]
	v_mul_f64_e32 v[128:129], v[12:13], v[172:173]
	v_fmac_f64_e32 v[130:131], v[6:7], v[158:159]
	v_fma_f64 v[136:137], v[4:5], v[158:159], -v[140:141]
	ds_load_b128 v[4:7], v2 offset:1712
	v_fma_f64 v[12:13], v[12:13], v[170:171], -v[134:135]
	v_add_f64_e32 v[8:9], v[10:11], v[8:9]
	v_add_f64_e32 v[10:11], v[126:127], v[132:133]
	v_fmac_f64_e32 v[128:129], v[14:15], v[170:171]
	s_wait_loadcnt_dscnt 0x0
	v_mul_f64_e32 v[126:127], v[4:5], v[156:157]
	v_mul_f64_e32 v[132:133], v[6:7], v[156:157]
	v_add_f64_e32 v[8:9], v[8:9], v[136:137]
	v_add_f64_e32 v[10:11], v[10:11], v[130:131]
	s_delay_alu instid0(VALU_DEP_4) | instskip(NEXT) | instid1(VALU_DEP_4)
	v_fmac_f64_e32 v[126:127], v[6:7], v[154:155]
	v_fma_f64 v[4:5], v[4:5], v[154:155], -v[132:133]
	s_delay_alu instid0(VALU_DEP_4) | instskip(NEXT) | instid1(VALU_DEP_4)
	v_add_f64_e32 v[6:7], v[8:9], v[12:13]
	v_add_f64_e32 v[8:9], v[10:11], v[128:129]
	s_delay_alu instid0(VALU_DEP_2) | instskip(NEXT) | instid1(VALU_DEP_2)
	v_add_f64_e32 v[4:5], v[6:7], v[4:5]
	v_add_f64_e32 v[6:7], v[8:9], v[126:127]
	s_delay_alu instid0(VALU_DEP_2) | instskip(NEXT) | instid1(VALU_DEP_2)
	v_add_f64_e64 v[4:5], v[162:163], -v[4:5]
	v_add_f64_e64 v[6:7], v[164:165], -v[6:7]
	scratch_store_b128 off, v[4:7], off offset:256
	s_wait_xcnt 0x0
	v_cmpx_lt_u32_e32 15, v1
	s_cbranch_execz .LBB117_307
; %bb.306:
	scratch_load_b128 v[6:9], off, s55
	v_dual_mov_b32 v3, v2 :: v_dual_mov_b32 v4, v2
	v_mov_b32_e32 v5, v2
	scratch_store_b128 off, v[2:5], off offset:240
	s_wait_loadcnt 0x0
	ds_store_b128 v124, v[6:9]
.LBB117_307:
	s_wait_xcnt 0x0
	s_or_b32 exec_lo, exec_lo, s2
	s_wait_storecnt_dscnt 0x0
	s_barrier_signal -1
	s_barrier_wait -1
	s_clause 0x9
	scratch_load_b128 v[4:7], off, off offset:256
	scratch_load_b128 v[8:11], off, off offset:272
	;; [unrolled: 1-line block ×10, first 2 shown]
	ds_load_b128 v[154:157], v2 offset:1120
	ds_load_b128 v[162:165], v2 offset:1136
	s_clause 0x2
	scratch_load_b128 v[158:161], off, off offset:416
	scratch_load_b128 v[166:169], off, off offset:240
	scratch_load_b128 v[170:173], off, off offset:432
	s_mov_b32 s2, exec_lo
	s_wait_loadcnt_dscnt 0xc01
	v_mul_f64_e32 v[174:175], v[156:157], v[6:7]
	v_mul_f64_e32 v[178:179], v[154:155], v[6:7]
	s_wait_loadcnt_dscnt 0xb00
	v_mul_f64_e32 v[180:181], v[162:163], v[10:11]
	v_mul_f64_e32 v[10:11], v[164:165], v[10:11]
	s_delay_alu instid0(VALU_DEP_4) | instskip(NEXT) | instid1(VALU_DEP_4)
	v_fma_f64 v[182:183], v[154:155], v[4:5], -v[174:175]
	v_fmac_f64_e32 v[178:179], v[156:157], v[4:5]
	ds_load_b128 v[4:7], v2 offset:1152
	ds_load_b128 v[154:157], v2 offset:1168
	scratch_load_b128 v[174:177], off, off offset:448
	v_fmac_f64_e32 v[180:181], v[164:165], v[8:9]
	v_fma_f64 v[162:163], v[162:163], v[8:9], -v[10:11]
	scratch_load_b128 v[8:11], off, off offset:464
	s_wait_loadcnt_dscnt 0xc01
	v_mul_f64_e32 v[184:185], v[4:5], v[14:15]
	v_mul_f64_e32 v[14:15], v[6:7], v[14:15]
	v_add_f64_e32 v[164:165], 0, v[182:183]
	v_add_f64_e32 v[178:179], 0, v[178:179]
	s_wait_loadcnt_dscnt 0xb00
	v_mul_f64_e32 v[182:183], v[154:155], v[128:129]
	v_mul_f64_e32 v[128:129], v[156:157], v[128:129]
	v_fmac_f64_e32 v[184:185], v[6:7], v[12:13]
	v_fma_f64 v[186:187], v[4:5], v[12:13], -v[14:15]
	ds_load_b128 v[4:7], v2 offset:1184
	ds_load_b128 v[12:15], v2 offset:1200
	v_add_f64_e32 v[188:189], v[164:165], v[162:163]
	v_add_f64_e32 v[178:179], v[178:179], v[180:181]
	scratch_load_b128 v[162:165], off, off offset:480
	v_fmac_f64_e32 v[182:183], v[156:157], v[126:127]
	v_fma_f64 v[154:155], v[154:155], v[126:127], -v[128:129]
	scratch_load_b128 v[126:129], off, off offset:496
	s_wait_loadcnt_dscnt 0xc01
	v_mul_f64_e32 v[180:181], v[4:5], v[132:133]
	v_mul_f64_e32 v[132:133], v[6:7], v[132:133]
	v_add_f64_e32 v[156:157], v[188:189], v[186:187]
	v_add_f64_e32 v[178:179], v[178:179], v[184:185]
	s_wait_loadcnt_dscnt 0xb00
	v_mul_f64_e32 v[184:185], v[12:13], v[136:137]
	v_mul_f64_e32 v[136:137], v[14:15], v[136:137]
	v_fmac_f64_e32 v[180:181], v[6:7], v[130:131]
	v_fma_f64 v[186:187], v[4:5], v[130:131], -v[132:133]
	ds_load_b128 v[4:7], v2 offset:1216
	ds_load_b128 v[130:133], v2 offset:1232
	v_add_f64_e32 v[188:189], v[156:157], v[154:155]
	v_add_f64_e32 v[178:179], v[178:179], v[182:183]
	scratch_load_b128 v[154:157], off, off offset:512
	s_wait_loadcnt_dscnt 0xb01
	v_mul_f64_e32 v[182:183], v[4:5], v[140:141]
	v_mul_f64_e32 v[140:141], v[6:7], v[140:141]
	v_fmac_f64_e32 v[184:185], v[14:15], v[134:135]
	v_fma_f64 v[134:135], v[12:13], v[134:135], -v[136:137]
	scratch_load_b128 v[12:15], off, off offset:528
	v_add_f64_e32 v[136:137], v[188:189], v[186:187]
	v_add_f64_e32 v[178:179], v[178:179], v[180:181]
	s_wait_loadcnt_dscnt 0xb00
	v_mul_f64_e32 v[180:181], v[130:131], v[144:145]
	v_mul_f64_e32 v[144:145], v[132:133], v[144:145]
	v_fmac_f64_e32 v[182:183], v[6:7], v[138:139]
	v_fma_f64 v[186:187], v[4:5], v[138:139], -v[140:141]
	v_add_f64_e32 v[188:189], v[136:137], v[134:135]
	v_add_f64_e32 v[178:179], v[178:179], v[184:185]
	ds_load_b128 v[4:7], v2 offset:1248
	ds_load_b128 v[134:137], v2 offset:1264
	scratch_load_b128 v[138:141], off, off offset:544
	v_fmac_f64_e32 v[180:181], v[132:133], v[142:143]
	v_fma_f64 v[142:143], v[130:131], v[142:143], -v[144:145]
	scratch_load_b128 v[130:133], off, off offset:560
	s_wait_loadcnt_dscnt 0xc01
	v_mul_f64_e32 v[184:185], v[4:5], v[148:149]
	v_mul_f64_e32 v[148:149], v[6:7], v[148:149]
	v_add_f64_e32 v[144:145], v[188:189], v[186:187]
	v_add_f64_e32 v[178:179], v[178:179], v[182:183]
	s_wait_loadcnt_dscnt 0xb00
	v_mul_f64_e32 v[182:183], v[134:135], v[152:153]
	v_mul_f64_e32 v[152:153], v[136:137], v[152:153]
	v_fmac_f64_e32 v[184:185], v[6:7], v[146:147]
	v_fma_f64 v[186:187], v[4:5], v[146:147], -v[148:149]
	v_add_f64_e32 v[188:189], v[144:145], v[142:143]
	v_add_f64_e32 v[178:179], v[178:179], v[180:181]
	ds_load_b128 v[4:7], v2 offset:1280
	ds_load_b128 v[142:145], v2 offset:1296
	scratch_load_b128 v[146:149], off, off offset:576
	v_fmac_f64_e32 v[182:183], v[136:137], v[150:151]
	v_fma_f64 v[150:151], v[134:135], v[150:151], -v[152:153]
	scratch_load_b128 v[134:137], off, off offset:592
	s_wait_loadcnt_dscnt 0xc01
	v_mul_f64_e32 v[180:181], v[4:5], v[160:161]
	v_mul_f64_e32 v[160:161], v[6:7], v[160:161]
	;; [unrolled: 18-line block ×5, first 2 shown]
	v_add_f64_e32 v[172:173], v[188:189], v[186:187]
	v_add_f64_e32 v[178:179], v[178:179], v[184:185]
	s_wait_loadcnt_dscnt 0xa00
	v_mul_f64_e32 v[184:185], v[150:151], v[14:15]
	v_mul_f64_e32 v[14:15], v[152:153], v[14:15]
	v_fmac_f64_e32 v[180:181], v[6:7], v[154:155]
	v_fma_f64 v[186:187], v[4:5], v[154:155], -v[156:157]
	ds_load_b128 v[4:7], v2 offset:1408
	ds_load_b128 v[154:157], v2 offset:1424
	v_add_f64_e32 v[188:189], v[172:173], v[170:171]
	v_add_f64_e32 v[178:179], v[178:179], v[182:183]
	scratch_load_b128 v[170:173], off, off offset:704
	v_fmac_f64_e32 v[184:185], v[152:153], v[12:13]
	v_fma_f64 v[150:151], v[150:151], v[12:13], -v[14:15]
	scratch_load_b128 v[12:15], off, off offset:720
	s_wait_loadcnt_dscnt 0xb01
	v_mul_f64_e32 v[182:183], v[4:5], v[140:141]
	v_mul_f64_e32 v[140:141], v[6:7], v[140:141]
	v_add_f64_e32 v[152:153], v[188:189], v[186:187]
	v_add_f64_e32 v[178:179], v[178:179], v[180:181]
	s_wait_loadcnt_dscnt 0xa00
	v_mul_f64_e32 v[180:181], v[154:155], v[132:133]
	v_mul_f64_e32 v[132:133], v[156:157], v[132:133]
	v_fmac_f64_e32 v[182:183], v[6:7], v[138:139]
	v_fma_f64 v[186:187], v[4:5], v[138:139], -v[140:141]
	ds_load_b128 v[4:7], v2 offset:1440
	ds_load_b128 v[138:141], v2 offset:1456
	v_add_f64_e32 v[188:189], v[152:153], v[150:151]
	v_add_f64_e32 v[178:179], v[178:179], v[184:185]
	scratch_load_b128 v[150:153], off, off offset:736
	s_wait_loadcnt_dscnt 0xa01
	v_mul_f64_e32 v[184:185], v[4:5], v[148:149]
	v_mul_f64_e32 v[148:149], v[6:7], v[148:149]
	v_fmac_f64_e32 v[180:181], v[156:157], v[130:131]
	v_fma_f64 v[154:155], v[154:155], v[130:131], -v[132:133]
	scratch_load_b128 v[130:133], off, off offset:752
	v_add_f64_e32 v[156:157], v[188:189], v[186:187]
	v_add_f64_e32 v[178:179], v[178:179], v[182:183]
	s_wait_loadcnt_dscnt 0xa00
	v_mul_f64_e32 v[182:183], v[138:139], v[136:137]
	v_mul_f64_e32 v[136:137], v[140:141], v[136:137]
	v_fmac_f64_e32 v[184:185], v[6:7], v[146:147]
	v_fma_f64 v[186:187], v[4:5], v[146:147], -v[148:149]
	ds_load_b128 v[4:7], v2 offset:1472
	ds_load_b128 v[146:149], v2 offset:1488
	v_add_f64_e32 v[188:189], v[156:157], v[154:155]
	v_add_f64_e32 v[178:179], v[178:179], v[180:181]
	scratch_load_b128 v[154:157], off, off offset:768
	s_wait_loadcnt_dscnt 0xa01
	v_mul_f64_e32 v[180:181], v[4:5], v[160:161]
	v_mul_f64_e32 v[160:161], v[6:7], v[160:161]
	v_fmac_f64_e32 v[182:183], v[140:141], v[134:135]
	v_fma_f64 v[138:139], v[138:139], v[134:135], -v[136:137]
	scratch_load_b128 v[134:137], off, off offset:784
	v_add_f64_e32 v[140:141], v[188:189], v[186:187]
	v_add_f64_e32 v[178:179], v[178:179], v[184:185]
	s_wait_loadcnt_dscnt 0xa00
	v_mul_f64_e32 v[184:185], v[146:147], v[144:145]
	v_mul_f64_e32 v[144:145], v[148:149], v[144:145]
	v_fmac_f64_e32 v[180:181], v[6:7], v[158:159]
	v_fma_f64 v[186:187], v[4:5], v[158:159], -v[160:161]
	v_add_f64_e32 v[188:189], v[140:141], v[138:139]
	v_add_f64_e32 v[178:179], v[178:179], v[182:183]
	ds_load_b128 v[4:7], v2 offset:1504
	ds_load_b128 v[138:141], v2 offset:1520
	scratch_load_b128 v[158:161], off, off offset:800
	v_fmac_f64_e32 v[184:185], v[148:149], v[142:143]
	v_fma_f64 v[146:147], v[146:147], v[142:143], -v[144:145]
	scratch_load_b128 v[142:145], off, off offset:816
	s_wait_loadcnt_dscnt 0xb01
	v_mul_f64_e32 v[182:183], v[4:5], v[176:177]
	v_mul_f64_e32 v[176:177], v[6:7], v[176:177]
	v_add_f64_e32 v[148:149], v[188:189], v[186:187]
	v_add_f64_e32 v[178:179], v[178:179], v[180:181]
	s_wait_loadcnt_dscnt 0xa00
	v_mul_f64_e32 v[180:181], v[138:139], v[10:11]
	v_mul_f64_e32 v[10:11], v[140:141], v[10:11]
	v_fmac_f64_e32 v[182:183], v[6:7], v[174:175]
	v_fma_f64 v[186:187], v[4:5], v[174:175], -v[176:177]
	v_add_f64_e32 v[188:189], v[148:149], v[146:147]
	v_add_f64_e32 v[178:179], v[178:179], v[184:185]
	ds_load_b128 v[4:7], v2 offset:1536
	ds_load_b128 v[146:149], v2 offset:1552
	scratch_load_b128 v[174:177], off, off offset:832
	v_fmac_f64_e32 v[180:181], v[140:141], v[8:9]
	v_fma_f64 v[138:139], v[138:139], v[8:9], -v[10:11]
	scratch_load_b128 v[8:11], off, off offset:848
	s_wait_loadcnt_dscnt 0xb01
	v_mul_f64_e32 v[184:185], v[4:5], v[164:165]
	v_mul_f64_e32 v[164:165], v[6:7], v[164:165]
	v_add_f64_e32 v[140:141], v[188:189], v[186:187]
	v_add_f64_e32 v[178:179], v[178:179], v[182:183]
	s_wait_loadcnt_dscnt 0xa00
	v_mul_f64_e32 v[182:183], v[146:147], v[128:129]
	v_mul_f64_e32 v[128:129], v[148:149], v[128:129]
	v_fmac_f64_e32 v[184:185], v[6:7], v[162:163]
	v_fma_f64 v[162:163], v[4:5], v[162:163], -v[164:165]
	v_add_f64_e32 v[164:165], v[140:141], v[138:139]
	v_add_f64_e32 v[178:179], v[178:179], v[180:181]
	ds_load_b128 v[4:7], v2 offset:1568
	ds_load_b128 v[138:141], v2 offset:1584
	v_fmac_f64_e32 v[182:183], v[148:149], v[126:127]
	v_fma_f64 v[126:127], v[146:147], v[126:127], -v[128:129]
	s_wait_loadcnt_dscnt 0x901
	v_mul_f64_e32 v[180:181], v[4:5], v[172:173]
	v_mul_f64_e32 v[172:173], v[6:7], v[172:173]
	s_wait_loadcnt_dscnt 0x800
	v_mul_f64_e32 v[148:149], v[138:139], v[14:15]
	v_mul_f64_e32 v[14:15], v[140:141], v[14:15]
	v_add_f64_e32 v[128:129], v[164:165], v[162:163]
	v_add_f64_e32 v[146:147], v[178:179], v[184:185]
	v_fmac_f64_e32 v[180:181], v[6:7], v[170:171]
	v_fma_f64 v[162:163], v[4:5], v[170:171], -v[172:173]
	v_fmac_f64_e32 v[148:149], v[140:141], v[12:13]
	v_fma_f64 v[12:13], v[138:139], v[12:13], -v[14:15]
	v_add_f64_e32 v[164:165], v[128:129], v[126:127]
	v_add_f64_e32 v[146:147], v[146:147], v[182:183]
	ds_load_b128 v[4:7], v2 offset:1600
	ds_load_b128 v[126:129], v2 offset:1616
	s_wait_loadcnt_dscnt 0x701
	v_mul_f64_e32 v[170:171], v[4:5], v[152:153]
	v_mul_f64_e32 v[152:153], v[6:7], v[152:153]
	s_wait_loadcnt_dscnt 0x600
	v_mul_f64_e32 v[140:141], v[126:127], v[132:133]
	v_mul_f64_e32 v[132:133], v[128:129], v[132:133]
	v_add_f64_e32 v[14:15], v[164:165], v[162:163]
	v_add_f64_e32 v[138:139], v[146:147], v[180:181]
	v_fmac_f64_e32 v[170:171], v[6:7], v[150:151]
	v_fma_f64 v[146:147], v[4:5], v[150:151], -v[152:153]
	v_fmac_f64_e32 v[140:141], v[128:129], v[130:131]
	v_fma_f64 v[126:127], v[126:127], v[130:131], -v[132:133]
	v_add_f64_e32 v[150:151], v[14:15], v[12:13]
	v_add_f64_e32 v[138:139], v[138:139], v[148:149]
	ds_load_b128 v[4:7], v2 offset:1632
	ds_load_b128 v[12:15], v2 offset:1648
	;; [unrolled: 16-line block ×4, first 2 shown]
	s_wait_loadcnt_dscnt 0x101
	v_mul_f64_e32 v[2:3], v[4:5], v[176:177]
	v_mul_f64_e32 v[132:133], v[6:7], v[176:177]
	s_wait_loadcnt_dscnt 0x0
	v_mul_f64_e32 v[136:137], v[12:13], v[10:11]
	v_mul_f64_e32 v[10:11], v[14:15], v[10:11]
	v_add_f64_e32 v[128:129], v[144:145], v[138:139]
	v_add_f64_e32 v[130:131], v[130:131], v[140:141]
	v_fmac_f64_e32 v[2:3], v[6:7], v[174:175]
	v_fma_f64 v[4:5], v[4:5], v[174:175], -v[132:133]
	v_fmac_f64_e32 v[136:137], v[14:15], v[8:9]
	v_fma_f64 v[8:9], v[12:13], v[8:9], -v[10:11]
	v_add_f64_e32 v[6:7], v[128:129], v[126:127]
	v_add_f64_e32 v[126:127], v[130:131], v[134:135]
	s_delay_alu instid0(VALU_DEP_2) | instskip(NEXT) | instid1(VALU_DEP_2)
	v_add_f64_e32 v[4:5], v[6:7], v[4:5]
	v_add_f64_e32 v[2:3], v[126:127], v[2:3]
	s_delay_alu instid0(VALU_DEP_2) | instskip(NEXT) | instid1(VALU_DEP_2)
	;; [unrolled: 3-line block ×3, first 2 shown]
	v_add_f64_e64 v[2:3], v[166:167], -v[4:5]
	v_add_f64_e64 v[4:5], v[168:169], -v[6:7]
	scratch_store_b128 off, v[2:5], off offset:240
	s_wait_xcnt 0x0
	v_cmpx_lt_u32_e32 14, v1
	s_cbranch_execz .LBB117_309
; %bb.308:
	scratch_load_b128 v[2:5], off, s56
	v_mov_b32_e32 v6, 0
	s_delay_alu instid0(VALU_DEP_1)
	v_dual_mov_b32 v7, v6 :: v_dual_mov_b32 v8, v6
	v_mov_b32_e32 v9, v6
	scratch_store_b128 off, v[6:9], off offset:224
	s_wait_loadcnt 0x0
	ds_store_b128 v124, v[2:5]
.LBB117_309:
	s_wait_xcnt 0x0
	s_or_b32 exec_lo, exec_lo, s2
	s_wait_storecnt_dscnt 0x0
	s_barrier_signal -1
	s_barrier_wait -1
	s_clause 0x9
	scratch_load_b128 v[4:7], off, off offset:240
	scratch_load_b128 v[8:11], off, off offset:256
	;; [unrolled: 1-line block ×10, first 2 shown]
	v_mov_b32_e32 v2, 0
	s_mov_b32 s2, exec_lo
	ds_load_b128 v[154:157], v2 offset:1104
	s_clause 0x2
	scratch_load_b128 v[158:161], off, off offset:400
	scratch_load_b128 v[162:165], off, off offset:224
	scratch_load_b128 v[170:173], off, off offset:416
	s_wait_loadcnt_dscnt 0xc00
	v_mul_f64_e32 v[174:175], v[156:157], v[6:7]
	v_mul_f64_e32 v[178:179], v[154:155], v[6:7]
	ds_load_b128 v[166:169], v2 offset:1120
	v_fma_f64 v[182:183], v[154:155], v[4:5], -v[174:175]
	v_fmac_f64_e32 v[178:179], v[156:157], v[4:5]
	ds_load_b128 v[4:7], v2 offset:1136
	s_wait_loadcnt_dscnt 0xb01
	v_mul_f64_e32 v[180:181], v[166:167], v[10:11]
	v_mul_f64_e32 v[10:11], v[168:169], v[10:11]
	scratch_load_b128 v[154:157], off, off offset:432
	ds_load_b128 v[174:177], v2 offset:1152
	s_wait_loadcnt_dscnt 0xb01
	v_mul_f64_e32 v[184:185], v[4:5], v[14:15]
	v_mul_f64_e32 v[14:15], v[6:7], v[14:15]
	v_add_f64_e32 v[178:179], 0, v[178:179]
	v_fmac_f64_e32 v[180:181], v[168:169], v[8:9]
	v_fma_f64 v[166:167], v[166:167], v[8:9], -v[10:11]
	v_add_f64_e32 v[168:169], 0, v[182:183]
	scratch_load_b128 v[8:11], off, off offset:448
	v_fmac_f64_e32 v[184:185], v[6:7], v[12:13]
	v_fma_f64 v[186:187], v[4:5], v[12:13], -v[14:15]
	ds_load_b128 v[4:7], v2 offset:1168
	s_wait_loadcnt_dscnt 0xb01
	v_mul_f64_e32 v[182:183], v[174:175], v[128:129]
	v_mul_f64_e32 v[128:129], v[176:177], v[128:129]
	scratch_load_b128 v[12:15], off, off offset:464
	v_add_f64_e32 v[178:179], v[178:179], v[180:181]
	v_add_f64_e32 v[188:189], v[168:169], v[166:167]
	ds_load_b128 v[166:169], v2 offset:1184
	s_wait_loadcnt_dscnt 0xb01
	v_mul_f64_e32 v[180:181], v[4:5], v[132:133]
	v_mul_f64_e32 v[132:133], v[6:7], v[132:133]
	v_fmac_f64_e32 v[182:183], v[176:177], v[126:127]
	v_fma_f64 v[174:175], v[174:175], v[126:127], -v[128:129]
	scratch_load_b128 v[126:129], off, off offset:480
	v_add_f64_e32 v[178:179], v[178:179], v[184:185]
	v_add_f64_e32 v[176:177], v[188:189], v[186:187]
	v_fmac_f64_e32 v[180:181], v[6:7], v[130:131]
	v_fma_f64 v[186:187], v[4:5], v[130:131], -v[132:133]
	ds_load_b128 v[4:7], v2 offset:1200
	s_wait_loadcnt_dscnt 0xb01
	v_mul_f64_e32 v[184:185], v[166:167], v[136:137]
	v_mul_f64_e32 v[136:137], v[168:169], v[136:137]
	scratch_load_b128 v[130:133], off, off offset:496
	v_add_f64_e32 v[178:179], v[178:179], v[182:183]
	s_wait_loadcnt_dscnt 0xb00
	v_mul_f64_e32 v[182:183], v[4:5], v[140:141]
	v_add_f64_e32 v[188:189], v[176:177], v[174:175]
	v_mul_f64_e32 v[140:141], v[6:7], v[140:141]
	ds_load_b128 v[174:177], v2 offset:1216
	v_fmac_f64_e32 v[184:185], v[168:169], v[134:135]
	v_fma_f64 v[166:167], v[166:167], v[134:135], -v[136:137]
	scratch_load_b128 v[134:137], off, off offset:512
	v_add_f64_e32 v[178:179], v[178:179], v[180:181]
	v_fmac_f64_e32 v[182:183], v[6:7], v[138:139]
	v_add_f64_e32 v[168:169], v[188:189], v[186:187]
	v_fma_f64 v[186:187], v[4:5], v[138:139], -v[140:141]
	ds_load_b128 v[4:7], v2 offset:1232
	s_wait_loadcnt_dscnt 0xb01
	v_mul_f64_e32 v[180:181], v[174:175], v[144:145]
	v_mul_f64_e32 v[144:145], v[176:177], v[144:145]
	scratch_load_b128 v[138:141], off, off offset:528
	v_add_f64_e32 v[178:179], v[178:179], v[184:185]
	s_wait_loadcnt_dscnt 0xb00
	v_mul_f64_e32 v[184:185], v[4:5], v[148:149]
	v_add_f64_e32 v[188:189], v[168:169], v[166:167]
	v_mul_f64_e32 v[148:149], v[6:7], v[148:149]
	ds_load_b128 v[166:169], v2 offset:1248
	v_fmac_f64_e32 v[180:181], v[176:177], v[142:143]
	v_fma_f64 v[174:175], v[174:175], v[142:143], -v[144:145]
	scratch_load_b128 v[142:145], off, off offset:544
	v_add_f64_e32 v[178:179], v[178:179], v[182:183]
	v_fmac_f64_e32 v[184:185], v[6:7], v[146:147]
	v_add_f64_e32 v[176:177], v[188:189], v[186:187]
	;; [unrolled: 18-line block ×3, first 2 shown]
	v_fma_f64 v[186:187], v[4:5], v[158:159], -v[160:161]
	ds_load_b128 v[4:7], v2 offset:1296
	s_wait_loadcnt_dscnt 0xa01
	v_mul_f64_e32 v[184:185], v[174:175], v[172:173]
	v_mul_f64_e32 v[172:173], v[176:177], v[172:173]
	scratch_load_b128 v[158:161], off, off offset:592
	v_add_f64_e32 v[178:179], v[178:179], v[182:183]
	v_add_f64_e32 v[188:189], v[168:169], v[166:167]
	s_wait_loadcnt_dscnt 0xa00
	v_mul_f64_e32 v[182:183], v[4:5], v[156:157]
	v_mul_f64_e32 v[156:157], v[6:7], v[156:157]
	v_fmac_f64_e32 v[184:185], v[176:177], v[170:171]
	v_fma_f64 v[174:175], v[174:175], v[170:171], -v[172:173]
	ds_load_b128 v[166:169], v2 offset:1312
	scratch_load_b128 v[170:173], off, off offset:608
	v_add_f64_e32 v[178:179], v[178:179], v[180:181]
	v_add_f64_e32 v[176:177], v[188:189], v[186:187]
	v_fmac_f64_e32 v[182:183], v[6:7], v[154:155]
	v_fma_f64 v[186:187], v[4:5], v[154:155], -v[156:157]
	ds_load_b128 v[4:7], v2 offset:1328
	s_wait_loadcnt_dscnt 0xa01
	v_mul_f64_e32 v[180:181], v[166:167], v[10:11]
	v_mul_f64_e32 v[10:11], v[168:169], v[10:11]
	scratch_load_b128 v[154:157], off, off offset:624
	v_add_f64_e32 v[178:179], v[178:179], v[184:185]
	s_wait_loadcnt_dscnt 0xa00
	v_mul_f64_e32 v[184:185], v[4:5], v[14:15]
	v_add_f64_e32 v[188:189], v[176:177], v[174:175]
	v_mul_f64_e32 v[14:15], v[6:7], v[14:15]
	ds_load_b128 v[174:177], v2 offset:1344
	v_fmac_f64_e32 v[180:181], v[168:169], v[8:9]
	v_fma_f64 v[166:167], v[166:167], v[8:9], -v[10:11]
	scratch_load_b128 v[8:11], off, off offset:640
	v_add_f64_e32 v[178:179], v[178:179], v[182:183]
	v_fmac_f64_e32 v[184:185], v[6:7], v[12:13]
	v_add_f64_e32 v[168:169], v[188:189], v[186:187]
	v_fma_f64 v[186:187], v[4:5], v[12:13], -v[14:15]
	ds_load_b128 v[4:7], v2 offset:1360
	s_wait_loadcnt_dscnt 0xa01
	v_mul_f64_e32 v[182:183], v[174:175], v[128:129]
	v_mul_f64_e32 v[128:129], v[176:177], v[128:129]
	scratch_load_b128 v[12:15], off, off offset:656
	v_add_f64_e32 v[178:179], v[178:179], v[180:181]
	s_wait_loadcnt_dscnt 0xa00
	v_mul_f64_e32 v[180:181], v[4:5], v[132:133]
	v_add_f64_e32 v[188:189], v[168:169], v[166:167]
	v_mul_f64_e32 v[132:133], v[6:7], v[132:133]
	ds_load_b128 v[166:169], v2 offset:1376
	v_fmac_f64_e32 v[182:183], v[176:177], v[126:127]
	v_fma_f64 v[174:175], v[174:175], v[126:127], -v[128:129]
	scratch_load_b128 v[126:129], off, off offset:672
	v_add_f64_e32 v[178:179], v[178:179], v[184:185]
	v_fmac_f64_e32 v[180:181], v[6:7], v[130:131]
	v_add_f64_e32 v[176:177], v[188:189], v[186:187]
	;; [unrolled: 18-line block ×7, first 2 shown]
	v_fma_f64 v[186:187], v[4:5], v[12:13], -v[14:15]
	ds_load_b128 v[4:7], v2 offset:1552
	s_wait_loadcnt_dscnt 0xa01
	v_mul_f64_e32 v[182:183], v[174:175], v[128:129]
	v_mul_f64_e32 v[128:129], v[176:177], v[128:129]
	scratch_load_b128 v[12:15], off, off offset:848
	v_add_f64_e32 v[178:179], v[178:179], v[180:181]
	s_wait_loadcnt_dscnt 0xa00
	v_mul_f64_e32 v[180:181], v[4:5], v[132:133]
	v_add_f64_e32 v[188:189], v[168:169], v[166:167]
	v_mul_f64_e32 v[132:133], v[6:7], v[132:133]
	ds_load_b128 v[166:169], v2 offset:1568
	v_fmac_f64_e32 v[182:183], v[176:177], v[126:127]
	v_fma_f64 v[126:127], v[174:175], v[126:127], -v[128:129]
	s_wait_loadcnt_dscnt 0x900
	v_mul_f64_e32 v[176:177], v[166:167], v[136:137]
	v_mul_f64_e32 v[136:137], v[168:169], v[136:137]
	v_add_f64_e32 v[174:175], v[178:179], v[184:185]
	v_fmac_f64_e32 v[180:181], v[6:7], v[130:131]
	v_add_f64_e32 v[128:129], v[188:189], v[186:187]
	v_fma_f64 v[130:131], v[4:5], v[130:131], -v[132:133]
	v_fmac_f64_e32 v[176:177], v[168:169], v[134:135]
	v_fma_f64 v[134:135], v[166:167], v[134:135], -v[136:137]
	v_add_f64_e32 v[174:175], v[174:175], v[182:183]
	v_add_f64_e32 v[132:133], v[128:129], v[126:127]
	ds_load_b128 v[4:7], v2 offset:1584
	ds_load_b128 v[126:129], v2 offset:1600
	s_wait_loadcnt_dscnt 0x801
	v_mul_f64_e32 v[178:179], v[4:5], v[140:141]
	v_mul_f64_e32 v[140:141], v[6:7], v[140:141]
	s_wait_loadcnt_dscnt 0x700
	v_mul_f64_e32 v[136:137], v[126:127], v[144:145]
	v_mul_f64_e32 v[144:145], v[128:129], v[144:145]
	v_add_f64_e32 v[130:131], v[132:133], v[130:131]
	v_add_f64_e32 v[132:133], v[174:175], v[180:181]
	v_fmac_f64_e32 v[178:179], v[6:7], v[138:139]
	v_fma_f64 v[138:139], v[4:5], v[138:139], -v[140:141]
	v_fmac_f64_e32 v[136:137], v[128:129], v[142:143]
	v_fma_f64 v[126:127], v[126:127], v[142:143], -v[144:145]
	v_add_f64_e32 v[134:135], v[130:131], v[134:135]
	v_add_f64_e32 v[140:141], v[132:133], v[176:177]
	ds_load_b128 v[4:7], v2 offset:1616
	ds_load_b128 v[130:133], v2 offset:1632
	s_wait_loadcnt_dscnt 0x601
	v_mul_f64_e32 v[166:167], v[4:5], v[148:149]
	v_mul_f64_e32 v[148:149], v[6:7], v[148:149]
	v_add_f64_e32 v[128:129], v[134:135], v[138:139]
	v_add_f64_e32 v[134:135], v[140:141], v[178:179]
	s_wait_loadcnt_dscnt 0x500
	v_mul_f64_e32 v[138:139], v[130:131], v[152:153]
	v_mul_f64_e32 v[140:141], v[132:133], v[152:153]
	v_fmac_f64_e32 v[166:167], v[6:7], v[146:147]
	v_fma_f64 v[142:143], v[4:5], v[146:147], -v[148:149]
	v_add_f64_e32 v[144:145], v[128:129], v[126:127]
	v_add_f64_e32 v[134:135], v[134:135], v[136:137]
	ds_load_b128 v[4:7], v2 offset:1648
	ds_load_b128 v[126:129], v2 offset:1664
	v_fmac_f64_e32 v[138:139], v[132:133], v[150:151]
	v_fma_f64 v[130:131], v[130:131], v[150:151], -v[140:141]
	s_wait_loadcnt_dscnt 0x401
	v_mul_f64_e32 v[136:137], v[4:5], v[160:161]
	v_mul_f64_e32 v[146:147], v[6:7], v[160:161]
	s_wait_loadcnt_dscnt 0x300
	v_mul_f64_e32 v[140:141], v[126:127], v[172:173]
	v_add_f64_e32 v[132:133], v[144:145], v[142:143]
	v_add_f64_e32 v[134:135], v[134:135], v[166:167]
	v_mul_f64_e32 v[142:143], v[128:129], v[172:173]
	v_fmac_f64_e32 v[136:137], v[6:7], v[158:159]
	v_fma_f64 v[144:145], v[4:5], v[158:159], -v[146:147]
	v_fmac_f64_e32 v[140:141], v[128:129], v[170:171]
	v_add_f64_e32 v[146:147], v[132:133], v[130:131]
	v_add_f64_e32 v[134:135], v[134:135], v[138:139]
	ds_load_b128 v[4:7], v2 offset:1680
	ds_load_b128 v[130:133], v2 offset:1696
	v_fma_f64 v[126:127], v[126:127], v[170:171], -v[142:143]
	s_wait_loadcnt_dscnt 0x201
	v_mul_f64_e32 v[138:139], v[4:5], v[156:157]
	v_mul_f64_e32 v[148:149], v[6:7], v[156:157]
	v_add_f64_e32 v[128:129], v[146:147], v[144:145]
	v_add_f64_e32 v[134:135], v[134:135], v[136:137]
	s_wait_loadcnt_dscnt 0x100
	v_mul_f64_e32 v[136:137], v[130:131], v[10:11]
	v_mul_f64_e32 v[10:11], v[132:133], v[10:11]
	v_fmac_f64_e32 v[138:139], v[6:7], v[154:155]
	v_fma_f64 v[142:143], v[4:5], v[154:155], -v[148:149]
	ds_load_b128 v[4:7], v2 offset:1712
	v_add_f64_e32 v[126:127], v[128:129], v[126:127]
	v_add_f64_e32 v[128:129], v[134:135], v[140:141]
	v_fmac_f64_e32 v[136:137], v[132:133], v[8:9]
	v_fma_f64 v[8:9], v[130:131], v[8:9], -v[10:11]
	s_wait_loadcnt_dscnt 0x0
	v_mul_f64_e32 v[134:135], v[4:5], v[14:15]
	v_mul_f64_e32 v[14:15], v[6:7], v[14:15]
	v_add_f64_e32 v[10:11], v[126:127], v[142:143]
	v_add_f64_e32 v[126:127], v[128:129], v[138:139]
	s_delay_alu instid0(VALU_DEP_4) | instskip(NEXT) | instid1(VALU_DEP_4)
	v_fmac_f64_e32 v[134:135], v[6:7], v[12:13]
	v_fma_f64 v[4:5], v[4:5], v[12:13], -v[14:15]
	s_delay_alu instid0(VALU_DEP_4) | instskip(NEXT) | instid1(VALU_DEP_4)
	v_add_f64_e32 v[6:7], v[10:11], v[8:9]
	v_add_f64_e32 v[8:9], v[126:127], v[136:137]
	s_delay_alu instid0(VALU_DEP_2) | instskip(NEXT) | instid1(VALU_DEP_2)
	v_add_f64_e32 v[4:5], v[6:7], v[4:5]
	v_add_f64_e32 v[6:7], v[8:9], v[134:135]
	s_delay_alu instid0(VALU_DEP_2) | instskip(NEXT) | instid1(VALU_DEP_2)
	v_add_f64_e64 v[4:5], v[162:163], -v[4:5]
	v_add_f64_e64 v[6:7], v[164:165], -v[6:7]
	scratch_store_b128 off, v[4:7], off offset:224
	s_wait_xcnt 0x0
	v_cmpx_lt_u32_e32 13, v1
	s_cbranch_execz .LBB117_311
; %bb.310:
	scratch_load_b128 v[6:9], off, s57
	v_dual_mov_b32 v3, v2 :: v_dual_mov_b32 v4, v2
	v_mov_b32_e32 v5, v2
	scratch_store_b128 off, v[2:5], off offset:208
	s_wait_loadcnt 0x0
	ds_store_b128 v124, v[6:9]
.LBB117_311:
	s_wait_xcnt 0x0
	s_or_b32 exec_lo, exec_lo, s2
	s_wait_storecnt_dscnt 0x0
	s_barrier_signal -1
	s_barrier_wait -1
	s_clause 0x9
	scratch_load_b128 v[4:7], off, off offset:224
	scratch_load_b128 v[8:11], off, off offset:240
	scratch_load_b128 v[12:15], off, off offset:256
	scratch_load_b128 v[126:129], off, off offset:272
	scratch_load_b128 v[130:133], off, off offset:288
	scratch_load_b128 v[134:137], off, off offset:304
	scratch_load_b128 v[138:141], off, off offset:320
	scratch_load_b128 v[142:145], off, off offset:336
	scratch_load_b128 v[146:149], off, off offset:352
	scratch_load_b128 v[150:153], off, off offset:368
	ds_load_b128 v[154:157], v2 offset:1088
	ds_load_b128 v[162:165], v2 offset:1104
	s_clause 0x2
	scratch_load_b128 v[158:161], off, off offset:384
	scratch_load_b128 v[166:169], off, off offset:208
	;; [unrolled: 1-line block ×3, first 2 shown]
	s_mov_b32 s2, exec_lo
	s_wait_loadcnt_dscnt 0xc01
	v_mul_f64_e32 v[174:175], v[156:157], v[6:7]
	v_mul_f64_e32 v[178:179], v[154:155], v[6:7]
	s_wait_loadcnt_dscnt 0xb00
	v_mul_f64_e32 v[180:181], v[162:163], v[10:11]
	v_mul_f64_e32 v[10:11], v[164:165], v[10:11]
	s_delay_alu instid0(VALU_DEP_4) | instskip(NEXT) | instid1(VALU_DEP_4)
	v_fma_f64 v[182:183], v[154:155], v[4:5], -v[174:175]
	v_fmac_f64_e32 v[178:179], v[156:157], v[4:5]
	ds_load_b128 v[4:7], v2 offset:1120
	ds_load_b128 v[154:157], v2 offset:1136
	scratch_load_b128 v[174:177], off, off offset:416
	v_fmac_f64_e32 v[180:181], v[164:165], v[8:9]
	v_fma_f64 v[162:163], v[162:163], v[8:9], -v[10:11]
	scratch_load_b128 v[8:11], off, off offset:432
	s_wait_loadcnt_dscnt 0xc01
	v_mul_f64_e32 v[184:185], v[4:5], v[14:15]
	v_mul_f64_e32 v[14:15], v[6:7], v[14:15]
	v_add_f64_e32 v[164:165], 0, v[182:183]
	v_add_f64_e32 v[178:179], 0, v[178:179]
	s_wait_loadcnt_dscnt 0xb00
	v_mul_f64_e32 v[182:183], v[154:155], v[128:129]
	v_mul_f64_e32 v[128:129], v[156:157], v[128:129]
	v_fmac_f64_e32 v[184:185], v[6:7], v[12:13]
	v_fma_f64 v[186:187], v[4:5], v[12:13], -v[14:15]
	ds_load_b128 v[4:7], v2 offset:1152
	ds_load_b128 v[12:15], v2 offset:1168
	v_add_f64_e32 v[188:189], v[164:165], v[162:163]
	v_add_f64_e32 v[178:179], v[178:179], v[180:181]
	scratch_load_b128 v[162:165], off, off offset:448
	v_fmac_f64_e32 v[182:183], v[156:157], v[126:127]
	v_fma_f64 v[154:155], v[154:155], v[126:127], -v[128:129]
	scratch_load_b128 v[126:129], off, off offset:464
	s_wait_loadcnt_dscnt 0xc01
	v_mul_f64_e32 v[180:181], v[4:5], v[132:133]
	v_mul_f64_e32 v[132:133], v[6:7], v[132:133]
	v_add_f64_e32 v[156:157], v[188:189], v[186:187]
	v_add_f64_e32 v[178:179], v[178:179], v[184:185]
	s_wait_loadcnt_dscnt 0xb00
	v_mul_f64_e32 v[184:185], v[12:13], v[136:137]
	v_mul_f64_e32 v[136:137], v[14:15], v[136:137]
	v_fmac_f64_e32 v[180:181], v[6:7], v[130:131]
	v_fma_f64 v[186:187], v[4:5], v[130:131], -v[132:133]
	ds_load_b128 v[4:7], v2 offset:1184
	ds_load_b128 v[130:133], v2 offset:1200
	v_add_f64_e32 v[188:189], v[156:157], v[154:155]
	v_add_f64_e32 v[178:179], v[178:179], v[182:183]
	scratch_load_b128 v[154:157], off, off offset:480
	s_wait_loadcnt_dscnt 0xb01
	v_mul_f64_e32 v[182:183], v[4:5], v[140:141]
	v_mul_f64_e32 v[140:141], v[6:7], v[140:141]
	v_fmac_f64_e32 v[184:185], v[14:15], v[134:135]
	v_fma_f64 v[134:135], v[12:13], v[134:135], -v[136:137]
	scratch_load_b128 v[12:15], off, off offset:496
	v_add_f64_e32 v[136:137], v[188:189], v[186:187]
	v_add_f64_e32 v[178:179], v[178:179], v[180:181]
	s_wait_loadcnt_dscnt 0xb00
	v_mul_f64_e32 v[180:181], v[130:131], v[144:145]
	v_mul_f64_e32 v[144:145], v[132:133], v[144:145]
	v_fmac_f64_e32 v[182:183], v[6:7], v[138:139]
	v_fma_f64 v[186:187], v[4:5], v[138:139], -v[140:141]
	v_add_f64_e32 v[188:189], v[136:137], v[134:135]
	v_add_f64_e32 v[178:179], v[178:179], v[184:185]
	ds_load_b128 v[4:7], v2 offset:1216
	ds_load_b128 v[134:137], v2 offset:1232
	scratch_load_b128 v[138:141], off, off offset:512
	v_fmac_f64_e32 v[180:181], v[132:133], v[142:143]
	v_fma_f64 v[142:143], v[130:131], v[142:143], -v[144:145]
	scratch_load_b128 v[130:133], off, off offset:528
	s_wait_loadcnt_dscnt 0xc01
	v_mul_f64_e32 v[184:185], v[4:5], v[148:149]
	v_mul_f64_e32 v[148:149], v[6:7], v[148:149]
	v_add_f64_e32 v[144:145], v[188:189], v[186:187]
	v_add_f64_e32 v[178:179], v[178:179], v[182:183]
	s_wait_loadcnt_dscnt 0xb00
	v_mul_f64_e32 v[182:183], v[134:135], v[152:153]
	v_mul_f64_e32 v[152:153], v[136:137], v[152:153]
	v_fmac_f64_e32 v[184:185], v[6:7], v[146:147]
	v_fma_f64 v[186:187], v[4:5], v[146:147], -v[148:149]
	v_add_f64_e32 v[188:189], v[144:145], v[142:143]
	v_add_f64_e32 v[178:179], v[178:179], v[180:181]
	ds_load_b128 v[4:7], v2 offset:1248
	ds_load_b128 v[142:145], v2 offset:1264
	scratch_load_b128 v[146:149], off, off offset:544
	v_fmac_f64_e32 v[182:183], v[136:137], v[150:151]
	v_fma_f64 v[150:151], v[134:135], v[150:151], -v[152:153]
	scratch_load_b128 v[134:137], off, off offset:560
	s_wait_loadcnt_dscnt 0xc01
	v_mul_f64_e32 v[180:181], v[4:5], v[160:161]
	v_mul_f64_e32 v[160:161], v[6:7], v[160:161]
	;; [unrolled: 18-line block ×5, first 2 shown]
	v_add_f64_e32 v[172:173], v[188:189], v[186:187]
	v_add_f64_e32 v[178:179], v[178:179], v[184:185]
	s_wait_loadcnt_dscnt 0xa00
	v_mul_f64_e32 v[184:185], v[150:151], v[14:15]
	v_mul_f64_e32 v[14:15], v[152:153], v[14:15]
	v_fmac_f64_e32 v[180:181], v[6:7], v[154:155]
	v_fma_f64 v[186:187], v[4:5], v[154:155], -v[156:157]
	ds_load_b128 v[4:7], v2 offset:1376
	ds_load_b128 v[154:157], v2 offset:1392
	v_add_f64_e32 v[188:189], v[172:173], v[170:171]
	v_add_f64_e32 v[178:179], v[178:179], v[182:183]
	scratch_load_b128 v[170:173], off, off offset:672
	v_fmac_f64_e32 v[184:185], v[152:153], v[12:13]
	v_fma_f64 v[150:151], v[150:151], v[12:13], -v[14:15]
	scratch_load_b128 v[12:15], off, off offset:688
	s_wait_loadcnt_dscnt 0xb01
	v_mul_f64_e32 v[182:183], v[4:5], v[140:141]
	v_mul_f64_e32 v[140:141], v[6:7], v[140:141]
	v_add_f64_e32 v[152:153], v[188:189], v[186:187]
	v_add_f64_e32 v[178:179], v[178:179], v[180:181]
	s_wait_loadcnt_dscnt 0xa00
	v_mul_f64_e32 v[180:181], v[154:155], v[132:133]
	v_mul_f64_e32 v[132:133], v[156:157], v[132:133]
	v_fmac_f64_e32 v[182:183], v[6:7], v[138:139]
	v_fma_f64 v[186:187], v[4:5], v[138:139], -v[140:141]
	ds_load_b128 v[4:7], v2 offset:1408
	ds_load_b128 v[138:141], v2 offset:1424
	v_add_f64_e32 v[188:189], v[152:153], v[150:151]
	v_add_f64_e32 v[178:179], v[178:179], v[184:185]
	scratch_load_b128 v[150:153], off, off offset:704
	s_wait_loadcnt_dscnt 0xa01
	v_mul_f64_e32 v[184:185], v[4:5], v[148:149]
	v_mul_f64_e32 v[148:149], v[6:7], v[148:149]
	v_fmac_f64_e32 v[180:181], v[156:157], v[130:131]
	v_fma_f64 v[154:155], v[154:155], v[130:131], -v[132:133]
	scratch_load_b128 v[130:133], off, off offset:720
	v_add_f64_e32 v[156:157], v[188:189], v[186:187]
	v_add_f64_e32 v[178:179], v[178:179], v[182:183]
	s_wait_loadcnt_dscnt 0xa00
	v_mul_f64_e32 v[182:183], v[138:139], v[136:137]
	v_mul_f64_e32 v[136:137], v[140:141], v[136:137]
	v_fmac_f64_e32 v[184:185], v[6:7], v[146:147]
	v_fma_f64 v[186:187], v[4:5], v[146:147], -v[148:149]
	ds_load_b128 v[4:7], v2 offset:1440
	ds_load_b128 v[146:149], v2 offset:1456
	v_add_f64_e32 v[188:189], v[156:157], v[154:155]
	v_add_f64_e32 v[178:179], v[178:179], v[180:181]
	scratch_load_b128 v[154:157], off, off offset:736
	s_wait_loadcnt_dscnt 0xa01
	v_mul_f64_e32 v[180:181], v[4:5], v[160:161]
	v_mul_f64_e32 v[160:161], v[6:7], v[160:161]
	v_fmac_f64_e32 v[182:183], v[140:141], v[134:135]
	v_fma_f64 v[138:139], v[138:139], v[134:135], -v[136:137]
	scratch_load_b128 v[134:137], off, off offset:752
	v_add_f64_e32 v[140:141], v[188:189], v[186:187]
	v_add_f64_e32 v[178:179], v[178:179], v[184:185]
	s_wait_loadcnt_dscnt 0xa00
	v_mul_f64_e32 v[184:185], v[146:147], v[144:145]
	v_mul_f64_e32 v[144:145], v[148:149], v[144:145]
	v_fmac_f64_e32 v[180:181], v[6:7], v[158:159]
	v_fma_f64 v[186:187], v[4:5], v[158:159], -v[160:161]
	v_add_f64_e32 v[188:189], v[140:141], v[138:139]
	v_add_f64_e32 v[178:179], v[178:179], v[182:183]
	ds_load_b128 v[4:7], v2 offset:1472
	ds_load_b128 v[138:141], v2 offset:1488
	scratch_load_b128 v[158:161], off, off offset:768
	v_fmac_f64_e32 v[184:185], v[148:149], v[142:143]
	v_fma_f64 v[146:147], v[146:147], v[142:143], -v[144:145]
	scratch_load_b128 v[142:145], off, off offset:784
	s_wait_loadcnt_dscnt 0xb01
	v_mul_f64_e32 v[182:183], v[4:5], v[176:177]
	v_mul_f64_e32 v[176:177], v[6:7], v[176:177]
	v_add_f64_e32 v[148:149], v[188:189], v[186:187]
	v_add_f64_e32 v[178:179], v[178:179], v[180:181]
	s_wait_loadcnt_dscnt 0xa00
	v_mul_f64_e32 v[180:181], v[138:139], v[10:11]
	v_mul_f64_e32 v[10:11], v[140:141], v[10:11]
	v_fmac_f64_e32 v[182:183], v[6:7], v[174:175]
	v_fma_f64 v[186:187], v[4:5], v[174:175], -v[176:177]
	v_add_f64_e32 v[188:189], v[148:149], v[146:147]
	v_add_f64_e32 v[178:179], v[178:179], v[184:185]
	ds_load_b128 v[4:7], v2 offset:1504
	ds_load_b128 v[146:149], v2 offset:1520
	scratch_load_b128 v[174:177], off, off offset:800
	v_fmac_f64_e32 v[180:181], v[140:141], v[8:9]
	v_fma_f64 v[138:139], v[138:139], v[8:9], -v[10:11]
	scratch_load_b128 v[8:11], off, off offset:816
	s_wait_loadcnt_dscnt 0xb01
	v_mul_f64_e32 v[184:185], v[4:5], v[164:165]
	v_mul_f64_e32 v[164:165], v[6:7], v[164:165]
	;; [unrolled: 18-line block ×3, first 2 shown]
	v_add_f64_e32 v[148:149], v[188:189], v[186:187]
	v_add_f64_e32 v[178:179], v[178:179], v[184:185]
	s_wait_loadcnt_dscnt 0xa00
	v_mul_f64_e32 v[184:185], v[138:139], v[14:15]
	v_mul_f64_e32 v[14:15], v[140:141], v[14:15]
	v_fmac_f64_e32 v[180:181], v[6:7], v[170:171]
	v_fma_f64 v[170:171], v[4:5], v[170:171], -v[172:173]
	v_add_f64_e32 v[172:173], v[148:149], v[146:147]
	v_add_f64_e32 v[178:179], v[178:179], v[182:183]
	ds_load_b128 v[4:7], v2 offset:1568
	ds_load_b128 v[146:149], v2 offset:1584
	v_fmac_f64_e32 v[184:185], v[140:141], v[12:13]
	v_fma_f64 v[12:13], v[138:139], v[12:13], -v[14:15]
	s_wait_loadcnt_dscnt 0x901
	v_mul_f64_e32 v[182:183], v[4:5], v[152:153]
	v_mul_f64_e32 v[152:153], v[6:7], v[152:153]
	s_wait_loadcnt_dscnt 0x800
	v_mul_f64_e32 v[140:141], v[146:147], v[132:133]
	v_mul_f64_e32 v[132:133], v[148:149], v[132:133]
	v_add_f64_e32 v[14:15], v[172:173], v[170:171]
	v_add_f64_e32 v[138:139], v[178:179], v[180:181]
	v_fmac_f64_e32 v[182:183], v[6:7], v[150:151]
	v_fma_f64 v[150:151], v[4:5], v[150:151], -v[152:153]
	v_fmac_f64_e32 v[140:141], v[148:149], v[130:131]
	v_fma_f64 v[130:131], v[146:147], v[130:131], -v[132:133]
	v_add_f64_e32 v[152:153], v[14:15], v[12:13]
	v_add_f64_e32 v[138:139], v[138:139], v[184:185]
	ds_load_b128 v[4:7], v2 offset:1600
	ds_load_b128 v[12:15], v2 offset:1616
	s_wait_loadcnt_dscnt 0x701
	v_mul_f64_e32 v[170:171], v[4:5], v[156:157]
	v_mul_f64_e32 v[156:157], v[6:7], v[156:157]
	s_wait_loadcnt_dscnt 0x600
	v_mul_f64_e32 v[146:147], v[12:13], v[136:137]
	v_mul_f64_e32 v[136:137], v[14:15], v[136:137]
	v_add_f64_e32 v[132:133], v[152:153], v[150:151]
	v_add_f64_e32 v[138:139], v[138:139], v[182:183]
	v_fmac_f64_e32 v[170:171], v[6:7], v[154:155]
	v_fma_f64 v[148:149], v[4:5], v[154:155], -v[156:157]
	v_fmac_f64_e32 v[146:147], v[14:15], v[134:135]
	v_fma_f64 v[12:13], v[12:13], v[134:135], -v[136:137]
	v_add_f64_e32 v[150:151], v[132:133], v[130:131]
	v_add_f64_e32 v[138:139], v[138:139], v[140:141]
	ds_load_b128 v[4:7], v2 offset:1632
	ds_load_b128 v[130:133], v2 offset:1648
	s_wait_loadcnt_dscnt 0x501
	v_mul_f64_e32 v[140:141], v[4:5], v[160:161]
	v_mul_f64_e32 v[152:153], v[6:7], v[160:161]
	s_wait_loadcnt_dscnt 0x400
	v_mul_f64_e32 v[136:137], v[130:131], v[144:145]
	v_add_f64_e32 v[14:15], v[150:151], v[148:149]
	v_add_f64_e32 v[134:135], v[138:139], v[170:171]
	v_mul_f64_e32 v[138:139], v[132:133], v[144:145]
	v_fmac_f64_e32 v[140:141], v[6:7], v[158:159]
	v_fma_f64 v[144:145], v[4:5], v[158:159], -v[152:153]
	v_fmac_f64_e32 v[136:137], v[132:133], v[142:143]
	v_add_f64_e32 v[148:149], v[14:15], v[12:13]
	v_add_f64_e32 v[134:135], v[134:135], v[146:147]
	ds_load_b128 v[4:7], v2 offset:1664
	ds_load_b128 v[12:15], v2 offset:1680
	v_fma_f64 v[130:131], v[130:131], v[142:143], -v[138:139]
	s_wait_loadcnt_dscnt 0x301
	v_mul_f64_e32 v[146:147], v[4:5], v[176:177]
	v_mul_f64_e32 v[150:151], v[6:7], v[176:177]
	s_wait_loadcnt_dscnt 0x200
	v_mul_f64_e32 v[138:139], v[12:13], v[10:11]
	v_mul_f64_e32 v[10:11], v[14:15], v[10:11]
	v_add_f64_e32 v[132:133], v[148:149], v[144:145]
	v_add_f64_e32 v[134:135], v[134:135], v[140:141]
	v_fmac_f64_e32 v[146:147], v[6:7], v[174:175]
	v_fma_f64 v[140:141], v[4:5], v[174:175], -v[150:151]
	v_fmac_f64_e32 v[138:139], v[14:15], v[8:9]
	v_fma_f64 v[8:9], v[12:13], v[8:9], -v[10:11]
	v_add_f64_e32 v[142:143], v[132:133], v[130:131]
	v_add_f64_e32 v[134:135], v[134:135], v[136:137]
	ds_load_b128 v[4:7], v2 offset:1696
	ds_load_b128 v[130:133], v2 offset:1712
	s_wait_loadcnt_dscnt 0x101
	v_mul_f64_e32 v[2:3], v[4:5], v[164:165]
	v_mul_f64_e32 v[136:137], v[6:7], v[164:165]
	s_wait_loadcnt_dscnt 0x0
	v_mul_f64_e32 v[14:15], v[130:131], v[128:129]
	v_mul_f64_e32 v[128:129], v[132:133], v[128:129]
	v_add_f64_e32 v[10:11], v[142:143], v[140:141]
	v_add_f64_e32 v[12:13], v[134:135], v[146:147]
	v_fmac_f64_e32 v[2:3], v[6:7], v[162:163]
	v_fma_f64 v[4:5], v[4:5], v[162:163], -v[136:137]
	v_fmac_f64_e32 v[14:15], v[132:133], v[126:127]
	v_add_f64_e32 v[6:7], v[10:11], v[8:9]
	v_add_f64_e32 v[8:9], v[12:13], v[138:139]
	v_fma_f64 v[10:11], v[130:131], v[126:127], -v[128:129]
	s_delay_alu instid0(VALU_DEP_3) | instskip(NEXT) | instid1(VALU_DEP_3)
	v_add_f64_e32 v[4:5], v[6:7], v[4:5]
	v_add_f64_e32 v[2:3], v[8:9], v[2:3]
	s_delay_alu instid0(VALU_DEP_2) | instskip(NEXT) | instid1(VALU_DEP_2)
	v_add_f64_e32 v[4:5], v[4:5], v[10:11]
	v_add_f64_e32 v[6:7], v[2:3], v[14:15]
	s_delay_alu instid0(VALU_DEP_2) | instskip(NEXT) | instid1(VALU_DEP_2)
	v_add_f64_e64 v[2:3], v[166:167], -v[4:5]
	v_add_f64_e64 v[4:5], v[168:169], -v[6:7]
	scratch_store_b128 off, v[2:5], off offset:208
	s_wait_xcnt 0x0
	v_cmpx_lt_u32_e32 12, v1
	s_cbranch_execz .LBB117_313
; %bb.312:
	scratch_load_b128 v[2:5], off, s58
	v_mov_b32_e32 v6, 0
	s_delay_alu instid0(VALU_DEP_1)
	v_dual_mov_b32 v7, v6 :: v_dual_mov_b32 v8, v6
	v_mov_b32_e32 v9, v6
	scratch_store_b128 off, v[6:9], off offset:192
	s_wait_loadcnt 0x0
	ds_store_b128 v124, v[2:5]
.LBB117_313:
	s_wait_xcnt 0x0
	s_or_b32 exec_lo, exec_lo, s2
	s_wait_storecnt_dscnt 0x0
	s_barrier_signal -1
	s_barrier_wait -1
	s_clause 0x9
	scratch_load_b128 v[4:7], off, off offset:208
	scratch_load_b128 v[8:11], off, off offset:224
	;; [unrolled: 1-line block ×10, first 2 shown]
	v_mov_b32_e32 v2, 0
	s_mov_b32 s2, exec_lo
	ds_load_b128 v[154:157], v2 offset:1072
	s_clause 0x2
	scratch_load_b128 v[158:161], off, off offset:368
	scratch_load_b128 v[162:165], off, off offset:192
	;; [unrolled: 1-line block ×3, first 2 shown]
	s_wait_loadcnt_dscnt 0xc00
	v_mul_f64_e32 v[174:175], v[156:157], v[6:7]
	v_mul_f64_e32 v[178:179], v[154:155], v[6:7]
	ds_load_b128 v[166:169], v2 offset:1088
	v_fma_f64 v[182:183], v[154:155], v[4:5], -v[174:175]
	v_fmac_f64_e32 v[178:179], v[156:157], v[4:5]
	ds_load_b128 v[4:7], v2 offset:1104
	s_wait_loadcnt_dscnt 0xb01
	v_mul_f64_e32 v[180:181], v[166:167], v[10:11]
	v_mul_f64_e32 v[10:11], v[168:169], v[10:11]
	scratch_load_b128 v[154:157], off, off offset:400
	ds_load_b128 v[174:177], v2 offset:1120
	s_wait_loadcnt_dscnt 0xb01
	v_mul_f64_e32 v[184:185], v[4:5], v[14:15]
	v_mul_f64_e32 v[14:15], v[6:7], v[14:15]
	v_add_f64_e32 v[178:179], 0, v[178:179]
	v_fmac_f64_e32 v[180:181], v[168:169], v[8:9]
	v_fma_f64 v[166:167], v[166:167], v[8:9], -v[10:11]
	v_add_f64_e32 v[168:169], 0, v[182:183]
	scratch_load_b128 v[8:11], off, off offset:416
	v_fmac_f64_e32 v[184:185], v[6:7], v[12:13]
	v_fma_f64 v[186:187], v[4:5], v[12:13], -v[14:15]
	ds_load_b128 v[4:7], v2 offset:1136
	s_wait_loadcnt_dscnt 0xb01
	v_mul_f64_e32 v[182:183], v[174:175], v[128:129]
	v_mul_f64_e32 v[128:129], v[176:177], v[128:129]
	scratch_load_b128 v[12:15], off, off offset:432
	v_add_f64_e32 v[178:179], v[178:179], v[180:181]
	v_add_f64_e32 v[188:189], v[168:169], v[166:167]
	ds_load_b128 v[166:169], v2 offset:1152
	s_wait_loadcnt_dscnt 0xb01
	v_mul_f64_e32 v[180:181], v[4:5], v[132:133]
	v_mul_f64_e32 v[132:133], v[6:7], v[132:133]
	v_fmac_f64_e32 v[182:183], v[176:177], v[126:127]
	v_fma_f64 v[174:175], v[174:175], v[126:127], -v[128:129]
	scratch_load_b128 v[126:129], off, off offset:448
	v_add_f64_e32 v[178:179], v[178:179], v[184:185]
	v_add_f64_e32 v[176:177], v[188:189], v[186:187]
	v_fmac_f64_e32 v[180:181], v[6:7], v[130:131]
	v_fma_f64 v[186:187], v[4:5], v[130:131], -v[132:133]
	ds_load_b128 v[4:7], v2 offset:1168
	s_wait_loadcnt_dscnt 0xb01
	v_mul_f64_e32 v[184:185], v[166:167], v[136:137]
	v_mul_f64_e32 v[136:137], v[168:169], v[136:137]
	scratch_load_b128 v[130:133], off, off offset:464
	v_add_f64_e32 v[178:179], v[178:179], v[182:183]
	s_wait_loadcnt_dscnt 0xb00
	v_mul_f64_e32 v[182:183], v[4:5], v[140:141]
	v_add_f64_e32 v[188:189], v[176:177], v[174:175]
	v_mul_f64_e32 v[140:141], v[6:7], v[140:141]
	ds_load_b128 v[174:177], v2 offset:1184
	v_fmac_f64_e32 v[184:185], v[168:169], v[134:135]
	v_fma_f64 v[166:167], v[166:167], v[134:135], -v[136:137]
	scratch_load_b128 v[134:137], off, off offset:480
	v_add_f64_e32 v[178:179], v[178:179], v[180:181]
	v_fmac_f64_e32 v[182:183], v[6:7], v[138:139]
	v_add_f64_e32 v[168:169], v[188:189], v[186:187]
	v_fma_f64 v[186:187], v[4:5], v[138:139], -v[140:141]
	ds_load_b128 v[4:7], v2 offset:1200
	s_wait_loadcnt_dscnt 0xb01
	v_mul_f64_e32 v[180:181], v[174:175], v[144:145]
	v_mul_f64_e32 v[144:145], v[176:177], v[144:145]
	scratch_load_b128 v[138:141], off, off offset:496
	v_add_f64_e32 v[178:179], v[178:179], v[184:185]
	s_wait_loadcnt_dscnt 0xb00
	v_mul_f64_e32 v[184:185], v[4:5], v[148:149]
	v_add_f64_e32 v[188:189], v[168:169], v[166:167]
	v_mul_f64_e32 v[148:149], v[6:7], v[148:149]
	ds_load_b128 v[166:169], v2 offset:1216
	v_fmac_f64_e32 v[180:181], v[176:177], v[142:143]
	v_fma_f64 v[174:175], v[174:175], v[142:143], -v[144:145]
	scratch_load_b128 v[142:145], off, off offset:512
	v_add_f64_e32 v[178:179], v[178:179], v[182:183]
	v_fmac_f64_e32 v[184:185], v[6:7], v[146:147]
	v_add_f64_e32 v[176:177], v[188:189], v[186:187]
	;; [unrolled: 18-line block ×3, first 2 shown]
	v_fma_f64 v[186:187], v[4:5], v[158:159], -v[160:161]
	ds_load_b128 v[4:7], v2 offset:1264
	s_wait_loadcnt_dscnt 0xa01
	v_mul_f64_e32 v[184:185], v[174:175], v[172:173]
	v_mul_f64_e32 v[172:173], v[176:177], v[172:173]
	scratch_load_b128 v[158:161], off, off offset:560
	v_add_f64_e32 v[178:179], v[178:179], v[182:183]
	v_add_f64_e32 v[188:189], v[168:169], v[166:167]
	s_wait_loadcnt_dscnt 0xa00
	v_mul_f64_e32 v[182:183], v[4:5], v[156:157]
	v_mul_f64_e32 v[156:157], v[6:7], v[156:157]
	v_fmac_f64_e32 v[184:185], v[176:177], v[170:171]
	v_fma_f64 v[174:175], v[174:175], v[170:171], -v[172:173]
	ds_load_b128 v[166:169], v2 offset:1280
	scratch_load_b128 v[170:173], off, off offset:576
	v_add_f64_e32 v[178:179], v[178:179], v[180:181]
	v_add_f64_e32 v[176:177], v[188:189], v[186:187]
	v_fmac_f64_e32 v[182:183], v[6:7], v[154:155]
	v_fma_f64 v[186:187], v[4:5], v[154:155], -v[156:157]
	ds_load_b128 v[4:7], v2 offset:1296
	s_wait_loadcnt_dscnt 0xa01
	v_mul_f64_e32 v[180:181], v[166:167], v[10:11]
	v_mul_f64_e32 v[10:11], v[168:169], v[10:11]
	scratch_load_b128 v[154:157], off, off offset:592
	v_add_f64_e32 v[178:179], v[178:179], v[184:185]
	s_wait_loadcnt_dscnt 0xa00
	v_mul_f64_e32 v[184:185], v[4:5], v[14:15]
	v_add_f64_e32 v[188:189], v[176:177], v[174:175]
	v_mul_f64_e32 v[14:15], v[6:7], v[14:15]
	ds_load_b128 v[174:177], v2 offset:1312
	v_fmac_f64_e32 v[180:181], v[168:169], v[8:9]
	v_fma_f64 v[166:167], v[166:167], v[8:9], -v[10:11]
	scratch_load_b128 v[8:11], off, off offset:608
	v_add_f64_e32 v[178:179], v[178:179], v[182:183]
	v_fmac_f64_e32 v[184:185], v[6:7], v[12:13]
	v_add_f64_e32 v[168:169], v[188:189], v[186:187]
	v_fma_f64 v[186:187], v[4:5], v[12:13], -v[14:15]
	ds_load_b128 v[4:7], v2 offset:1328
	s_wait_loadcnt_dscnt 0xa01
	v_mul_f64_e32 v[182:183], v[174:175], v[128:129]
	v_mul_f64_e32 v[128:129], v[176:177], v[128:129]
	scratch_load_b128 v[12:15], off, off offset:624
	v_add_f64_e32 v[178:179], v[178:179], v[180:181]
	s_wait_loadcnt_dscnt 0xa00
	v_mul_f64_e32 v[180:181], v[4:5], v[132:133]
	v_add_f64_e32 v[188:189], v[168:169], v[166:167]
	v_mul_f64_e32 v[132:133], v[6:7], v[132:133]
	ds_load_b128 v[166:169], v2 offset:1344
	v_fmac_f64_e32 v[182:183], v[176:177], v[126:127]
	v_fma_f64 v[174:175], v[174:175], v[126:127], -v[128:129]
	scratch_load_b128 v[126:129], off, off offset:640
	v_add_f64_e32 v[178:179], v[178:179], v[184:185]
	v_fmac_f64_e32 v[180:181], v[6:7], v[130:131]
	v_add_f64_e32 v[176:177], v[188:189], v[186:187]
	;; [unrolled: 18-line block ×8, first 2 shown]
	v_fma_f64 v[186:187], v[4:5], v[130:131], -v[132:133]
	ds_load_b128 v[4:7], v2 offset:1552
	s_wait_loadcnt_dscnt 0xa01
	v_mul_f64_e32 v[184:185], v[166:167], v[136:137]
	v_mul_f64_e32 v[136:137], v[168:169], v[136:137]
	scratch_load_b128 v[130:133], off, off offset:848
	v_add_f64_e32 v[178:179], v[178:179], v[182:183]
	s_wait_loadcnt_dscnt 0xa00
	v_mul_f64_e32 v[182:183], v[4:5], v[140:141]
	v_add_f64_e32 v[188:189], v[176:177], v[174:175]
	v_mul_f64_e32 v[140:141], v[6:7], v[140:141]
	ds_load_b128 v[174:177], v2 offset:1568
	v_fmac_f64_e32 v[184:185], v[168:169], v[134:135]
	v_fma_f64 v[134:135], v[166:167], v[134:135], -v[136:137]
	s_wait_loadcnt_dscnt 0x900
	v_mul_f64_e32 v[168:169], v[174:175], v[144:145]
	v_mul_f64_e32 v[144:145], v[176:177], v[144:145]
	v_add_f64_e32 v[166:167], v[178:179], v[180:181]
	v_fmac_f64_e32 v[182:183], v[6:7], v[138:139]
	v_add_f64_e32 v[136:137], v[188:189], v[186:187]
	v_fma_f64 v[138:139], v[4:5], v[138:139], -v[140:141]
	v_fmac_f64_e32 v[168:169], v[176:177], v[142:143]
	v_fma_f64 v[142:143], v[174:175], v[142:143], -v[144:145]
	v_add_f64_e32 v[166:167], v[166:167], v[184:185]
	v_add_f64_e32 v[140:141], v[136:137], v[134:135]
	ds_load_b128 v[4:7], v2 offset:1584
	ds_load_b128 v[134:137], v2 offset:1600
	s_wait_loadcnt_dscnt 0x801
	v_mul_f64_e32 v[178:179], v[4:5], v[148:149]
	v_mul_f64_e32 v[148:149], v[6:7], v[148:149]
	s_wait_loadcnt_dscnt 0x700
	v_mul_f64_e32 v[144:145], v[134:135], v[152:153]
	v_mul_f64_e32 v[152:153], v[136:137], v[152:153]
	v_add_f64_e32 v[138:139], v[140:141], v[138:139]
	v_add_f64_e32 v[140:141], v[166:167], v[182:183]
	v_fmac_f64_e32 v[178:179], v[6:7], v[146:147]
	v_fma_f64 v[146:147], v[4:5], v[146:147], -v[148:149]
	v_fmac_f64_e32 v[144:145], v[136:137], v[150:151]
	v_fma_f64 v[134:135], v[134:135], v[150:151], -v[152:153]
	v_add_f64_e32 v[142:143], v[138:139], v[142:143]
	v_add_f64_e32 v[148:149], v[140:141], v[168:169]
	ds_load_b128 v[4:7], v2 offset:1616
	ds_load_b128 v[138:141], v2 offset:1632
	s_wait_loadcnt_dscnt 0x601
	v_mul_f64_e32 v[166:167], v[4:5], v[160:161]
	v_mul_f64_e32 v[160:161], v[6:7], v[160:161]
	v_add_f64_e32 v[136:137], v[142:143], v[146:147]
	v_add_f64_e32 v[142:143], v[148:149], v[178:179]
	s_wait_loadcnt_dscnt 0x500
	v_mul_f64_e32 v[146:147], v[138:139], v[172:173]
	v_mul_f64_e32 v[148:149], v[140:141], v[172:173]
	v_fmac_f64_e32 v[166:167], v[6:7], v[158:159]
	v_fma_f64 v[150:151], v[4:5], v[158:159], -v[160:161]
	v_add_f64_e32 v[152:153], v[136:137], v[134:135]
	v_add_f64_e32 v[142:143], v[142:143], v[144:145]
	ds_load_b128 v[4:7], v2 offset:1648
	ds_load_b128 v[134:137], v2 offset:1664
	v_fmac_f64_e32 v[146:147], v[140:141], v[170:171]
	v_fma_f64 v[138:139], v[138:139], v[170:171], -v[148:149]
	s_wait_loadcnt_dscnt 0x401
	v_mul_f64_e32 v[144:145], v[4:5], v[156:157]
	v_mul_f64_e32 v[156:157], v[6:7], v[156:157]
	s_wait_loadcnt_dscnt 0x300
	v_mul_f64_e32 v[148:149], v[134:135], v[10:11]
	v_mul_f64_e32 v[10:11], v[136:137], v[10:11]
	v_add_f64_e32 v[140:141], v[152:153], v[150:151]
	v_add_f64_e32 v[142:143], v[142:143], v[166:167]
	v_fmac_f64_e32 v[144:145], v[6:7], v[154:155]
	v_fma_f64 v[150:151], v[4:5], v[154:155], -v[156:157]
	v_fmac_f64_e32 v[148:149], v[136:137], v[8:9]
	v_fma_f64 v[8:9], v[134:135], v[8:9], -v[10:11]
	v_add_f64_e32 v[152:153], v[140:141], v[138:139]
	v_add_f64_e32 v[142:143], v[142:143], v[146:147]
	ds_load_b128 v[4:7], v2 offset:1680
	ds_load_b128 v[138:141], v2 offset:1696
	s_wait_loadcnt_dscnt 0x201
	v_mul_f64_e32 v[146:147], v[4:5], v[14:15]
	v_mul_f64_e32 v[14:15], v[6:7], v[14:15]
	s_wait_loadcnt_dscnt 0x100
	v_mul_f64_e32 v[136:137], v[138:139], v[128:129]
	v_mul_f64_e32 v[128:129], v[140:141], v[128:129]
	v_add_f64_e32 v[10:11], v[152:153], v[150:151]
	v_add_f64_e32 v[134:135], v[142:143], v[144:145]
	v_fmac_f64_e32 v[146:147], v[6:7], v[12:13]
	v_fma_f64 v[12:13], v[4:5], v[12:13], -v[14:15]
	ds_load_b128 v[4:7], v2 offset:1712
	v_fmac_f64_e32 v[136:137], v[140:141], v[126:127]
	v_fma_f64 v[126:127], v[138:139], v[126:127], -v[128:129]
	v_add_f64_e32 v[8:9], v[10:11], v[8:9]
	v_add_f64_e32 v[10:11], v[134:135], v[148:149]
	s_wait_loadcnt_dscnt 0x0
	v_mul_f64_e32 v[14:15], v[4:5], v[132:133]
	v_mul_f64_e32 v[132:133], v[6:7], v[132:133]
	s_delay_alu instid0(VALU_DEP_4) | instskip(NEXT) | instid1(VALU_DEP_4)
	v_add_f64_e32 v[8:9], v[8:9], v[12:13]
	v_add_f64_e32 v[10:11], v[10:11], v[146:147]
	s_delay_alu instid0(VALU_DEP_4) | instskip(NEXT) | instid1(VALU_DEP_4)
	v_fmac_f64_e32 v[14:15], v[6:7], v[130:131]
	v_fma_f64 v[4:5], v[4:5], v[130:131], -v[132:133]
	s_delay_alu instid0(VALU_DEP_4) | instskip(NEXT) | instid1(VALU_DEP_4)
	v_add_f64_e32 v[6:7], v[8:9], v[126:127]
	v_add_f64_e32 v[8:9], v[10:11], v[136:137]
	s_delay_alu instid0(VALU_DEP_2) | instskip(NEXT) | instid1(VALU_DEP_2)
	v_add_f64_e32 v[4:5], v[6:7], v[4:5]
	v_add_f64_e32 v[6:7], v[8:9], v[14:15]
	s_delay_alu instid0(VALU_DEP_2) | instskip(NEXT) | instid1(VALU_DEP_2)
	v_add_f64_e64 v[4:5], v[162:163], -v[4:5]
	v_add_f64_e64 v[6:7], v[164:165], -v[6:7]
	scratch_store_b128 off, v[4:7], off offset:192
	s_wait_xcnt 0x0
	v_cmpx_lt_u32_e32 11, v1
	s_cbranch_execz .LBB117_315
; %bb.314:
	scratch_load_b128 v[6:9], off, s59
	v_dual_mov_b32 v3, v2 :: v_dual_mov_b32 v4, v2
	v_mov_b32_e32 v5, v2
	scratch_store_b128 off, v[2:5], off offset:176
	s_wait_loadcnt 0x0
	ds_store_b128 v124, v[6:9]
.LBB117_315:
	s_wait_xcnt 0x0
	s_or_b32 exec_lo, exec_lo, s2
	s_wait_storecnt_dscnt 0x0
	s_barrier_signal -1
	s_barrier_wait -1
	s_clause 0x9
	scratch_load_b128 v[4:7], off, off offset:192
	scratch_load_b128 v[8:11], off, off offset:208
	;; [unrolled: 1-line block ×10, first 2 shown]
	ds_load_b128 v[154:157], v2 offset:1056
	ds_load_b128 v[162:165], v2 offset:1072
	s_clause 0x2
	scratch_load_b128 v[158:161], off, off offset:352
	scratch_load_b128 v[166:169], off, off offset:176
	;; [unrolled: 1-line block ×3, first 2 shown]
	s_mov_b32 s2, exec_lo
	s_wait_loadcnt_dscnt 0xc01
	v_mul_f64_e32 v[174:175], v[156:157], v[6:7]
	v_mul_f64_e32 v[178:179], v[154:155], v[6:7]
	s_wait_loadcnt_dscnt 0xb00
	v_mul_f64_e32 v[180:181], v[162:163], v[10:11]
	v_mul_f64_e32 v[10:11], v[164:165], v[10:11]
	s_delay_alu instid0(VALU_DEP_4) | instskip(NEXT) | instid1(VALU_DEP_4)
	v_fma_f64 v[182:183], v[154:155], v[4:5], -v[174:175]
	v_fmac_f64_e32 v[178:179], v[156:157], v[4:5]
	ds_load_b128 v[4:7], v2 offset:1088
	ds_load_b128 v[154:157], v2 offset:1104
	scratch_load_b128 v[174:177], off, off offset:384
	v_fmac_f64_e32 v[180:181], v[164:165], v[8:9]
	v_fma_f64 v[162:163], v[162:163], v[8:9], -v[10:11]
	scratch_load_b128 v[8:11], off, off offset:400
	s_wait_loadcnt_dscnt 0xc01
	v_mul_f64_e32 v[184:185], v[4:5], v[14:15]
	v_mul_f64_e32 v[14:15], v[6:7], v[14:15]
	v_add_f64_e32 v[164:165], 0, v[182:183]
	v_add_f64_e32 v[178:179], 0, v[178:179]
	s_wait_loadcnt_dscnt 0xb00
	v_mul_f64_e32 v[182:183], v[154:155], v[128:129]
	v_mul_f64_e32 v[128:129], v[156:157], v[128:129]
	v_fmac_f64_e32 v[184:185], v[6:7], v[12:13]
	v_fma_f64 v[186:187], v[4:5], v[12:13], -v[14:15]
	ds_load_b128 v[4:7], v2 offset:1120
	ds_load_b128 v[12:15], v2 offset:1136
	v_add_f64_e32 v[188:189], v[164:165], v[162:163]
	v_add_f64_e32 v[178:179], v[178:179], v[180:181]
	scratch_load_b128 v[162:165], off, off offset:416
	v_fmac_f64_e32 v[182:183], v[156:157], v[126:127]
	v_fma_f64 v[154:155], v[154:155], v[126:127], -v[128:129]
	scratch_load_b128 v[126:129], off, off offset:432
	s_wait_loadcnt_dscnt 0xc01
	v_mul_f64_e32 v[180:181], v[4:5], v[132:133]
	v_mul_f64_e32 v[132:133], v[6:7], v[132:133]
	v_add_f64_e32 v[156:157], v[188:189], v[186:187]
	v_add_f64_e32 v[178:179], v[178:179], v[184:185]
	s_wait_loadcnt_dscnt 0xb00
	v_mul_f64_e32 v[184:185], v[12:13], v[136:137]
	v_mul_f64_e32 v[136:137], v[14:15], v[136:137]
	v_fmac_f64_e32 v[180:181], v[6:7], v[130:131]
	v_fma_f64 v[186:187], v[4:5], v[130:131], -v[132:133]
	ds_load_b128 v[4:7], v2 offset:1152
	ds_load_b128 v[130:133], v2 offset:1168
	v_add_f64_e32 v[188:189], v[156:157], v[154:155]
	v_add_f64_e32 v[178:179], v[178:179], v[182:183]
	scratch_load_b128 v[154:157], off, off offset:448
	s_wait_loadcnt_dscnt 0xb01
	v_mul_f64_e32 v[182:183], v[4:5], v[140:141]
	v_mul_f64_e32 v[140:141], v[6:7], v[140:141]
	v_fmac_f64_e32 v[184:185], v[14:15], v[134:135]
	v_fma_f64 v[134:135], v[12:13], v[134:135], -v[136:137]
	scratch_load_b128 v[12:15], off, off offset:464
	v_add_f64_e32 v[136:137], v[188:189], v[186:187]
	v_add_f64_e32 v[178:179], v[178:179], v[180:181]
	s_wait_loadcnt_dscnt 0xb00
	v_mul_f64_e32 v[180:181], v[130:131], v[144:145]
	v_mul_f64_e32 v[144:145], v[132:133], v[144:145]
	v_fmac_f64_e32 v[182:183], v[6:7], v[138:139]
	v_fma_f64 v[186:187], v[4:5], v[138:139], -v[140:141]
	v_add_f64_e32 v[188:189], v[136:137], v[134:135]
	v_add_f64_e32 v[178:179], v[178:179], v[184:185]
	ds_load_b128 v[4:7], v2 offset:1184
	ds_load_b128 v[134:137], v2 offset:1200
	scratch_load_b128 v[138:141], off, off offset:480
	v_fmac_f64_e32 v[180:181], v[132:133], v[142:143]
	v_fma_f64 v[142:143], v[130:131], v[142:143], -v[144:145]
	scratch_load_b128 v[130:133], off, off offset:496
	s_wait_loadcnt_dscnt 0xc01
	v_mul_f64_e32 v[184:185], v[4:5], v[148:149]
	v_mul_f64_e32 v[148:149], v[6:7], v[148:149]
	v_add_f64_e32 v[144:145], v[188:189], v[186:187]
	v_add_f64_e32 v[178:179], v[178:179], v[182:183]
	s_wait_loadcnt_dscnt 0xb00
	v_mul_f64_e32 v[182:183], v[134:135], v[152:153]
	v_mul_f64_e32 v[152:153], v[136:137], v[152:153]
	v_fmac_f64_e32 v[184:185], v[6:7], v[146:147]
	v_fma_f64 v[186:187], v[4:5], v[146:147], -v[148:149]
	v_add_f64_e32 v[188:189], v[144:145], v[142:143]
	v_add_f64_e32 v[178:179], v[178:179], v[180:181]
	ds_load_b128 v[4:7], v2 offset:1216
	ds_load_b128 v[142:145], v2 offset:1232
	scratch_load_b128 v[146:149], off, off offset:512
	v_fmac_f64_e32 v[182:183], v[136:137], v[150:151]
	v_fma_f64 v[150:151], v[134:135], v[150:151], -v[152:153]
	scratch_load_b128 v[134:137], off, off offset:528
	s_wait_loadcnt_dscnt 0xc01
	v_mul_f64_e32 v[180:181], v[4:5], v[160:161]
	v_mul_f64_e32 v[160:161], v[6:7], v[160:161]
	;; [unrolled: 18-line block ×5, first 2 shown]
	v_add_f64_e32 v[172:173], v[188:189], v[186:187]
	v_add_f64_e32 v[178:179], v[178:179], v[184:185]
	s_wait_loadcnt_dscnt 0xa00
	v_mul_f64_e32 v[184:185], v[150:151], v[14:15]
	v_mul_f64_e32 v[14:15], v[152:153], v[14:15]
	v_fmac_f64_e32 v[180:181], v[6:7], v[154:155]
	v_fma_f64 v[186:187], v[4:5], v[154:155], -v[156:157]
	ds_load_b128 v[4:7], v2 offset:1344
	ds_load_b128 v[154:157], v2 offset:1360
	v_add_f64_e32 v[188:189], v[172:173], v[170:171]
	v_add_f64_e32 v[178:179], v[178:179], v[182:183]
	scratch_load_b128 v[170:173], off, off offset:640
	v_fmac_f64_e32 v[184:185], v[152:153], v[12:13]
	v_fma_f64 v[150:151], v[150:151], v[12:13], -v[14:15]
	scratch_load_b128 v[12:15], off, off offset:656
	s_wait_loadcnt_dscnt 0xb01
	v_mul_f64_e32 v[182:183], v[4:5], v[140:141]
	v_mul_f64_e32 v[140:141], v[6:7], v[140:141]
	v_add_f64_e32 v[152:153], v[188:189], v[186:187]
	v_add_f64_e32 v[178:179], v[178:179], v[180:181]
	s_wait_loadcnt_dscnt 0xa00
	v_mul_f64_e32 v[180:181], v[154:155], v[132:133]
	v_mul_f64_e32 v[132:133], v[156:157], v[132:133]
	v_fmac_f64_e32 v[182:183], v[6:7], v[138:139]
	v_fma_f64 v[186:187], v[4:5], v[138:139], -v[140:141]
	ds_load_b128 v[4:7], v2 offset:1376
	ds_load_b128 v[138:141], v2 offset:1392
	v_add_f64_e32 v[188:189], v[152:153], v[150:151]
	v_add_f64_e32 v[178:179], v[178:179], v[184:185]
	scratch_load_b128 v[150:153], off, off offset:672
	s_wait_loadcnt_dscnt 0xa01
	v_mul_f64_e32 v[184:185], v[4:5], v[148:149]
	v_mul_f64_e32 v[148:149], v[6:7], v[148:149]
	v_fmac_f64_e32 v[180:181], v[156:157], v[130:131]
	v_fma_f64 v[154:155], v[154:155], v[130:131], -v[132:133]
	scratch_load_b128 v[130:133], off, off offset:688
	v_add_f64_e32 v[156:157], v[188:189], v[186:187]
	v_add_f64_e32 v[178:179], v[178:179], v[182:183]
	s_wait_loadcnt_dscnt 0xa00
	v_mul_f64_e32 v[182:183], v[138:139], v[136:137]
	v_mul_f64_e32 v[136:137], v[140:141], v[136:137]
	v_fmac_f64_e32 v[184:185], v[6:7], v[146:147]
	v_fma_f64 v[186:187], v[4:5], v[146:147], -v[148:149]
	ds_load_b128 v[4:7], v2 offset:1408
	ds_load_b128 v[146:149], v2 offset:1424
	v_add_f64_e32 v[188:189], v[156:157], v[154:155]
	v_add_f64_e32 v[178:179], v[178:179], v[180:181]
	scratch_load_b128 v[154:157], off, off offset:704
	s_wait_loadcnt_dscnt 0xa01
	v_mul_f64_e32 v[180:181], v[4:5], v[160:161]
	v_mul_f64_e32 v[160:161], v[6:7], v[160:161]
	v_fmac_f64_e32 v[182:183], v[140:141], v[134:135]
	v_fma_f64 v[138:139], v[138:139], v[134:135], -v[136:137]
	scratch_load_b128 v[134:137], off, off offset:720
	v_add_f64_e32 v[140:141], v[188:189], v[186:187]
	v_add_f64_e32 v[178:179], v[178:179], v[184:185]
	s_wait_loadcnt_dscnt 0xa00
	v_mul_f64_e32 v[184:185], v[146:147], v[144:145]
	v_mul_f64_e32 v[144:145], v[148:149], v[144:145]
	v_fmac_f64_e32 v[180:181], v[6:7], v[158:159]
	v_fma_f64 v[186:187], v[4:5], v[158:159], -v[160:161]
	v_add_f64_e32 v[188:189], v[140:141], v[138:139]
	v_add_f64_e32 v[178:179], v[178:179], v[182:183]
	ds_load_b128 v[4:7], v2 offset:1440
	ds_load_b128 v[138:141], v2 offset:1456
	scratch_load_b128 v[158:161], off, off offset:736
	v_fmac_f64_e32 v[184:185], v[148:149], v[142:143]
	v_fma_f64 v[146:147], v[146:147], v[142:143], -v[144:145]
	scratch_load_b128 v[142:145], off, off offset:752
	s_wait_loadcnt_dscnt 0xb01
	v_mul_f64_e32 v[182:183], v[4:5], v[176:177]
	v_mul_f64_e32 v[176:177], v[6:7], v[176:177]
	v_add_f64_e32 v[148:149], v[188:189], v[186:187]
	v_add_f64_e32 v[178:179], v[178:179], v[180:181]
	s_wait_loadcnt_dscnt 0xa00
	v_mul_f64_e32 v[180:181], v[138:139], v[10:11]
	v_mul_f64_e32 v[10:11], v[140:141], v[10:11]
	v_fmac_f64_e32 v[182:183], v[6:7], v[174:175]
	v_fma_f64 v[186:187], v[4:5], v[174:175], -v[176:177]
	v_add_f64_e32 v[188:189], v[148:149], v[146:147]
	v_add_f64_e32 v[178:179], v[178:179], v[184:185]
	ds_load_b128 v[4:7], v2 offset:1472
	ds_load_b128 v[146:149], v2 offset:1488
	scratch_load_b128 v[174:177], off, off offset:768
	v_fmac_f64_e32 v[180:181], v[140:141], v[8:9]
	v_fma_f64 v[138:139], v[138:139], v[8:9], -v[10:11]
	scratch_load_b128 v[8:11], off, off offset:784
	s_wait_loadcnt_dscnt 0xb01
	v_mul_f64_e32 v[184:185], v[4:5], v[164:165]
	v_mul_f64_e32 v[164:165], v[6:7], v[164:165]
	;; [unrolled: 18-line block ×4, first 2 shown]
	v_add_f64_e32 v[140:141], v[188:189], v[186:187]
	v_add_f64_e32 v[178:179], v[178:179], v[180:181]
	s_wait_loadcnt_dscnt 0xa00
	v_mul_f64_e32 v[180:181], v[146:147], v[132:133]
	v_mul_f64_e32 v[132:133], v[148:149], v[132:133]
	v_fmac_f64_e32 v[182:183], v[6:7], v[150:151]
	v_fma_f64 v[150:151], v[4:5], v[150:151], -v[152:153]
	v_add_f64_e32 v[152:153], v[140:141], v[138:139]
	v_add_f64_e32 v[178:179], v[178:179], v[184:185]
	ds_load_b128 v[4:7], v2 offset:1568
	ds_load_b128 v[138:141], v2 offset:1584
	v_fmac_f64_e32 v[180:181], v[148:149], v[130:131]
	v_fma_f64 v[130:131], v[146:147], v[130:131], -v[132:133]
	s_wait_loadcnt_dscnt 0x901
	v_mul_f64_e32 v[184:185], v[4:5], v[156:157]
	v_mul_f64_e32 v[156:157], v[6:7], v[156:157]
	s_wait_loadcnt_dscnt 0x800
	v_mul_f64_e32 v[148:149], v[138:139], v[136:137]
	v_mul_f64_e32 v[136:137], v[140:141], v[136:137]
	v_add_f64_e32 v[132:133], v[152:153], v[150:151]
	v_add_f64_e32 v[146:147], v[178:179], v[182:183]
	v_fmac_f64_e32 v[184:185], v[6:7], v[154:155]
	v_fma_f64 v[150:151], v[4:5], v[154:155], -v[156:157]
	v_fmac_f64_e32 v[148:149], v[140:141], v[134:135]
	v_fma_f64 v[134:135], v[138:139], v[134:135], -v[136:137]
	v_add_f64_e32 v[152:153], v[132:133], v[130:131]
	v_add_f64_e32 v[146:147], v[146:147], v[180:181]
	ds_load_b128 v[4:7], v2 offset:1600
	ds_load_b128 v[130:133], v2 offset:1616
	s_wait_loadcnt_dscnt 0x701
	v_mul_f64_e32 v[154:155], v[4:5], v[160:161]
	v_mul_f64_e32 v[156:157], v[6:7], v[160:161]
	s_wait_loadcnt_dscnt 0x600
	v_mul_f64_e32 v[140:141], v[130:131], v[144:145]
	v_mul_f64_e32 v[144:145], v[132:133], v[144:145]
	v_add_f64_e32 v[136:137], v[152:153], v[150:151]
	v_add_f64_e32 v[138:139], v[146:147], v[184:185]
	v_fmac_f64_e32 v[154:155], v[6:7], v[158:159]
	v_fma_f64 v[146:147], v[4:5], v[158:159], -v[156:157]
	v_fmac_f64_e32 v[140:141], v[132:133], v[142:143]
	v_fma_f64 v[130:131], v[130:131], v[142:143], -v[144:145]
	v_add_f64_e32 v[150:151], v[136:137], v[134:135]
	v_add_f64_e32 v[138:139], v[138:139], v[148:149]
	ds_load_b128 v[4:7], v2 offset:1632
	ds_load_b128 v[134:137], v2 offset:1648
	;; [unrolled: 16-line block ×4, first 2 shown]
	s_wait_loadcnt_dscnt 0x101
	v_mul_f64_e32 v[2:3], v[4:5], v[172:173]
	v_mul_f64_e32 v[142:143], v[6:7], v[172:173]
	s_wait_loadcnt_dscnt 0x0
	v_mul_f64_e32 v[132:133], v[8:9], v[14:15]
	v_mul_f64_e32 v[14:15], v[10:11], v[14:15]
	v_add_f64_e32 v[128:129], v[144:145], v[138:139]
	v_add_f64_e32 v[130:131], v[134:135], v[140:141]
	v_fmac_f64_e32 v[2:3], v[6:7], v[170:171]
	v_fma_f64 v[4:5], v[4:5], v[170:171], -v[142:143]
	v_fmac_f64_e32 v[132:133], v[10:11], v[12:13]
	v_fma_f64 v[8:9], v[8:9], v[12:13], -v[14:15]
	v_add_f64_e32 v[6:7], v[128:129], v[126:127]
	v_add_f64_e32 v[126:127], v[130:131], v[136:137]
	s_delay_alu instid0(VALU_DEP_2) | instskip(NEXT) | instid1(VALU_DEP_2)
	v_add_f64_e32 v[4:5], v[6:7], v[4:5]
	v_add_f64_e32 v[2:3], v[126:127], v[2:3]
	s_delay_alu instid0(VALU_DEP_2) | instskip(NEXT) | instid1(VALU_DEP_2)
	v_add_f64_e32 v[4:5], v[4:5], v[8:9]
	v_add_f64_e32 v[6:7], v[2:3], v[132:133]
	s_delay_alu instid0(VALU_DEP_2) | instskip(NEXT) | instid1(VALU_DEP_2)
	v_add_f64_e64 v[2:3], v[166:167], -v[4:5]
	v_add_f64_e64 v[4:5], v[168:169], -v[6:7]
	scratch_store_b128 off, v[2:5], off offset:176
	s_wait_xcnt 0x0
	v_cmpx_lt_u32_e32 10, v1
	s_cbranch_execz .LBB117_317
; %bb.316:
	scratch_load_b128 v[2:5], off, s60
	v_mov_b32_e32 v6, 0
	s_delay_alu instid0(VALU_DEP_1)
	v_dual_mov_b32 v7, v6 :: v_dual_mov_b32 v8, v6
	v_mov_b32_e32 v9, v6
	scratch_store_b128 off, v[6:9], off offset:160
	s_wait_loadcnt 0x0
	ds_store_b128 v124, v[2:5]
.LBB117_317:
	s_wait_xcnt 0x0
	s_or_b32 exec_lo, exec_lo, s2
	s_wait_storecnt_dscnt 0x0
	s_barrier_signal -1
	s_barrier_wait -1
	s_clause 0x9
	scratch_load_b128 v[4:7], off, off offset:176
	scratch_load_b128 v[8:11], off, off offset:192
	;; [unrolled: 1-line block ×10, first 2 shown]
	v_mov_b32_e32 v2, 0
	s_mov_b32 s2, exec_lo
	ds_load_b128 v[154:157], v2 offset:1040
	s_clause 0x2
	scratch_load_b128 v[158:161], off, off offset:336
	scratch_load_b128 v[162:165], off, off offset:160
	;; [unrolled: 1-line block ×3, first 2 shown]
	s_wait_loadcnt_dscnt 0xc00
	v_mul_f64_e32 v[174:175], v[156:157], v[6:7]
	v_mul_f64_e32 v[178:179], v[154:155], v[6:7]
	ds_load_b128 v[166:169], v2 offset:1056
	v_fma_f64 v[182:183], v[154:155], v[4:5], -v[174:175]
	v_fmac_f64_e32 v[178:179], v[156:157], v[4:5]
	ds_load_b128 v[4:7], v2 offset:1072
	s_wait_loadcnt_dscnt 0xb01
	v_mul_f64_e32 v[180:181], v[166:167], v[10:11]
	v_mul_f64_e32 v[10:11], v[168:169], v[10:11]
	scratch_load_b128 v[154:157], off, off offset:368
	ds_load_b128 v[174:177], v2 offset:1088
	s_wait_loadcnt_dscnt 0xb01
	v_mul_f64_e32 v[184:185], v[4:5], v[14:15]
	v_mul_f64_e32 v[14:15], v[6:7], v[14:15]
	v_add_f64_e32 v[178:179], 0, v[178:179]
	v_fmac_f64_e32 v[180:181], v[168:169], v[8:9]
	v_fma_f64 v[166:167], v[166:167], v[8:9], -v[10:11]
	v_add_f64_e32 v[168:169], 0, v[182:183]
	scratch_load_b128 v[8:11], off, off offset:384
	v_fmac_f64_e32 v[184:185], v[6:7], v[12:13]
	v_fma_f64 v[186:187], v[4:5], v[12:13], -v[14:15]
	ds_load_b128 v[4:7], v2 offset:1104
	s_wait_loadcnt_dscnt 0xb01
	v_mul_f64_e32 v[182:183], v[174:175], v[128:129]
	v_mul_f64_e32 v[128:129], v[176:177], v[128:129]
	scratch_load_b128 v[12:15], off, off offset:400
	v_add_f64_e32 v[178:179], v[178:179], v[180:181]
	v_add_f64_e32 v[188:189], v[168:169], v[166:167]
	ds_load_b128 v[166:169], v2 offset:1120
	s_wait_loadcnt_dscnt 0xb01
	v_mul_f64_e32 v[180:181], v[4:5], v[132:133]
	v_mul_f64_e32 v[132:133], v[6:7], v[132:133]
	v_fmac_f64_e32 v[182:183], v[176:177], v[126:127]
	v_fma_f64 v[174:175], v[174:175], v[126:127], -v[128:129]
	scratch_load_b128 v[126:129], off, off offset:416
	v_add_f64_e32 v[178:179], v[178:179], v[184:185]
	v_add_f64_e32 v[176:177], v[188:189], v[186:187]
	v_fmac_f64_e32 v[180:181], v[6:7], v[130:131]
	v_fma_f64 v[186:187], v[4:5], v[130:131], -v[132:133]
	ds_load_b128 v[4:7], v2 offset:1136
	s_wait_loadcnt_dscnt 0xb01
	v_mul_f64_e32 v[184:185], v[166:167], v[136:137]
	v_mul_f64_e32 v[136:137], v[168:169], v[136:137]
	scratch_load_b128 v[130:133], off, off offset:432
	v_add_f64_e32 v[178:179], v[178:179], v[182:183]
	s_wait_loadcnt_dscnt 0xb00
	v_mul_f64_e32 v[182:183], v[4:5], v[140:141]
	v_add_f64_e32 v[188:189], v[176:177], v[174:175]
	v_mul_f64_e32 v[140:141], v[6:7], v[140:141]
	ds_load_b128 v[174:177], v2 offset:1152
	v_fmac_f64_e32 v[184:185], v[168:169], v[134:135]
	v_fma_f64 v[166:167], v[166:167], v[134:135], -v[136:137]
	scratch_load_b128 v[134:137], off, off offset:448
	v_add_f64_e32 v[178:179], v[178:179], v[180:181]
	v_fmac_f64_e32 v[182:183], v[6:7], v[138:139]
	v_add_f64_e32 v[168:169], v[188:189], v[186:187]
	v_fma_f64 v[186:187], v[4:5], v[138:139], -v[140:141]
	ds_load_b128 v[4:7], v2 offset:1168
	s_wait_loadcnt_dscnt 0xb01
	v_mul_f64_e32 v[180:181], v[174:175], v[144:145]
	v_mul_f64_e32 v[144:145], v[176:177], v[144:145]
	scratch_load_b128 v[138:141], off, off offset:464
	v_add_f64_e32 v[178:179], v[178:179], v[184:185]
	s_wait_loadcnt_dscnt 0xb00
	v_mul_f64_e32 v[184:185], v[4:5], v[148:149]
	v_add_f64_e32 v[188:189], v[168:169], v[166:167]
	v_mul_f64_e32 v[148:149], v[6:7], v[148:149]
	ds_load_b128 v[166:169], v2 offset:1184
	v_fmac_f64_e32 v[180:181], v[176:177], v[142:143]
	v_fma_f64 v[174:175], v[174:175], v[142:143], -v[144:145]
	scratch_load_b128 v[142:145], off, off offset:480
	v_add_f64_e32 v[178:179], v[178:179], v[182:183]
	v_fmac_f64_e32 v[184:185], v[6:7], v[146:147]
	v_add_f64_e32 v[176:177], v[188:189], v[186:187]
	;; [unrolled: 18-line block ×3, first 2 shown]
	v_fma_f64 v[186:187], v[4:5], v[158:159], -v[160:161]
	ds_load_b128 v[4:7], v2 offset:1232
	s_wait_loadcnt_dscnt 0xa01
	v_mul_f64_e32 v[184:185], v[174:175], v[172:173]
	v_mul_f64_e32 v[172:173], v[176:177], v[172:173]
	scratch_load_b128 v[158:161], off, off offset:528
	v_add_f64_e32 v[178:179], v[178:179], v[182:183]
	v_add_f64_e32 v[188:189], v[168:169], v[166:167]
	s_wait_loadcnt_dscnt 0xa00
	v_mul_f64_e32 v[182:183], v[4:5], v[156:157]
	v_mul_f64_e32 v[156:157], v[6:7], v[156:157]
	v_fmac_f64_e32 v[184:185], v[176:177], v[170:171]
	v_fma_f64 v[174:175], v[174:175], v[170:171], -v[172:173]
	ds_load_b128 v[166:169], v2 offset:1248
	scratch_load_b128 v[170:173], off, off offset:544
	v_add_f64_e32 v[178:179], v[178:179], v[180:181]
	v_add_f64_e32 v[176:177], v[188:189], v[186:187]
	v_fmac_f64_e32 v[182:183], v[6:7], v[154:155]
	v_fma_f64 v[186:187], v[4:5], v[154:155], -v[156:157]
	ds_load_b128 v[4:7], v2 offset:1264
	s_wait_loadcnt_dscnt 0xa01
	v_mul_f64_e32 v[180:181], v[166:167], v[10:11]
	v_mul_f64_e32 v[10:11], v[168:169], v[10:11]
	scratch_load_b128 v[154:157], off, off offset:560
	v_add_f64_e32 v[178:179], v[178:179], v[184:185]
	s_wait_loadcnt_dscnt 0xa00
	v_mul_f64_e32 v[184:185], v[4:5], v[14:15]
	v_add_f64_e32 v[188:189], v[176:177], v[174:175]
	v_mul_f64_e32 v[14:15], v[6:7], v[14:15]
	ds_load_b128 v[174:177], v2 offset:1280
	v_fmac_f64_e32 v[180:181], v[168:169], v[8:9]
	v_fma_f64 v[166:167], v[166:167], v[8:9], -v[10:11]
	scratch_load_b128 v[8:11], off, off offset:576
	v_add_f64_e32 v[178:179], v[178:179], v[182:183]
	v_fmac_f64_e32 v[184:185], v[6:7], v[12:13]
	v_add_f64_e32 v[168:169], v[188:189], v[186:187]
	v_fma_f64 v[186:187], v[4:5], v[12:13], -v[14:15]
	ds_load_b128 v[4:7], v2 offset:1296
	s_wait_loadcnt_dscnt 0xa01
	v_mul_f64_e32 v[182:183], v[174:175], v[128:129]
	v_mul_f64_e32 v[128:129], v[176:177], v[128:129]
	scratch_load_b128 v[12:15], off, off offset:592
	v_add_f64_e32 v[178:179], v[178:179], v[180:181]
	s_wait_loadcnt_dscnt 0xa00
	v_mul_f64_e32 v[180:181], v[4:5], v[132:133]
	v_add_f64_e32 v[188:189], v[168:169], v[166:167]
	v_mul_f64_e32 v[132:133], v[6:7], v[132:133]
	ds_load_b128 v[166:169], v2 offset:1312
	v_fmac_f64_e32 v[182:183], v[176:177], v[126:127]
	v_fma_f64 v[174:175], v[174:175], v[126:127], -v[128:129]
	scratch_load_b128 v[126:129], off, off offset:608
	v_add_f64_e32 v[178:179], v[178:179], v[184:185]
	v_fmac_f64_e32 v[180:181], v[6:7], v[130:131]
	v_add_f64_e32 v[176:177], v[188:189], v[186:187]
	;; [unrolled: 18-line block ×9, first 2 shown]
	v_fma_f64 v[186:187], v[4:5], v[138:139], -v[140:141]
	ds_load_b128 v[4:7], v2 offset:1552
	s_wait_loadcnt_dscnt 0xa01
	v_mul_f64_e32 v[180:181], v[174:175], v[144:145]
	v_mul_f64_e32 v[144:145], v[176:177], v[144:145]
	scratch_load_b128 v[138:141], off, off offset:848
	v_add_f64_e32 v[178:179], v[178:179], v[184:185]
	s_wait_loadcnt_dscnt 0xa00
	v_mul_f64_e32 v[184:185], v[4:5], v[148:149]
	v_add_f64_e32 v[188:189], v[168:169], v[166:167]
	v_mul_f64_e32 v[148:149], v[6:7], v[148:149]
	ds_load_b128 v[166:169], v2 offset:1568
	v_fmac_f64_e32 v[180:181], v[176:177], v[142:143]
	v_fma_f64 v[142:143], v[174:175], v[142:143], -v[144:145]
	s_wait_loadcnt_dscnt 0x900
	v_mul_f64_e32 v[176:177], v[166:167], v[152:153]
	v_mul_f64_e32 v[152:153], v[168:169], v[152:153]
	v_add_f64_e32 v[174:175], v[178:179], v[182:183]
	v_fmac_f64_e32 v[184:185], v[6:7], v[146:147]
	v_add_f64_e32 v[144:145], v[188:189], v[186:187]
	v_fma_f64 v[146:147], v[4:5], v[146:147], -v[148:149]
	v_fmac_f64_e32 v[176:177], v[168:169], v[150:151]
	v_fma_f64 v[150:151], v[166:167], v[150:151], -v[152:153]
	v_add_f64_e32 v[174:175], v[174:175], v[180:181]
	v_add_f64_e32 v[148:149], v[144:145], v[142:143]
	ds_load_b128 v[4:7], v2 offset:1584
	ds_load_b128 v[142:145], v2 offset:1600
	s_wait_loadcnt_dscnt 0x801
	v_mul_f64_e32 v[178:179], v[4:5], v[160:161]
	v_mul_f64_e32 v[160:161], v[6:7], v[160:161]
	s_wait_loadcnt_dscnt 0x700
	v_mul_f64_e32 v[152:153], v[142:143], v[172:173]
	v_mul_f64_e32 v[166:167], v[144:145], v[172:173]
	v_add_f64_e32 v[146:147], v[148:149], v[146:147]
	v_add_f64_e32 v[148:149], v[174:175], v[184:185]
	v_fmac_f64_e32 v[178:179], v[6:7], v[158:159]
	v_fma_f64 v[158:159], v[4:5], v[158:159], -v[160:161]
	v_fmac_f64_e32 v[152:153], v[144:145], v[170:171]
	v_fma_f64 v[142:143], v[142:143], v[170:171], -v[166:167]
	v_add_f64_e32 v[150:151], v[146:147], v[150:151]
	v_add_f64_e32 v[160:161], v[148:149], v[176:177]
	ds_load_b128 v[4:7], v2 offset:1616
	ds_load_b128 v[146:149], v2 offset:1632
	s_wait_loadcnt_dscnt 0x601
	v_mul_f64_e32 v[168:169], v[4:5], v[156:157]
	v_mul_f64_e32 v[156:157], v[6:7], v[156:157]
	v_add_f64_e32 v[144:145], v[150:151], v[158:159]
	v_add_f64_e32 v[150:151], v[160:161], v[178:179]
	s_wait_loadcnt_dscnt 0x500
	v_mul_f64_e32 v[158:159], v[146:147], v[10:11]
	v_mul_f64_e32 v[10:11], v[148:149], v[10:11]
	v_fmac_f64_e32 v[168:169], v[6:7], v[154:155]
	v_fma_f64 v[154:155], v[4:5], v[154:155], -v[156:157]
	v_add_f64_e32 v[156:157], v[144:145], v[142:143]
	v_add_f64_e32 v[150:151], v[150:151], v[152:153]
	ds_load_b128 v[4:7], v2 offset:1648
	ds_load_b128 v[142:145], v2 offset:1664
	v_fmac_f64_e32 v[158:159], v[148:149], v[8:9]
	v_fma_f64 v[8:9], v[146:147], v[8:9], -v[10:11]
	s_wait_loadcnt_dscnt 0x401
	v_mul_f64_e32 v[152:153], v[4:5], v[14:15]
	v_mul_f64_e32 v[14:15], v[6:7], v[14:15]
	s_wait_loadcnt_dscnt 0x300
	v_mul_f64_e32 v[148:149], v[142:143], v[128:129]
	v_mul_f64_e32 v[128:129], v[144:145], v[128:129]
	v_add_f64_e32 v[10:11], v[156:157], v[154:155]
	v_add_f64_e32 v[146:147], v[150:151], v[168:169]
	v_fmac_f64_e32 v[152:153], v[6:7], v[12:13]
	v_fma_f64 v[12:13], v[4:5], v[12:13], -v[14:15]
	v_fmac_f64_e32 v[148:149], v[144:145], v[126:127]
	v_fma_f64 v[126:127], v[142:143], v[126:127], -v[128:129]
	v_add_f64_e32 v[14:15], v[10:11], v[8:9]
	v_add_f64_e32 v[146:147], v[146:147], v[158:159]
	ds_load_b128 v[4:7], v2 offset:1680
	ds_load_b128 v[8:11], v2 offset:1696
	s_wait_loadcnt_dscnt 0x201
	v_mul_f64_e32 v[150:151], v[4:5], v[132:133]
	v_mul_f64_e32 v[132:133], v[6:7], v[132:133]
	s_wait_loadcnt_dscnt 0x100
	v_mul_f64_e32 v[128:129], v[8:9], v[136:137]
	v_mul_f64_e32 v[136:137], v[10:11], v[136:137]
	v_add_f64_e32 v[12:13], v[14:15], v[12:13]
	v_add_f64_e32 v[14:15], v[146:147], v[152:153]
	v_fmac_f64_e32 v[150:151], v[6:7], v[130:131]
	v_fma_f64 v[130:131], v[4:5], v[130:131], -v[132:133]
	ds_load_b128 v[4:7], v2 offset:1712
	v_fmac_f64_e32 v[128:129], v[10:11], v[134:135]
	v_fma_f64 v[8:9], v[8:9], v[134:135], -v[136:137]
	v_add_f64_e32 v[12:13], v[12:13], v[126:127]
	v_add_f64_e32 v[14:15], v[14:15], v[148:149]
	s_wait_loadcnt_dscnt 0x0
	v_mul_f64_e32 v[126:127], v[4:5], v[140:141]
	v_mul_f64_e32 v[132:133], v[6:7], v[140:141]
	s_delay_alu instid0(VALU_DEP_4) | instskip(NEXT) | instid1(VALU_DEP_4)
	v_add_f64_e32 v[10:11], v[12:13], v[130:131]
	v_add_f64_e32 v[12:13], v[14:15], v[150:151]
	s_delay_alu instid0(VALU_DEP_4) | instskip(NEXT) | instid1(VALU_DEP_4)
	v_fmac_f64_e32 v[126:127], v[6:7], v[138:139]
	v_fma_f64 v[4:5], v[4:5], v[138:139], -v[132:133]
	s_delay_alu instid0(VALU_DEP_4) | instskip(NEXT) | instid1(VALU_DEP_4)
	v_add_f64_e32 v[6:7], v[10:11], v[8:9]
	v_add_f64_e32 v[8:9], v[12:13], v[128:129]
	s_delay_alu instid0(VALU_DEP_2) | instskip(NEXT) | instid1(VALU_DEP_2)
	v_add_f64_e32 v[4:5], v[6:7], v[4:5]
	v_add_f64_e32 v[6:7], v[8:9], v[126:127]
	s_delay_alu instid0(VALU_DEP_2) | instskip(NEXT) | instid1(VALU_DEP_2)
	v_add_f64_e64 v[4:5], v[162:163], -v[4:5]
	v_add_f64_e64 v[6:7], v[164:165], -v[6:7]
	scratch_store_b128 off, v[4:7], off offset:160
	s_wait_xcnt 0x0
	v_cmpx_lt_u32_e32 9, v1
	s_cbranch_execz .LBB117_319
; %bb.318:
	scratch_load_b128 v[6:9], off, s61
	v_dual_mov_b32 v3, v2 :: v_dual_mov_b32 v4, v2
	v_mov_b32_e32 v5, v2
	scratch_store_b128 off, v[2:5], off offset:144
	s_wait_loadcnt 0x0
	ds_store_b128 v124, v[6:9]
.LBB117_319:
	s_wait_xcnt 0x0
	s_or_b32 exec_lo, exec_lo, s2
	s_wait_storecnt_dscnt 0x0
	s_barrier_signal -1
	s_barrier_wait -1
	s_clause 0x9
	scratch_load_b128 v[4:7], off, off offset:160
	scratch_load_b128 v[8:11], off, off offset:176
	;; [unrolled: 1-line block ×10, first 2 shown]
	ds_load_b128 v[154:157], v2 offset:1024
	ds_load_b128 v[162:165], v2 offset:1040
	s_clause 0x2
	scratch_load_b128 v[158:161], off, off offset:320
	scratch_load_b128 v[166:169], off, off offset:144
	;; [unrolled: 1-line block ×3, first 2 shown]
	s_mov_b32 s2, exec_lo
	s_wait_loadcnt_dscnt 0xc01
	v_mul_f64_e32 v[174:175], v[156:157], v[6:7]
	v_mul_f64_e32 v[178:179], v[154:155], v[6:7]
	s_wait_loadcnt_dscnt 0xb00
	v_mul_f64_e32 v[180:181], v[162:163], v[10:11]
	v_mul_f64_e32 v[10:11], v[164:165], v[10:11]
	s_delay_alu instid0(VALU_DEP_4) | instskip(NEXT) | instid1(VALU_DEP_4)
	v_fma_f64 v[182:183], v[154:155], v[4:5], -v[174:175]
	v_fmac_f64_e32 v[178:179], v[156:157], v[4:5]
	ds_load_b128 v[4:7], v2 offset:1056
	ds_load_b128 v[154:157], v2 offset:1072
	scratch_load_b128 v[174:177], off, off offset:352
	v_fmac_f64_e32 v[180:181], v[164:165], v[8:9]
	v_fma_f64 v[162:163], v[162:163], v[8:9], -v[10:11]
	scratch_load_b128 v[8:11], off, off offset:368
	s_wait_loadcnt_dscnt 0xc01
	v_mul_f64_e32 v[184:185], v[4:5], v[14:15]
	v_mul_f64_e32 v[14:15], v[6:7], v[14:15]
	v_add_f64_e32 v[164:165], 0, v[182:183]
	v_add_f64_e32 v[178:179], 0, v[178:179]
	s_wait_loadcnt_dscnt 0xb00
	v_mul_f64_e32 v[182:183], v[154:155], v[128:129]
	v_mul_f64_e32 v[128:129], v[156:157], v[128:129]
	v_fmac_f64_e32 v[184:185], v[6:7], v[12:13]
	v_fma_f64 v[186:187], v[4:5], v[12:13], -v[14:15]
	ds_load_b128 v[4:7], v2 offset:1088
	ds_load_b128 v[12:15], v2 offset:1104
	v_add_f64_e32 v[188:189], v[164:165], v[162:163]
	v_add_f64_e32 v[178:179], v[178:179], v[180:181]
	scratch_load_b128 v[162:165], off, off offset:384
	v_fmac_f64_e32 v[182:183], v[156:157], v[126:127]
	v_fma_f64 v[154:155], v[154:155], v[126:127], -v[128:129]
	scratch_load_b128 v[126:129], off, off offset:400
	s_wait_loadcnt_dscnt 0xc01
	v_mul_f64_e32 v[180:181], v[4:5], v[132:133]
	v_mul_f64_e32 v[132:133], v[6:7], v[132:133]
	v_add_f64_e32 v[156:157], v[188:189], v[186:187]
	v_add_f64_e32 v[178:179], v[178:179], v[184:185]
	s_wait_loadcnt_dscnt 0xb00
	v_mul_f64_e32 v[184:185], v[12:13], v[136:137]
	v_mul_f64_e32 v[136:137], v[14:15], v[136:137]
	v_fmac_f64_e32 v[180:181], v[6:7], v[130:131]
	v_fma_f64 v[186:187], v[4:5], v[130:131], -v[132:133]
	ds_load_b128 v[4:7], v2 offset:1120
	ds_load_b128 v[130:133], v2 offset:1136
	v_add_f64_e32 v[188:189], v[156:157], v[154:155]
	v_add_f64_e32 v[178:179], v[178:179], v[182:183]
	scratch_load_b128 v[154:157], off, off offset:416
	s_wait_loadcnt_dscnt 0xb01
	v_mul_f64_e32 v[182:183], v[4:5], v[140:141]
	v_mul_f64_e32 v[140:141], v[6:7], v[140:141]
	v_fmac_f64_e32 v[184:185], v[14:15], v[134:135]
	v_fma_f64 v[134:135], v[12:13], v[134:135], -v[136:137]
	scratch_load_b128 v[12:15], off, off offset:432
	v_add_f64_e32 v[136:137], v[188:189], v[186:187]
	v_add_f64_e32 v[178:179], v[178:179], v[180:181]
	s_wait_loadcnt_dscnt 0xb00
	v_mul_f64_e32 v[180:181], v[130:131], v[144:145]
	v_mul_f64_e32 v[144:145], v[132:133], v[144:145]
	v_fmac_f64_e32 v[182:183], v[6:7], v[138:139]
	v_fma_f64 v[186:187], v[4:5], v[138:139], -v[140:141]
	v_add_f64_e32 v[188:189], v[136:137], v[134:135]
	v_add_f64_e32 v[178:179], v[178:179], v[184:185]
	ds_load_b128 v[4:7], v2 offset:1152
	ds_load_b128 v[134:137], v2 offset:1168
	scratch_load_b128 v[138:141], off, off offset:448
	v_fmac_f64_e32 v[180:181], v[132:133], v[142:143]
	v_fma_f64 v[142:143], v[130:131], v[142:143], -v[144:145]
	scratch_load_b128 v[130:133], off, off offset:464
	s_wait_loadcnt_dscnt 0xc01
	v_mul_f64_e32 v[184:185], v[4:5], v[148:149]
	v_mul_f64_e32 v[148:149], v[6:7], v[148:149]
	v_add_f64_e32 v[144:145], v[188:189], v[186:187]
	v_add_f64_e32 v[178:179], v[178:179], v[182:183]
	s_wait_loadcnt_dscnt 0xb00
	v_mul_f64_e32 v[182:183], v[134:135], v[152:153]
	v_mul_f64_e32 v[152:153], v[136:137], v[152:153]
	v_fmac_f64_e32 v[184:185], v[6:7], v[146:147]
	v_fma_f64 v[186:187], v[4:5], v[146:147], -v[148:149]
	v_add_f64_e32 v[188:189], v[144:145], v[142:143]
	v_add_f64_e32 v[178:179], v[178:179], v[180:181]
	ds_load_b128 v[4:7], v2 offset:1184
	ds_load_b128 v[142:145], v2 offset:1200
	scratch_load_b128 v[146:149], off, off offset:480
	v_fmac_f64_e32 v[182:183], v[136:137], v[150:151]
	v_fma_f64 v[150:151], v[134:135], v[150:151], -v[152:153]
	scratch_load_b128 v[134:137], off, off offset:496
	s_wait_loadcnt_dscnt 0xc01
	v_mul_f64_e32 v[180:181], v[4:5], v[160:161]
	v_mul_f64_e32 v[160:161], v[6:7], v[160:161]
	;; [unrolled: 18-line block ×5, first 2 shown]
	v_add_f64_e32 v[172:173], v[188:189], v[186:187]
	v_add_f64_e32 v[178:179], v[178:179], v[184:185]
	s_wait_loadcnt_dscnt 0xa00
	v_mul_f64_e32 v[184:185], v[150:151], v[14:15]
	v_mul_f64_e32 v[14:15], v[152:153], v[14:15]
	v_fmac_f64_e32 v[180:181], v[6:7], v[154:155]
	v_fma_f64 v[186:187], v[4:5], v[154:155], -v[156:157]
	ds_load_b128 v[4:7], v2 offset:1312
	ds_load_b128 v[154:157], v2 offset:1328
	v_add_f64_e32 v[188:189], v[172:173], v[170:171]
	v_add_f64_e32 v[178:179], v[178:179], v[182:183]
	scratch_load_b128 v[170:173], off, off offset:608
	v_fmac_f64_e32 v[184:185], v[152:153], v[12:13]
	v_fma_f64 v[150:151], v[150:151], v[12:13], -v[14:15]
	scratch_load_b128 v[12:15], off, off offset:624
	s_wait_loadcnt_dscnt 0xb01
	v_mul_f64_e32 v[182:183], v[4:5], v[140:141]
	v_mul_f64_e32 v[140:141], v[6:7], v[140:141]
	v_add_f64_e32 v[152:153], v[188:189], v[186:187]
	v_add_f64_e32 v[178:179], v[178:179], v[180:181]
	s_wait_loadcnt_dscnt 0xa00
	v_mul_f64_e32 v[180:181], v[154:155], v[132:133]
	v_mul_f64_e32 v[132:133], v[156:157], v[132:133]
	v_fmac_f64_e32 v[182:183], v[6:7], v[138:139]
	v_fma_f64 v[186:187], v[4:5], v[138:139], -v[140:141]
	ds_load_b128 v[4:7], v2 offset:1344
	ds_load_b128 v[138:141], v2 offset:1360
	v_add_f64_e32 v[188:189], v[152:153], v[150:151]
	v_add_f64_e32 v[178:179], v[178:179], v[184:185]
	scratch_load_b128 v[150:153], off, off offset:640
	s_wait_loadcnt_dscnt 0xa01
	v_mul_f64_e32 v[184:185], v[4:5], v[148:149]
	v_mul_f64_e32 v[148:149], v[6:7], v[148:149]
	v_fmac_f64_e32 v[180:181], v[156:157], v[130:131]
	v_fma_f64 v[154:155], v[154:155], v[130:131], -v[132:133]
	scratch_load_b128 v[130:133], off, off offset:656
	v_add_f64_e32 v[156:157], v[188:189], v[186:187]
	v_add_f64_e32 v[178:179], v[178:179], v[182:183]
	s_wait_loadcnt_dscnt 0xa00
	v_mul_f64_e32 v[182:183], v[138:139], v[136:137]
	v_mul_f64_e32 v[136:137], v[140:141], v[136:137]
	v_fmac_f64_e32 v[184:185], v[6:7], v[146:147]
	v_fma_f64 v[186:187], v[4:5], v[146:147], -v[148:149]
	ds_load_b128 v[4:7], v2 offset:1376
	ds_load_b128 v[146:149], v2 offset:1392
	v_add_f64_e32 v[188:189], v[156:157], v[154:155]
	v_add_f64_e32 v[178:179], v[178:179], v[180:181]
	scratch_load_b128 v[154:157], off, off offset:672
	s_wait_loadcnt_dscnt 0xa01
	v_mul_f64_e32 v[180:181], v[4:5], v[160:161]
	v_mul_f64_e32 v[160:161], v[6:7], v[160:161]
	v_fmac_f64_e32 v[182:183], v[140:141], v[134:135]
	v_fma_f64 v[138:139], v[138:139], v[134:135], -v[136:137]
	scratch_load_b128 v[134:137], off, off offset:688
	v_add_f64_e32 v[140:141], v[188:189], v[186:187]
	v_add_f64_e32 v[178:179], v[178:179], v[184:185]
	s_wait_loadcnt_dscnt 0xa00
	v_mul_f64_e32 v[184:185], v[146:147], v[144:145]
	v_mul_f64_e32 v[144:145], v[148:149], v[144:145]
	v_fmac_f64_e32 v[180:181], v[6:7], v[158:159]
	v_fma_f64 v[186:187], v[4:5], v[158:159], -v[160:161]
	v_add_f64_e32 v[188:189], v[140:141], v[138:139]
	v_add_f64_e32 v[178:179], v[178:179], v[182:183]
	ds_load_b128 v[4:7], v2 offset:1408
	ds_load_b128 v[138:141], v2 offset:1424
	scratch_load_b128 v[158:161], off, off offset:704
	v_fmac_f64_e32 v[184:185], v[148:149], v[142:143]
	v_fma_f64 v[146:147], v[146:147], v[142:143], -v[144:145]
	scratch_load_b128 v[142:145], off, off offset:720
	s_wait_loadcnt_dscnt 0xb01
	v_mul_f64_e32 v[182:183], v[4:5], v[176:177]
	v_mul_f64_e32 v[176:177], v[6:7], v[176:177]
	v_add_f64_e32 v[148:149], v[188:189], v[186:187]
	v_add_f64_e32 v[178:179], v[178:179], v[180:181]
	s_wait_loadcnt_dscnt 0xa00
	v_mul_f64_e32 v[180:181], v[138:139], v[10:11]
	v_mul_f64_e32 v[10:11], v[140:141], v[10:11]
	v_fmac_f64_e32 v[182:183], v[6:7], v[174:175]
	v_fma_f64 v[186:187], v[4:5], v[174:175], -v[176:177]
	v_add_f64_e32 v[188:189], v[148:149], v[146:147]
	v_add_f64_e32 v[178:179], v[178:179], v[184:185]
	ds_load_b128 v[4:7], v2 offset:1440
	ds_load_b128 v[146:149], v2 offset:1456
	scratch_load_b128 v[174:177], off, off offset:736
	v_fmac_f64_e32 v[180:181], v[140:141], v[8:9]
	v_fma_f64 v[138:139], v[138:139], v[8:9], -v[10:11]
	scratch_load_b128 v[8:11], off, off offset:752
	s_wait_loadcnt_dscnt 0xb01
	v_mul_f64_e32 v[184:185], v[4:5], v[164:165]
	v_mul_f64_e32 v[164:165], v[6:7], v[164:165]
	;; [unrolled: 18-line block ×5, first 2 shown]
	v_add_f64_e32 v[148:149], v[188:189], v[186:187]
	v_add_f64_e32 v[178:179], v[178:179], v[182:183]
	s_wait_loadcnt_dscnt 0xa00
	v_mul_f64_e32 v[182:183], v[138:139], v[136:137]
	v_mul_f64_e32 v[136:137], v[140:141], v[136:137]
	v_fmac_f64_e32 v[184:185], v[6:7], v[154:155]
	v_fma_f64 v[154:155], v[4:5], v[154:155], -v[156:157]
	v_add_f64_e32 v[156:157], v[148:149], v[146:147]
	v_add_f64_e32 v[178:179], v[178:179], v[180:181]
	ds_load_b128 v[4:7], v2 offset:1568
	ds_load_b128 v[146:149], v2 offset:1584
	v_fmac_f64_e32 v[182:183], v[140:141], v[134:135]
	v_fma_f64 v[134:135], v[138:139], v[134:135], -v[136:137]
	s_wait_loadcnt_dscnt 0x901
	v_mul_f64_e32 v[180:181], v[4:5], v[160:161]
	v_mul_f64_e32 v[160:161], v[6:7], v[160:161]
	s_wait_loadcnt_dscnt 0x800
	v_mul_f64_e32 v[140:141], v[146:147], v[144:145]
	v_mul_f64_e32 v[144:145], v[148:149], v[144:145]
	v_add_f64_e32 v[136:137], v[156:157], v[154:155]
	v_add_f64_e32 v[138:139], v[178:179], v[184:185]
	v_fmac_f64_e32 v[180:181], v[6:7], v[158:159]
	v_fma_f64 v[154:155], v[4:5], v[158:159], -v[160:161]
	v_fmac_f64_e32 v[140:141], v[148:149], v[142:143]
	v_fma_f64 v[142:143], v[146:147], v[142:143], -v[144:145]
	v_add_f64_e32 v[156:157], v[136:137], v[134:135]
	v_add_f64_e32 v[138:139], v[138:139], v[182:183]
	ds_load_b128 v[4:7], v2 offset:1600
	ds_load_b128 v[134:137], v2 offset:1616
	s_wait_loadcnt_dscnt 0x701
	v_mul_f64_e32 v[158:159], v[4:5], v[176:177]
	v_mul_f64_e32 v[160:161], v[6:7], v[176:177]
	s_wait_loadcnt_dscnt 0x600
	v_mul_f64_e32 v[146:147], v[134:135], v[10:11]
	v_mul_f64_e32 v[10:11], v[136:137], v[10:11]
	v_add_f64_e32 v[144:145], v[156:157], v[154:155]
	v_add_f64_e32 v[138:139], v[138:139], v[180:181]
	v_fmac_f64_e32 v[158:159], v[6:7], v[174:175]
	v_fma_f64 v[148:149], v[4:5], v[174:175], -v[160:161]
	v_fmac_f64_e32 v[146:147], v[136:137], v[8:9]
	v_fma_f64 v[8:9], v[134:135], v[8:9], -v[10:11]
	v_add_f64_e32 v[142:143], v[144:145], v[142:143]
	v_add_f64_e32 v[144:145], v[138:139], v[140:141]
	ds_load_b128 v[4:7], v2 offset:1632
	ds_load_b128 v[138:141], v2 offset:1648
	;; [unrolled: 16-line block ×4, first 2 shown]
	s_wait_loadcnt_dscnt 0x101
	v_mul_f64_e32 v[2:3], v[4:5], v[152:153]
	v_mul_f64_e32 v[136:137], v[6:7], v[152:153]
	s_wait_loadcnt_dscnt 0x0
	v_mul_f64_e32 v[14:15], v[126:127], v[132:133]
	v_mul_f64_e32 v[132:133], v[128:129], v[132:133]
	v_add_f64_e32 v[10:11], v[142:143], v[140:141]
	v_add_f64_e32 v[12:13], v[134:135], v[146:147]
	v_fmac_f64_e32 v[2:3], v[6:7], v[150:151]
	v_fma_f64 v[4:5], v[4:5], v[150:151], -v[136:137]
	v_fmac_f64_e32 v[14:15], v[128:129], v[130:131]
	v_add_f64_e32 v[6:7], v[10:11], v[8:9]
	v_add_f64_e32 v[8:9], v[12:13], v[138:139]
	v_fma_f64 v[10:11], v[126:127], v[130:131], -v[132:133]
	s_delay_alu instid0(VALU_DEP_3) | instskip(NEXT) | instid1(VALU_DEP_3)
	v_add_f64_e32 v[4:5], v[6:7], v[4:5]
	v_add_f64_e32 v[2:3], v[8:9], v[2:3]
	s_delay_alu instid0(VALU_DEP_2) | instskip(NEXT) | instid1(VALU_DEP_2)
	v_add_f64_e32 v[4:5], v[4:5], v[10:11]
	v_add_f64_e32 v[6:7], v[2:3], v[14:15]
	s_delay_alu instid0(VALU_DEP_2) | instskip(NEXT) | instid1(VALU_DEP_2)
	v_add_f64_e64 v[2:3], v[166:167], -v[4:5]
	v_add_f64_e64 v[4:5], v[168:169], -v[6:7]
	scratch_store_b128 off, v[2:5], off offset:144
	s_wait_xcnt 0x0
	v_cmpx_lt_u32_e32 8, v1
	s_cbranch_execz .LBB117_321
; %bb.320:
	scratch_load_b128 v[2:5], off, s62
	v_mov_b32_e32 v6, 0
	s_delay_alu instid0(VALU_DEP_1)
	v_dual_mov_b32 v7, v6 :: v_dual_mov_b32 v8, v6
	v_mov_b32_e32 v9, v6
	scratch_store_b128 off, v[6:9], off offset:128
	s_wait_loadcnt 0x0
	ds_store_b128 v124, v[2:5]
.LBB117_321:
	s_wait_xcnt 0x0
	s_or_b32 exec_lo, exec_lo, s2
	s_wait_storecnt_dscnt 0x0
	s_barrier_signal -1
	s_barrier_wait -1
	s_clause 0x9
	scratch_load_b128 v[4:7], off, off offset:144
	scratch_load_b128 v[8:11], off, off offset:160
	;; [unrolled: 1-line block ×10, first 2 shown]
	v_mov_b32_e32 v2, 0
	s_mov_b32 s2, exec_lo
	ds_load_b128 v[154:157], v2 offset:1008
	s_clause 0x2
	scratch_load_b128 v[158:161], off, off offset:304
	scratch_load_b128 v[162:165], off, off offset:128
	;; [unrolled: 1-line block ×3, first 2 shown]
	s_wait_loadcnt_dscnt 0xc00
	v_mul_f64_e32 v[174:175], v[156:157], v[6:7]
	v_mul_f64_e32 v[178:179], v[154:155], v[6:7]
	ds_load_b128 v[166:169], v2 offset:1024
	v_fma_f64 v[182:183], v[154:155], v[4:5], -v[174:175]
	v_fmac_f64_e32 v[178:179], v[156:157], v[4:5]
	ds_load_b128 v[4:7], v2 offset:1040
	s_wait_loadcnt_dscnt 0xb01
	v_mul_f64_e32 v[180:181], v[166:167], v[10:11]
	v_mul_f64_e32 v[10:11], v[168:169], v[10:11]
	scratch_load_b128 v[154:157], off, off offset:336
	ds_load_b128 v[174:177], v2 offset:1056
	s_wait_loadcnt_dscnt 0xb01
	v_mul_f64_e32 v[184:185], v[4:5], v[14:15]
	v_mul_f64_e32 v[14:15], v[6:7], v[14:15]
	v_add_f64_e32 v[178:179], 0, v[178:179]
	v_fmac_f64_e32 v[180:181], v[168:169], v[8:9]
	v_fma_f64 v[166:167], v[166:167], v[8:9], -v[10:11]
	v_add_f64_e32 v[168:169], 0, v[182:183]
	scratch_load_b128 v[8:11], off, off offset:352
	v_fmac_f64_e32 v[184:185], v[6:7], v[12:13]
	v_fma_f64 v[186:187], v[4:5], v[12:13], -v[14:15]
	ds_load_b128 v[4:7], v2 offset:1072
	s_wait_loadcnt_dscnt 0xb01
	v_mul_f64_e32 v[182:183], v[174:175], v[128:129]
	v_mul_f64_e32 v[128:129], v[176:177], v[128:129]
	scratch_load_b128 v[12:15], off, off offset:368
	v_add_f64_e32 v[178:179], v[178:179], v[180:181]
	v_add_f64_e32 v[188:189], v[168:169], v[166:167]
	ds_load_b128 v[166:169], v2 offset:1088
	s_wait_loadcnt_dscnt 0xb01
	v_mul_f64_e32 v[180:181], v[4:5], v[132:133]
	v_mul_f64_e32 v[132:133], v[6:7], v[132:133]
	v_fmac_f64_e32 v[182:183], v[176:177], v[126:127]
	v_fma_f64 v[174:175], v[174:175], v[126:127], -v[128:129]
	scratch_load_b128 v[126:129], off, off offset:384
	v_add_f64_e32 v[178:179], v[178:179], v[184:185]
	v_add_f64_e32 v[176:177], v[188:189], v[186:187]
	v_fmac_f64_e32 v[180:181], v[6:7], v[130:131]
	v_fma_f64 v[186:187], v[4:5], v[130:131], -v[132:133]
	ds_load_b128 v[4:7], v2 offset:1104
	s_wait_loadcnt_dscnt 0xb01
	v_mul_f64_e32 v[184:185], v[166:167], v[136:137]
	v_mul_f64_e32 v[136:137], v[168:169], v[136:137]
	scratch_load_b128 v[130:133], off, off offset:400
	v_add_f64_e32 v[178:179], v[178:179], v[182:183]
	s_wait_loadcnt_dscnt 0xb00
	v_mul_f64_e32 v[182:183], v[4:5], v[140:141]
	v_add_f64_e32 v[188:189], v[176:177], v[174:175]
	v_mul_f64_e32 v[140:141], v[6:7], v[140:141]
	ds_load_b128 v[174:177], v2 offset:1120
	v_fmac_f64_e32 v[184:185], v[168:169], v[134:135]
	v_fma_f64 v[166:167], v[166:167], v[134:135], -v[136:137]
	scratch_load_b128 v[134:137], off, off offset:416
	v_add_f64_e32 v[178:179], v[178:179], v[180:181]
	v_fmac_f64_e32 v[182:183], v[6:7], v[138:139]
	v_add_f64_e32 v[168:169], v[188:189], v[186:187]
	v_fma_f64 v[186:187], v[4:5], v[138:139], -v[140:141]
	ds_load_b128 v[4:7], v2 offset:1136
	s_wait_loadcnt_dscnt 0xb01
	v_mul_f64_e32 v[180:181], v[174:175], v[144:145]
	v_mul_f64_e32 v[144:145], v[176:177], v[144:145]
	scratch_load_b128 v[138:141], off, off offset:432
	v_add_f64_e32 v[178:179], v[178:179], v[184:185]
	s_wait_loadcnt_dscnt 0xb00
	v_mul_f64_e32 v[184:185], v[4:5], v[148:149]
	v_add_f64_e32 v[188:189], v[168:169], v[166:167]
	v_mul_f64_e32 v[148:149], v[6:7], v[148:149]
	ds_load_b128 v[166:169], v2 offset:1152
	v_fmac_f64_e32 v[180:181], v[176:177], v[142:143]
	v_fma_f64 v[174:175], v[174:175], v[142:143], -v[144:145]
	scratch_load_b128 v[142:145], off, off offset:448
	v_add_f64_e32 v[178:179], v[178:179], v[182:183]
	v_fmac_f64_e32 v[184:185], v[6:7], v[146:147]
	v_add_f64_e32 v[176:177], v[188:189], v[186:187]
	;; [unrolled: 18-line block ×3, first 2 shown]
	v_fma_f64 v[186:187], v[4:5], v[158:159], -v[160:161]
	ds_load_b128 v[4:7], v2 offset:1200
	s_wait_loadcnt_dscnt 0xa01
	v_mul_f64_e32 v[184:185], v[174:175], v[172:173]
	v_mul_f64_e32 v[172:173], v[176:177], v[172:173]
	scratch_load_b128 v[158:161], off, off offset:496
	v_add_f64_e32 v[178:179], v[178:179], v[182:183]
	v_add_f64_e32 v[188:189], v[168:169], v[166:167]
	s_wait_loadcnt_dscnt 0xa00
	v_mul_f64_e32 v[182:183], v[4:5], v[156:157]
	v_mul_f64_e32 v[156:157], v[6:7], v[156:157]
	v_fmac_f64_e32 v[184:185], v[176:177], v[170:171]
	v_fma_f64 v[174:175], v[174:175], v[170:171], -v[172:173]
	ds_load_b128 v[166:169], v2 offset:1216
	scratch_load_b128 v[170:173], off, off offset:512
	v_add_f64_e32 v[178:179], v[178:179], v[180:181]
	v_add_f64_e32 v[176:177], v[188:189], v[186:187]
	v_fmac_f64_e32 v[182:183], v[6:7], v[154:155]
	v_fma_f64 v[186:187], v[4:5], v[154:155], -v[156:157]
	ds_load_b128 v[4:7], v2 offset:1232
	s_wait_loadcnt_dscnt 0xa01
	v_mul_f64_e32 v[180:181], v[166:167], v[10:11]
	v_mul_f64_e32 v[10:11], v[168:169], v[10:11]
	scratch_load_b128 v[154:157], off, off offset:528
	v_add_f64_e32 v[178:179], v[178:179], v[184:185]
	s_wait_loadcnt_dscnt 0xa00
	v_mul_f64_e32 v[184:185], v[4:5], v[14:15]
	v_add_f64_e32 v[188:189], v[176:177], v[174:175]
	v_mul_f64_e32 v[14:15], v[6:7], v[14:15]
	ds_load_b128 v[174:177], v2 offset:1248
	v_fmac_f64_e32 v[180:181], v[168:169], v[8:9]
	v_fma_f64 v[166:167], v[166:167], v[8:9], -v[10:11]
	scratch_load_b128 v[8:11], off, off offset:544
	v_add_f64_e32 v[178:179], v[178:179], v[182:183]
	v_fmac_f64_e32 v[184:185], v[6:7], v[12:13]
	v_add_f64_e32 v[168:169], v[188:189], v[186:187]
	v_fma_f64 v[186:187], v[4:5], v[12:13], -v[14:15]
	ds_load_b128 v[4:7], v2 offset:1264
	s_wait_loadcnt_dscnt 0xa01
	v_mul_f64_e32 v[182:183], v[174:175], v[128:129]
	v_mul_f64_e32 v[128:129], v[176:177], v[128:129]
	scratch_load_b128 v[12:15], off, off offset:560
	v_add_f64_e32 v[178:179], v[178:179], v[180:181]
	s_wait_loadcnt_dscnt 0xa00
	v_mul_f64_e32 v[180:181], v[4:5], v[132:133]
	v_add_f64_e32 v[188:189], v[168:169], v[166:167]
	v_mul_f64_e32 v[132:133], v[6:7], v[132:133]
	ds_load_b128 v[166:169], v2 offset:1280
	v_fmac_f64_e32 v[182:183], v[176:177], v[126:127]
	v_fma_f64 v[174:175], v[174:175], v[126:127], -v[128:129]
	scratch_load_b128 v[126:129], off, off offset:576
	v_add_f64_e32 v[178:179], v[178:179], v[184:185]
	v_fmac_f64_e32 v[180:181], v[6:7], v[130:131]
	v_add_f64_e32 v[176:177], v[188:189], v[186:187]
	;; [unrolled: 18-line block ×10, first 2 shown]
	v_fma_f64 v[186:187], v[4:5], v[146:147], -v[148:149]
	ds_load_b128 v[4:7], v2 offset:1552
	s_wait_loadcnt_dscnt 0xa01
	v_mul_f64_e32 v[182:183], v[166:167], v[152:153]
	v_mul_f64_e32 v[152:153], v[168:169], v[152:153]
	scratch_load_b128 v[146:149], off, off offset:848
	v_add_f64_e32 v[178:179], v[178:179], v[180:181]
	s_wait_loadcnt_dscnt 0xa00
	v_mul_f64_e32 v[180:181], v[4:5], v[160:161]
	v_add_f64_e32 v[188:189], v[176:177], v[174:175]
	v_mul_f64_e32 v[160:161], v[6:7], v[160:161]
	ds_load_b128 v[174:177], v2 offset:1568
	v_fmac_f64_e32 v[182:183], v[168:169], v[150:151]
	v_fma_f64 v[150:151], v[166:167], v[150:151], -v[152:153]
	s_wait_loadcnt_dscnt 0x900
	v_mul_f64_e32 v[168:169], v[174:175], v[172:173]
	v_mul_f64_e32 v[172:173], v[176:177], v[172:173]
	v_add_f64_e32 v[166:167], v[178:179], v[184:185]
	v_fmac_f64_e32 v[180:181], v[6:7], v[158:159]
	v_add_f64_e32 v[152:153], v[188:189], v[186:187]
	v_fma_f64 v[158:159], v[4:5], v[158:159], -v[160:161]
	v_fmac_f64_e32 v[168:169], v[176:177], v[170:171]
	v_fma_f64 v[170:171], v[174:175], v[170:171], -v[172:173]
	v_add_f64_e32 v[166:167], v[166:167], v[182:183]
	v_add_f64_e32 v[160:161], v[152:153], v[150:151]
	ds_load_b128 v[4:7], v2 offset:1584
	ds_load_b128 v[150:153], v2 offset:1600
	s_wait_loadcnt_dscnt 0x801
	v_mul_f64_e32 v[178:179], v[4:5], v[156:157]
	v_mul_f64_e32 v[156:157], v[6:7], v[156:157]
	v_add_f64_e32 v[158:159], v[160:161], v[158:159]
	v_add_f64_e32 v[160:161], v[166:167], v[180:181]
	s_wait_loadcnt_dscnt 0x700
	v_mul_f64_e32 v[166:167], v[150:151], v[10:11]
	v_mul_f64_e32 v[10:11], v[152:153], v[10:11]
	v_fmac_f64_e32 v[178:179], v[6:7], v[154:155]
	v_fma_f64 v[172:173], v[4:5], v[154:155], -v[156:157]
	ds_load_b128 v[4:7], v2 offset:1616
	ds_load_b128 v[154:157], v2 offset:1632
	v_add_f64_e32 v[158:159], v[158:159], v[170:171]
	v_add_f64_e32 v[160:161], v[160:161], v[168:169]
	v_fmac_f64_e32 v[166:167], v[152:153], v[8:9]
	v_fma_f64 v[8:9], v[150:151], v[8:9], -v[10:11]
	s_wait_loadcnt_dscnt 0x601
	v_mul_f64_e32 v[168:169], v[4:5], v[14:15]
	v_mul_f64_e32 v[14:15], v[6:7], v[14:15]
	s_wait_loadcnt_dscnt 0x500
	v_mul_f64_e32 v[152:153], v[154:155], v[128:129]
	v_mul_f64_e32 v[128:129], v[156:157], v[128:129]
	v_add_f64_e32 v[10:11], v[158:159], v[172:173]
	v_add_f64_e32 v[150:151], v[160:161], v[178:179]
	v_fmac_f64_e32 v[168:169], v[6:7], v[12:13]
	v_fma_f64 v[12:13], v[4:5], v[12:13], -v[14:15]
	v_fmac_f64_e32 v[152:153], v[156:157], v[126:127]
	v_fma_f64 v[126:127], v[154:155], v[126:127], -v[128:129]
	v_add_f64_e32 v[14:15], v[10:11], v[8:9]
	v_add_f64_e32 v[150:151], v[150:151], v[166:167]
	ds_load_b128 v[4:7], v2 offset:1648
	ds_load_b128 v[8:11], v2 offset:1664
	s_wait_loadcnt_dscnt 0x401
	v_mul_f64_e32 v[158:159], v[4:5], v[132:133]
	v_mul_f64_e32 v[132:133], v[6:7], v[132:133]
	s_wait_loadcnt_dscnt 0x300
	v_mul_f64_e32 v[128:129], v[8:9], v[136:137]
	v_mul_f64_e32 v[136:137], v[10:11], v[136:137]
	v_add_f64_e32 v[12:13], v[14:15], v[12:13]
	v_add_f64_e32 v[14:15], v[150:151], v[168:169]
	v_fmac_f64_e32 v[158:159], v[6:7], v[130:131]
	v_fma_f64 v[130:131], v[4:5], v[130:131], -v[132:133]
	v_fmac_f64_e32 v[128:129], v[10:11], v[134:135]
	v_fma_f64 v[8:9], v[8:9], v[134:135], -v[136:137]
	v_add_f64_e32 v[126:127], v[12:13], v[126:127]
	v_add_f64_e32 v[132:133], v[14:15], v[152:153]
	ds_load_b128 v[4:7], v2 offset:1680
	ds_load_b128 v[12:15], v2 offset:1696
	s_wait_loadcnt_dscnt 0x201
	v_mul_f64_e32 v[150:151], v[4:5], v[140:141]
	v_mul_f64_e32 v[140:141], v[6:7], v[140:141]
	v_add_f64_e32 v[10:11], v[126:127], v[130:131]
	v_add_f64_e32 v[126:127], v[132:133], v[158:159]
	s_wait_loadcnt_dscnt 0x100
	v_mul_f64_e32 v[130:131], v[12:13], v[144:145]
	v_mul_f64_e32 v[132:133], v[14:15], v[144:145]
	v_fmac_f64_e32 v[150:151], v[6:7], v[138:139]
	v_fma_f64 v[134:135], v[4:5], v[138:139], -v[140:141]
	ds_load_b128 v[4:7], v2 offset:1712
	v_add_f64_e32 v[8:9], v[10:11], v[8:9]
	v_add_f64_e32 v[10:11], v[126:127], v[128:129]
	v_fmac_f64_e32 v[130:131], v[14:15], v[142:143]
	v_fma_f64 v[12:13], v[12:13], v[142:143], -v[132:133]
	s_wait_loadcnt_dscnt 0x0
	v_mul_f64_e32 v[126:127], v[4:5], v[148:149]
	v_mul_f64_e32 v[128:129], v[6:7], v[148:149]
	v_add_f64_e32 v[8:9], v[8:9], v[134:135]
	v_add_f64_e32 v[10:11], v[10:11], v[150:151]
	s_delay_alu instid0(VALU_DEP_4) | instskip(NEXT) | instid1(VALU_DEP_4)
	v_fmac_f64_e32 v[126:127], v[6:7], v[146:147]
	v_fma_f64 v[4:5], v[4:5], v[146:147], -v[128:129]
	s_delay_alu instid0(VALU_DEP_4) | instskip(NEXT) | instid1(VALU_DEP_4)
	v_add_f64_e32 v[6:7], v[8:9], v[12:13]
	v_add_f64_e32 v[8:9], v[10:11], v[130:131]
	s_delay_alu instid0(VALU_DEP_2) | instskip(NEXT) | instid1(VALU_DEP_2)
	v_add_f64_e32 v[4:5], v[6:7], v[4:5]
	v_add_f64_e32 v[6:7], v[8:9], v[126:127]
	s_delay_alu instid0(VALU_DEP_2) | instskip(NEXT) | instid1(VALU_DEP_2)
	v_add_f64_e64 v[4:5], v[162:163], -v[4:5]
	v_add_f64_e64 v[6:7], v[164:165], -v[6:7]
	scratch_store_b128 off, v[4:7], off offset:128
	s_wait_xcnt 0x0
	v_cmpx_lt_u32_e32 7, v1
	s_cbranch_execz .LBB117_323
; %bb.322:
	scratch_load_b128 v[6:9], off, s63
	v_dual_mov_b32 v3, v2 :: v_dual_mov_b32 v4, v2
	v_mov_b32_e32 v5, v2
	scratch_store_b128 off, v[2:5], off offset:112
	s_wait_loadcnt 0x0
	ds_store_b128 v124, v[6:9]
.LBB117_323:
	s_wait_xcnt 0x0
	s_or_b32 exec_lo, exec_lo, s2
	s_wait_storecnt_dscnt 0x0
	s_barrier_signal -1
	s_barrier_wait -1
	s_clause 0x9
	scratch_load_b128 v[4:7], off, off offset:128
	scratch_load_b128 v[8:11], off, off offset:144
	scratch_load_b128 v[12:15], off, off offset:160
	scratch_load_b128 v[126:129], off, off offset:176
	scratch_load_b128 v[130:133], off, off offset:192
	scratch_load_b128 v[134:137], off, off offset:208
	scratch_load_b128 v[138:141], off, off offset:224
	scratch_load_b128 v[142:145], off, off offset:240
	scratch_load_b128 v[146:149], off, off offset:256
	scratch_load_b128 v[150:153], off, off offset:272
	ds_load_b128 v[154:157], v2 offset:992
	ds_load_b128 v[162:165], v2 offset:1008
	s_clause 0x2
	scratch_load_b128 v[158:161], off, off offset:288
	scratch_load_b128 v[166:169], off, off offset:112
	;; [unrolled: 1-line block ×3, first 2 shown]
	s_mov_b32 s2, exec_lo
	s_wait_loadcnt_dscnt 0xc01
	v_mul_f64_e32 v[174:175], v[156:157], v[6:7]
	v_mul_f64_e32 v[178:179], v[154:155], v[6:7]
	s_wait_loadcnt_dscnt 0xb00
	v_mul_f64_e32 v[180:181], v[162:163], v[10:11]
	v_mul_f64_e32 v[10:11], v[164:165], v[10:11]
	s_delay_alu instid0(VALU_DEP_4) | instskip(NEXT) | instid1(VALU_DEP_4)
	v_fma_f64 v[182:183], v[154:155], v[4:5], -v[174:175]
	v_fmac_f64_e32 v[178:179], v[156:157], v[4:5]
	ds_load_b128 v[4:7], v2 offset:1024
	ds_load_b128 v[154:157], v2 offset:1040
	scratch_load_b128 v[174:177], off, off offset:320
	v_fmac_f64_e32 v[180:181], v[164:165], v[8:9]
	v_fma_f64 v[162:163], v[162:163], v[8:9], -v[10:11]
	scratch_load_b128 v[8:11], off, off offset:336
	s_wait_loadcnt_dscnt 0xc01
	v_mul_f64_e32 v[184:185], v[4:5], v[14:15]
	v_mul_f64_e32 v[14:15], v[6:7], v[14:15]
	v_add_f64_e32 v[164:165], 0, v[182:183]
	v_add_f64_e32 v[178:179], 0, v[178:179]
	s_wait_loadcnt_dscnt 0xb00
	v_mul_f64_e32 v[182:183], v[154:155], v[128:129]
	v_mul_f64_e32 v[128:129], v[156:157], v[128:129]
	v_fmac_f64_e32 v[184:185], v[6:7], v[12:13]
	v_fma_f64 v[186:187], v[4:5], v[12:13], -v[14:15]
	ds_load_b128 v[4:7], v2 offset:1056
	ds_load_b128 v[12:15], v2 offset:1072
	v_add_f64_e32 v[188:189], v[164:165], v[162:163]
	v_add_f64_e32 v[178:179], v[178:179], v[180:181]
	scratch_load_b128 v[162:165], off, off offset:352
	v_fmac_f64_e32 v[182:183], v[156:157], v[126:127]
	v_fma_f64 v[154:155], v[154:155], v[126:127], -v[128:129]
	scratch_load_b128 v[126:129], off, off offset:368
	s_wait_loadcnt_dscnt 0xc01
	v_mul_f64_e32 v[180:181], v[4:5], v[132:133]
	v_mul_f64_e32 v[132:133], v[6:7], v[132:133]
	v_add_f64_e32 v[156:157], v[188:189], v[186:187]
	v_add_f64_e32 v[178:179], v[178:179], v[184:185]
	s_wait_loadcnt_dscnt 0xb00
	v_mul_f64_e32 v[184:185], v[12:13], v[136:137]
	v_mul_f64_e32 v[136:137], v[14:15], v[136:137]
	v_fmac_f64_e32 v[180:181], v[6:7], v[130:131]
	v_fma_f64 v[186:187], v[4:5], v[130:131], -v[132:133]
	ds_load_b128 v[4:7], v2 offset:1088
	ds_load_b128 v[130:133], v2 offset:1104
	v_add_f64_e32 v[188:189], v[156:157], v[154:155]
	v_add_f64_e32 v[178:179], v[178:179], v[182:183]
	scratch_load_b128 v[154:157], off, off offset:384
	s_wait_loadcnt_dscnt 0xb01
	v_mul_f64_e32 v[182:183], v[4:5], v[140:141]
	v_mul_f64_e32 v[140:141], v[6:7], v[140:141]
	v_fmac_f64_e32 v[184:185], v[14:15], v[134:135]
	v_fma_f64 v[134:135], v[12:13], v[134:135], -v[136:137]
	scratch_load_b128 v[12:15], off, off offset:400
	v_add_f64_e32 v[136:137], v[188:189], v[186:187]
	v_add_f64_e32 v[178:179], v[178:179], v[180:181]
	s_wait_loadcnt_dscnt 0xb00
	v_mul_f64_e32 v[180:181], v[130:131], v[144:145]
	v_mul_f64_e32 v[144:145], v[132:133], v[144:145]
	v_fmac_f64_e32 v[182:183], v[6:7], v[138:139]
	v_fma_f64 v[186:187], v[4:5], v[138:139], -v[140:141]
	v_add_f64_e32 v[188:189], v[136:137], v[134:135]
	v_add_f64_e32 v[178:179], v[178:179], v[184:185]
	ds_load_b128 v[4:7], v2 offset:1120
	ds_load_b128 v[134:137], v2 offset:1136
	scratch_load_b128 v[138:141], off, off offset:416
	v_fmac_f64_e32 v[180:181], v[132:133], v[142:143]
	v_fma_f64 v[142:143], v[130:131], v[142:143], -v[144:145]
	scratch_load_b128 v[130:133], off, off offset:432
	s_wait_loadcnt_dscnt 0xc01
	v_mul_f64_e32 v[184:185], v[4:5], v[148:149]
	v_mul_f64_e32 v[148:149], v[6:7], v[148:149]
	v_add_f64_e32 v[144:145], v[188:189], v[186:187]
	v_add_f64_e32 v[178:179], v[178:179], v[182:183]
	s_wait_loadcnt_dscnt 0xb00
	v_mul_f64_e32 v[182:183], v[134:135], v[152:153]
	v_mul_f64_e32 v[152:153], v[136:137], v[152:153]
	v_fmac_f64_e32 v[184:185], v[6:7], v[146:147]
	v_fma_f64 v[186:187], v[4:5], v[146:147], -v[148:149]
	v_add_f64_e32 v[188:189], v[144:145], v[142:143]
	v_add_f64_e32 v[178:179], v[178:179], v[180:181]
	ds_load_b128 v[4:7], v2 offset:1152
	ds_load_b128 v[142:145], v2 offset:1168
	scratch_load_b128 v[146:149], off, off offset:448
	v_fmac_f64_e32 v[182:183], v[136:137], v[150:151]
	v_fma_f64 v[150:151], v[134:135], v[150:151], -v[152:153]
	scratch_load_b128 v[134:137], off, off offset:464
	s_wait_loadcnt_dscnt 0xc01
	v_mul_f64_e32 v[180:181], v[4:5], v[160:161]
	v_mul_f64_e32 v[160:161], v[6:7], v[160:161]
	;; [unrolled: 18-line block ×5, first 2 shown]
	v_add_f64_e32 v[172:173], v[188:189], v[186:187]
	v_add_f64_e32 v[178:179], v[178:179], v[184:185]
	s_wait_loadcnt_dscnt 0xa00
	v_mul_f64_e32 v[184:185], v[150:151], v[14:15]
	v_mul_f64_e32 v[14:15], v[152:153], v[14:15]
	v_fmac_f64_e32 v[180:181], v[6:7], v[154:155]
	v_fma_f64 v[186:187], v[4:5], v[154:155], -v[156:157]
	ds_load_b128 v[4:7], v2 offset:1280
	ds_load_b128 v[154:157], v2 offset:1296
	v_add_f64_e32 v[188:189], v[172:173], v[170:171]
	v_add_f64_e32 v[178:179], v[178:179], v[182:183]
	scratch_load_b128 v[170:173], off, off offset:576
	v_fmac_f64_e32 v[184:185], v[152:153], v[12:13]
	v_fma_f64 v[150:151], v[150:151], v[12:13], -v[14:15]
	scratch_load_b128 v[12:15], off, off offset:592
	s_wait_loadcnt_dscnt 0xb01
	v_mul_f64_e32 v[182:183], v[4:5], v[140:141]
	v_mul_f64_e32 v[140:141], v[6:7], v[140:141]
	v_add_f64_e32 v[152:153], v[188:189], v[186:187]
	v_add_f64_e32 v[178:179], v[178:179], v[180:181]
	s_wait_loadcnt_dscnt 0xa00
	v_mul_f64_e32 v[180:181], v[154:155], v[132:133]
	v_mul_f64_e32 v[132:133], v[156:157], v[132:133]
	v_fmac_f64_e32 v[182:183], v[6:7], v[138:139]
	v_fma_f64 v[186:187], v[4:5], v[138:139], -v[140:141]
	ds_load_b128 v[4:7], v2 offset:1312
	ds_load_b128 v[138:141], v2 offset:1328
	v_add_f64_e32 v[188:189], v[152:153], v[150:151]
	v_add_f64_e32 v[178:179], v[178:179], v[184:185]
	scratch_load_b128 v[150:153], off, off offset:608
	s_wait_loadcnt_dscnt 0xa01
	v_mul_f64_e32 v[184:185], v[4:5], v[148:149]
	v_mul_f64_e32 v[148:149], v[6:7], v[148:149]
	v_fmac_f64_e32 v[180:181], v[156:157], v[130:131]
	v_fma_f64 v[154:155], v[154:155], v[130:131], -v[132:133]
	scratch_load_b128 v[130:133], off, off offset:624
	v_add_f64_e32 v[156:157], v[188:189], v[186:187]
	v_add_f64_e32 v[178:179], v[178:179], v[182:183]
	s_wait_loadcnt_dscnt 0xa00
	v_mul_f64_e32 v[182:183], v[138:139], v[136:137]
	v_mul_f64_e32 v[136:137], v[140:141], v[136:137]
	v_fmac_f64_e32 v[184:185], v[6:7], v[146:147]
	v_fma_f64 v[186:187], v[4:5], v[146:147], -v[148:149]
	ds_load_b128 v[4:7], v2 offset:1344
	ds_load_b128 v[146:149], v2 offset:1360
	v_add_f64_e32 v[188:189], v[156:157], v[154:155]
	v_add_f64_e32 v[178:179], v[178:179], v[180:181]
	scratch_load_b128 v[154:157], off, off offset:640
	s_wait_loadcnt_dscnt 0xa01
	v_mul_f64_e32 v[180:181], v[4:5], v[160:161]
	v_mul_f64_e32 v[160:161], v[6:7], v[160:161]
	v_fmac_f64_e32 v[182:183], v[140:141], v[134:135]
	v_fma_f64 v[138:139], v[138:139], v[134:135], -v[136:137]
	scratch_load_b128 v[134:137], off, off offset:656
	v_add_f64_e32 v[140:141], v[188:189], v[186:187]
	v_add_f64_e32 v[178:179], v[178:179], v[184:185]
	s_wait_loadcnt_dscnt 0xa00
	v_mul_f64_e32 v[184:185], v[146:147], v[144:145]
	v_mul_f64_e32 v[144:145], v[148:149], v[144:145]
	v_fmac_f64_e32 v[180:181], v[6:7], v[158:159]
	v_fma_f64 v[186:187], v[4:5], v[158:159], -v[160:161]
	v_add_f64_e32 v[188:189], v[140:141], v[138:139]
	v_add_f64_e32 v[178:179], v[178:179], v[182:183]
	ds_load_b128 v[4:7], v2 offset:1376
	ds_load_b128 v[138:141], v2 offset:1392
	scratch_load_b128 v[158:161], off, off offset:672
	v_fmac_f64_e32 v[184:185], v[148:149], v[142:143]
	v_fma_f64 v[146:147], v[146:147], v[142:143], -v[144:145]
	scratch_load_b128 v[142:145], off, off offset:688
	s_wait_loadcnt_dscnt 0xb01
	v_mul_f64_e32 v[182:183], v[4:5], v[176:177]
	v_mul_f64_e32 v[176:177], v[6:7], v[176:177]
	v_add_f64_e32 v[148:149], v[188:189], v[186:187]
	v_add_f64_e32 v[178:179], v[178:179], v[180:181]
	s_wait_loadcnt_dscnt 0xa00
	v_mul_f64_e32 v[180:181], v[138:139], v[10:11]
	v_mul_f64_e32 v[10:11], v[140:141], v[10:11]
	v_fmac_f64_e32 v[182:183], v[6:7], v[174:175]
	v_fma_f64 v[186:187], v[4:5], v[174:175], -v[176:177]
	v_add_f64_e32 v[188:189], v[148:149], v[146:147]
	v_add_f64_e32 v[178:179], v[178:179], v[184:185]
	ds_load_b128 v[4:7], v2 offset:1408
	ds_load_b128 v[146:149], v2 offset:1424
	scratch_load_b128 v[174:177], off, off offset:704
	v_fmac_f64_e32 v[180:181], v[140:141], v[8:9]
	v_fma_f64 v[138:139], v[138:139], v[8:9], -v[10:11]
	scratch_load_b128 v[8:11], off, off offset:720
	s_wait_loadcnt_dscnt 0xb01
	v_mul_f64_e32 v[184:185], v[4:5], v[164:165]
	v_mul_f64_e32 v[164:165], v[6:7], v[164:165]
	;; [unrolled: 18-line block ×6, first 2 shown]
	v_add_f64_e32 v[140:141], v[188:189], v[186:187]
	v_add_f64_e32 v[178:179], v[178:179], v[184:185]
	s_wait_loadcnt_dscnt 0xa00
	v_mul_f64_e32 v[184:185], v[146:147], v[144:145]
	v_mul_f64_e32 v[144:145], v[148:149], v[144:145]
	v_fmac_f64_e32 v[180:181], v[6:7], v[158:159]
	v_fma_f64 v[158:159], v[4:5], v[158:159], -v[160:161]
	v_add_f64_e32 v[160:161], v[140:141], v[138:139]
	v_add_f64_e32 v[178:179], v[178:179], v[182:183]
	ds_load_b128 v[4:7], v2 offset:1568
	ds_load_b128 v[138:141], v2 offset:1584
	v_fmac_f64_e32 v[184:185], v[148:149], v[142:143]
	v_fma_f64 v[142:143], v[146:147], v[142:143], -v[144:145]
	s_wait_loadcnt_dscnt 0x901
	v_mul_f64_e32 v[182:183], v[4:5], v[176:177]
	v_mul_f64_e32 v[176:177], v[6:7], v[176:177]
	s_wait_loadcnt_dscnt 0x800
	v_mul_f64_e32 v[148:149], v[138:139], v[10:11]
	v_mul_f64_e32 v[10:11], v[140:141], v[10:11]
	v_add_f64_e32 v[144:145], v[160:161], v[158:159]
	v_add_f64_e32 v[146:147], v[178:179], v[180:181]
	v_fmac_f64_e32 v[182:183], v[6:7], v[174:175]
	v_fma_f64 v[158:159], v[4:5], v[174:175], -v[176:177]
	v_fmac_f64_e32 v[148:149], v[140:141], v[8:9]
	v_fma_f64 v[8:9], v[138:139], v[8:9], -v[10:11]
	v_add_f64_e32 v[160:161], v[144:145], v[142:143]
	v_add_f64_e32 v[146:147], v[146:147], v[184:185]
	ds_load_b128 v[4:7], v2 offset:1600
	ds_load_b128 v[142:145], v2 offset:1616
	s_wait_loadcnt_dscnt 0x701
	v_mul_f64_e32 v[174:175], v[4:5], v[164:165]
	v_mul_f64_e32 v[164:165], v[6:7], v[164:165]
	s_wait_loadcnt_dscnt 0x600
	v_mul_f64_e32 v[140:141], v[142:143], v[128:129]
	v_mul_f64_e32 v[128:129], v[144:145], v[128:129]
	v_add_f64_e32 v[10:11], v[160:161], v[158:159]
	v_add_f64_e32 v[138:139], v[146:147], v[182:183]
	v_fmac_f64_e32 v[174:175], v[6:7], v[162:163]
	v_fma_f64 v[146:147], v[4:5], v[162:163], -v[164:165]
	v_fmac_f64_e32 v[140:141], v[144:145], v[126:127]
	v_fma_f64 v[126:127], v[142:143], v[126:127], -v[128:129]
	v_add_f64_e32 v[158:159], v[10:11], v[8:9]
	v_add_f64_e32 v[138:139], v[138:139], v[148:149]
	ds_load_b128 v[4:7], v2 offset:1632
	ds_load_b128 v[8:11], v2 offset:1648
	;; [unrolled: 16-line block ×4, first 2 shown]
	s_wait_loadcnt_dscnt 0x101
	v_mul_f64_e32 v[2:3], v[4:5], v[156:157]
	v_mul_f64_e32 v[142:143], v[6:7], v[156:157]
	s_wait_loadcnt_dscnt 0x0
	v_mul_f64_e32 v[130:131], v[8:9], v[136:137]
	v_mul_f64_e32 v[132:133], v[10:11], v[136:137]
	v_add_f64_e32 v[128:129], v[144:145], v[138:139]
	v_add_f64_e32 v[12:13], v[12:13], v[140:141]
	v_fmac_f64_e32 v[2:3], v[6:7], v[154:155]
	v_fma_f64 v[4:5], v[4:5], v[154:155], -v[142:143]
	v_fmac_f64_e32 v[130:131], v[10:11], v[134:135]
	v_fma_f64 v[8:9], v[8:9], v[134:135], -v[132:133]
	v_add_f64_e32 v[6:7], v[128:129], v[126:127]
	v_add_f64_e32 v[12:13], v[12:13], v[14:15]
	s_delay_alu instid0(VALU_DEP_2) | instskip(NEXT) | instid1(VALU_DEP_2)
	v_add_f64_e32 v[4:5], v[6:7], v[4:5]
	v_add_f64_e32 v[2:3], v[12:13], v[2:3]
	s_delay_alu instid0(VALU_DEP_2) | instskip(NEXT) | instid1(VALU_DEP_2)
	;; [unrolled: 3-line block ×3, first 2 shown]
	v_add_f64_e64 v[2:3], v[166:167], -v[4:5]
	v_add_f64_e64 v[4:5], v[168:169], -v[6:7]
	scratch_store_b128 off, v[2:5], off offset:112
	s_wait_xcnt 0x0
	v_cmpx_lt_u32_e32 6, v1
	s_cbranch_execz .LBB117_325
; %bb.324:
	scratch_load_b128 v[2:5], off, s64
	v_mov_b32_e32 v6, 0
	s_delay_alu instid0(VALU_DEP_1)
	v_dual_mov_b32 v7, v6 :: v_dual_mov_b32 v8, v6
	v_mov_b32_e32 v9, v6
	scratch_store_b128 off, v[6:9], off offset:96
	s_wait_loadcnt 0x0
	ds_store_b128 v124, v[2:5]
.LBB117_325:
	s_wait_xcnt 0x0
	s_or_b32 exec_lo, exec_lo, s2
	s_wait_storecnt_dscnt 0x0
	s_barrier_signal -1
	s_barrier_wait -1
	s_clause 0x9
	scratch_load_b128 v[4:7], off, off offset:112
	scratch_load_b128 v[8:11], off, off offset:128
	;; [unrolled: 1-line block ×10, first 2 shown]
	v_mov_b32_e32 v2, 0
	s_mov_b32 s2, exec_lo
	ds_load_b128 v[154:157], v2 offset:976
	s_clause 0x2
	scratch_load_b128 v[158:161], off, off offset:272
	scratch_load_b128 v[162:165], off, off offset:96
	;; [unrolled: 1-line block ×3, first 2 shown]
	s_wait_loadcnt_dscnt 0xc00
	v_mul_f64_e32 v[174:175], v[156:157], v[6:7]
	v_mul_f64_e32 v[178:179], v[154:155], v[6:7]
	ds_load_b128 v[166:169], v2 offset:992
	v_fma_f64 v[182:183], v[154:155], v[4:5], -v[174:175]
	v_fmac_f64_e32 v[178:179], v[156:157], v[4:5]
	ds_load_b128 v[4:7], v2 offset:1008
	s_wait_loadcnt_dscnt 0xb01
	v_mul_f64_e32 v[180:181], v[166:167], v[10:11]
	v_mul_f64_e32 v[10:11], v[168:169], v[10:11]
	scratch_load_b128 v[154:157], off, off offset:304
	ds_load_b128 v[174:177], v2 offset:1024
	s_wait_loadcnt_dscnt 0xb01
	v_mul_f64_e32 v[184:185], v[4:5], v[14:15]
	v_mul_f64_e32 v[14:15], v[6:7], v[14:15]
	v_add_f64_e32 v[178:179], 0, v[178:179]
	v_fmac_f64_e32 v[180:181], v[168:169], v[8:9]
	v_fma_f64 v[166:167], v[166:167], v[8:9], -v[10:11]
	v_add_f64_e32 v[168:169], 0, v[182:183]
	scratch_load_b128 v[8:11], off, off offset:320
	v_fmac_f64_e32 v[184:185], v[6:7], v[12:13]
	v_fma_f64 v[186:187], v[4:5], v[12:13], -v[14:15]
	ds_load_b128 v[4:7], v2 offset:1040
	s_wait_loadcnt_dscnt 0xb01
	v_mul_f64_e32 v[182:183], v[174:175], v[128:129]
	v_mul_f64_e32 v[128:129], v[176:177], v[128:129]
	scratch_load_b128 v[12:15], off, off offset:336
	v_add_f64_e32 v[178:179], v[178:179], v[180:181]
	v_add_f64_e32 v[188:189], v[168:169], v[166:167]
	ds_load_b128 v[166:169], v2 offset:1056
	s_wait_loadcnt_dscnt 0xb01
	v_mul_f64_e32 v[180:181], v[4:5], v[132:133]
	v_mul_f64_e32 v[132:133], v[6:7], v[132:133]
	v_fmac_f64_e32 v[182:183], v[176:177], v[126:127]
	v_fma_f64 v[174:175], v[174:175], v[126:127], -v[128:129]
	scratch_load_b128 v[126:129], off, off offset:352
	v_add_f64_e32 v[178:179], v[178:179], v[184:185]
	v_add_f64_e32 v[176:177], v[188:189], v[186:187]
	v_fmac_f64_e32 v[180:181], v[6:7], v[130:131]
	v_fma_f64 v[186:187], v[4:5], v[130:131], -v[132:133]
	ds_load_b128 v[4:7], v2 offset:1072
	s_wait_loadcnt_dscnt 0xb01
	v_mul_f64_e32 v[184:185], v[166:167], v[136:137]
	v_mul_f64_e32 v[136:137], v[168:169], v[136:137]
	scratch_load_b128 v[130:133], off, off offset:368
	v_add_f64_e32 v[178:179], v[178:179], v[182:183]
	s_wait_loadcnt_dscnt 0xb00
	v_mul_f64_e32 v[182:183], v[4:5], v[140:141]
	v_add_f64_e32 v[188:189], v[176:177], v[174:175]
	v_mul_f64_e32 v[140:141], v[6:7], v[140:141]
	ds_load_b128 v[174:177], v2 offset:1088
	v_fmac_f64_e32 v[184:185], v[168:169], v[134:135]
	v_fma_f64 v[166:167], v[166:167], v[134:135], -v[136:137]
	scratch_load_b128 v[134:137], off, off offset:384
	v_add_f64_e32 v[178:179], v[178:179], v[180:181]
	v_fmac_f64_e32 v[182:183], v[6:7], v[138:139]
	v_add_f64_e32 v[168:169], v[188:189], v[186:187]
	v_fma_f64 v[186:187], v[4:5], v[138:139], -v[140:141]
	ds_load_b128 v[4:7], v2 offset:1104
	s_wait_loadcnt_dscnt 0xb01
	v_mul_f64_e32 v[180:181], v[174:175], v[144:145]
	v_mul_f64_e32 v[144:145], v[176:177], v[144:145]
	scratch_load_b128 v[138:141], off, off offset:400
	v_add_f64_e32 v[178:179], v[178:179], v[184:185]
	s_wait_loadcnt_dscnt 0xb00
	v_mul_f64_e32 v[184:185], v[4:5], v[148:149]
	v_add_f64_e32 v[188:189], v[168:169], v[166:167]
	v_mul_f64_e32 v[148:149], v[6:7], v[148:149]
	ds_load_b128 v[166:169], v2 offset:1120
	v_fmac_f64_e32 v[180:181], v[176:177], v[142:143]
	v_fma_f64 v[174:175], v[174:175], v[142:143], -v[144:145]
	scratch_load_b128 v[142:145], off, off offset:416
	v_add_f64_e32 v[178:179], v[178:179], v[182:183]
	v_fmac_f64_e32 v[184:185], v[6:7], v[146:147]
	v_add_f64_e32 v[176:177], v[188:189], v[186:187]
	;; [unrolled: 18-line block ×3, first 2 shown]
	v_fma_f64 v[186:187], v[4:5], v[158:159], -v[160:161]
	ds_load_b128 v[4:7], v2 offset:1168
	s_wait_loadcnt_dscnt 0xa01
	v_mul_f64_e32 v[184:185], v[174:175], v[172:173]
	v_mul_f64_e32 v[172:173], v[176:177], v[172:173]
	scratch_load_b128 v[158:161], off, off offset:464
	v_add_f64_e32 v[178:179], v[178:179], v[182:183]
	v_add_f64_e32 v[188:189], v[168:169], v[166:167]
	s_wait_loadcnt_dscnt 0xa00
	v_mul_f64_e32 v[182:183], v[4:5], v[156:157]
	v_mul_f64_e32 v[156:157], v[6:7], v[156:157]
	v_fmac_f64_e32 v[184:185], v[176:177], v[170:171]
	v_fma_f64 v[174:175], v[174:175], v[170:171], -v[172:173]
	ds_load_b128 v[166:169], v2 offset:1184
	scratch_load_b128 v[170:173], off, off offset:480
	v_add_f64_e32 v[178:179], v[178:179], v[180:181]
	v_add_f64_e32 v[176:177], v[188:189], v[186:187]
	v_fmac_f64_e32 v[182:183], v[6:7], v[154:155]
	v_fma_f64 v[186:187], v[4:5], v[154:155], -v[156:157]
	ds_load_b128 v[4:7], v2 offset:1200
	s_wait_loadcnt_dscnt 0xa01
	v_mul_f64_e32 v[180:181], v[166:167], v[10:11]
	v_mul_f64_e32 v[10:11], v[168:169], v[10:11]
	scratch_load_b128 v[154:157], off, off offset:496
	v_add_f64_e32 v[178:179], v[178:179], v[184:185]
	s_wait_loadcnt_dscnt 0xa00
	v_mul_f64_e32 v[184:185], v[4:5], v[14:15]
	v_add_f64_e32 v[188:189], v[176:177], v[174:175]
	v_mul_f64_e32 v[14:15], v[6:7], v[14:15]
	ds_load_b128 v[174:177], v2 offset:1216
	v_fmac_f64_e32 v[180:181], v[168:169], v[8:9]
	v_fma_f64 v[166:167], v[166:167], v[8:9], -v[10:11]
	scratch_load_b128 v[8:11], off, off offset:512
	v_add_f64_e32 v[178:179], v[178:179], v[182:183]
	v_fmac_f64_e32 v[184:185], v[6:7], v[12:13]
	v_add_f64_e32 v[168:169], v[188:189], v[186:187]
	v_fma_f64 v[186:187], v[4:5], v[12:13], -v[14:15]
	ds_load_b128 v[4:7], v2 offset:1232
	s_wait_loadcnt_dscnt 0xa01
	v_mul_f64_e32 v[182:183], v[174:175], v[128:129]
	v_mul_f64_e32 v[128:129], v[176:177], v[128:129]
	scratch_load_b128 v[12:15], off, off offset:528
	v_add_f64_e32 v[178:179], v[178:179], v[180:181]
	s_wait_loadcnt_dscnt 0xa00
	v_mul_f64_e32 v[180:181], v[4:5], v[132:133]
	v_add_f64_e32 v[188:189], v[168:169], v[166:167]
	v_mul_f64_e32 v[132:133], v[6:7], v[132:133]
	ds_load_b128 v[166:169], v2 offset:1248
	v_fmac_f64_e32 v[182:183], v[176:177], v[126:127]
	v_fma_f64 v[174:175], v[174:175], v[126:127], -v[128:129]
	scratch_load_b128 v[126:129], off, off offset:544
	v_add_f64_e32 v[178:179], v[178:179], v[184:185]
	v_fmac_f64_e32 v[180:181], v[6:7], v[130:131]
	v_add_f64_e32 v[176:177], v[188:189], v[186:187]
	;; [unrolled: 18-line block ×11, first 2 shown]
	v_fma_f64 v[186:187], v[4:5], v[158:159], -v[160:161]
	ds_load_b128 v[4:7], v2 offset:1552
	s_wait_loadcnt_dscnt 0xa01
	v_mul_f64_e32 v[184:185], v[174:175], v[172:173]
	v_mul_f64_e32 v[172:173], v[176:177], v[172:173]
	scratch_load_b128 v[158:161], off, off offset:848
	v_add_f64_e32 v[178:179], v[178:179], v[182:183]
	s_wait_loadcnt_dscnt 0xa00
	v_mul_f64_e32 v[182:183], v[4:5], v[156:157]
	v_add_f64_e32 v[188:189], v[168:169], v[166:167]
	v_mul_f64_e32 v[156:157], v[6:7], v[156:157]
	ds_load_b128 v[166:169], v2 offset:1568
	v_fmac_f64_e32 v[184:185], v[176:177], v[170:171]
	v_fma_f64 v[170:171], v[174:175], v[170:171], -v[172:173]
	s_wait_loadcnt_dscnt 0x900
	v_mul_f64_e32 v[176:177], v[166:167], v[10:11]
	v_mul_f64_e32 v[10:11], v[168:169], v[10:11]
	v_add_f64_e32 v[174:175], v[178:179], v[180:181]
	v_fmac_f64_e32 v[182:183], v[6:7], v[154:155]
	v_add_f64_e32 v[172:173], v[188:189], v[186:187]
	v_fma_f64 v[178:179], v[4:5], v[154:155], -v[156:157]
	ds_load_b128 v[4:7], v2 offset:1584
	ds_load_b128 v[154:157], v2 offset:1600
	v_fmac_f64_e32 v[176:177], v[168:169], v[8:9]
	v_fma_f64 v[8:9], v[166:167], v[8:9], -v[10:11]
	v_add_f64_e32 v[170:171], v[172:173], v[170:171]
	v_add_f64_e32 v[172:173], v[174:175], v[184:185]
	s_wait_loadcnt_dscnt 0x801
	v_mul_f64_e32 v[174:175], v[4:5], v[14:15]
	v_mul_f64_e32 v[14:15], v[6:7], v[14:15]
	s_wait_loadcnt_dscnt 0x700
	v_mul_f64_e32 v[168:169], v[154:155], v[128:129]
	v_mul_f64_e32 v[128:129], v[156:157], v[128:129]
	v_add_f64_e32 v[10:11], v[170:171], v[178:179]
	v_add_f64_e32 v[166:167], v[172:173], v[182:183]
	v_fmac_f64_e32 v[174:175], v[6:7], v[12:13]
	v_fma_f64 v[12:13], v[4:5], v[12:13], -v[14:15]
	v_fmac_f64_e32 v[168:169], v[156:157], v[126:127]
	v_fma_f64 v[126:127], v[154:155], v[126:127], -v[128:129]
	v_add_f64_e32 v[14:15], v[10:11], v[8:9]
	v_add_f64_e32 v[166:167], v[166:167], v[176:177]
	ds_load_b128 v[4:7], v2 offset:1616
	ds_load_b128 v[8:11], v2 offset:1632
	s_wait_loadcnt_dscnt 0x601
	v_mul_f64_e32 v[170:171], v[4:5], v[132:133]
	v_mul_f64_e32 v[132:133], v[6:7], v[132:133]
	s_wait_loadcnt_dscnt 0x500
	v_mul_f64_e32 v[128:129], v[8:9], v[136:137]
	v_mul_f64_e32 v[136:137], v[10:11], v[136:137]
	v_add_f64_e32 v[12:13], v[14:15], v[12:13]
	v_add_f64_e32 v[14:15], v[166:167], v[174:175]
	v_fmac_f64_e32 v[170:171], v[6:7], v[130:131]
	v_fma_f64 v[130:131], v[4:5], v[130:131], -v[132:133]
	v_fmac_f64_e32 v[128:129], v[10:11], v[134:135]
	v_fma_f64 v[8:9], v[8:9], v[134:135], -v[136:137]
	v_add_f64_e32 v[126:127], v[12:13], v[126:127]
	v_add_f64_e32 v[132:133], v[14:15], v[168:169]
	ds_load_b128 v[4:7], v2 offset:1648
	ds_load_b128 v[12:15], v2 offset:1664
	s_wait_loadcnt_dscnt 0x401
	v_mul_f64_e32 v[154:155], v[4:5], v[140:141]
	v_mul_f64_e32 v[140:141], v[6:7], v[140:141]
	v_add_f64_e32 v[10:11], v[126:127], v[130:131]
	v_add_f64_e32 v[126:127], v[132:133], v[170:171]
	s_wait_loadcnt_dscnt 0x300
	v_mul_f64_e32 v[130:131], v[12:13], v[144:145]
	v_mul_f64_e32 v[132:133], v[14:15], v[144:145]
	v_fmac_f64_e32 v[154:155], v[6:7], v[138:139]
	v_fma_f64 v[134:135], v[4:5], v[138:139], -v[140:141]
	v_add_f64_e32 v[136:137], v[10:11], v[8:9]
	v_add_f64_e32 v[126:127], v[126:127], v[128:129]
	ds_load_b128 v[4:7], v2 offset:1680
	ds_load_b128 v[8:11], v2 offset:1696
	v_fmac_f64_e32 v[130:131], v[14:15], v[142:143]
	v_fma_f64 v[12:13], v[12:13], v[142:143], -v[132:133]
	s_wait_loadcnt_dscnt 0x201
	v_mul_f64_e32 v[128:129], v[4:5], v[148:149]
	v_mul_f64_e32 v[138:139], v[6:7], v[148:149]
	s_wait_loadcnt_dscnt 0x100
	v_mul_f64_e32 v[132:133], v[8:9], v[152:153]
	v_add_f64_e32 v[14:15], v[136:137], v[134:135]
	v_add_f64_e32 v[126:127], v[126:127], v[154:155]
	v_mul_f64_e32 v[134:135], v[10:11], v[152:153]
	v_fmac_f64_e32 v[128:129], v[6:7], v[146:147]
	v_fma_f64 v[136:137], v[4:5], v[146:147], -v[138:139]
	ds_load_b128 v[4:7], v2 offset:1712
	v_fmac_f64_e32 v[132:133], v[10:11], v[150:151]
	v_add_f64_e32 v[12:13], v[14:15], v[12:13]
	v_add_f64_e32 v[14:15], v[126:127], v[130:131]
	v_fma_f64 v[8:9], v[8:9], v[150:151], -v[134:135]
	s_wait_loadcnt_dscnt 0x0
	v_mul_f64_e32 v[126:127], v[4:5], v[160:161]
	v_mul_f64_e32 v[130:131], v[6:7], v[160:161]
	v_add_f64_e32 v[10:11], v[12:13], v[136:137]
	v_add_f64_e32 v[12:13], v[14:15], v[128:129]
	s_delay_alu instid0(VALU_DEP_4) | instskip(NEXT) | instid1(VALU_DEP_4)
	v_fmac_f64_e32 v[126:127], v[6:7], v[158:159]
	v_fma_f64 v[4:5], v[4:5], v[158:159], -v[130:131]
	s_delay_alu instid0(VALU_DEP_4) | instskip(NEXT) | instid1(VALU_DEP_4)
	v_add_f64_e32 v[6:7], v[10:11], v[8:9]
	v_add_f64_e32 v[8:9], v[12:13], v[132:133]
	s_delay_alu instid0(VALU_DEP_2) | instskip(NEXT) | instid1(VALU_DEP_2)
	v_add_f64_e32 v[4:5], v[6:7], v[4:5]
	v_add_f64_e32 v[6:7], v[8:9], v[126:127]
	s_delay_alu instid0(VALU_DEP_2) | instskip(NEXT) | instid1(VALU_DEP_2)
	v_add_f64_e64 v[4:5], v[162:163], -v[4:5]
	v_add_f64_e64 v[6:7], v[164:165], -v[6:7]
	scratch_store_b128 off, v[4:7], off offset:96
	s_wait_xcnt 0x0
	v_cmpx_lt_u32_e32 5, v1
	s_cbranch_execz .LBB117_327
; %bb.326:
	scratch_load_b128 v[6:9], off, s65
	v_dual_mov_b32 v3, v2 :: v_dual_mov_b32 v4, v2
	v_mov_b32_e32 v5, v2
	scratch_store_b128 off, v[2:5], off offset:80
	s_wait_loadcnt 0x0
	ds_store_b128 v124, v[6:9]
.LBB117_327:
	s_wait_xcnt 0x0
	s_or_b32 exec_lo, exec_lo, s2
	s_wait_storecnt_dscnt 0x0
	s_barrier_signal -1
	s_barrier_wait -1
	s_clause 0x9
	scratch_load_b128 v[4:7], off, off offset:96
	scratch_load_b128 v[8:11], off, off offset:112
	;; [unrolled: 1-line block ×10, first 2 shown]
	ds_load_b128 v[154:157], v2 offset:960
	ds_load_b128 v[162:165], v2 offset:976
	s_clause 0x2
	scratch_load_b128 v[158:161], off, off offset:256
	scratch_load_b128 v[166:169], off, off offset:80
	;; [unrolled: 1-line block ×3, first 2 shown]
	s_mov_b32 s2, exec_lo
	s_wait_loadcnt_dscnt 0xc01
	v_mul_f64_e32 v[174:175], v[156:157], v[6:7]
	v_mul_f64_e32 v[178:179], v[154:155], v[6:7]
	s_wait_loadcnt_dscnt 0xb00
	v_mul_f64_e32 v[180:181], v[162:163], v[10:11]
	v_mul_f64_e32 v[10:11], v[164:165], v[10:11]
	s_delay_alu instid0(VALU_DEP_4) | instskip(NEXT) | instid1(VALU_DEP_4)
	v_fma_f64 v[182:183], v[154:155], v[4:5], -v[174:175]
	v_fmac_f64_e32 v[178:179], v[156:157], v[4:5]
	ds_load_b128 v[4:7], v2 offset:992
	ds_load_b128 v[154:157], v2 offset:1008
	scratch_load_b128 v[174:177], off, off offset:288
	v_fmac_f64_e32 v[180:181], v[164:165], v[8:9]
	v_fma_f64 v[162:163], v[162:163], v[8:9], -v[10:11]
	scratch_load_b128 v[8:11], off, off offset:304
	s_wait_loadcnt_dscnt 0xc01
	v_mul_f64_e32 v[184:185], v[4:5], v[14:15]
	v_mul_f64_e32 v[14:15], v[6:7], v[14:15]
	v_add_f64_e32 v[164:165], 0, v[182:183]
	v_add_f64_e32 v[178:179], 0, v[178:179]
	s_wait_loadcnt_dscnt 0xb00
	v_mul_f64_e32 v[182:183], v[154:155], v[128:129]
	v_mul_f64_e32 v[128:129], v[156:157], v[128:129]
	v_fmac_f64_e32 v[184:185], v[6:7], v[12:13]
	v_fma_f64 v[186:187], v[4:5], v[12:13], -v[14:15]
	ds_load_b128 v[4:7], v2 offset:1024
	ds_load_b128 v[12:15], v2 offset:1040
	v_add_f64_e32 v[188:189], v[164:165], v[162:163]
	v_add_f64_e32 v[178:179], v[178:179], v[180:181]
	scratch_load_b128 v[162:165], off, off offset:320
	v_fmac_f64_e32 v[182:183], v[156:157], v[126:127]
	v_fma_f64 v[154:155], v[154:155], v[126:127], -v[128:129]
	scratch_load_b128 v[126:129], off, off offset:336
	s_wait_loadcnt_dscnt 0xc01
	v_mul_f64_e32 v[180:181], v[4:5], v[132:133]
	v_mul_f64_e32 v[132:133], v[6:7], v[132:133]
	v_add_f64_e32 v[156:157], v[188:189], v[186:187]
	v_add_f64_e32 v[178:179], v[178:179], v[184:185]
	s_wait_loadcnt_dscnt 0xb00
	v_mul_f64_e32 v[184:185], v[12:13], v[136:137]
	v_mul_f64_e32 v[136:137], v[14:15], v[136:137]
	v_fmac_f64_e32 v[180:181], v[6:7], v[130:131]
	v_fma_f64 v[186:187], v[4:5], v[130:131], -v[132:133]
	ds_load_b128 v[4:7], v2 offset:1056
	ds_load_b128 v[130:133], v2 offset:1072
	v_add_f64_e32 v[188:189], v[156:157], v[154:155]
	v_add_f64_e32 v[178:179], v[178:179], v[182:183]
	scratch_load_b128 v[154:157], off, off offset:352
	s_wait_loadcnt_dscnt 0xb01
	v_mul_f64_e32 v[182:183], v[4:5], v[140:141]
	v_mul_f64_e32 v[140:141], v[6:7], v[140:141]
	v_fmac_f64_e32 v[184:185], v[14:15], v[134:135]
	v_fma_f64 v[134:135], v[12:13], v[134:135], -v[136:137]
	scratch_load_b128 v[12:15], off, off offset:368
	v_add_f64_e32 v[136:137], v[188:189], v[186:187]
	v_add_f64_e32 v[178:179], v[178:179], v[180:181]
	s_wait_loadcnt_dscnt 0xb00
	v_mul_f64_e32 v[180:181], v[130:131], v[144:145]
	v_mul_f64_e32 v[144:145], v[132:133], v[144:145]
	v_fmac_f64_e32 v[182:183], v[6:7], v[138:139]
	v_fma_f64 v[186:187], v[4:5], v[138:139], -v[140:141]
	v_add_f64_e32 v[188:189], v[136:137], v[134:135]
	v_add_f64_e32 v[178:179], v[178:179], v[184:185]
	ds_load_b128 v[4:7], v2 offset:1088
	ds_load_b128 v[134:137], v2 offset:1104
	scratch_load_b128 v[138:141], off, off offset:384
	v_fmac_f64_e32 v[180:181], v[132:133], v[142:143]
	v_fma_f64 v[142:143], v[130:131], v[142:143], -v[144:145]
	scratch_load_b128 v[130:133], off, off offset:400
	s_wait_loadcnt_dscnt 0xc01
	v_mul_f64_e32 v[184:185], v[4:5], v[148:149]
	v_mul_f64_e32 v[148:149], v[6:7], v[148:149]
	v_add_f64_e32 v[144:145], v[188:189], v[186:187]
	v_add_f64_e32 v[178:179], v[178:179], v[182:183]
	s_wait_loadcnt_dscnt 0xb00
	v_mul_f64_e32 v[182:183], v[134:135], v[152:153]
	v_mul_f64_e32 v[152:153], v[136:137], v[152:153]
	v_fmac_f64_e32 v[184:185], v[6:7], v[146:147]
	v_fma_f64 v[186:187], v[4:5], v[146:147], -v[148:149]
	v_add_f64_e32 v[188:189], v[144:145], v[142:143]
	v_add_f64_e32 v[178:179], v[178:179], v[180:181]
	ds_load_b128 v[4:7], v2 offset:1120
	ds_load_b128 v[142:145], v2 offset:1136
	scratch_load_b128 v[146:149], off, off offset:416
	v_fmac_f64_e32 v[182:183], v[136:137], v[150:151]
	v_fma_f64 v[150:151], v[134:135], v[150:151], -v[152:153]
	scratch_load_b128 v[134:137], off, off offset:432
	s_wait_loadcnt_dscnt 0xc01
	v_mul_f64_e32 v[180:181], v[4:5], v[160:161]
	v_mul_f64_e32 v[160:161], v[6:7], v[160:161]
	;; [unrolled: 18-line block ×5, first 2 shown]
	v_add_f64_e32 v[172:173], v[188:189], v[186:187]
	v_add_f64_e32 v[178:179], v[178:179], v[184:185]
	s_wait_loadcnt_dscnt 0xa00
	v_mul_f64_e32 v[184:185], v[150:151], v[14:15]
	v_mul_f64_e32 v[14:15], v[152:153], v[14:15]
	v_fmac_f64_e32 v[180:181], v[6:7], v[154:155]
	v_fma_f64 v[186:187], v[4:5], v[154:155], -v[156:157]
	ds_load_b128 v[4:7], v2 offset:1248
	ds_load_b128 v[154:157], v2 offset:1264
	v_add_f64_e32 v[188:189], v[172:173], v[170:171]
	v_add_f64_e32 v[178:179], v[178:179], v[182:183]
	scratch_load_b128 v[170:173], off, off offset:544
	v_fmac_f64_e32 v[184:185], v[152:153], v[12:13]
	v_fma_f64 v[150:151], v[150:151], v[12:13], -v[14:15]
	scratch_load_b128 v[12:15], off, off offset:560
	s_wait_loadcnt_dscnt 0xb01
	v_mul_f64_e32 v[182:183], v[4:5], v[140:141]
	v_mul_f64_e32 v[140:141], v[6:7], v[140:141]
	v_add_f64_e32 v[152:153], v[188:189], v[186:187]
	v_add_f64_e32 v[178:179], v[178:179], v[180:181]
	s_wait_loadcnt_dscnt 0xa00
	v_mul_f64_e32 v[180:181], v[154:155], v[132:133]
	v_mul_f64_e32 v[132:133], v[156:157], v[132:133]
	v_fmac_f64_e32 v[182:183], v[6:7], v[138:139]
	v_fma_f64 v[186:187], v[4:5], v[138:139], -v[140:141]
	ds_load_b128 v[4:7], v2 offset:1280
	ds_load_b128 v[138:141], v2 offset:1296
	v_add_f64_e32 v[188:189], v[152:153], v[150:151]
	v_add_f64_e32 v[178:179], v[178:179], v[184:185]
	scratch_load_b128 v[150:153], off, off offset:576
	s_wait_loadcnt_dscnt 0xa01
	v_mul_f64_e32 v[184:185], v[4:5], v[148:149]
	v_mul_f64_e32 v[148:149], v[6:7], v[148:149]
	v_fmac_f64_e32 v[180:181], v[156:157], v[130:131]
	v_fma_f64 v[154:155], v[154:155], v[130:131], -v[132:133]
	scratch_load_b128 v[130:133], off, off offset:592
	v_add_f64_e32 v[156:157], v[188:189], v[186:187]
	v_add_f64_e32 v[178:179], v[178:179], v[182:183]
	s_wait_loadcnt_dscnt 0xa00
	v_mul_f64_e32 v[182:183], v[138:139], v[136:137]
	v_mul_f64_e32 v[136:137], v[140:141], v[136:137]
	v_fmac_f64_e32 v[184:185], v[6:7], v[146:147]
	v_fma_f64 v[186:187], v[4:5], v[146:147], -v[148:149]
	ds_load_b128 v[4:7], v2 offset:1312
	ds_load_b128 v[146:149], v2 offset:1328
	v_add_f64_e32 v[188:189], v[156:157], v[154:155]
	v_add_f64_e32 v[178:179], v[178:179], v[180:181]
	scratch_load_b128 v[154:157], off, off offset:608
	s_wait_loadcnt_dscnt 0xa01
	v_mul_f64_e32 v[180:181], v[4:5], v[160:161]
	v_mul_f64_e32 v[160:161], v[6:7], v[160:161]
	v_fmac_f64_e32 v[182:183], v[140:141], v[134:135]
	v_fma_f64 v[138:139], v[138:139], v[134:135], -v[136:137]
	scratch_load_b128 v[134:137], off, off offset:624
	v_add_f64_e32 v[140:141], v[188:189], v[186:187]
	v_add_f64_e32 v[178:179], v[178:179], v[184:185]
	s_wait_loadcnt_dscnt 0xa00
	v_mul_f64_e32 v[184:185], v[146:147], v[144:145]
	v_mul_f64_e32 v[144:145], v[148:149], v[144:145]
	v_fmac_f64_e32 v[180:181], v[6:7], v[158:159]
	v_fma_f64 v[186:187], v[4:5], v[158:159], -v[160:161]
	v_add_f64_e32 v[188:189], v[140:141], v[138:139]
	v_add_f64_e32 v[178:179], v[178:179], v[182:183]
	ds_load_b128 v[4:7], v2 offset:1344
	ds_load_b128 v[138:141], v2 offset:1360
	scratch_load_b128 v[158:161], off, off offset:640
	v_fmac_f64_e32 v[184:185], v[148:149], v[142:143]
	v_fma_f64 v[146:147], v[146:147], v[142:143], -v[144:145]
	scratch_load_b128 v[142:145], off, off offset:656
	s_wait_loadcnt_dscnt 0xb01
	v_mul_f64_e32 v[182:183], v[4:5], v[176:177]
	v_mul_f64_e32 v[176:177], v[6:7], v[176:177]
	v_add_f64_e32 v[148:149], v[188:189], v[186:187]
	v_add_f64_e32 v[178:179], v[178:179], v[180:181]
	s_wait_loadcnt_dscnt 0xa00
	v_mul_f64_e32 v[180:181], v[138:139], v[10:11]
	v_mul_f64_e32 v[10:11], v[140:141], v[10:11]
	v_fmac_f64_e32 v[182:183], v[6:7], v[174:175]
	v_fma_f64 v[186:187], v[4:5], v[174:175], -v[176:177]
	v_add_f64_e32 v[188:189], v[148:149], v[146:147]
	v_add_f64_e32 v[178:179], v[178:179], v[184:185]
	ds_load_b128 v[4:7], v2 offset:1376
	ds_load_b128 v[146:149], v2 offset:1392
	scratch_load_b128 v[174:177], off, off offset:672
	v_fmac_f64_e32 v[180:181], v[140:141], v[8:9]
	v_fma_f64 v[138:139], v[138:139], v[8:9], -v[10:11]
	scratch_load_b128 v[8:11], off, off offset:688
	s_wait_loadcnt_dscnt 0xb01
	v_mul_f64_e32 v[184:185], v[4:5], v[164:165]
	v_mul_f64_e32 v[164:165], v[6:7], v[164:165]
	;; [unrolled: 18-line block ×7, first 2 shown]
	v_add_f64_e32 v[148:149], v[188:189], v[186:187]
	v_add_f64_e32 v[178:179], v[178:179], v[180:181]
	s_wait_loadcnt_dscnt 0xa00
	v_mul_f64_e32 v[180:181], v[138:139], v[10:11]
	v_mul_f64_e32 v[10:11], v[140:141], v[10:11]
	v_fmac_f64_e32 v[182:183], v[6:7], v[174:175]
	v_fma_f64 v[174:175], v[4:5], v[174:175], -v[176:177]
	v_add_f64_e32 v[176:177], v[148:149], v[146:147]
	v_add_f64_e32 v[178:179], v[178:179], v[184:185]
	ds_load_b128 v[4:7], v2 offset:1568
	ds_load_b128 v[146:149], v2 offset:1584
	v_fmac_f64_e32 v[180:181], v[140:141], v[8:9]
	v_fma_f64 v[8:9], v[138:139], v[8:9], -v[10:11]
	s_wait_loadcnt_dscnt 0x901
	v_mul_f64_e32 v[184:185], v[4:5], v[164:165]
	v_mul_f64_e32 v[164:165], v[6:7], v[164:165]
	s_wait_loadcnt_dscnt 0x800
	v_mul_f64_e32 v[140:141], v[146:147], v[128:129]
	v_mul_f64_e32 v[128:129], v[148:149], v[128:129]
	v_add_f64_e32 v[10:11], v[176:177], v[174:175]
	v_add_f64_e32 v[138:139], v[178:179], v[182:183]
	v_fmac_f64_e32 v[184:185], v[6:7], v[162:163]
	v_fma_f64 v[162:163], v[4:5], v[162:163], -v[164:165]
	v_fmac_f64_e32 v[140:141], v[148:149], v[126:127]
	v_fma_f64 v[126:127], v[146:147], v[126:127], -v[128:129]
	v_add_f64_e32 v[164:165], v[10:11], v[8:9]
	v_add_f64_e32 v[138:139], v[138:139], v[180:181]
	ds_load_b128 v[4:7], v2 offset:1600
	ds_load_b128 v[8:11], v2 offset:1616
	s_wait_loadcnt_dscnt 0x701
	v_mul_f64_e32 v[174:175], v[4:5], v[172:173]
	v_mul_f64_e32 v[172:173], v[6:7], v[172:173]
	s_wait_loadcnt_dscnt 0x600
	v_mul_f64_e32 v[146:147], v[8:9], v[14:15]
	v_mul_f64_e32 v[14:15], v[10:11], v[14:15]
	v_add_f64_e32 v[128:129], v[164:165], v[162:163]
	v_add_f64_e32 v[138:139], v[138:139], v[184:185]
	v_fmac_f64_e32 v[174:175], v[6:7], v[170:171]
	v_fma_f64 v[148:149], v[4:5], v[170:171], -v[172:173]
	v_fmac_f64_e32 v[146:147], v[10:11], v[12:13]
	v_fma_f64 v[8:9], v[8:9], v[12:13], -v[14:15]
	v_add_f64_e32 v[162:163], v[128:129], v[126:127]
	v_add_f64_e32 v[138:139], v[138:139], v[140:141]
	ds_load_b128 v[4:7], v2 offset:1632
	ds_load_b128 v[126:129], v2 offset:1648
	;; [unrolled: 16-line block ×4, first 2 shown]
	s_wait_loadcnt_dscnt 0x101
	v_mul_f64_e32 v[2:3], v[4:5], v[160:161]
	v_mul_f64_e32 v[138:139], v[6:7], v[160:161]
	s_wait_loadcnt_dscnt 0x0
	v_mul_f64_e32 v[132:133], v[14:15], v[144:145]
	v_add_f64_e32 v[10:11], v[126:127], v[136:137]
	v_add_f64_e32 v[126:127], v[128:129], v[146:147]
	v_mul_f64_e32 v[128:129], v[12:13], v[144:145]
	v_fmac_f64_e32 v[2:3], v[6:7], v[158:159]
	v_fma_f64 v[4:5], v[4:5], v[158:159], -v[138:139]
	v_add_f64_e32 v[6:7], v[10:11], v[8:9]
	v_add_f64_e32 v[8:9], v[126:127], v[130:131]
	v_fmac_f64_e32 v[128:129], v[14:15], v[142:143]
	v_fma_f64 v[10:11], v[12:13], v[142:143], -v[132:133]
	s_delay_alu instid0(VALU_DEP_4) | instskip(NEXT) | instid1(VALU_DEP_4)
	v_add_f64_e32 v[4:5], v[6:7], v[4:5]
	v_add_f64_e32 v[2:3], v[8:9], v[2:3]
	s_delay_alu instid0(VALU_DEP_2) | instskip(NEXT) | instid1(VALU_DEP_2)
	v_add_f64_e32 v[4:5], v[4:5], v[10:11]
	v_add_f64_e32 v[6:7], v[2:3], v[128:129]
	s_delay_alu instid0(VALU_DEP_2) | instskip(NEXT) | instid1(VALU_DEP_2)
	v_add_f64_e64 v[2:3], v[166:167], -v[4:5]
	v_add_f64_e64 v[4:5], v[168:169], -v[6:7]
	scratch_store_b128 off, v[2:5], off offset:80
	s_wait_xcnt 0x0
	v_cmpx_lt_u32_e32 4, v1
	s_cbranch_execz .LBB117_329
; %bb.328:
	scratch_load_b128 v[2:5], off, s12
	v_mov_b32_e32 v6, 0
	s_delay_alu instid0(VALU_DEP_1)
	v_dual_mov_b32 v7, v6 :: v_dual_mov_b32 v8, v6
	v_mov_b32_e32 v9, v6
	scratch_store_b128 off, v[6:9], off offset:64
	s_wait_loadcnt 0x0
	ds_store_b128 v124, v[2:5]
.LBB117_329:
	s_wait_xcnt 0x0
	s_or_b32 exec_lo, exec_lo, s2
	s_wait_storecnt_dscnt 0x0
	s_barrier_signal -1
	s_barrier_wait -1
	s_clause 0x9
	scratch_load_b128 v[4:7], off, off offset:80
	scratch_load_b128 v[8:11], off, off offset:96
	;; [unrolled: 1-line block ×10, first 2 shown]
	v_mov_b32_e32 v2, 0
	s_mov_b32 s2, exec_lo
	ds_load_b128 v[154:157], v2 offset:944
	s_clause 0x2
	scratch_load_b128 v[158:161], off, off offset:240
	scratch_load_b128 v[162:165], off, off offset:64
	;; [unrolled: 1-line block ×3, first 2 shown]
	s_wait_loadcnt_dscnt 0xc00
	v_mul_f64_e32 v[174:175], v[156:157], v[6:7]
	v_mul_f64_e32 v[178:179], v[154:155], v[6:7]
	ds_load_b128 v[166:169], v2 offset:960
	v_fma_f64 v[182:183], v[154:155], v[4:5], -v[174:175]
	v_fmac_f64_e32 v[178:179], v[156:157], v[4:5]
	ds_load_b128 v[4:7], v2 offset:976
	s_wait_loadcnt_dscnt 0xb01
	v_mul_f64_e32 v[180:181], v[166:167], v[10:11]
	v_mul_f64_e32 v[10:11], v[168:169], v[10:11]
	scratch_load_b128 v[154:157], off, off offset:272
	ds_load_b128 v[174:177], v2 offset:992
	s_wait_loadcnt_dscnt 0xb01
	v_mul_f64_e32 v[184:185], v[4:5], v[14:15]
	v_mul_f64_e32 v[14:15], v[6:7], v[14:15]
	v_add_f64_e32 v[178:179], 0, v[178:179]
	v_fmac_f64_e32 v[180:181], v[168:169], v[8:9]
	v_fma_f64 v[166:167], v[166:167], v[8:9], -v[10:11]
	v_add_f64_e32 v[168:169], 0, v[182:183]
	scratch_load_b128 v[8:11], off, off offset:288
	v_fmac_f64_e32 v[184:185], v[6:7], v[12:13]
	v_fma_f64 v[186:187], v[4:5], v[12:13], -v[14:15]
	ds_load_b128 v[4:7], v2 offset:1008
	s_wait_loadcnt_dscnt 0xb01
	v_mul_f64_e32 v[182:183], v[174:175], v[128:129]
	v_mul_f64_e32 v[128:129], v[176:177], v[128:129]
	scratch_load_b128 v[12:15], off, off offset:304
	v_add_f64_e32 v[178:179], v[178:179], v[180:181]
	v_add_f64_e32 v[188:189], v[168:169], v[166:167]
	ds_load_b128 v[166:169], v2 offset:1024
	s_wait_loadcnt_dscnt 0xb01
	v_mul_f64_e32 v[180:181], v[4:5], v[132:133]
	v_mul_f64_e32 v[132:133], v[6:7], v[132:133]
	v_fmac_f64_e32 v[182:183], v[176:177], v[126:127]
	v_fma_f64 v[174:175], v[174:175], v[126:127], -v[128:129]
	scratch_load_b128 v[126:129], off, off offset:320
	v_add_f64_e32 v[178:179], v[178:179], v[184:185]
	v_add_f64_e32 v[176:177], v[188:189], v[186:187]
	v_fmac_f64_e32 v[180:181], v[6:7], v[130:131]
	v_fma_f64 v[186:187], v[4:5], v[130:131], -v[132:133]
	ds_load_b128 v[4:7], v2 offset:1040
	s_wait_loadcnt_dscnt 0xb01
	v_mul_f64_e32 v[184:185], v[166:167], v[136:137]
	v_mul_f64_e32 v[136:137], v[168:169], v[136:137]
	scratch_load_b128 v[130:133], off, off offset:336
	v_add_f64_e32 v[178:179], v[178:179], v[182:183]
	s_wait_loadcnt_dscnt 0xb00
	v_mul_f64_e32 v[182:183], v[4:5], v[140:141]
	v_add_f64_e32 v[188:189], v[176:177], v[174:175]
	v_mul_f64_e32 v[140:141], v[6:7], v[140:141]
	ds_load_b128 v[174:177], v2 offset:1056
	v_fmac_f64_e32 v[184:185], v[168:169], v[134:135]
	v_fma_f64 v[166:167], v[166:167], v[134:135], -v[136:137]
	scratch_load_b128 v[134:137], off, off offset:352
	v_add_f64_e32 v[178:179], v[178:179], v[180:181]
	v_fmac_f64_e32 v[182:183], v[6:7], v[138:139]
	v_add_f64_e32 v[168:169], v[188:189], v[186:187]
	v_fma_f64 v[186:187], v[4:5], v[138:139], -v[140:141]
	ds_load_b128 v[4:7], v2 offset:1072
	s_wait_loadcnt_dscnt 0xb01
	v_mul_f64_e32 v[180:181], v[174:175], v[144:145]
	v_mul_f64_e32 v[144:145], v[176:177], v[144:145]
	scratch_load_b128 v[138:141], off, off offset:368
	v_add_f64_e32 v[178:179], v[178:179], v[184:185]
	s_wait_loadcnt_dscnt 0xb00
	v_mul_f64_e32 v[184:185], v[4:5], v[148:149]
	v_add_f64_e32 v[188:189], v[168:169], v[166:167]
	v_mul_f64_e32 v[148:149], v[6:7], v[148:149]
	ds_load_b128 v[166:169], v2 offset:1088
	v_fmac_f64_e32 v[180:181], v[176:177], v[142:143]
	v_fma_f64 v[174:175], v[174:175], v[142:143], -v[144:145]
	scratch_load_b128 v[142:145], off, off offset:384
	v_add_f64_e32 v[178:179], v[178:179], v[182:183]
	v_fmac_f64_e32 v[184:185], v[6:7], v[146:147]
	v_add_f64_e32 v[176:177], v[188:189], v[186:187]
	;; [unrolled: 18-line block ×3, first 2 shown]
	v_fma_f64 v[186:187], v[4:5], v[158:159], -v[160:161]
	ds_load_b128 v[4:7], v2 offset:1136
	s_wait_loadcnt_dscnt 0xa01
	v_mul_f64_e32 v[184:185], v[174:175], v[172:173]
	v_mul_f64_e32 v[172:173], v[176:177], v[172:173]
	scratch_load_b128 v[158:161], off, off offset:432
	v_add_f64_e32 v[178:179], v[178:179], v[182:183]
	v_add_f64_e32 v[188:189], v[168:169], v[166:167]
	s_wait_loadcnt_dscnt 0xa00
	v_mul_f64_e32 v[182:183], v[4:5], v[156:157]
	v_mul_f64_e32 v[156:157], v[6:7], v[156:157]
	v_fmac_f64_e32 v[184:185], v[176:177], v[170:171]
	v_fma_f64 v[174:175], v[174:175], v[170:171], -v[172:173]
	ds_load_b128 v[166:169], v2 offset:1152
	scratch_load_b128 v[170:173], off, off offset:448
	v_add_f64_e32 v[178:179], v[178:179], v[180:181]
	v_add_f64_e32 v[176:177], v[188:189], v[186:187]
	v_fmac_f64_e32 v[182:183], v[6:7], v[154:155]
	v_fma_f64 v[186:187], v[4:5], v[154:155], -v[156:157]
	ds_load_b128 v[4:7], v2 offset:1168
	s_wait_loadcnt_dscnt 0xa01
	v_mul_f64_e32 v[180:181], v[166:167], v[10:11]
	v_mul_f64_e32 v[10:11], v[168:169], v[10:11]
	scratch_load_b128 v[154:157], off, off offset:464
	v_add_f64_e32 v[178:179], v[178:179], v[184:185]
	s_wait_loadcnt_dscnt 0xa00
	v_mul_f64_e32 v[184:185], v[4:5], v[14:15]
	v_add_f64_e32 v[188:189], v[176:177], v[174:175]
	v_mul_f64_e32 v[14:15], v[6:7], v[14:15]
	ds_load_b128 v[174:177], v2 offset:1184
	v_fmac_f64_e32 v[180:181], v[168:169], v[8:9]
	v_fma_f64 v[166:167], v[166:167], v[8:9], -v[10:11]
	scratch_load_b128 v[8:11], off, off offset:480
	v_add_f64_e32 v[178:179], v[178:179], v[182:183]
	v_fmac_f64_e32 v[184:185], v[6:7], v[12:13]
	v_add_f64_e32 v[168:169], v[188:189], v[186:187]
	v_fma_f64 v[186:187], v[4:5], v[12:13], -v[14:15]
	ds_load_b128 v[4:7], v2 offset:1200
	s_wait_loadcnt_dscnt 0xa01
	v_mul_f64_e32 v[182:183], v[174:175], v[128:129]
	v_mul_f64_e32 v[128:129], v[176:177], v[128:129]
	scratch_load_b128 v[12:15], off, off offset:496
	v_add_f64_e32 v[178:179], v[178:179], v[180:181]
	s_wait_loadcnt_dscnt 0xa00
	v_mul_f64_e32 v[180:181], v[4:5], v[132:133]
	v_add_f64_e32 v[188:189], v[168:169], v[166:167]
	v_mul_f64_e32 v[132:133], v[6:7], v[132:133]
	ds_load_b128 v[166:169], v2 offset:1216
	v_fmac_f64_e32 v[182:183], v[176:177], v[126:127]
	v_fma_f64 v[174:175], v[174:175], v[126:127], -v[128:129]
	scratch_load_b128 v[126:129], off, off offset:512
	v_add_f64_e32 v[178:179], v[178:179], v[184:185]
	v_fmac_f64_e32 v[180:181], v[6:7], v[130:131]
	v_add_f64_e32 v[176:177], v[188:189], v[186:187]
	;; [unrolled: 18-line block ×12, first 2 shown]
	v_fma_f64 v[186:187], v[4:5], v[154:155], -v[156:157]
	ds_load_b128 v[4:7], v2 offset:1552
	s_wait_loadcnt_dscnt 0xa01
	v_mul_f64_e32 v[180:181], v[166:167], v[10:11]
	v_mul_f64_e32 v[10:11], v[168:169], v[10:11]
	scratch_load_b128 v[154:157], off, off offset:848
	v_add_f64_e32 v[178:179], v[178:179], v[184:185]
	s_wait_loadcnt_dscnt 0xa00
	v_mul_f64_e32 v[184:185], v[4:5], v[14:15]
	v_add_f64_e32 v[188:189], v[176:177], v[174:175]
	v_mul_f64_e32 v[14:15], v[6:7], v[14:15]
	ds_load_b128 v[174:177], v2 offset:1568
	v_fmac_f64_e32 v[180:181], v[168:169], v[8:9]
	v_fma_f64 v[8:9], v[166:167], v[8:9], -v[10:11]
	s_wait_loadcnt_dscnt 0x900
	v_mul_f64_e32 v[168:169], v[174:175], v[128:129]
	v_mul_f64_e32 v[128:129], v[176:177], v[128:129]
	v_add_f64_e32 v[166:167], v[178:179], v[182:183]
	v_fmac_f64_e32 v[184:185], v[6:7], v[12:13]
	v_add_f64_e32 v[10:11], v[188:189], v[186:187]
	v_fma_f64 v[12:13], v[4:5], v[12:13], -v[14:15]
	v_fmac_f64_e32 v[168:169], v[176:177], v[126:127]
	v_fma_f64 v[126:127], v[174:175], v[126:127], -v[128:129]
	v_add_f64_e32 v[166:167], v[166:167], v[180:181]
	v_add_f64_e32 v[14:15], v[10:11], v[8:9]
	ds_load_b128 v[4:7], v2 offset:1584
	ds_load_b128 v[8:11], v2 offset:1600
	s_wait_loadcnt_dscnt 0x801
	v_mul_f64_e32 v[178:179], v[4:5], v[132:133]
	v_mul_f64_e32 v[132:133], v[6:7], v[132:133]
	s_wait_loadcnt_dscnt 0x700
	v_mul_f64_e32 v[128:129], v[8:9], v[136:137]
	v_mul_f64_e32 v[136:137], v[10:11], v[136:137]
	v_add_f64_e32 v[12:13], v[14:15], v[12:13]
	v_add_f64_e32 v[14:15], v[166:167], v[184:185]
	v_fmac_f64_e32 v[178:179], v[6:7], v[130:131]
	v_fma_f64 v[130:131], v[4:5], v[130:131], -v[132:133]
	v_fmac_f64_e32 v[128:129], v[10:11], v[134:135]
	v_fma_f64 v[8:9], v[8:9], v[134:135], -v[136:137]
	v_add_f64_e32 v[126:127], v[12:13], v[126:127]
	v_add_f64_e32 v[132:133], v[14:15], v[168:169]
	ds_load_b128 v[4:7], v2 offset:1616
	ds_load_b128 v[12:15], v2 offset:1632
	s_wait_loadcnt_dscnt 0x601
	v_mul_f64_e32 v[166:167], v[4:5], v[140:141]
	v_mul_f64_e32 v[140:141], v[6:7], v[140:141]
	v_add_f64_e32 v[10:11], v[126:127], v[130:131]
	v_add_f64_e32 v[126:127], v[132:133], v[178:179]
	s_wait_loadcnt_dscnt 0x500
	v_mul_f64_e32 v[130:131], v[12:13], v[144:145]
	v_mul_f64_e32 v[132:133], v[14:15], v[144:145]
	v_fmac_f64_e32 v[166:167], v[6:7], v[138:139]
	v_fma_f64 v[134:135], v[4:5], v[138:139], -v[140:141]
	v_add_f64_e32 v[136:137], v[10:11], v[8:9]
	v_add_f64_e32 v[126:127], v[126:127], v[128:129]
	ds_load_b128 v[4:7], v2 offset:1648
	ds_load_b128 v[8:11], v2 offset:1664
	v_fmac_f64_e32 v[130:131], v[14:15], v[142:143]
	v_fma_f64 v[12:13], v[12:13], v[142:143], -v[132:133]
	s_wait_loadcnt_dscnt 0x401
	v_mul_f64_e32 v[128:129], v[4:5], v[148:149]
	v_mul_f64_e32 v[138:139], v[6:7], v[148:149]
	s_wait_loadcnt_dscnt 0x300
	v_mul_f64_e32 v[132:133], v[8:9], v[152:153]
	v_add_f64_e32 v[14:15], v[136:137], v[134:135]
	v_add_f64_e32 v[126:127], v[126:127], v[166:167]
	v_mul_f64_e32 v[134:135], v[10:11], v[152:153]
	v_fmac_f64_e32 v[128:129], v[6:7], v[146:147]
	v_fma_f64 v[136:137], v[4:5], v[146:147], -v[138:139]
	v_fmac_f64_e32 v[132:133], v[10:11], v[150:151]
	v_add_f64_e32 v[138:139], v[14:15], v[12:13]
	v_add_f64_e32 v[126:127], v[126:127], v[130:131]
	ds_load_b128 v[4:7], v2 offset:1680
	ds_load_b128 v[12:15], v2 offset:1696
	v_fma_f64 v[8:9], v[8:9], v[150:151], -v[134:135]
	s_wait_loadcnt_dscnt 0x201
	v_mul_f64_e32 v[130:131], v[4:5], v[160:161]
	v_mul_f64_e32 v[140:141], v[6:7], v[160:161]
	s_wait_loadcnt_dscnt 0x100
	v_mul_f64_e32 v[134:135], v[14:15], v[172:173]
	v_add_f64_e32 v[10:11], v[138:139], v[136:137]
	v_add_f64_e32 v[126:127], v[126:127], v[128:129]
	v_mul_f64_e32 v[128:129], v[12:13], v[172:173]
	v_fmac_f64_e32 v[130:131], v[6:7], v[158:159]
	v_fma_f64 v[136:137], v[4:5], v[158:159], -v[140:141]
	ds_load_b128 v[4:7], v2 offset:1712
	v_fma_f64 v[12:13], v[12:13], v[170:171], -v[134:135]
	v_add_f64_e32 v[8:9], v[10:11], v[8:9]
	v_add_f64_e32 v[10:11], v[126:127], v[132:133]
	v_fmac_f64_e32 v[128:129], v[14:15], v[170:171]
	s_wait_loadcnt_dscnt 0x0
	v_mul_f64_e32 v[126:127], v[4:5], v[156:157]
	v_mul_f64_e32 v[132:133], v[6:7], v[156:157]
	v_add_f64_e32 v[8:9], v[8:9], v[136:137]
	v_add_f64_e32 v[10:11], v[10:11], v[130:131]
	s_delay_alu instid0(VALU_DEP_4) | instskip(NEXT) | instid1(VALU_DEP_4)
	v_fmac_f64_e32 v[126:127], v[6:7], v[154:155]
	v_fma_f64 v[4:5], v[4:5], v[154:155], -v[132:133]
	s_delay_alu instid0(VALU_DEP_4) | instskip(NEXT) | instid1(VALU_DEP_4)
	v_add_f64_e32 v[6:7], v[8:9], v[12:13]
	v_add_f64_e32 v[8:9], v[10:11], v[128:129]
	s_delay_alu instid0(VALU_DEP_2) | instskip(NEXT) | instid1(VALU_DEP_2)
	v_add_f64_e32 v[4:5], v[6:7], v[4:5]
	v_add_f64_e32 v[6:7], v[8:9], v[126:127]
	s_delay_alu instid0(VALU_DEP_2) | instskip(NEXT) | instid1(VALU_DEP_2)
	v_add_f64_e64 v[4:5], v[162:163], -v[4:5]
	v_add_f64_e64 v[6:7], v[164:165], -v[6:7]
	scratch_store_b128 off, v[4:7], off offset:64
	s_wait_xcnt 0x0
	v_cmpx_lt_u32_e32 3, v1
	s_cbranch_execz .LBB117_331
; %bb.330:
	scratch_load_b128 v[6:9], off, s14
	v_dual_mov_b32 v3, v2 :: v_dual_mov_b32 v4, v2
	v_mov_b32_e32 v5, v2
	scratch_store_b128 off, v[2:5], off offset:48
	s_wait_loadcnt 0x0
	ds_store_b128 v124, v[6:9]
.LBB117_331:
	s_wait_xcnt 0x0
	s_or_b32 exec_lo, exec_lo, s2
	s_wait_storecnt_dscnt 0x0
	s_barrier_signal -1
	s_barrier_wait -1
	s_clause 0x9
	scratch_load_b128 v[4:7], off, off offset:64
	scratch_load_b128 v[8:11], off, off offset:80
	;; [unrolled: 1-line block ×10, first 2 shown]
	ds_load_b128 v[154:157], v2 offset:928
	ds_load_b128 v[162:165], v2 offset:944
	s_clause 0x2
	scratch_load_b128 v[158:161], off, off offset:224
	scratch_load_b128 v[166:169], off, off offset:48
	;; [unrolled: 1-line block ×3, first 2 shown]
	s_mov_b32 s2, exec_lo
	s_wait_loadcnt_dscnt 0xc01
	v_mul_f64_e32 v[174:175], v[156:157], v[6:7]
	v_mul_f64_e32 v[178:179], v[154:155], v[6:7]
	s_wait_loadcnt_dscnt 0xb00
	v_mul_f64_e32 v[180:181], v[162:163], v[10:11]
	v_mul_f64_e32 v[10:11], v[164:165], v[10:11]
	s_delay_alu instid0(VALU_DEP_4) | instskip(NEXT) | instid1(VALU_DEP_4)
	v_fma_f64 v[182:183], v[154:155], v[4:5], -v[174:175]
	v_fmac_f64_e32 v[178:179], v[156:157], v[4:5]
	ds_load_b128 v[4:7], v2 offset:960
	ds_load_b128 v[154:157], v2 offset:976
	scratch_load_b128 v[174:177], off, off offset:256
	v_fmac_f64_e32 v[180:181], v[164:165], v[8:9]
	v_fma_f64 v[162:163], v[162:163], v[8:9], -v[10:11]
	scratch_load_b128 v[8:11], off, off offset:272
	s_wait_loadcnt_dscnt 0xc01
	v_mul_f64_e32 v[184:185], v[4:5], v[14:15]
	v_mul_f64_e32 v[14:15], v[6:7], v[14:15]
	v_add_f64_e32 v[164:165], 0, v[182:183]
	v_add_f64_e32 v[178:179], 0, v[178:179]
	s_wait_loadcnt_dscnt 0xb00
	v_mul_f64_e32 v[182:183], v[154:155], v[128:129]
	v_mul_f64_e32 v[128:129], v[156:157], v[128:129]
	v_fmac_f64_e32 v[184:185], v[6:7], v[12:13]
	v_fma_f64 v[186:187], v[4:5], v[12:13], -v[14:15]
	ds_load_b128 v[4:7], v2 offset:992
	ds_load_b128 v[12:15], v2 offset:1008
	v_add_f64_e32 v[188:189], v[164:165], v[162:163]
	v_add_f64_e32 v[178:179], v[178:179], v[180:181]
	scratch_load_b128 v[162:165], off, off offset:288
	v_fmac_f64_e32 v[182:183], v[156:157], v[126:127]
	v_fma_f64 v[154:155], v[154:155], v[126:127], -v[128:129]
	scratch_load_b128 v[126:129], off, off offset:304
	s_wait_loadcnt_dscnt 0xc01
	v_mul_f64_e32 v[180:181], v[4:5], v[132:133]
	v_mul_f64_e32 v[132:133], v[6:7], v[132:133]
	v_add_f64_e32 v[156:157], v[188:189], v[186:187]
	v_add_f64_e32 v[178:179], v[178:179], v[184:185]
	s_wait_loadcnt_dscnt 0xb00
	v_mul_f64_e32 v[184:185], v[12:13], v[136:137]
	v_mul_f64_e32 v[136:137], v[14:15], v[136:137]
	v_fmac_f64_e32 v[180:181], v[6:7], v[130:131]
	v_fma_f64 v[186:187], v[4:5], v[130:131], -v[132:133]
	ds_load_b128 v[4:7], v2 offset:1024
	ds_load_b128 v[130:133], v2 offset:1040
	v_add_f64_e32 v[188:189], v[156:157], v[154:155]
	v_add_f64_e32 v[178:179], v[178:179], v[182:183]
	scratch_load_b128 v[154:157], off, off offset:320
	s_wait_loadcnt_dscnt 0xb01
	v_mul_f64_e32 v[182:183], v[4:5], v[140:141]
	v_mul_f64_e32 v[140:141], v[6:7], v[140:141]
	v_fmac_f64_e32 v[184:185], v[14:15], v[134:135]
	v_fma_f64 v[134:135], v[12:13], v[134:135], -v[136:137]
	scratch_load_b128 v[12:15], off, off offset:336
	v_add_f64_e32 v[136:137], v[188:189], v[186:187]
	v_add_f64_e32 v[178:179], v[178:179], v[180:181]
	s_wait_loadcnt_dscnt 0xb00
	v_mul_f64_e32 v[180:181], v[130:131], v[144:145]
	v_mul_f64_e32 v[144:145], v[132:133], v[144:145]
	v_fmac_f64_e32 v[182:183], v[6:7], v[138:139]
	v_fma_f64 v[186:187], v[4:5], v[138:139], -v[140:141]
	v_add_f64_e32 v[188:189], v[136:137], v[134:135]
	v_add_f64_e32 v[178:179], v[178:179], v[184:185]
	ds_load_b128 v[4:7], v2 offset:1056
	ds_load_b128 v[134:137], v2 offset:1072
	scratch_load_b128 v[138:141], off, off offset:352
	v_fmac_f64_e32 v[180:181], v[132:133], v[142:143]
	v_fma_f64 v[142:143], v[130:131], v[142:143], -v[144:145]
	scratch_load_b128 v[130:133], off, off offset:368
	s_wait_loadcnt_dscnt 0xc01
	v_mul_f64_e32 v[184:185], v[4:5], v[148:149]
	v_mul_f64_e32 v[148:149], v[6:7], v[148:149]
	v_add_f64_e32 v[144:145], v[188:189], v[186:187]
	v_add_f64_e32 v[178:179], v[178:179], v[182:183]
	s_wait_loadcnt_dscnt 0xb00
	v_mul_f64_e32 v[182:183], v[134:135], v[152:153]
	v_mul_f64_e32 v[152:153], v[136:137], v[152:153]
	v_fmac_f64_e32 v[184:185], v[6:7], v[146:147]
	v_fma_f64 v[186:187], v[4:5], v[146:147], -v[148:149]
	v_add_f64_e32 v[188:189], v[144:145], v[142:143]
	v_add_f64_e32 v[178:179], v[178:179], v[180:181]
	ds_load_b128 v[4:7], v2 offset:1088
	ds_load_b128 v[142:145], v2 offset:1104
	scratch_load_b128 v[146:149], off, off offset:384
	v_fmac_f64_e32 v[182:183], v[136:137], v[150:151]
	v_fma_f64 v[150:151], v[134:135], v[150:151], -v[152:153]
	scratch_load_b128 v[134:137], off, off offset:400
	s_wait_loadcnt_dscnt 0xc01
	v_mul_f64_e32 v[180:181], v[4:5], v[160:161]
	v_mul_f64_e32 v[160:161], v[6:7], v[160:161]
	;; [unrolled: 18-line block ×5, first 2 shown]
	v_add_f64_e32 v[172:173], v[188:189], v[186:187]
	v_add_f64_e32 v[178:179], v[178:179], v[184:185]
	s_wait_loadcnt_dscnt 0xa00
	v_mul_f64_e32 v[184:185], v[150:151], v[14:15]
	v_mul_f64_e32 v[14:15], v[152:153], v[14:15]
	v_fmac_f64_e32 v[180:181], v[6:7], v[154:155]
	v_fma_f64 v[186:187], v[4:5], v[154:155], -v[156:157]
	ds_load_b128 v[4:7], v2 offset:1216
	ds_load_b128 v[154:157], v2 offset:1232
	v_add_f64_e32 v[188:189], v[172:173], v[170:171]
	v_add_f64_e32 v[178:179], v[178:179], v[182:183]
	scratch_load_b128 v[170:173], off, off offset:512
	v_fmac_f64_e32 v[184:185], v[152:153], v[12:13]
	v_fma_f64 v[150:151], v[150:151], v[12:13], -v[14:15]
	scratch_load_b128 v[12:15], off, off offset:528
	s_wait_loadcnt_dscnt 0xb01
	v_mul_f64_e32 v[182:183], v[4:5], v[140:141]
	v_mul_f64_e32 v[140:141], v[6:7], v[140:141]
	v_add_f64_e32 v[152:153], v[188:189], v[186:187]
	v_add_f64_e32 v[178:179], v[178:179], v[180:181]
	s_wait_loadcnt_dscnt 0xa00
	v_mul_f64_e32 v[180:181], v[154:155], v[132:133]
	v_mul_f64_e32 v[132:133], v[156:157], v[132:133]
	v_fmac_f64_e32 v[182:183], v[6:7], v[138:139]
	v_fma_f64 v[186:187], v[4:5], v[138:139], -v[140:141]
	ds_load_b128 v[4:7], v2 offset:1248
	ds_load_b128 v[138:141], v2 offset:1264
	v_add_f64_e32 v[188:189], v[152:153], v[150:151]
	v_add_f64_e32 v[178:179], v[178:179], v[184:185]
	scratch_load_b128 v[150:153], off, off offset:544
	s_wait_loadcnt_dscnt 0xa01
	v_mul_f64_e32 v[184:185], v[4:5], v[148:149]
	v_mul_f64_e32 v[148:149], v[6:7], v[148:149]
	v_fmac_f64_e32 v[180:181], v[156:157], v[130:131]
	v_fma_f64 v[154:155], v[154:155], v[130:131], -v[132:133]
	scratch_load_b128 v[130:133], off, off offset:560
	v_add_f64_e32 v[156:157], v[188:189], v[186:187]
	v_add_f64_e32 v[178:179], v[178:179], v[182:183]
	s_wait_loadcnt_dscnt 0xa00
	v_mul_f64_e32 v[182:183], v[138:139], v[136:137]
	v_mul_f64_e32 v[136:137], v[140:141], v[136:137]
	v_fmac_f64_e32 v[184:185], v[6:7], v[146:147]
	v_fma_f64 v[186:187], v[4:5], v[146:147], -v[148:149]
	ds_load_b128 v[4:7], v2 offset:1280
	ds_load_b128 v[146:149], v2 offset:1296
	v_add_f64_e32 v[188:189], v[156:157], v[154:155]
	v_add_f64_e32 v[178:179], v[178:179], v[180:181]
	scratch_load_b128 v[154:157], off, off offset:576
	s_wait_loadcnt_dscnt 0xa01
	v_mul_f64_e32 v[180:181], v[4:5], v[160:161]
	v_mul_f64_e32 v[160:161], v[6:7], v[160:161]
	v_fmac_f64_e32 v[182:183], v[140:141], v[134:135]
	v_fma_f64 v[138:139], v[138:139], v[134:135], -v[136:137]
	scratch_load_b128 v[134:137], off, off offset:592
	v_add_f64_e32 v[140:141], v[188:189], v[186:187]
	v_add_f64_e32 v[178:179], v[178:179], v[184:185]
	s_wait_loadcnt_dscnt 0xa00
	v_mul_f64_e32 v[184:185], v[146:147], v[144:145]
	v_mul_f64_e32 v[144:145], v[148:149], v[144:145]
	v_fmac_f64_e32 v[180:181], v[6:7], v[158:159]
	v_fma_f64 v[186:187], v[4:5], v[158:159], -v[160:161]
	v_add_f64_e32 v[188:189], v[140:141], v[138:139]
	v_add_f64_e32 v[178:179], v[178:179], v[182:183]
	ds_load_b128 v[4:7], v2 offset:1312
	ds_load_b128 v[138:141], v2 offset:1328
	scratch_load_b128 v[158:161], off, off offset:608
	v_fmac_f64_e32 v[184:185], v[148:149], v[142:143]
	v_fma_f64 v[146:147], v[146:147], v[142:143], -v[144:145]
	scratch_load_b128 v[142:145], off, off offset:624
	s_wait_loadcnt_dscnt 0xb01
	v_mul_f64_e32 v[182:183], v[4:5], v[176:177]
	v_mul_f64_e32 v[176:177], v[6:7], v[176:177]
	v_add_f64_e32 v[148:149], v[188:189], v[186:187]
	v_add_f64_e32 v[178:179], v[178:179], v[180:181]
	s_wait_loadcnt_dscnt 0xa00
	v_mul_f64_e32 v[180:181], v[138:139], v[10:11]
	v_mul_f64_e32 v[10:11], v[140:141], v[10:11]
	v_fmac_f64_e32 v[182:183], v[6:7], v[174:175]
	v_fma_f64 v[186:187], v[4:5], v[174:175], -v[176:177]
	v_add_f64_e32 v[188:189], v[148:149], v[146:147]
	v_add_f64_e32 v[178:179], v[178:179], v[184:185]
	ds_load_b128 v[4:7], v2 offset:1344
	ds_load_b128 v[146:149], v2 offset:1360
	scratch_load_b128 v[174:177], off, off offset:640
	v_fmac_f64_e32 v[180:181], v[140:141], v[8:9]
	v_fma_f64 v[138:139], v[138:139], v[8:9], -v[10:11]
	scratch_load_b128 v[8:11], off, off offset:656
	s_wait_loadcnt_dscnt 0xb01
	v_mul_f64_e32 v[184:185], v[4:5], v[164:165]
	v_mul_f64_e32 v[164:165], v[6:7], v[164:165]
	;; [unrolled: 18-line block ×8, first 2 shown]
	v_add_f64_e32 v[140:141], v[188:189], v[186:187]
	v_add_f64_e32 v[178:179], v[178:179], v[182:183]
	s_wait_loadcnt_dscnt 0xa00
	v_mul_f64_e32 v[182:183], v[146:147], v[128:129]
	v_mul_f64_e32 v[128:129], v[148:149], v[128:129]
	v_fmac_f64_e32 v[184:185], v[6:7], v[162:163]
	v_fma_f64 v[162:163], v[4:5], v[162:163], -v[164:165]
	v_add_f64_e32 v[164:165], v[140:141], v[138:139]
	v_add_f64_e32 v[178:179], v[178:179], v[180:181]
	ds_load_b128 v[4:7], v2 offset:1568
	ds_load_b128 v[138:141], v2 offset:1584
	v_fmac_f64_e32 v[182:183], v[148:149], v[126:127]
	v_fma_f64 v[126:127], v[146:147], v[126:127], -v[128:129]
	s_wait_loadcnt_dscnt 0x901
	v_mul_f64_e32 v[180:181], v[4:5], v[172:173]
	v_mul_f64_e32 v[172:173], v[6:7], v[172:173]
	s_wait_loadcnt_dscnt 0x800
	v_mul_f64_e32 v[148:149], v[138:139], v[14:15]
	v_mul_f64_e32 v[14:15], v[140:141], v[14:15]
	v_add_f64_e32 v[128:129], v[164:165], v[162:163]
	v_add_f64_e32 v[146:147], v[178:179], v[184:185]
	v_fmac_f64_e32 v[180:181], v[6:7], v[170:171]
	v_fma_f64 v[162:163], v[4:5], v[170:171], -v[172:173]
	v_fmac_f64_e32 v[148:149], v[140:141], v[12:13]
	v_fma_f64 v[12:13], v[138:139], v[12:13], -v[14:15]
	v_add_f64_e32 v[164:165], v[128:129], v[126:127]
	v_add_f64_e32 v[146:147], v[146:147], v[182:183]
	ds_load_b128 v[4:7], v2 offset:1600
	ds_load_b128 v[126:129], v2 offset:1616
	s_wait_loadcnt_dscnt 0x701
	v_mul_f64_e32 v[170:171], v[4:5], v[152:153]
	v_mul_f64_e32 v[152:153], v[6:7], v[152:153]
	s_wait_loadcnt_dscnt 0x600
	v_mul_f64_e32 v[140:141], v[126:127], v[132:133]
	v_mul_f64_e32 v[132:133], v[128:129], v[132:133]
	v_add_f64_e32 v[14:15], v[164:165], v[162:163]
	v_add_f64_e32 v[138:139], v[146:147], v[180:181]
	v_fmac_f64_e32 v[170:171], v[6:7], v[150:151]
	v_fma_f64 v[146:147], v[4:5], v[150:151], -v[152:153]
	v_fmac_f64_e32 v[140:141], v[128:129], v[130:131]
	v_fma_f64 v[126:127], v[126:127], v[130:131], -v[132:133]
	v_add_f64_e32 v[150:151], v[14:15], v[12:13]
	v_add_f64_e32 v[138:139], v[138:139], v[148:149]
	ds_load_b128 v[4:7], v2 offset:1632
	ds_load_b128 v[12:15], v2 offset:1648
	;; [unrolled: 16-line block ×4, first 2 shown]
	s_wait_loadcnt_dscnt 0x101
	v_mul_f64_e32 v[2:3], v[4:5], v[176:177]
	v_mul_f64_e32 v[132:133], v[6:7], v[176:177]
	s_wait_loadcnt_dscnt 0x0
	v_mul_f64_e32 v[136:137], v[12:13], v[10:11]
	v_mul_f64_e32 v[10:11], v[14:15], v[10:11]
	v_add_f64_e32 v[128:129], v[144:145], v[138:139]
	v_add_f64_e32 v[130:131], v[130:131], v[140:141]
	v_fmac_f64_e32 v[2:3], v[6:7], v[174:175]
	v_fma_f64 v[4:5], v[4:5], v[174:175], -v[132:133]
	v_fmac_f64_e32 v[136:137], v[14:15], v[8:9]
	v_fma_f64 v[8:9], v[12:13], v[8:9], -v[10:11]
	v_add_f64_e32 v[6:7], v[128:129], v[126:127]
	v_add_f64_e32 v[126:127], v[130:131], v[134:135]
	s_delay_alu instid0(VALU_DEP_2) | instskip(NEXT) | instid1(VALU_DEP_2)
	v_add_f64_e32 v[4:5], v[6:7], v[4:5]
	v_add_f64_e32 v[2:3], v[126:127], v[2:3]
	s_delay_alu instid0(VALU_DEP_2) | instskip(NEXT) | instid1(VALU_DEP_2)
	;; [unrolled: 3-line block ×3, first 2 shown]
	v_add_f64_e64 v[2:3], v[166:167], -v[4:5]
	v_add_f64_e64 v[4:5], v[168:169], -v[6:7]
	scratch_store_b128 off, v[2:5], off offset:48
	s_wait_xcnt 0x0
	v_cmpx_lt_u32_e32 2, v1
	s_cbranch_execz .LBB117_333
; %bb.332:
	scratch_load_b128 v[2:5], off, s16
	v_mov_b32_e32 v6, 0
	s_delay_alu instid0(VALU_DEP_1)
	v_dual_mov_b32 v7, v6 :: v_dual_mov_b32 v8, v6
	v_mov_b32_e32 v9, v6
	scratch_store_b128 off, v[6:9], off offset:32
	s_wait_loadcnt 0x0
	ds_store_b128 v124, v[2:5]
.LBB117_333:
	s_wait_xcnt 0x0
	s_or_b32 exec_lo, exec_lo, s2
	s_wait_storecnt_dscnt 0x0
	s_barrier_signal -1
	s_barrier_wait -1
	s_clause 0x9
	scratch_load_b128 v[4:7], off, off offset:48
	scratch_load_b128 v[8:11], off, off offset:64
	scratch_load_b128 v[12:15], off, off offset:80
	scratch_load_b128 v[126:129], off, off offset:96
	scratch_load_b128 v[130:133], off, off offset:112
	scratch_load_b128 v[134:137], off, off offset:128
	scratch_load_b128 v[138:141], off, off offset:144
	scratch_load_b128 v[142:145], off, off offset:160
	scratch_load_b128 v[146:149], off, off offset:176
	scratch_load_b128 v[150:153], off, off offset:192
	v_mov_b32_e32 v2, 0
	s_mov_b32 s2, exec_lo
	v_dual_ashrrev_i32 v21, 31, v20 :: v_dual_ashrrev_i32 v23, 31, v22
	v_ashrrev_i32_e32 v25, 31, v24
	ds_load_b128 v[154:157], v2 offset:912
	s_clause 0x2
	scratch_load_b128 v[158:161], off, off offset:208
	scratch_load_b128 v[162:165], off, off offset:32
	;; [unrolled: 1-line block ×3, first 2 shown]
	v_ashrrev_i32_e32 v29, 31, v28
	v_ashrrev_i32_e32 v33, 31, v32
	v_dual_ashrrev_i32 v37, 31, v36 :: v_dual_ashrrev_i32 v27, 31, v26
	v_ashrrev_i32_e32 v41, 31, v40
	v_dual_ashrrev_i32 v45, 31, v44 :: v_dual_ashrrev_i32 v31, 31, v30
	v_ashrrev_i32_e32 v35, 31, v34
	v_ashrrev_i32_e32 v39, 31, v38
	v_dual_ashrrev_i32 v43, 31, v42 :: v_dual_ashrrev_i32 v49, 31, v48
	v_ashrrev_i32_e32 v47, 31, v46
	v_dual_ashrrev_i32 v51, 31, v50 :: v_dual_ashrrev_i32 v53, 31, v52
	v_dual_ashrrev_i32 v55, 31, v54 :: v_dual_ashrrev_i32 v57, 31, v56
	;; [unrolled: 1-line block ×10, first 2 shown]
	v_ashrrev_i32_e32 v91, 31, v90
	v_dual_ashrrev_i32 v95, 31, v94 :: v_dual_ashrrev_i32 v93, 31, v92
	v_dual_ashrrev_i32 v97, 31, v96 :: v_dual_ashrrev_i32 v99, 31, v98
	;; [unrolled: 1-line block ×8, first 2 shown]
	s_wait_loadcnt_dscnt 0xc00
	v_mul_f64_e32 v[174:175], v[156:157], v[6:7]
	v_mul_f64_e32 v[178:179], v[154:155], v[6:7]
	ds_load_b128 v[166:169], v2 offset:928
	v_fma_f64 v[182:183], v[154:155], v[4:5], -v[174:175]
	v_fmac_f64_e32 v[178:179], v[156:157], v[4:5]
	ds_load_b128 v[4:7], v2 offset:944
	s_wait_loadcnt_dscnt 0xb01
	v_mul_f64_e32 v[180:181], v[166:167], v[10:11]
	v_mul_f64_e32 v[10:11], v[168:169], v[10:11]
	scratch_load_b128 v[154:157], off, off offset:240
	ds_load_b128 v[174:177], v2 offset:960
	s_wait_loadcnt_dscnt 0xb01
	v_mul_f64_e32 v[184:185], v[4:5], v[14:15]
	v_mul_f64_e32 v[14:15], v[6:7], v[14:15]
	v_add_f64_e32 v[178:179], 0, v[178:179]
	v_fmac_f64_e32 v[180:181], v[168:169], v[8:9]
	v_fma_f64 v[166:167], v[166:167], v[8:9], -v[10:11]
	v_add_f64_e32 v[168:169], 0, v[182:183]
	scratch_load_b128 v[8:11], off, off offset:256
	v_fmac_f64_e32 v[184:185], v[6:7], v[12:13]
	v_fma_f64 v[186:187], v[4:5], v[12:13], -v[14:15]
	ds_load_b128 v[4:7], v2 offset:976
	s_wait_loadcnt_dscnt 0xb01
	v_mul_f64_e32 v[182:183], v[174:175], v[128:129]
	v_mul_f64_e32 v[128:129], v[176:177], v[128:129]
	scratch_load_b128 v[12:15], off, off offset:272
	v_add_f64_e32 v[178:179], v[178:179], v[180:181]
	v_add_f64_e32 v[188:189], v[168:169], v[166:167]
	ds_load_b128 v[166:169], v2 offset:992
	s_wait_loadcnt_dscnt 0xb01
	v_mul_f64_e32 v[180:181], v[4:5], v[132:133]
	v_mul_f64_e32 v[132:133], v[6:7], v[132:133]
	v_fmac_f64_e32 v[182:183], v[176:177], v[126:127]
	v_fma_f64 v[174:175], v[174:175], v[126:127], -v[128:129]
	scratch_load_b128 v[126:129], off, off offset:288
	v_add_f64_e32 v[178:179], v[178:179], v[184:185]
	v_add_f64_e32 v[176:177], v[188:189], v[186:187]
	v_fmac_f64_e32 v[180:181], v[6:7], v[130:131]
	v_fma_f64 v[186:187], v[4:5], v[130:131], -v[132:133]
	ds_load_b128 v[4:7], v2 offset:1008
	s_wait_loadcnt_dscnt 0xb01
	v_mul_f64_e32 v[184:185], v[166:167], v[136:137]
	v_mul_f64_e32 v[136:137], v[168:169], v[136:137]
	scratch_load_b128 v[130:133], off, off offset:304
	v_add_f64_e32 v[178:179], v[178:179], v[182:183]
	s_wait_loadcnt_dscnt 0xb00
	v_mul_f64_e32 v[182:183], v[4:5], v[140:141]
	v_add_f64_e32 v[188:189], v[176:177], v[174:175]
	v_mul_f64_e32 v[140:141], v[6:7], v[140:141]
	ds_load_b128 v[174:177], v2 offset:1024
	v_fmac_f64_e32 v[184:185], v[168:169], v[134:135]
	v_fma_f64 v[166:167], v[166:167], v[134:135], -v[136:137]
	scratch_load_b128 v[134:137], off, off offset:320
	v_add_f64_e32 v[178:179], v[178:179], v[180:181]
	v_fmac_f64_e32 v[182:183], v[6:7], v[138:139]
	v_add_f64_e32 v[168:169], v[188:189], v[186:187]
	v_fma_f64 v[186:187], v[4:5], v[138:139], -v[140:141]
	ds_load_b128 v[4:7], v2 offset:1040
	s_wait_loadcnt_dscnt 0xb01
	v_mul_f64_e32 v[180:181], v[174:175], v[144:145]
	v_mul_f64_e32 v[144:145], v[176:177], v[144:145]
	scratch_load_b128 v[138:141], off, off offset:336
	v_add_f64_e32 v[178:179], v[178:179], v[184:185]
	s_wait_loadcnt_dscnt 0xb00
	v_mul_f64_e32 v[184:185], v[4:5], v[148:149]
	v_add_f64_e32 v[188:189], v[168:169], v[166:167]
	v_mul_f64_e32 v[148:149], v[6:7], v[148:149]
	ds_load_b128 v[166:169], v2 offset:1056
	v_fmac_f64_e32 v[180:181], v[176:177], v[142:143]
	v_fma_f64 v[174:175], v[174:175], v[142:143], -v[144:145]
	scratch_load_b128 v[142:145], off, off offset:352
	v_add_f64_e32 v[178:179], v[178:179], v[182:183]
	v_fmac_f64_e32 v[184:185], v[6:7], v[146:147]
	v_add_f64_e32 v[176:177], v[188:189], v[186:187]
	;; [unrolled: 18-line block ×3, first 2 shown]
	v_fma_f64 v[186:187], v[4:5], v[158:159], -v[160:161]
	ds_load_b128 v[4:7], v2 offset:1104
	s_wait_loadcnt_dscnt 0xa01
	v_mul_f64_e32 v[184:185], v[174:175], v[172:173]
	v_mul_f64_e32 v[172:173], v[176:177], v[172:173]
	scratch_load_b128 v[158:161], off, off offset:400
	v_add_f64_e32 v[178:179], v[178:179], v[182:183]
	v_add_f64_e32 v[188:189], v[168:169], v[166:167]
	s_wait_loadcnt_dscnt 0xa00
	v_mul_f64_e32 v[182:183], v[4:5], v[156:157]
	v_mul_f64_e32 v[156:157], v[6:7], v[156:157]
	v_fmac_f64_e32 v[184:185], v[176:177], v[170:171]
	v_fma_f64 v[174:175], v[174:175], v[170:171], -v[172:173]
	ds_load_b128 v[166:169], v2 offset:1120
	scratch_load_b128 v[170:173], off, off offset:416
	v_add_f64_e32 v[178:179], v[178:179], v[180:181]
	v_add_f64_e32 v[176:177], v[188:189], v[186:187]
	v_fmac_f64_e32 v[182:183], v[6:7], v[154:155]
	v_fma_f64 v[186:187], v[4:5], v[154:155], -v[156:157]
	ds_load_b128 v[4:7], v2 offset:1136
	s_wait_loadcnt_dscnt 0xa01
	v_mul_f64_e32 v[180:181], v[166:167], v[10:11]
	v_mul_f64_e32 v[10:11], v[168:169], v[10:11]
	scratch_load_b128 v[154:157], off, off offset:432
	v_add_f64_e32 v[178:179], v[178:179], v[184:185]
	s_wait_loadcnt_dscnt 0xa00
	v_mul_f64_e32 v[184:185], v[4:5], v[14:15]
	v_add_f64_e32 v[188:189], v[176:177], v[174:175]
	v_mul_f64_e32 v[14:15], v[6:7], v[14:15]
	ds_load_b128 v[174:177], v2 offset:1152
	v_fmac_f64_e32 v[180:181], v[168:169], v[8:9]
	v_fma_f64 v[166:167], v[166:167], v[8:9], -v[10:11]
	scratch_load_b128 v[8:11], off, off offset:448
	v_add_f64_e32 v[178:179], v[178:179], v[182:183]
	v_fmac_f64_e32 v[184:185], v[6:7], v[12:13]
	v_add_f64_e32 v[168:169], v[188:189], v[186:187]
	v_fma_f64 v[186:187], v[4:5], v[12:13], -v[14:15]
	ds_load_b128 v[4:7], v2 offset:1168
	s_wait_loadcnt_dscnt 0xa01
	v_mul_f64_e32 v[182:183], v[174:175], v[128:129]
	v_mul_f64_e32 v[128:129], v[176:177], v[128:129]
	scratch_load_b128 v[12:15], off, off offset:464
	v_add_f64_e32 v[178:179], v[178:179], v[180:181]
	s_wait_loadcnt_dscnt 0xa00
	v_mul_f64_e32 v[180:181], v[4:5], v[132:133]
	v_add_f64_e32 v[188:189], v[168:169], v[166:167]
	v_mul_f64_e32 v[132:133], v[6:7], v[132:133]
	ds_load_b128 v[166:169], v2 offset:1184
	v_fmac_f64_e32 v[182:183], v[176:177], v[126:127]
	v_fma_f64 v[174:175], v[174:175], v[126:127], -v[128:129]
	scratch_load_b128 v[126:129], off, off offset:480
	v_add_f64_e32 v[178:179], v[178:179], v[184:185]
	v_fmac_f64_e32 v[180:181], v[6:7], v[130:131]
	v_add_f64_e32 v[176:177], v[188:189], v[186:187]
	;; [unrolled: 18-line block ×13, first 2 shown]
	v_fma_f64 v[186:187], v[4:5], v[12:13], -v[14:15]
	ds_load_b128 v[4:7], v2 offset:1552
	s_wait_loadcnt_dscnt 0xa01
	v_mul_f64_e32 v[182:183], v[174:175], v[128:129]
	v_mul_f64_e32 v[128:129], v[176:177], v[128:129]
	scratch_load_b128 v[12:15], off, off offset:848
	v_add_f64_e32 v[178:179], v[178:179], v[180:181]
	s_wait_loadcnt_dscnt 0xa00
	v_mul_f64_e32 v[180:181], v[4:5], v[132:133]
	v_add_f64_e32 v[188:189], v[168:169], v[166:167]
	v_mul_f64_e32 v[132:133], v[6:7], v[132:133]
	ds_load_b128 v[166:169], v2 offset:1568
	v_fmac_f64_e32 v[182:183], v[176:177], v[126:127]
	v_fma_f64 v[126:127], v[174:175], v[126:127], -v[128:129]
	s_wait_loadcnt_dscnt 0x900
	v_mul_f64_e32 v[176:177], v[166:167], v[136:137]
	v_mul_f64_e32 v[136:137], v[168:169], v[136:137]
	v_add_f64_e32 v[174:175], v[178:179], v[184:185]
	v_fmac_f64_e32 v[180:181], v[6:7], v[130:131]
	v_add_f64_e32 v[128:129], v[188:189], v[186:187]
	v_fma_f64 v[130:131], v[4:5], v[130:131], -v[132:133]
	v_fmac_f64_e32 v[176:177], v[168:169], v[134:135]
	v_fma_f64 v[134:135], v[166:167], v[134:135], -v[136:137]
	v_add_f64_e32 v[174:175], v[174:175], v[182:183]
	v_add_f64_e32 v[132:133], v[128:129], v[126:127]
	ds_load_b128 v[4:7], v2 offset:1584
	ds_load_b128 v[126:129], v2 offset:1600
	s_wait_loadcnt_dscnt 0x801
	v_mul_f64_e32 v[178:179], v[4:5], v[140:141]
	v_mul_f64_e32 v[140:141], v[6:7], v[140:141]
	s_wait_loadcnt_dscnt 0x700
	v_mul_f64_e32 v[136:137], v[126:127], v[144:145]
	v_mul_f64_e32 v[144:145], v[128:129], v[144:145]
	v_add_f64_e32 v[130:131], v[132:133], v[130:131]
	v_add_f64_e32 v[132:133], v[174:175], v[180:181]
	v_fmac_f64_e32 v[178:179], v[6:7], v[138:139]
	v_fma_f64 v[138:139], v[4:5], v[138:139], -v[140:141]
	v_fmac_f64_e32 v[136:137], v[128:129], v[142:143]
	v_fma_f64 v[126:127], v[126:127], v[142:143], -v[144:145]
	v_add_f64_e32 v[134:135], v[130:131], v[134:135]
	v_add_f64_e32 v[140:141], v[132:133], v[176:177]
	ds_load_b128 v[4:7], v2 offset:1616
	ds_load_b128 v[130:133], v2 offset:1632
	s_wait_loadcnt_dscnt 0x601
	v_mul_f64_e32 v[166:167], v[4:5], v[148:149]
	v_mul_f64_e32 v[148:149], v[6:7], v[148:149]
	v_add_f64_e32 v[128:129], v[134:135], v[138:139]
	v_add_f64_e32 v[134:135], v[140:141], v[178:179]
	s_wait_loadcnt_dscnt 0x500
	v_mul_f64_e32 v[138:139], v[130:131], v[152:153]
	v_mul_f64_e32 v[140:141], v[132:133], v[152:153]
	v_fmac_f64_e32 v[166:167], v[6:7], v[146:147]
	v_fma_f64 v[142:143], v[4:5], v[146:147], -v[148:149]
	v_add_f64_e32 v[144:145], v[128:129], v[126:127]
	v_add_f64_e32 v[134:135], v[134:135], v[136:137]
	ds_load_b128 v[4:7], v2 offset:1648
	ds_load_b128 v[126:129], v2 offset:1664
	v_fmac_f64_e32 v[138:139], v[132:133], v[150:151]
	v_fma_f64 v[130:131], v[130:131], v[150:151], -v[140:141]
	s_wait_loadcnt_dscnt 0x401
	v_mul_f64_e32 v[136:137], v[4:5], v[160:161]
	v_mul_f64_e32 v[146:147], v[6:7], v[160:161]
	s_wait_loadcnt_dscnt 0x300
	v_mul_f64_e32 v[140:141], v[126:127], v[172:173]
	v_add_f64_e32 v[132:133], v[144:145], v[142:143]
	v_add_f64_e32 v[134:135], v[134:135], v[166:167]
	v_mul_f64_e32 v[142:143], v[128:129], v[172:173]
	v_fmac_f64_e32 v[136:137], v[6:7], v[158:159]
	v_fma_f64 v[144:145], v[4:5], v[158:159], -v[146:147]
	v_fmac_f64_e32 v[140:141], v[128:129], v[170:171]
	v_add_f64_e32 v[146:147], v[132:133], v[130:131]
	v_add_f64_e32 v[134:135], v[134:135], v[138:139]
	ds_load_b128 v[4:7], v2 offset:1680
	ds_load_b128 v[130:133], v2 offset:1696
	v_fma_f64 v[126:127], v[126:127], v[170:171], -v[142:143]
	s_wait_loadcnt_dscnt 0x201
	v_mul_f64_e32 v[138:139], v[4:5], v[156:157]
	v_mul_f64_e32 v[148:149], v[6:7], v[156:157]
	v_add_f64_e32 v[128:129], v[146:147], v[144:145]
	v_add_f64_e32 v[134:135], v[134:135], v[136:137]
	s_wait_loadcnt_dscnt 0x100
	v_mul_f64_e32 v[136:137], v[130:131], v[10:11]
	v_mul_f64_e32 v[10:11], v[132:133], v[10:11]
	v_fmac_f64_e32 v[138:139], v[6:7], v[154:155]
	v_fma_f64 v[142:143], v[4:5], v[154:155], -v[148:149]
	ds_load_b128 v[4:7], v2 offset:1712
	v_add_f64_e32 v[126:127], v[128:129], v[126:127]
	v_add_f64_e32 v[128:129], v[134:135], v[140:141]
	v_fmac_f64_e32 v[136:137], v[132:133], v[8:9]
	v_fma_f64 v[8:9], v[130:131], v[8:9], -v[10:11]
	s_wait_loadcnt_dscnt 0x0
	v_mul_f64_e32 v[134:135], v[4:5], v[14:15]
	v_mul_f64_e32 v[14:15], v[6:7], v[14:15]
	v_add_f64_e32 v[10:11], v[126:127], v[142:143]
	v_add_f64_e32 v[126:127], v[128:129], v[138:139]
	s_delay_alu instid0(VALU_DEP_4) | instskip(NEXT) | instid1(VALU_DEP_4)
	v_fmac_f64_e32 v[134:135], v[6:7], v[12:13]
	v_fma_f64 v[4:5], v[4:5], v[12:13], -v[14:15]
	s_delay_alu instid0(VALU_DEP_4) | instskip(NEXT) | instid1(VALU_DEP_4)
	v_add_f64_e32 v[6:7], v[10:11], v[8:9]
	v_add_f64_e32 v[8:9], v[126:127], v[136:137]
	s_delay_alu instid0(VALU_DEP_2) | instskip(NEXT) | instid1(VALU_DEP_2)
	v_add_f64_e32 v[4:5], v[6:7], v[4:5]
	v_add_f64_e32 v[6:7], v[8:9], v[134:135]
	s_delay_alu instid0(VALU_DEP_2) | instskip(NEXT) | instid1(VALU_DEP_2)
	v_add_f64_e64 v[4:5], v[162:163], -v[4:5]
	v_add_f64_e64 v[6:7], v[164:165], -v[6:7]
	scratch_store_b128 off, v[4:7], off offset:32
	s_wait_xcnt 0x0
	v_cmpx_lt_u32_e32 1, v1
	s_cbranch_execz .LBB117_335
; %bb.334:
	scratch_load_b128 v[6:9], off, s18
	v_dual_mov_b32 v3, v2 :: v_dual_mov_b32 v4, v2
	v_mov_b32_e32 v5, v2
	scratch_store_b128 off, v[2:5], off offset:16
	s_wait_loadcnt 0x0
	ds_store_b128 v124, v[6:9]
.LBB117_335:
	s_wait_xcnt 0x0
	s_or_b32 exec_lo, exec_lo, s2
	s_wait_storecnt_dscnt 0x0
	s_barrier_signal -1
	s_barrier_wait -1
	s_clause 0x9
	scratch_load_b128 v[4:7], off, off offset:32
	scratch_load_b128 v[8:11], off, off offset:48
	;; [unrolled: 1-line block ×10, first 2 shown]
	ds_load_b128 v[154:157], v2 offset:896
	ds_load_b128 v[162:165], v2 offset:912
	s_clause 0x2
	scratch_load_b128 v[158:161], off, off offset:192
	scratch_load_b128 v[166:169], off, off offset:16
	;; [unrolled: 1-line block ×3, first 2 shown]
	s_mov_b32 s2, exec_lo
	s_wait_loadcnt_dscnt 0xc01
	v_mul_f64_e32 v[174:175], v[156:157], v[6:7]
	v_mul_f64_e32 v[178:179], v[154:155], v[6:7]
	s_wait_loadcnt_dscnt 0xb00
	v_mul_f64_e32 v[180:181], v[162:163], v[10:11]
	v_mul_f64_e32 v[10:11], v[164:165], v[10:11]
	s_delay_alu instid0(VALU_DEP_4) | instskip(NEXT) | instid1(VALU_DEP_4)
	v_fma_f64 v[182:183], v[154:155], v[4:5], -v[174:175]
	v_fmac_f64_e32 v[178:179], v[156:157], v[4:5]
	ds_load_b128 v[4:7], v2 offset:928
	ds_load_b128 v[154:157], v2 offset:944
	scratch_load_b128 v[174:177], off, off offset:224
	v_fmac_f64_e32 v[180:181], v[164:165], v[8:9]
	v_fma_f64 v[162:163], v[162:163], v[8:9], -v[10:11]
	scratch_load_b128 v[8:11], off, off offset:240
	s_wait_loadcnt_dscnt 0xc01
	v_mul_f64_e32 v[184:185], v[4:5], v[14:15]
	v_mul_f64_e32 v[14:15], v[6:7], v[14:15]
	v_add_f64_e32 v[164:165], 0, v[182:183]
	v_add_f64_e32 v[178:179], 0, v[178:179]
	s_wait_loadcnt_dscnt 0xb00
	v_mul_f64_e32 v[182:183], v[154:155], v[128:129]
	v_mul_f64_e32 v[128:129], v[156:157], v[128:129]
	v_fmac_f64_e32 v[184:185], v[6:7], v[12:13]
	v_fma_f64 v[186:187], v[4:5], v[12:13], -v[14:15]
	ds_load_b128 v[4:7], v2 offset:960
	ds_load_b128 v[12:15], v2 offset:976
	v_add_f64_e32 v[188:189], v[164:165], v[162:163]
	v_add_f64_e32 v[178:179], v[178:179], v[180:181]
	scratch_load_b128 v[162:165], off, off offset:256
	v_fmac_f64_e32 v[182:183], v[156:157], v[126:127]
	v_fma_f64 v[154:155], v[154:155], v[126:127], -v[128:129]
	scratch_load_b128 v[126:129], off, off offset:272
	s_wait_loadcnt_dscnt 0xc01
	v_mul_f64_e32 v[180:181], v[4:5], v[132:133]
	v_mul_f64_e32 v[132:133], v[6:7], v[132:133]
	v_add_f64_e32 v[156:157], v[188:189], v[186:187]
	v_add_f64_e32 v[178:179], v[178:179], v[184:185]
	s_wait_loadcnt_dscnt 0xb00
	v_mul_f64_e32 v[184:185], v[12:13], v[136:137]
	v_mul_f64_e32 v[136:137], v[14:15], v[136:137]
	v_fmac_f64_e32 v[180:181], v[6:7], v[130:131]
	v_fma_f64 v[186:187], v[4:5], v[130:131], -v[132:133]
	ds_load_b128 v[4:7], v2 offset:992
	ds_load_b128 v[130:133], v2 offset:1008
	v_add_f64_e32 v[188:189], v[156:157], v[154:155]
	v_add_f64_e32 v[178:179], v[178:179], v[182:183]
	scratch_load_b128 v[154:157], off, off offset:288
	s_wait_loadcnt_dscnt 0xb01
	v_mul_f64_e32 v[182:183], v[4:5], v[140:141]
	v_mul_f64_e32 v[140:141], v[6:7], v[140:141]
	v_fmac_f64_e32 v[184:185], v[14:15], v[134:135]
	v_fma_f64 v[134:135], v[12:13], v[134:135], -v[136:137]
	scratch_load_b128 v[12:15], off, off offset:304
	v_add_f64_e32 v[136:137], v[188:189], v[186:187]
	v_add_f64_e32 v[178:179], v[178:179], v[180:181]
	s_wait_loadcnt_dscnt 0xb00
	v_mul_f64_e32 v[180:181], v[130:131], v[144:145]
	v_mul_f64_e32 v[144:145], v[132:133], v[144:145]
	v_fmac_f64_e32 v[182:183], v[6:7], v[138:139]
	v_fma_f64 v[186:187], v[4:5], v[138:139], -v[140:141]
	v_add_f64_e32 v[188:189], v[136:137], v[134:135]
	v_add_f64_e32 v[178:179], v[178:179], v[184:185]
	ds_load_b128 v[4:7], v2 offset:1024
	ds_load_b128 v[134:137], v2 offset:1040
	scratch_load_b128 v[138:141], off, off offset:320
	v_fmac_f64_e32 v[180:181], v[132:133], v[142:143]
	v_fma_f64 v[142:143], v[130:131], v[142:143], -v[144:145]
	scratch_load_b128 v[130:133], off, off offset:336
	s_wait_loadcnt_dscnt 0xc01
	v_mul_f64_e32 v[184:185], v[4:5], v[148:149]
	v_mul_f64_e32 v[148:149], v[6:7], v[148:149]
	v_add_f64_e32 v[144:145], v[188:189], v[186:187]
	v_add_f64_e32 v[178:179], v[178:179], v[182:183]
	s_wait_loadcnt_dscnt 0xb00
	v_mul_f64_e32 v[182:183], v[134:135], v[152:153]
	v_mul_f64_e32 v[152:153], v[136:137], v[152:153]
	v_fmac_f64_e32 v[184:185], v[6:7], v[146:147]
	v_fma_f64 v[186:187], v[4:5], v[146:147], -v[148:149]
	v_add_f64_e32 v[188:189], v[144:145], v[142:143]
	v_add_f64_e32 v[178:179], v[178:179], v[180:181]
	ds_load_b128 v[4:7], v2 offset:1056
	ds_load_b128 v[142:145], v2 offset:1072
	scratch_load_b128 v[146:149], off, off offset:352
	v_fmac_f64_e32 v[182:183], v[136:137], v[150:151]
	v_fma_f64 v[150:151], v[134:135], v[150:151], -v[152:153]
	scratch_load_b128 v[134:137], off, off offset:368
	s_wait_loadcnt_dscnt 0xc01
	v_mul_f64_e32 v[180:181], v[4:5], v[160:161]
	v_mul_f64_e32 v[160:161], v[6:7], v[160:161]
	;; [unrolled: 18-line block ×5, first 2 shown]
	v_add_f64_e32 v[172:173], v[188:189], v[186:187]
	v_add_f64_e32 v[178:179], v[178:179], v[184:185]
	s_wait_loadcnt_dscnt 0xa00
	v_mul_f64_e32 v[184:185], v[150:151], v[14:15]
	v_mul_f64_e32 v[14:15], v[152:153], v[14:15]
	v_fmac_f64_e32 v[180:181], v[6:7], v[154:155]
	v_fma_f64 v[186:187], v[4:5], v[154:155], -v[156:157]
	ds_load_b128 v[4:7], v2 offset:1184
	ds_load_b128 v[154:157], v2 offset:1200
	v_add_f64_e32 v[188:189], v[172:173], v[170:171]
	v_add_f64_e32 v[178:179], v[178:179], v[182:183]
	scratch_load_b128 v[170:173], off, off offset:480
	v_fmac_f64_e32 v[184:185], v[152:153], v[12:13]
	v_fma_f64 v[150:151], v[150:151], v[12:13], -v[14:15]
	scratch_load_b128 v[12:15], off, off offset:496
	s_wait_loadcnt_dscnt 0xb01
	v_mul_f64_e32 v[182:183], v[4:5], v[140:141]
	v_mul_f64_e32 v[140:141], v[6:7], v[140:141]
	v_add_f64_e32 v[152:153], v[188:189], v[186:187]
	v_add_f64_e32 v[178:179], v[178:179], v[180:181]
	s_wait_loadcnt_dscnt 0xa00
	v_mul_f64_e32 v[180:181], v[154:155], v[132:133]
	v_mul_f64_e32 v[132:133], v[156:157], v[132:133]
	v_fmac_f64_e32 v[182:183], v[6:7], v[138:139]
	v_fma_f64 v[186:187], v[4:5], v[138:139], -v[140:141]
	ds_load_b128 v[4:7], v2 offset:1216
	ds_load_b128 v[138:141], v2 offset:1232
	v_add_f64_e32 v[188:189], v[152:153], v[150:151]
	v_add_f64_e32 v[178:179], v[178:179], v[184:185]
	scratch_load_b128 v[150:153], off, off offset:512
	s_wait_loadcnt_dscnt 0xa01
	v_mul_f64_e32 v[184:185], v[4:5], v[148:149]
	v_mul_f64_e32 v[148:149], v[6:7], v[148:149]
	v_fmac_f64_e32 v[180:181], v[156:157], v[130:131]
	v_fma_f64 v[154:155], v[154:155], v[130:131], -v[132:133]
	scratch_load_b128 v[130:133], off, off offset:528
	v_add_f64_e32 v[156:157], v[188:189], v[186:187]
	v_add_f64_e32 v[178:179], v[178:179], v[182:183]
	s_wait_loadcnt_dscnt 0xa00
	v_mul_f64_e32 v[182:183], v[138:139], v[136:137]
	v_mul_f64_e32 v[136:137], v[140:141], v[136:137]
	v_fmac_f64_e32 v[184:185], v[6:7], v[146:147]
	v_fma_f64 v[186:187], v[4:5], v[146:147], -v[148:149]
	ds_load_b128 v[4:7], v2 offset:1248
	ds_load_b128 v[146:149], v2 offset:1264
	v_add_f64_e32 v[188:189], v[156:157], v[154:155]
	v_add_f64_e32 v[178:179], v[178:179], v[180:181]
	scratch_load_b128 v[154:157], off, off offset:544
	s_wait_loadcnt_dscnt 0xa01
	v_mul_f64_e32 v[180:181], v[4:5], v[160:161]
	v_mul_f64_e32 v[160:161], v[6:7], v[160:161]
	v_fmac_f64_e32 v[182:183], v[140:141], v[134:135]
	v_fma_f64 v[138:139], v[138:139], v[134:135], -v[136:137]
	scratch_load_b128 v[134:137], off, off offset:560
	v_add_f64_e32 v[140:141], v[188:189], v[186:187]
	v_add_f64_e32 v[178:179], v[178:179], v[184:185]
	s_wait_loadcnt_dscnt 0xa00
	v_mul_f64_e32 v[184:185], v[146:147], v[144:145]
	v_mul_f64_e32 v[144:145], v[148:149], v[144:145]
	v_fmac_f64_e32 v[180:181], v[6:7], v[158:159]
	v_fma_f64 v[186:187], v[4:5], v[158:159], -v[160:161]
	v_add_f64_e32 v[188:189], v[140:141], v[138:139]
	v_add_f64_e32 v[178:179], v[178:179], v[182:183]
	ds_load_b128 v[4:7], v2 offset:1280
	ds_load_b128 v[138:141], v2 offset:1296
	scratch_load_b128 v[158:161], off, off offset:576
	v_fmac_f64_e32 v[184:185], v[148:149], v[142:143]
	v_fma_f64 v[146:147], v[146:147], v[142:143], -v[144:145]
	scratch_load_b128 v[142:145], off, off offset:592
	s_wait_loadcnt_dscnt 0xb01
	v_mul_f64_e32 v[182:183], v[4:5], v[176:177]
	v_mul_f64_e32 v[176:177], v[6:7], v[176:177]
	v_add_f64_e32 v[148:149], v[188:189], v[186:187]
	v_add_f64_e32 v[178:179], v[178:179], v[180:181]
	s_wait_loadcnt_dscnt 0xa00
	v_mul_f64_e32 v[180:181], v[138:139], v[10:11]
	v_mul_f64_e32 v[10:11], v[140:141], v[10:11]
	v_fmac_f64_e32 v[182:183], v[6:7], v[174:175]
	v_fma_f64 v[186:187], v[4:5], v[174:175], -v[176:177]
	v_add_f64_e32 v[188:189], v[148:149], v[146:147]
	v_add_f64_e32 v[178:179], v[178:179], v[184:185]
	ds_load_b128 v[4:7], v2 offset:1312
	ds_load_b128 v[146:149], v2 offset:1328
	scratch_load_b128 v[174:177], off, off offset:608
	v_fmac_f64_e32 v[180:181], v[140:141], v[8:9]
	v_fma_f64 v[138:139], v[138:139], v[8:9], -v[10:11]
	scratch_load_b128 v[8:11], off, off offset:624
	s_wait_loadcnt_dscnt 0xb01
	v_mul_f64_e32 v[184:185], v[4:5], v[164:165]
	v_mul_f64_e32 v[164:165], v[6:7], v[164:165]
	;; [unrolled: 18-line block ×9, first 2 shown]
	v_add_f64_e32 v[148:149], v[188:189], v[186:187]
	v_add_f64_e32 v[178:179], v[178:179], v[184:185]
	s_wait_loadcnt_dscnt 0xa00
	v_mul_f64_e32 v[184:185], v[138:139], v[14:15]
	v_mul_f64_e32 v[14:15], v[140:141], v[14:15]
	v_fmac_f64_e32 v[180:181], v[6:7], v[170:171]
	v_fma_f64 v[170:171], v[4:5], v[170:171], -v[172:173]
	v_add_f64_e32 v[172:173], v[148:149], v[146:147]
	v_add_f64_e32 v[178:179], v[178:179], v[182:183]
	ds_load_b128 v[4:7], v2 offset:1568
	ds_load_b128 v[146:149], v2 offset:1584
	v_fmac_f64_e32 v[184:185], v[140:141], v[12:13]
	v_fma_f64 v[12:13], v[138:139], v[12:13], -v[14:15]
	s_wait_loadcnt_dscnt 0x901
	v_mul_f64_e32 v[182:183], v[4:5], v[152:153]
	v_mul_f64_e32 v[152:153], v[6:7], v[152:153]
	s_wait_loadcnt_dscnt 0x800
	v_mul_f64_e32 v[140:141], v[146:147], v[132:133]
	v_mul_f64_e32 v[132:133], v[148:149], v[132:133]
	v_add_f64_e32 v[14:15], v[172:173], v[170:171]
	v_add_f64_e32 v[138:139], v[178:179], v[180:181]
	v_fmac_f64_e32 v[182:183], v[6:7], v[150:151]
	v_fma_f64 v[150:151], v[4:5], v[150:151], -v[152:153]
	v_fmac_f64_e32 v[140:141], v[148:149], v[130:131]
	v_fma_f64 v[130:131], v[146:147], v[130:131], -v[132:133]
	v_add_f64_e32 v[152:153], v[14:15], v[12:13]
	v_add_f64_e32 v[138:139], v[138:139], v[184:185]
	ds_load_b128 v[4:7], v2 offset:1600
	ds_load_b128 v[12:15], v2 offset:1616
	s_wait_loadcnt_dscnt 0x701
	v_mul_f64_e32 v[170:171], v[4:5], v[156:157]
	v_mul_f64_e32 v[156:157], v[6:7], v[156:157]
	s_wait_loadcnt_dscnt 0x600
	v_mul_f64_e32 v[146:147], v[12:13], v[136:137]
	v_mul_f64_e32 v[136:137], v[14:15], v[136:137]
	v_add_f64_e32 v[132:133], v[152:153], v[150:151]
	v_add_f64_e32 v[138:139], v[138:139], v[182:183]
	v_fmac_f64_e32 v[170:171], v[6:7], v[154:155]
	v_fma_f64 v[148:149], v[4:5], v[154:155], -v[156:157]
	v_fmac_f64_e32 v[146:147], v[14:15], v[134:135]
	v_fma_f64 v[12:13], v[12:13], v[134:135], -v[136:137]
	v_add_f64_e32 v[150:151], v[132:133], v[130:131]
	v_add_f64_e32 v[138:139], v[138:139], v[140:141]
	ds_load_b128 v[4:7], v2 offset:1632
	ds_load_b128 v[130:133], v2 offset:1648
	s_wait_loadcnt_dscnt 0x501
	v_mul_f64_e32 v[140:141], v[4:5], v[160:161]
	v_mul_f64_e32 v[152:153], v[6:7], v[160:161]
	s_wait_loadcnt_dscnt 0x400
	v_mul_f64_e32 v[136:137], v[130:131], v[144:145]
	v_add_f64_e32 v[14:15], v[150:151], v[148:149]
	v_add_f64_e32 v[134:135], v[138:139], v[170:171]
	v_mul_f64_e32 v[138:139], v[132:133], v[144:145]
	v_fmac_f64_e32 v[140:141], v[6:7], v[158:159]
	v_fma_f64 v[144:145], v[4:5], v[158:159], -v[152:153]
	v_fmac_f64_e32 v[136:137], v[132:133], v[142:143]
	v_add_f64_e32 v[148:149], v[14:15], v[12:13]
	v_add_f64_e32 v[134:135], v[134:135], v[146:147]
	ds_load_b128 v[4:7], v2 offset:1664
	ds_load_b128 v[12:15], v2 offset:1680
	v_fma_f64 v[130:131], v[130:131], v[142:143], -v[138:139]
	s_wait_loadcnt_dscnt 0x301
	v_mul_f64_e32 v[146:147], v[4:5], v[176:177]
	v_mul_f64_e32 v[150:151], v[6:7], v[176:177]
	s_wait_loadcnt_dscnt 0x200
	v_mul_f64_e32 v[138:139], v[12:13], v[10:11]
	v_mul_f64_e32 v[10:11], v[14:15], v[10:11]
	v_add_f64_e32 v[132:133], v[148:149], v[144:145]
	v_add_f64_e32 v[134:135], v[134:135], v[140:141]
	v_fmac_f64_e32 v[146:147], v[6:7], v[174:175]
	v_fma_f64 v[140:141], v[4:5], v[174:175], -v[150:151]
	v_fmac_f64_e32 v[138:139], v[14:15], v[8:9]
	v_fma_f64 v[8:9], v[12:13], v[8:9], -v[10:11]
	v_add_f64_e32 v[142:143], v[132:133], v[130:131]
	v_add_f64_e32 v[134:135], v[134:135], v[136:137]
	ds_load_b128 v[4:7], v2 offset:1696
	ds_load_b128 v[130:133], v2 offset:1712
	s_wait_loadcnt_dscnt 0x101
	v_mul_f64_e32 v[2:3], v[4:5], v[164:165]
	v_mul_f64_e32 v[136:137], v[6:7], v[164:165]
	s_wait_loadcnt_dscnt 0x0
	v_mul_f64_e32 v[14:15], v[130:131], v[128:129]
	v_mul_f64_e32 v[128:129], v[132:133], v[128:129]
	v_add_f64_e32 v[10:11], v[142:143], v[140:141]
	v_add_f64_e32 v[12:13], v[134:135], v[146:147]
	v_fmac_f64_e32 v[2:3], v[6:7], v[162:163]
	v_fma_f64 v[4:5], v[4:5], v[162:163], -v[136:137]
	v_fmac_f64_e32 v[14:15], v[132:133], v[126:127]
	v_add_f64_e32 v[6:7], v[10:11], v[8:9]
	v_add_f64_e32 v[8:9], v[12:13], v[138:139]
	v_fma_f64 v[10:11], v[130:131], v[126:127], -v[128:129]
	s_delay_alu instid0(VALU_DEP_3) | instskip(NEXT) | instid1(VALU_DEP_3)
	v_add_f64_e32 v[4:5], v[6:7], v[4:5]
	v_add_f64_e32 v[2:3], v[8:9], v[2:3]
	s_delay_alu instid0(VALU_DEP_2) | instskip(NEXT) | instid1(VALU_DEP_2)
	v_add_f64_e32 v[4:5], v[4:5], v[10:11]
	v_add_f64_e32 v[6:7], v[2:3], v[14:15]
	s_delay_alu instid0(VALU_DEP_2) | instskip(NEXT) | instid1(VALU_DEP_2)
	v_add_f64_e64 v[2:3], v[166:167], -v[4:5]
	v_add_f64_e64 v[4:5], v[168:169], -v[6:7]
	scratch_store_b128 off, v[2:5], off offset:16
	s_wait_xcnt 0x0
	v_cmpx_ne_u32_e32 0, v1
	s_cbranch_execz .LBB117_337
; %bb.336:
	scratch_load_b128 v[2:5], off, off
	v_mov_b32_e32 v6, 0
	s_delay_alu instid0(VALU_DEP_1)
	v_dual_mov_b32 v7, v6 :: v_dual_mov_b32 v8, v6
	v_mov_b32_e32 v9, v6
	scratch_store_b128 off, v[6:9], off
	s_wait_loadcnt 0x0
	ds_store_b128 v124, v[2:5]
.LBB117_337:
	s_wait_xcnt 0x0
	s_or_b32 exec_lo, exec_lo, s2
	s_wait_storecnt_dscnt 0x0
	s_barrier_signal -1
	s_barrier_wait -1
	s_clause 0x9
	scratch_load_b128 v[2:5], off, off offset:16
	scratch_load_b128 v[6:9], off, off offset:32
	scratch_load_b128 v[10:13], off, off offset:48
	scratch_load_b128 v[124:127], off, off offset:64
	scratch_load_b128 v[128:131], off, off offset:80
	scratch_load_b128 v[132:135], off, off offset:96
	scratch_load_b128 v[136:139], off, off offset:112
	scratch_load_b128 v[140:143], off, off offset:128
	scratch_load_b128 v[144:147], off, off offset:144
	scratch_load_b128 v[148:151], off, off offset:160
	v_mov_b32_e32 v166, 0
	v_lshl_add_u64 v[66:67], v[66:67], 4, s[4:5]
	s_and_b32 vcc_lo, exec_lo, s66
	ds_load_b128 v[152:155], v166 offset:880
	s_clause 0x2
	scratch_load_b128 v[156:159], off, off offset:176
	scratch_load_b128 v[168:171], off, off
	scratch_load_b128 v[172:175], off, off offset:192
	s_wait_loadcnt_dscnt 0xc00
	v_mul_f64_e32 v[14:15], v[154:155], v[4:5]
	v_mul_f64_e32 v[164:165], v[152:153], v[4:5]
	ds_load_b128 v[160:163], v166 offset:896
	ds_load_b128 v[176:179], v166 offset:928
	v_fma_f64 v[14:15], v[152:153], v[2:3], -v[14:15]
	v_fmac_f64_e32 v[164:165], v[154:155], v[2:3]
	ds_load_b128 v[2:5], v166 offset:912
	s_wait_loadcnt_dscnt 0xb02
	v_mul_f64_e32 v[180:181], v[160:161], v[8:9]
	v_mul_f64_e32 v[8:9], v[162:163], v[8:9]
	scratch_load_b128 v[152:155], off, off offset:208
	s_wait_loadcnt_dscnt 0xb00
	v_mul_f64_e32 v[182:183], v[2:3], v[12:13]
	v_mul_f64_e32 v[12:13], v[4:5], v[12:13]
	v_add_f64_e32 v[14:15], 0, v[14:15]
	v_fmac_f64_e32 v[180:181], v[162:163], v[6:7]
	v_fma_f64 v[160:161], v[160:161], v[6:7], -v[8:9]
	v_add_f64_e32 v[162:163], 0, v[164:165]
	scratch_load_b128 v[6:9], off, off offset:224
	v_fmac_f64_e32 v[182:183], v[4:5], v[10:11]
	v_fma_f64 v[184:185], v[2:3], v[10:11], -v[12:13]
	ds_load_b128 v[2:5], v166 offset:944
	s_wait_loadcnt 0xb
	v_mul_f64_e32 v[164:165], v[176:177], v[126:127]
	v_mul_f64_e32 v[126:127], v[178:179], v[126:127]
	scratch_load_b128 v[10:13], off, off offset:240
	v_add_f64_e32 v[14:15], v[14:15], v[160:161]
	v_add_f64_e32 v[180:181], v[162:163], v[180:181]
	ds_load_b128 v[160:163], v166 offset:960
	s_wait_loadcnt_dscnt 0xb01
	v_mul_f64_e32 v[186:187], v[2:3], v[130:131]
	v_mul_f64_e32 v[130:131], v[4:5], v[130:131]
	v_fmac_f64_e32 v[164:165], v[178:179], v[124:125]
	v_fma_f64 v[176:177], v[176:177], v[124:125], -v[126:127]
	scratch_load_b128 v[124:127], off, off offset:256
	v_add_f64_e32 v[14:15], v[14:15], v[184:185]
	v_add_f64_e32 v[178:179], v[180:181], v[182:183]
	v_fmac_f64_e32 v[186:187], v[4:5], v[128:129]
	v_fma_f64 v[182:183], v[2:3], v[128:129], -v[130:131]
	ds_load_b128 v[2:5], v166 offset:976
	s_wait_loadcnt_dscnt 0xb01
	v_mul_f64_e32 v[180:181], v[160:161], v[134:135]
	v_mul_f64_e32 v[134:135], v[162:163], v[134:135]
	scratch_load_b128 v[128:131], off, off offset:272
	s_wait_loadcnt_dscnt 0xb00
	v_mul_f64_e32 v[184:185], v[2:3], v[138:139]
	v_mul_f64_e32 v[138:139], v[4:5], v[138:139]
	v_add_f64_e32 v[14:15], v[14:15], v[176:177]
	v_add_f64_e32 v[164:165], v[178:179], v[164:165]
	ds_load_b128 v[176:179], v166 offset:992
	v_fmac_f64_e32 v[180:181], v[162:163], v[132:133]
	v_fma_f64 v[160:161], v[160:161], v[132:133], -v[134:135]
	scratch_load_b128 v[132:135], off, off offset:288
	v_fmac_f64_e32 v[184:185], v[4:5], v[136:137]
	v_add_f64_e32 v[14:15], v[14:15], v[182:183]
	v_add_f64_e32 v[162:163], v[164:165], v[186:187]
	v_fma_f64 v[182:183], v[2:3], v[136:137], -v[138:139]
	ds_load_b128 v[2:5], v166 offset:1008
	s_wait_loadcnt_dscnt 0xb01
	v_mul_f64_e32 v[164:165], v[176:177], v[142:143]
	v_mul_f64_e32 v[142:143], v[178:179], v[142:143]
	scratch_load_b128 v[136:139], off, off offset:304
	s_wait_loadcnt_dscnt 0xb00
	v_mul_f64_e32 v[186:187], v[2:3], v[146:147]
	v_mul_f64_e32 v[146:147], v[4:5], v[146:147]
	v_add_f64_e32 v[14:15], v[14:15], v[160:161]
	v_add_f64_e32 v[180:181], v[162:163], v[180:181]
	ds_load_b128 v[160:163], v166 offset:1024
	v_fmac_f64_e32 v[164:165], v[178:179], v[140:141]
	v_fma_f64 v[176:177], v[176:177], v[140:141], -v[142:143]
	scratch_load_b128 v[140:143], off, off offset:320
	v_fmac_f64_e32 v[186:187], v[4:5], v[144:145]
	v_add_f64_e32 v[14:15], v[14:15], v[182:183]
	v_add_f64_e32 v[178:179], v[180:181], v[184:185]
	;; [unrolled: 18-line block ×3, first 2 shown]
	v_fma_f64 v[182:183], v[2:3], v[156:157], -v[158:159]
	ds_load_b128 v[2:5], v166 offset:1072
	s_wait_loadcnt_dscnt 0xa01
	v_mul_f64_e32 v[164:165], v[176:177], v[174:175]
	v_mul_f64_e32 v[174:175], v[178:179], v[174:175]
	scratch_load_b128 v[156:159], off, off offset:368
	v_add_f64_e32 v[14:15], v[14:15], v[160:161]
	v_add_f64_e32 v[180:181], v[162:163], v[180:181]
	s_wait_loadcnt_dscnt 0xa00
	v_mul_f64_e32 v[186:187], v[2:3], v[154:155]
	v_mul_f64_e32 v[154:155], v[4:5], v[154:155]
	v_fmac_f64_e32 v[164:165], v[178:179], v[172:173]
	v_fma_f64 v[176:177], v[176:177], v[172:173], -v[174:175]
	ds_load_b128 v[160:163], v166 offset:1088
	scratch_load_b128 v[172:175], off, off offset:384
	v_add_f64_e32 v[14:15], v[14:15], v[182:183]
	v_add_f64_e32 v[178:179], v[180:181], v[184:185]
	v_fmac_f64_e32 v[186:187], v[4:5], v[152:153]
	v_fma_f64 v[182:183], v[2:3], v[152:153], -v[154:155]
	ds_load_b128 v[2:5], v166 offset:1104
	s_wait_loadcnt_dscnt 0xa01
	v_mul_f64_e32 v[180:181], v[160:161], v[8:9]
	v_mul_f64_e32 v[8:9], v[162:163], v[8:9]
	scratch_load_b128 v[152:155], off, off offset:400
	s_wait_loadcnt_dscnt 0xa00
	v_mul_f64_e32 v[184:185], v[2:3], v[12:13]
	v_mul_f64_e32 v[12:13], v[4:5], v[12:13]
	v_add_f64_e32 v[14:15], v[14:15], v[176:177]
	v_add_f64_e32 v[164:165], v[178:179], v[164:165]
	ds_load_b128 v[176:179], v166 offset:1120
	v_fmac_f64_e32 v[180:181], v[162:163], v[6:7]
	v_fma_f64 v[160:161], v[160:161], v[6:7], -v[8:9]
	scratch_load_b128 v[6:9], off, off offset:416
	v_fmac_f64_e32 v[184:185], v[4:5], v[10:11]
	v_add_f64_e32 v[14:15], v[14:15], v[182:183]
	v_add_f64_e32 v[162:163], v[164:165], v[186:187]
	v_fma_f64 v[182:183], v[2:3], v[10:11], -v[12:13]
	ds_load_b128 v[2:5], v166 offset:1136
	s_wait_loadcnt_dscnt 0xa01
	v_mul_f64_e32 v[164:165], v[176:177], v[126:127]
	v_mul_f64_e32 v[126:127], v[178:179], v[126:127]
	scratch_load_b128 v[10:13], off, off offset:432
	s_wait_loadcnt_dscnt 0xa00
	v_mul_f64_e32 v[186:187], v[2:3], v[130:131]
	v_mul_f64_e32 v[130:131], v[4:5], v[130:131]
	v_add_f64_e32 v[14:15], v[14:15], v[160:161]
	v_add_f64_e32 v[180:181], v[162:163], v[180:181]
	ds_load_b128 v[160:163], v166 offset:1152
	v_fmac_f64_e32 v[164:165], v[178:179], v[124:125]
	v_fma_f64 v[176:177], v[176:177], v[124:125], -v[126:127]
	scratch_load_b128 v[124:127], off, off offset:448
	v_fmac_f64_e32 v[186:187], v[4:5], v[128:129]
	v_add_f64_e32 v[14:15], v[14:15], v[182:183]
	v_add_f64_e32 v[178:179], v[180:181], v[184:185]
	;; [unrolled: 18-line block ×14, first 2 shown]
	v_fma_f64 v[182:183], v[2:3], v[128:129], -v[130:131]
	ds_load_b128 v[2:5], v166 offset:1552
	s_wait_loadcnt_dscnt 0xa01
	v_mul_f64_e32 v[180:181], v[160:161], v[134:135]
	v_mul_f64_e32 v[134:135], v[162:163], v[134:135]
	scratch_load_b128 v[128:131], off, off offset:848
	s_wait_loadcnt_dscnt 0xa00
	v_mul_f64_e32 v[184:185], v[2:3], v[138:139]
	v_mul_f64_e32 v[138:139], v[4:5], v[138:139]
	v_add_f64_e32 v[14:15], v[14:15], v[176:177]
	v_add_f64_e32 v[164:165], v[178:179], v[164:165]
	ds_load_b128 v[176:179], v166 offset:1568
	v_fmac_f64_e32 v[180:181], v[162:163], v[132:133]
	v_fma_f64 v[132:133], v[160:161], v[132:133], -v[134:135]
	s_wait_loadcnt_dscnt 0x900
	v_mul_f64_e32 v[160:161], v[176:177], v[142:143]
	v_mul_f64_e32 v[142:143], v[178:179], v[142:143]
	v_fmac_f64_e32 v[184:185], v[4:5], v[136:137]
	v_fma_f64 v[136:137], v[2:3], v[136:137], -v[138:139]
	v_add_f64_e32 v[14:15], v[14:15], v[182:183]
	v_add_f64_e32 v[134:135], v[164:165], v[186:187]
	v_lshl_add_u64 v[164:165], v[20:21], 4, s[4:5]
	v_lshl_add_u64 v[20:21], v[108:109], 4, s[4:5]
	v_fmac_f64_e32 v[160:161], v[178:179], v[140:141]
	v_fma_f64 v[140:141], v[176:177], v[140:141], -v[142:143]
	v_add_f64_e32 v[14:15], v[14:15], v[132:133]
	v_add_f64_e32 v[138:139], v[134:135], v[180:181]
	ds_load_b128 v[2:5], v166 offset:1584
	ds_load_b128 v[132:135], v166 offset:1600
	s_wait_loadcnt_dscnt 0x801
	v_mul_f64_e32 v[162:163], v[2:3], v[146:147]
	v_mul_f64_e32 v[146:147], v[4:5], v[146:147]
	s_wait_loadcnt_dscnt 0x700
	v_mul_f64_e32 v[142:143], v[132:133], v[150:151]
	v_mul_f64_e32 v[150:151], v[134:135], v[150:151]
	v_add_f64_e32 v[14:15], v[14:15], v[136:137]
	v_add_f64_e32 v[136:137], v[138:139], v[184:185]
	v_fmac_f64_e32 v[162:163], v[4:5], v[144:145]
	v_fma_f64 v[144:145], v[2:3], v[144:145], -v[146:147]
	v_fmac_f64_e32 v[142:143], v[134:135], v[148:149]
	v_fma_f64 v[132:133], v[132:133], v[148:149], -v[150:151]
	v_add_f64_e32 v[14:15], v[14:15], v[140:141]
	v_add_f64_e32 v[140:141], v[136:137], v[160:161]
	ds_load_b128 v[2:5], v166 offset:1616
	ds_load_b128 v[136:139], v166 offset:1632
	v_lshl_add_u64 v[160:161], v[24:25], 4, s[4:5]
	v_lshl_add_u64 v[24:25], v[104:105], 4, s[4:5]
	s_wait_loadcnt_dscnt 0x601
	v_mul_f64_e32 v[146:147], v[2:3], v[158:159]
	v_mul_f64_e32 v[158:159], v[4:5], v[158:159]
	v_add_f64_e32 v[14:15], v[14:15], v[144:145]
	v_add_f64_e32 v[134:135], v[140:141], v[162:163]
	s_wait_loadcnt_dscnt 0x500
	v_mul_f64_e32 v[140:141], v[136:137], v[174:175]
	v_mul_f64_e32 v[144:145], v[138:139], v[174:175]
	v_lshl_add_u64 v[162:163], v[22:23], 4, s[4:5]
	v_lshl_add_u64 v[22:23], v[106:107], 4, s[4:5]
	v_fmac_f64_e32 v[146:147], v[4:5], v[156:157]
	v_fma_f64 v[148:149], v[2:3], v[156:157], -v[158:159]
	v_lshl_add_u64 v[158:159], v[26:27], 4, s[4:5]
	v_lshl_add_u64 v[156:157], v[28:29], 4, s[4:5]
	;; [unrolled: 1-line block ×4, first 2 shown]
	v_add_f64_e32 v[14:15], v[14:15], v[132:133]
	v_add_f64_e32 v[142:143], v[134:135], v[142:143]
	ds_load_b128 v[2:5], v166 offset:1648
	ds_load_b128 v[132:135], v166 offset:1664
	v_fmac_f64_e32 v[140:141], v[138:139], v[172:173]
	v_fma_f64 v[136:137], v[136:137], v[172:173], -v[144:145]
	s_wait_loadcnt_dscnt 0x401
	v_mul_f64_e32 v[150:151], v[2:3], v[154:155]
	v_mul_f64_e32 v[154:155], v[4:5], v[154:155]
	v_add_f64_e32 v[14:15], v[14:15], v[148:149]
	v_add_f64_e32 v[138:139], v[142:143], v[146:147]
	s_wait_loadcnt_dscnt 0x300
	v_mul_f64_e32 v[142:143], v[132:133], v[8:9]
	v_mul_f64_e32 v[8:9], v[134:135], v[8:9]
	v_lshl_add_u64 v[148:149], v[36:37], 4, s[4:5]
	v_lshl_add_u64 v[36:37], v[92:93], 4, s[4:5]
	v_fmac_f64_e32 v[150:151], v[4:5], v[152:153]
	v_fma_f64 v[144:145], v[2:3], v[152:153], -v[154:155]
	v_lshl_add_u64 v[154:155], v[30:31], 4, s[4:5]
	v_lshl_add_u64 v[152:153], v[32:33], 4, s[4:5]
	;; [unrolled: 1-line block ×4, first 2 shown]
	v_add_f64_e32 v[14:15], v[14:15], v[136:137]
	v_add_f64_e32 v[140:141], v[138:139], v[140:141]
	ds_load_b128 v[2:5], v166 offset:1680
	ds_load_b128 v[136:139], v166 offset:1696
	v_fmac_f64_e32 v[142:143], v[134:135], v[6:7]
	v_fma_f64 v[6:7], v[132:133], v[6:7], -v[8:9]
	v_lshl_add_u64 v[134:135], v[50:51], 4, s[4:5]
	v_lshl_add_u64 v[50:51], v[78:79], 4, s[4:5]
	s_wait_loadcnt_dscnt 0x201
	v_mul_f64_e32 v[146:147], v[2:3], v[12:13]
	v_mul_f64_e32 v[12:13], v[4:5], v[12:13]
	s_wait_loadcnt_dscnt 0x100
	v_mul_f64_e32 v[132:133], v[136:137], v[126:127]
	v_mul_f64_e32 v[126:127], v[138:139], v[126:127]
	v_add_f64_e32 v[8:9], v[14:15], v[144:145]
	v_add_f64_e32 v[14:15], v[140:141], v[150:151]
	v_lshl_add_u64 v[150:151], v[34:35], 4, s[4:5]
	v_lshl_add_u64 v[144:145], v[40:41], 4, s[4:5]
	;; [unrolled: 1-line block ×6, first 2 shown]
	v_fmac_f64_e32 v[146:147], v[4:5], v[10:11]
	v_fma_f64 v[10:11], v[2:3], v[10:11], -v[12:13]
	ds_load_b128 v[2:5], v166 offset:1712
	v_fmac_f64_e32 v[132:133], v[138:139], v[124:125]
	v_fma_f64 v[124:125], v[136:137], v[124:125], -v[126:127]
	v_lshl_add_u64 v[138:139], v[46:47], 4, s[4:5]
	v_lshl_add_u64 v[136:137], v[48:49], 4, s[4:5]
	;; [unrolled: 1-line block ×6, first 2 shown]
	v_add_f64_e32 v[6:7], v[8:9], v[6:7]
	v_add_f64_e32 v[8:9], v[14:15], v[142:143]
	v_lshl_add_u64 v[142:143], v[42:43], 4, s[4:5]
	v_lshl_add_u64 v[42:43], v[86:87], 4, s[4:5]
	s_wait_loadcnt_dscnt 0x0
	v_mul_f64_e32 v[12:13], v[2:3], v[130:131]
	v_mul_f64_e32 v[14:15], v[4:5], v[130:131]
	v_lshl_add_u64 v[130:131], v[52:53], 4, s[4:5]
	v_lshl_add_u64 v[52:53], v[76:77], 4, s[4:5]
	v_add_f64_e32 v[6:7], v[6:7], v[10:11]
	v_add_f64_e32 v[8:9], v[8:9], v[146:147]
	v_lshl_add_u64 v[146:147], v[38:39], 4, s[4:5]
	v_lshl_add_u64 v[38:39], v[90:91], 4, s[4:5]
	;; [unrolled: 1-line block ×3, first 2 shown]
	v_fmac_f64_e32 v[12:13], v[4:5], v[128:129]
	v_fma_f64 v[2:3], v[2:3], v[128:129], -v[14:15]
	v_lshl_add_u64 v[128:129], v[54:55], 4, s[4:5]
	v_lshl_add_u64 v[54:55], v[64:65], 4, s[4:5]
	;; [unrolled: 1-line block ×4, first 2 shown]
	v_add_f64_e32 v[4:5], v[6:7], v[124:125]
	v_add_f64_e32 v[6:7], v[8:9], v[132:133]
	v_lshl_add_u64 v[124:125], v[58:59], 4, s[4:5]
	v_lshl_add_u64 v[58:59], v[60:61], 4, s[4:5]
	;; [unrolled: 1-line block ×6, first 2 shown]
	v_add_f64_e32 v[2:3], v[4:5], v[2:3]
	v_add_f64_e32 v[4:5], v[6:7], v[12:13]
	v_lshl_add_u64 v[12:13], v[112:113], 4, s[4:5]
	v_lshl_add_u64 v[6:7], v[118:119], 4, s[4:5]
	s_delay_alu instid0(VALU_DEP_4) | instskip(NEXT) | instid1(VALU_DEP_4)
	v_add_f64_e64 v[168:169], v[168:169], -v[2:3]
	v_add_f64_e64 v[170:171], v[170:171], -v[4:5]
	v_lshl_add_u64 v[4:5], v[120:121], 4, s[4:5]
	v_lshl_add_u64 v[2:3], v[122:123], 4, s[4:5]
	scratch_store_b128 off, v[168:171], off
	s_cbranch_vccz .LBB117_444
; %bb.338:
	global_load_b32 v68, v166, s[8:9] offset:208
	s_load_b64 s[2:3], s[0:1], 0x4
	v_bfe_u32 v69, v0, 10, 10
	v_bfe_u32 v0, v0, 20, 10
	s_wait_kmcnt 0x0
	s_lshr_b32 s0, s2, 16
	s_delay_alu instid0(VALU_DEP_2) | instskip(SKIP_1) | instid1(SALU_CYCLE_1)
	v_mul_u32_u24_e32 v69, s3, v69
	s_mul_i32 s0, s0, s3
	v_mul_u32_u24_e32 v1, s0, v1
	s_delay_alu instid0(VALU_DEP_1) | instskip(NEXT) | instid1(VALU_DEP_1)
	v_add3_u32 v0, v1, v69, v0
	v_lshl_add_u32 v0, v0, 4, 0x6c8
	s_wait_loadcnt 0x0
	v_cmp_ne_u32_e32 vcc_lo, 53, v68
	s_cbranch_vccz .LBB117_340
; %bb.339:
	v_lshlrev_b32_e32 v1, 4, v68
	s_clause 0x1
	scratch_load_b128 v[68:71], off, s15
	scratch_load_b128 v[72:75], v1, off offset:-16
	s_wait_loadcnt 0x1
	ds_store_2addr_b64 v0, v[68:69], v[70:71] offset1:1
	s_wait_loadcnt 0x0
	s_clause 0x1
	scratch_store_b128 off, v[72:75], s15
	scratch_store_b128 v1, v[68:71], off offset:-16
.LBB117_340:
	s_wait_xcnt 0x0
	v_mov_b32_e32 v1, 0
	global_load_b32 v68, v1, s[8:9] offset:204
	s_wait_loadcnt 0x0
	v_cmp_eq_u32_e32 vcc_lo, 52, v68
	s_cbranch_vccnz .LBB117_342
; %bb.341:
	v_lshlrev_b32_e32 v68, 4, v68
	s_delay_alu instid0(VALU_DEP_1)
	v_mov_b32_e32 v76, v68
	s_clause 0x1
	scratch_load_b128 v[68:71], off, s17
	scratch_load_b128 v[72:75], v76, off offset:-16
	s_wait_loadcnt 0x1
	ds_store_2addr_b64 v0, v[68:69], v[70:71] offset1:1
	s_wait_loadcnt 0x0
	s_clause 0x1
	scratch_store_b128 off, v[72:75], s17
	scratch_store_b128 v76, v[68:71], off offset:-16
.LBB117_342:
	global_load_b32 v1, v1, s[8:9] offset:200
	s_wait_loadcnt 0x0
	v_cmp_eq_u32_e32 vcc_lo, 51, v1
	s_cbranch_vccnz .LBB117_344
; %bb.343:
	s_wait_xcnt 0x0
	v_lshlrev_b32_e32 v1, 4, v1
	s_clause 0x1
	scratch_load_b128 v[68:71], off, s19
	scratch_load_b128 v[72:75], v1, off offset:-16
	s_wait_loadcnt 0x1
	ds_store_2addr_b64 v0, v[68:69], v[70:71] offset1:1
	s_wait_loadcnt 0x0
	s_clause 0x1
	scratch_store_b128 off, v[72:75], s19
	scratch_store_b128 v1, v[68:71], off offset:-16
.LBB117_344:
	s_wait_xcnt 0x0
	v_mov_b32_e32 v1, 0
	global_load_b32 v68, v1, s[8:9] offset:196
	s_wait_loadcnt 0x0
	v_cmp_eq_u32_e32 vcc_lo, 50, v68
	s_cbranch_vccnz .LBB117_346
; %bb.345:
	v_lshlrev_b32_e32 v68, 4, v68
	s_delay_alu instid0(VALU_DEP_1)
	v_mov_b32_e32 v76, v68
	s_clause 0x1
	scratch_load_b128 v[68:71], off, s20
	scratch_load_b128 v[72:75], v76, off offset:-16
	s_wait_loadcnt 0x1
	ds_store_2addr_b64 v0, v[68:69], v[70:71] offset1:1
	s_wait_loadcnt 0x0
	s_clause 0x1
	scratch_store_b128 off, v[72:75], s20
	scratch_store_b128 v76, v[68:71], off offset:-16
.LBB117_346:
	global_load_b32 v1, v1, s[8:9] offset:192
	s_wait_loadcnt 0x0
	v_cmp_eq_u32_e32 vcc_lo, 49, v1
	s_cbranch_vccnz .LBB117_348
; %bb.347:
	s_wait_xcnt 0x0
	v_lshlrev_b32_e32 v1, 4, v1
	s_clause 0x1
	scratch_load_b128 v[68:71], off, s21
	scratch_load_b128 v[72:75], v1, off offset:-16
	s_wait_loadcnt 0x1
	ds_store_2addr_b64 v0, v[68:69], v[70:71] offset1:1
	s_wait_loadcnt 0x0
	s_clause 0x1
	scratch_store_b128 off, v[72:75], s21
	scratch_store_b128 v1, v[68:71], off offset:-16
.LBB117_348:
	;; [unrolled: 37-line block ×25, first 2 shown]
	s_wait_xcnt 0x0
	v_mov_b32_e32 v1, 0
	global_load_b32 v68, v1, s[8:9] offset:4
	s_wait_loadcnt 0x0
	v_cmp_eq_u32_e32 vcc_lo, 2, v68
	s_cbranch_vccnz .LBB117_442
; %bb.441:
	v_lshlrev_b32_e32 v68, 4, v68
	s_delay_alu instid0(VALU_DEP_1)
	v_mov_b32_e32 v76, v68
	s_clause 0x1
	scratch_load_b128 v[68:71], off, s18
	scratch_load_b128 v[72:75], v76, off offset:-16
	s_wait_loadcnt 0x1
	ds_store_2addr_b64 v0, v[68:69], v[70:71] offset1:1
	s_wait_loadcnt 0x0
	s_clause 0x1
	scratch_store_b128 off, v[72:75], s18
	scratch_store_b128 v76, v[68:71], off offset:-16
.LBB117_442:
	global_load_b32 v1, v1, s[8:9]
	s_wait_loadcnt 0x0
	v_cmp_eq_u32_e32 vcc_lo, 1, v1
	s_cbranch_vccnz .LBB117_444
; %bb.443:
	s_wait_xcnt 0x0
	v_lshlrev_b32_e32 v1, 4, v1
	scratch_load_b128 v[68:71], off, off
	scratch_load_b128 v[72:75], v1, off offset:-16
	s_wait_loadcnt 0x1
	ds_store_2addr_b64 v0, v[68:69], v[70:71] offset1:1
	s_wait_loadcnt 0x0
	scratch_store_b128 off, v[72:75], off
	scratch_store_b128 v1, v[68:71], off offset:-16
.LBB117_444:
	scratch_load_b128 v[68:71], off, off
	s_wait_loadcnt 0x0
	flat_store_b128 v[16:17], v[68:71]
	scratch_load_b128 v[68:71], off, s18
	s_wait_loadcnt 0x0
	flat_store_b128 v[18:19], v[68:71]
	scratch_load_b128 v[16:19], off, s16
	s_wait_loadcnt 0x0
	flat_store_b128 v[164:165], v[16:19]
	scratch_load_b128 v[16:19], off, s14
	s_wait_loadcnt 0x0
	flat_store_b128 v[162:163], v[16:19]
	scratch_load_b128 v[16:19], off, s12
	s_wait_loadcnt 0x0
	flat_store_b128 v[160:161], v[16:19]
	scratch_load_b128 v[16:19], off, s65
	s_wait_loadcnt 0x0
	flat_store_b128 v[158:159], v[16:19]
	scratch_load_b128 v[16:19], off, s64
	s_wait_loadcnt 0x0
	flat_store_b128 v[156:157], v[16:19]
	scratch_load_b128 v[16:19], off, s63
	s_wait_loadcnt 0x0
	flat_store_b128 v[154:155], v[16:19]
	scratch_load_b128 v[16:19], off, s62
	s_wait_loadcnt 0x0
	flat_store_b128 v[152:153], v[16:19]
	scratch_load_b128 v[16:19], off, s61
	s_wait_loadcnt 0x0
	flat_store_b128 v[150:151], v[16:19]
	scratch_load_b128 v[16:19], off, s60
	s_wait_loadcnt 0x0
	flat_store_b128 v[148:149], v[16:19]
	scratch_load_b128 v[16:19], off, s59
	s_wait_loadcnt 0x0
	flat_store_b128 v[146:147], v[16:19]
	scratch_load_b128 v[16:19], off, s58
	s_wait_loadcnt 0x0
	flat_store_b128 v[144:145], v[16:19]
	scratch_load_b128 v[16:19], off, s57
	s_wait_loadcnt 0x0
	flat_store_b128 v[142:143], v[16:19]
	scratch_load_b128 v[16:19], off, s56
	s_wait_loadcnt 0x0
	flat_store_b128 v[140:141], v[16:19]
	scratch_load_b128 v[16:19], off, s55
	s_wait_loadcnt 0x0
	flat_store_b128 v[138:139], v[16:19]
	scratch_load_b128 v[16:19], off, s54
	s_wait_loadcnt 0x0
	flat_store_b128 v[136:137], v[16:19]
	scratch_load_b128 v[16:19], off, s53
	s_wait_loadcnt 0x0
	flat_store_b128 v[134:135], v[16:19]
	scratch_load_b128 v[16:19], off, s52
	s_wait_loadcnt 0x0
	flat_store_b128 v[130:131], v[16:19]
	scratch_load_b128 v[16:19], off, s51
	s_wait_loadcnt 0x0
	flat_store_b128 v[128:129], v[16:19]
	scratch_load_b128 v[16:19], off, s50
	s_wait_loadcnt 0x0
	flat_store_b128 v[126:127], v[16:19]
	scratch_load_b128 v[16:19], off, s49
	s_wait_loadcnt 0x0
	flat_store_b128 v[124:125], v[16:19]
	scratch_load_b128 v[16:19], off, s48
	s_wait_loadcnt 0x0
	flat_store_b128 v[58:59], v[16:19]
	scratch_load_b128 v[16:19], off, s47
	s_wait_loadcnt 0x0
	flat_store_b128 v[54:55], v[16:19]
	scratch_load_b128 v[16:19], off, s46
	s_wait_loadcnt 0x0
	flat_store_b128 v[132:133], v[16:19]
	scratch_load_b128 v[16:19], off, s45
	s_wait_loadcnt 0x0
	flat_store_b128 v[66:67], v[16:19]
	scratch_load_b128 v[16:19], off, s44
	s_wait_loadcnt 0x0
	flat_store_b128 v[64:65], v[16:19]
	scratch_load_b128 v[16:19], off, s43
	s_wait_loadcnt 0x0
	flat_store_b128 v[62:63], v[16:19]
	scratch_load_b128 v[16:19], off, s42
	s_wait_loadcnt 0x0
	flat_store_b128 v[60:61], v[16:19]
	scratch_load_b128 v[16:19], off, s41
	s_wait_loadcnt 0x0
	flat_store_b128 v[56:57], v[16:19]
	scratch_load_b128 v[16:19], off, s40
	s_wait_loadcnt 0x0
	flat_store_b128 v[52:53], v[16:19]
	scratch_load_b128 v[16:19], off, s39
	s_wait_loadcnt 0x0
	flat_store_b128 v[50:51], v[16:19]
	scratch_load_b128 v[16:19], off, s38
	s_wait_loadcnt 0x0
	flat_store_b128 v[48:49], v[16:19]
	scratch_load_b128 v[16:19], off, s37
	s_wait_loadcnt 0x0
	flat_store_b128 v[46:47], v[16:19]
	scratch_load_b128 v[16:19], off, s36
	s_wait_loadcnt 0x0
	flat_store_b128 v[44:45], v[16:19]
	scratch_load_b128 v[16:19], off, s35
	s_wait_loadcnt 0x0
	flat_store_b128 v[42:43], v[16:19]
	scratch_load_b128 v[16:19], off, s34
	s_wait_loadcnt 0x0
	flat_store_b128 v[40:41], v[16:19]
	scratch_load_b128 v[16:19], off, s33
	s_wait_loadcnt 0x0
	flat_store_b128 v[38:39], v[16:19]
	scratch_load_b128 v[16:19], off, s31
	s_wait_loadcnt 0x0
	flat_store_b128 v[36:37], v[16:19]
	scratch_load_b128 v[16:19], off, s30
	s_wait_loadcnt 0x0
	flat_store_b128 v[34:35], v[16:19]
	scratch_load_b128 v[16:19], off, s29
	s_wait_loadcnt 0x0
	flat_store_b128 v[32:33], v[16:19]
	scratch_load_b128 v[16:19], off, s28
	s_wait_loadcnt 0x0
	flat_store_b128 v[30:31], v[16:19]
	scratch_load_b128 v[16:19], off, s27
	s_wait_loadcnt 0x0
	flat_store_b128 v[28:29], v[16:19]
	scratch_load_b128 v[16:19], off, s26
	s_wait_loadcnt 0x0
	flat_store_b128 v[26:27], v[16:19]
	scratch_load_b128 v[16:19], off, s25
	s_wait_loadcnt 0x0
	flat_store_b128 v[24:25], v[16:19]
	scratch_load_b128 v[16:19], off, s24
	s_wait_loadcnt 0x0
	flat_store_b128 v[22:23], v[16:19]
	scratch_load_b128 v[16:19], off, s23
	s_wait_loadcnt 0x0
	flat_store_b128 v[20:21], v[16:19]
	scratch_load_b128 v[16:19], off, s22
	s_wait_loadcnt 0x0
	flat_store_b128 v[14:15], v[16:19]
	scratch_load_b128 v[14:17], off, s21
	s_wait_loadcnt 0x0
	flat_store_b128 v[12:13], v[14:17]
	scratch_load_b128 v[12:15], off, s20
	s_wait_loadcnt 0x0
	flat_store_b128 v[10:11], v[12:15]
	scratch_load_b128 v[10:13], off, s19
	s_wait_loadcnt 0x0
	flat_store_b128 v[8:9], v[10:13]
	scratch_load_b128 v[8:11], off, s17
	s_wait_loadcnt 0x0
	flat_store_b128 v[6:7], v[8:11]
	scratch_load_b128 v[6:9], off, s15
	s_wait_loadcnt 0x0
	flat_store_b128 v[4:5], v[6:9]
	scratch_load_b128 v[4:7], off, s13
	s_wait_loadcnt 0x0
	flat_store_b128 v[2:3], v[4:7]
	s_sendmsg sendmsg(MSG_DEALLOC_VGPRS)
	s_endpgm
	.section	.rodata,"a",@progbits
	.p2align	6, 0x0
	.amdhsa_kernel _ZN9rocsolver6v33100L18getri_kernel_smallILi54E19rocblas_complex_numIdEPKPS3_EEvT1_iilPiilS8_bb
		.amdhsa_group_segment_fixed_size 2760
		.amdhsa_private_segment_fixed_size 880
		.amdhsa_kernarg_size 60
		.amdhsa_user_sgpr_count 4
		.amdhsa_user_sgpr_dispatch_ptr 1
		.amdhsa_user_sgpr_queue_ptr 0
		.amdhsa_user_sgpr_kernarg_segment_ptr 1
		.amdhsa_user_sgpr_dispatch_id 0
		.amdhsa_user_sgpr_kernarg_preload_length 0
		.amdhsa_user_sgpr_kernarg_preload_offset 0
		.amdhsa_user_sgpr_private_segment_size 0
		.amdhsa_wavefront_size32 1
		.amdhsa_uses_dynamic_stack 0
		.amdhsa_enable_private_segment 1
		.amdhsa_system_sgpr_workgroup_id_x 1
		.amdhsa_system_sgpr_workgroup_id_y 0
		.amdhsa_system_sgpr_workgroup_id_z 0
		.amdhsa_system_sgpr_workgroup_info 0
		.amdhsa_system_vgpr_workitem_id 2
		.amdhsa_next_free_vgpr 190
		.amdhsa_next_free_sgpr 91
		.amdhsa_named_barrier_count 0
		.amdhsa_reserve_vcc 1
		.amdhsa_float_round_mode_32 0
		.amdhsa_float_round_mode_16_64 0
		.amdhsa_float_denorm_mode_32 3
		.amdhsa_float_denorm_mode_16_64 3
		.amdhsa_fp16_overflow 0
		.amdhsa_memory_ordered 1
		.amdhsa_forward_progress 1
		.amdhsa_inst_pref_size 255
		.amdhsa_round_robin_scheduling 0
		.amdhsa_exception_fp_ieee_invalid_op 0
		.amdhsa_exception_fp_denorm_src 0
		.amdhsa_exception_fp_ieee_div_zero 0
		.amdhsa_exception_fp_ieee_overflow 0
		.amdhsa_exception_fp_ieee_underflow 0
		.amdhsa_exception_fp_ieee_inexact 0
		.amdhsa_exception_int_div_zero 0
	.end_amdhsa_kernel
	.section	.text._ZN9rocsolver6v33100L18getri_kernel_smallILi54E19rocblas_complex_numIdEPKPS3_EEvT1_iilPiilS8_bb,"axG",@progbits,_ZN9rocsolver6v33100L18getri_kernel_smallILi54E19rocblas_complex_numIdEPKPS3_EEvT1_iilPiilS8_bb,comdat
.Lfunc_end117:
	.size	_ZN9rocsolver6v33100L18getri_kernel_smallILi54E19rocblas_complex_numIdEPKPS3_EEvT1_iilPiilS8_bb, .Lfunc_end117-_ZN9rocsolver6v33100L18getri_kernel_smallILi54E19rocblas_complex_numIdEPKPS3_EEvT1_iilPiilS8_bb
                                        ; -- End function
	.set _ZN9rocsolver6v33100L18getri_kernel_smallILi54E19rocblas_complex_numIdEPKPS3_EEvT1_iilPiilS8_bb.num_vgpr, 190
	.set _ZN9rocsolver6v33100L18getri_kernel_smallILi54E19rocblas_complex_numIdEPKPS3_EEvT1_iilPiilS8_bb.num_agpr, 0
	.set _ZN9rocsolver6v33100L18getri_kernel_smallILi54E19rocblas_complex_numIdEPKPS3_EEvT1_iilPiilS8_bb.numbered_sgpr, 91
	.set _ZN9rocsolver6v33100L18getri_kernel_smallILi54E19rocblas_complex_numIdEPKPS3_EEvT1_iilPiilS8_bb.num_named_barrier, 0
	.set _ZN9rocsolver6v33100L18getri_kernel_smallILi54E19rocblas_complex_numIdEPKPS3_EEvT1_iilPiilS8_bb.private_seg_size, 880
	.set _ZN9rocsolver6v33100L18getri_kernel_smallILi54E19rocblas_complex_numIdEPKPS3_EEvT1_iilPiilS8_bb.uses_vcc, 1
	.set _ZN9rocsolver6v33100L18getri_kernel_smallILi54E19rocblas_complex_numIdEPKPS3_EEvT1_iilPiilS8_bb.uses_flat_scratch, 1
	.set _ZN9rocsolver6v33100L18getri_kernel_smallILi54E19rocblas_complex_numIdEPKPS3_EEvT1_iilPiilS8_bb.has_dyn_sized_stack, 0
	.set _ZN9rocsolver6v33100L18getri_kernel_smallILi54E19rocblas_complex_numIdEPKPS3_EEvT1_iilPiilS8_bb.has_recursion, 0
	.set _ZN9rocsolver6v33100L18getri_kernel_smallILi54E19rocblas_complex_numIdEPKPS3_EEvT1_iilPiilS8_bb.has_indirect_call, 0
	.section	.AMDGPU.csdata,"",@progbits
; Kernel info:
; codeLenInByte = 107936
; TotalNumSgprs: 93
; NumVgprs: 190
; ScratchSize: 880
; MemoryBound: 0
; FloatMode: 240
; IeeeMode: 1
; LDSByteSize: 2760 bytes/workgroup (compile time only)
; SGPRBlocks: 0
; VGPRBlocks: 11
; NumSGPRsForWavesPerEU: 93
; NumVGPRsForWavesPerEU: 190
; NamedBarCnt: 0
; Occupancy: 5
; WaveLimiterHint : 1
; COMPUTE_PGM_RSRC2:SCRATCH_EN: 1
; COMPUTE_PGM_RSRC2:USER_SGPR: 4
; COMPUTE_PGM_RSRC2:TRAP_HANDLER: 0
; COMPUTE_PGM_RSRC2:TGID_X_EN: 1
; COMPUTE_PGM_RSRC2:TGID_Y_EN: 0
; COMPUTE_PGM_RSRC2:TGID_Z_EN: 0
; COMPUTE_PGM_RSRC2:TIDIG_COMP_CNT: 2
	.section	.text._ZN9rocsolver6v33100L18getri_kernel_smallILi55E19rocblas_complex_numIdEPKPS3_EEvT1_iilPiilS8_bb,"axG",@progbits,_ZN9rocsolver6v33100L18getri_kernel_smallILi55E19rocblas_complex_numIdEPKPS3_EEvT1_iilPiilS8_bb,comdat
	.globl	_ZN9rocsolver6v33100L18getri_kernel_smallILi55E19rocblas_complex_numIdEPKPS3_EEvT1_iilPiilS8_bb ; -- Begin function _ZN9rocsolver6v33100L18getri_kernel_smallILi55E19rocblas_complex_numIdEPKPS3_EEvT1_iilPiilS8_bb
	.p2align	8
	.type	_ZN9rocsolver6v33100L18getri_kernel_smallILi55E19rocblas_complex_numIdEPKPS3_EEvT1_iilPiilS8_bb,@function
_ZN9rocsolver6v33100L18getri_kernel_smallILi55E19rocblas_complex_numIdEPKPS3_EEvT1_iilPiilS8_bb: ; @_ZN9rocsolver6v33100L18getri_kernel_smallILi55E19rocblas_complex_numIdEPKPS3_EEvT1_iilPiilS8_bb
; %bb.0:
	v_and_b32_e32 v1, 0x3ff, v0
	s_mov_b32 s4, exec_lo
	s_delay_alu instid0(VALU_DEP_1)
	v_cmpx_gt_u32_e32 55, v1
	s_cbranch_execz .LBB118_234
; %bb.1:
	s_clause 0x1
	s_load_b32 s16, s[2:3], 0x38
	s_load_b64 s[8:9], s[2:3], 0x0
	s_getreg_b32 s6, hwreg(HW_REG_IB_STS2, 6, 4)
	s_wait_kmcnt 0x0
	s_bitcmp1_b32 s16, 8
	s_cselect_b32 s67, -1, 0
	s_bfe_u32 s4, ttmp6, 0x4000c
	s_and_b32 s5, ttmp6, 15
	s_add_co_i32 s4, s4, 1
	s_delay_alu instid0(SALU_CYCLE_1) | instskip(NEXT) | instid1(SALU_CYCLE_1)
	s_mul_i32 s4, ttmp9, s4
	s_add_co_i32 s5, s5, s4
	s_cmp_eq_u32 s6, 0
	s_cselect_b32 s10, ttmp9, s5
	s_load_b128 s[4:7], s[2:3], 0x28
	s_ashr_i32 s11, s10, 31
	s_delay_alu instid0(SALU_CYCLE_1) | instskip(NEXT) | instid1(SALU_CYCLE_1)
	s_lshl_b64 s[12:13], s[10:11], 3
	s_add_nc_u64 s[8:9], s[8:9], s[12:13]
	s_load_b64 s[14:15], s[8:9], 0x0
	s_wait_xcnt 0x0
	s_bfe_u32 s8, s16, 0x10008
	s_delay_alu instid0(SALU_CYCLE_1)
	s_cmp_eq_u32 s8, 0
                                        ; implicit-def: $sgpr8_sgpr9
	s_cbranch_scc1 .LBB118_3
; %bb.2:
	s_load_b96 s[16:18], s[2:3], 0x18
	s_wait_kmcnt 0x0
	s_mul_u64 s[4:5], s[4:5], s[10:11]
	s_delay_alu instid0(SALU_CYCLE_1) | instskip(SKIP_4) | instid1(SALU_CYCLE_1)
	s_lshl_b64 s[4:5], s[4:5], 2
	s_ashr_i32 s9, s18, 31
	s_mov_b32 s8, s18
	s_add_nc_u64 s[4:5], s[16:17], s[4:5]
	s_lshl_b64 s[8:9], s[8:9], 2
	s_add_nc_u64 s[8:9], s[4:5], s[8:9]
.LBB118_3:
	s_clause 0x1
	s_load_b64 s[12:13], s[2:3], 0x8
	s_load_b32 s68, s[2:3], 0x38
	v_dual_mov_b32 v15, 0 :: v_dual_lshlrev_b32 v14, 4, v1
	s_movk_i32 s69, 0x1f0
	s_movk_i32 s70, 0x200
	;; [unrolled: 1-line block ×16, first 2 shown]
	s_wait_kmcnt 0x0
	s_ashr_i32 s3, s12, 31
	s_mov_b32 s2, s12
	v_add3_u32 v20, s13, s13, v1
	s_lshl_b64 s[2:3], s[2:3], 4
	s_movk_i32 s85, 0x2f0
	s_add_nc_u64 s[4:5], s[14:15], s[2:3]
	s_ashr_i32 s3, s13, 31
	flat_load_b128 v[2:5], v1, s[4:5] scale_offset
	v_add_nc_u64_e32 v[16:17], s[4:5], v[14:15]
	s_mov_b32 s2, s13
	v_add_nc_u32_e32 v22, s13, v20
	s_movk_i32 s86, 0x300
	s_movk_i32 s87, 0x310
	;; [unrolled: 1-line block ×4, first 2 shown]
	v_lshl_add_u64 v[18:19], s[2:3], 4, v[16:17]
	v_add_nc_u32_e32 v24, s13, v22
	s_movk_i32 s90, 0x340
	s_movk_i32 s91, 0x350
	;; [unrolled: 1-line block ×3, first 2 shown]
	s_mov_b32 s18, 16
	v_add_nc_u32_e32 v26, s13, v24
	s_mov_b32 s16, 32
	s_mov_b32 s14, 48
	;; [unrolled: 1-line block ×3, first 2 shown]
	s_movk_i32 s66, 0x50
	v_add_nc_u32_e32 v28, s13, v26
	s_movk_i32 s65, 0x60
	s_movk_i32 s64, 0x70
	s_movk_i32 s63, 0x80
	s_movk_i32 s62, 0x90
	v_add_nc_u32_e32 v30, s13, v28
	s_movk_i32 s61, 0xa0
	s_movk_i32 s60, 0xb0
	s_movk_i32 s59, 0xc0
	;; [unrolled: 5-line block ×6, first 2 shown]
	s_movk_i32 s42, 0x1d0
	v_add_nc_u32_e32 v40, s13, v38
	s_movk_i32 s41, 0x1e0
	s_mov_b32 s40, s69
	s_mov_b32 s39, s70
	s_mov_b32 s38, s71
	v_add_nc_u32_e32 v42, s13, v40
	s_mov_b32 s37, s72
	s_mov_b32 s36, s73
	s_mov_b32 s35, s74
	s_mov_b32 s34, s75
	v_add_nc_u32_e32 v44, s13, v42
	s_mov_b32 s33, s76
	s_mov_b32 s31, s77
	s_mov_b32 s30, s78
	s_mov_b32 s29, s79
	v_add_nc_u32_e32 v46, s13, v44
	s_mov_b32 s28, s80
	s_mov_b32 s27, s81
	s_mov_b32 s26, s82
	s_mov_b32 s25, s83
	v_add_nc_u32_e32 v48, s13, v46
	s_mov_b32 s24, s84
	s_mov_b32 s23, s85
	s_mov_b32 s22, s86
	s_mov_b32 s21, s87
	v_add_nc_u32_e32 v50, s13, v48
	s_mov_b32 s20, s88
	s_mov_b32 s19, s89
	s_mov_b32 s17, s90
	;; [unrolled: 1-line block ×3, first 2 shown]
	v_add_nc_u32_e32 v52, s13, v50
	s_bitcmp0_b32 s68, 0
	s_mov_b32 s3, -1
	s_delay_alu instid0(VALU_DEP_1) | instskip(NEXT) | instid1(VALU_DEP_1)
	v_add_nc_u32_e32 v54, s13, v52
	v_add_nc_u32_e32 v56, s13, v54
	s_delay_alu instid0(VALU_DEP_1) | instskip(NEXT) | instid1(VALU_DEP_1)
	v_add_nc_u32_e32 v58, s13, v56
	v_add_nc_u32_e32 v60, s13, v58
	;; [unrolled: 3-line block ×18, first 2 shown]
	s_mov_b32 s13, s92
	s_wait_loadcnt_dscnt 0x0
	scratch_store_b128 off, v[2:5], off
	flat_load_b128 v[2:5], v[18:19]
	s_wait_loadcnt_dscnt 0x0
	scratch_store_b128 off, v[2:5], off offset:16
	flat_load_b128 v[2:5], v20, s[4:5] scale_offset
	s_wait_loadcnt_dscnt 0x0
	scratch_store_b128 off, v[2:5], off offset:32
	flat_load_b128 v[2:5], v22, s[4:5] scale_offset
	;; [unrolled: 3-line block ×53, first 2 shown]
	s_wait_loadcnt_dscnt 0x0
	scratch_store_b128 off, v[2:5], off offset:864
	s_cbranch_scc1 .LBB118_232
; %bb.4:
	v_cmp_eq_u32_e64 s2, 0, v1
	s_wait_xcnt 0x0
	s_and_saveexec_b32 s3, s2
; %bb.5:
	v_mov_b32_e32 v2, 0
	ds_store_b32 v2, v2 offset:1760
; %bb.6:
	s_or_b32 exec_lo, exec_lo, s3
	s_wait_storecnt_dscnt 0x0
	s_barrier_signal -1
	s_barrier_wait -1
	scratch_load_b128 v[2:5], v1, off scale_offset
	s_wait_loadcnt 0x0
	v_cmp_eq_f64_e32 vcc_lo, 0, v[2:3]
	v_cmp_eq_f64_e64 s3, 0, v[4:5]
	s_and_b32 s3, vcc_lo, s3
	s_delay_alu instid0(SALU_CYCLE_1)
	s_and_saveexec_b32 s68, s3
	s_cbranch_execz .LBB118_10
; %bb.7:
	v_mov_b32_e32 v2, 0
	s_mov_b32 s69, 0
	ds_load_b32 v3, v2 offset:1760
	s_wait_dscnt 0x0
	v_readfirstlane_b32 s3, v3
	v_add_nc_u32_e32 v3, 1, v1
	s_cmp_eq_u32 s3, 0
	s_delay_alu instid0(VALU_DEP_1) | instskip(SKIP_1) | instid1(SALU_CYCLE_1)
	v_cmp_gt_i32_e32 vcc_lo, s3, v3
	s_cselect_b32 s70, -1, 0
	s_or_b32 s70, s70, vcc_lo
	s_delay_alu instid0(SALU_CYCLE_1)
	s_and_b32 exec_lo, exec_lo, s70
	s_cbranch_execz .LBB118_10
; %bb.8:
	v_mov_b32_e32 v4, s3
.LBB118_9:                              ; =>This Inner Loop Header: Depth=1
	ds_cmpstore_rtn_b32 v4, v2, v3, v4 offset:1760
	s_wait_dscnt 0x0
	v_cmp_ne_u32_e32 vcc_lo, 0, v4
	v_cmp_le_i32_e64 s3, v4, v3
	s_and_b32 s3, vcc_lo, s3
	s_delay_alu instid0(SALU_CYCLE_1) | instskip(NEXT) | instid1(SALU_CYCLE_1)
	s_and_b32 s3, exec_lo, s3
	s_or_b32 s69, s3, s69
	s_delay_alu instid0(SALU_CYCLE_1)
	s_and_not1_b32 exec_lo, exec_lo, s69
	s_cbranch_execnz .LBB118_9
.LBB118_10:
	s_or_b32 exec_lo, exec_lo, s68
	v_mov_b32_e32 v2, 0
	s_barrier_signal -1
	s_barrier_wait -1
	ds_load_b32 v3, v2 offset:1760
	s_and_saveexec_b32 s3, s2
	s_cbranch_execz .LBB118_12
; %bb.11:
	s_lshl_b64 s[68:69], s[10:11], 2
	s_delay_alu instid0(SALU_CYCLE_1)
	s_add_nc_u64 s[68:69], s[6:7], s[68:69]
	s_wait_dscnt 0x0
	global_store_b32 v2, v3, s[68:69]
.LBB118_12:
	s_wait_xcnt 0x0
	s_or_b32 exec_lo, exec_lo, s3
	s_wait_dscnt 0x0
	v_cmp_ne_u32_e32 vcc_lo, 0, v3
	s_mov_b32 s3, 0
	s_cbranch_vccnz .LBB118_232
; %bb.13:
	v_lshl_add_u32 v15, v1, 4, 0
                                        ; implicit-def: $vgpr6_vgpr7
                                        ; implicit-def: $vgpr10_vgpr11
	scratch_load_b128 v[2:5], v15, off
	s_wait_loadcnt 0x0
	v_cmp_ngt_f64_e64 s3, |v[2:3]|, |v[4:5]|
	s_wait_xcnt 0x0
	s_and_saveexec_b32 s68, s3
	s_delay_alu instid0(SALU_CYCLE_1)
	s_xor_b32 s3, exec_lo, s68
	s_cbranch_execz .LBB118_15
; %bb.14:
	v_div_scale_f64 v[6:7], null, v[4:5], v[4:5], v[2:3]
	v_div_scale_f64 v[12:13], vcc_lo, v[2:3], v[4:5], v[2:3]
	s_delay_alu instid0(VALU_DEP_2) | instskip(SKIP_1) | instid1(TRANS32_DEP_1)
	v_rcp_f64_e32 v[8:9], v[6:7]
	v_nop
	v_fma_f64 v[10:11], -v[6:7], v[8:9], 1.0
	s_delay_alu instid0(VALU_DEP_1) | instskip(NEXT) | instid1(VALU_DEP_1)
	v_fmac_f64_e32 v[8:9], v[8:9], v[10:11]
	v_fma_f64 v[10:11], -v[6:7], v[8:9], 1.0
	s_delay_alu instid0(VALU_DEP_1) | instskip(NEXT) | instid1(VALU_DEP_1)
	v_fmac_f64_e32 v[8:9], v[8:9], v[10:11]
	v_mul_f64_e32 v[10:11], v[12:13], v[8:9]
	s_delay_alu instid0(VALU_DEP_1) | instskip(NEXT) | instid1(VALU_DEP_1)
	v_fma_f64 v[6:7], -v[6:7], v[10:11], v[12:13]
	v_div_fmas_f64 v[6:7], v[6:7], v[8:9], v[10:11]
	s_delay_alu instid0(VALU_DEP_1) | instskip(NEXT) | instid1(VALU_DEP_1)
	v_div_fixup_f64 v[6:7], v[6:7], v[4:5], v[2:3]
	v_fmac_f64_e32 v[4:5], v[2:3], v[6:7]
	s_delay_alu instid0(VALU_DEP_1) | instskip(SKIP_1) | instid1(VALU_DEP_2)
	v_div_scale_f64 v[2:3], null, v[4:5], v[4:5], 1.0
	v_div_scale_f64 v[12:13], vcc_lo, 1.0, v[4:5], 1.0
	v_rcp_f64_e32 v[8:9], v[2:3]
	v_nop
	s_delay_alu instid0(TRANS32_DEP_1) | instskip(NEXT) | instid1(VALU_DEP_1)
	v_fma_f64 v[10:11], -v[2:3], v[8:9], 1.0
	v_fmac_f64_e32 v[8:9], v[8:9], v[10:11]
	s_delay_alu instid0(VALU_DEP_1) | instskip(NEXT) | instid1(VALU_DEP_1)
	v_fma_f64 v[10:11], -v[2:3], v[8:9], 1.0
	v_fmac_f64_e32 v[8:9], v[8:9], v[10:11]
	s_delay_alu instid0(VALU_DEP_1) | instskip(NEXT) | instid1(VALU_DEP_1)
	v_mul_f64_e32 v[10:11], v[12:13], v[8:9]
	v_fma_f64 v[2:3], -v[2:3], v[10:11], v[12:13]
	s_delay_alu instid0(VALU_DEP_1) | instskip(NEXT) | instid1(VALU_DEP_1)
	v_div_fmas_f64 v[2:3], v[2:3], v[8:9], v[10:11]
	v_div_fixup_f64 v[8:9], v[2:3], v[4:5], 1.0
                                        ; implicit-def: $vgpr2_vgpr3
	s_delay_alu instid0(VALU_DEP_1) | instskip(SKIP_1) | instid1(VALU_DEP_2)
	v_mul_f64_e32 v[6:7], v[6:7], v[8:9]
	v_xor_b32_e32 v9, 0x80000000, v9
	v_xor_b32_e32 v11, 0x80000000, v7
	s_delay_alu instid0(VALU_DEP_3)
	v_mov_b32_e32 v10, v6
.LBB118_15:
	s_and_not1_saveexec_b32 s3, s3
	s_cbranch_execz .LBB118_17
; %bb.16:
	v_div_scale_f64 v[6:7], null, v[2:3], v[2:3], v[4:5]
	v_div_scale_f64 v[12:13], vcc_lo, v[4:5], v[2:3], v[4:5]
	s_delay_alu instid0(VALU_DEP_2) | instskip(SKIP_1) | instid1(TRANS32_DEP_1)
	v_rcp_f64_e32 v[8:9], v[6:7]
	v_nop
	v_fma_f64 v[10:11], -v[6:7], v[8:9], 1.0
	s_delay_alu instid0(VALU_DEP_1) | instskip(NEXT) | instid1(VALU_DEP_1)
	v_fmac_f64_e32 v[8:9], v[8:9], v[10:11]
	v_fma_f64 v[10:11], -v[6:7], v[8:9], 1.0
	s_delay_alu instid0(VALU_DEP_1) | instskip(NEXT) | instid1(VALU_DEP_1)
	v_fmac_f64_e32 v[8:9], v[8:9], v[10:11]
	v_mul_f64_e32 v[10:11], v[12:13], v[8:9]
	s_delay_alu instid0(VALU_DEP_1) | instskip(NEXT) | instid1(VALU_DEP_1)
	v_fma_f64 v[6:7], -v[6:7], v[10:11], v[12:13]
	v_div_fmas_f64 v[6:7], v[6:7], v[8:9], v[10:11]
	s_delay_alu instid0(VALU_DEP_1) | instskip(NEXT) | instid1(VALU_DEP_1)
	v_div_fixup_f64 v[8:9], v[6:7], v[2:3], v[4:5]
	v_fmac_f64_e32 v[2:3], v[4:5], v[8:9]
	s_delay_alu instid0(VALU_DEP_1) | instskip(NEXT) | instid1(VALU_DEP_1)
	v_div_scale_f64 v[4:5], null, v[2:3], v[2:3], 1.0
	v_rcp_f64_e32 v[6:7], v[4:5]
	v_nop
	s_delay_alu instid0(TRANS32_DEP_1) | instskip(NEXT) | instid1(VALU_DEP_1)
	v_fma_f64 v[10:11], -v[4:5], v[6:7], 1.0
	v_fmac_f64_e32 v[6:7], v[6:7], v[10:11]
	s_delay_alu instid0(VALU_DEP_1) | instskip(NEXT) | instid1(VALU_DEP_1)
	v_fma_f64 v[10:11], -v[4:5], v[6:7], 1.0
	v_fmac_f64_e32 v[6:7], v[6:7], v[10:11]
	v_div_scale_f64 v[10:11], vcc_lo, 1.0, v[2:3], 1.0
	s_delay_alu instid0(VALU_DEP_1) | instskip(NEXT) | instid1(VALU_DEP_1)
	v_mul_f64_e32 v[12:13], v[10:11], v[6:7]
	v_fma_f64 v[4:5], -v[4:5], v[12:13], v[10:11]
	s_delay_alu instid0(VALU_DEP_1) | instskip(NEXT) | instid1(VALU_DEP_1)
	v_div_fmas_f64 v[4:5], v[4:5], v[6:7], v[12:13]
	v_div_fixup_f64 v[6:7], v[4:5], v[2:3], 1.0
	s_delay_alu instid0(VALU_DEP_1)
	v_mul_f64_e64 v[8:9], v[8:9], -v[6:7]
	v_xor_b32_e32 v11, 0x80000000, v7
	v_mov_b32_e32 v10, v6
.LBB118_17:
	s_or_b32 exec_lo, exec_lo, s3
	s_clause 0x1
	scratch_store_b128 v15, v[6:9], off
	scratch_load_b128 v[2:5], off, s18
	v_xor_b32_e32 v13, 0x80000000, v9
	v_mov_b32_e32 v12, v8
	s_wait_xcnt 0x1
	v_add_nc_u32_e32 v6, 0x370, v14
	ds_store_b128 v14, v[10:13]
	s_wait_loadcnt 0x0
	ds_store_b128 v14, v[2:5] offset:880
	s_wait_storecnt_dscnt 0x0
	s_barrier_signal -1
	s_barrier_wait -1
	s_wait_xcnt 0x0
	s_and_saveexec_b32 s3, s2
	s_cbranch_execz .LBB118_19
; %bb.18:
	scratch_load_b128 v[2:5], v15, off
	ds_load_b128 v[8:11], v6
	v_mov_b32_e32 v7, 0
	ds_load_b128 v[126:129], v7 offset:16
	s_wait_loadcnt_dscnt 0x1
	v_mul_f64_e32 v[12:13], v[8:9], v[4:5]
	v_mul_f64_e32 v[4:5], v[10:11], v[4:5]
	s_delay_alu instid0(VALU_DEP_2) | instskip(NEXT) | instid1(VALU_DEP_2)
	v_fmac_f64_e32 v[12:13], v[10:11], v[2:3]
	v_fma_f64 v[2:3], v[8:9], v[2:3], -v[4:5]
	s_delay_alu instid0(VALU_DEP_2) | instskip(NEXT) | instid1(VALU_DEP_2)
	v_add_f64_e32 v[8:9], 0, v[12:13]
	v_add_f64_e32 v[2:3], 0, v[2:3]
	s_wait_dscnt 0x0
	s_delay_alu instid0(VALU_DEP_2) | instskip(NEXT) | instid1(VALU_DEP_2)
	v_mul_f64_e32 v[10:11], v[8:9], v[128:129]
	v_mul_f64_e32 v[4:5], v[2:3], v[128:129]
	s_delay_alu instid0(VALU_DEP_2) | instskip(NEXT) | instid1(VALU_DEP_2)
	v_fma_f64 v[2:3], v[2:3], v[126:127], -v[10:11]
	v_fmac_f64_e32 v[4:5], v[8:9], v[126:127]
	scratch_store_b128 off, v[2:5], off offset:16
.LBB118_19:
	s_wait_xcnt 0x0
	s_or_b32 exec_lo, exec_lo, s3
	s_wait_storecnt 0x0
	s_barrier_signal -1
	s_barrier_wait -1
	scratch_load_b128 v[2:5], off, s16
	s_mov_b32 s3, exec_lo
	s_wait_loadcnt 0x0
	ds_store_b128 v6, v[2:5]
	s_wait_dscnt 0x0
	s_barrier_signal -1
	s_barrier_wait -1
	v_cmpx_gt_u32_e32 2, v1
	s_cbranch_execz .LBB118_23
; %bb.20:
	scratch_load_b128 v[2:5], v15, off
	ds_load_b128 v[8:11], v6
	s_wait_loadcnt_dscnt 0x0
	v_mul_f64_e32 v[12:13], v[10:11], v[4:5]
	v_mul_f64_e32 v[126:127], v[8:9], v[4:5]
	s_delay_alu instid0(VALU_DEP_2) | instskip(NEXT) | instid1(VALU_DEP_2)
	v_fma_f64 v[4:5], v[8:9], v[2:3], -v[12:13]
	v_fmac_f64_e32 v[126:127], v[10:11], v[2:3]
	s_delay_alu instid0(VALU_DEP_2) | instskip(NEXT) | instid1(VALU_DEP_2)
	v_add_f64_e32 v[4:5], 0, v[4:5]
	v_add_f64_e32 v[2:3], 0, v[126:127]
	s_and_saveexec_b32 s68, s2
	s_cbranch_execz .LBB118_22
; %bb.21:
	scratch_load_b128 v[8:11], off, off offset:16
	v_mov_b32_e32 v7, 0
	ds_load_b128 v[126:129], v7 offset:896
	s_wait_loadcnt_dscnt 0x0
	v_mul_f64_e32 v[12:13], v[126:127], v[10:11]
	v_mul_f64_e32 v[10:11], v[128:129], v[10:11]
	s_delay_alu instid0(VALU_DEP_2) | instskip(NEXT) | instid1(VALU_DEP_2)
	v_fmac_f64_e32 v[12:13], v[128:129], v[8:9]
	v_fma_f64 v[8:9], v[126:127], v[8:9], -v[10:11]
	s_delay_alu instid0(VALU_DEP_2) | instskip(NEXT) | instid1(VALU_DEP_2)
	v_add_f64_e32 v[2:3], v[2:3], v[12:13]
	v_add_f64_e32 v[4:5], v[4:5], v[8:9]
.LBB118_22:
	s_or_b32 exec_lo, exec_lo, s68
	v_mov_b32_e32 v7, 0
	ds_load_b128 v[8:11], v7 offset:32
	s_wait_dscnt 0x0
	v_mul_f64_e32 v[126:127], v[2:3], v[10:11]
	v_mul_f64_e32 v[12:13], v[4:5], v[10:11]
	s_delay_alu instid0(VALU_DEP_2) | instskip(NEXT) | instid1(VALU_DEP_2)
	v_fma_f64 v[10:11], v[4:5], v[8:9], -v[126:127]
	v_fmac_f64_e32 v[12:13], v[2:3], v[8:9]
	scratch_store_b128 off, v[10:13], off offset:32
.LBB118_23:
	s_wait_xcnt 0x0
	s_or_b32 exec_lo, exec_lo, s3
	s_wait_storecnt 0x0
	s_barrier_signal -1
	s_barrier_wait -1
	scratch_load_b128 v[2:5], off, s14
	v_add_nc_u32_e32 v7, -1, v1
	s_mov_b32 s2, exec_lo
	s_wait_loadcnt 0x0
	ds_store_b128 v6, v[2:5]
	s_wait_dscnt 0x0
	s_barrier_signal -1
	s_barrier_wait -1
	v_cmpx_gt_u32_e32 3, v1
	s_cbranch_execz .LBB118_27
; %bb.24:
	v_dual_mov_b32 v10, v14 :: v_dual_add_nc_u32 v8, -1, v1
	v_mov_b64_e32 v[2:3], 0
	v_mov_b64_e32 v[4:5], 0
	v_add_nc_u32_e32 v9, 0x370, v14
	s_delay_alu instid0(VALU_DEP_4)
	v_or_b32_e32 v10, 8, v10
	s_mov_b32 s3, 0
.LBB118_25:                             ; =>This Inner Loop Header: Depth=1
	scratch_load_b128 v[126:129], v10, off offset:-8
	ds_load_b128 v[130:133], v9
	s_wait_xcnt 0x0
	v_dual_add_nc_u32 v9, 16, v9 :: v_dual_add_nc_u32 v10, 16, v10
	v_add_nc_u32_e32 v8, 1, v8
	s_delay_alu instid0(VALU_DEP_1) | instskip(SKIP_4) | instid1(VALU_DEP_2)
	v_cmp_lt_u32_e32 vcc_lo, 1, v8
	s_or_b32 s3, vcc_lo, s3
	s_wait_loadcnt_dscnt 0x0
	v_mul_f64_e32 v[12:13], v[132:133], v[128:129]
	v_mul_f64_e32 v[128:129], v[130:131], v[128:129]
	v_fma_f64 v[12:13], v[130:131], v[126:127], -v[12:13]
	s_delay_alu instid0(VALU_DEP_2) | instskip(NEXT) | instid1(VALU_DEP_2)
	v_fmac_f64_e32 v[128:129], v[132:133], v[126:127]
	v_add_f64_e32 v[4:5], v[4:5], v[12:13]
	s_delay_alu instid0(VALU_DEP_2)
	v_add_f64_e32 v[2:3], v[2:3], v[128:129]
	s_and_not1_b32 exec_lo, exec_lo, s3
	s_cbranch_execnz .LBB118_25
; %bb.26:
	s_or_b32 exec_lo, exec_lo, s3
	v_mov_b32_e32 v8, 0
	ds_load_b128 v[8:11], v8 offset:48
	s_wait_dscnt 0x0
	v_mul_f64_e32 v[126:127], v[2:3], v[10:11]
	v_mul_f64_e32 v[12:13], v[4:5], v[10:11]
	s_delay_alu instid0(VALU_DEP_2) | instskip(NEXT) | instid1(VALU_DEP_2)
	v_fma_f64 v[10:11], v[4:5], v[8:9], -v[126:127]
	v_fmac_f64_e32 v[12:13], v[2:3], v[8:9]
	scratch_store_b128 off, v[10:13], off offset:48
.LBB118_27:
	s_wait_xcnt 0x0
	s_or_b32 exec_lo, exec_lo, s2
	s_wait_storecnt 0x0
	s_barrier_signal -1
	s_barrier_wait -1
	scratch_load_b128 v[2:5], off, s12
	s_mov_b32 s2, exec_lo
	s_wait_loadcnt 0x0
	ds_store_b128 v6, v[2:5]
	s_wait_dscnt 0x0
	s_barrier_signal -1
	s_barrier_wait -1
	v_cmpx_gt_u32_e32 4, v1
	s_cbranch_execz .LBB118_31
; %bb.28:
	v_dual_mov_b32 v10, v14 :: v_dual_add_nc_u32 v8, -1, v1
	v_mov_b64_e32 v[2:3], 0
	v_mov_b64_e32 v[4:5], 0
	v_add_nc_u32_e32 v9, 0x370, v14
	s_delay_alu instid0(VALU_DEP_4)
	v_or_b32_e32 v10, 8, v10
	s_mov_b32 s3, 0
.LBB118_29:                             ; =>This Inner Loop Header: Depth=1
	scratch_load_b128 v[126:129], v10, off offset:-8
	ds_load_b128 v[130:133], v9
	s_wait_xcnt 0x0
	v_dual_add_nc_u32 v9, 16, v9 :: v_dual_add_nc_u32 v10, 16, v10
	v_add_nc_u32_e32 v8, 1, v8
	s_delay_alu instid0(VALU_DEP_1) | instskip(SKIP_4) | instid1(VALU_DEP_2)
	v_cmp_lt_u32_e32 vcc_lo, 2, v8
	s_or_b32 s3, vcc_lo, s3
	s_wait_loadcnt_dscnt 0x0
	v_mul_f64_e32 v[12:13], v[132:133], v[128:129]
	v_mul_f64_e32 v[128:129], v[130:131], v[128:129]
	v_fma_f64 v[12:13], v[130:131], v[126:127], -v[12:13]
	s_delay_alu instid0(VALU_DEP_2) | instskip(NEXT) | instid1(VALU_DEP_2)
	v_fmac_f64_e32 v[128:129], v[132:133], v[126:127]
	v_add_f64_e32 v[4:5], v[4:5], v[12:13]
	s_delay_alu instid0(VALU_DEP_2)
	v_add_f64_e32 v[2:3], v[2:3], v[128:129]
	s_and_not1_b32 exec_lo, exec_lo, s3
	s_cbranch_execnz .LBB118_29
; %bb.30:
	s_or_b32 exec_lo, exec_lo, s3
	v_mov_b32_e32 v8, 0
	ds_load_b128 v[8:11], v8 offset:64
	s_wait_dscnt 0x0
	v_mul_f64_e32 v[126:127], v[2:3], v[10:11]
	v_mul_f64_e32 v[12:13], v[4:5], v[10:11]
	s_delay_alu instid0(VALU_DEP_2) | instskip(NEXT) | instid1(VALU_DEP_2)
	v_fma_f64 v[10:11], v[4:5], v[8:9], -v[126:127]
	v_fmac_f64_e32 v[12:13], v[2:3], v[8:9]
	scratch_store_b128 off, v[10:13], off offset:64
.LBB118_31:
	s_wait_xcnt 0x0
	s_or_b32 exec_lo, exec_lo, s2
	s_wait_storecnt 0x0
	s_barrier_signal -1
	s_barrier_wait -1
	scratch_load_b128 v[2:5], off, s66
	;; [unrolled: 54-line block ×19, first 2 shown]
	s_mov_b32 s2, exec_lo
	s_wait_loadcnt 0x0
	ds_store_b128 v6, v[2:5]
	s_wait_dscnt 0x0
	s_barrier_signal -1
	s_barrier_wait -1
	v_cmpx_gt_u32_e32 22, v1
	s_cbranch_execz .LBB118_103
; %bb.100:
	v_dual_mov_b32 v10, v14 :: v_dual_add_nc_u32 v8, -1, v1
	v_mov_b64_e32 v[2:3], 0
	v_mov_b64_e32 v[4:5], 0
	v_add_nc_u32_e32 v9, 0x370, v14
	s_delay_alu instid0(VALU_DEP_4)
	v_or_b32_e32 v10, 8, v10
	s_mov_b32 s3, 0
.LBB118_101:                            ; =>This Inner Loop Header: Depth=1
	scratch_load_b128 v[126:129], v10, off offset:-8
	ds_load_b128 v[130:133], v9
	s_wait_xcnt 0x0
	v_dual_add_nc_u32 v9, 16, v9 :: v_dual_add_nc_u32 v10, 16, v10
	v_add_nc_u32_e32 v8, 1, v8
	s_delay_alu instid0(VALU_DEP_1) | instskip(SKIP_4) | instid1(VALU_DEP_2)
	v_cmp_lt_u32_e32 vcc_lo, 20, v8
	s_or_b32 s3, vcc_lo, s3
	s_wait_loadcnt_dscnt 0x0
	v_mul_f64_e32 v[12:13], v[132:133], v[128:129]
	v_mul_f64_e32 v[128:129], v[130:131], v[128:129]
	v_fma_f64 v[12:13], v[130:131], v[126:127], -v[12:13]
	s_delay_alu instid0(VALU_DEP_2) | instskip(NEXT) | instid1(VALU_DEP_2)
	v_fmac_f64_e32 v[128:129], v[132:133], v[126:127]
	v_add_f64_e32 v[4:5], v[4:5], v[12:13]
	s_delay_alu instid0(VALU_DEP_2)
	v_add_f64_e32 v[2:3], v[2:3], v[128:129]
	s_and_not1_b32 exec_lo, exec_lo, s3
	s_cbranch_execnz .LBB118_101
; %bb.102:
	s_or_b32 exec_lo, exec_lo, s3
	v_mov_b32_e32 v8, 0
	ds_load_b128 v[8:11], v8 offset:352
	s_wait_dscnt 0x0
	v_mul_f64_e32 v[126:127], v[2:3], v[10:11]
	v_mul_f64_e32 v[12:13], v[4:5], v[10:11]
	s_delay_alu instid0(VALU_DEP_2) | instskip(NEXT) | instid1(VALU_DEP_2)
	v_fma_f64 v[10:11], v[4:5], v[8:9], -v[126:127]
	v_fmac_f64_e32 v[12:13], v[2:3], v[8:9]
	scratch_store_b128 off, v[10:13], off offset:352
.LBB118_103:
	s_wait_xcnt 0x0
	s_or_b32 exec_lo, exec_lo, s2
	s_wait_storecnt 0x0
	s_barrier_signal -1
	s_barrier_wait -1
	scratch_load_b128 v[2:5], off, s48
	s_mov_b32 s2, exec_lo
	s_wait_loadcnt 0x0
	ds_store_b128 v6, v[2:5]
	s_wait_dscnt 0x0
	s_barrier_signal -1
	s_barrier_wait -1
	v_cmpx_gt_u32_e32 23, v1
	s_cbranch_execz .LBB118_107
; %bb.104:
	v_dual_mov_b32 v10, v14 :: v_dual_add_nc_u32 v8, -1, v1
	v_mov_b64_e32 v[2:3], 0
	v_mov_b64_e32 v[4:5], 0
	v_add_nc_u32_e32 v9, 0x370, v14
	s_delay_alu instid0(VALU_DEP_4)
	v_or_b32_e32 v10, 8, v10
	s_mov_b32 s3, 0
.LBB118_105:                            ; =>This Inner Loop Header: Depth=1
	scratch_load_b128 v[126:129], v10, off offset:-8
	ds_load_b128 v[130:133], v9
	s_wait_xcnt 0x0
	v_dual_add_nc_u32 v9, 16, v9 :: v_dual_add_nc_u32 v10, 16, v10
	v_add_nc_u32_e32 v8, 1, v8
	s_delay_alu instid0(VALU_DEP_1) | instskip(SKIP_4) | instid1(VALU_DEP_2)
	v_cmp_lt_u32_e32 vcc_lo, 21, v8
	s_or_b32 s3, vcc_lo, s3
	s_wait_loadcnt_dscnt 0x0
	v_mul_f64_e32 v[12:13], v[132:133], v[128:129]
	v_mul_f64_e32 v[128:129], v[130:131], v[128:129]
	v_fma_f64 v[12:13], v[130:131], v[126:127], -v[12:13]
	s_delay_alu instid0(VALU_DEP_2) | instskip(NEXT) | instid1(VALU_DEP_2)
	v_fmac_f64_e32 v[128:129], v[132:133], v[126:127]
	v_add_f64_e32 v[4:5], v[4:5], v[12:13]
	s_delay_alu instid0(VALU_DEP_2)
	v_add_f64_e32 v[2:3], v[2:3], v[128:129]
	s_and_not1_b32 exec_lo, exec_lo, s3
	s_cbranch_execnz .LBB118_105
; %bb.106:
	s_or_b32 exec_lo, exec_lo, s3
	v_mov_b32_e32 v8, 0
	ds_load_b128 v[8:11], v8 offset:368
	s_wait_dscnt 0x0
	v_mul_f64_e32 v[126:127], v[2:3], v[10:11]
	v_mul_f64_e32 v[12:13], v[4:5], v[10:11]
	s_delay_alu instid0(VALU_DEP_2) | instskip(NEXT) | instid1(VALU_DEP_2)
	v_fma_f64 v[10:11], v[4:5], v[8:9], -v[126:127]
	v_fmac_f64_e32 v[12:13], v[2:3], v[8:9]
	scratch_store_b128 off, v[10:13], off offset:368
.LBB118_107:
	s_wait_xcnt 0x0
	s_or_b32 exec_lo, exec_lo, s2
	s_wait_storecnt 0x0
	s_barrier_signal -1
	s_barrier_wait -1
	scratch_load_b128 v[2:5], off, s47
	;; [unrolled: 54-line block ×32, first 2 shown]
	s_mov_b32 s2, exec_lo
	s_wait_loadcnt 0x0
	ds_store_b128 v6, v[2:5]
	s_wait_dscnt 0x0
	s_barrier_signal -1
	s_barrier_wait -1
	v_cmpx_ne_u32_e32 54, v1
	s_cbranch_execz .LBB118_231
; %bb.228:
	v_mov_b32_e32 v8, v14
	v_mov_b64_e32 v[2:3], 0
	v_mov_b64_e32 v[4:5], 0
	s_mov_b32 s3, 0
	s_delay_alu instid0(VALU_DEP_3)
	v_or_b32_e32 v8, 8, v8
.LBB118_229:                            ; =>This Inner Loop Header: Depth=1
	scratch_load_b128 v[10:13], v8, off offset:-8
	ds_load_b128 v[126:129], v6
	v_dual_add_nc_u32 v7, 1, v7 :: v_dual_add_nc_u32 v6, 16, v6
	s_wait_xcnt 0x0
	v_add_nc_u32_e32 v8, 16, v8
	s_delay_alu instid0(VALU_DEP_2) | instskip(SKIP_4) | instid1(VALU_DEP_2)
	v_cmp_lt_u32_e32 vcc_lo, 52, v7
	s_or_b32 s3, vcc_lo, s3
	s_wait_loadcnt_dscnt 0x0
	v_mul_f64_e32 v[14:15], v[128:129], v[12:13]
	v_mul_f64_e32 v[12:13], v[126:127], v[12:13]
	v_fma_f64 v[14:15], v[126:127], v[10:11], -v[14:15]
	s_delay_alu instid0(VALU_DEP_2) | instskip(NEXT) | instid1(VALU_DEP_2)
	v_fmac_f64_e32 v[12:13], v[128:129], v[10:11]
	v_add_f64_e32 v[4:5], v[4:5], v[14:15]
	s_delay_alu instid0(VALU_DEP_2)
	v_add_f64_e32 v[2:3], v[2:3], v[12:13]
	s_and_not1_b32 exec_lo, exec_lo, s3
	s_cbranch_execnz .LBB118_229
; %bb.230:
	s_or_b32 exec_lo, exec_lo, s3
	v_mov_b32_e32 v6, 0
	ds_load_b128 v[6:9], v6 offset:864
	s_wait_dscnt 0x0
	v_mul_f64_e32 v[12:13], v[2:3], v[8:9]
	v_mul_f64_e32 v[10:11], v[4:5], v[8:9]
	s_delay_alu instid0(VALU_DEP_2) | instskip(NEXT) | instid1(VALU_DEP_2)
	v_fma_f64 v[8:9], v[4:5], v[6:7], -v[12:13]
	v_fmac_f64_e32 v[10:11], v[2:3], v[6:7]
	scratch_store_b128 off, v[8:11], off offset:864
.LBB118_231:
	s_wait_xcnt 0x0
	s_or_b32 exec_lo, exec_lo, s2
	s_mov_b32 s3, -1
	s_wait_storecnt 0x0
	s_barrier_signal -1
	s_barrier_wait -1
.LBB118_232:
	s_and_b32 vcc_lo, exec_lo, s3
	s_cbranch_vccz .LBB118_234
; %bb.233:
	s_wait_xcnt 0x0
	v_mov_b32_e32 v2, 0
	s_lshl_b64 s[2:3], s[10:11], 2
	s_delay_alu instid0(SALU_CYCLE_1)
	s_add_nc_u64 s[2:3], s[6:7], s[2:3]
	global_load_b32 v2, v2, s[2:3]
	s_wait_loadcnt 0x0
	v_cmp_ne_u32_e32 vcc_lo, 0, v2
	s_cbranch_vccz .LBB118_235
.LBB118_234:
	s_sendmsg sendmsg(MSG_DEALLOC_VGPRS)
	s_endpgm
.LBB118_235:
	v_lshl_add_u32 v126, v1, 4, 0x370
	s_wait_xcnt 0x0
	s_mov_b32 s2, exec_lo
	v_cmpx_eq_u32_e32 54, v1
	s_cbranch_execz .LBB118_237
; %bb.236:
	scratch_load_b128 v[2:5], off, s15
	v_mov_b32_e32 v6, 0
	s_delay_alu instid0(VALU_DEP_1)
	v_dual_mov_b32 v7, v6 :: v_dual_mov_b32 v8, v6
	v_mov_b32_e32 v9, v6
	scratch_store_b128 off, v[6:9], off offset:848
	s_wait_loadcnt 0x0
	ds_store_b128 v126, v[2:5]
.LBB118_237:
	s_wait_xcnt 0x0
	s_or_b32 exec_lo, exec_lo, s2
	s_wait_storecnt_dscnt 0x0
	s_barrier_signal -1
	s_barrier_wait -1
	s_clause 0x1
	scratch_load_b128 v[4:7], off, off offset:864
	scratch_load_b128 v[8:11], off, off offset:848
	v_mov_b32_e32 v2, 0
	s_mov_b32 s2, exec_lo
	ds_load_b128 v[12:15], v2 offset:1744
	s_wait_loadcnt_dscnt 0x100
	v_mul_f64_e32 v[128:129], v[14:15], v[6:7]
	v_mul_f64_e32 v[6:7], v[12:13], v[6:7]
	s_delay_alu instid0(VALU_DEP_2) | instskip(NEXT) | instid1(VALU_DEP_2)
	v_fma_f64 v[12:13], v[12:13], v[4:5], -v[128:129]
	v_fmac_f64_e32 v[6:7], v[14:15], v[4:5]
	s_delay_alu instid0(VALU_DEP_2) | instskip(NEXT) | instid1(VALU_DEP_2)
	v_add_f64_e32 v[4:5], 0, v[12:13]
	v_add_f64_e32 v[6:7], 0, v[6:7]
	s_wait_loadcnt 0x0
	s_delay_alu instid0(VALU_DEP_2) | instskip(NEXT) | instid1(VALU_DEP_2)
	v_add_f64_e64 v[4:5], v[8:9], -v[4:5]
	v_add_f64_e64 v[6:7], v[10:11], -v[6:7]
	scratch_store_b128 off, v[4:7], off offset:848
	s_wait_xcnt 0x0
	v_cmpx_lt_u32_e32 52, v1
	s_cbranch_execz .LBB118_239
; %bb.238:
	scratch_load_b128 v[6:9], off, s17
	v_dual_mov_b32 v3, v2 :: v_dual_mov_b32 v4, v2
	v_mov_b32_e32 v5, v2
	scratch_store_b128 off, v[2:5], off offset:832
	s_wait_loadcnt 0x0
	ds_store_b128 v126, v[6:9]
.LBB118_239:
	s_wait_xcnt 0x0
	s_or_b32 exec_lo, exec_lo, s2
	s_wait_storecnt_dscnt 0x0
	s_barrier_signal -1
	s_barrier_wait -1
	s_clause 0x2
	scratch_load_b128 v[4:7], off, off offset:848
	scratch_load_b128 v[8:11], off, off offset:864
	;; [unrolled: 1-line block ×3, first 2 shown]
	ds_load_b128 v[128:131], v2 offset:1728
	ds_load_b128 v[132:135], v2 offset:1744
	s_mov_b32 s2, exec_lo
	s_wait_loadcnt_dscnt 0x201
	v_mul_f64_e32 v[2:3], v[130:131], v[6:7]
	v_mul_f64_e32 v[6:7], v[128:129], v[6:7]
	s_wait_loadcnt_dscnt 0x100
	v_mul_f64_e32 v[136:137], v[132:133], v[10:11]
	v_mul_f64_e32 v[10:11], v[134:135], v[10:11]
	s_delay_alu instid0(VALU_DEP_4) | instskip(NEXT) | instid1(VALU_DEP_4)
	v_fma_f64 v[2:3], v[128:129], v[4:5], -v[2:3]
	v_fmac_f64_e32 v[6:7], v[130:131], v[4:5]
	s_delay_alu instid0(VALU_DEP_4) | instskip(NEXT) | instid1(VALU_DEP_4)
	v_fmac_f64_e32 v[136:137], v[134:135], v[8:9]
	v_fma_f64 v[4:5], v[132:133], v[8:9], -v[10:11]
	s_delay_alu instid0(VALU_DEP_4) | instskip(NEXT) | instid1(VALU_DEP_4)
	v_add_f64_e32 v[2:3], 0, v[2:3]
	v_add_f64_e32 v[6:7], 0, v[6:7]
	s_delay_alu instid0(VALU_DEP_2) | instskip(NEXT) | instid1(VALU_DEP_2)
	v_add_f64_e32 v[2:3], v[2:3], v[4:5]
	v_add_f64_e32 v[4:5], v[6:7], v[136:137]
	s_wait_loadcnt 0x0
	s_delay_alu instid0(VALU_DEP_2) | instskip(NEXT) | instid1(VALU_DEP_2)
	v_add_f64_e64 v[2:3], v[12:13], -v[2:3]
	v_add_f64_e64 v[4:5], v[14:15], -v[4:5]
	scratch_store_b128 off, v[2:5], off offset:832
	s_wait_xcnt 0x0
	v_cmpx_lt_u32_e32 51, v1
	s_cbranch_execz .LBB118_241
; %bb.240:
	scratch_load_b128 v[2:5], off, s19
	v_mov_b32_e32 v6, 0
	s_delay_alu instid0(VALU_DEP_1)
	v_dual_mov_b32 v7, v6 :: v_dual_mov_b32 v8, v6
	v_mov_b32_e32 v9, v6
	scratch_store_b128 off, v[6:9], off offset:816
	s_wait_loadcnt 0x0
	ds_store_b128 v126, v[2:5]
.LBB118_241:
	s_wait_xcnt 0x0
	s_or_b32 exec_lo, exec_lo, s2
	s_wait_storecnt_dscnt 0x0
	s_barrier_signal -1
	s_barrier_wait -1
	s_clause 0x3
	scratch_load_b128 v[4:7], off, off offset:832
	scratch_load_b128 v[8:11], off, off offset:848
	;; [unrolled: 1-line block ×4, first 2 shown]
	v_mov_b32_e32 v2, 0
	ds_load_b128 v[132:135], v2 offset:1712
	ds_load_b128 v[136:139], v2 offset:1728
	s_mov_b32 s2, exec_lo
	s_wait_loadcnt_dscnt 0x301
	v_mul_f64_e32 v[140:141], v[134:135], v[6:7]
	v_mul_f64_e32 v[142:143], v[132:133], v[6:7]
	s_wait_loadcnt_dscnt 0x200
	v_mul_f64_e32 v[144:145], v[136:137], v[10:11]
	v_mul_f64_e32 v[10:11], v[138:139], v[10:11]
	s_delay_alu instid0(VALU_DEP_4) | instskip(NEXT) | instid1(VALU_DEP_4)
	v_fma_f64 v[132:133], v[132:133], v[4:5], -v[140:141]
	v_fmac_f64_e32 v[142:143], v[134:135], v[4:5]
	ds_load_b128 v[4:7], v2 offset:1744
	v_fmac_f64_e32 v[144:145], v[138:139], v[8:9]
	v_fma_f64 v[8:9], v[136:137], v[8:9], -v[10:11]
	s_wait_loadcnt_dscnt 0x100
	v_mul_f64_e32 v[134:135], v[4:5], v[14:15]
	v_mul_f64_e32 v[14:15], v[6:7], v[14:15]
	v_add_f64_e32 v[10:11], 0, v[132:133]
	v_add_f64_e32 v[132:133], 0, v[142:143]
	s_delay_alu instid0(VALU_DEP_4) | instskip(NEXT) | instid1(VALU_DEP_4)
	v_fmac_f64_e32 v[134:135], v[6:7], v[12:13]
	v_fma_f64 v[4:5], v[4:5], v[12:13], -v[14:15]
	s_delay_alu instid0(VALU_DEP_4) | instskip(NEXT) | instid1(VALU_DEP_4)
	v_add_f64_e32 v[6:7], v[10:11], v[8:9]
	v_add_f64_e32 v[8:9], v[132:133], v[144:145]
	s_delay_alu instid0(VALU_DEP_2) | instskip(NEXT) | instid1(VALU_DEP_2)
	v_add_f64_e32 v[4:5], v[6:7], v[4:5]
	v_add_f64_e32 v[6:7], v[8:9], v[134:135]
	s_wait_loadcnt 0x0
	s_delay_alu instid0(VALU_DEP_2) | instskip(NEXT) | instid1(VALU_DEP_2)
	v_add_f64_e64 v[4:5], v[128:129], -v[4:5]
	v_add_f64_e64 v[6:7], v[130:131], -v[6:7]
	scratch_store_b128 off, v[4:7], off offset:816
	s_wait_xcnt 0x0
	v_cmpx_lt_u32_e32 50, v1
	s_cbranch_execz .LBB118_243
; %bb.242:
	scratch_load_b128 v[6:9], off, s20
	v_dual_mov_b32 v3, v2 :: v_dual_mov_b32 v4, v2
	v_mov_b32_e32 v5, v2
	scratch_store_b128 off, v[2:5], off offset:800
	s_wait_loadcnt 0x0
	ds_store_b128 v126, v[6:9]
.LBB118_243:
	s_wait_xcnt 0x0
	s_or_b32 exec_lo, exec_lo, s2
	s_wait_storecnt_dscnt 0x0
	s_barrier_signal -1
	s_barrier_wait -1
	s_clause 0x4
	scratch_load_b128 v[4:7], off, off offset:816
	scratch_load_b128 v[8:11], off, off offset:832
	;; [unrolled: 1-line block ×5, first 2 shown]
	ds_load_b128 v[136:139], v2 offset:1696
	ds_load_b128 v[140:143], v2 offset:1712
	s_mov_b32 s2, exec_lo
	s_wait_loadcnt_dscnt 0x401
	v_mul_f64_e32 v[144:145], v[138:139], v[6:7]
	v_mul_f64_e32 v[146:147], v[136:137], v[6:7]
	s_wait_loadcnt_dscnt 0x300
	v_mul_f64_e32 v[148:149], v[140:141], v[10:11]
	v_mul_f64_e32 v[10:11], v[142:143], v[10:11]
	s_delay_alu instid0(VALU_DEP_4) | instskip(NEXT) | instid1(VALU_DEP_4)
	v_fma_f64 v[144:145], v[136:137], v[4:5], -v[144:145]
	v_fmac_f64_e32 v[146:147], v[138:139], v[4:5]
	ds_load_b128 v[4:7], v2 offset:1728
	ds_load_b128 v[136:139], v2 offset:1744
	v_fmac_f64_e32 v[148:149], v[142:143], v[8:9]
	v_fma_f64 v[8:9], v[140:141], v[8:9], -v[10:11]
	s_wait_loadcnt_dscnt 0x201
	v_mul_f64_e32 v[2:3], v[4:5], v[14:15]
	v_mul_f64_e32 v[14:15], v[6:7], v[14:15]
	s_wait_loadcnt_dscnt 0x100
	v_mul_f64_e32 v[142:143], v[136:137], v[130:131]
	v_mul_f64_e32 v[130:131], v[138:139], v[130:131]
	v_add_f64_e32 v[10:11], 0, v[144:145]
	v_add_f64_e32 v[140:141], 0, v[146:147]
	v_fmac_f64_e32 v[2:3], v[6:7], v[12:13]
	v_fma_f64 v[4:5], v[4:5], v[12:13], -v[14:15]
	v_fmac_f64_e32 v[142:143], v[138:139], v[128:129]
	v_add_f64_e32 v[6:7], v[10:11], v[8:9]
	v_add_f64_e32 v[8:9], v[140:141], v[148:149]
	v_fma_f64 v[10:11], v[136:137], v[128:129], -v[130:131]
	s_delay_alu instid0(VALU_DEP_3) | instskip(NEXT) | instid1(VALU_DEP_3)
	v_add_f64_e32 v[4:5], v[6:7], v[4:5]
	v_add_f64_e32 v[2:3], v[8:9], v[2:3]
	s_delay_alu instid0(VALU_DEP_2) | instskip(NEXT) | instid1(VALU_DEP_2)
	v_add_f64_e32 v[4:5], v[4:5], v[10:11]
	v_add_f64_e32 v[6:7], v[2:3], v[142:143]
	s_wait_loadcnt 0x0
	s_delay_alu instid0(VALU_DEP_2) | instskip(NEXT) | instid1(VALU_DEP_2)
	v_add_f64_e64 v[2:3], v[132:133], -v[4:5]
	v_add_f64_e64 v[4:5], v[134:135], -v[6:7]
	scratch_store_b128 off, v[2:5], off offset:800
	s_wait_xcnt 0x0
	v_cmpx_lt_u32_e32 49, v1
	s_cbranch_execz .LBB118_245
; %bb.244:
	scratch_load_b128 v[2:5], off, s21
	v_mov_b32_e32 v6, 0
	s_delay_alu instid0(VALU_DEP_1)
	v_dual_mov_b32 v7, v6 :: v_dual_mov_b32 v8, v6
	v_mov_b32_e32 v9, v6
	scratch_store_b128 off, v[6:9], off offset:784
	s_wait_loadcnt 0x0
	ds_store_b128 v126, v[2:5]
.LBB118_245:
	s_wait_xcnt 0x0
	s_or_b32 exec_lo, exec_lo, s2
	s_wait_storecnt_dscnt 0x0
	s_barrier_signal -1
	s_barrier_wait -1
	s_clause 0x5
	scratch_load_b128 v[4:7], off, off offset:800
	scratch_load_b128 v[8:11], off, off offset:816
	;; [unrolled: 1-line block ×6, first 2 shown]
	v_mov_b32_e32 v2, 0
	ds_load_b128 v[140:143], v2 offset:1680
	ds_load_b128 v[144:147], v2 offset:1696
	s_mov_b32 s2, exec_lo
	s_wait_loadcnt_dscnt 0x501
	v_mul_f64_e32 v[148:149], v[142:143], v[6:7]
	v_mul_f64_e32 v[150:151], v[140:141], v[6:7]
	s_wait_loadcnt_dscnt 0x400
	v_mul_f64_e32 v[152:153], v[144:145], v[10:11]
	v_mul_f64_e32 v[10:11], v[146:147], v[10:11]
	s_delay_alu instid0(VALU_DEP_4) | instskip(NEXT) | instid1(VALU_DEP_4)
	v_fma_f64 v[148:149], v[140:141], v[4:5], -v[148:149]
	v_fmac_f64_e32 v[150:151], v[142:143], v[4:5]
	ds_load_b128 v[4:7], v2 offset:1712
	ds_load_b128 v[140:143], v2 offset:1728
	v_fmac_f64_e32 v[152:153], v[146:147], v[8:9]
	v_fma_f64 v[8:9], v[144:145], v[8:9], -v[10:11]
	s_wait_loadcnt_dscnt 0x301
	v_mul_f64_e32 v[154:155], v[4:5], v[14:15]
	v_mul_f64_e32 v[14:15], v[6:7], v[14:15]
	s_wait_loadcnt_dscnt 0x200
	v_mul_f64_e32 v[146:147], v[140:141], v[130:131]
	v_mul_f64_e32 v[130:131], v[142:143], v[130:131]
	v_add_f64_e32 v[10:11], 0, v[148:149]
	v_add_f64_e32 v[144:145], 0, v[150:151]
	v_fmac_f64_e32 v[154:155], v[6:7], v[12:13]
	v_fma_f64 v[12:13], v[4:5], v[12:13], -v[14:15]
	ds_load_b128 v[4:7], v2 offset:1744
	v_fmac_f64_e32 v[146:147], v[142:143], v[128:129]
	v_fma_f64 v[128:129], v[140:141], v[128:129], -v[130:131]
	v_add_f64_e32 v[8:9], v[10:11], v[8:9]
	v_add_f64_e32 v[10:11], v[144:145], v[152:153]
	s_wait_loadcnt_dscnt 0x100
	v_mul_f64_e32 v[14:15], v[4:5], v[134:135]
	v_mul_f64_e32 v[134:135], v[6:7], v[134:135]
	s_delay_alu instid0(VALU_DEP_4) | instskip(NEXT) | instid1(VALU_DEP_4)
	v_add_f64_e32 v[8:9], v[8:9], v[12:13]
	v_add_f64_e32 v[10:11], v[10:11], v[154:155]
	s_delay_alu instid0(VALU_DEP_4) | instskip(NEXT) | instid1(VALU_DEP_4)
	v_fmac_f64_e32 v[14:15], v[6:7], v[132:133]
	v_fma_f64 v[4:5], v[4:5], v[132:133], -v[134:135]
	s_delay_alu instid0(VALU_DEP_4) | instskip(NEXT) | instid1(VALU_DEP_4)
	v_add_f64_e32 v[6:7], v[8:9], v[128:129]
	v_add_f64_e32 v[8:9], v[10:11], v[146:147]
	s_delay_alu instid0(VALU_DEP_2) | instskip(NEXT) | instid1(VALU_DEP_2)
	v_add_f64_e32 v[4:5], v[6:7], v[4:5]
	v_add_f64_e32 v[6:7], v[8:9], v[14:15]
	s_wait_loadcnt 0x0
	s_delay_alu instid0(VALU_DEP_2) | instskip(NEXT) | instid1(VALU_DEP_2)
	v_add_f64_e64 v[4:5], v[136:137], -v[4:5]
	v_add_f64_e64 v[6:7], v[138:139], -v[6:7]
	scratch_store_b128 off, v[4:7], off offset:784
	s_wait_xcnt 0x0
	v_cmpx_lt_u32_e32 48, v1
	s_cbranch_execz .LBB118_247
; %bb.246:
	scratch_load_b128 v[6:9], off, s22
	v_dual_mov_b32 v3, v2 :: v_dual_mov_b32 v4, v2
	v_mov_b32_e32 v5, v2
	scratch_store_b128 off, v[2:5], off offset:768
	s_wait_loadcnt 0x0
	ds_store_b128 v126, v[6:9]
.LBB118_247:
	s_wait_xcnt 0x0
	s_or_b32 exec_lo, exec_lo, s2
	s_wait_storecnt_dscnt 0x0
	s_barrier_signal -1
	s_barrier_wait -1
	s_clause 0x6
	scratch_load_b128 v[4:7], off, off offset:784
	scratch_load_b128 v[8:11], off, off offset:800
	scratch_load_b128 v[12:15], off, off offset:816
	scratch_load_b128 v[128:131], off, off offset:832
	scratch_load_b128 v[132:135], off, off offset:848
	scratch_load_b128 v[136:139], off, off offset:864
	scratch_load_b128 v[140:143], off, off offset:768
	ds_load_b128 v[144:147], v2 offset:1664
	ds_load_b128 v[148:151], v2 offset:1680
	s_mov_b32 s2, exec_lo
	s_wait_loadcnt_dscnt 0x601
	v_mul_f64_e32 v[152:153], v[146:147], v[6:7]
	v_mul_f64_e32 v[154:155], v[144:145], v[6:7]
	s_wait_loadcnt_dscnt 0x500
	v_mul_f64_e32 v[156:157], v[148:149], v[10:11]
	v_mul_f64_e32 v[10:11], v[150:151], v[10:11]
	s_delay_alu instid0(VALU_DEP_4) | instskip(NEXT) | instid1(VALU_DEP_4)
	v_fma_f64 v[152:153], v[144:145], v[4:5], -v[152:153]
	v_fmac_f64_e32 v[154:155], v[146:147], v[4:5]
	ds_load_b128 v[4:7], v2 offset:1696
	ds_load_b128 v[144:147], v2 offset:1712
	v_fmac_f64_e32 v[156:157], v[150:151], v[8:9]
	v_fma_f64 v[8:9], v[148:149], v[8:9], -v[10:11]
	s_wait_loadcnt_dscnt 0x401
	v_mul_f64_e32 v[158:159], v[4:5], v[14:15]
	v_mul_f64_e32 v[14:15], v[6:7], v[14:15]
	s_wait_loadcnt_dscnt 0x300
	v_mul_f64_e32 v[150:151], v[144:145], v[130:131]
	v_mul_f64_e32 v[130:131], v[146:147], v[130:131]
	v_add_f64_e32 v[10:11], 0, v[152:153]
	v_add_f64_e32 v[148:149], 0, v[154:155]
	v_fmac_f64_e32 v[158:159], v[6:7], v[12:13]
	v_fma_f64 v[12:13], v[4:5], v[12:13], -v[14:15]
	v_fmac_f64_e32 v[150:151], v[146:147], v[128:129]
	v_fma_f64 v[128:129], v[144:145], v[128:129], -v[130:131]
	v_add_f64_e32 v[14:15], v[10:11], v[8:9]
	v_add_f64_e32 v[148:149], v[148:149], v[156:157]
	ds_load_b128 v[4:7], v2 offset:1728
	ds_load_b128 v[8:11], v2 offset:1744
	s_wait_loadcnt_dscnt 0x201
	v_mul_f64_e32 v[2:3], v[4:5], v[134:135]
	v_mul_f64_e32 v[134:135], v[6:7], v[134:135]
	s_wait_loadcnt_dscnt 0x100
	v_mul_f64_e32 v[130:131], v[8:9], v[138:139]
	v_mul_f64_e32 v[138:139], v[10:11], v[138:139]
	v_add_f64_e32 v[12:13], v[14:15], v[12:13]
	v_add_f64_e32 v[14:15], v[148:149], v[158:159]
	v_fmac_f64_e32 v[2:3], v[6:7], v[132:133]
	v_fma_f64 v[4:5], v[4:5], v[132:133], -v[134:135]
	v_fmac_f64_e32 v[130:131], v[10:11], v[136:137]
	v_fma_f64 v[8:9], v[8:9], v[136:137], -v[138:139]
	v_add_f64_e32 v[6:7], v[12:13], v[128:129]
	v_add_f64_e32 v[12:13], v[14:15], v[150:151]
	s_delay_alu instid0(VALU_DEP_2) | instskip(NEXT) | instid1(VALU_DEP_2)
	v_add_f64_e32 v[4:5], v[6:7], v[4:5]
	v_add_f64_e32 v[2:3], v[12:13], v[2:3]
	s_delay_alu instid0(VALU_DEP_2) | instskip(NEXT) | instid1(VALU_DEP_2)
	v_add_f64_e32 v[4:5], v[4:5], v[8:9]
	v_add_f64_e32 v[6:7], v[2:3], v[130:131]
	s_wait_loadcnt 0x0
	s_delay_alu instid0(VALU_DEP_2) | instskip(NEXT) | instid1(VALU_DEP_2)
	v_add_f64_e64 v[2:3], v[140:141], -v[4:5]
	v_add_f64_e64 v[4:5], v[142:143], -v[6:7]
	scratch_store_b128 off, v[2:5], off offset:768
	s_wait_xcnt 0x0
	v_cmpx_lt_u32_e32 47, v1
	s_cbranch_execz .LBB118_249
; %bb.248:
	scratch_load_b128 v[2:5], off, s23
	v_mov_b32_e32 v6, 0
	s_delay_alu instid0(VALU_DEP_1)
	v_dual_mov_b32 v7, v6 :: v_dual_mov_b32 v8, v6
	v_mov_b32_e32 v9, v6
	scratch_store_b128 off, v[6:9], off offset:752
	s_wait_loadcnt 0x0
	ds_store_b128 v126, v[2:5]
.LBB118_249:
	s_wait_xcnt 0x0
	s_or_b32 exec_lo, exec_lo, s2
	s_wait_storecnt_dscnt 0x0
	s_barrier_signal -1
	s_barrier_wait -1
	s_clause 0x7
	scratch_load_b128 v[4:7], off, off offset:768
	scratch_load_b128 v[8:11], off, off offset:784
	;; [unrolled: 1-line block ×8, first 2 shown]
	v_mov_b32_e32 v2, 0
	ds_load_b128 v[148:151], v2 offset:1648
	ds_load_b128 v[152:155], v2 offset:1664
	s_mov_b32 s2, exec_lo
	s_wait_loadcnt_dscnt 0x701
	v_mul_f64_e32 v[156:157], v[150:151], v[6:7]
	v_mul_f64_e32 v[158:159], v[148:149], v[6:7]
	s_wait_loadcnt_dscnt 0x600
	v_mul_f64_e32 v[160:161], v[152:153], v[10:11]
	v_mul_f64_e32 v[10:11], v[154:155], v[10:11]
	s_delay_alu instid0(VALU_DEP_4) | instskip(NEXT) | instid1(VALU_DEP_4)
	v_fma_f64 v[156:157], v[148:149], v[4:5], -v[156:157]
	v_fmac_f64_e32 v[158:159], v[150:151], v[4:5]
	ds_load_b128 v[4:7], v2 offset:1680
	ds_load_b128 v[148:151], v2 offset:1696
	v_fmac_f64_e32 v[160:161], v[154:155], v[8:9]
	v_fma_f64 v[8:9], v[152:153], v[8:9], -v[10:11]
	s_wait_loadcnt_dscnt 0x501
	v_mul_f64_e32 v[162:163], v[4:5], v[14:15]
	v_mul_f64_e32 v[14:15], v[6:7], v[14:15]
	s_wait_loadcnt_dscnt 0x400
	v_mul_f64_e32 v[154:155], v[148:149], v[130:131]
	v_mul_f64_e32 v[130:131], v[150:151], v[130:131]
	v_add_f64_e32 v[10:11], 0, v[156:157]
	v_add_f64_e32 v[152:153], 0, v[158:159]
	v_fmac_f64_e32 v[162:163], v[6:7], v[12:13]
	v_fma_f64 v[12:13], v[4:5], v[12:13], -v[14:15]
	v_fmac_f64_e32 v[154:155], v[150:151], v[128:129]
	v_fma_f64 v[128:129], v[148:149], v[128:129], -v[130:131]
	v_add_f64_e32 v[14:15], v[10:11], v[8:9]
	v_add_f64_e32 v[152:153], v[152:153], v[160:161]
	ds_load_b128 v[4:7], v2 offset:1712
	ds_load_b128 v[8:11], v2 offset:1728
	s_wait_loadcnt_dscnt 0x301
	v_mul_f64_e32 v[156:157], v[4:5], v[134:135]
	v_mul_f64_e32 v[134:135], v[6:7], v[134:135]
	s_wait_loadcnt_dscnt 0x200
	v_mul_f64_e32 v[130:131], v[8:9], v[138:139]
	v_mul_f64_e32 v[138:139], v[10:11], v[138:139]
	v_add_f64_e32 v[12:13], v[14:15], v[12:13]
	v_add_f64_e32 v[14:15], v[152:153], v[162:163]
	v_fmac_f64_e32 v[156:157], v[6:7], v[132:133]
	v_fma_f64 v[132:133], v[4:5], v[132:133], -v[134:135]
	ds_load_b128 v[4:7], v2 offset:1744
	v_fmac_f64_e32 v[130:131], v[10:11], v[136:137]
	v_fma_f64 v[8:9], v[8:9], v[136:137], -v[138:139]
	v_add_f64_e32 v[12:13], v[12:13], v[128:129]
	v_add_f64_e32 v[14:15], v[14:15], v[154:155]
	s_wait_loadcnt_dscnt 0x100
	v_mul_f64_e32 v[128:129], v[4:5], v[142:143]
	v_mul_f64_e32 v[134:135], v[6:7], v[142:143]
	s_delay_alu instid0(VALU_DEP_4) | instskip(NEXT) | instid1(VALU_DEP_4)
	v_add_f64_e32 v[10:11], v[12:13], v[132:133]
	v_add_f64_e32 v[12:13], v[14:15], v[156:157]
	s_delay_alu instid0(VALU_DEP_4) | instskip(NEXT) | instid1(VALU_DEP_4)
	v_fmac_f64_e32 v[128:129], v[6:7], v[140:141]
	v_fma_f64 v[4:5], v[4:5], v[140:141], -v[134:135]
	s_delay_alu instid0(VALU_DEP_4) | instskip(NEXT) | instid1(VALU_DEP_4)
	v_add_f64_e32 v[6:7], v[10:11], v[8:9]
	v_add_f64_e32 v[8:9], v[12:13], v[130:131]
	s_delay_alu instid0(VALU_DEP_2) | instskip(NEXT) | instid1(VALU_DEP_2)
	v_add_f64_e32 v[4:5], v[6:7], v[4:5]
	v_add_f64_e32 v[6:7], v[8:9], v[128:129]
	s_wait_loadcnt 0x0
	s_delay_alu instid0(VALU_DEP_2) | instskip(NEXT) | instid1(VALU_DEP_2)
	v_add_f64_e64 v[4:5], v[144:145], -v[4:5]
	v_add_f64_e64 v[6:7], v[146:147], -v[6:7]
	scratch_store_b128 off, v[4:7], off offset:752
	s_wait_xcnt 0x0
	v_cmpx_lt_u32_e32 46, v1
	s_cbranch_execz .LBB118_251
; %bb.250:
	scratch_load_b128 v[6:9], off, s24
	v_dual_mov_b32 v3, v2 :: v_dual_mov_b32 v4, v2
	v_mov_b32_e32 v5, v2
	scratch_store_b128 off, v[2:5], off offset:736
	s_wait_loadcnt 0x0
	ds_store_b128 v126, v[6:9]
.LBB118_251:
	s_wait_xcnt 0x0
	s_or_b32 exec_lo, exec_lo, s2
	s_wait_storecnt_dscnt 0x0
	s_barrier_signal -1
	s_barrier_wait -1
	s_clause 0x7
	scratch_load_b128 v[4:7], off, off offset:752
	scratch_load_b128 v[8:11], off, off offset:768
	;; [unrolled: 1-line block ×8, first 2 shown]
	ds_load_b128 v[148:151], v2 offset:1632
	ds_load_b128 v[152:155], v2 offset:1648
	scratch_load_b128 v[156:159], off, off offset:736
	s_mov_b32 s2, exec_lo
	s_wait_loadcnt_dscnt 0x801
	v_mul_f64_e32 v[160:161], v[150:151], v[6:7]
	v_mul_f64_e32 v[162:163], v[148:149], v[6:7]
	s_wait_loadcnt_dscnt 0x700
	v_mul_f64_e32 v[164:165], v[152:153], v[10:11]
	v_mul_f64_e32 v[10:11], v[154:155], v[10:11]
	s_delay_alu instid0(VALU_DEP_4) | instskip(NEXT) | instid1(VALU_DEP_4)
	v_fma_f64 v[160:161], v[148:149], v[4:5], -v[160:161]
	v_fmac_f64_e32 v[162:163], v[150:151], v[4:5]
	ds_load_b128 v[4:7], v2 offset:1664
	ds_load_b128 v[148:151], v2 offset:1680
	v_fmac_f64_e32 v[164:165], v[154:155], v[8:9]
	v_fma_f64 v[8:9], v[152:153], v[8:9], -v[10:11]
	s_wait_loadcnt_dscnt 0x601
	v_mul_f64_e32 v[166:167], v[4:5], v[14:15]
	v_mul_f64_e32 v[14:15], v[6:7], v[14:15]
	s_wait_loadcnt_dscnt 0x500
	v_mul_f64_e32 v[154:155], v[148:149], v[130:131]
	v_mul_f64_e32 v[130:131], v[150:151], v[130:131]
	v_add_f64_e32 v[10:11], 0, v[160:161]
	v_add_f64_e32 v[152:153], 0, v[162:163]
	v_fmac_f64_e32 v[166:167], v[6:7], v[12:13]
	v_fma_f64 v[12:13], v[4:5], v[12:13], -v[14:15]
	v_fmac_f64_e32 v[154:155], v[150:151], v[128:129]
	v_fma_f64 v[128:129], v[148:149], v[128:129], -v[130:131]
	v_add_f64_e32 v[14:15], v[10:11], v[8:9]
	v_add_f64_e32 v[152:153], v[152:153], v[164:165]
	ds_load_b128 v[4:7], v2 offset:1696
	ds_load_b128 v[8:11], v2 offset:1712
	s_wait_loadcnt_dscnt 0x401
	v_mul_f64_e32 v[160:161], v[4:5], v[134:135]
	v_mul_f64_e32 v[134:135], v[6:7], v[134:135]
	s_wait_loadcnt_dscnt 0x300
	v_mul_f64_e32 v[130:131], v[8:9], v[138:139]
	v_mul_f64_e32 v[138:139], v[10:11], v[138:139]
	v_add_f64_e32 v[12:13], v[14:15], v[12:13]
	v_add_f64_e32 v[14:15], v[152:153], v[166:167]
	v_fmac_f64_e32 v[160:161], v[6:7], v[132:133]
	v_fma_f64 v[132:133], v[4:5], v[132:133], -v[134:135]
	v_fmac_f64_e32 v[130:131], v[10:11], v[136:137]
	v_fma_f64 v[8:9], v[8:9], v[136:137], -v[138:139]
	v_add_f64_e32 v[128:129], v[12:13], v[128:129]
	v_add_f64_e32 v[134:135], v[14:15], v[154:155]
	ds_load_b128 v[4:7], v2 offset:1728
	ds_load_b128 v[12:15], v2 offset:1744
	s_wait_loadcnt_dscnt 0x201
	v_mul_f64_e32 v[2:3], v[4:5], v[142:143]
	v_mul_f64_e32 v[142:143], v[6:7], v[142:143]
	v_add_f64_e32 v[10:11], v[128:129], v[132:133]
	v_add_f64_e32 v[128:129], v[134:135], v[160:161]
	s_wait_loadcnt_dscnt 0x100
	v_mul_f64_e32 v[132:133], v[12:13], v[146:147]
	v_mul_f64_e32 v[134:135], v[14:15], v[146:147]
	v_fmac_f64_e32 v[2:3], v[6:7], v[140:141]
	v_fma_f64 v[4:5], v[4:5], v[140:141], -v[142:143]
	v_add_f64_e32 v[6:7], v[10:11], v[8:9]
	v_add_f64_e32 v[8:9], v[128:129], v[130:131]
	v_fmac_f64_e32 v[132:133], v[14:15], v[144:145]
	v_fma_f64 v[10:11], v[12:13], v[144:145], -v[134:135]
	s_delay_alu instid0(VALU_DEP_4) | instskip(NEXT) | instid1(VALU_DEP_4)
	v_add_f64_e32 v[4:5], v[6:7], v[4:5]
	v_add_f64_e32 v[2:3], v[8:9], v[2:3]
	s_delay_alu instid0(VALU_DEP_2) | instskip(NEXT) | instid1(VALU_DEP_2)
	v_add_f64_e32 v[4:5], v[4:5], v[10:11]
	v_add_f64_e32 v[6:7], v[2:3], v[132:133]
	s_wait_loadcnt 0x0
	s_delay_alu instid0(VALU_DEP_2) | instskip(NEXT) | instid1(VALU_DEP_2)
	v_add_f64_e64 v[2:3], v[156:157], -v[4:5]
	v_add_f64_e64 v[4:5], v[158:159], -v[6:7]
	scratch_store_b128 off, v[2:5], off offset:736
	s_wait_xcnt 0x0
	v_cmpx_lt_u32_e32 45, v1
	s_cbranch_execz .LBB118_253
; %bb.252:
	scratch_load_b128 v[2:5], off, s25
	v_mov_b32_e32 v6, 0
	s_delay_alu instid0(VALU_DEP_1)
	v_dual_mov_b32 v7, v6 :: v_dual_mov_b32 v8, v6
	v_mov_b32_e32 v9, v6
	scratch_store_b128 off, v[6:9], off offset:720
	s_wait_loadcnt 0x0
	ds_store_b128 v126, v[2:5]
.LBB118_253:
	s_wait_xcnt 0x0
	s_or_b32 exec_lo, exec_lo, s2
	s_wait_storecnt_dscnt 0x0
	s_barrier_signal -1
	s_barrier_wait -1
	s_clause 0x8
	scratch_load_b128 v[4:7], off, off offset:736
	scratch_load_b128 v[8:11], off, off offset:752
	;; [unrolled: 1-line block ×9, first 2 shown]
	v_mov_b32_e32 v2, 0
	scratch_load_b128 v[156:159], off, off offset:720
	s_mov_b32 s2, exec_lo
	ds_load_b128 v[152:155], v2 offset:1616
	ds_load_b128 v[160:163], v2 offset:1632
	s_wait_loadcnt_dscnt 0x901
	v_mul_f64_e32 v[164:165], v[154:155], v[6:7]
	v_mul_f64_e32 v[166:167], v[152:153], v[6:7]
	s_wait_loadcnt_dscnt 0x800
	v_mul_f64_e32 v[168:169], v[160:161], v[10:11]
	v_mul_f64_e32 v[10:11], v[162:163], v[10:11]
	s_delay_alu instid0(VALU_DEP_4) | instskip(NEXT) | instid1(VALU_DEP_4)
	v_fma_f64 v[164:165], v[152:153], v[4:5], -v[164:165]
	v_fmac_f64_e32 v[166:167], v[154:155], v[4:5]
	ds_load_b128 v[4:7], v2 offset:1648
	ds_load_b128 v[152:155], v2 offset:1664
	v_fmac_f64_e32 v[168:169], v[162:163], v[8:9]
	v_fma_f64 v[8:9], v[160:161], v[8:9], -v[10:11]
	s_wait_loadcnt_dscnt 0x701
	v_mul_f64_e32 v[170:171], v[4:5], v[14:15]
	v_mul_f64_e32 v[14:15], v[6:7], v[14:15]
	s_wait_loadcnt_dscnt 0x600
	v_mul_f64_e32 v[162:163], v[152:153], v[130:131]
	v_mul_f64_e32 v[130:131], v[154:155], v[130:131]
	v_add_f64_e32 v[10:11], 0, v[164:165]
	v_add_f64_e32 v[160:161], 0, v[166:167]
	v_fmac_f64_e32 v[170:171], v[6:7], v[12:13]
	v_fma_f64 v[12:13], v[4:5], v[12:13], -v[14:15]
	v_fmac_f64_e32 v[162:163], v[154:155], v[128:129]
	v_fma_f64 v[128:129], v[152:153], v[128:129], -v[130:131]
	v_add_f64_e32 v[14:15], v[10:11], v[8:9]
	v_add_f64_e32 v[160:161], v[160:161], v[168:169]
	ds_load_b128 v[4:7], v2 offset:1680
	ds_load_b128 v[8:11], v2 offset:1696
	s_wait_loadcnt_dscnt 0x501
	v_mul_f64_e32 v[164:165], v[4:5], v[134:135]
	v_mul_f64_e32 v[134:135], v[6:7], v[134:135]
	s_wait_loadcnt_dscnt 0x400
	v_mul_f64_e32 v[130:131], v[8:9], v[138:139]
	v_mul_f64_e32 v[138:139], v[10:11], v[138:139]
	v_add_f64_e32 v[12:13], v[14:15], v[12:13]
	v_add_f64_e32 v[14:15], v[160:161], v[170:171]
	v_fmac_f64_e32 v[164:165], v[6:7], v[132:133]
	v_fma_f64 v[132:133], v[4:5], v[132:133], -v[134:135]
	v_fmac_f64_e32 v[130:131], v[10:11], v[136:137]
	v_fma_f64 v[8:9], v[8:9], v[136:137], -v[138:139]
	v_add_f64_e32 v[128:129], v[12:13], v[128:129]
	v_add_f64_e32 v[134:135], v[14:15], v[162:163]
	ds_load_b128 v[4:7], v2 offset:1712
	ds_load_b128 v[12:15], v2 offset:1728
	s_wait_loadcnt_dscnt 0x301
	v_mul_f64_e32 v[152:153], v[4:5], v[142:143]
	v_mul_f64_e32 v[142:143], v[6:7], v[142:143]
	v_add_f64_e32 v[10:11], v[128:129], v[132:133]
	v_add_f64_e32 v[128:129], v[134:135], v[164:165]
	s_wait_loadcnt_dscnt 0x200
	v_mul_f64_e32 v[132:133], v[12:13], v[146:147]
	v_mul_f64_e32 v[134:135], v[14:15], v[146:147]
	v_fmac_f64_e32 v[152:153], v[6:7], v[140:141]
	v_fma_f64 v[136:137], v[4:5], v[140:141], -v[142:143]
	ds_load_b128 v[4:7], v2 offset:1744
	v_add_f64_e32 v[8:9], v[10:11], v[8:9]
	v_add_f64_e32 v[10:11], v[128:129], v[130:131]
	v_fmac_f64_e32 v[132:133], v[14:15], v[144:145]
	v_fma_f64 v[12:13], v[12:13], v[144:145], -v[134:135]
	s_wait_loadcnt_dscnt 0x100
	v_mul_f64_e32 v[128:129], v[4:5], v[150:151]
	v_mul_f64_e32 v[130:131], v[6:7], v[150:151]
	v_add_f64_e32 v[8:9], v[8:9], v[136:137]
	v_add_f64_e32 v[10:11], v[10:11], v[152:153]
	s_delay_alu instid0(VALU_DEP_4) | instskip(NEXT) | instid1(VALU_DEP_4)
	v_fmac_f64_e32 v[128:129], v[6:7], v[148:149]
	v_fma_f64 v[4:5], v[4:5], v[148:149], -v[130:131]
	s_delay_alu instid0(VALU_DEP_4) | instskip(NEXT) | instid1(VALU_DEP_4)
	v_add_f64_e32 v[6:7], v[8:9], v[12:13]
	v_add_f64_e32 v[8:9], v[10:11], v[132:133]
	s_delay_alu instid0(VALU_DEP_2) | instskip(NEXT) | instid1(VALU_DEP_2)
	v_add_f64_e32 v[4:5], v[6:7], v[4:5]
	v_add_f64_e32 v[6:7], v[8:9], v[128:129]
	s_wait_loadcnt 0x0
	s_delay_alu instid0(VALU_DEP_2) | instskip(NEXT) | instid1(VALU_DEP_2)
	v_add_f64_e64 v[4:5], v[156:157], -v[4:5]
	v_add_f64_e64 v[6:7], v[158:159], -v[6:7]
	scratch_store_b128 off, v[4:7], off offset:720
	s_wait_xcnt 0x0
	v_cmpx_lt_u32_e32 44, v1
	s_cbranch_execz .LBB118_255
; %bb.254:
	scratch_load_b128 v[6:9], off, s26
	v_dual_mov_b32 v3, v2 :: v_dual_mov_b32 v4, v2
	v_mov_b32_e32 v5, v2
	scratch_store_b128 off, v[2:5], off offset:704
	s_wait_loadcnt 0x0
	ds_store_b128 v126, v[6:9]
.LBB118_255:
	s_wait_xcnt 0x0
	s_or_b32 exec_lo, exec_lo, s2
	s_wait_storecnt_dscnt 0x0
	s_barrier_signal -1
	s_barrier_wait -1
	s_clause 0x9
	scratch_load_b128 v[4:7], off, off offset:720
	scratch_load_b128 v[8:11], off, off offset:736
	;; [unrolled: 1-line block ×10, first 2 shown]
	ds_load_b128 v[156:159], v2 offset:1600
	ds_load_b128 v[160:163], v2 offset:1616
	scratch_load_b128 v[164:167], off, off offset:704
	s_mov_b32 s2, exec_lo
	s_wait_loadcnt_dscnt 0xa01
	v_mul_f64_e32 v[168:169], v[158:159], v[6:7]
	v_mul_f64_e32 v[170:171], v[156:157], v[6:7]
	s_wait_loadcnt_dscnt 0x900
	v_mul_f64_e32 v[172:173], v[160:161], v[10:11]
	v_mul_f64_e32 v[10:11], v[162:163], v[10:11]
	s_delay_alu instid0(VALU_DEP_4) | instskip(NEXT) | instid1(VALU_DEP_4)
	v_fma_f64 v[168:169], v[156:157], v[4:5], -v[168:169]
	v_fmac_f64_e32 v[170:171], v[158:159], v[4:5]
	ds_load_b128 v[4:7], v2 offset:1632
	ds_load_b128 v[156:159], v2 offset:1648
	v_fmac_f64_e32 v[172:173], v[162:163], v[8:9]
	v_fma_f64 v[8:9], v[160:161], v[8:9], -v[10:11]
	s_wait_loadcnt_dscnt 0x801
	v_mul_f64_e32 v[174:175], v[4:5], v[14:15]
	v_mul_f64_e32 v[14:15], v[6:7], v[14:15]
	s_wait_loadcnt_dscnt 0x700
	v_mul_f64_e32 v[162:163], v[156:157], v[130:131]
	v_mul_f64_e32 v[130:131], v[158:159], v[130:131]
	v_add_f64_e32 v[10:11], 0, v[168:169]
	v_add_f64_e32 v[160:161], 0, v[170:171]
	v_fmac_f64_e32 v[174:175], v[6:7], v[12:13]
	v_fma_f64 v[12:13], v[4:5], v[12:13], -v[14:15]
	v_fmac_f64_e32 v[162:163], v[158:159], v[128:129]
	v_fma_f64 v[128:129], v[156:157], v[128:129], -v[130:131]
	v_add_f64_e32 v[14:15], v[10:11], v[8:9]
	v_add_f64_e32 v[160:161], v[160:161], v[172:173]
	ds_load_b128 v[4:7], v2 offset:1664
	ds_load_b128 v[8:11], v2 offset:1680
	s_wait_loadcnt_dscnt 0x601
	v_mul_f64_e32 v[168:169], v[4:5], v[134:135]
	v_mul_f64_e32 v[134:135], v[6:7], v[134:135]
	s_wait_loadcnt_dscnt 0x500
	v_mul_f64_e32 v[130:131], v[8:9], v[138:139]
	v_mul_f64_e32 v[138:139], v[10:11], v[138:139]
	v_add_f64_e32 v[12:13], v[14:15], v[12:13]
	v_add_f64_e32 v[14:15], v[160:161], v[174:175]
	v_fmac_f64_e32 v[168:169], v[6:7], v[132:133]
	v_fma_f64 v[132:133], v[4:5], v[132:133], -v[134:135]
	v_fmac_f64_e32 v[130:131], v[10:11], v[136:137]
	v_fma_f64 v[8:9], v[8:9], v[136:137], -v[138:139]
	v_add_f64_e32 v[128:129], v[12:13], v[128:129]
	v_add_f64_e32 v[134:135], v[14:15], v[162:163]
	ds_load_b128 v[4:7], v2 offset:1696
	ds_load_b128 v[12:15], v2 offset:1712
	s_wait_loadcnt_dscnt 0x401
	v_mul_f64_e32 v[156:157], v[4:5], v[142:143]
	v_mul_f64_e32 v[142:143], v[6:7], v[142:143]
	v_add_f64_e32 v[10:11], v[128:129], v[132:133]
	v_add_f64_e32 v[128:129], v[134:135], v[168:169]
	s_wait_loadcnt_dscnt 0x300
	v_mul_f64_e32 v[132:133], v[12:13], v[146:147]
	v_mul_f64_e32 v[134:135], v[14:15], v[146:147]
	v_fmac_f64_e32 v[156:157], v[6:7], v[140:141]
	v_fma_f64 v[136:137], v[4:5], v[140:141], -v[142:143]
	v_add_f64_e32 v[138:139], v[10:11], v[8:9]
	v_add_f64_e32 v[128:129], v[128:129], v[130:131]
	ds_load_b128 v[4:7], v2 offset:1728
	ds_load_b128 v[8:11], v2 offset:1744
	v_fmac_f64_e32 v[132:133], v[14:15], v[144:145]
	v_fma_f64 v[12:13], v[12:13], v[144:145], -v[134:135]
	s_wait_loadcnt_dscnt 0x201
	v_mul_f64_e32 v[2:3], v[4:5], v[150:151]
	v_mul_f64_e32 v[130:131], v[6:7], v[150:151]
	s_wait_loadcnt_dscnt 0x100
	v_mul_f64_e32 v[134:135], v[8:9], v[154:155]
	v_add_f64_e32 v[14:15], v[138:139], v[136:137]
	v_add_f64_e32 v[128:129], v[128:129], v[156:157]
	v_mul_f64_e32 v[136:137], v[10:11], v[154:155]
	v_fmac_f64_e32 v[2:3], v[6:7], v[148:149]
	v_fma_f64 v[4:5], v[4:5], v[148:149], -v[130:131]
	v_fmac_f64_e32 v[134:135], v[10:11], v[152:153]
	v_add_f64_e32 v[6:7], v[14:15], v[12:13]
	v_add_f64_e32 v[12:13], v[128:129], v[132:133]
	v_fma_f64 v[8:9], v[8:9], v[152:153], -v[136:137]
	s_delay_alu instid0(VALU_DEP_3) | instskip(NEXT) | instid1(VALU_DEP_3)
	v_add_f64_e32 v[4:5], v[6:7], v[4:5]
	v_add_f64_e32 v[2:3], v[12:13], v[2:3]
	s_delay_alu instid0(VALU_DEP_2) | instskip(NEXT) | instid1(VALU_DEP_2)
	v_add_f64_e32 v[4:5], v[4:5], v[8:9]
	v_add_f64_e32 v[6:7], v[2:3], v[134:135]
	s_wait_loadcnt 0x0
	s_delay_alu instid0(VALU_DEP_2) | instskip(NEXT) | instid1(VALU_DEP_2)
	v_add_f64_e64 v[2:3], v[164:165], -v[4:5]
	v_add_f64_e64 v[4:5], v[166:167], -v[6:7]
	scratch_store_b128 off, v[2:5], off offset:704
	s_wait_xcnt 0x0
	v_cmpx_lt_u32_e32 43, v1
	s_cbranch_execz .LBB118_257
; %bb.256:
	scratch_load_b128 v[2:5], off, s27
	v_mov_b32_e32 v6, 0
	s_delay_alu instid0(VALU_DEP_1)
	v_dual_mov_b32 v7, v6 :: v_dual_mov_b32 v8, v6
	v_mov_b32_e32 v9, v6
	scratch_store_b128 off, v[6:9], off offset:688
	s_wait_loadcnt 0x0
	ds_store_b128 v126, v[2:5]
.LBB118_257:
	s_wait_xcnt 0x0
	s_or_b32 exec_lo, exec_lo, s2
	s_wait_storecnt_dscnt 0x0
	s_barrier_signal -1
	s_barrier_wait -1
	s_clause 0x9
	scratch_load_b128 v[4:7], off, off offset:704
	scratch_load_b128 v[8:11], off, off offset:720
	;; [unrolled: 1-line block ×10, first 2 shown]
	v_mov_b32_e32 v2, 0
	s_mov_b32 s2, exec_lo
	ds_load_b128 v[156:159], v2 offset:1584
	s_clause 0x1
	scratch_load_b128 v[160:163], off, off offset:864
	scratch_load_b128 v[164:167], off, off offset:688
	s_wait_loadcnt_dscnt 0xb00
	v_mul_f64_e32 v[172:173], v[158:159], v[6:7]
	v_mul_f64_e32 v[174:175], v[156:157], v[6:7]
	ds_load_b128 v[168:171], v2 offset:1600
	s_wait_loadcnt_dscnt 0xa00
	v_mul_f64_e32 v[176:177], v[168:169], v[10:11]
	v_mul_f64_e32 v[10:11], v[170:171], v[10:11]
	v_fma_f64 v[172:173], v[156:157], v[4:5], -v[172:173]
	v_fmac_f64_e32 v[174:175], v[158:159], v[4:5]
	ds_load_b128 v[4:7], v2 offset:1616
	ds_load_b128 v[156:159], v2 offset:1632
	s_wait_loadcnt_dscnt 0x901
	v_mul_f64_e32 v[178:179], v[4:5], v[14:15]
	v_mul_f64_e32 v[14:15], v[6:7], v[14:15]
	v_fmac_f64_e32 v[176:177], v[170:171], v[8:9]
	v_fma_f64 v[8:9], v[168:169], v[8:9], -v[10:11]
	s_wait_loadcnt_dscnt 0x800
	v_mul_f64_e32 v[170:171], v[156:157], v[130:131]
	v_mul_f64_e32 v[130:131], v[158:159], v[130:131]
	v_add_f64_e32 v[10:11], 0, v[172:173]
	v_add_f64_e32 v[168:169], 0, v[174:175]
	v_fmac_f64_e32 v[178:179], v[6:7], v[12:13]
	v_fma_f64 v[12:13], v[4:5], v[12:13], -v[14:15]
	v_fmac_f64_e32 v[170:171], v[158:159], v[128:129]
	v_fma_f64 v[128:129], v[156:157], v[128:129], -v[130:131]
	v_add_f64_e32 v[14:15], v[10:11], v[8:9]
	v_add_f64_e32 v[168:169], v[168:169], v[176:177]
	ds_load_b128 v[4:7], v2 offset:1648
	ds_load_b128 v[8:11], v2 offset:1664
	s_wait_loadcnt_dscnt 0x701
	v_mul_f64_e32 v[172:173], v[4:5], v[134:135]
	v_mul_f64_e32 v[134:135], v[6:7], v[134:135]
	s_wait_loadcnt_dscnt 0x600
	v_mul_f64_e32 v[130:131], v[8:9], v[138:139]
	v_mul_f64_e32 v[138:139], v[10:11], v[138:139]
	v_add_f64_e32 v[12:13], v[14:15], v[12:13]
	v_add_f64_e32 v[14:15], v[168:169], v[178:179]
	v_fmac_f64_e32 v[172:173], v[6:7], v[132:133]
	v_fma_f64 v[132:133], v[4:5], v[132:133], -v[134:135]
	v_fmac_f64_e32 v[130:131], v[10:11], v[136:137]
	v_fma_f64 v[8:9], v[8:9], v[136:137], -v[138:139]
	v_add_f64_e32 v[128:129], v[12:13], v[128:129]
	v_add_f64_e32 v[134:135], v[14:15], v[170:171]
	ds_load_b128 v[4:7], v2 offset:1680
	ds_load_b128 v[12:15], v2 offset:1696
	s_wait_loadcnt_dscnt 0x501
	v_mul_f64_e32 v[156:157], v[4:5], v[142:143]
	v_mul_f64_e32 v[142:143], v[6:7], v[142:143]
	v_add_f64_e32 v[10:11], v[128:129], v[132:133]
	v_add_f64_e32 v[128:129], v[134:135], v[172:173]
	s_wait_loadcnt_dscnt 0x400
	v_mul_f64_e32 v[132:133], v[12:13], v[146:147]
	v_mul_f64_e32 v[134:135], v[14:15], v[146:147]
	v_fmac_f64_e32 v[156:157], v[6:7], v[140:141]
	v_fma_f64 v[136:137], v[4:5], v[140:141], -v[142:143]
	v_add_f64_e32 v[138:139], v[10:11], v[8:9]
	v_add_f64_e32 v[128:129], v[128:129], v[130:131]
	ds_load_b128 v[4:7], v2 offset:1712
	ds_load_b128 v[8:11], v2 offset:1728
	v_fmac_f64_e32 v[132:133], v[14:15], v[144:145]
	v_fma_f64 v[12:13], v[12:13], v[144:145], -v[134:135]
	s_wait_loadcnt_dscnt 0x301
	v_mul_f64_e32 v[130:131], v[4:5], v[150:151]
	v_mul_f64_e32 v[140:141], v[6:7], v[150:151]
	s_wait_loadcnt_dscnt 0x200
	v_mul_f64_e32 v[134:135], v[8:9], v[154:155]
	v_add_f64_e32 v[14:15], v[138:139], v[136:137]
	v_add_f64_e32 v[128:129], v[128:129], v[156:157]
	v_mul_f64_e32 v[136:137], v[10:11], v[154:155]
	v_fmac_f64_e32 v[130:131], v[6:7], v[148:149]
	v_fma_f64 v[138:139], v[4:5], v[148:149], -v[140:141]
	ds_load_b128 v[4:7], v2 offset:1744
	v_fmac_f64_e32 v[134:135], v[10:11], v[152:153]
	v_add_f64_e32 v[12:13], v[14:15], v[12:13]
	v_add_f64_e32 v[14:15], v[128:129], v[132:133]
	v_fma_f64 v[8:9], v[8:9], v[152:153], -v[136:137]
	s_wait_loadcnt_dscnt 0x100
	v_mul_f64_e32 v[128:129], v[4:5], v[162:163]
	v_mul_f64_e32 v[132:133], v[6:7], v[162:163]
	v_add_f64_e32 v[10:11], v[12:13], v[138:139]
	v_add_f64_e32 v[12:13], v[14:15], v[130:131]
	s_delay_alu instid0(VALU_DEP_4) | instskip(NEXT) | instid1(VALU_DEP_4)
	v_fmac_f64_e32 v[128:129], v[6:7], v[160:161]
	v_fma_f64 v[4:5], v[4:5], v[160:161], -v[132:133]
	s_delay_alu instid0(VALU_DEP_4) | instskip(NEXT) | instid1(VALU_DEP_4)
	v_add_f64_e32 v[6:7], v[10:11], v[8:9]
	v_add_f64_e32 v[8:9], v[12:13], v[134:135]
	s_delay_alu instid0(VALU_DEP_2) | instskip(NEXT) | instid1(VALU_DEP_2)
	v_add_f64_e32 v[4:5], v[6:7], v[4:5]
	v_add_f64_e32 v[6:7], v[8:9], v[128:129]
	s_wait_loadcnt 0x0
	s_delay_alu instid0(VALU_DEP_2) | instskip(NEXT) | instid1(VALU_DEP_2)
	v_add_f64_e64 v[4:5], v[164:165], -v[4:5]
	v_add_f64_e64 v[6:7], v[166:167], -v[6:7]
	scratch_store_b128 off, v[4:7], off offset:688
	s_wait_xcnt 0x0
	v_cmpx_lt_u32_e32 42, v1
	s_cbranch_execz .LBB118_259
; %bb.258:
	scratch_load_b128 v[6:9], off, s28
	v_dual_mov_b32 v3, v2 :: v_dual_mov_b32 v4, v2
	v_mov_b32_e32 v5, v2
	scratch_store_b128 off, v[2:5], off offset:672
	s_wait_loadcnt 0x0
	ds_store_b128 v126, v[6:9]
.LBB118_259:
	s_wait_xcnt 0x0
	s_or_b32 exec_lo, exec_lo, s2
	s_wait_storecnt_dscnt 0x0
	s_barrier_signal -1
	s_barrier_wait -1
	s_clause 0x9
	scratch_load_b128 v[4:7], off, off offset:688
	scratch_load_b128 v[8:11], off, off offset:704
	scratch_load_b128 v[12:15], off, off offset:720
	scratch_load_b128 v[128:131], off, off offset:736
	scratch_load_b128 v[132:135], off, off offset:752
	scratch_load_b128 v[136:139], off, off offset:768
	scratch_load_b128 v[140:143], off, off offset:784
	scratch_load_b128 v[144:147], off, off offset:800
	scratch_load_b128 v[148:151], off, off offset:816
	scratch_load_b128 v[152:155], off, off offset:832
	ds_load_b128 v[156:159], v2 offset:1568
	ds_load_b128 v[164:167], v2 offset:1584
	s_clause 0x2
	scratch_load_b128 v[160:163], off, off offset:848
	scratch_load_b128 v[168:171], off, off offset:672
	;; [unrolled: 1-line block ×3, first 2 shown]
	s_mov_b32 s2, exec_lo
	s_wait_loadcnt_dscnt 0xc01
	v_mul_f64_e32 v[176:177], v[158:159], v[6:7]
	v_mul_f64_e32 v[178:179], v[156:157], v[6:7]
	s_wait_loadcnt_dscnt 0xb00
	v_mul_f64_e32 v[180:181], v[164:165], v[10:11]
	v_mul_f64_e32 v[10:11], v[166:167], v[10:11]
	s_delay_alu instid0(VALU_DEP_4) | instskip(NEXT) | instid1(VALU_DEP_4)
	v_fma_f64 v[176:177], v[156:157], v[4:5], -v[176:177]
	v_fmac_f64_e32 v[178:179], v[158:159], v[4:5]
	ds_load_b128 v[4:7], v2 offset:1600
	ds_load_b128 v[156:159], v2 offset:1616
	v_fmac_f64_e32 v[180:181], v[166:167], v[8:9]
	v_fma_f64 v[8:9], v[164:165], v[8:9], -v[10:11]
	s_wait_loadcnt_dscnt 0xa01
	v_mul_f64_e32 v[182:183], v[4:5], v[14:15]
	v_mul_f64_e32 v[14:15], v[6:7], v[14:15]
	s_wait_loadcnt_dscnt 0x900
	v_mul_f64_e32 v[166:167], v[156:157], v[130:131]
	v_mul_f64_e32 v[130:131], v[158:159], v[130:131]
	v_add_f64_e32 v[10:11], 0, v[176:177]
	v_add_f64_e32 v[164:165], 0, v[178:179]
	v_fmac_f64_e32 v[182:183], v[6:7], v[12:13]
	v_fma_f64 v[12:13], v[4:5], v[12:13], -v[14:15]
	v_fmac_f64_e32 v[166:167], v[158:159], v[128:129]
	v_fma_f64 v[128:129], v[156:157], v[128:129], -v[130:131]
	v_add_f64_e32 v[14:15], v[10:11], v[8:9]
	v_add_f64_e32 v[164:165], v[164:165], v[180:181]
	ds_load_b128 v[4:7], v2 offset:1632
	ds_load_b128 v[8:11], v2 offset:1648
	s_wait_loadcnt_dscnt 0x801
	v_mul_f64_e32 v[176:177], v[4:5], v[134:135]
	v_mul_f64_e32 v[134:135], v[6:7], v[134:135]
	s_wait_loadcnt_dscnt 0x700
	v_mul_f64_e32 v[130:131], v[8:9], v[138:139]
	v_mul_f64_e32 v[138:139], v[10:11], v[138:139]
	v_add_f64_e32 v[12:13], v[14:15], v[12:13]
	v_add_f64_e32 v[14:15], v[164:165], v[182:183]
	v_fmac_f64_e32 v[176:177], v[6:7], v[132:133]
	v_fma_f64 v[132:133], v[4:5], v[132:133], -v[134:135]
	v_fmac_f64_e32 v[130:131], v[10:11], v[136:137]
	v_fma_f64 v[8:9], v[8:9], v[136:137], -v[138:139]
	v_add_f64_e32 v[128:129], v[12:13], v[128:129]
	v_add_f64_e32 v[134:135], v[14:15], v[166:167]
	ds_load_b128 v[4:7], v2 offset:1664
	ds_load_b128 v[12:15], v2 offset:1680
	s_wait_loadcnt_dscnt 0x601
	v_mul_f64_e32 v[156:157], v[4:5], v[142:143]
	v_mul_f64_e32 v[142:143], v[6:7], v[142:143]
	v_add_f64_e32 v[10:11], v[128:129], v[132:133]
	v_add_f64_e32 v[128:129], v[134:135], v[176:177]
	s_wait_loadcnt_dscnt 0x500
	v_mul_f64_e32 v[132:133], v[12:13], v[146:147]
	v_mul_f64_e32 v[134:135], v[14:15], v[146:147]
	v_fmac_f64_e32 v[156:157], v[6:7], v[140:141]
	v_fma_f64 v[136:137], v[4:5], v[140:141], -v[142:143]
	v_add_f64_e32 v[138:139], v[10:11], v[8:9]
	v_add_f64_e32 v[128:129], v[128:129], v[130:131]
	ds_load_b128 v[4:7], v2 offset:1696
	ds_load_b128 v[8:11], v2 offset:1712
	v_fmac_f64_e32 v[132:133], v[14:15], v[144:145]
	v_fma_f64 v[12:13], v[12:13], v[144:145], -v[134:135]
	s_wait_loadcnt_dscnt 0x401
	v_mul_f64_e32 v[130:131], v[4:5], v[150:151]
	v_mul_f64_e32 v[140:141], v[6:7], v[150:151]
	s_wait_loadcnt_dscnt 0x300
	v_mul_f64_e32 v[134:135], v[8:9], v[154:155]
	v_add_f64_e32 v[14:15], v[138:139], v[136:137]
	v_add_f64_e32 v[128:129], v[128:129], v[156:157]
	v_mul_f64_e32 v[136:137], v[10:11], v[154:155]
	v_fmac_f64_e32 v[130:131], v[6:7], v[148:149]
	v_fma_f64 v[138:139], v[4:5], v[148:149], -v[140:141]
	v_fmac_f64_e32 v[134:135], v[10:11], v[152:153]
	v_add_f64_e32 v[140:141], v[14:15], v[12:13]
	v_add_f64_e32 v[128:129], v[128:129], v[132:133]
	ds_load_b128 v[4:7], v2 offset:1728
	ds_load_b128 v[12:15], v2 offset:1744
	v_fma_f64 v[8:9], v[8:9], v[152:153], -v[136:137]
	s_wait_loadcnt_dscnt 0x201
	v_mul_f64_e32 v[2:3], v[4:5], v[162:163]
	v_mul_f64_e32 v[132:133], v[6:7], v[162:163]
	s_wait_loadcnt_dscnt 0x0
	v_mul_f64_e32 v[136:137], v[14:15], v[174:175]
	v_add_f64_e32 v[10:11], v[140:141], v[138:139]
	v_add_f64_e32 v[128:129], v[128:129], v[130:131]
	v_mul_f64_e32 v[130:131], v[12:13], v[174:175]
	v_fmac_f64_e32 v[2:3], v[6:7], v[160:161]
	v_fma_f64 v[4:5], v[4:5], v[160:161], -v[132:133]
	v_add_f64_e32 v[6:7], v[10:11], v[8:9]
	v_add_f64_e32 v[8:9], v[128:129], v[134:135]
	v_fmac_f64_e32 v[130:131], v[14:15], v[172:173]
	v_fma_f64 v[10:11], v[12:13], v[172:173], -v[136:137]
	s_delay_alu instid0(VALU_DEP_4) | instskip(NEXT) | instid1(VALU_DEP_4)
	v_add_f64_e32 v[4:5], v[6:7], v[4:5]
	v_add_f64_e32 v[2:3], v[8:9], v[2:3]
	s_delay_alu instid0(VALU_DEP_2) | instskip(NEXT) | instid1(VALU_DEP_2)
	v_add_f64_e32 v[4:5], v[4:5], v[10:11]
	v_add_f64_e32 v[6:7], v[2:3], v[130:131]
	s_delay_alu instid0(VALU_DEP_2) | instskip(NEXT) | instid1(VALU_DEP_2)
	v_add_f64_e64 v[2:3], v[168:169], -v[4:5]
	v_add_f64_e64 v[4:5], v[170:171], -v[6:7]
	scratch_store_b128 off, v[2:5], off offset:672
	s_wait_xcnt 0x0
	v_cmpx_lt_u32_e32 41, v1
	s_cbranch_execz .LBB118_261
; %bb.260:
	scratch_load_b128 v[2:5], off, s29
	v_mov_b32_e32 v6, 0
	s_delay_alu instid0(VALU_DEP_1)
	v_dual_mov_b32 v7, v6 :: v_dual_mov_b32 v8, v6
	v_mov_b32_e32 v9, v6
	scratch_store_b128 off, v[6:9], off offset:656
	s_wait_loadcnt 0x0
	ds_store_b128 v126, v[2:5]
.LBB118_261:
	s_wait_xcnt 0x0
	s_or_b32 exec_lo, exec_lo, s2
	s_wait_storecnt_dscnt 0x0
	s_barrier_signal -1
	s_barrier_wait -1
	s_clause 0x9
	scratch_load_b128 v[4:7], off, off offset:672
	scratch_load_b128 v[8:11], off, off offset:688
	;; [unrolled: 1-line block ×10, first 2 shown]
	v_mov_b32_e32 v2, 0
	s_mov_b32 s2, exec_lo
	ds_load_b128 v[156:159], v2 offset:1552
	s_clause 0x2
	scratch_load_b128 v[160:163], off, off offset:832
	scratch_load_b128 v[164:167], off, off offset:656
	;; [unrolled: 1-line block ×3, first 2 shown]
	s_wait_loadcnt_dscnt 0xc00
	v_mul_f64_e32 v[176:177], v[158:159], v[6:7]
	v_mul_f64_e32 v[180:181], v[156:157], v[6:7]
	ds_load_b128 v[168:171], v2 offset:1568
	v_fma_f64 v[184:185], v[156:157], v[4:5], -v[176:177]
	v_fmac_f64_e32 v[180:181], v[158:159], v[4:5]
	ds_load_b128 v[4:7], v2 offset:1584
	s_wait_loadcnt_dscnt 0xb01
	v_mul_f64_e32 v[182:183], v[168:169], v[10:11]
	v_mul_f64_e32 v[10:11], v[170:171], v[10:11]
	scratch_load_b128 v[156:159], off, off offset:864
	ds_load_b128 v[176:179], v2 offset:1600
	s_wait_loadcnt_dscnt 0xb01
	v_mul_f64_e32 v[186:187], v[4:5], v[14:15]
	v_mul_f64_e32 v[14:15], v[6:7], v[14:15]
	v_fmac_f64_e32 v[182:183], v[170:171], v[8:9]
	v_fma_f64 v[8:9], v[168:169], v[8:9], -v[10:11]
	v_add_f64_e32 v[10:11], 0, v[184:185]
	v_add_f64_e32 v[168:169], 0, v[180:181]
	s_wait_loadcnt_dscnt 0xa00
	v_mul_f64_e32 v[170:171], v[176:177], v[130:131]
	v_mul_f64_e32 v[130:131], v[178:179], v[130:131]
	v_fmac_f64_e32 v[186:187], v[6:7], v[12:13]
	v_fma_f64 v[12:13], v[4:5], v[12:13], -v[14:15]
	v_add_f64_e32 v[14:15], v[10:11], v[8:9]
	v_add_f64_e32 v[168:169], v[168:169], v[182:183]
	ds_load_b128 v[4:7], v2 offset:1616
	ds_load_b128 v[8:11], v2 offset:1632
	v_fmac_f64_e32 v[170:171], v[178:179], v[128:129]
	v_fma_f64 v[128:129], v[176:177], v[128:129], -v[130:131]
	s_wait_loadcnt_dscnt 0x901
	v_mul_f64_e32 v[180:181], v[4:5], v[134:135]
	v_mul_f64_e32 v[134:135], v[6:7], v[134:135]
	s_wait_loadcnt_dscnt 0x800
	v_mul_f64_e32 v[130:131], v[8:9], v[138:139]
	v_mul_f64_e32 v[138:139], v[10:11], v[138:139]
	v_add_f64_e32 v[12:13], v[14:15], v[12:13]
	v_add_f64_e32 v[14:15], v[168:169], v[186:187]
	v_fmac_f64_e32 v[180:181], v[6:7], v[132:133]
	v_fma_f64 v[132:133], v[4:5], v[132:133], -v[134:135]
	v_fmac_f64_e32 v[130:131], v[10:11], v[136:137]
	v_fma_f64 v[8:9], v[8:9], v[136:137], -v[138:139]
	v_add_f64_e32 v[128:129], v[12:13], v[128:129]
	v_add_f64_e32 v[134:135], v[14:15], v[170:171]
	ds_load_b128 v[4:7], v2 offset:1648
	ds_load_b128 v[12:15], v2 offset:1664
	s_wait_loadcnt_dscnt 0x701
	v_mul_f64_e32 v[168:169], v[4:5], v[142:143]
	v_mul_f64_e32 v[142:143], v[6:7], v[142:143]
	v_add_f64_e32 v[10:11], v[128:129], v[132:133]
	v_add_f64_e32 v[128:129], v[134:135], v[180:181]
	s_wait_loadcnt_dscnt 0x600
	v_mul_f64_e32 v[132:133], v[12:13], v[146:147]
	v_mul_f64_e32 v[134:135], v[14:15], v[146:147]
	v_fmac_f64_e32 v[168:169], v[6:7], v[140:141]
	v_fma_f64 v[136:137], v[4:5], v[140:141], -v[142:143]
	v_add_f64_e32 v[138:139], v[10:11], v[8:9]
	v_add_f64_e32 v[128:129], v[128:129], v[130:131]
	ds_load_b128 v[4:7], v2 offset:1680
	ds_load_b128 v[8:11], v2 offset:1696
	v_fmac_f64_e32 v[132:133], v[14:15], v[144:145]
	v_fma_f64 v[12:13], v[12:13], v[144:145], -v[134:135]
	s_wait_loadcnt_dscnt 0x501
	v_mul_f64_e32 v[130:131], v[4:5], v[150:151]
	v_mul_f64_e32 v[140:141], v[6:7], v[150:151]
	s_wait_loadcnt_dscnt 0x400
	v_mul_f64_e32 v[134:135], v[8:9], v[154:155]
	v_add_f64_e32 v[14:15], v[138:139], v[136:137]
	v_add_f64_e32 v[128:129], v[128:129], v[168:169]
	v_mul_f64_e32 v[136:137], v[10:11], v[154:155]
	v_fmac_f64_e32 v[130:131], v[6:7], v[148:149]
	v_fma_f64 v[138:139], v[4:5], v[148:149], -v[140:141]
	v_fmac_f64_e32 v[134:135], v[10:11], v[152:153]
	v_add_f64_e32 v[140:141], v[14:15], v[12:13]
	v_add_f64_e32 v[128:129], v[128:129], v[132:133]
	ds_load_b128 v[4:7], v2 offset:1712
	ds_load_b128 v[12:15], v2 offset:1728
	v_fma_f64 v[8:9], v[8:9], v[152:153], -v[136:137]
	s_wait_loadcnt_dscnt 0x301
	v_mul_f64_e32 v[132:133], v[4:5], v[162:163]
	v_mul_f64_e32 v[142:143], v[6:7], v[162:163]
	s_wait_loadcnt_dscnt 0x100
	v_mul_f64_e32 v[136:137], v[14:15], v[174:175]
	v_add_f64_e32 v[10:11], v[140:141], v[138:139]
	v_add_f64_e32 v[128:129], v[128:129], v[130:131]
	v_mul_f64_e32 v[130:131], v[12:13], v[174:175]
	v_fmac_f64_e32 v[132:133], v[6:7], v[160:161]
	v_fma_f64 v[138:139], v[4:5], v[160:161], -v[142:143]
	ds_load_b128 v[4:7], v2 offset:1744
	v_fma_f64 v[12:13], v[12:13], v[172:173], -v[136:137]
	v_add_f64_e32 v[8:9], v[10:11], v[8:9]
	v_add_f64_e32 v[10:11], v[128:129], v[134:135]
	v_fmac_f64_e32 v[130:131], v[14:15], v[172:173]
	s_wait_loadcnt_dscnt 0x0
	v_mul_f64_e32 v[128:129], v[4:5], v[158:159]
	v_mul_f64_e32 v[134:135], v[6:7], v[158:159]
	v_add_f64_e32 v[8:9], v[8:9], v[138:139]
	v_add_f64_e32 v[10:11], v[10:11], v[132:133]
	s_delay_alu instid0(VALU_DEP_4) | instskip(NEXT) | instid1(VALU_DEP_4)
	v_fmac_f64_e32 v[128:129], v[6:7], v[156:157]
	v_fma_f64 v[4:5], v[4:5], v[156:157], -v[134:135]
	s_delay_alu instid0(VALU_DEP_4) | instskip(NEXT) | instid1(VALU_DEP_4)
	v_add_f64_e32 v[6:7], v[8:9], v[12:13]
	v_add_f64_e32 v[8:9], v[10:11], v[130:131]
	s_delay_alu instid0(VALU_DEP_2) | instskip(NEXT) | instid1(VALU_DEP_2)
	v_add_f64_e32 v[4:5], v[6:7], v[4:5]
	v_add_f64_e32 v[6:7], v[8:9], v[128:129]
	s_delay_alu instid0(VALU_DEP_2) | instskip(NEXT) | instid1(VALU_DEP_2)
	v_add_f64_e64 v[4:5], v[164:165], -v[4:5]
	v_add_f64_e64 v[6:7], v[166:167], -v[6:7]
	scratch_store_b128 off, v[4:7], off offset:656
	s_wait_xcnt 0x0
	v_cmpx_lt_u32_e32 40, v1
	s_cbranch_execz .LBB118_263
; %bb.262:
	scratch_load_b128 v[6:9], off, s30
	v_dual_mov_b32 v3, v2 :: v_dual_mov_b32 v4, v2
	v_mov_b32_e32 v5, v2
	scratch_store_b128 off, v[2:5], off offset:640
	s_wait_loadcnt 0x0
	ds_store_b128 v126, v[6:9]
.LBB118_263:
	s_wait_xcnt 0x0
	s_or_b32 exec_lo, exec_lo, s2
	s_wait_storecnt_dscnt 0x0
	s_barrier_signal -1
	s_barrier_wait -1
	s_clause 0x9
	scratch_load_b128 v[4:7], off, off offset:656
	scratch_load_b128 v[8:11], off, off offset:672
	;; [unrolled: 1-line block ×10, first 2 shown]
	ds_load_b128 v[156:159], v2 offset:1536
	ds_load_b128 v[164:167], v2 offset:1552
	s_clause 0x2
	scratch_load_b128 v[160:163], off, off offset:816
	scratch_load_b128 v[168:171], off, off offset:640
	;; [unrolled: 1-line block ×3, first 2 shown]
	s_mov_b32 s2, exec_lo
	s_wait_loadcnt_dscnt 0xc01
	v_mul_f64_e32 v[176:177], v[158:159], v[6:7]
	v_mul_f64_e32 v[180:181], v[156:157], v[6:7]
	s_wait_loadcnt_dscnt 0xb00
	v_mul_f64_e32 v[182:183], v[164:165], v[10:11]
	v_mul_f64_e32 v[10:11], v[166:167], v[10:11]
	s_delay_alu instid0(VALU_DEP_4) | instskip(NEXT) | instid1(VALU_DEP_4)
	v_fma_f64 v[184:185], v[156:157], v[4:5], -v[176:177]
	v_fmac_f64_e32 v[180:181], v[158:159], v[4:5]
	ds_load_b128 v[4:7], v2 offset:1568
	ds_load_b128 v[156:159], v2 offset:1584
	scratch_load_b128 v[176:179], off, off offset:848
	v_fmac_f64_e32 v[182:183], v[166:167], v[8:9]
	v_fma_f64 v[164:165], v[164:165], v[8:9], -v[10:11]
	scratch_load_b128 v[8:11], off, off offset:864
	s_wait_loadcnt_dscnt 0xc01
	v_mul_f64_e32 v[186:187], v[4:5], v[14:15]
	v_mul_f64_e32 v[14:15], v[6:7], v[14:15]
	v_add_f64_e32 v[166:167], 0, v[184:185]
	v_add_f64_e32 v[180:181], 0, v[180:181]
	s_wait_loadcnt_dscnt 0xb00
	v_mul_f64_e32 v[184:185], v[156:157], v[130:131]
	v_mul_f64_e32 v[130:131], v[158:159], v[130:131]
	v_fmac_f64_e32 v[186:187], v[6:7], v[12:13]
	v_fma_f64 v[188:189], v[4:5], v[12:13], -v[14:15]
	ds_load_b128 v[4:7], v2 offset:1600
	ds_load_b128 v[12:15], v2 offset:1616
	v_add_f64_e32 v[164:165], v[166:167], v[164:165]
	v_add_f64_e32 v[166:167], v[180:181], v[182:183]
	v_fmac_f64_e32 v[184:185], v[158:159], v[128:129]
	v_fma_f64 v[128:129], v[156:157], v[128:129], -v[130:131]
	s_wait_loadcnt_dscnt 0xa01
	v_mul_f64_e32 v[180:181], v[4:5], v[134:135]
	v_mul_f64_e32 v[134:135], v[6:7], v[134:135]
	s_wait_loadcnt_dscnt 0x900
	v_mul_f64_e32 v[158:159], v[12:13], v[138:139]
	v_mul_f64_e32 v[138:139], v[14:15], v[138:139]
	v_add_f64_e32 v[130:131], v[164:165], v[188:189]
	v_add_f64_e32 v[156:157], v[166:167], v[186:187]
	v_fmac_f64_e32 v[180:181], v[6:7], v[132:133]
	v_fma_f64 v[132:133], v[4:5], v[132:133], -v[134:135]
	v_fmac_f64_e32 v[158:159], v[14:15], v[136:137]
	v_fma_f64 v[12:13], v[12:13], v[136:137], -v[138:139]
	v_add_f64_e32 v[134:135], v[130:131], v[128:129]
	v_add_f64_e32 v[156:157], v[156:157], v[184:185]
	ds_load_b128 v[4:7], v2 offset:1632
	ds_load_b128 v[128:131], v2 offset:1648
	s_wait_loadcnt_dscnt 0x801
	v_mul_f64_e32 v[164:165], v[4:5], v[142:143]
	v_mul_f64_e32 v[142:143], v[6:7], v[142:143]
	s_wait_loadcnt_dscnt 0x700
	v_mul_f64_e32 v[136:137], v[130:131], v[146:147]
	v_add_f64_e32 v[14:15], v[134:135], v[132:133]
	v_add_f64_e32 v[132:133], v[156:157], v[180:181]
	v_mul_f64_e32 v[134:135], v[128:129], v[146:147]
	v_fmac_f64_e32 v[164:165], v[6:7], v[140:141]
	v_fma_f64 v[138:139], v[4:5], v[140:141], -v[142:143]
	v_fma_f64 v[128:129], v[128:129], v[144:145], -v[136:137]
	v_add_f64_e32 v[140:141], v[14:15], v[12:13]
	v_add_f64_e32 v[132:133], v[132:133], v[158:159]
	ds_load_b128 v[4:7], v2 offset:1664
	ds_load_b128 v[12:15], v2 offset:1680
	v_fmac_f64_e32 v[134:135], v[130:131], v[144:145]
	s_wait_loadcnt_dscnt 0x601
	v_mul_f64_e32 v[142:143], v[4:5], v[150:151]
	v_mul_f64_e32 v[146:147], v[6:7], v[150:151]
	s_wait_loadcnt_dscnt 0x500
	v_mul_f64_e32 v[136:137], v[12:13], v[154:155]
	v_add_f64_e32 v[130:131], v[140:141], v[138:139]
	v_add_f64_e32 v[132:133], v[132:133], v[164:165]
	v_mul_f64_e32 v[138:139], v[14:15], v[154:155]
	v_fmac_f64_e32 v[142:143], v[6:7], v[148:149]
	v_fma_f64 v[140:141], v[4:5], v[148:149], -v[146:147]
	v_fmac_f64_e32 v[136:137], v[14:15], v[152:153]
	v_add_f64_e32 v[144:145], v[130:131], v[128:129]
	v_add_f64_e32 v[132:133], v[132:133], v[134:135]
	ds_load_b128 v[4:7], v2 offset:1696
	ds_load_b128 v[128:131], v2 offset:1712
	v_fma_f64 v[12:13], v[12:13], v[152:153], -v[138:139]
	s_wait_loadcnt_dscnt 0x401
	v_mul_f64_e32 v[134:135], v[4:5], v[162:163]
	v_mul_f64_e32 v[146:147], v[6:7], v[162:163]
	s_wait_loadcnt_dscnt 0x200
	v_mul_f64_e32 v[138:139], v[128:129], v[174:175]
	v_add_f64_e32 v[14:15], v[144:145], v[140:141]
	v_add_f64_e32 v[132:133], v[132:133], v[142:143]
	v_mul_f64_e32 v[140:141], v[130:131], v[174:175]
	v_fmac_f64_e32 v[134:135], v[6:7], v[160:161]
	v_fma_f64 v[142:143], v[4:5], v[160:161], -v[146:147]
	v_fmac_f64_e32 v[138:139], v[130:131], v[172:173]
	v_add_f64_e32 v[144:145], v[14:15], v[12:13]
	v_add_f64_e32 v[132:133], v[132:133], v[136:137]
	ds_load_b128 v[4:7], v2 offset:1728
	ds_load_b128 v[12:15], v2 offset:1744
	v_fma_f64 v[128:129], v[128:129], v[172:173], -v[140:141]
	s_wait_loadcnt_dscnt 0x101
	v_mul_f64_e32 v[2:3], v[4:5], v[178:179]
	v_mul_f64_e32 v[136:137], v[6:7], v[178:179]
	v_add_f64_e32 v[130:131], v[144:145], v[142:143]
	v_add_f64_e32 v[132:133], v[132:133], v[134:135]
	s_wait_loadcnt_dscnt 0x0
	v_mul_f64_e32 v[134:135], v[12:13], v[10:11]
	v_mul_f64_e32 v[10:11], v[14:15], v[10:11]
	v_fmac_f64_e32 v[2:3], v[6:7], v[176:177]
	v_fma_f64 v[4:5], v[4:5], v[176:177], -v[136:137]
	v_add_f64_e32 v[6:7], v[130:131], v[128:129]
	v_add_f64_e32 v[128:129], v[132:133], v[138:139]
	v_fmac_f64_e32 v[134:135], v[14:15], v[8:9]
	v_fma_f64 v[8:9], v[12:13], v[8:9], -v[10:11]
	s_delay_alu instid0(VALU_DEP_4) | instskip(NEXT) | instid1(VALU_DEP_4)
	v_add_f64_e32 v[4:5], v[6:7], v[4:5]
	v_add_f64_e32 v[2:3], v[128:129], v[2:3]
	s_delay_alu instid0(VALU_DEP_2) | instskip(NEXT) | instid1(VALU_DEP_2)
	v_add_f64_e32 v[4:5], v[4:5], v[8:9]
	v_add_f64_e32 v[6:7], v[2:3], v[134:135]
	s_delay_alu instid0(VALU_DEP_2) | instskip(NEXT) | instid1(VALU_DEP_2)
	v_add_f64_e64 v[2:3], v[168:169], -v[4:5]
	v_add_f64_e64 v[4:5], v[170:171], -v[6:7]
	scratch_store_b128 off, v[2:5], off offset:640
	s_wait_xcnt 0x0
	v_cmpx_lt_u32_e32 39, v1
	s_cbranch_execz .LBB118_265
; %bb.264:
	scratch_load_b128 v[2:5], off, s31
	v_mov_b32_e32 v6, 0
	s_delay_alu instid0(VALU_DEP_1)
	v_dual_mov_b32 v7, v6 :: v_dual_mov_b32 v8, v6
	v_mov_b32_e32 v9, v6
	scratch_store_b128 off, v[6:9], off offset:624
	s_wait_loadcnt 0x0
	ds_store_b128 v126, v[2:5]
.LBB118_265:
	s_wait_xcnt 0x0
	s_or_b32 exec_lo, exec_lo, s2
	s_wait_storecnt_dscnt 0x0
	s_barrier_signal -1
	s_barrier_wait -1
	s_clause 0x9
	scratch_load_b128 v[4:7], off, off offset:640
	scratch_load_b128 v[8:11], off, off offset:656
	;; [unrolled: 1-line block ×10, first 2 shown]
	v_mov_b32_e32 v2, 0
	s_mov_b32 s2, exec_lo
	ds_load_b128 v[156:159], v2 offset:1520
	s_clause 0x2
	scratch_load_b128 v[160:163], off, off offset:800
	scratch_load_b128 v[164:167], off, off offset:624
	;; [unrolled: 1-line block ×3, first 2 shown]
	s_wait_loadcnt_dscnt 0xc00
	v_mul_f64_e32 v[176:177], v[158:159], v[6:7]
	v_mul_f64_e32 v[180:181], v[156:157], v[6:7]
	ds_load_b128 v[168:171], v2 offset:1536
	v_fma_f64 v[184:185], v[156:157], v[4:5], -v[176:177]
	v_fmac_f64_e32 v[180:181], v[158:159], v[4:5]
	ds_load_b128 v[4:7], v2 offset:1552
	s_wait_loadcnt_dscnt 0xb01
	v_mul_f64_e32 v[182:183], v[168:169], v[10:11]
	v_mul_f64_e32 v[10:11], v[170:171], v[10:11]
	scratch_load_b128 v[156:159], off, off offset:832
	ds_load_b128 v[176:179], v2 offset:1568
	s_wait_loadcnt_dscnt 0xb01
	v_mul_f64_e32 v[186:187], v[4:5], v[14:15]
	v_mul_f64_e32 v[14:15], v[6:7], v[14:15]
	v_add_f64_e32 v[180:181], 0, v[180:181]
	v_fmac_f64_e32 v[182:183], v[170:171], v[8:9]
	v_fma_f64 v[168:169], v[168:169], v[8:9], -v[10:11]
	v_add_f64_e32 v[170:171], 0, v[184:185]
	scratch_load_b128 v[8:11], off, off offset:848
	v_fmac_f64_e32 v[186:187], v[6:7], v[12:13]
	v_fma_f64 v[188:189], v[4:5], v[12:13], -v[14:15]
	ds_load_b128 v[4:7], v2 offset:1584
	s_wait_loadcnt_dscnt 0xb01
	v_mul_f64_e32 v[184:185], v[176:177], v[130:131]
	v_mul_f64_e32 v[130:131], v[178:179], v[130:131]
	scratch_load_b128 v[12:15], off, off offset:864
	v_add_f64_e32 v[180:181], v[180:181], v[182:183]
	v_add_f64_e32 v[190:191], v[170:171], v[168:169]
	ds_load_b128 v[168:171], v2 offset:1600
	s_wait_loadcnt_dscnt 0xb01
	v_mul_f64_e32 v[182:183], v[4:5], v[134:135]
	v_mul_f64_e32 v[134:135], v[6:7], v[134:135]
	v_fmac_f64_e32 v[184:185], v[178:179], v[128:129]
	v_fma_f64 v[128:129], v[176:177], v[128:129], -v[130:131]
	s_wait_loadcnt_dscnt 0xa00
	v_mul_f64_e32 v[178:179], v[168:169], v[138:139]
	v_mul_f64_e32 v[138:139], v[170:171], v[138:139]
	v_add_f64_e32 v[176:177], v[180:181], v[186:187]
	v_add_f64_e32 v[130:131], v[190:191], v[188:189]
	v_fmac_f64_e32 v[182:183], v[6:7], v[132:133]
	v_fma_f64 v[132:133], v[4:5], v[132:133], -v[134:135]
	v_fmac_f64_e32 v[178:179], v[170:171], v[136:137]
	v_fma_f64 v[136:137], v[168:169], v[136:137], -v[138:139]
	v_add_f64_e32 v[176:177], v[176:177], v[184:185]
	v_add_f64_e32 v[134:135], v[130:131], v[128:129]
	ds_load_b128 v[4:7], v2 offset:1616
	ds_load_b128 v[128:131], v2 offset:1632
	s_wait_loadcnt_dscnt 0x901
	v_mul_f64_e32 v[180:181], v[4:5], v[142:143]
	v_mul_f64_e32 v[142:143], v[6:7], v[142:143]
	s_wait_loadcnt_dscnt 0x800
	v_mul_f64_e32 v[138:139], v[128:129], v[146:147]
	v_mul_f64_e32 v[146:147], v[130:131], v[146:147]
	v_add_f64_e32 v[132:133], v[134:135], v[132:133]
	v_add_f64_e32 v[134:135], v[176:177], v[182:183]
	v_fmac_f64_e32 v[180:181], v[6:7], v[140:141]
	v_fma_f64 v[140:141], v[4:5], v[140:141], -v[142:143]
	v_fmac_f64_e32 v[138:139], v[130:131], v[144:145]
	v_fma_f64 v[128:129], v[128:129], v[144:145], -v[146:147]
	v_add_f64_e32 v[136:137], v[132:133], v[136:137]
	v_add_f64_e32 v[142:143], v[134:135], v[178:179]
	ds_load_b128 v[4:7], v2 offset:1648
	ds_load_b128 v[132:135], v2 offset:1664
	s_wait_loadcnt_dscnt 0x701
	v_mul_f64_e32 v[168:169], v[4:5], v[150:151]
	v_mul_f64_e32 v[150:151], v[6:7], v[150:151]
	v_add_f64_e32 v[130:131], v[136:137], v[140:141]
	v_add_f64_e32 v[136:137], v[142:143], v[180:181]
	s_wait_loadcnt_dscnt 0x600
	v_mul_f64_e32 v[140:141], v[132:133], v[154:155]
	v_mul_f64_e32 v[142:143], v[134:135], v[154:155]
	v_fmac_f64_e32 v[168:169], v[6:7], v[148:149]
	v_fma_f64 v[144:145], v[4:5], v[148:149], -v[150:151]
	v_add_f64_e32 v[146:147], v[130:131], v[128:129]
	v_add_f64_e32 v[136:137], v[136:137], v[138:139]
	ds_load_b128 v[4:7], v2 offset:1680
	ds_load_b128 v[128:131], v2 offset:1696
	v_fmac_f64_e32 v[140:141], v[134:135], v[152:153]
	v_fma_f64 v[132:133], v[132:133], v[152:153], -v[142:143]
	s_wait_loadcnt_dscnt 0x501
	v_mul_f64_e32 v[138:139], v[4:5], v[162:163]
	v_mul_f64_e32 v[148:149], v[6:7], v[162:163]
	s_wait_loadcnt_dscnt 0x300
	v_mul_f64_e32 v[142:143], v[128:129], v[174:175]
	v_add_f64_e32 v[134:135], v[146:147], v[144:145]
	v_add_f64_e32 v[136:137], v[136:137], v[168:169]
	v_mul_f64_e32 v[144:145], v[130:131], v[174:175]
	v_fmac_f64_e32 v[138:139], v[6:7], v[160:161]
	v_fma_f64 v[146:147], v[4:5], v[160:161], -v[148:149]
	v_fmac_f64_e32 v[142:143], v[130:131], v[172:173]
	v_add_f64_e32 v[148:149], v[134:135], v[132:133]
	v_add_f64_e32 v[136:137], v[136:137], v[140:141]
	ds_load_b128 v[4:7], v2 offset:1712
	ds_load_b128 v[132:135], v2 offset:1728
	v_fma_f64 v[128:129], v[128:129], v[172:173], -v[144:145]
	s_wait_loadcnt_dscnt 0x201
	v_mul_f64_e32 v[140:141], v[4:5], v[158:159]
	v_mul_f64_e32 v[150:151], v[6:7], v[158:159]
	v_add_f64_e32 v[130:131], v[148:149], v[146:147]
	v_add_f64_e32 v[136:137], v[136:137], v[138:139]
	s_wait_loadcnt_dscnt 0x100
	v_mul_f64_e32 v[138:139], v[132:133], v[10:11]
	v_mul_f64_e32 v[10:11], v[134:135], v[10:11]
	v_fmac_f64_e32 v[140:141], v[6:7], v[156:157]
	v_fma_f64 v[144:145], v[4:5], v[156:157], -v[150:151]
	ds_load_b128 v[4:7], v2 offset:1744
	v_add_f64_e32 v[128:129], v[130:131], v[128:129]
	v_add_f64_e32 v[130:131], v[136:137], v[142:143]
	v_fmac_f64_e32 v[138:139], v[134:135], v[8:9]
	v_fma_f64 v[8:9], v[132:133], v[8:9], -v[10:11]
	s_wait_loadcnt_dscnt 0x0
	v_mul_f64_e32 v[136:137], v[4:5], v[14:15]
	v_mul_f64_e32 v[14:15], v[6:7], v[14:15]
	v_add_f64_e32 v[10:11], v[128:129], v[144:145]
	v_add_f64_e32 v[128:129], v[130:131], v[140:141]
	s_delay_alu instid0(VALU_DEP_4) | instskip(NEXT) | instid1(VALU_DEP_4)
	v_fmac_f64_e32 v[136:137], v[6:7], v[12:13]
	v_fma_f64 v[4:5], v[4:5], v[12:13], -v[14:15]
	s_delay_alu instid0(VALU_DEP_4) | instskip(NEXT) | instid1(VALU_DEP_4)
	v_add_f64_e32 v[6:7], v[10:11], v[8:9]
	v_add_f64_e32 v[8:9], v[128:129], v[138:139]
	s_delay_alu instid0(VALU_DEP_2) | instskip(NEXT) | instid1(VALU_DEP_2)
	v_add_f64_e32 v[4:5], v[6:7], v[4:5]
	v_add_f64_e32 v[6:7], v[8:9], v[136:137]
	s_delay_alu instid0(VALU_DEP_2) | instskip(NEXT) | instid1(VALU_DEP_2)
	v_add_f64_e64 v[4:5], v[164:165], -v[4:5]
	v_add_f64_e64 v[6:7], v[166:167], -v[6:7]
	scratch_store_b128 off, v[4:7], off offset:624
	s_wait_xcnt 0x0
	v_cmpx_lt_u32_e32 38, v1
	s_cbranch_execz .LBB118_267
; %bb.266:
	scratch_load_b128 v[6:9], off, s33
	v_dual_mov_b32 v3, v2 :: v_dual_mov_b32 v4, v2
	v_mov_b32_e32 v5, v2
	scratch_store_b128 off, v[2:5], off offset:608
	s_wait_loadcnt 0x0
	ds_store_b128 v126, v[6:9]
.LBB118_267:
	s_wait_xcnt 0x0
	s_or_b32 exec_lo, exec_lo, s2
	s_wait_storecnt_dscnt 0x0
	s_barrier_signal -1
	s_barrier_wait -1
	s_clause 0x9
	scratch_load_b128 v[4:7], off, off offset:624
	scratch_load_b128 v[8:11], off, off offset:640
	;; [unrolled: 1-line block ×10, first 2 shown]
	ds_load_b128 v[156:159], v2 offset:1504
	ds_load_b128 v[164:167], v2 offset:1520
	s_clause 0x2
	scratch_load_b128 v[160:163], off, off offset:784
	scratch_load_b128 v[168:171], off, off offset:608
	;; [unrolled: 1-line block ×3, first 2 shown]
	s_mov_b32 s2, exec_lo
	s_wait_loadcnt_dscnt 0xc01
	v_mul_f64_e32 v[176:177], v[158:159], v[6:7]
	v_mul_f64_e32 v[180:181], v[156:157], v[6:7]
	s_wait_loadcnt_dscnt 0xb00
	v_mul_f64_e32 v[182:183], v[164:165], v[10:11]
	v_mul_f64_e32 v[10:11], v[166:167], v[10:11]
	s_delay_alu instid0(VALU_DEP_4) | instskip(NEXT) | instid1(VALU_DEP_4)
	v_fma_f64 v[184:185], v[156:157], v[4:5], -v[176:177]
	v_fmac_f64_e32 v[180:181], v[158:159], v[4:5]
	ds_load_b128 v[4:7], v2 offset:1536
	ds_load_b128 v[156:159], v2 offset:1552
	scratch_load_b128 v[176:179], off, off offset:816
	v_fmac_f64_e32 v[182:183], v[166:167], v[8:9]
	v_fma_f64 v[164:165], v[164:165], v[8:9], -v[10:11]
	scratch_load_b128 v[8:11], off, off offset:832
	s_wait_loadcnt_dscnt 0xc01
	v_mul_f64_e32 v[186:187], v[4:5], v[14:15]
	v_mul_f64_e32 v[14:15], v[6:7], v[14:15]
	v_add_f64_e32 v[166:167], 0, v[184:185]
	v_add_f64_e32 v[180:181], 0, v[180:181]
	s_wait_loadcnt_dscnt 0xb00
	v_mul_f64_e32 v[184:185], v[156:157], v[130:131]
	v_mul_f64_e32 v[130:131], v[158:159], v[130:131]
	v_fmac_f64_e32 v[186:187], v[6:7], v[12:13]
	v_fma_f64 v[188:189], v[4:5], v[12:13], -v[14:15]
	ds_load_b128 v[4:7], v2 offset:1568
	ds_load_b128 v[12:15], v2 offset:1584
	v_add_f64_e32 v[190:191], v[166:167], v[164:165]
	v_add_f64_e32 v[180:181], v[180:181], v[182:183]
	scratch_load_b128 v[164:167], off, off offset:848
	v_fmac_f64_e32 v[184:185], v[158:159], v[128:129]
	v_fma_f64 v[156:157], v[156:157], v[128:129], -v[130:131]
	scratch_load_b128 v[128:131], off, off offset:864
	s_wait_loadcnt_dscnt 0xc01
	v_mul_f64_e32 v[182:183], v[4:5], v[134:135]
	v_mul_f64_e32 v[134:135], v[6:7], v[134:135]
	v_add_f64_e32 v[158:159], v[190:191], v[188:189]
	v_add_f64_e32 v[180:181], v[180:181], v[186:187]
	s_wait_loadcnt_dscnt 0xb00
	v_mul_f64_e32 v[186:187], v[12:13], v[138:139]
	v_mul_f64_e32 v[138:139], v[14:15], v[138:139]
	v_fmac_f64_e32 v[182:183], v[6:7], v[132:133]
	v_fma_f64 v[188:189], v[4:5], v[132:133], -v[134:135]
	ds_load_b128 v[4:7], v2 offset:1600
	ds_load_b128 v[132:135], v2 offset:1616
	v_add_f64_e32 v[156:157], v[158:159], v[156:157]
	v_add_f64_e32 v[158:159], v[180:181], v[184:185]
	s_wait_loadcnt_dscnt 0xa01
	v_mul_f64_e32 v[180:181], v[4:5], v[142:143]
	v_mul_f64_e32 v[142:143], v[6:7], v[142:143]
	v_fmac_f64_e32 v[186:187], v[14:15], v[136:137]
	v_fma_f64 v[12:13], v[12:13], v[136:137], -v[138:139]
	s_wait_loadcnt_dscnt 0x900
	v_mul_f64_e32 v[138:139], v[132:133], v[146:147]
	v_mul_f64_e32 v[146:147], v[134:135], v[146:147]
	v_add_f64_e32 v[14:15], v[156:157], v[188:189]
	v_add_f64_e32 v[136:137], v[158:159], v[182:183]
	v_fmac_f64_e32 v[180:181], v[6:7], v[140:141]
	v_fma_f64 v[140:141], v[4:5], v[140:141], -v[142:143]
	v_fmac_f64_e32 v[138:139], v[134:135], v[144:145]
	v_fma_f64 v[132:133], v[132:133], v[144:145], -v[146:147]
	v_add_f64_e32 v[142:143], v[14:15], v[12:13]
	v_add_f64_e32 v[136:137], v[136:137], v[186:187]
	ds_load_b128 v[4:7], v2 offset:1632
	ds_load_b128 v[12:15], v2 offset:1648
	s_wait_loadcnt_dscnt 0x801
	v_mul_f64_e32 v[156:157], v[4:5], v[150:151]
	v_mul_f64_e32 v[150:151], v[6:7], v[150:151]
	v_add_f64_e32 v[134:135], v[142:143], v[140:141]
	v_add_f64_e32 v[136:137], v[136:137], v[180:181]
	s_wait_loadcnt_dscnt 0x700
	v_mul_f64_e32 v[140:141], v[12:13], v[154:155]
	v_mul_f64_e32 v[142:143], v[14:15], v[154:155]
	v_fmac_f64_e32 v[156:157], v[6:7], v[148:149]
	v_fma_f64 v[144:145], v[4:5], v[148:149], -v[150:151]
	v_add_f64_e32 v[146:147], v[134:135], v[132:133]
	v_add_f64_e32 v[136:137], v[136:137], v[138:139]
	ds_load_b128 v[4:7], v2 offset:1664
	ds_load_b128 v[132:135], v2 offset:1680
	v_fmac_f64_e32 v[140:141], v[14:15], v[152:153]
	v_fma_f64 v[12:13], v[12:13], v[152:153], -v[142:143]
	s_wait_loadcnt_dscnt 0x601
	v_mul_f64_e32 v[138:139], v[4:5], v[162:163]
	v_mul_f64_e32 v[148:149], v[6:7], v[162:163]
	s_wait_loadcnt_dscnt 0x400
	v_mul_f64_e32 v[142:143], v[132:133], v[174:175]
	v_add_f64_e32 v[14:15], v[146:147], v[144:145]
	v_add_f64_e32 v[136:137], v[136:137], v[156:157]
	v_mul_f64_e32 v[144:145], v[134:135], v[174:175]
	v_fmac_f64_e32 v[138:139], v[6:7], v[160:161]
	v_fma_f64 v[146:147], v[4:5], v[160:161], -v[148:149]
	v_fmac_f64_e32 v[142:143], v[134:135], v[172:173]
	v_add_f64_e32 v[148:149], v[14:15], v[12:13]
	v_add_f64_e32 v[136:137], v[136:137], v[140:141]
	ds_load_b128 v[4:7], v2 offset:1696
	ds_load_b128 v[12:15], v2 offset:1712
	v_fma_f64 v[132:133], v[132:133], v[172:173], -v[144:145]
	s_wait_loadcnt_dscnt 0x301
	v_mul_f64_e32 v[140:141], v[4:5], v[178:179]
	v_mul_f64_e32 v[150:151], v[6:7], v[178:179]
	v_add_f64_e32 v[134:135], v[148:149], v[146:147]
	v_add_f64_e32 v[136:137], v[136:137], v[138:139]
	s_wait_loadcnt_dscnt 0x200
	v_mul_f64_e32 v[138:139], v[12:13], v[10:11]
	v_mul_f64_e32 v[10:11], v[14:15], v[10:11]
	v_fmac_f64_e32 v[140:141], v[6:7], v[176:177]
	v_fma_f64 v[144:145], v[4:5], v[176:177], -v[150:151]
	v_add_f64_e32 v[146:147], v[134:135], v[132:133]
	v_add_f64_e32 v[136:137], v[136:137], v[142:143]
	ds_load_b128 v[4:7], v2 offset:1728
	ds_load_b128 v[132:135], v2 offset:1744
	v_fmac_f64_e32 v[138:139], v[14:15], v[8:9]
	v_fma_f64 v[8:9], v[12:13], v[8:9], -v[10:11]
	s_wait_loadcnt_dscnt 0x101
	v_mul_f64_e32 v[2:3], v[4:5], v[166:167]
	v_mul_f64_e32 v[142:143], v[6:7], v[166:167]
	s_wait_loadcnt_dscnt 0x0
	v_mul_f64_e32 v[14:15], v[132:133], v[130:131]
	v_mul_f64_e32 v[130:131], v[134:135], v[130:131]
	v_add_f64_e32 v[10:11], v[146:147], v[144:145]
	v_add_f64_e32 v[12:13], v[136:137], v[140:141]
	v_fmac_f64_e32 v[2:3], v[6:7], v[164:165]
	v_fma_f64 v[4:5], v[4:5], v[164:165], -v[142:143]
	v_fmac_f64_e32 v[14:15], v[134:135], v[128:129]
	v_add_f64_e32 v[6:7], v[10:11], v[8:9]
	v_add_f64_e32 v[8:9], v[12:13], v[138:139]
	v_fma_f64 v[10:11], v[132:133], v[128:129], -v[130:131]
	s_delay_alu instid0(VALU_DEP_3) | instskip(NEXT) | instid1(VALU_DEP_3)
	v_add_f64_e32 v[4:5], v[6:7], v[4:5]
	v_add_f64_e32 v[2:3], v[8:9], v[2:3]
	s_delay_alu instid0(VALU_DEP_2) | instskip(NEXT) | instid1(VALU_DEP_2)
	v_add_f64_e32 v[4:5], v[4:5], v[10:11]
	v_add_f64_e32 v[6:7], v[2:3], v[14:15]
	s_delay_alu instid0(VALU_DEP_2) | instskip(NEXT) | instid1(VALU_DEP_2)
	v_add_f64_e64 v[2:3], v[168:169], -v[4:5]
	v_add_f64_e64 v[4:5], v[170:171], -v[6:7]
	scratch_store_b128 off, v[2:5], off offset:608
	s_wait_xcnt 0x0
	v_cmpx_lt_u32_e32 37, v1
	s_cbranch_execz .LBB118_269
; %bb.268:
	scratch_load_b128 v[2:5], off, s34
	v_mov_b32_e32 v6, 0
	s_delay_alu instid0(VALU_DEP_1)
	v_dual_mov_b32 v7, v6 :: v_dual_mov_b32 v8, v6
	v_mov_b32_e32 v9, v6
	scratch_store_b128 off, v[6:9], off offset:592
	s_wait_loadcnt 0x0
	ds_store_b128 v126, v[2:5]
.LBB118_269:
	s_wait_xcnt 0x0
	s_or_b32 exec_lo, exec_lo, s2
	s_wait_storecnt_dscnt 0x0
	s_barrier_signal -1
	s_barrier_wait -1
	s_clause 0x9
	scratch_load_b128 v[4:7], off, off offset:608
	scratch_load_b128 v[8:11], off, off offset:624
	scratch_load_b128 v[12:15], off, off offset:640
	scratch_load_b128 v[128:131], off, off offset:656
	scratch_load_b128 v[132:135], off, off offset:672
	scratch_load_b128 v[136:139], off, off offset:688
	scratch_load_b128 v[140:143], off, off offset:704
	scratch_load_b128 v[144:147], off, off offset:720
	scratch_load_b128 v[148:151], off, off offset:736
	scratch_load_b128 v[152:155], off, off offset:752
	v_mov_b32_e32 v2, 0
	s_mov_b32 s2, exec_lo
	ds_load_b128 v[156:159], v2 offset:1488
	s_clause 0x2
	scratch_load_b128 v[160:163], off, off offset:768
	scratch_load_b128 v[164:167], off, off offset:592
	;; [unrolled: 1-line block ×3, first 2 shown]
	s_wait_loadcnt_dscnt 0xc00
	v_mul_f64_e32 v[176:177], v[158:159], v[6:7]
	v_mul_f64_e32 v[180:181], v[156:157], v[6:7]
	ds_load_b128 v[168:171], v2 offset:1504
	v_fma_f64 v[184:185], v[156:157], v[4:5], -v[176:177]
	v_fmac_f64_e32 v[180:181], v[158:159], v[4:5]
	ds_load_b128 v[4:7], v2 offset:1520
	s_wait_loadcnt_dscnt 0xb01
	v_mul_f64_e32 v[182:183], v[168:169], v[10:11]
	v_mul_f64_e32 v[10:11], v[170:171], v[10:11]
	scratch_load_b128 v[156:159], off, off offset:800
	ds_load_b128 v[176:179], v2 offset:1536
	s_wait_loadcnt_dscnt 0xb01
	v_mul_f64_e32 v[186:187], v[4:5], v[14:15]
	v_mul_f64_e32 v[14:15], v[6:7], v[14:15]
	v_add_f64_e32 v[180:181], 0, v[180:181]
	v_fmac_f64_e32 v[182:183], v[170:171], v[8:9]
	v_fma_f64 v[168:169], v[168:169], v[8:9], -v[10:11]
	v_add_f64_e32 v[170:171], 0, v[184:185]
	scratch_load_b128 v[8:11], off, off offset:816
	v_fmac_f64_e32 v[186:187], v[6:7], v[12:13]
	v_fma_f64 v[188:189], v[4:5], v[12:13], -v[14:15]
	ds_load_b128 v[4:7], v2 offset:1552
	s_wait_loadcnt_dscnt 0xb01
	v_mul_f64_e32 v[184:185], v[176:177], v[130:131]
	v_mul_f64_e32 v[130:131], v[178:179], v[130:131]
	scratch_load_b128 v[12:15], off, off offset:832
	v_add_f64_e32 v[180:181], v[180:181], v[182:183]
	v_add_f64_e32 v[190:191], v[170:171], v[168:169]
	ds_load_b128 v[168:171], v2 offset:1568
	s_wait_loadcnt_dscnt 0xb01
	v_mul_f64_e32 v[182:183], v[4:5], v[134:135]
	v_mul_f64_e32 v[134:135], v[6:7], v[134:135]
	v_fmac_f64_e32 v[184:185], v[178:179], v[128:129]
	v_fma_f64 v[176:177], v[176:177], v[128:129], -v[130:131]
	scratch_load_b128 v[128:131], off, off offset:848
	v_add_f64_e32 v[180:181], v[180:181], v[186:187]
	v_add_f64_e32 v[178:179], v[190:191], v[188:189]
	v_fmac_f64_e32 v[182:183], v[6:7], v[132:133]
	v_fma_f64 v[188:189], v[4:5], v[132:133], -v[134:135]
	ds_load_b128 v[4:7], v2 offset:1584
	s_wait_loadcnt_dscnt 0xb01
	v_mul_f64_e32 v[186:187], v[168:169], v[138:139]
	v_mul_f64_e32 v[138:139], v[170:171], v[138:139]
	scratch_load_b128 v[132:135], off, off offset:864
	v_add_f64_e32 v[180:181], v[180:181], v[184:185]
	s_wait_loadcnt_dscnt 0xb00
	v_mul_f64_e32 v[184:185], v[4:5], v[142:143]
	v_add_f64_e32 v[190:191], v[178:179], v[176:177]
	v_mul_f64_e32 v[142:143], v[6:7], v[142:143]
	ds_load_b128 v[176:179], v2 offset:1600
	v_fmac_f64_e32 v[186:187], v[170:171], v[136:137]
	v_fma_f64 v[136:137], v[168:169], v[136:137], -v[138:139]
	s_wait_loadcnt_dscnt 0xa00
	v_mul_f64_e32 v[170:171], v[176:177], v[146:147]
	v_mul_f64_e32 v[146:147], v[178:179], v[146:147]
	v_add_f64_e32 v[168:169], v[180:181], v[182:183]
	v_fmac_f64_e32 v[184:185], v[6:7], v[140:141]
	v_add_f64_e32 v[138:139], v[190:191], v[188:189]
	v_fma_f64 v[140:141], v[4:5], v[140:141], -v[142:143]
	v_fmac_f64_e32 v[170:171], v[178:179], v[144:145]
	v_fma_f64 v[144:145], v[176:177], v[144:145], -v[146:147]
	v_add_f64_e32 v[168:169], v[168:169], v[186:187]
	v_add_f64_e32 v[142:143], v[138:139], v[136:137]
	ds_load_b128 v[4:7], v2 offset:1616
	ds_load_b128 v[136:139], v2 offset:1632
	s_wait_loadcnt_dscnt 0x901
	v_mul_f64_e32 v[180:181], v[4:5], v[150:151]
	v_mul_f64_e32 v[150:151], v[6:7], v[150:151]
	s_wait_loadcnt_dscnt 0x800
	v_mul_f64_e32 v[146:147], v[136:137], v[154:155]
	v_mul_f64_e32 v[154:155], v[138:139], v[154:155]
	v_add_f64_e32 v[140:141], v[142:143], v[140:141]
	v_add_f64_e32 v[142:143], v[168:169], v[184:185]
	v_fmac_f64_e32 v[180:181], v[6:7], v[148:149]
	v_fma_f64 v[148:149], v[4:5], v[148:149], -v[150:151]
	v_fmac_f64_e32 v[146:147], v[138:139], v[152:153]
	v_fma_f64 v[136:137], v[136:137], v[152:153], -v[154:155]
	v_add_f64_e32 v[144:145], v[140:141], v[144:145]
	v_add_f64_e32 v[150:151], v[142:143], v[170:171]
	ds_load_b128 v[4:7], v2 offset:1648
	ds_load_b128 v[140:143], v2 offset:1664
	s_wait_loadcnt_dscnt 0x701
	v_mul_f64_e32 v[168:169], v[4:5], v[162:163]
	v_mul_f64_e32 v[162:163], v[6:7], v[162:163]
	v_add_f64_e32 v[138:139], v[144:145], v[148:149]
	v_add_f64_e32 v[144:145], v[150:151], v[180:181]
	s_wait_loadcnt_dscnt 0x500
	v_mul_f64_e32 v[148:149], v[140:141], v[174:175]
	v_mul_f64_e32 v[150:151], v[142:143], v[174:175]
	v_fmac_f64_e32 v[168:169], v[6:7], v[160:161]
	v_fma_f64 v[152:153], v[4:5], v[160:161], -v[162:163]
	v_add_f64_e32 v[154:155], v[138:139], v[136:137]
	v_add_f64_e32 v[144:145], v[144:145], v[146:147]
	ds_load_b128 v[4:7], v2 offset:1680
	ds_load_b128 v[136:139], v2 offset:1696
	v_fmac_f64_e32 v[148:149], v[142:143], v[172:173]
	v_fma_f64 v[140:141], v[140:141], v[172:173], -v[150:151]
	s_wait_loadcnt_dscnt 0x401
	v_mul_f64_e32 v[146:147], v[4:5], v[158:159]
	v_mul_f64_e32 v[158:159], v[6:7], v[158:159]
	v_add_f64_e32 v[142:143], v[154:155], v[152:153]
	v_add_f64_e32 v[144:145], v[144:145], v[168:169]
	s_wait_loadcnt_dscnt 0x300
	v_mul_f64_e32 v[150:151], v[136:137], v[10:11]
	v_mul_f64_e32 v[10:11], v[138:139], v[10:11]
	v_fmac_f64_e32 v[146:147], v[6:7], v[156:157]
	v_fma_f64 v[152:153], v[4:5], v[156:157], -v[158:159]
	v_add_f64_e32 v[154:155], v[142:143], v[140:141]
	v_add_f64_e32 v[144:145], v[144:145], v[148:149]
	ds_load_b128 v[4:7], v2 offset:1712
	ds_load_b128 v[140:143], v2 offset:1728
	v_fmac_f64_e32 v[150:151], v[138:139], v[8:9]
	v_fma_f64 v[8:9], v[136:137], v[8:9], -v[10:11]
	s_wait_loadcnt_dscnt 0x201
	v_mul_f64_e32 v[148:149], v[4:5], v[14:15]
	v_mul_f64_e32 v[14:15], v[6:7], v[14:15]
	s_wait_loadcnt_dscnt 0x100
	v_mul_f64_e32 v[138:139], v[140:141], v[130:131]
	v_mul_f64_e32 v[130:131], v[142:143], v[130:131]
	v_add_f64_e32 v[10:11], v[154:155], v[152:153]
	v_add_f64_e32 v[136:137], v[144:145], v[146:147]
	v_fmac_f64_e32 v[148:149], v[6:7], v[12:13]
	v_fma_f64 v[12:13], v[4:5], v[12:13], -v[14:15]
	ds_load_b128 v[4:7], v2 offset:1744
	v_fmac_f64_e32 v[138:139], v[142:143], v[128:129]
	v_fma_f64 v[128:129], v[140:141], v[128:129], -v[130:131]
	v_add_f64_e32 v[8:9], v[10:11], v[8:9]
	v_add_f64_e32 v[10:11], v[136:137], v[150:151]
	s_wait_loadcnt_dscnt 0x0
	v_mul_f64_e32 v[14:15], v[4:5], v[134:135]
	v_mul_f64_e32 v[134:135], v[6:7], v[134:135]
	s_delay_alu instid0(VALU_DEP_4) | instskip(NEXT) | instid1(VALU_DEP_4)
	v_add_f64_e32 v[8:9], v[8:9], v[12:13]
	v_add_f64_e32 v[10:11], v[10:11], v[148:149]
	s_delay_alu instid0(VALU_DEP_4) | instskip(NEXT) | instid1(VALU_DEP_4)
	v_fmac_f64_e32 v[14:15], v[6:7], v[132:133]
	v_fma_f64 v[4:5], v[4:5], v[132:133], -v[134:135]
	s_delay_alu instid0(VALU_DEP_4) | instskip(NEXT) | instid1(VALU_DEP_4)
	v_add_f64_e32 v[6:7], v[8:9], v[128:129]
	v_add_f64_e32 v[8:9], v[10:11], v[138:139]
	s_delay_alu instid0(VALU_DEP_2) | instskip(NEXT) | instid1(VALU_DEP_2)
	v_add_f64_e32 v[4:5], v[6:7], v[4:5]
	v_add_f64_e32 v[6:7], v[8:9], v[14:15]
	s_delay_alu instid0(VALU_DEP_2) | instskip(NEXT) | instid1(VALU_DEP_2)
	v_add_f64_e64 v[4:5], v[164:165], -v[4:5]
	v_add_f64_e64 v[6:7], v[166:167], -v[6:7]
	scratch_store_b128 off, v[4:7], off offset:592
	s_wait_xcnt 0x0
	v_cmpx_lt_u32_e32 36, v1
	s_cbranch_execz .LBB118_271
; %bb.270:
	scratch_load_b128 v[6:9], off, s35
	v_dual_mov_b32 v3, v2 :: v_dual_mov_b32 v4, v2
	v_mov_b32_e32 v5, v2
	scratch_store_b128 off, v[2:5], off offset:576
	s_wait_loadcnt 0x0
	ds_store_b128 v126, v[6:9]
.LBB118_271:
	s_wait_xcnt 0x0
	s_or_b32 exec_lo, exec_lo, s2
	s_wait_storecnt_dscnt 0x0
	s_barrier_signal -1
	s_barrier_wait -1
	s_clause 0x9
	scratch_load_b128 v[4:7], off, off offset:592
	scratch_load_b128 v[8:11], off, off offset:608
	;; [unrolled: 1-line block ×10, first 2 shown]
	ds_load_b128 v[156:159], v2 offset:1472
	ds_load_b128 v[164:167], v2 offset:1488
	s_clause 0x2
	scratch_load_b128 v[160:163], off, off offset:752
	scratch_load_b128 v[168:171], off, off offset:576
	;; [unrolled: 1-line block ×3, first 2 shown]
	s_mov_b32 s2, exec_lo
	s_wait_loadcnt_dscnt 0xc01
	v_mul_f64_e32 v[176:177], v[158:159], v[6:7]
	v_mul_f64_e32 v[180:181], v[156:157], v[6:7]
	s_wait_loadcnt_dscnt 0xb00
	v_mul_f64_e32 v[182:183], v[164:165], v[10:11]
	v_mul_f64_e32 v[10:11], v[166:167], v[10:11]
	s_delay_alu instid0(VALU_DEP_4) | instskip(NEXT) | instid1(VALU_DEP_4)
	v_fma_f64 v[184:185], v[156:157], v[4:5], -v[176:177]
	v_fmac_f64_e32 v[180:181], v[158:159], v[4:5]
	ds_load_b128 v[4:7], v2 offset:1504
	ds_load_b128 v[156:159], v2 offset:1520
	scratch_load_b128 v[176:179], off, off offset:784
	v_fmac_f64_e32 v[182:183], v[166:167], v[8:9]
	v_fma_f64 v[164:165], v[164:165], v[8:9], -v[10:11]
	scratch_load_b128 v[8:11], off, off offset:800
	s_wait_loadcnt_dscnt 0xc01
	v_mul_f64_e32 v[186:187], v[4:5], v[14:15]
	v_mul_f64_e32 v[14:15], v[6:7], v[14:15]
	v_add_f64_e32 v[166:167], 0, v[184:185]
	v_add_f64_e32 v[180:181], 0, v[180:181]
	s_wait_loadcnt_dscnt 0xb00
	v_mul_f64_e32 v[184:185], v[156:157], v[130:131]
	v_mul_f64_e32 v[130:131], v[158:159], v[130:131]
	v_fmac_f64_e32 v[186:187], v[6:7], v[12:13]
	v_fma_f64 v[188:189], v[4:5], v[12:13], -v[14:15]
	ds_load_b128 v[4:7], v2 offset:1536
	ds_load_b128 v[12:15], v2 offset:1552
	v_add_f64_e32 v[190:191], v[166:167], v[164:165]
	v_add_f64_e32 v[180:181], v[180:181], v[182:183]
	scratch_load_b128 v[164:167], off, off offset:816
	v_fmac_f64_e32 v[184:185], v[158:159], v[128:129]
	v_fma_f64 v[156:157], v[156:157], v[128:129], -v[130:131]
	scratch_load_b128 v[128:131], off, off offset:832
	s_wait_loadcnt_dscnt 0xc01
	v_mul_f64_e32 v[182:183], v[4:5], v[134:135]
	v_mul_f64_e32 v[134:135], v[6:7], v[134:135]
	v_add_f64_e32 v[158:159], v[190:191], v[188:189]
	v_add_f64_e32 v[180:181], v[180:181], v[186:187]
	s_wait_loadcnt_dscnt 0xb00
	v_mul_f64_e32 v[186:187], v[12:13], v[138:139]
	v_mul_f64_e32 v[138:139], v[14:15], v[138:139]
	v_fmac_f64_e32 v[182:183], v[6:7], v[132:133]
	v_fma_f64 v[188:189], v[4:5], v[132:133], -v[134:135]
	ds_load_b128 v[4:7], v2 offset:1568
	ds_load_b128 v[132:135], v2 offset:1584
	v_add_f64_e32 v[190:191], v[158:159], v[156:157]
	v_add_f64_e32 v[180:181], v[180:181], v[184:185]
	scratch_load_b128 v[156:159], off, off offset:848
	s_wait_loadcnt_dscnt 0xb01
	v_mul_f64_e32 v[184:185], v[4:5], v[142:143]
	v_mul_f64_e32 v[142:143], v[6:7], v[142:143]
	v_fmac_f64_e32 v[186:187], v[14:15], v[136:137]
	v_fma_f64 v[136:137], v[12:13], v[136:137], -v[138:139]
	scratch_load_b128 v[12:15], off, off offset:864
	v_add_f64_e32 v[138:139], v[190:191], v[188:189]
	v_add_f64_e32 v[180:181], v[180:181], v[182:183]
	s_wait_loadcnt_dscnt 0xb00
	v_mul_f64_e32 v[182:183], v[132:133], v[146:147]
	v_mul_f64_e32 v[146:147], v[134:135], v[146:147]
	v_fmac_f64_e32 v[184:185], v[6:7], v[140:141]
	v_fma_f64 v[140:141], v[4:5], v[140:141], -v[142:143]
	v_add_f64_e32 v[142:143], v[138:139], v[136:137]
	v_add_f64_e32 v[180:181], v[180:181], v[186:187]
	ds_load_b128 v[4:7], v2 offset:1600
	ds_load_b128 v[136:139], v2 offset:1616
	v_fmac_f64_e32 v[182:183], v[134:135], v[144:145]
	v_fma_f64 v[132:133], v[132:133], v[144:145], -v[146:147]
	s_wait_loadcnt_dscnt 0xa01
	v_mul_f64_e32 v[186:187], v[4:5], v[150:151]
	v_mul_f64_e32 v[150:151], v[6:7], v[150:151]
	s_wait_loadcnt_dscnt 0x900
	v_mul_f64_e32 v[144:145], v[138:139], v[154:155]
	v_add_f64_e32 v[134:135], v[142:143], v[140:141]
	v_add_f64_e32 v[140:141], v[180:181], v[184:185]
	v_mul_f64_e32 v[142:143], v[136:137], v[154:155]
	v_fmac_f64_e32 v[186:187], v[6:7], v[148:149]
	v_fma_f64 v[146:147], v[4:5], v[148:149], -v[150:151]
	v_fma_f64 v[136:137], v[136:137], v[152:153], -v[144:145]
	v_add_f64_e32 v[148:149], v[134:135], v[132:133]
	v_add_f64_e32 v[140:141], v[140:141], v[182:183]
	ds_load_b128 v[4:7], v2 offset:1632
	ds_load_b128 v[132:135], v2 offset:1648
	v_fmac_f64_e32 v[142:143], v[138:139], v[152:153]
	s_wait_loadcnt_dscnt 0x801
	v_mul_f64_e32 v[150:151], v[4:5], v[162:163]
	v_mul_f64_e32 v[154:155], v[6:7], v[162:163]
	s_wait_loadcnt_dscnt 0x600
	v_mul_f64_e32 v[144:145], v[132:133], v[174:175]
	v_add_f64_e32 v[138:139], v[148:149], v[146:147]
	v_add_f64_e32 v[140:141], v[140:141], v[186:187]
	v_mul_f64_e32 v[146:147], v[134:135], v[174:175]
	v_fmac_f64_e32 v[150:151], v[6:7], v[160:161]
	v_fma_f64 v[148:149], v[4:5], v[160:161], -v[154:155]
	v_fmac_f64_e32 v[144:145], v[134:135], v[172:173]
	v_add_f64_e32 v[152:153], v[138:139], v[136:137]
	v_add_f64_e32 v[140:141], v[140:141], v[142:143]
	ds_load_b128 v[4:7], v2 offset:1664
	ds_load_b128 v[136:139], v2 offset:1680
	v_fma_f64 v[132:133], v[132:133], v[172:173], -v[146:147]
	s_wait_loadcnt_dscnt 0x501
	v_mul_f64_e32 v[142:143], v[4:5], v[178:179]
	v_mul_f64_e32 v[154:155], v[6:7], v[178:179]
	s_wait_loadcnt_dscnt 0x400
	v_mul_f64_e32 v[146:147], v[136:137], v[10:11]
	v_mul_f64_e32 v[10:11], v[138:139], v[10:11]
	v_add_f64_e32 v[134:135], v[152:153], v[148:149]
	v_add_f64_e32 v[140:141], v[140:141], v[150:151]
	v_fmac_f64_e32 v[142:143], v[6:7], v[176:177]
	v_fma_f64 v[148:149], v[4:5], v[176:177], -v[154:155]
	v_fmac_f64_e32 v[146:147], v[138:139], v[8:9]
	v_fma_f64 v[8:9], v[136:137], v[8:9], -v[10:11]
	v_add_f64_e32 v[150:151], v[134:135], v[132:133]
	v_add_f64_e32 v[140:141], v[140:141], v[144:145]
	ds_load_b128 v[4:7], v2 offset:1696
	ds_load_b128 v[132:135], v2 offset:1712
	s_wait_loadcnt_dscnt 0x301
	v_mul_f64_e32 v[144:145], v[4:5], v[166:167]
	v_mul_f64_e32 v[152:153], v[6:7], v[166:167]
	s_wait_loadcnt_dscnt 0x200
	v_mul_f64_e32 v[138:139], v[132:133], v[130:131]
	v_mul_f64_e32 v[130:131], v[134:135], v[130:131]
	v_add_f64_e32 v[10:11], v[150:151], v[148:149]
	v_add_f64_e32 v[136:137], v[140:141], v[142:143]
	v_fmac_f64_e32 v[144:145], v[6:7], v[164:165]
	v_fma_f64 v[140:141], v[4:5], v[164:165], -v[152:153]
	v_fmac_f64_e32 v[138:139], v[134:135], v[128:129]
	v_fma_f64 v[128:129], v[132:133], v[128:129], -v[130:131]
	v_add_f64_e32 v[142:143], v[10:11], v[8:9]
	v_add_f64_e32 v[136:137], v[136:137], v[146:147]
	ds_load_b128 v[4:7], v2 offset:1728
	ds_load_b128 v[8:11], v2 offset:1744
	s_wait_loadcnt_dscnt 0x101
	v_mul_f64_e32 v[2:3], v[4:5], v[158:159]
	v_mul_f64_e32 v[146:147], v[6:7], v[158:159]
	s_wait_loadcnt_dscnt 0x0
	v_mul_f64_e32 v[134:135], v[8:9], v[14:15]
	v_mul_f64_e32 v[14:15], v[10:11], v[14:15]
	v_add_f64_e32 v[130:131], v[142:143], v[140:141]
	v_add_f64_e32 v[132:133], v[136:137], v[144:145]
	v_fmac_f64_e32 v[2:3], v[6:7], v[156:157]
	v_fma_f64 v[4:5], v[4:5], v[156:157], -v[146:147]
	v_fmac_f64_e32 v[134:135], v[10:11], v[12:13]
	v_fma_f64 v[8:9], v[8:9], v[12:13], -v[14:15]
	v_add_f64_e32 v[6:7], v[130:131], v[128:129]
	v_add_f64_e32 v[128:129], v[132:133], v[138:139]
	s_delay_alu instid0(VALU_DEP_2) | instskip(NEXT) | instid1(VALU_DEP_2)
	v_add_f64_e32 v[4:5], v[6:7], v[4:5]
	v_add_f64_e32 v[2:3], v[128:129], v[2:3]
	s_delay_alu instid0(VALU_DEP_2) | instskip(NEXT) | instid1(VALU_DEP_2)
	;; [unrolled: 3-line block ×3, first 2 shown]
	v_add_f64_e64 v[2:3], v[168:169], -v[4:5]
	v_add_f64_e64 v[4:5], v[170:171], -v[6:7]
	scratch_store_b128 off, v[2:5], off offset:576
	s_wait_xcnt 0x0
	v_cmpx_lt_u32_e32 35, v1
	s_cbranch_execz .LBB118_273
; %bb.272:
	scratch_load_b128 v[2:5], off, s36
	v_mov_b32_e32 v6, 0
	s_delay_alu instid0(VALU_DEP_1)
	v_dual_mov_b32 v7, v6 :: v_dual_mov_b32 v8, v6
	v_mov_b32_e32 v9, v6
	scratch_store_b128 off, v[6:9], off offset:560
	s_wait_loadcnt 0x0
	ds_store_b128 v126, v[2:5]
.LBB118_273:
	s_wait_xcnt 0x0
	s_or_b32 exec_lo, exec_lo, s2
	s_wait_storecnt_dscnt 0x0
	s_barrier_signal -1
	s_barrier_wait -1
	s_clause 0x9
	scratch_load_b128 v[4:7], off, off offset:576
	scratch_load_b128 v[8:11], off, off offset:592
	;; [unrolled: 1-line block ×10, first 2 shown]
	v_mov_b32_e32 v2, 0
	s_mov_b32 s2, exec_lo
	ds_load_b128 v[156:159], v2 offset:1456
	s_clause 0x2
	scratch_load_b128 v[160:163], off, off offset:736
	scratch_load_b128 v[164:167], off, off offset:560
	;; [unrolled: 1-line block ×3, first 2 shown]
	s_wait_loadcnt_dscnt 0xc00
	v_mul_f64_e32 v[176:177], v[158:159], v[6:7]
	v_mul_f64_e32 v[180:181], v[156:157], v[6:7]
	ds_load_b128 v[168:171], v2 offset:1472
	v_fma_f64 v[184:185], v[156:157], v[4:5], -v[176:177]
	v_fmac_f64_e32 v[180:181], v[158:159], v[4:5]
	ds_load_b128 v[4:7], v2 offset:1488
	s_wait_loadcnt_dscnt 0xb01
	v_mul_f64_e32 v[182:183], v[168:169], v[10:11]
	v_mul_f64_e32 v[10:11], v[170:171], v[10:11]
	scratch_load_b128 v[156:159], off, off offset:768
	ds_load_b128 v[176:179], v2 offset:1504
	s_wait_loadcnt_dscnt 0xb01
	v_mul_f64_e32 v[186:187], v[4:5], v[14:15]
	v_mul_f64_e32 v[14:15], v[6:7], v[14:15]
	v_add_f64_e32 v[180:181], 0, v[180:181]
	v_fmac_f64_e32 v[182:183], v[170:171], v[8:9]
	v_fma_f64 v[168:169], v[168:169], v[8:9], -v[10:11]
	v_add_f64_e32 v[170:171], 0, v[184:185]
	scratch_load_b128 v[8:11], off, off offset:784
	v_fmac_f64_e32 v[186:187], v[6:7], v[12:13]
	v_fma_f64 v[188:189], v[4:5], v[12:13], -v[14:15]
	ds_load_b128 v[4:7], v2 offset:1520
	s_wait_loadcnt_dscnt 0xb01
	v_mul_f64_e32 v[184:185], v[176:177], v[130:131]
	v_mul_f64_e32 v[130:131], v[178:179], v[130:131]
	scratch_load_b128 v[12:15], off, off offset:800
	v_add_f64_e32 v[180:181], v[180:181], v[182:183]
	v_add_f64_e32 v[190:191], v[170:171], v[168:169]
	ds_load_b128 v[168:171], v2 offset:1536
	s_wait_loadcnt_dscnt 0xb01
	v_mul_f64_e32 v[182:183], v[4:5], v[134:135]
	v_mul_f64_e32 v[134:135], v[6:7], v[134:135]
	v_fmac_f64_e32 v[184:185], v[178:179], v[128:129]
	v_fma_f64 v[176:177], v[176:177], v[128:129], -v[130:131]
	scratch_load_b128 v[128:131], off, off offset:816
	v_add_f64_e32 v[180:181], v[180:181], v[186:187]
	v_add_f64_e32 v[178:179], v[190:191], v[188:189]
	v_fmac_f64_e32 v[182:183], v[6:7], v[132:133]
	v_fma_f64 v[188:189], v[4:5], v[132:133], -v[134:135]
	ds_load_b128 v[4:7], v2 offset:1552
	s_wait_loadcnt_dscnt 0xb01
	v_mul_f64_e32 v[186:187], v[168:169], v[138:139]
	v_mul_f64_e32 v[138:139], v[170:171], v[138:139]
	scratch_load_b128 v[132:135], off, off offset:832
	v_add_f64_e32 v[180:181], v[180:181], v[184:185]
	s_wait_loadcnt_dscnt 0xb00
	v_mul_f64_e32 v[184:185], v[4:5], v[142:143]
	v_add_f64_e32 v[190:191], v[178:179], v[176:177]
	v_mul_f64_e32 v[142:143], v[6:7], v[142:143]
	ds_load_b128 v[176:179], v2 offset:1568
	v_fmac_f64_e32 v[186:187], v[170:171], v[136:137]
	v_fma_f64 v[168:169], v[168:169], v[136:137], -v[138:139]
	scratch_load_b128 v[136:139], off, off offset:848
	v_add_f64_e32 v[180:181], v[180:181], v[182:183]
	v_fmac_f64_e32 v[184:185], v[6:7], v[140:141]
	v_add_f64_e32 v[170:171], v[190:191], v[188:189]
	v_fma_f64 v[188:189], v[4:5], v[140:141], -v[142:143]
	ds_load_b128 v[4:7], v2 offset:1584
	s_wait_loadcnt_dscnt 0xb01
	v_mul_f64_e32 v[182:183], v[176:177], v[146:147]
	v_mul_f64_e32 v[146:147], v[178:179], v[146:147]
	scratch_load_b128 v[140:143], off, off offset:864
	v_add_f64_e32 v[180:181], v[180:181], v[186:187]
	s_wait_loadcnt_dscnt 0xb00
	v_mul_f64_e32 v[186:187], v[4:5], v[150:151]
	v_add_f64_e32 v[190:191], v[170:171], v[168:169]
	v_mul_f64_e32 v[150:151], v[6:7], v[150:151]
	ds_load_b128 v[168:171], v2 offset:1600
	v_fmac_f64_e32 v[182:183], v[178:179], v[144:145]
	v_fma_f64 v[144:145], v[176:177], v[144:145], -v[146:147]
	s_wait_loadcnt_dscnt 0xa00
	v_mul_f64_e32 v[178:179], v[168:169], v[154:155]
	v_mul_f64_e32 v[154:155], v[170:171], v[154:155]
	v_add_f64_e32 v[176:177], v[180:181], v[184:185]
	v_fmac_f64_e32 v[186:187], v[6:7], v[148:149]
	v_add_f64_e32 v[146:147], v[190:191], v[188:189]
	v_fma_f64 v[148:149], v[4:5], v[148:149], -v[150:151]
	v_fmac_f64_e32 v[178:179], v[170:171], v[152:153]
	v_fma_f64 v[152:153], v[168:169], v[152:153], -v[154:155]
	v_add_f64_e32 v[176:177], v[176:177], v[182:183]
	v_add_f64_e32 v[150:151], v[146:147], v[144:145]
	ds_load_b128 v[4:7], v2 offset:1616
	ds_load_b128 v[144:147], v2 offset:1632
	s_wait_loadcnt_dscnt 0x901
	v_mul_f64_e32 v[180:181], v[4:5], v[162:163]
	v_mul_f64_e32 v[162:163], v[6:7], v[162:163]
	s_wait_loadcnt_dscnt 0x700
	v_mul_f64_e32 v[154:155], v[144:145], v[174:175]
	v_mul_f64_e32 v[168:169], v[146:147], v[174:175]
	v_add_f64_e32 v[148:149], v[150:151], v[148:149]
	v_add_f64_e32 v[150:151], v[176:177], v[186:187]
	v_fmac_f64_e32 v[180:181], v[6:7], v[160:161]
	v_fma_f64 v[160:161], v[4:5], v[160:161], -v[162:163]
	v_fmac_f64_e32 v[154:155], v[146:147], v[172:173]
	v_fma_f64 v[144:145], v[144:145], v[172:173], -v[168:169]
	v_add_f64_e32 v[152:153], v[148:149], v[152:153]
	v_add_f64_e32 v[162:163], v[150:151], v[178:179]
	ds_load_b128 v[4:7], v2 offset:1648
	ds_load_b128 v[148:151], v2 offset:1664
	s_wait_loadcnt_dscnt 0x601
	v_mul_f64_e32 v[170:171], v[4:5], v[158:159]
	v_mul_f64_e32 v[158:159], v[6:7], v[158:159]
	v_add_f64_e32 v[146:147], v[152:153], v[160:161]
	v_add_f64_e32 v[152:153], v[162:163], v[180:181]
	s_wait_loadcnt_dscnt 0x500
	v_mul_f64_e32 v[160:161], v[148:149], v[10:11]
	v_mul_f64_e32 v[10:11], v[150:151], v[10:11]
	v_fmac_f64_e32 v[170:171], v[6:7], v[156:157]
	v_fma_f64 v[156:157], v[4:5], v[156:157], -v[158:159]
	v_add_f64_e32 v[158:159], v[146:147], v[144:145]
	v_add_f64_e32 v[152:153], v[152:153], v[154:155]
	ds_load_b128 v[4:7], v2 offset:1680
	ds_load_b128 v[144:147], v2 offset:1696
	v_fmac_f64_e32 v[160:161], v[150:151], v[8:9]
	v_fma_f64 v[8:9], v[148:149], v[8:9], -v[10:11]
	s_wait_loadcnt_dscnt 0x401
	v_mul_f64_e32 v[154:155], v[4:5], v[14:15]
	v_mul_f64_e32 v[14:15], v[6:7], v[14:15]
	s_wait_loadcnt_dscnt 0x300
	v_mul_f64_e32 v[150:151], v[144:145], v[130:131]
	v_mul_f64_e32 v[130:131], v[146:147], v[130:131]
	v_add_f64_e32 v[10:11], v[158:159], v[156:157]
	v_add_f64_e32 v[148:149], v[152:153], v[170:171]
	v_fmac_f64_e32 v[154:155], v[6:7], v[12:13]
	v_fma_f64 v[12:13], v[4:5], v[12:13], -v[14:15]
	v_fmac_f64_e32 v[150:151], v[146:147], v[128:129]
	v_fma_f64 v[128:129], v[144:145], v[128:129], -v[130:131]
	v_add_f64_e32 v[14:15], v[10:11], v[8:9]
	v_add_f64_e32 v[148:149], v[148:149], v[160:161]
	ds_load_b128 v[4:7], v2 offset:1712
	ds_load_b128 v[8:11], v2 offset:1728
	s_wait_loadcnt_dscnt 0x201
	v_mul_f64_e32 v[152:153], v[4:5], v[134:135]
	v_mul_f64_e32 v[134:135], v[6:7], v[134:135]
	s_wait_loadcnt_dscnt 0x100
	v_mul_f64_e32 v[130:131], v[8:9], v[138:139]
	v_mul_f64_e32 v[138:139], v[10:11], v[138:139]
	v_add_f64_e32 v[12:13], v[14:15], v[12:13]
	v_add_f64_e32 v[14:15], v[148:149], v[154:155]
	v_fmac_f64_e32 v[152:153], v[6:7], v[132:133]
	v_fma_f64 v[132:133], v[4:5], v[132:133], -v[134:135]
	ds_load_b128 v[4:7], v2 offset:1744
	v_fmac_f64_e32 v[130:131], v[10:11], v[136:137]
	v_fma_f64 v[8:9], v[8:9], v[136:137], -v[138:139]
	v_add_f64_e32 v[12:13], v[12:13], v[128:129]
	v_add_f64_e32 v[14:15], v[14:15], v[150:151]
	s_wait_loadcnt_dscnt 0x0
	v_mul_f64_e32 v[128:129], v[4:5], v[142:143]
	v_mul_f64_e32 v[134:135], v[6:7], v[142:143]
	s_delay_alu instid0(VALU_DEP_4) | instskip(NEXT) | instid1(VALU_DEP_4)
	v_add_f64_e32 v[10:11], v[12:13], v[132:133]
	v_add_f64_e32 v[12:13], v[14:15], v[152:153]
	s_delay_alu instid0(VALU_DEP_4) | instskip(NEXT) | instid1(VALU_DEP_4)
	v_fmac_f64_e32 v[128:129], v[6:7], v[140:141]
	v_fma_f64 v[4:5], v[4:5], v[140:141], -v[134:135]
	s_delay_alu instid0(VALU_DEP_4) | instskip(NEXT) | instid1(VALU_DEP_4)
	v_add_f64_e32 v[6:7], v[10:11], v[8:9]
	v_add_f64_e32 v[8:9], v[12:13], v[130:131]
	s_delay_alu instid0(VALU_DEP_2) | instskip(NEXT) | instid1(VALU_DEP_2)
	v_add_f64_e32 v[4:5], v[6:7], v[4:5]
	v_add_f64_e32 v[6:7], v[8:9], v[128:129]
	s_delay_alu instid0(VALU_DEP_2) | instskip(NEXT) | instid1(VALU_DEP_2)
	v_add_f64_e64 v[4:5], v[164:165], -v[4:5]
	v_add_f64_e64 v[6:7], v[166:167], -v[6:7]
	scratch_store_b128 off, v[4:7], off offset:560
	s_wait_xcnt 0x0
	v_cmpx_lt_u32_e32 34, v1
	s_cbranch_execz .LBB118_275
; %bb.274:
	scratch_load_b128 v[6:9], off, s37
	v_dual_mov_b32 v3, v2 :: v_dual_mov_b32 v4, v2
	v_mov_b32_e32 v5, v2
	scratch_store_b128 off, v[2:5], off offset:544
	s_wait_loadcnt 0x0
	ds_store_b128 v126, v[6:9]
.LBB118_275:
	s_wait_xcnt 0x0
	s_or_b32 exec_lo, exec_lo, s2
	s_wait_storecnt_dscnt 0x0
	s_barrier_signal -1
	s_barrier_wait -1
	s_clause 0x9
	scratch_load_b128 v[4:7], off, off offset:560
	scratch_load_b128 v[8:11], off, off offset:576
	;; [unrolled: 1-line block ×10, first 2 shown]
	ds_load_b128 v[156:159], v2 offset:1440
	ds_load_b128 v[164:167], v2 offset:1456
	s_clause 0x2
	scratch_load_b128 v[160:163], off, off offset:720
	scratch_load_b128 v[168:171], off, off offset:544
	;; [unrolled: 1-line block ×3, first 2 shown]
	s_mov_b32 s2, exec_lo
	s_wait_loadcnt_dscnt 0xc01
	v_mul_f64_e32 v[176:177], v[158:159], v[6:7]
	v_mul_f64_e32 v[180:181], v[156:157], v[6:7]
	s_wait_loadcnt_dscnt 0xb00
	v_mul_f64_e32 v[182:183], v[164:165], v[10:11]
	v_mul_f64_e32 v[10:11], v[166:167], v[10:11]
	s_delay_alu instid0(VALU_DEP_4) | instskip(NEXT) | instid1(VALU_DEP_4)
	v_fma_f64 v[184:185], v[156:157], v[4:5], -v[176:177]
	v_fmac_f64_e32 v[180:181], v[158:159], v[4:5]
	ds_load_b128 v[4:7], v2 offset:1472
	ds_load_b128 v[156:159], v2 offset:1488
	scratch_load_b128 v[176:179], off, off offset:752
	v_fmac_f64_e32 v[182:183], v[166:167], v[8:9]
	v_fma_f64 v[164:165], v[164:165], v[8:9], -v[10:11]
	scratch_load_b128 v[8:11], off, off offset:768
	s_wait_loadcnt_dscnt 0xc01
	v_mul_f64_e32 v[186:187], v[4:5], v[14:15]
	v_mul_f64_e32 v[14:15], v[6:7], v[14:15]
	v_add_f64_e32 v[166:167], 0, v[184:185]
	v_add_f64_e32 v[180:181], 0, v[180:181]
	s_wait_loadcnt_dscnt 0xb00
	v_mul_f64_e32 v[184:185], v[156:157], v[130:131]
	v_mul_f64_e32 v[130:131], v[158:159], v[130:131]
	v_fmac_f64_e32 v[186:187], v[6:7], v[12:13]
	v_fma_f64 v[188:189], v[4:5], v[12:13], -v[14:15]
	ds_load_b128 v[4:7], v2 offset:1504
	ds_load_b128 v[12:15], v2 offset:1520
	v_add_f64_e32 v[190:191], v[166:167], v[164:165]
	v_add_f64_e32 v[180:181], v[180:181], v[182:183]
	scratch_load_b128 v[164:167], off, off offset:784
	v_fmac_f64_e32 v[184:185], v[158:159], v[128:129]
	v_fma_f64 v[156:157], v[156:157], v[128:129], -v[130:131]
	scratch_load_b128 v[128:131], off, off offset:800
	s_wait_loadcnt_dscnt 0xc01
	v_mul_f64_e32 v[182:183], v[4:5], v[134:135]
	v_mul_f64_e32 v[134:135], v[6:7], v[134:135]
	v_add_f64_e32 v[158:159], v[190:191], v[188:189]
	v_add_f64_e32 v[180:181], v[180:181], v[186:187]
	s_wait_loadcnt_dscnt 0xb00
	v_mul_f64_e32 v[186:187], v[12:13], v[138:139]
	v_mul_f64_e32 v[138:139], v[14:15], v[138:139]
	v_fmac_f64_e32 v[182:183], v[6:7], v[132:133]
	v_fma_f64 v[188:189], v[4:5], v[132:133], -v[134:135]
	ds_load_b128 v[4:7], v2 offset:1536
	ds_load_b128 v[132:135], v2 offset:1552
	v_add_f64_e32 v[190:191], v[158:159], v[156:157]
	v_add_f64_e32 v[180:181], v[180:181], v[184:185]
	scratch_load_b128 v[156:159], off, off offset:816
	s_wait_loadcnt_dscnt 0xb01
	v_mul_f64_e32 v[184:185], v[4:5], v[142:143]
	v_mul_f64_e32 v[142:143], v[6:7], v[142:143]
	v_fmac_f64_e32 v[186:187], v[14:15], v[136:137]
	v_fma_f64 v[136:137], v[12:13], v[136:137], -v[138:139]
	scratch_load_b128 v[12:15], off, off offset:832
	v_add_f64_e32 v[138:139], v[190:191], v[188:189]
	v_add_f64_e32 v[180:181], v[180:181], v[182:183]
	s_wait_loadcnt_dscnt 0xb00
	v_mul_f64_e32 v[182:183], v[132:133], v[146:147]
	v_mul_f64_e32 v[146:147], v[134:135], v[146:147]
	v_fmac_f64_e32 v[184:185], v[6:7], v[140:141]
	v_fma_f64 v[188:189], v[4:5], v[140:141], -v[142:143]
	v_add_f64_e32 v[190:191], v[138:139], v[136:137]
	v_add_f64_e32 v[180:181], v[180:181], v[186:187]
	ds_load_b128 v[4:7], v2 offset:1568
	ds_load_b128 v[136:139], v2 offset:1584
	scratch_load_b128 v[140:143], off, off offset:848
	v_fmac_f64_e32 v[182:183], v[134:135], v[144:145]
	v_fma_f64 v[144:145], v[132:133], v[144:145], -v[146:147]
	scratch_load_b128 v[132:135], off, off offset:864
	s_wait_loadcnt_dscnt 0xc01
	v_mul_f64_e32 v[186:187], v[4:5], v[150:151]
	v_mul_f64_e32 v[150:151], v[6:7], v[150:151]
	v_add_f64_e32 v[146:147], v[190:191], v[188:189]
	v_add_f64_e32 v[180:181], v[180:181], v[184:185]
	s_wait_loadcnt_dscnt 0xb00
	v_mul_f64_e32 v[184:185], v[136:137], v[154:155]
	v_mul_f64_e32 v[154:155], v[138:139], v[154:155]
	v_fmac_f64_e32 v[186:187], v[6:7], v[148:149]
	v_fma_f64 v[148:149], v[4:5], v[148:149], -v[150:151]
	v_add_f64_e32 v[150:151], v[146:147], v[144:145]
	v_add_f64_e32 v[180:181], v[180:181], v[182:183]
	ds_load_b128 v[4:7], v2 offset:1600
	ds_load_b128 v[144:147], v2 offset:1616
	v_fmac_f64_e32 v[184:185], v[138:139], v[152:153]
	v_fma_f64 v[136:137], v[136:137], v[152:153], -v[154:155]
	s_wait_loadcnt_dscnt 0xa01
	v_mul_f64_e32 v[182:183], v[4:5], v[162:163]
	v_mul_f64_e32 v[162:163], v[6:7], v[162:163]
	s_wait_loadcnt_dscnt 0x800
	v_mul_f64_e32 v[152:153], v[146:147], v[174:175]
	v_add_f64_e32 v[138:139], v[150:151], v[148:149]
	v_add_f64_e32 v[148:149], v[180:181], v[186:187]
	v_mul_f64_e32 v[150:151], v[144:145], v[174:175]
	v_fmac_f64_e32 v[182:183], v[6:7], v[160:161]
	v_fma_f64 v[154:155], v[4:5], v[160:161], -v[162:163]
	v_fma_f64 v[144:145], v[144:145], v[172:173], -v[152:153]
	v_add_f64_e32 v[160:161], v[138:139], v[136:137]
	v_add_f64_e32 v[148:149], v[148:149], v[184:185]
	ds_load_b128 v[4:7], v2 offset:1632
	ds_load_b128 v[136:139], v2 offset:1648
	v_fmac_f64_e32 v[150:151], v[146:147], v[172:173]
	s_wait_loadcnt_dscnt 0x701
	v_mul_f64_e32 v[162:163], v[4:5], v[178:179]
	v_mul_f64_e32 v[174:175], v[6:7], v[178:179]
	s_wait_loadcnt_dscnt 0x600
	v_mul_f64_e32 v[152:153], v[136:137], v[10:11]
	v_mul_f64_e32 v[10:11], v[138:139], v[10:11]
	v_add_f64_e32 v[146:147], v[160:161], v[154:155]
	v_add_f64_e32 v[148:149], v[148:149], v[182:183]
	v_fmac_f64_e32 v[162:163], v[6:7], v[176:177]
	v_fma_f64 v[154:155], v[4:5], v[176:177], -v[174:175]
	v_fmac_f64_e32 v[152:153], v[138:139], v[8:9]
	v_fma_f64 v[8:9], v[136:137], v[8:9], -v[10:11]
	v_add_f64_e32 v[160:161], v[146:147], v[144:145]
	v_add_f64_e32 v[148:149], v[148:149], v[150:151]
	ds_load_b128 v[4:7], v2 offset:1664
	ds_load_b128 v[144:147], v2 offset:1680
	s_wait_loadcnt_dscnt 0x501
	v_mul_f64_e32 v[150:151], v[4:5], v[166:167]
	v_mul_f64_e32 v[166:167], v[6:7], v[166:167]
	s_wait_loadcnt_dscnt 0x400
	v_mul_f64_e32 v[138:139], v[144:145], v[130:131]
	v_mul_f64_e32 v[130:131], v[146:147], v[130:131]
	v_add_f64_e32 v[10:11], v[160:161], v[154:155]
	v_add_f64_e32 v[136:137], v[148:149], v[162:163]
	v_fmac_f64_e32 v[150:151], v[6:7], v[164:165]
	v_fma_f64 v[148:149], v[4:5], v[164:165], -v[166:167]
	v_fmac_f64_e32 v[138:139], v[146:147], v[128:129]
	v_fma_f64 v[128:129], v[144:145], v[128:129], -v[130:131]
	v_add_f64_e32 v[154:155], v[10:11], v[8:9]
	v_add_f64_e32 v[136:137], v[136:137], v[152:153]
	ds_load_b128 v[4:7], v2 offset:1696
	ds_load_b128 v[8:11], v2 offset:1712
	;; [unrolled: 16-line block ×3, first 2 shown]
	s_wait_loadcnt_dscnt 0x101
	v_mul_f64_e32 v[2:3], v[4:5], v[142:143]
	v_mul_f64_e32 v[138:139], v[6:7], v[142:143]
	s_wait_loadcnt_dscnt 0x0
	v_mul_f64_e32 v[14:15], v[128:129], v[134:135]
	v_mul_f64_e32 v[134:135], v[130:131], v[134:135]
	v_add_f64_e32 v[10:11], v[148:149], v[146:147]
	v_add_f64_e32 v[12:13], v[136:137], v[152:153]
	v_fmac_f64_e32 v[2:3], v[6:7], v[140:141]
	v_fma_f64 v[4:5], v[4:5], v[140:141], -v[138:139]
	v_fmac_f64_e32 v[14:15], v[130:131], v[132:133]
	v_add_f64_e32 v[6:7], v[10:11], v[8:9]
	v_add_f64_e32 v[8:9], v[12:13], v[144:145]
	v_fma_f64 v[10:11], v[128:129], v[132:133], -v[134:135]
	s_delay_alu instid0(VALU_DEP_3) | instskip(NEXT) | instid1(VALU_DEP_3)
	v_add_f64_e32 v[4:5], v[6:7], v[4:5]
	v_add_f64_e32 v[2:3], v[8:9], v[2:3]
	s_delay_alu instid0(VALU_DEP_2) | instskip(NEXT) | instid1(VALU_DEP_2)
	v_add_f64_e32 v[4:5], v[4:5], v[10:11]
	v_add_f64_e32 v[6:7], v[2:3], v[14:15]
	s_delay_alu instid0(VALU_DEP_2) | instskip(NEXT) | instid1(VALU_DEP_2)
	v_add_f64_e64 v[2:3], v[168:169], -v[4:5]
	v_add_f64_e64 v[4:5], v[170:171], -v[6:7]
	scratch_store_b128 off, v[2:5], off offset:544
	s_wait_xcnt 0x0
	v_cmpx_lt_u32_e32 33, v1
	s_cbranch_execz .LBB118_277
; %bb.276:
	scratch_load_b128 v[2:5], off, s38
	v_mov_b32_e32 v6, 0
	s_delay_alu instid0(VALU_DEP_1)
	v_dual_mov_b32 v7, v6 :: v_dual_mov_b32 v8, v6
	v_mov_b32_e32 v9, v6
	scratch_store_b128 off, v[6:9], off offset:528
	s_wait_loadcnt 0x0
	ds_store_b128 v126, v[2:5]
.LBB118_277:
	s_wait_xcnt 0x0
	s_or_b32 exec_lo, exec_lo, s2
	s_wait_storecnt_dscnt 0x0
	s_barrier_signal -1
	s_barrier_wait -1
	s_clause 0x9
	scratch_load_b128 v[4:7], off, off offset:544
	scratch_load_b128 v[8:11], off, off offset:560
	;; [unrolled: 1-line block ×10, first 2 shown]
	v_mov_b32_e32 v2, 0
	s_mov_b32 s2, exec_lo
	ds_load_b128 v[156:159], v2 offset:1424
	s_clause 0x2
	scratch_load_b128 v[160:163], off, off offset:704
	scratch_load_b128 v[164:167], off, off offset:528
	;; [unrolled: 1-line block ×3, first 2 shown]
	s_wait_loadcnt_dscnt 0xc00
	v_mul_f64_e32 v[176:177], v[158:159], v[6:7]
	v_mul_f64_e32 v[180:181], v[156:157], v[6:7]
	ds_load_b128 v[168:171], v2 offset:1440
	v_fma_f64 v[184:185], v[156:157], v[4:5], -v[176:177]
	v_fmac_f64_e32 v[180:181], v[158:159], v[4:5]
	ds_load_b128 v[4:7], v2 offset:1456
	s_wait_loadcnt_dscnt 0xb01
	v_mul_f64_e32 v[182:183], v[168:169], v[10:11]
	v_mul_f64_e32 v[10:11], v[170:171], v[10:11]
	scratch_load_b128 v[156:159], off, off offset:736
	ds_load_b128 v[176:179], v2 offset:1472
	s_wait_loadcnt_dscnt 0xb01
	v_mul_f64_e32 v[186:187], v[4:5], v[14:15]
	v_mul_f64_e32 v[14:15], v[6:7], v[14:15]
	v_add_f64_e32 v[180:181], 0, v[180:181]
	v_fmac_f64_e32 v[182:183], v[170:171], v[8:9]
	v_fma_f64 v[168:169], v[168:169], v[8:9], -v[10:11]
	v_add_f64_e32 v[170:171], 0, v[184:185]
	scratch_load_b128 v[8:11], off, off offset:752
	v_fmac_f64_e32 v[186:187], v[6:7], v[12:13]
	v_fma_f64 v[188:189], v[4:5], v[12:13], -v[14:15]
	ds_load_b128 v[4:7], v2 offset:1488
	s_wait_loadcnt_dscnt 0xb01
	v_mul_f64_e32 v[184:185], v[176:177], v[130:131]
	v_mul_f64_e32 v[130:131], v[178:179], v[130:131]
	scratch_load_b128 v[12:15], off, off offset:768
	v_add_f64_e32 v[180:181], v[180:181], v[182:183]
	v_add_f64_e32 v[190:191], v[170:171], v[168:169]
	ds_load_b128 v[168:171], v2 offset:1504
	s_wait_loadcnt_dscnt 0xb01
	v_mul_f64_e32 v[182:183], v[4:5], v[134:135]
	v_mul_f64_e32 v[134:135], v[6:7], v[134:135]
	v_fmac_f64_e32 v[184:185], v[178:179], v[128:129]
	v_fma_f64 v[176:177], v[176:177], v[128:129], -v[130:131]
	scratch_load_b128 v[128:131], off, off offset:784
	v_add_f64_e32 v[180:181], v[180:181], v[186:187]
	v_add_f64_e32 v[178:179], v[190:191], v[188:189]
	v_fmac_f64_e32 v[182:183], v[6:7], v[132:133]
	v_fma_f64 v[188:189], v[4:5], v[132:133], -v[134:135]
	ds_load_b128 v[4:7], v2 offset:1520
	s_wait_loadcnt_dscnt 0xb01
	v_mul_f64_e32 v[186:187], v[168:169], v[138:139]
	v_mul_f64_e32 v[138:139], v[170:171], v[138:139]
	scratch_load_b128 v[132:135], off, off offset:800
	v_add_f64_e32 v[180:181], v[180:181], v[184:185]
	s_wait_loadcnt_dscnt 0xb00
	v_mul_f64_e32 v[184:185], v[4:5], v[142:143]
	v_add_f64_e32 v[190:191], v[178:179], v[176:177]
	v_mul_f64_e32 v[142:143], v[6:7], v[142:143]
	ds_load_b128 v[176:179], v2 offset:1536
	v_fmac_f64_e32 v[186:187], v[170:171], v[136:137]
	v_fma_f64 v[168:169], v[168:169], v[136:137], -v[138:139]
	scratch_load_b128 v[136:139], off, off offset:816
	v_add_f64_e32 v[180:181], v[180:181], v[182:183]
	v_fmac_f64_e32 v[184:185], v[6:7], v[140:141]
	v_add_f64_e32 v[170:171], v[190:191], v[188:189]
	v_fma_f64 v[188:189], v[4:5], v[140:141], -v[142:143]
	ds_load_b128 v[4:7], v2 offset:1552
	s_wait_loadcnt_dscnt 0xb01
	v_mul_f64_e32 v[182:183], v[176:177], v[146:147]
	v_mul_f64_e32 v[146:147], v[178:179], v[146:147]
	scratch_load_b128 v[140:143], off, off offset:832
	v_add_f64_e32 v[180:181], v[180:181], v[186:187]
	s_wait_loadcnt_dscnt 0xb00
	v_mul_f64_e32 v[186:187], v[4:5], v[150:151]
	v_add_f64_e32 v[190:191], v[170:171], v[168:169]
	v_mul_f64_e32 v[150:151], v[6:7], v[150:151]
	ds_load_b128 v[168:171], v2 offset:1568
	v_fmac_f64_e32 v[182:183], v[178:179], v[144:145]
	v_fma_f64 v[176:177], v[176:177], v[144:145], -v[146:147]
	scratch_load_b128 v[144:147], off, off offset:848
	v_add_f64_e32 v[180:181], v[180:181], v[184:185]
	v_fmac_f64_e32 v[186:187], v[6:7], v[148:149]
	v_add_f64_e32 v[178:179], v[190:191], v[188:189]
	v_fma_f64 v[188:189], v[4:5], v[148:149], -v[150:151]
	ds_load_b128 v[4:7], v2 offset:1584
	s_wait_loadcnt_dscnt 0xb01
	v_mul_f64_e32 v[184:185], v[168:169], v[154:155]
	v_mul_f64_e32 v[154:155], v[170:171], v[154:155]
	scratch_load_b128 v[148:151], off, off offset:864
	v_add_f64_e32 v[180:181], v[180:181], v[182:183]
	s_wait_loadcnt_dscnt 0xb00
	v_mul_f64_e32 v[182:183], v[4:5], v[162:163]
	v_add_f64_e32 v[190:191], v[178:179], v[176:177]
	v_mul_f64_e32 v[162:163], v[6:7], v[162:163]
	ds_load_b128 v[176:179], v2 offset:1600
	v_fmac_f64_e32 v[184:185], v[170:171], v[152:153]
	v_fma_f64 v[152:153], v[168:169], v[152:153], -v[154:155]
	s_wait_loadcnt_dscnt 0x900
	v_mul_f64_e32 v[170:171], v[176:177], v[174:175]
	v_mul_f64_e32 v[174:175], v[178:179], v[174:175]
	v_add_f64_e32 v[168:169], v[180:181], v[186:187]
	v_fmac_f64_e32 v[182:183], v[6:7], v[160:161]
	v_add_f64_e32 v[154:155], v[190:191], v[188:189]
	v_fma_f64 v[160:161], v[4:5], v[160:161], -v[162:163]
	v_fmac_f64_e32 v[170:171], v[178:179], v[172:173]
	v_fma_f64 v[172:173], v[176:177], v[172:173], -v[174:175]
	v_add_f64_e32 v[168:169], v[168:169], v[184:185]
	v_add_f64_e32 v[162:163], v[154:155], v[152:153]
	ds_load_b128 v[4:7], v2 offset:1616
	ds_load_b128 v[152:155], v2 offset:1632
	s_wait_loadcnt_dscnt 0x801
	v_mul_f64_e32 v[180:181], v[4:5], v[158:159]
	v_mul_f64_e32 v[158:159], v[6:7], v[158:159]
	v_add_f64_e32 v[160:161], v[162:163], v[160:161]
	v_add_f64_e32 v[162:163], v[168:169], v[182:183]
	s_wait_loadcnt_dscnt 0x700
	v_mul_f64_e32 v[168:169], v[152:153], v[10:11]
	v_mul_f64_e32 v[10:11], v[154:155], v[10:11]
	v_fmac_f64_e32 v[180:181], v[6:7], v[156:157]
	v_fma_f64 v[174:175], v[4:5], v[156:157], -v[158:159]
	ds_load_b128 v[4:7], v2 offset:1648
	ds_load_b128 v[156:159], v2 offset:1664
	v_add_f64_e32 v[160:161], v[160:161], v[172:173]
	v_add_f64_e32 v[162:163], v[162:163], v[170:171]
	v_fmac_f64_e32 v[168:169], v[154:155], v[8:9]
	v_fma_f64 v[8:9], v[152:153], v[8:9], -v[10:11]
	s_wait_loadcnt_dscnt 0x601
	v_mul_f64_e32 v[170:171], v[4:5], v[14:15]
	v_mul_f64_e32 v[14:15], v[6:7], v[14:15]
	s_wait_loadcnt_dscnt 0x500
	v_mul_f64_e32 v[154:155], v[156:157], v[130:131]
	v_mul_f64_e32 v[130:131], v[158:159], v[130:131]
	v_add_f64_e32 v[10:11], v[160:161], v[174:175]
	v_add_f64_e32 v[152:153], v[162:163], v[180:181]
	v_fmac_f64_e32 v[170:171], v[6:7], v[12:13]
	v_fma_f64 v[12:13], v[4:5], v[12:13], -v[14:15]
	v_fmac_f64_e32 v[154:155], v[158:159], v[128:129]
	v_fma_f64 v[128:129], v[156:157], v[128:129], -v[130:131]
	v_add_f64_e32 v[14:15], v[10:11], v[8:9]
	v_add_f64_e32 v[152:153], v[152:153], v[168:169]
	ds_load_b128 v[4:7], v2 offset:1680
	ds_load_b128 v[8:11], v2 offset:1696
	s_wait_loadcnt_dscnt 0x401
	v_mul_f64_e32 v[160:161], v[4:5], v[134:135]
	v_mul_f64_e32 v[134:135], v[6:7], v[134:135]
	s_wait_loadcnt_dscnt 0x300
	v_mul_f64_e32 v[130:131], v[8:9], v[138:139]
	v_mul_f64_e32 v[138:139], v[10:11], v[138:139]
	v_add_f64_e32 v[12:13], v[14:15], v[12:13]
	v_add_f64_e32 v[14:15], v[152:153], v[170:171]
	v_fmac_f64_e32 v[160:161], v[6:7], v[132:133]
	v_fma_f64 v[132:133], v[4:5], v[132:133], -v[134:135]
	v_fmac_f64_e32 v[130:131], v[10:11], v[136:137]
	v_fma_f64 v[8:9], v[8:9], v[136:137], -v[138:139]
	v_add_f64_e32 v[128:129], v[12:13], v[128:129]
	v_add_f64_e32 v[134:135], v[14:15], v[154:155]
	ds_load_b128 v[4:7], v2 offset:1712
	ds_load_b128 v[12:15], v2 offset:1728
	s_wait_loadcnt_dscnt 0x201
	v_mul_f64_e32 v[152:153], v[4:5], v[142:143]
	v_mul_f64_e32 v[142:143], v[6:7], v[142:143]
	v_add_f64_e32 v[10:11], v[128:129], v[132:133]
	v_add_f64_e32 v[128:129], v[134:135], v[160:161]
	s_wait_loadcnt_dscnt 0x100
	v_mul_f64_e32 v[132:133], v[12:13], v[146:147]
	v_mul_f64_e32 v[134:135], v[14:15], v[146:147]
	v_fmac_f64_e32 v[152:153], v[6:7], v[140:141]
	v_fma_f64 v[136:137], v[4:5], v[140:141], -v[142:143]
	ds_load_b128 v[4:7], v2 offset:1744
	v_add_f64_e32 v[8:9], v[10:11], v[8:9]
	v_add_f64_e32 v[10:11], v[128:129], v[130:131]
	v_fmac_f64_e32 v[132:133], v[14:15], v[144:145]
	v_fma_f64 v[12:13], v[12:13], v[144:145], -v[134:135]
	s_wait_loadcnt_dscnt 0x0
	v_mul_f64_e32 v[128:129], v[4:5], v[150:151]
	v_mul_f64_e32 v[130:131], v[6:7], v[150:151]
	v_add_f64_e32 v[8:9], v[8:9], v[136:137]
	v_add_f64_e32 v[10:11], v[10:11], v[152:153]
	s_delay_alu instid0(VALU_DEP_4) | instskip(NEXT) | instid1(VALU_DEP_4)
	v_fmac_f64_e32 v[128:129], v[6:7], v[148:149]
	v_fma_f64 v[4:5], v[4:5], v[148:149], -v[130:131]
	s_delay_alu instid0(VALU_DEP_4) | instskip(NEXT) | instid1(VALU_DEP_4)
	v_add_f64_e32 v[6:7], v[8:9], v[12:13]
	v_add_f64_e32 v[8:9], v[10:11], v[132:133]
	s_delay_alu instid0(VALU_DEP_2) | instskip(NEXT) | instid1(VALU_DEP_2)
	v_add_f64_e32 v[4:5], v[6:7], v[4:5]
	v_add_f64_e32 v[6:7], v[8:9], v[128:129]
	s_delay_alu instid0(VALU_DEP_2) | instskip(NEXT) | instid1(VALU_DEP_2)
	v_add_f64_e64 v[4:5], v[164:165], -v[4:5]
	v_add_f64_e64 v[6:7], v[166:167], -v[6:7]
	scratch_store_b128 off, v[4:7], off offset:528
	s_wait_xcnt 0x0
	v_cmpx_lt_u32_e32 32, v1
	s_cbranch_execz .LBB118_279
; %bb.278:
	scratch_load_b128 v[6:9], off, s39
	v_dual_mov_b32 v3, v2 :: v_dual_mov_b32 v4, v2
	v_mov_b32_e32 v5, v2
	scratch_store_b128 off, v[2:5], off offset:512
	s_wait_loadcnt 0x0
	ds_store_b128 v126, v[6:9]
.LBB118_279:
	s_wait_xcnt 0x0
	s_or_b32 exec_lo, exec_lo, s2
	s_wait_storecnt_dscnt 0x0
	s_barrier_signal -1
	s_barrier_wait -1
	s_clause 0x9
	scratch_load_b128 v[4:7], off, off offset:528
	scratch_load_b128 v[8:11], off, off offset:544
	;; [unrolled: 1-line block ×10, first 2 shown]
	ds_load_b128 v[156:159], v2 offset:1408
	ds_load_b128 v[164:167], v2 offset:1424
	s_clause 0x2
	scratch_load_b128 v[160:163], off, off offset:688
	scratch_load_b128 v[168:171], off, off offset:512
	;; [unrolled: 1-line block ×3, first 2 shown]
	s_mov_b32 s2, exec_lo
	s_wait_loadcnt_dscnt 0xc01
	v_mul_f64_e32 v[176:177], v[158:159], v[6:7]
	v_mul_f64_e32 v[180:181], v[156:157], v[6:7]
	s_wait_loadcnt_dscnt 0xb00
	v_mul_f64_e32 v[182:183], v[164:165], v[10:11]
	v_mul_f64_e32 v[10:11], v[166:167], v[10:11]
	s_delay_alu instid0(VALU_DEP_4) | instskip(NEXT) | instid1(VALU_DEP_4)
	v_fma_f64 v[184:185], v[156:157], v[4:5], -v[176:177]
	v_fmac_f64_e32 v[180:181], v[158:159], v[4:5]
	ds_load_b128 v[4:7], v2 offset:1440
	ds_load_b128 v[156:159], v2 offset:1456
	scratch_load_b128 v[176:179], off, off offset:720
	v_fmac_f64_e32 v[182:183], v[166:167], v[8:9]
	v_fma_f64 v[164:165], v[164:165], v[8:9], -v[10:11]
	scratch_load_b128 v[8:11], off, off offset:736
	s_wait_loadcnt_dscnt 0xc01
	v_mul_f64_e32 v[186:187], v[4:5], v[14:15]
	v_mul_f64_e32 v[14:15], v[6:7], v[14:15]
	v_add_f64_e32 v[166:167], 0, v[184:185]
	v_add_f64_e32 v[180:181], 0, v[180:181]
	s_wait_loadcnt_dscnt 0xb00
	v_mul_f64_e32 v[184:185], v[156:157], v[130:131]
	v_mul_f64_e32 v[130:131], v[158:159], v[130:131]
	v_fmac_f64_e32 v[186:187], v[6:7], v[12:13]
	v_fma_f64 v[188:189], v[4:5], v[12:13], -v[14:15]
	ds_load_b128 v[4:7], v2 offset:1472
	ds_load_b128 v[12:15], v2 offset:1488
	v_add_f64_e32 v[190:191], v[166:167], v[164:165]
	v_add_f64_e32 v[180:181], v[180:181], v[182:183]
	scratch_load_b128 v[164:167], off, off offset:752
	v_fmac_f64_e32 v[184:185], v[158:159], v[128:129]
	v_fma_f64 v[156:157], v[156:157], v[128:129], -v[130:131]
	scratch_load_b128 v[128:131], off, off offset:768
	s_wait_loadcnt_dscnt 0xc01
	v_mul_f64_e32 v[182:183], v[4:5], v[134:135]
	v_mul_f64_e32 v[134:135], v[6:7], v[134:135]
	v_add_f64_e32 v[158:159], v[190:191], v[188:189]
	v_add_f64_e32 v[180:181], v[180:181], v[186:187]
	s_wait_loadcnt_dscnt 0xb00
	v_mul_f64_e32 v[186:187], v[12:13], v[138:139]
	v_mul_f64_e32 v[138:139], v[14:15], v[138:139]
	v_fmac_f64_e32 v[182:183], v[6:7], v[132:133]
	v_fma_f64 v[188:189], v[4:5], v[132:133], -v[134:135]
	ds_load_b128 v[4:7], v2 offset:1504
	ds_load_b128 v[132:135], v2 offset:1520
	v_add_f64_e32 v[190:191], v[158:159], v[156:157]
	v_add_f64_e32 v[180:181], v[180:181], v[184:185]
	scratch_load_b128 v[156:159], off, off offset:784
	s_wait_loadcnt_dscnt 0xb01
	v_mul_f64_e32 v[184:185], v[4:5], v[142:143]
	v_mul_f64_e32 v[142:143], v[6:7], v[142:143]
	v_fmac_f64_e32 v[186:187], v[14:15], v[136:137]
	v_fma_f64 v[136:137], v[12:13], v[136:137], -v[138:139]
	scratch_load_b128 v[12:15], off, off offset:800
	v_add_f64_e32 v[138:139], v[190:191], v[188:189]
	v_add_f64_e32 v[180:181], v[180:181], v[182:183]
	s_wait_loadcnt_dscnt 0xb00
	v_mul_f64_e32 v[182:183], v[132:133], v[146:147]
	v_mul_f64_e32 v[146:147], v[134:135], v[146:147]
	v_fmac_f64_e32 v[184:185], v[6:7], v[140:141]
	v_fma_f64 v[188:189], v[4:5], v[140:141], -v[142:143]
	v_add_f64_e32 v[190:191], v[138:139], v[136:137]
	v_add_f64_e32 v[180:181], v[180:181], v[186:187]
	ds_load_b128 v[4:7], v2 offset:1536
	ds_load_b128 v[136:139], v2 offset:1552
	scratch_load_b128 v[140:143], off, off offset:816
	v_fmac_f64_e32 v[182:183], v[134:135], v[144:145]
	v_fma_f64 v[144:145], v[132:133], v[144:145], -v[146:147]
	scratch_load_b128 v[132:135], off, off offset:832
	s_wait_loadcnt_dscnt 0xc01
	v_mul_f64_e32 v[186:187], v[4:5], v[150:151]
	v_mul_f64_e32 v[150:151], v[6:7], v[150:151]
	v_add_f64_e32 v[146:147], v[190:191], v[188:189]
	v_add_f64_e32 v[180:181], v[180:181], v[184:185]
	s_wait_loadcnt_dscnt 0xb00
	v_mul_f64_e32 v[184:185], v[136:137], v[154:155]
	v_mul_f64_e32 v[154:155], v[138:139], v[154:155]
	v_fmac_f64_e32 v[186:187], v[6:7], v[148:149]
	v_fma_f64 v[188:189], v[4:5], v[148:149], -v[150:151]
	v_add_f64_e32 v[190:191], v[146:147], v[144:145]
	v_add_f64_e32 v[180:181], v[180:181], v[182:183]
	ds_load_b128 v[4:7], v2 offset:1568
	ds_load_b128 v[144:147], v2 offset:1584
	scratch_load_b128 v[148:151], off, off offset:848
	v_fmac_f64_e32 v[184:185], v[138:139], v[152:153]
	v_fma_f64 v[152:153], v[136:137], v[152:153], -v[154:155]
	scratch_load_b128 v[136:139], off, off offset:864
	s_wait_loadcnt_dscnt 0xc01
	v_mul_f64_e32 v[182:183], v[4:5], v[162:163]
	v_mul_f64_e32 v[162:163], v[6:7], v[162:163]
	v_add_f64_e32 v[154:155], v[190:191], v[188:189]
	v_add_f64_e32 v[180:181], v[180:181], v[186:187]
	s_wait_loadcnt_dscnt 0xa00
	v_mul_f64_e32 v[186:187], v[144:145], v[174:175]
	v_mul_f64_e32 v[174:175], v[146:147], v[174:175]
	v_fmac_f64_e32 v[182:183], v[6:7], v[160:161]
	v_fma_f64 v[160:161], v[4:5], v[160:161], -v[162:163]
	v_add_f64_e32 v[162:163], v[154:155], v[152:153]
	v_add_f64_e32 v[180:181], v[180:181], v[184:185]
	ds_load_b128 v[4:7], v2 offset:1600
	ds_load_b128 v[152:155], v2 offset:1616
	v_fmac_f64_e32 v[186:187], v[146:147], v[172:173]
	v_fma_f64 v[144:145], v[144:145], v[172:173], -v[174:175]
	s_wait_loadcnt_dscnt 0x901
	v_mul_f64_e32 v[184:185], v[4:5], v[178:179]
	v_mul_f64_e32 v[178:179], v[6:7], v[178:179]
	v_add_f64_e32 v[146:147], v[162:163], v[160:161]
	v_add_f64_e32 v[160:161], v[180:181], v[182:183]
	s_wait_loadcnt_dscnt 0x800
	v_mul_f64_e32 v[162:163], v[152:153], v[10:11]
	v_mul_f64_e32 v[10:11], v[154:155], v[10:11]
	v_fmac_f64_e32 v[184:185], v[6:7], v[176:177]
	v_fma_f64 v[172:173], v[4:5], v[176:177], -v[178:179]
	v_add_f64_e32 v[174:175], v[146:147], v[144:145]
	v_add_f64_e32 v[160:161], v[160:161], v[186:187]
	ds_load_b128 v[4:7], v2 offset:1632
	ds_load_b128 v[144:147], v2 offset:1648
	v_fmac_f64_e32 v[162:163], v[154:155], v[8:9]
	v_fma_f64 v[8:9], v[152:153], v[8:9], -v[10:11]
	s_wait_loadcnt_dscnt 0x701
	v_mul_f64_e32 v[176:177], v[4:5], v[166:167]
	v_mul_f64_e32 v[166:167], v[6:7], v[166:167]
	s_wait_loadcnt_dscnt 0x600
	v_mul_f64_e32 v[154:155], v[144:145], v[130:131]
	v_mul_f64_e32 v[130:131], v[146:147], v[130:131]
	v_add_f64_e32 v[10:11], v[174:175], v[172:173]
	v_add_f64_e32 v[152:153], v[160:161], v[184:185]
	v_fmac_f64_e32 v[176:177], v[6:7], v[164:165]
	v_fma_f64 v[160:161], v[4:5], v[164:165], -v[166:167]
	v_fmac_f64_e32 v[154:155], v[146:147], v[128:129]
	v_fma_f64 v[128:129], v[144:145], v[128:129], -v[130:131]
	v_add_f64_e32 v[164:165], v[10:11], v[8:9]
	v_add_f64_e32 v[152:153], v[152:153], v[162:163]
	ds_load_b128 v[4:7], v2 offset:1664
	ds_load_b128 v[8:11], v2 offset:1680
	s_wait_loadcnt_dscnt 0x501
	v_mul_f64_e32 v[162:163], v[4:5], v[158:159]
	v_mul_f64_e32 v[158:159], v[6:7], v[158:159]
	s_wait_loadcnt_dscnt 0x400
	v_mul_f64_e32 v[146:147], v[8:9], v[14:15]
	v_mul_f64_e32 v[14:15], v[10:11], v[14:15]
	v_add_f64_e32 v[130:131], v[164:165], v[160:161]
	v_add_f64_e32 v[144:145], v[152:153], v[176:177]
	v_fmac_f64_e32 v[162:163], v[6:7], v[156:157]
	v_fma_f64 v[152:153], v[4:5], v[156:157], -v[158:159]
	v_fmac_f64_e32 v[146:147], v[10:11], v[12:13]
	v_fma_f64 v[8:9], v[8:9], v[12:13], -v[14:15]
	v_add_f64_e32 v[156:157], v[130:131], v[128:129]
	v_add_f64_e32 v[144:145], v[144:145], v[154:155]
	ds_load_b128 v[4:7], v2 offset:1696
	ds_load_b128 v[128:131], v2 offset:1712
	;; [unrolled: 16-line block ×3, first 2 shown]
	s_wait_loadcnt_dscnt 0x101
	v_mul_f64_e32 v[2:3], v[4:5], v[150:151]
	v_mul_f64_e32 v[144:145], v[6:7], v[150:151]
	s_wait_loadcnt_dscnt 0x0
	v_mul_f64_e32 v[132:133], v[8:9], v[138:139]
	v_mul_f64_e32 v[134:135], v[10:11], v[138:139]
	v_add_f64_e32 v[130:131], v[142:143], v[140:141]
	v_add_f64_e32 v[12:13], v[12:13], v[154:155]
	v_fmac_f64_e32 v[2:3], v[6:7], v[148:149]
	v_fma_f64 v[4:5], v[4:5], v[148:149], -v[144:145]
	v_fmac_f64_e32 v[132:133], v[10:11], v[136:137]
	v_fma_f64 v[8:9], v[8:9], v[136:137], -v[134:135]
	v_add_f64_e32 v[6:7], v[130:131], v[128:129]
	v_add_f64_e32 v[12:13], v[12:13], v[14:15]
	s_delay_alu instid0(VALU_DEP_2) | instskip(NEXT) | instid1(VALU_DEP_2)
	v_add_f64_e32 v[4:5], v[6:7], v[4:5]
	v_add_f64_e32 v[2:3], v[12:13], v[2:3]
	s_delay_alu instid0(VALU_DEP_2) | instskip(NEXT) | instid1(VALU_DEP_2)
	;; [unrolled: 3-line block ×3, first 2 shown]
	v_add_f64_e64 v[2:3], v[168:169], -v[4:5]
	v_add_f64_e64 v[4:5], v[170:171], -v[6:7]
	scratch_store_b128 off, v[2:5], off offset:512
	s_wait_xcnt 0x0
	v_cmpx_lt_u32_e32 31, v1
	s_cbranch_execz .LBB118_281
; %bb.280:
	scratch_load_b128 v[2:5], off, s40
	v_mov_b32_e32 v6, 0
	s_delay_alu instid0(VALU_DEP_1)
	v_dual_mov_b32 v7, v6 :: v_dual_mov_b32 v8, v6
	v_mov_b32_e32 v9, v6
	scratch_store_b128 off, v[6:9], off offset:496
	s_wait_loadcnt 0x0
	ds_store_b128 v126, v[2:5]
.LBB118_281:
	s_wait_xcnt 0x0
	s_or_b32 exec_lo, exec_lo, s2
	s_wait_storecnt_dscnt 0x0
	s_barrier_signal -1
	s_barrier_wait -1
	s_clause 0x9
	scratch_load_b128 v[4:7], off, off offset:512
	scratch_load_b128 v[8:11], off, off offset:528
	;; [unrolled: 1-line block ×10, first 2 shown]
	v_mov_b32_e32 v2, 0
	s_mov_b32 s2, exec_lo
	ds_load_b128 v[156:159], v2 offset:1392
	s_clause 0x2
	scratch_load_b128 v[160:163], off, off offset:672
	scratch_load_b128 v[164:167], off, off offset:496
	;; [unrolled: 1-line block ×3, first 2 shown]
	s_wait_loadcnt_dscnt 0xc00
	v_mul_f64_e32 v[176:177], v[158:159], v[6:7]
	v_mul_f64_e32 v[180:181], v[156:157], v[6:7]
	ds_load_b128 v[168:171], v2 offset:1408
	v_fma_f64 v[184:185], v[156:157], v[4:5], -v[176:177]
	v_fmac_f64_e32 v[180:181], v[158:159], v[4:5]
	ds_load_b128 v[4:7], v2 offset:1424
	s_wait_loadcnt_dscnt 0xb01
	v_mul_f64_e32 v[182:183], v[168:169], v[10:11]
	v_mul_f64_e32 v[10:11], v[170:171], v[10:11]
	scratch_load_b128 v[156:159], off, off offset:704
	ds_load_b128 v[176:179], v2 offset:1440
	s_wait_loadcnt_dscnt 0xb01
	v_mul_f64_e32 v[186:187], v[4:5], v[14:15]
	v_mul_f64_e32 v[14:15], v[6:7], v[14:15]
	v_add_f64_e32 v[180:181], 0, v[180:181]
	v_fmac_f64_e32 v[182:183], v[170:171], v[8:9]
	v_fma_f64 v[168:169], v[168:169], v[8:9], -v[10:11]
	v_add_f64_e32 v[170:171], 0, v[184:185]
	scratch_load_b128 v[8:11], off, off offset:720
	v_fmac_f64_e32 v[186:187], v[6:7], v[12:13]
	v_fma_f64 v[188:189], v[4:5], v[12:13], -v[14:15]
	ds_load_b128 v[4:7], v2 offset:1456
	s_wait_loadcnt_dscnt 0xb01
	v_mul_f64_e32 v[184:185], v[176:177], v[130:131]
	v_mul_f64_e32 v[130:131], v[178:179], v[130:131]
	scratch_load_b128 v[12:15], off, off offset:736
	v_add_f64_e32 v[180:181], v[180:181], v[182:183]
	v_add_f64_e32 v[190:191], v[170:171], v[168:169]
	ds_load_b128 v[168:171], v2 offset:1472
	s_wait_loadcnt_dscnt 0xb01
	v_mul_f64_e32 v[182:183], v[4:5], v[134:135]
	v_mul_f64_e32 v[134:135], v[6:7], v[134:135]
	v_fmac_f64_e32 v[184:185], v[178:179], v[128:129]
	v_fma_f64 v[176:177], v[176:177], v[128:129], -v[130:131]
	scratch_load_b128 v[128:131], off, off offset:752
	v_add_f64_e32 v[180:181], v[180:181], v[186:187]
	v_add_f64_e32 v[178:179], v[190:191], v[188:189]
	v_fmac_f64_e32 v[182:183], v[6:7], v[132:133]
	v_fma_f64 v[188:189], v[4:5], v[132:133], -v[134:135]
	ds_load_b128 v[4:7], v2 offset:1488
	s_wait_loadcnt_dscnt 0xb01
	v_mul_f64_e32 v[186:187], v[168:169], v[138:139]
	v_mul_f64_e32 v[138:139], v[170:171], v[138:139]
	scratch_load_b128 v[132:135], off, off offset:768
	v_add_f64_e32 v[180:181], v[180:181], v[184:185]
	s_wait_loadcnt_dscnt 0xb00
	v_mul_f64_e32 v[184:185], v[4:5], v[142:143]
	v_add_f64_e32 v[190:191], v[178:179], v[176:177]
	v_mul_f64_e32 v[142:143], v[6:7], v[142:143]
	ds_load_b128 v[176:179], v2 offset:1504
	v_fmac_f64_e32 v[186:187], v[170:171], v[136:137]
	v_fma_f64 v[168:169], v[168:169], v[136:137], -v[138:139]
	scratch_load_b128 v[136:139], off, off offset:784
	v_add_f64_e32 v[180:181], v[180:181], v[182:183]
	v_fmac_f64_e32 v[184:185], v[6:7], v[140:141]
	v_add_f64_e32 v[170:171], v[190:191], v[188:189]
	v_fma_f64 v[188:189], v[4:5], v[140:141], -v[142:143]
	ds_load_b128 v[4:7], v2 offset:1520
	s_wait_loadcnt_dscnt 0xb01
	v_mul_f64_e32 v[182:183], v[176:177], v[146:147]
	v_mul_f64_e32 v[146:147], v[178:179], v[146:147]
	scratch_load_b128 v[140:143], off, off offset:800
	v_add_f64_e32 v[180:181], v[180:181], v[186:187]
	s_wait_loadcnt_dscnt 0xb00
	v_mul_f64_e32 v[186:187], v[4:5], v[150:151]
	v_add_f64_e32 v[190:191], v[170:171], v[168:169]
	v_mul_f64_e32 v[150:151], v[6:7], v[150:151]
	ds_load_b128 v[168:171], v2 offset:1536
	v_fmac_f64_e32 v[182:183], v[178:179], v[144:145]
	v_fma_f64 v[176:177], v[176:177], v[144:145], -v[146:147]
	scratch_load_b128 v[144:147], off, off offset:816
	v_add_f64_e32 v[180:181], v[180:181], v[184:185]
	v_fmac_f64_e32 v[186:187], v[6:7], v[148:149]
	v_add_f64_e32 v[178:179], v[190:191], v[188:189]
	;; [unrolled: 18-line block ×3, first 2 shown]
	v_fma_f64 v[188:189], v[4:5], v[160:161], -v[162:163]
	ds_load_b128 v[4:7], v2 offset:1584
	s_wait_loadcnt_dscnt 0xa01
	v_mul_f64_e32 v[186:187], v[176:177], v[174:175]
	v_mul_f64_e32 v[174:175], v[178:179], v[174:175]
	scratch_load_b128 v[160:163], off, off offset:864
	v_add_f64_e32 v[180:181], v[180:181], v[184:185]
	v_add_f64_e32 v[190:191], v[170:171], v[168:169]
	s_wait_loadcnt_dscnt 0xa00
	v_mul_f64_e32 v[184:185], v[4:5], v[158:159]
	v_mul_f64_e32 v[158:159], v[6:7], v[158:159]
	v_fmac_f64_e32 v[186:187], v[178:179], v[172:173]
	v_fma_f64 v[172:173], v[176:177], v[172:173], -v[174:175]
	ds_load_b128 v[168:171], v2 offset:1600
	v_add_f64_e32 v[176:177], v[180:181], v[182:183]
	v_add_f64_e32 v[174:175], v[190:191], v[188:189]
	s_wait_loadcnt_dscnt 0x900
	v_mul_f64_e32 v[178:179], v[168:169], v[10:11]
	v_mul_f64_e32 v[10:11], v[170:171], v[10:11]
	v_fmac_f64_e32 v[184:185], v[6:7], v[156:157]
	v_fma_f64 v[180:181], v[4:5], v[156:157], -v[158:159]
	ds_load_b128 v[4:7], v2 offset:1616
	ds_load_b128 v[156:159], v2 offset:1632
	v_add_f64_e32 v[172:173], v[174:175], v[172:173]
	v_add_f64_e32 v[174:175], v[176:177], v[186:187]
	s_wait_loadcnt_dscnt 0x801
	v_mul_f64_e32 v[176:177], v[4:5], v[14:15]
	v_mul_f64_e32 v[14:15], v[6:7], v[14:15]
	v_fmac_f64_e32 v[178:179], v[170:171], v[8:9]
	v_fma_f64 v[8:9], v[168:169], v[8:9], -v[10:11]
	s_wait_loadcnt_dscnt 0x700
	v_mul_f64_e32 v[170:171], v[156:157], v[130:131]
	v_mul_f64_e32 v[130:131], v[158:159], v[130:131]
	v_add_f64_e32 v[10:11], v[172:173], v[180:181]
	v_add_f64_e32 v[168:169], v[174:175], v[184:185]
	v_fmac_f64_e32 v[176:177], v[6:7], v[12:13]
	v_fma_f64 v[12:13], v[4:5], v[12:13], -v[14:15]
	v_fmac_f64_e32 v[170:171], v[158:159], v[128:129]
	v_fma_f64 v[128:129], v[156:157], v[128:129], -v[130:131]
	v_add_f64_e32 v[14:15], v[10:11], v[8:9]
	v_add_f64_e32 v[168:169], v[168:169], v[178:179]
	ds_load_b128 v[4:7], v2 offset:1648
	ds_load_b128 v[8:11], v2 offset:1664
	s_wait_loadcnt_dscnt 0x601
	v_mul_f64_e32 v[172:173], v[4:5], v[134:135]
	v_mul_f64_e32 v[134:135], v[6:7], v[134:135]
	s_wait_loadcnt_dscnt 0x500
	v_mul_f64_e32 v[130:131], v[8:9], v[138:139]
	v_mul_f64_e32 v[138:139], v[10:11], v[138:139]
	v_add_f64_e32 v[12:13], v[14:15], v[12:13]
	v_add_f64_e32 v[14:15], v[168:169], v[176:177]
	v_fmac_f64_e32 v[172:173], v[6:7], v[132:133]
	v_fma_f64 v[132:133], v[4:5], v[132:133], -v[134:135]
	v_fmac_f64_e32 v[130:131], v[10:11], v[136:137]
	v_fma_f64 v[8:9], v[8:9], v[136:137], -v[138:139]
	v_add_f64_e32 v[128:129], v[12:13], v[128:129]
	v_add_f64_e32 v[134:135], v[14:15], v[170:171]
	ds_load_b128 v[4:7], v2 offset:1680
	ds_load_b128 v[12:15], v2 offset:1696
	s_wait_loadcnt_dscnt 0x401
	v_mul_f64_e32 v[156:157], v[4:5], v[142:143]
	v_mul_f64_e32 v[142:143], v[6:7], v[142:143]
	v_add_f64_e32 v[10:11], v[128:129], v[132:133]
	v_add_f64_e32 v[128:129], v[134:135], v[172:173]
	s_wait_loadcnt_dscnt 0x300
	v_mul_f64_e32 v[132:133], v[12:13], v[146:147]
	v_mul_f64_e32 v[134:135], v[14:15], v[146:147]
	v_fmac_f64_e32 v[156:157], v[6:7], v[140:141]
	v_fma_f64 v[136:137], v[4:5], v[140:141], -v[142:143]
	v_add_f64_e32 v[138:139], v[10:11], v[8:9]
	v_add_f64_e32 v[128:129], v[128:129], v[130:131]
	ds_load_b128 v[4:7], v2 offset:1712
	ds_load_b128 v[8:11], v2 offset:1728
	v_fmac_f64_e32 v[132:133], v[14:15], v[144:145]
	v_fma_f64 v[12:13], v[12:13], v[144:145], -v[134:135]
	s_wait_loadcnt_dscnt 0x201
	v_mul_f64_e32 v[130:131], v[4:5], v[150:151]
	v_mul_f64_e32 v[140:141], v[6:7], v[150:151]
	s_wait_loadcnt_dscnt 0x100
	v_mul_f64_e32 v[134:135], v[8:9], v[154:155]
	v_add_f64_e32 v[14:15], v[138:139], v[136:137]
	v_add_f64_e32 v[128:129], v[128:129], v[156:157]
	v_mul_f64_e32 v[136:137], v[10:11], v[154:155]
	v_fmac_f64_e32 v[130:131], v[6:7], v[148:149]
	v_fma_f64 v[138:139], v[4:5], v[148:149], -v[140:141]
	ds_load_b128 v[4:7], v2 offset:1744
	v_fmac_f64_e32 v[134:135], v[10:11], v[152:153]
	v_add_f64_e32 v[12:13], v[14:15], v[12:13]
	v_add_f64_e32 v[14:15], v[128:129], v[132:133]
	v_fma_f64 v[8:9], v[8:9], v[152:153], -v[136:137]
	s_wait_loadcnt_dscnt 0x0
	v_mul_f64_e32 v[128:129], v[4:5], v[162:163]
	v_mul_f64_e32 v[132:133], v[6:7], v[162:163]
	v_add_f64_e32 v[10:11], v[12:13], v[138:139]
	v_add_f64_e32 v[12:13], v[14:15], v[130:131]
	s_delay_alu instid0(VALU_DEP_4) | instskip(NEXT) | instid1(VALU_DEP_4)
	v_fmac_f64_e32 v[128:129], v[6:7], v[160:161]
	v_fma_f64 v[4:5], v[4:5], v[160:161], -v[132:133]
	s_delay_alu instid0(VALU_DEP_4) | instskip(NEXT) | instid1(VALU_DEP_4)
	v_add_f64_e32 v[6:7], v[10:11], v[8:9]
	v_add_f64_e32 v[8:9], v[12:13], v[134:135]
	s_delay_alu instid0(VALU_DEP_2) | instskip(NEXT) | instid1(VALU_DEP_2)
	v_add_f64_e32 v[4:5], v[6:7], v[4:5]
	v_add_f64_e32 v[6:7], v[8:9], v[128:129]
	s_delay_alu instid0(VALU_DEP_2) | instskip(NEXT) | instid1(VALU_DEP_2)
	v_add_f64_e64 v[4:5], v[164:165], -v[4:5]
	v_add_f64_e64 v[6:7], v[166:167], -v[6:7]
	scratch_store_b128 off, v[4:7], off offset:496
	s_wait_xcnt 0x0
	v_cmpx_lt_u32_e32 30, v1
	s_cbranch_execz .LBB118_283
; %bb.282:
	scratch_load_b128 v[6:9], off, s41
	v_dual_mov_b32 v3, v2 :: v_dual_mov_b32 v4, v2
	v_mov_b32_e32 v5, v2
	scratch_store_b128 off, v[2:5], off offset:480
	s_wait_loadcnt 0x0
	ds_store_b128 v126, v[6:9]
.LBB118_283:
	s_wait_xcnt 0x0
	s_or_b32 exec_lo, exec_lo, s2
	s_wait_storecnt_dscnt 0x0
	s_barrier_signal -1
	s_barrier_wait -1
	s_clause 0x9
	scratch_load_b128 v[4:7], off, off offset:496
	scratch_load_b128 v[8:11], off, off offset:512
	;; [unrolled: 1-line block ×10, first 2 shown]
	ds_load_b128 v[156:159], v2 offset:1376
	ds_load_b128 v[164:167], v2 offset:1392
	s_clause 0x2
	scratch_load_b128 v[160:163], off, off offset:656
	scratch_load_b128 v[168:171], off, off offset:480
	;; [unrolled: 1-line block ×3, first 2 shown]
	s_mov_b32 s2, exec_lo
	s_wait_loadcnt_dscnt 0xc01
	v_mul_f64_e32 v[176:177], v[158:159], v[6:7]
	v_mul_f64_e32 v[180:181], v[156:157], v[6:7]
	s_wait_loadcnt_dscnt 0xb00
	v_mul_f64_e32 v[182:183], v[164:165], v[10:11]
	v_mul_f64_e32 v[10:11], v[166:167], v[10:11]
	s_delay_alu instid0(VALU_DEP_4) | instskip(NEXT) | instid1(VALU_DEP_4)
	v_fma_f64 v[184:185], v[156:157], v[4:5], -v[176:177]
	v_fmac_f64_e32 v[180:181], v[158:159], v[4:5]
	ds_load_b128 v[4:7], v2 offset:1408
	ds_load_b128 v[156:159], v2 offset:1424
	scratch_load_b128 v[176:179], off, off offset:688
	v_fmac_f64_e32 v[182:183], v[166:167], v[8:9]
	v_fma_f64 v[164:165], v[164:165], v[8:9], -v[10:11]
	scratch_load_b128 v[8:11], off, off offset:704
	s_wait_loadcnt_dscnt 0xc01
	v_mul_f64_e32 v[186:187], v[4:5], v[14:15]
	v_mul_f64_e32 v[14:15], v[6:7], v[14:15]
	v_add_f64_e32 v[166:167], 0, v[184:185]
	v_add_f64_e32 v[180:181], 0, v[180:181]
	s_wait_loadcnt_dscnt 0xb00
	v_mul_f64_e32 v[184:185], v[156:157], v[130:131]
	v_mul_f64_e32 v[130:131], v[158:159], v[130:131]
	v_fmac_f64_e32 v[186:187], v[6:7], v[12:13]
	v_fma_f64 v[188:189], v[4:5], v[12:13], -v[14:15]
	ds_load_b128 v[4:7], v2 offset:1440
	ds_load_b128 v[12:15], v2 offset:1456
	v_add_f64_e32 v[190:191], v[166:167], v[164:165]
	v_add_f64_e32 v[180:181], v[180:181], v[182:183]
	scratch_load_b128 v[164:167], off, off offset:720
	v_fmac_f64_e32 v[184:185], v[158:159], v[128:129]
	v_fma_f64 v[156:157], v[156:157], v[128:129], -v[130:131]
	scratch_load_b128 v[128:131], off, off offset:736
	s_wait_loadcnt_dscnt 0xc01
	v_mul_f64_e32 v[182:183], v[4:5], v[134:135]
	v_mul_f64_e32 v[134:135], v[6:7], v[134:135]
	v_add_f64_e32 v[158:159], v[190:191], v[188:189]
	v_add_f64_e32 v[180:181], v[180:181], v[186:187]
	s_wait_loadcnt_dscnt 0xb00
	v_mul_f64_e32 v[186:187], v[12:13], v[138:139]
	v_mul_f64_e32 v[138:139], v[14:15], v[138:139]
	v_fmac_f64_e32 v[182:183], v[6:7], v[132:133]
	v_fma_f64 v[188:189], v[4:5], v[132:133], -v[134:135]
	ds_load_b128 v[4:7], v2 offset:1472
	ds_load_b128 v[132:135], v2 offset:1488
	v_add_f64_e32 v[190:191], v[158:159], v[156:157]
	v_add_f64_e32 v[180:181], v[180:181], v[184:185]
	scratch_load_b128 v[156:159], off, off offset:752
	s_wait_loadcnt_dscnt 0xb01
	v_mul_f64_e32 v[184:185], v[4:5], v[142:143]
	v_mul_f64_e32 v[142:143], v[6:7], v[142:143]
	v_fmac_f64_e32 v[186:187], v[14:15], v[136:137]
	v_fma_f64 v[136:137], v[12:13], v[136:137], -v[138:139]
	scratch_load_b128 v[12:15], off, off offset:768
	v_add_f64_e32 v[138:139], v[190:191], v[188:189]
	v_add_f64_e32 v[180:181], v[180:181], v[182:183]
	s_wait_loadcnt_dscnt 0xb00
	v_mul_f64_e32 v[182:183], v[132:133], v[146:147]
	v_mul_f64_e32 v[146:147], v[134:135], v[146:147]
	v_fmac_f64_e32 v[184:185], v[6:7], v[140:141]
	v_fma_f64 v[188:189], v[4:5], v[140:141], -v[142:143]
	v_add_f64_e32 v[190:191], v[138:139], v[136:137]
	v_add_f64_e32 v[180:181], v[180:181], v[186:187]
	ds_load_b128 v[4:7], v2 offset:1504
	ds_load_b128 v[136:139], v2 offset:1520
	scratch_load_b128 v[140:143], off, off offset:784
	v_fmac_f64_e32 v[182:183], v[134:135], v[144:145]
	v_fma_f64 v[144:145], v[132:133], v[144:145], -v[146:147]
	scratch_load_b128 v[132:135], off, off offset:800
	s_wait_loadcnt_dscnt 0xc01
	v_mul_f64_e32 v[186:187], v[4:5], v[150:151]
	v_mul_f64_e32 v[150:151], v[6:7], v[150:151]
	v_add_f64_e32 v[146:147], v[190:191], v[188:189]
	v_add_f64_e32 v[180:181], v[180:181], v[184:185]
	s_wait_loadcnt_dscnt 0xb00
	v_mul_f64_e32 v[184:185], v[136:137], v[154:155]
	v_mul_f64_e32 v[154:155], v[138:139], v[154:155]
	v_fmac_f64_e32 v[186:187], v[6:7], v[148:149]
	v_fma_f64 v[188:189], v[4:5], v[148:149], -v[150:151]
	v_add_f64_e32 v[190:191], v[146:147], v[144:145]
	v_add_f64_e32 v[180:181], v[180:181], v[182:183]
	ds_load_b128 v[4:7], v2 offset:1536
	ds_load_b128 v[144:147], v2 offset:1552
	scratch_load_b128 v[148:151], off, off offset:816
	v_fmac_f64_e32 v[184:185], v[138:139], v[152:153]
	v_fma_f64 v[152:153], v[136:137], v[152:153], -v[154:155]
	scratch_load_b128 v[136:139], off, off offset:832
	s_wait_loadcnt_dscnt 0xc01
	v_mul_f64_e32 v[182:183], v[4:5], v[162:163]
	v_mul_f64_e32 v[162:163], v[6:7], v[162:163]
	;; [unrolled: 18-line block ×3, first 2 shown]
	v_add_f64_e32 v[174:175], v[190:191], v[188:189]
	v_add_f64_e32 v[180:181], v[180:181], v[182:183]
	s_wait_loadcnt_dscnt 0xa00
	v_mul_f64_e32 v[182:183], v[152:153], v[10:11]
	v_mul_f64_e32 v[10:11], v[154:155], v[10:11]
	v_fmac_f64_e32 v[184:185], v[6:7], v[176:177]
	v_fma_f64 v[176:177], v[4:5], v[176:177], -v[178:179]
	v_add_f64_e32 v[178:179], v[174:175], v[172:173]
	v_add_f64_e32 v[180:181], v[180:181], v[186:187]
	ds_load_b128 v[4:7], v2 offset:1600
	ds_load_b128 v[172:175], v2 offset:1616
	v_fmac_f64_e32 v[182:183], v[154:155], v[8:9]
	v_fma_f64 v[8:9], v[152:153], v[8:9], -v[10:11]
	s_wait_loadcnt_dscnt 0x901
	v_mul_f64_e32 v[186:187], v[4:5], v[166:167]
	v_mul_f64_e32 v[166:167], v[6:7], v[166:167]
	s_wait_loadcnt_dscnt 0x800
	v_mul_f64_e32 v[154:155], v[172:173], v[130:131]
	v_mul_f64_e32 v[130:131], v[174:175], v[130:131]
	v_add_f64_e32 v[10:11], v[178:179], v[176:177]
	v_add_f64_e32 v[152:153], v[180:181], v[184:185]
	v_fmac_f64_e32 v[186:187], v[6:7], v[164:165]
	v_fma_f64 v[164:165], v[4:5], v[164:165], -v[166:167]
	v_fmac_f64_e32 v[154:155], v[174:175], v[128:129]
	v_fma_f64 v[128:129], v[172:173], v[128:129], -v[130:131]
	v_add_f64_e32 v[166:167], v[10:11], v[8:9]
	v_add_f64_e32 v[152:153], v[152:153], v[182:183]
	ds_load_b128 v[4:7], v2 offset:1632
	ds_load_b128 v[8:11], v2 offset:1648
	s_wait_loadcnt_dscnt 0x701
	v_mul_f64_e32 v[176:177], v[4:5], v[158:159]
	v_mul_f64_e32 v[158:159], v[6:7], v[158:159]
	v_add_f64_e32 v[130:131], v[166:167], v[164:165]
	v_add_f64_e32 v[152:153], v[152:153], v[186:187]
	s_wait_loadcnt_dscnt 0x600
	v_mul_f64_e32 v[164:165], v[8:9], v[14:15]
	v_mul_f64_e32 v[14:15], v[10:11], v[14:15]
	v_fmac_f64_e32 v[176:177], v[6:7], v[156:157]
	v_fma_f64 v[156:157], v[4:5], v[156:157], -v[158:159]
	v_add_f64_e32 v[158:159], v[130:131], v[128:129]
	v_add_f64_e32 v[152:153], v[152:153], v[154:155]
	ds_load_b128 v[4:7], v2 offset:1664
	ds_load_b128 v[128:131], v2 offset:1680
	v_fmac_f64_e32 v[164:165], v[10:11], v[12:13]
	v_fma_f64 v[8:9], v[8:9], v[12:13], -v[14:15]
	s_wait_loadcnt_dscnt 0x501
	v_mul_f64_e32 v[154:155], v[4:5], v[142:143]
	v_mul_f64_e32 v[142:143], v[6:7], v[142:143]
	s_wait_loadcnt_dscnt 0x400
	v_mul_f64_e32 v[14:15], v[128:129], v[134:135]
	v_mul_f64_e32 v[134:135], v[130:131], v[134:135]
	v_add_f64_e32 v[10:11], v[158:159], v[156:157]
	v_add_f64_e32 v[12:13], v[152:153], v[176:177]
	v_fmac_f64_e32 v[154:155], v[6:7], v[140:141]
	v_fma_f64 v[140:141], v[4:5], v[140:141], -v[142:143]
	v_fmac_f64_e32 v[14:15], v[130:131], v[132:133]
	v_fma_f64 v[128:129], v[128:129], v[132:133], -v[134:135]
	v_add_f64_e32 v[142:143], v[10:11], v[8:9]
	v_add_f64_e32 v[12:13], v[12:13], v[164:165]
	ds_load_b128 v[4:7], v2 offset:1696
	ds_load_b128 v[8:11], v2 offset:1712
	s_wait_loadcnt_dscnt 0x301
	v_mul_f64_e32 v[152:153], v[4:5], v[150:151]
	v_mul_f64_e32 v[150:151], v[6:7], v[150:151]
	s_wait_loadcnt_dscnt 0x200
	v_mul_f64_e32 v[132:133], v[8:9], v[138:139]
	v_mul_f64_e32 v[134:135], v[10:11], v[138:139]
	v_add_f64_e32 v[130:131], v[142:143], v[140:141]
	v_add_f64_e32 v[12:13], v[12:13], v[154:155]
	v_fmac_f64_e32 v[152:153], v[6:7], v[148:149]
	v_fma_f64 v[138:139], v[4:5], v[148:149], -v[150:151]
	v_fmac_f64_e32 v[132:133], v[10:11], v[136:137]
	v_fma_f64 v[8:9], v[8:9], v[136:137], -v[134:135]
	v_add_f64_e32 v[128:129], v[130:131], v[128:129]
	v_add_f64_e32 v[130:131], v[12:13], v[14:15]
	ds_load_b128 v[4:7], v2 offset:1728
	ds_load_b128 v[12:15], v2 offset:1744
	s_wait_loadcnt_dscnt 0x101
	v_mul_f64_e32 v[2:3], v[4:5], v[162:163]
	v_mul_f64_e32 v[140:141], v[6:7], v[162:163]
	s_wait_loadcnt_dscnt 0x0
	v_mul_f64_e32 v[134:135], v[14:15], v[146:147]
	v_add_f64_e32 v[10:11], v[128:129], v[138:139]
	v_add_f64_e32 v[128:129], v[130:131], v[152:153]
	v_mul_f64_e32 v[130:131], v[12:13], v[146:147]
	v_fmac_f64_e32 v[2:3], v[6:7], v[160:161]
	v_fma_f64 v[4:5], v[4:5], v[160:161], -v[140:141]
	v_add_f64_e32 v[6:7], v[10:11], v[8:9]
	v_add_f64_e32 v[8:9], v[128:129], v[132:133]
	v_fmac_f64_e32 v[130:131], v[14:15], v[144:145]
	v_fma_f64 v[10:11], v[12:13], v[144:145], -v[134:135]
	s_delay_alu instid0(VALU_DEP_4) | instskip(NEXT) | instid1(VALU_DEP_4)
	v_add_f64_e32 v[4:5], v[6:7], v[4:5]
	v_add_f64_e32 v[2:3], v[8:9], v[2:3]
	s_delay_alu instid0(VALU_DEP_2) | instskip(NEXT) | instid1(VALU_DEP_2)
	v_add_f64_e32 v[4:5], v[4:5], v[10:11]
	v_add_f64_e32 v[6:7], v[2:3], v[130:131]
	s_delay_alu instid0(VALU_DEP_2) | instskip(NEXT) | instid1(VALU_DEP_2)
	v_add_f64_e64 v[2:3], v[168:169], -v[4:5]
	v_add_f64_e64 v[4:5], v[170:171], -v[6:7]
	scratch_store_b128 off, v[2:5], off offset:480
	s_wait_xcnt 0x0
	v_cmpx_lt_u32_e32 29, v1
	s_cbranch_execz .LBB118_285
; %bb.284:
	scratch_load_b128 v[2:5], off, s42
	v_mov_b32_e32 v6, 0
	s_delay_alu instid0(VALU_DEP_1)
	v_dual_mov_b32 v7, v6 :: v_dual_mov_b32 v8, v6
	v_mov_b32_e32 v9, v6
	scratch_store_b128 off, v[6:9], off offset:464
	s_wait_loadcnt 0x0
	ds_store_b128 v126, v[2:5]
.LBB118_285:
	s_wait_xcnt 0x0
	s_or_b32 exec_lo, exec_lo, s2
	s_wait_storecnt_dscnt 0x0
	s_barrier_signal -1
	s_barrier_wait -1
	s_clause 0x9
	scratch_load_b128 v[4:7], off, off offset:480
	scratch_load_b128 v[8:11], off, off offset:496
	;; [unrolled: 1-line block ×10, first 2 shown]
	v_mov_b32_e32 v2, 0
	s_mov_b32 s2, exec_lo
	ds_load_b128 v[156:159], v2 offset:1360
	s_clause 0x2
	scratch_load_b128 v[160:163], off, off offset:640
	scratch_load_b128 v[164:167], off, off offset:464
	;; [unrolled: 1-line block ×3, first 2 shown]
	s_wait_loadcnt_dscnt 0xc00
	v_mul_f64_e32 v[176:177], v[158:159], v[6:7]
	v_mul_f64_e32 v[180:181], v[156:157], v[6:7]
	ds_load_b128 v[168:171], v2 offset:1376
	v_fma_f64 v[184:185], v[156:157], v[4:5], -v[176:177]
	v_fmac_f64_e32 v[180:181], v[158:159], v[4:5]
	ds_load_b128 v[4:7], v2 offset:1392
	s_wait_loadcnt_dscnt 0xb01
	v_mul_f64_e32 v[182:183], v[168:169], v[10:11]
	v_mul_f64_e32 v[10:11], v[170:171], v[10:11]
	scratch_load_b128 v[156:159], off, off offset:672
	ds_load_b128 v[176:179], v2 offset:1408
	s_wait_loadcnt_dscnt 0xb01
	v_mul_f64_e32 v[186:187], v[4:5], v[14:15]
	v_mul_f64_e32 v[14:15], v[6:7], v[14:15]
	v_add_f64_e32 v[180:181], 0, v[180:181]
	v_fmac_f64_e32 v[182:183], v[170:171], v[8:9]
	v_fma_f64 v[168:169], v[168:169], v[8:9], -v[10:11]
	v_add_f64_e32 v[170:171], 0, v[184:185]
	scratch_load_b128 v[8:11], off, off offset:688
	v_fmac_f64_e32 v[186:187], v[6:7], v[12:13]
	v_fma_f64 v[188:189], v[4:5], v[12:13], -v[14:15]
	ds_load_b128 v[4:7], v2 offset:1424
	s_wait_loadcnt_dscnt 0xb01
	v_mul_f64_e32 v[184:185], v[176:177], v[130:131]
	v_mul_f64_e32 v[130:131], v[178:179], v[130:131]
	scratch_load_b128 v[12:15], off, off offset:704
	v_add_f64_e32 v[180:181], v[180:181], v[182:183]
	v_add_f64_e32 v[190:191], v[170:171], v[168:169]
	ds_load_b128 v[168:171], v2 offset:1440
	s_wait_loadcnt_dscnt 0xb01
	v_mul_f64_e32 v[182:183], v[4:5], v[134:135]
	v_mul_f64_e32 v[134:135], v[6:7], v[134:135]
	v_fmac_f64_e32 v[184:185], v[178:179], v[128:129]
	v_fma_f64 v[176:177], v[176:177], v[128:129], -v[130:131]
	scratch_load_b128 v[128:131], off, off offset:720
	v_add_f64_e32 v[180:181], v[180:181], v[186:187]
	v_add_f64_e32 v[178:179], v[190:191], v[188:189]
	v_fmac_f64_e32 v[182:183], v[6:7], v[132:133]
	v_fma_f64 v[188:189], v[4:5], v[132:133], -v[134:135]
	ds_load_b128 v[4:7], v2 offset:1456
	s_wait_loadcnt_dscnt 0xb01
	v_mul_f64_e32 v[186:187], v[168:169], v[138:139]
	v_mul_f64_e32 v[138:139], v[170:171], v[138:139]
	scratch_load_b128 v[132:135], off, off offset:736
	v_add_f64_e32 v[180:181], v[180:181], v[184:185]
	s_wait_loadcnt_dscnt 0xb00
	v_mul_f64_e32 v[184:185], v[4:5], v[142:143]
	v_add_f64_e32 v[190:191], v[178:179], v[176:177]
	v_mul_f64_e32 v[142:143], v[6:7], v[142:143]
	ds_load_b128 v[176:179], v2 offset:1472
	v_fmac_f64_e32 v[186:187], v[170:171], v[136:137]
	v_fma_f64 v[168:169], v[168:169], v[136:137], -v[138:139]
	scratch_load_b128 v[136:139], off, off offset:752
	v_add_f64_e32 v[180:181], v[180:181], v[182:183]
	v_fmac_f64_e32 v[184:185], v[6:7], v[140:141]
	v_add_f64_e32 v[170:171], v[190:191], v[188:189]
	v_fma_f64 v[188:189], v[4:5], v[140:141], -v[142:143]
	ds_load_b128 v[4:7], v2 offset:1488
	s_wait_loadcnt_dscnt 0xb01
	v_mul_f64_e32 v[182:183], v[176:177], v[146:147]
	v_mul_f64_e32 v[146:147], v[178:179], v[146:147]
	scratch_load_b128 v[140:143], off, off offset:768
	v_add_f64_e32 v[180:181], v[180:181], v[186:187]
	s_wait_loadcnt_dscnt 0xb00
	v_mul_f64_e32 v[186:187], v[4:5], v[150:151]
	v_add_f64_e32 v[190:191], v[170:171], v[168:169]
	v_mul_f64_e32 v[150:151], v[6:7], v[150:151]
	ds_load_b128 v[168:171], v2 offset:1504
	v_fmac_f64_e32 v[182:183], v[178:179], v[144:145]
	v_fma_f64 v[176:177], v[176:177], v[144:145], -v[146:147]
	scratch_load_b128 v[144:147], off, off offset:784
	v_add_f64_e32 v[180:181], v[180:181], v[184:185]
	v_fmac_f64_e32 v[186:187], v[6:7], v[148:149]
	v_add_f64_e32 v[178:179], v[190:191], v[188:189]
	;; [unrolled: 18-line block ×3, first 2 shown]
	v_fma_f64 v[188:189], v[4:5], v[160:161], -v[162:163]
	ds_load_b128 v[4:7], v2 offset:1552
	s_wait_loadcnt_dscnt 0xa01
	v_mul_f64_e32 v[186:187], v[176:177], v[174:175]
	v_mul_f64_e32 v[174:175], v[178:179], v[174:175]
	scratch_load_b128 v[160:163], off, off offset:832
	v_add_f64_e32 v[180:181], v[180:181], v[184:185]
	v_add_f64_e32 v[190:191], v[170:171], v[168:169]
	s_wait_loadcnt_dscnt 0xa00
	v_mul_f64_e32 v[184:185], v[4:5], v[158:159]
	v_mul_f64_e32 v[158:159], v[6:7], v[158:159]
	v_fmac_f64_e32 v[186:187], v[178:179], v[172:173]
	v_fma_f64 v[176:177], v[176:177], v[172:173], -v[174:175]
	ds_load_b128 v[168:171], v2 offset:1568
	scratch_load_b128 v[172:175], off, off offset:848
	v_add_f64_e32 v[180:181], v[180:181], v[182:183]
	v_add_f64_e32 v[178:179], v[190:191], v[188:189]
	v_fmac_f64_e32 v[184:185], v[6:7], v[156:157]
	v_fma_f64 v[188:189], v[4:5], v[156:157], -v[158:159]
	ds_load_b128 v[4:7], v2 offset:1584
	s_wait_loadcnt_dscnt 0xa01
	v_mul_f64_e32 v[182:183], v[168:169], v[10:11]
	v_mul_f64_e32 v[10:11], v[170:171], v[10:11]
	scratch_load_b128 v[156:159], off, off offset:864
	v_add_f64_e32 v[180:181], v[180:181], v[186:187]
	s_wait_loadcnt_dscnt 0xa00
	v_mul_f64_e32 v[186:187], v[4:5], v[14:15]
	v_add_f64_e32 v[190:191], v[178:179], v[176:177]
	v_mul_f64_e32 v[14:15], v[6:7], v[14:15]
	ds_load_b128 v[176:179], v2 offset:1600
	v_fmac_f64_e32 v[182:183], v[170:171], v[8:9]
	v_fma_f64 v[8:9], v[168:169], v[8:9], -v[10:11]
	s_wait_loadcnt_dscnt 0x900
	v_mul_f64_e32 v[170:171], v[176:177], v[130:131]
	v_mul_f64_e32 v[130:131], v[178:179], v[130:131]
	v_add_f64_e32 v[168:169], v[180:181], v[184:185]
	v_fmac_f64_e32 v[186:187], v[6:7], v[12:13]
	v_add_f64_e32 v[10:11], v[190:191], v[188:189]
	v_fma_f64 v[12:13], v[4:5], v[12:13], -v[14:15]
	v_fmac_f64_e32 v[170:171], v[178:179], v[128:129]
	v_fma_f64 v[128:129], v[176:177], v[128:129], -v[130:131]
	v_add_f64_e32 v[168:169], v[168:169], v[182:183]
	v_add_f64_e32 v[14:15], v[10:11], v[8:9]
	ds_load_b128 v[4:7], v2 offset:1616
	ds_load_b128 v[8:11], v2 offset:1632
	s_wait_loadcnt_dscnt 0x801
	v_mul_f64_e32 v[180:181], v[4:5], v[134:135]
	v_mul_f64_e32 v[134:135], v[6:7], v[134:135]
	s_wait_loadcnt_dscnt 0x700
	v_mul_f64_e32 v[130:131], v[8:9], v[138:139]
	v_mul_f64_e32 v[138:139], v[10:11], v[138:139]
	v_add_f64_e32 v[12:13], v[14:15], v[12:13]
	v_add_f64_e32 v[14:15], v[168:169], v[186:187]
	v_fmac_f64_e32 v[180:181], v[6:7], v[132:133]
	v_fma_f64 v[132:133], v[4:5], v[132:133], -v[134:135]
	v_fmac_f64_e32 v[130:131], v[10:11], v[136:137]
	v_fma_f64 v[8:9], v[8:9], v[136:137], -v[138:139]
	v_add_f64_e32 v[128:129], v[12:13], v[128:129]
	v_add_f64_e32 v[134:135], v[14:15], v[170:171]
	ds_load_b128 v[4:7], v2 offset:1648
	ds_load_b128 v[12:15], v2 offset:1664
	s_wait_loadcnt_dscnt 0x601
	v_mul_f64_e32 v[168:169], v[4:5], v[142:143]
	v_mul_f64_e32 v[142:143], v[6:7], v[142:143]
	v_add_f64_e32 v[10:11], v[128:129], v[132:133]
	v_add_f64_e32 v[128:129], v[134:135], v[180:181]
	s_wait_loadcnt_dscnt 0x500
	v_mul_f64_e32 v[132:133], v[12:13], v[146:147]
	v_mul_f64_e32 v[134:135], v[14:15], v[146:147]
	v_fmac_f64_e32 v[168:169], v[6:7], v[140:141]
	v_fma_f64 v[136:137], v[4:5], v[140:141], -v[142:143]
	v_add_f64_e32 v[138:139], v[10:11], v[8:9]
	v_add_f64_e32 v[128:129], v[128:129], v[130:131]
	ds_load_b128 v[4:7], v2 offset:1680
	ds_load_b128 v[8:11], v2 offset:1696
	v_fmac_f64_e32 v[132:133], v[14:15], v[144:145]
	v_fma_f64 v[12:13], v[12:13], v[144:145], -v[134:135]
	s_wait_loadcnt_dscnt 0x401
	v_mul_f64_e32 v[130:131], v[4:5], v[150:151]
	v_mul_f64_e32 v[140:141], v[6:7], v[150:151]
	s_wait_loadcnt_dscnt 0x300
	v_mul_f64_e32 v[134:135], v[8:9], v[154:155]
	v_add_f64_e32 v[14:15], v[138:139], v[136:137]
	v_add_f64_e32 v[128:129], v[128:129], v[168:169]
	v_mul_f64_e32 v[136:137], v[10:11], v[154:155]
	v_fmac_f64_e32 v[130:131], v[6:7], v[148:149]
	v_fma_f64 v[138:139], v[4:5], v[148:149], -v[140:141]
	v_fmac_f64_e32 v[134:135], v[10:11], v[152:153]
	v_add_f64_e32 v[140:141], v[14:15], v[12:13]
	v_add_f64_e32 v[128:129], v[128:129], v[132:133]
	ds_load_b128 v[4:7], v2 offset:1712
	ds_load_b128 v[12:15], v2 offset:1728
	v_fma_f64 v[8:9], v[8:9], v[152:153], -v[136:137]
	s_wait_loadcnt_dscnt 0x201
	v_mul_f64_e32 v[132:133], v[4:5], v[162:163]
	v_mul_f64_e32 v[142:143], v[6:7], v[162:163]
	s_wait_loadcnt_dscnt 0x100
	v_mul_f64_e32 v[136:137], v[14:15], v[174:175]
	v_add_f64_e32 v[10:11], v[140:141], v[138:139]
	v_add_f64_e32 v[128:129], v[128:129], v[130:131]
	v_mul_f64_e32 v[130:131], v[12:13], v[174:175]
	v_fmac_f64_e32 v[132:133], v[6:7], v[160:161]
	v_fma_f64 v[138:139], v[4:5], v[160:161], -v[142:143]
	ds_load_b128 v[4:7], v2 offset:1744
	v_fma_f64 v[12:13], v[12:13], v[172:173], -v[136:137]
	v_add_f64_e32 v[8:9], v[10:11], v[8:9]
	v_add_f64_e32 v[10:11], v[128:129], v[134:135]
	v_fmac_f64_e32 v[130:131], v[14:15], v[172:173]
	s_wait_loadcnt_dscnt 0x0
	v_mul_f64_e32 v[128:129], v[4:5], v[158:159]
	v_mul_f64_e32 v[134:135], v[6:7], v[158:159]
	v_add_f64_e32 v[8:9], v[8:9], v[138:139]
	v_add_f64_e32 v[10:11], v[10:11], v[132:133]
	s_delay_alu instid0(VALU_DEP_4) | instskip(NEXT) | instid1(VALU_DEP_4)
	v_fmac_f64_e32 v[128:129], v[6:7], v[156:157]
	v_fma_f64 v[4:5], v[4:5], v[156:157], -v[134:135]
	s_delay_alu instid0(VALU_DEP_4) | instskip(NEXT) | instid1(VALU_DEP_4)
	v_add_f64_e32 v[6:7], v[8:9], v[12:13]
	v_add_f64_e32 v[8:9], v[10:11], v[130:131]
	s_delay_alu instid0(VALU_DEP_2) | instskip(NEXT) | instid1(VALU_DEP_2)
	v_add_f64_e32 v[4:5], v[6:7], v[4:5]
	v_add_f64_e32 v[6:7], v[8:9], v[128:129]
	s_delay_alu instid0(VALU_DEP_2) | instskip(NEXT) | instid1(VALU_DEP_2)
	v_add_f64_e64 v[4:5], v[164:165], -v[4:5]
	v_add_f64_e64 v[6:7], v[166:167], -v[6:7]
	scratch_store_b128 off, v[4:7], off offset:464
	s_wait_xcnt 0x0
	v_cmpx_lt_u32_e32 28, v1
	s_cbranch_execz .LBB118_287
; %bb.286:
	scratch_load_b128 v[6:9], off, s43
	v_dual_mov_b32 v3, v2 :: v_dual_mov_b32 v4, v2
	v_mov_b32_e32 v5, v2
	scratch_store_b128 off, v[2:5], off offset:448
	s_wait_loadcnt 0x0
	ds_store_b128 v126, v[6:9]
.LBB118_287:
	s_wait_xcnt 0x0
	s_or_b32 exec_lo, exec_lo, s2
	s_wait_storecnt_dscnt 0x0
	s_barrier_signal -1
	s_barrier_wait -1
	s_clause 0x9
	scratch_load_b128 v[4:7], off, off offset:464
	scratch_load_b128 v[8:11], off, off offset:480
	;; [unrolled: 1-line block ×10, first 2 shown]
	ds_load_b128 v[156:159], v2 offset:1344
	ds_load_b128 v[164:167], v2 offset:1360
	s_clause 0x2
	scratch_load_b128 v[160:163], off, off offset:624
	scratch_load_b128 v[168:171], off, off offset:448
	;; [unrolled: 1-line block ×3, first 2 shown]
	s_mov_b32 s2, exec_lo
	s_wait_loadcnt_dscnt 0xc01
	v_mul_f64_e32 v[176:177], v[158:159], v[6:7]
	v_mul_f64_e32 v[180:181], v[156:157], v[6:7]
	s_wait_loadcnt_dscnt 0xb00
	v_mul_f64_e32 v[182:183], v[164:165], v[10:11]
	v_mul_f64_e32 v[10:11], v[166:167], v[10:11]
	s_delay_alu instid0(VALU_DEP_4) | instskip(NEXT) | instid1(VALU_DEP_4)
	v_fma_f64 v[184:185], v[156:157], v[4:5], -v[176:177]
	v_fmac_f64_e32 v[180:181], v[158:159], v[4:5]
	ds_load_b128 v[4:7], v2 offset:1376
	ds_load_b128 v[156:159], v2 offset:1392
	scratch_load_b128 v[176:179], off, off offset:656
	v_fmac_f64_e32 v[182:183], v[166:167], v[8:9]
	v_fma_f64 v[164:165], v[164:165], v[8:9], -v[10:11]
	scratch_load_b128 v[8:11], off, off offset:672
	s_wait_loadcnt_dscnt 0xc01
	v_mul_f64_e32 v[186:187], v[4:5], v[14:15]
	v_mul_f64_e32 v[14:15], v[6:7], v[14:15]
	v_add_f64_e32 v[166:167], 0, v[184:185]
	v_add_f64_e32 v[180:181], 0, v[180:181]
	s_wait_loadcnt_dscnt 0xb00
	v_mul_f64_e32 v[184:185], v[156:157], v[130:131]
	v_mul_f64_e32 v[130:131], v[158:159], v[130:131]
	v_fmac_f64_e32 v[186:187], v[6:7], v[12:13]
	v_fma_f64 v[188:189], v[4:5], v[12:13], -v[14:15]
	ds_load_b128 v[4:7], v2 offset:1408
	ds_load_b128 v[12:15], v2 offset:1424
	v_add_f64_e32 v[190:191], v[166:167], v[164:165]
	v_add_f64_e32 v[180:181], v[180:181], v[182:183]
	scratch_load_b128 v[164:167], off, off offset:688
	v_fmac_f64_e32 v[184:185], v[158:159], v[128:129]
	v_fma_f64 v[156:157], v[156:157], v[128:129], -v[130:131]
	scratch_load_b128 v[128:131], off, off offset:704
	s_wait_loadcnt_dscnt 0xc01
	v_mul_f64_e32 v[182:183], v[4:5], v[134:135]
	v_mul_f64_e32 v[134:135], v[6:7], v[134:135]
	v_add_f64_e32 v[158:159], v[190:191], v[188:189]
	v_add_f64_e32 v[180:181], v[180:181], v[186:187]
	s_wait_loadcnt_dscnt 0xb00
	v_mul_f64_e32 v[186:187], v[12:13], v[138:139]
	v_mul_f64_e32 v[138:139], v[14:15], v[138:139]
	v_fmac_f64_e32 v[182:183], v[6:7], v[132:133]
	v_fma_f64 v[188:189], v[4:5], v[132:133], -v[134:135]
	ds_load_b128 v[4:7], v2 offset:1440
	ds_load_b128 v[132:135], v2 offset:1456
	v_add_f64_e32 v[190:191], v[158:159], v[156:157]
	v_add_f64_e32 v[180:181], v[180:181], v[184:185]
	scratch_load_b128 v[156:159], off, off offset:720
	s_wait_loadcnt_dscnt 0xb01
	v_mul_f64_e32 v[184:185], v[4:5], v[142:143]
	v_mul_f64_e32 v[142:143], v[6:7], v[142:143]
	v_fmac_f64_e32 v[186:187], v[14:15], v[136:137]
	v_fma_f64 v[136:137], v[12:13], v[136:137], -v[138:139]
	scratch_load_b128 v[12:15], off, off offset:736
	v_add_f64_e32 v[138:139], v[190:191], v[188:189]
	v_add_f64_e32 v[180:181], v[180:181], v[182:183]
	s_wait_loadcnt_dscnt 0xb00
	v_mul_f64_e32 v[182:183], v[132:133], v[146:147]
	v_mul_f64_e32 v[146:147], v[134:135], v[146:147]
	v_fmac_f64_e32 v[184:185], v[6:7], v[140:141]
	v_fma_f64 v[188:189], v[4:5], v[140:141], -v[142:143]
	v_add_f64_e32 v[190:191], v[138:139], v[136:137]
	v_add_f64_e32 v[180:181], v[180:181], v[186:187]
	ds_load_b128 v[4:7], v2 offset:1472
	ds_load_b128 v[136:139], v2 offset:1488
	scratch_load_b128 v[140:143], off, off offset:752
	v_fmac_f64_e32 v[182:183], v[134:135], v[144:145]
	v_fma_f64 v[144:145], v[132:133], v[144:145], -v[146:147]
	scratch_load_b128 v[132:135], off, off offset:768
	s_wait_loadcnt_dscnt 0xc01
	v_mul_f64_e32 v[186:187], v[4:5], v[150:151]
	v_mul_f64_e32 v[150:151], v[6:7], v[150:151]
	v_add_f64_e32 v[146:147], v[190:191], v[188:189]
	v_add_f64_e32 v[180:181], v[180:181], v[184:185]
	s_wait_loadcnt_dscnt 0xb00
	v_mul_f64_e32 v[184:185], v[136:137], v[154:155]
	v_mul_f64_e32 v[154:155], v[138:139], v[154:155]
	v_fmac_f64_e32 v[186:187], v[6:7], v[148:149]
	v_fma_f64 v[188:189], v[4:5], v[148:149], -v[150:151]
	v_add_f64_e32 v[190:191], v[146:147], v[144:145]
	v_add_f64_e32 v[180:181], v[180:181], v[182:183]
	ds_load_b128 v[4:7], v2 offset:1504
	ds_load_b128 v[144:147], v2 offset:1520
	scratch_load_b128 v[148:151], off, off offset:784
	v_fmac_f64_e32 v[184:185], v[138:139], v[152:153]
	v_fma_f64 v[152:153], v[136:137], v[152:153], -v[154:155]
	scratch_load_b128 v[136:139], off, off offset:800
	s_wait_loadcnt_dscnt 0xc01
	v_mul_f64_e32 v[182:183], v[4:5], v[162:163]
	v_mul_f64_e32 v[162:163], v[6:7], v[162:163]
	v_add_f64_e32 v[154:155], v[190:191], v[188:189]
	v_add_f64_e32 v[180:181], v[180:181], v[186:187]
	s_wait_loadcnt_dscnt 0xa00
	v_mul_f64_e32 v[186:187], v[144:145], v[174:175]
	v_mul_f64_e32 v[174:175], v[146:147], v[174:175]
	v_fmac_f64_e32 v[182:183], v[6:7], v[160:161]
	v_fma_f64 v[188:189], v[4:5], v[160:161], -v[162:163]
	v_add_f64_e32 v[190:191], v[154:155], v[152:153]
	v_add_f64_e32 v[180:181], v[180:181], v[184:185]
	ds_load_b128 v[4:7], v2 offset:1536
	ds_load_b128 v[152:155], v2 offset:1552
	scratch_load_b128 v[160:163], off, off offset:816
	v_fmac_f64_e32 v[186:187], v[146:147], v[172:173]
	v_fma_f64 v[172:173], v[144:145], v[172:173], -v[174:175]
	scratch_load_b128 v[144:147], off, off offset:832
	s_wait_loadcnt_dscnt 0xb01
	v_mul_f64_e32 v[184:185], v[4:5], v[178:179]
	v_mul_f64_e32 v[178:179], v[6:7], v[178:179]
	v_add_f64_e32 v[174:175], v[190:191], v[188:189]
	v_add_f64_e32 v[180:181], v[180:181], v[182:183]
	s_wait_loadcnt_dscnt 0xa00
	v_mul_f64_e32 v[182:183], v[152:153], v[10:11]
	v_mul_f64_e32 v[10:11], v[154:155], v[10:11]
	v_fmac_f64_e32 v[184:185], v[6:7], v[176:177]
	v_fma_f64 v[188:189], v[4:5], v[176:177], -v[178:179]
	v_add_f64_e32 v[190:191], v[174:175], v[172:173]
	v_add_f64_e32 v[180:181], v[180:181], v[186:187]
	ds_load_b128 v[4:7], v2 offset:1568
	ds_load_b128 v[172:175], v2 offset:1584
	scratch_load_b128 v[176:179], off, off offset:848
	v_fmac_f64_e32 v[182:183], v[154:155], v[8:9]
	v_fma_f64 v[152:153], v[152:153], v[8:9], -v[10:11]
	scratch_load_b128 v[8:11], off, off offset:864
	s_wait_loadcnt_dscnt 0xb01
	v_mul_f64_e32 v[186:187], v[4:5], v[166:167]
	v_mul_f64_e32 v[166:167], v[6:7], v[166:167]
	v_add_f64_e32 v[154:155], v[190:191], v[188:189]
	v_add_f64_e32 v[180:181], v[180:181], v[184:185]
	s_wait_loadcnt_dscnt 0xa00
	v_mul_f64_e32 v[184:185], v[172:173], v[130:131]
	v_mul_f64_e32 v[130:131], v[174:175], v[130:131]
	v_fmac_f64_e32 v[186:187], v[6:7], v[164:165]
	v_fma_f64 v[164:165], v[4:5], v[164:165], -v[166:167]
	v_add_f64_e32 v[166:167], v[154:155], v[152:153]
	v_add_f64_e32 v[180:181], v[180:181], v[182:183]
	ds_load_b128 v[4:7], v2 offset:1600
	ds_load_b128 v[152:155], v2 offset:1616
	v_fmac_f64_e32 v[184:185], v[174:175], v[128:129]
	v_fma_f64 v[128:129], v[172:173], v[128:129], -v[130:131]
	s_wait_loadcnt_dscnt 0x901
	v_mul_f64_e32 v[182:183], v[4:5], v[158:159]
	v_mul_f64_e32 v[158:159], v[6:7], v[158:159]
	v_add_f64_e32 v[130:131], v[166:167], v[164:165]
	v_add_f64_e32 v[164:165], v[180:181], v[186:187]
	s_wait_loadcnt_dscnt 0x800
	v_mul_f64_e32 v[166:167], v[152:153], v[14:15]
	v_mul_f64_e32 v[14:15], v[154:155], v[14:15]
	v_fmac_f64_e32 v[182:183], v[6:7], v[156:157]
	v_fma_f64 v[156:157], v[4:5], v[156:157], -v[158:159]
	v_add_f64_e32 v[158:159], v[130:131], v[128:129]
	v_add_f64_e32 v[164:165], v[164:165], v[184:185]
	ds_load_b128 v[4:7], v2 offset:1632
	ds_load_b128 v[128:131], v2 offset:1648
	v_fmac_f64_e32 v[166:167], v[154:155], v[12:13]
	v_fma_f64 v[12:13], v[152:153], v[12:13], -v[14:15]
	s_wait_loadcnt_dscnt 0x701
	v_mul_f64_e32 v[172:173], v[4:5], v[142:143]
	v_mul_f64_e32 v[142:143], v[6:7], v[142:143]
	s_wait_loadcnt_dscnt 0x600
	v_mul_f64_e32 v[154:155], v[128:129], v[134:135]
	v_mul_f64_e32 v[134:135], v[130:131], v[134:135]
	v_add_f64_e32 v[14:15], v[158:159], v[156:157]
	v_add_f64_e32 v[152:153], v[164:165], v[182:183]
	v_fmac_f64_e32 v[172:173], v[6:7], v[140:141]
	v_fma_f64 v[140:141], v[4:5], v[140:141], -v[142:143]
	v_fmac_f64_e32 v[154:155], v[130:131], v[132:133]
	v_fma_f64 v[128:129], v[128:129], v[132:133], -v[134:135]
	v_add_f64_e32 v[142:143], v[14:15], v[12:13]
	v_add_f64_e32 v[152:153], v[152:153], v[166:167]
	ds_load_b128 v[4:7], v2 offset:1664
	ds_load_b128 v[12:15], v2 offset:1680
	s_wait_loadcnt_dscnt 0x501
	v_mul_f64_e32 v[156:157], v[4:5], v[150:151]
	v_mul_f64_e32 v[150:151], v[6:7], v[150:151]
	s_wait_loadcnt_dscnt 0x400
	v_mul_f64_e32 v[134:135], v[12:13], v[138:139]
	v_mul_f64_e32 v[138:139], v[14:15], v[138:139]
	v_add_f64_e32 v[130:131], v[142:143], v[140:141]
	v_add_f64_e32 v[132:133], v[152:153], v[172:173]
	v_fmac_f64_e32 v[156:157], v[6:7], v[148:149]
	v_fma_f64 v[140:141], v[4:5], v[148:149], -v[150:151]
	v_fmac_f64_e32 v[134:135], v[14:15], v[136:137]
	v_fma_f64 v[12:13], v[12:13], v[136:137], -v[138:139]
	v_add_f64_e32 v[142:143], v[130:131], v[128:129]
	v_add_f64_e32 v[132:133], v[132:133], v[154:155]
	ds_load_b128 v[4:7], v2 offset:1696
	ds_load_b128 v[128:131], v2 offset:1712
	;; [unrolled: 16-line block ×3, first 2 shown]
	s_wait_loadcnt_dscnt 0x101
	v_mul_f64_e32 v[2:3], v[4:5], v[178:179]
	v_mul_f64_e32 v[134:135], v[6:7], v[178:179]
	s_wait_loadcnt_dscnt 0x0
	v_mul_f64_e32 v[138:139], v[12:13], v[10:11]
	v_mul_f64_e32 v[10:11], v[14:15], v[10:11]
	v_add_f64_e32 v[130:131], v[142:143], v[140:141]
	v_add_f64_e32 v[132:133], v[132:133], v[148:149]
	v_fmac_f64_e32 v[2:3], v[6:7], v[176:177]
	v_fma_f64 v[4:5], v[4:5], v[176:177], -v[134:135]
	v_fmac_f64_e32 v[138:139], v[14:15], v[8:9]
	v_fma_f64 v[8:9], v[12:13], v[8:9], -v[10:11]
	v_add_f64_e32 v[6:7], v[130:131], v[128:129]
	v_add_f64_e32 v[128:129], v[132:133], v[136:137]
	s_delay_alu instid0(VALU_DEP_2) | instskip(NEXT) | instid1(VALU_DEP_2)
	v_add_f64_e32 v[4:5], v[6:7], v[4:5]
	v_add_f64_e32 v[2:3], v[128:129], v[2:3]
	s_delay_alu instid0(VALU_DEP_2) | instskip(NEXT) | instid1(VALU_DEP_2)
	;; [unrolled: 3-line block ×3, first 2 shown]
	v_add_f64_e64 v[2:3], v[168:169], -v[4:5]
	v_add_f64_e64 v[4:5], v[170:171], -v[6:7]
	scratch_store_b128 off, v[2:5], off offset:448
	s_wait_xcnt 0x0
	v_cmpx_lt_u32_e32 27, v1
	s_cbranch_execz .LBB118_289
; %bb.288:
	scratch_load_b128 v[2:5], off, s44
	v_mov_b32_e32 v6, 0
	s_delay_alu instid0(VALU_DEP_1)
	v_dual_mov_b32 v7, v6 :: v_dual_mov_b32 v8, v6
	v_mov_b32_e32 v9, v6
	scratch_store_b128 off, v[6:9], off offset:432
	s_wait_loadcnt 0x0
	ds_store_b128 v126, v[2:5]
.LBB118_289:
	s_wait_xcnt 0x0
	s_or_b32 exec_lo, exec_lo, s2
	s_wait_storecnt_dscnt 0x0
	s_barrier_signal -1
	s_barrier_wait -1
	s_clause 0x9
	scratch_load_b128 v[4:7], off, off offset:448
	scratch_load_b128 v[8:11], off, off offset:464
	;; [unrolled: 1-line block ×10, first 2 shown]
	v_mov_b32_e32 v2, 0
	s_mov_b32 s2, exec_lo
	ds_load_b128 v[156:159], v2 offset:1328
	s_clause 0x2
	scratch_load_b128 v[160:163], off, off offset:608
	scratch_load_b128 v[164:167], off, off offset:432
	;; [unrolled: 1-line block ×3, first 2 shown]
	s_wait_loadcnt_dscnt 0xc00
	v_mul_f64_e32 v[176:177], v[158:159], v[6:7]
	v_mul_f64_e32 v[180:181], v[156:157], v[6:7]
	ds_load_b128 v[168:171], v2 offset:1344
	v_fma_f64 v[184:185], v[156:157], v[4:5], -v[176:177]
	v_fmac_f64_e32 v[180:181], v[158:159], v[4:5]
	ds_load_b128 v[4:7], v2 offset:1360
	s_wait_loadcnt_dscnt 0xb01
	v_mul_f64_e32 v[182:183], v[168:169], v[10:11]
	v_mul_f64_e32 v[10:11], v[170:171], v[10:11]
	scratch_load_b128 v[156:159], off, off offset:640
	ds_load_b128 v[176:179], v2 offset:1376
	s_wait_loadcnt_dscnt 0xb01
	v_mul_f64_e32 v[186:187], v[4:5], v[14:15]
	v_mul_f64_e32 v[14:15], v[6:7], v[14:15]
	v_add_f64_e32 v[180:181], 0, v[180:181]
	v_fmac_f64_e32 v[182:183], v[170:171], v[8:9]
	v_fma_f64 v[168:169], v[168:169], v[8:9], -v[10:11]
	v_add_f64_e32 v[170:171], 0, v[184:185]
	scratch_load_b128 v[8:11], off, off offset:656
	v_fmac_f64_e32 v[186:187], v[6:7], v[12:13]
	v_fma_f64 v[188:189], v[4:5], v[12:13], -v[14:15]
	ds_load_b128 v[4:7], v2 offset:1392
	s_wait_loadcnt_dscnt 0xb01
	v_mul_f64_e32 v[184:185], v[176:177], v[130:131]
	v_mul_f64_e32 v[130:131], v[178:179], v[130:131]
	scratch_load_b128 v[12:15], off, off offset:672
	v_add_f64_e32 v[180:181], v[180:181], v[182:183]
	v_add_f64_e32 v[190:191], v[170:171], v[168:169]
	ds_load_b128 v[168:171], v2 offset:1408
	s_wait_loadcnt_dscnt 0xb01
	v_mul_f64_e32 v[182:183], v[4:5], v[134:135]
	v_mul_f64_e32 v[134:135], v[6:7], v[134:135]
	v_fmac_f64_e32 v[184:185], v[178:179], v[128:129]
	v_fma_f64 v[176:177], v[176:177], v[128:129], -v[130:131]
	scratch_load_b128 v[128:131], off, off offset:688
	v_add_f64_e32 v[180:181], v[180:181], v[186:187]
	v_add_f64_e32 v[178:179], v[190:191], v[188:189]
	v_fmac_f64_e32 v[182:183], v[6:7], v[132:133]
	v_fma_f64 v[188:189], v[4:5], v[132:133], -v[134:135]
	ds_load_b128 v[4:7], v2 offset:1424
	s_wait_loadcnt_dscnt 0xb01
	v_mul_f64_e32 v[186:187], v[168:169], v[138:139]
	v_mul_f64_e32 v[138:139], v[170:171], v[138:139]
	scratch_load_b128 v[132:135], off, off offset:704
	v_add_f64_e32 v[180:181], v[180:181], v[184:185]
	s_wait_loadcnt_dscnt 0xb00
	v_mul_f64_e32 v[184:185], v[4:5], v[142:143]
	v_add_f64_e32 v[190:191], v[178:179], v[176:177]
	v_mul_f64_e32 v[142:143], v[6:7], v[142:143]
	ds_load_b128 v[176:179], v2 offset:1440
	v_fmac_f64_e32 v[186:187], v[170:171], v[136:137]
	v_fma_f64 v[168:169], v[168:169], v[136:137], -v[138:139]
	scratch_load_b128 v[136:139], off, off offset:720
	v_add_f64_e32 v[180:181], v[180:181], v[182:183]
	v_fmac_f64_e32 v[184:185], v[6:7], v[140:141]
	v_add_f64_e32 v[170:171], v[190:191], v[188:189]
	v_fma_f64 v[188:189], v[4:5], v[140:141], -v[142:143]
	ds_load_b128 v[4:7], v2 offset:1456
	s_wait_loadcnt_dscnt 0xb01
	v_mul_f64_e32 v[182:183], v[176:177], v[146:147]
	v_mul_f64_e32 v[146:147], v[178:179], v[146:147]
	scratch_load_b128 v[140:143], off, off offset:736
	v_add_f64_e32 v[180:181], v[180:181], v[186:187]
	s_wait_loadcnt_dscnt 0xb00
	v_mul_f64_e32 v[186:187], v[4:5], v[150:151]
	v_add_f64_e32 v[190:191], v[170:171], v[168:169]
	v_mul_f64_e32 v[150:151], v[6:7], v[150:151]
	ds_load_b128 v[168:171], v2 offset:1472
	v_fmac_f64_e32 v[182:183], v[178:179], v[144:145]
	v_fma_f64 v[176:177], v[176:177], v[144:145], -v[146:147]
	scratch_load_b128 v[144:147], off, off offset:752
	v_add_f64_e32 v[180:181], v[180:181], v[184:185]
	v_fmac_f64_e32 v[186:187], v[6:7], v[148:149]
	v_add_f64_e32 v[178:179], v[190:191], v[188:189]
	;; [unrolled: 18-line block ×3, first 2 shown]
	v_fma_f64 v[188:189], v[4:5], v[160:161], -v[162:163]
	ds_load_b128 v[4:7], v2 offset:1520
	s_wait_loadcnt_dscnt 0xa01
	v_mul_f64_e32 v[186:187], v[176:177], v[174:175]
	v_mul_f64_e32 v[174:175], v[178:179], v[174:175]
	scratch_load_b128 v[160:163], off, off offset:800
	v_add_f64_e32 v[180:181], v[180:181], v[184:185]
	v_add_f64_e32 v[190:191], v[170:171], v[168:169]
	s_wait_loadcnt_dscnt 0xa00
	v_mul_f64_e32 v[184:185], v[4:5], v[158:159]
	v_mul_f64_e32 v[158:159], v[6:7], v[158:159]
	v_fmac_f64_e32 v[186:187], v[178:179], v[172:173]
	v_fma_f64 v[176:177], v[176:177], v[172:173], -v[174:175]
	ds_load_b128 v[168:171], v2 offset:1536
	scratch_load_b128 v[172:175], off, off offset:816
	v_add_f64_e32 v[180:181], v[180:181], v[182:183]
	v_add_f64_e32 v[178:179], v[190:191], v[188:189]
	v_fmac_f64_e32 v[184:185], v[6:7], v[156:157]
	v_fma_f64 v[188:189], v[4:5], v[156:157], -v[158:159]
	ds_load_b128 v[4:7], v2 offset:1552
	s_wait_loadcnt_dscnt 0xa01
	v_mul_f64_e32 v[182:183], v[168:169], v[10:11]
	v_mul_f64_e32 v[10:11], v[170:171], v[10:11]
	scratch_load_b128 v[156:159], off, off offset:832
	v_add_f64_e32 v[180:181], v[180:181], v[186:187]
	s_wait_loadcnt_dscnt 0xa00
	v_mul_f64_e32 v[186:187], v[4:5], v[14:15]
	v_add_f64_e32 v[190:191], v[178:179], v[176:177]
	v_mul_f64_e32 v[14:15], v[6:7], v[14:15]
	ds_load_b128 v[176:179], v2 offset:1568
	v_fmac_f64_e32 v[182:183], v[170:171], v[8:9]
	v_fma_f64 v[168:169], v[168:169], v[8:9], -v[10:11]
	scratch_load_b128 v[8:11], off, off offset:848
	v_add_f64_e32 v[180:181], v[180:181], v[184:185]
	v_fmac_f64_e32 v[186:187], v[6:7], v[12:13]
	v_add_f64_e32 v[170:171], v[190:191], v[188:189]
	v_fma_f64 v[188:189], v[4:5], v[12:13], -v[14:15]
	ds_load_b128 v[4:7], v2 offset:1584
	s_wait_loadcnt_dscnt 0xa01
	v_mul_f64_e32 v[184:185], v[176:177], v[130:131]
	v_mul_f64_e32 v[130:131], v[178:179], v[130:131]
	scratch_load_b128 v[12:15], off, off offset:864
	v_add_f64_e32 v[180:181], v[180:181], v[182:183]
	s_wait_loadcnt_dscnt 0xa00
	v_mul_f64_e32 v[182:183], v[4:5], v[134:135]
	v_add_f64_e32 v[190:191], v[170:171], v[168:169]
	v_mul_f64_e32 v[134:135], v[6:7], v[134:135]
	ds_load_b128 v[168:171], v2 offset:1600
	v_fmac_f64_e32 v[184:185], v[178:179], v[128:129]
	v_fma_f64 v[128:129], v[176:177], v[128:129], -v[130:131]
	s_wait_loadcnt_dscnt 0x900
	v_mul_f64_e32 v[178:179], v[168:169], v[138:139]
	v_mul_f64_e32 v[138:139], v[170:171], v[138:139]
	v_add_f64_e32 v[176:177], v[180:181], v[186:187]
	v_fmac_f64_e32 v[182:183], v[6:7], v[132:133]
	v_add_f64_e32 v[130:131], v[190:191], v[188:189]
	v_fma_f64 v[132:133], v[4:5], v[132:133], -v[134:135]
	v_fmac_f64_e32 v[178:179], v[170:171], v[136:137]
	v_fma_f64 v[136:137], v[168:169], v[136:137], -v[138:139]
	v_add_f64_e32 v[176:177], v[176:177], v[184:185]
	v_add_f64_e32 v[134:135], v[130:131], v[128:129]
	ds_load_b128 v[4:7], v2 offset:1616
	ds_load_b128 v[128:131], v2 offset:1632
	s_wait_loadcnt_dscnt 0x801
	v_mul_f64_e32 v[180:181], v[4:5], v[142:143]
	v_mul_f64_e32 v[142:143], v[6:7], v[142:143]
	s_wait_loadcnt_dscnt 0x700
	v_mul_f64_e32 v[138:139], v[128:129], v[146:147]
	v_mul_f64_e32 v[146:147], v[130:131], v[146:147]
	v_add_f64_e32 v[132:133], v[134:135], v[132:133]
	v_add_f64_e32 v[134:135], v[176:177], v[182:183]
	v_fmac_f64_e32 v[180:181], v[6:7], v[140:141]
	v_fma_f64 v[140:141], v[4:5], v[140:141], -v[142:143]
	v_fmac_f64_e32 v[138:139], v[130:131], v[144:145]
	v_fma_f64 v[128:129], v[128:129], v[144:145], -v[146:147]
	v_add_f64_e32 v[136:137], v[132:133], v[136:137]
	v_add_f64_e32 v[142:143], v[134:135], v[178:179]
	ds_load_b128 v[4:7], v2 offset:1648
	ds_load_b128 v[132:135], v2 offset:1664
	s_wait_loadcnt_dscnt 0x601
	v_mul_f64_e32 v[168:169], v[4:5], v[150:151]
	v_mul_f64_e32 v[150:151], v[6:7], v[150:151]
	v_add_f64_e32 v[130:131], v[136:137], v[140:141]
	v_add_f64_e32 v[136:137], v[142:143], v[180:181]
	s_wait_loadcnt_dscnt 0x500
	v_mul_f64_e32 v[140:141], v[132:133], v[154:155]
	v_mul_f64_e32 v[142:143], v[134:135], v[154:155]
	v_fmac_f64_e32 v[168:169], v[6:7], v[148:149]
	v_fma_f64 v[144:145], v[4:5], v[148:149], -v[150:151]
	v_add_f64_e32 v[146:147], v[130:131], v[128:129]
	v_add_f64_e32 v[136:137], v[136:137], v[138:139]
	ds_load_b128 v[4:7], v2 offset:1680
	ds_load_b128 v[128:131], v2 offset:1696
	v_fmac_f64_e32 v[140:141], v[134:135], v[152:153]
	v_fma_f64 v[132:133], v[132:133], v[152:153], -v[142:143]
	s_wait_loadcnt_dscnt 0x401
	v_mul_f64_e32 v[138:139], v[4:5], v[162:163]
	v_mul_f64_e32 v[148:149], v[6:7], v[162:163]
	s_wait_loadcnt_dscnt 0x300
	v_mul_f64_e32 v[142:143], v[128:129], v[174:175]
	v_add_f64_e32 v[134:135], v[146:147], v[144:145]
	v_add_f64_e32 v[136:137], v[136:137], v[168:169]
	v_mul_f64_e32 v[144:145], v[130:131], v[174:175]
	v_fmac_f64_e32 v[138:139], v[6:7], v[160:161]
	v_fma_f64 v[146:147], v[4:5], v[160:161], -v[148:149]
	v_fmac_f64_e32 v[142:143], v[130:131], v[172:173]
	v_add_f64_e32 v[148:149], v[134:135], v[132:133]
	v_add_f64_e32 v[136:137], v[136:137], v[140:141]
	ds_load_b128 v[4:7], v2 offset:1712
	ds_load_b128 v[132:135], v2 offset:1728
	v_fma_f64 v[128:129], v[128:129], v[172:173], -v[144:145]
	s_wait_loadcnt_dscnt 0x201
	v_mul_f64_e32 v[140:141], v[4:5], v[158:159]
	v_mul_f64_e32 v[150:151], v[6:7], v[158:159]
	v_add_f64_e32 v[130:131], v[148:149], v[146:147]
	v_add_f64_e32 v[136:137], v[136:137], v[138:139]
	s_wait_loadcnt_dscnt 0x100
	v_mul_f64_e32 v[138:139], v[132:133], v[10:11]
	v_mul_f64_e32 v[10:11], v[134:135], v[10:11]
	v_fmac_f64_e32 v[140:141], v[6:7], v[156:157]
	v_fma_f64 v[144:145], v[4:5], v[156:157], -v[150:151]
	ds_load_b128 v[4:7], v2 offset:1744
	v_add_f64_e32 v[128:129], v[130:131], v[128:129]
	v_add_f64_e32 v[130:131], v[136:137], v[142:143]
	v_fmac_f64_e32 v[138:139], v[134:135], v[8:9]
	v_fma_f64 v[8:9], v[132:133], v[8:9], -v[10:11]
	s_wait_loadcnt_dscnt 0x0
	v_mul_f64_e32 v[136:137], v[4:5], v[14:15]
	v_mul_f64_e32 v[14:15], v[6:7], v[14:15]
	v_add_f64_e32 v[10:11], v[128:129], v[144:145]
	v_add_f64_e32 v[128:129], v[130:131], v[140:141]
	s_delay_alu instid0(VALU_DEP_4) | instskip(NEXT) | instid1(VALU_DEP_4)
	v_fmac_f64_e32 v[136:137], v[6:7], v[12:13]
	v_fma_f64 v[4:5], v[4:5], v[12:13], -v[14:15]
	s_delay_alu instid0(VALU_DEP_4) | instskip(NEXT) | instid1(VALU_DEP_4)
	v_add_f64_e32 v[6:7], v[10:11], v[8:9]
	v_add_f64_e32 v[8:9], v[128:129], v[138:139]
	s_delay_alu instid0(VALU_DEP_2) | instskip(NEXT) | instid1(VALU_DEP_2)
	v_add_f64_e32 v[4:5], v[6:7], v[4:5]
	v_add_f64_e32 v[6:7], v[8:9], v[136:137]
	s_delay_alu instid0(VALU_DEP_2) | instskip(NEXT) | instid1(VALU_DEP_2)
	v_add_f64_e64 v[4:5], v[164:165], -v[4:5]
	v_add_f64_e64 v[6:7], v[166:167], -v[6:7]
	scratch_store_b128 off, v[4:7], off offset:432
	s_wait_xcnt 0x0
	v_cmpx_lt_u32_e32 26, v1
	s_cbranch_execz .LBB118_291
; %bb.290:
	scratch_load_b128 v[6:9], off, s45
	v_dual_mov_b32 v3, v2 :: v_dual_mov_b32 v4, v2
	v_mov_b32_e32 v5, v2
	scratch_store_b128 off, v[2:5], off offset:416
	s_wait_loadcnt 0x0
	ds_store_b128 v126, v[6:9]
.LBB118_291:
	s_wait_xcnt 0x0
	s_or_b32 exec_lo, exec_lo, s2
	s_wait_storecnt_dscnt 0x0
	s_barrier_signal -1
	s_barrier_wait -1
	s_clause 0x9
	scratch_load_b128 v[4:7], off, off offset:432
	scratch_load_b128 v[8:11], off, off offset:448
	;; [unrolled: 1-line block ×10, first 2 shown]
	ds_load_b128 v[156:159], v2 offset:1312
	ds_load_b128 v[164:167], v2 offset:1328
	s_clause 0x2
	scratch_load_b128 v[160:163], off, off offset:592
	scratch_load_b128 v[168:171], off, off offset:416
	;; [unrolled: 1-line block ×3, first 2 shown]
	s_mov_b32 s2, exec_lo
	s_wait_loadcnt_dscnt 0xc01
	v_mul_f64_e32 v[176:177], v[158:159], v[6:7]
	v_mul_f64_e32 v[180:181], v[156:157], v[6:7]
	s_wait_loadcnt_dscnt 0xb00
	v_mul_f64_e32 v[182:183], v[164:165], v[10:11]
	v_mul_f64_e32 v[10:11], v[166:167], v[10:11]
	s_delay_alu instid0(VALU_DEP_4) | instskip(NEXT) | instid1(VALU_DEP_4)
	v_fma_f64 v[184:185], v[156:157], v[4:5], -v[176:177]
	v_fmac_f64_e32 v[180:181], v[158:159], v[4:5]
	ds_load_b128 v[4:7], v2 offset:1344
	ds_load_b128 v[156:159], v2 offset:1360
	scratch_load_b128 v[176:179], off, off offset:624
	v_fmac_f64_e32 v[182:183], v[166:167], v[8:9]
	v_fma_f64 v[164:165], v[164:165], v[8:9], -v[10:11]
	scratch_load_b128 v[8:11], off, off offset:640
	s_wait_loadcnt_dscnt 0xc01
	v_mul_f64_e32 v[186:187], v[4:5], v[14:15]
	v_mul_f64_e32 v[14:15], v[6:7], v[14:15]
	v_add_f64_e32 v[166:167], 0, v[184:185]
	v_add_f64_e32 v[180:181], 0, v[180:181]
	s_wait_loadcnt_dscnt 0xb00
	v_mul_f64_e32 v[184:185], v[156:157], v[130:131]
	v_mul_f64_e32 v[130:131], v[158:159], v[130:131]
	v_fmac_f64_e32 v[186:187], v[6:7], v[12:13]
	v_fma_f64 v[188:189], v[4:5], v[12:13], -v[14:15]
	ds_load_b128 v[4:7], v2 offset:1376
	ds_load_b128 v[12:15], v2 offset:1392
	v_add_f64_e32 v[190:191], v[166:167], v[164:165]
	v_add_f64_e32 v[180:181], v[180:181], v[182:183]
	scratch_load_b128 v[164:167], off, off offset:656
	v_fmac_f64_e32 v[184:185], v[158:159], v[128:129]
	v_fma_f64 v[156:157], v[156:157], v[128:129], -v[130:131]
	scratch_load_b128 v[128:131], off, off offset:672
	s_wait_loadcnt_dscnt 0xc01
	v_mul_f64_e32 v[182:183], v[4:5], v[134:135]
	v_mul_f64_e32 v[134:135], v[6:7], v[134:135]
	v_add_f64_e32 v[158:159], v[190:191], v[188:189]
	v_add_f64_e32 v[180:181], v[180:181], v[186:187]
	s_wait_loadcnt_dscnt 0xb00
	v_mul_f64_e32 v[186:187], v[12:13], v[138:139]
	v_mul_f64_e32 v[138:139], v[14:15], v[138:139]
	v_fmac_f64_e32 v[182:183], v[6:7], v[132:133]
	v_fma_f64 v[188:189], v[4:5], v[132:133], -v[134:135]
	ds_load_b128 v[4:7], v2 offset:1408
	ds_load_b128 v[132:135], v2 offset:1424
	v_add_f64_e32 v[190:191], v[158:159], v[156:157]
	v_add_f64_e32 v[180:181], v[180:181], v[184:185]
	scratch_load_b128 v[156:159], off, off offset:688
	s_wait_loadcnt_dscnt 0xb01
	v_mul_f64_e32 v[184:185], v[4:5], v[142:143]
	v_mul_f64_e32 v[142:143], v[6:7], v[142:143]
	v_fmac_f64_e32 v[186:187], v[14:15], v[136:137]
	v_fma_f64 v[136:137], v[12:13], v[136:137], -v[138:139]
	scratch_load_b128 v[12:15], off, off offset:704
	v_add_f64_e32 v[138:139], v[190:191], v[188:189]
	v_add_f64_e32 v[180:181], v[180:181], v[182:183]
	s_wait_loadcnt_dscnt 0xb00
	v_mul_f64_e32 v[182:183], v[132:133], v[146:147]
	v_mul_f64_e32 v[146:147], v[134:135], v[146:147]
	v_fmac_f64_e32 v[184:185], v[6:7], v[140:141]
	v_fma_f64 v[188:189], v[4:5], v[140:141], -v[142:143]
	v_add_f64_e32 v[190:191], v[138:139], v[136:137]
	v_add_f64_e32 v[180:181], v[180:181], v[186:187]
	ds_load_b128 v[4:7], v2 offset:1440
	ds_load_b128 v[136:139], v2 offset:1456
	scratch_load_b128 v[140:143], off, off offset:720
	v_fmac_f64_e32 v[182:183], v[134:135], v[144:145]
	v_fma_f64 v[144:145], v[132:133], v[144:145], -v[146:147]
	scratch_load_b128 v[132:135], off, off offset:736
	s_wait_loadcnt_dscnt 0xc01
	v_mul_f64_e32 v[186:187], v[4:5], v[150:151]
	v_mul_f64_e32 v[150:151], v[6:7], v[150:151]
	v_add_f64_e32 v[146:147], v[190:191], v[188:189]
	v_add_f64_e32 v[180:181], v[180:181], v[184:185]
	s_wait_loadcnt_dscnt 0xb00
	v_mul_f64_e32 v[184:185], v[136:137], v[154:155]
	v_mul_f64_e32 v[154:155], v[138:139], v[154:155]
	v_fmac_f64_e32 v[186:187], v[6:7], v[148:149]
	v_fma_f64 v[188:189], v[4:5], v[148:149], -v[150:151]
	v_add_f64_e32 v[190:191], v[146:147], v[144:145]
	v_add_f64_e32 v[180:181], v[180:181], v[182:183]
	ds_load_b128 v[4:7], v2 offset:1472
	ds_load_b128 v[144:147], v2 offset:1488
	scratch_load_b128 v[148:151], off, off offset:752
	v_fmac_f64_e32 v[184:185], v[138:139], v[152:153]
	v_fma_f64 v[152:153], v[136:137], v[152:153], -v[154:155]
	scratch_load_b128 v[136:139], off, off offset:768
	s_wait_loadcnt_dscnt 0xc01
	v_mul_f64_e32 v[182:183], v[4:5], v[162:163]
	v_mul_f64_e32 v[162:163], v[6:7], v[162:163]
	v_add_f64_e32 v[154:155], v[190:191], v[188:189]
	v_add_f64_e32 v[180:181], v[180:181], v[186:187]
	s_wait_loadcnt_dscnt 0xa00
	v_mul_f64_e32 v[186:187], v[144:145], v[174:175]
	v_mul_f64_e32 v[174:175], v[146:147], v[174:175]
	v_fmac_f64_e32 v[182:183], v[6:7], v[160:161]
	v_fma_f64 v[188:189], v[4:5], v[160:161], -v[162:163]
	v_add_f64_e32 v[190:191], v[154:155], v[152:153]
	v_add_f64_e32 v[180:181], v[180:181], v[184:185]
	ds_load_b128 v[4:7], v2 offset:1504
	ds_load_b128 v[152:155], v2 offset:1520
	scratch_load_b128 v[160:163], off, off offset:784
	v_fmac_f64_e32 v[186:187], v[146:147], v[172:173]
	v_fma_f64 v[172:173], v[144:145], v[172:173], -v[174:175]
	scratch_load_b128 v[144:147], off, off offset:800
	s_wait_loadcnt_dscnt 0xb01
	v_mul_f64_e32 v[184:185], v[4:5], v[178:179]
	v_mul_f64_e32 v[178:179], v[6:7], v[178:179]
	v_add_f64_e32 v[174:175], v[190:191], v[188:189]
	v_add_f64_e32 v[180:181], v[180:181], v[182:183]
	s_wait_loadcnt_dscnt 0xa00
	v_mul_f64_e32 v[182:183], v[152:153], v[10:11]
	v_mul_f64_e32 v[10:11], v[154:155], v[10:11]
	v_fmac_f64_e32 v[184:185], v[6:7], v[176:177]
	v_fma_f64 v[188:189], v[4:5], v[176:177], -v[178:179]
	v_add_f64_e32 v[190:191], v[174:175], v[172:173]
	v_add_f64_e32 v[180:181], v[180:181], v[186:187]
	ds_load_b128 v[4:7], v2 offset:1536
	ds_load_b128 v[172:175], v2 offset:1552
	scratch_load_b128 v[176:179], off, off offset:816
	v_fmac_f64_e32 v[182:183], v[154:155], v[8:9]
	v_fma_f64 v[152:153], v[152:153], v[8:9], -v[10:11]
	scratch_load_b128 v[8:11], off, off offset:832
	s_wait_loadcnt_dscnt 0xb01
	v_mul_f64_e32 v[186:187], v[4:5], v[166:167]
	v_mul_f64_e32 v[166:167], v[6:7], v[166:167]
	v_add_f64_e32 v[154:155], v[190:191], v[188:189]
	v_add_f64_e32 v[180:181], v[180:181], v[184:185]
	s_wait_loadcnt_dscnt 0xa00
	v_mul_f64_e32 v[184:185], v[172:173], v[130:131]
	v_mul_f64_e32 v[130:131], v[174:175], v[130:131]
	v_fmac_f64_e32 v[186:187], v[6:7], v[164:165]
	v_fma_f64 v[188:189], v[4:5], v[164:165], -v[166:167]
	v_add_f64_e32 v[190:191], v[154:155], v[152:153]
	v_add_f64_e32 v[180:181], v[180:181], v[182:183]
	ds_load_b128 v[4:7], v2 offset:1568
	ds_load_b128 v[152:155], v2 offset:1584
	scratch_load_b128 v[164:167], off, off offset:848
	v_fmac_f64_e32 v[184:185], v[174:175], v[128:129]
	v_fma_f64 v[172:173], v[172:173], v[128:129], -v[130:131]
	scratch_load_b128 v[128:131], off, off offset:864
	s_wait_loadcnt_dscnt 0xb01
	v_mul_f64_e32 v[182:183], v[4:5], v[158:159]
	v_mul_f64_e32 v[158:159], v[6:7], v[158:159]
	v_add_f64_e32 v[174:175], v[190:191], v[188:189]
	v_add_f64_e32 v[180:181], v[180:181], v[186:187]
	s_wait_loadcnt_dscnt 0xa00
	v_mul_f64_e32 v[186:187], v[152:153], v[14:15]
	v_mul_f64_e32 v[14:15], v[154:155], v[14:15]
	v_fmac_f64_e32 v[182:183], v[6:7], v[156:157]
	v_fma_f64 v[188:189], v[4:5], v[156:157], -v[158:159]
	ds_load_b128 v[4:7], v2 offset:1600
	ds_load_b128 v[156:159], v2 offset:1616
	v_add_f64_e32 v[172:173], v[174:175], v[172:173]
	v_add_f64_e32 v[174:175], v[180:181], v[184:185]
	v_fmac_f64_e32 v[186:187], v[154:155], v[12:13]
	v_fma_f64 v[12:13], v[152:153], v[12:13], -v[14:15]
	s_wait_loadcnt_dscnt 0x901
	v_mul_f64_e32 v[180:181], v[4:5], v[142:143]
	v_mul_f64_e32 v[142:143], v[6:7], v[142:143]
	s_wait_loadcnt_dscnt 0x800
	v_mul_f64_e32 v[154:155], v[156:157], v[134:135]
	v_mul_f64_e32 v[134:135], v[158:159], v[134:135]
	v_add_f64_e32 v[14:15], v[172:173], v[188:189]
	v_add_f64_e32 v[152:153], v[174:175], v[182:183]
	v_fmac_f64_e32 v[180:181], v[6:7], v[140:141]
	v_fma_f64 v[140:141], v[4:5], v[140:141], -v[142:143]
	v_fmac_f64_e32 v[154:155], v[158:159], v[132:133]
	v_fma_f64 v[132:133], v[156:157], v[132:133], -v[134:135]
	v_add_f64_e32 v[142:143], v[14:15], v[12:13]
	v_add_f64_e32 v[152:153], v[152:153], v[186:187]
	ds_load_b128 v[4:7], v2 offset:1632
	ds_load_b128 v[12:15], v2 offset:1648
	s_wait_loadcnt_dscnt 0x701
	v_mul_f64_e32 v[172:173], v[4:5], v[150:151]
	v_mul_f64_e32 v[150:151], v[6:7], v[150:151]
	v_add_f64_e32 v[134:135], v[142:143], v[140:141]
	v_add_f64_e32 v[140:141], v[152:153], v[180:181]
	s_wait_loadcnt_dscnt 0x600
	v_mul_f64_e32 v[142:143], v[12:13], v[138:139]
	v_mul_f64_e32 v[138:139], v[14:15], v[138:139]
	v_fmac_f64_e32 v[172:173], v[6:7], v[148:149]
	v_fma_f64 v[148:149], v[4:5], v[148:149], -v[150:151]
	v_add_f64_e32 v[150:151], v[134:135], v[132:133]
	v_add_f64_e32 v[140:141], v[140:141], v[154:155]
	ds_load_b128 v[4:7], v2 offset:1664
	ds_load_b128 v[132:135], v2 offset:1680
	v_fmac_f64_e32 v[142:143], v[14:15], v[136:137]
	v_fma_f64 v[12:13], v[12:13], v[136:137], -v[138:139]
	s_wait_loadcnt_dscnt 0x501
	v_mul_f64_e32 v[152:153], v[4:5], v[162:163]
	v_mul_f64_e32 v[154:155], v[6:7], v[162:163]
	s_wait_loadcnt_dscnt 0x400
	v_mul_f64_e32 v[138:139], v[132:133], v[146:147]
	v_add_f64_e32 v[14:15], v[150:151], v[148:149]
	v_add_f64_e32 v[136:137], v[140:141], v[172:173]
	v_mul_f64_e32 v[140:141], v[134:135], v[146:147]
	v_fmac_f64_e32 v[152:153], v[6:7], v[160:161]
	v_fma_f64 v[146:147], v[4:5], v[160:161], -v[154:155]
	v_fmac_f64_e32 v[138:139], v[134:135], v[144:145]
	v_add_f64_e32 v[148:149], v[14:15], v[12:13]
	v_add_f64_e32 v[136:137], v[136:137], v[142:143]
	ds_load_b128 v[4:7], v2 offset:1696
	ds_load_b128 v[12:15], v2 offset:1712
	v_fma_f64 v[132:133], v[132:133], v[144:145], -v[140:141]
	s_wait_loadcnt_dscnt 0x301
	v_mul_f64_e32 v[142:143], v[4:5], v[178:179]
	v_mul_f64_e32 v[150:151], v[6:7], v[178:179]
	s_wait_loadcnt_dscnt 0x200
	v_mul_f64_e32 v[140:141], v[12:13], v[10:11]
	v_mul_f64_e32 v[10:11], v[14:15], v[10:11]
	v_add_f64_e32 v[134:135], v[148:149], v[146:147]
	v_add_f64_e32 v[136:137], v[136:137], v[152:153]
	v_fmac_f64_e32 v[142:143], v[6:7], v[176:177]
	v_fma_f64 v[144:145], v[4:5], v[176:177], -v[150:151]
	v_fmac_f64_e32 v[140:141], v[14:15], v[8:9]
	v_fma_f64 v[8:9], v[12:13], v[8:9], -v[10:11]
	v_add_f64_e32 v[146:147], v[134:135], v[132:133]
	v_add_f64_e32 v[136:137], v[136:137], v[138:139]
	ds_load_b128 v[4:7], v2 offset:1728
	ds_load_b128 v[132:135], v2 offset:1744
	s_wait_loadcnt_dscnt 0x101
	v_mul_f64_e32 v[2:3], v[4:5], v[166:167]
	v_mul_f64_e32 v[138:139], v[6:7], v[166:167]
	s_wait_loadcnt_dscnt 0x0
	v_mul_f64_e32 v[14:15], v[132:133], v[130:131]
	v_mul_f64_e32 v[130:131], v[134:135], v[130:131]
	v_add_f64_e32 v[10:11], v[146:147], v[144:145]
	v_add_f64_e32 v[12:13], v[136:137], v[142:143]
	v_fmac_f64_e32 v[2:3], v[6:7], v[164:165]
	v_fma_f64 v[4:5], v[4:5], v[164:165], -v[138:139]
	v_fmac_f64_e32 v[14:15], v[134:135], v[128:129]
	v_add_f64_e32 v[6:7], v[10:11], v[8:9]
	v_add_f64_e32 v[8:9], v[12:13], v[140:141]
	v_fma_f64 v[10:11], v[132:133], v[128:129], -v[130:131]
	s_delay_alu instid0(VALU_DEP_3) | instskip(NEXT) | instid1(VALU_DEP_3)
	v_add_f64_e32 v[4:5], v[6:7], v[4:5]
	v_add_f64_e32 v[2:3], v[8:9], v[2:3]
	s_delay_alu instid0(VALU_DEP_2) | instskip(NEXT) | instid1(VALU_DEP_2)
	v_add_f64_e32 v[4:5], v[4:5], v[10:11]
	v_add_f64_e32 v[6:7], v[2:3], v[14:15]
	s_delay_alu instid0(VALU_DEP_2) | instskip(NEXT) | instid1(VALU_DEP_2)
	v_add_f64_e64 v[2:3], v[168:169], -v[4:5]
	v_add_f64_e64 v[4:5], v[170:171], -v[6:7]
	scratch_store_b128 off, v[2:5], off offset:416
	s_wait_xcnt 0x0
	v_cmpx_lt_u32_e32 25, v1
	s_cbranch_execz .LBB118_293
; %bb.292:
	scratch_load_b128 v[2:5], off, s46
	v_mov_b32_e32 v6, 0
	s_delay_alu instid0(VALU_DEP_1)
	v_dual_mov_b32 v7, v6 :: v_dual_mov_b32 v8, v6
	v_mov_b32_e32 v9, v6
	scratch_store_b128 off, v[6:9], off offset:400
	s_wait_loadcnt 0x0
	ds_store_b128 v126, v[2:5]
.LBB118_293:
	s_wait_xcnt 0x0
	s_or_b32 exec_lo, exec_lo, s2
	s_wait_storecnt_dscnt 0x0
	s_barrier_signal -1
	s_barrier_wait -1
	s_clause 0x9
	scratch_load_b128 v[4:7], off, off offset:416
	scratch_load_b128 v[8:11], off, off offset:432
	;; [unrolled: 1-line block ×10, first 2 shown]
	v_mov_b32_e32 v2, 0
	s_mov_b32 s2, exec_lo
	ds_load_b128 v[156:159], v2 offset:1296
	s_clause 0x2
	scratch_load_b128 v[160:163], off, off offset:576
	scratch_load_b128 v[164:167], off, off offset:400
	;; [unrolled: 1-line block ×3, first 2 shown]
	s_wait_loadcnt_dscnt 0xc00
	v_mul_f64_e32 v[176:177], v[158:159], v[6:7]
	v_mul_f64_e32 v[180:181], v[156:157], v[6:7]
	ds_load_b128 v[168:171], v2 offset:1312
	v_fma_f64 v[184:185], v[156:157], v[4:5], -v[176:177]
	v_fmac_f64_e32 v[180:181], v[158:159], v[4:5]
	ds_load_b128 v[4:7], v2 offset:1328
	s_wait_loadcnt_dscnt 0xb01
	v_mul_f64_e32 v[182:183], v[168:169], v[10:11]
	v_mul_f64_e32 v[10:11], v[170:171], v[10:11]
	scratch_load_b128 v[156:159], off, off offset:608
	ds_load_b128 v[176:179], v2 offset:1344
	s_wait_loadcnt_dscnt 0xb01
	v_mul_f64_e32 v[186:187], v[4:5], v[14:15]
	v_mul_f64_e32 v[14:15], v[6:7], v[14:15]
	v_add_f64_e32 v[180:181], 0, v[180:181]
	v_fmac_f64_e32 v[182:183], v[170:171], v[8:9]
	v_fma_f64 v[168:169], v[168:169], v[8:9], -v[10:11]
	v_add_f64_e32 v[170:171], 0, v[184:185]
	scratch_load_b128 v[8:11], off, off offset:624
	v_fmac_f64_e32 v[186:187], v[6:7], v[12:13]
	v_fma_f64 v[188:189], v[4:5], v[12:13], -v[14:15]
	ds_load_b128 v[4:7], v2 offset:1360
	s_wait_loadcnt_dscnt 0xb01
	v_mul_f64_e32 v[184:185], v[176:177], v[130:131]
	v_mul_f64_e32 v[130:131], v[178:179], v[130:131]
	scratch_load_b128 v[12:15], off, off offset:640
	v_add_f64_e32 v[180:181], v[180:181], v[182:183]
	v_add_f64_e32 v[190:191], v[170:171], v[168:169]
	ds_load_b128 v[168:171], v2 offset:1376
	s_wait_loadcnt_dscnt 0xb01
	v_mul_f64_e32 v[182:183], v[4:5], v[134:135]
	v_mul_f64_e32 v[134:135], v[6:7], v[134:135]
	v_fmac_f64_e32 v[184:185], v[178:179], v[128:129]
	v_fma_f64 v[176:177], v[176:177], v[128:129], -v[130:131]
	scratch_load_b128 v[128:131], off, off offset:656
	v_add_f64_e32 v[180:181], v[180:181], v[186:187]
	v_add_f64_e32 v[178:179], v[190:191], v[188:189]
	v_fmac_f64_e32 v[182:183], v[6:7], v[132:133]
	v_fma_f64 v[188:189], v[4:5], v[132:133], -v[134:135]
	ds_load_b128 v[4:7], v2 offset:1392
	s_wait_loadcnt_dscnt 0xb01
	v_mul_f64_e32 v[186:187], v[168:169], v[138:139]
	v_mul_f64_e32 v[138:139], v[170:171], v[138:139]
	scratch_load_b128 v[132:135], off, off offset:672
	v_add_f64_e32 v[180:181], v[180:181], v[184:185]
	s_wait_loadcnt_dscnt 0xb00
	v_mul_f64_e32 v[184:185], v[4:5], v[142:143]
	v_add_f64_e32 v[190:191], v[178:179], v[176:177]
	v_mul_f64_e32 v[142:143], v[6:7], v[142:143]
	ds_load_b128 v[176:179], v2 offset:1408
	v_fmac_f64_e32 v[186:187], v[170:171], v[136:137]
	v_fma_f64 v[168:169], v[168:169], v[136:137], -v[138:139]
	scratch_load_b128 v[136:139], off, off offset:688
	v_add_f64_e32 v[180:181], v[180:181], v[182:183]
	v_fmac_f64_e32 v[184:185], v[6:7], v[140:141]
	v_add_f64_e32 v[170:171], v[190:191], v[188:189]
	v_fma_f64 v[188:189], v[4:5], v[140:141], -v[142:143]
	ds_load_b128 v[4:7], v2 offset:1424
	s_wait_loadcnt_dscnt 0xb01
	v_mul_f64_e32 v[182:183], v[176:177], v[146:147]
	v_mul_f64_e32 v[146:147], v[178:179], v[146:147]
	scratch_load_b128 v[140:143], off, off offset:704
	v_add_f64_e32 v[180:181], v[180:181], v[186:187]
	s_wait_loadcnt_dscnt 0xb00
	v_mul_f64_e32 v[186:187], v[4:5], v[150:151]
	v_add_f64_e32 v[190:191], v[170:171], v[168:169]
	v_mul_f64_e32 v[150:151], v[6:7], v[150:151]
	ds_load_b128 v[168:171], v2 offset:1440
	v_fmac_f64_e32 v[182:183], v[178:179], v[144:145]
	v_fma_f64 v[176:177], v[176:177], v[144:145], -v[146:147]
	scratch_load_b128 v[144:147], off, off offset:720
	v_add_f64_e32 v[180:181], v[180:181], v[184:185]
	v_fmac_f64_e32 v[186:187], v[6:7], v[148:149]
	v_add_f64_e32 v[178:179], v[190:191], v[188:189]
	;; [unrolled: 18-line block ×3, first 2 shown]
	v_fma_f64 v[188:189], v[4:5], v[160:161], -v[162:163]
	ds_load_b128 v[4:7], v2 offset:1488
	s_wait_loadcnt_dscnt 0xa01
	v_mul_f64_e32 v[186:187], v[176:177], v[174:175]
	v_mul_f64_e32 v[174:175], v[178:179], v[174:175]
	scratch_load_b128 v[160:163], off, off offset:768
	v_add_f64_e32 v[180:181], v[180:181], v[184:185]
	v_add_f64_e32 v[190:191], v[170:171], v[168:169]
	s_wait_loadcnt_dscnt 0xa00
	v_mul_f64_e32 v[184:185], v[4:5], v[158:159]
	v_mul_f64_e32 v[158:159], v[6:7], v[158:159]
	v_fmac_f64_e32 v[186:187], v[178:179], v[172:173]
	v_fma_f64 v[176:177], v[176:177], v[172:173], -v[174:175]
	ds_load_b128 v[168:171], v2 offset:1504
	scratch_load_b128 v[172:175], off, off offset:784
	v_add_f64_e32 v[180:181], v[180:181], v[182:183]
	v_add_f64_e32 v[178:179], v[190:191], v[188:189]
	v_fmac_f64_e32 v[184:185], v[6:7], v[156:157]
	v_fma_f64 v[188:189], v[4:5], v[156:157], -v[158:159]
	ds_load_b128 v[4:7], v2 offset:1520
	s_wait_loadcnt_dscnt 0xa01
	v_mul_f64_e32 v[182:183], v[168:169], v[10:11]
	v_mul_f64_e32 v[10:11], v[170:171], v[10:11]
	scratch_load_b128 v[156:159], off, off offset:800
	v_add_f64_e32 v[180:181], v[180:181], v[186:187]
	s_wait_loadcnt_dscnt 0xa00
	v_mul_f64_e32 v[186:187], v[4:5], v[14:15]
	v_add_f64_e32 v[190:191], v[178:179], v[176:177]
	v_mul_f64_e32 v[14:15], v[6:7], v[14:15]
	ds_load_b128 v[176:179], v2 offset:1536
	v_fmac_f64_e32 v[182:183], v[170:171], v[8:9]
	v_fma_f64 v[168:169], v[168:169], v[8:9], -v[10:11]
	scratch_load_b128 v[8:11], off, off offset:816
	v_add_f64_e32 v[180:181], v[180:181], v[184:185]
	v_fmac_f64_e32 v[186:187], v[6:7], v[12:13]
	v_add_f64_e32 v[170:171], v[190:191], v[188:189]
	v_fma_f64 v[188:189], v[4:5], v[12:13], -v[14:15]
	ds_load_b128 v[4:7], v2 offset:1552
	s_wait_loadcnt_dscnt 0xa01
	v_mul_f64_e32 v[184:185], v[176:177], v[130:131]
	v_mul_f64_e32 v[130:131], v[178:179], v[130:131]
	scratch_load_b128 v[12:15], off, off offset:832
	v_add_f64_e32 v[180:181], v[180:181], v[182:183]
	s_wait_loadcnt_dscnt 0xa00
	v_mul_f64_e32 v[182:183], v[4:5], v[134:135]
	v_add_f64_e32 v[190:191], v[170:171], v[168:169]
	v_mul_f64_e32 v[134:135], v[6:7], v[134:135]
	ds_load_b128 v[168:171], v2 offset:1568
	v_fmac_f64_e32 v[184:185], v[178:179], v[128:129]
	v_fma_f64 v[176:177], v[176:177], v[128:129], -v[130:131]
	scratch_load_b128 v[128:131], off, off offset:848
	v_add_f64_e32 v[180:181], v[180:181], v[186:187]
	v_fmac_f64_e32 v[182:183], v[6:7], v[132:133]
	v_add_f64_e32 v[178:179], v[190:191], v[188:189]
	v_fma_f64 v[188:189], v[4:5], v[132:133], -v[134:135]
	ds_load_b128 v[4:7], v2 offset:1584
	s_wait_loadcnt_dscnt 0xa01
	v_mul_f64_e32 v[186:187], v[168:169], v[138:139]
	v_mul_f64_e32 v[138:139], v[170:171], v[138:139]
	scratch_load_b128 v[132:135], off, off offset:864
	v_add_f64_e32 v[180:181], v[180:181], v[184:185]
	s_wait_loadcnt_dscnt 0xa00
	v_mul_f64_e32 v[184:185], v[4:5], v[142:143]
	v_add_f64_e32 v[190:191], v[178:179], v[176:177]
	v_mul_f64_e32 v[142:143], v[6:7], v[142:143]
	ds_load_b128 v[176:179], v2 offset:1600
	v_fmac_f64_e32 v[186:187], v[170:171], v[136:137]
	v_fma_f64 v[136:137], v[168:169], v[136:137], -v[138:139]
	s_wait_loadcnt_dscnt 0x900
	v_mul_f64_e32 v[170:171], v[176:177], v[146:147]
	v_mul_f64_e32 v[146:147], v[178:179], v[146:147]
	v_add_f64_e32 v[168:169], v[180:181], v[182:183]
	v_fmac_f64_e32 v[184:185], v[6:7], v[140:141]
	v_add_f64_e32 v[138:139], v[190:191], v[188:189]
	v_fma_f64 v[140:141], v[4:5], v[140:141], -v[142:143]
	v_fmac_f64_e32 v[170:171], v[178:179], v[144:145]
	v_fma_f64 v[144:145], v[176:177], v[144:145], -v[146:147]
	v_add_f64_e32 v[168:169], v[168:169], v[186:187]
	v_add_f64_e32 v[142:143], v[138:139], v[136:137]
	ds_load_b128 v[4:7], v2 offset:1616
	ds_load_b128 v[136:139], v2 offset:1632
	s_wait_loadcnt_dscnt 0x801
	v_mul_f64_e32 v[180:181], v[4:5], v[150:151]
	v_mul_f64_e32 v[150:151], v[6:7], v[150:151]
	s_wait_loadcnt_dscnt 0x700
	v_mul_f64_e32 v[146:147], v[136:137], v[154:155]
	v_mul_f64_e32 v[154:155], v[138:139], v[154:155]
	v_add_f64_e32 v[140:141], v[142:143], v[140:141]
	v_add_f64_e32 v[142:143], v[168:169], v[184:185]
	v_fmac_f64_e32 v[180:181], v[6:7], v[148:149]
	v_fma_f64 v[148:149], v[4:5], v[148:149], -v[150:151]
	v_fmac_f64_e32 v[146:147], v[138:139], v[152:153]
	v_fma_f64 v[136:137], v[136:137], v[152:153], -v[154:155]
	v_add_f64_e32 v[144:145], v[140:141], v[144:145]
	v_add_f64_e32 v[150:151], v[142:143], v[170:171]
	ds_load_b128 v[4:7], v2 offset:1648
	ds_load_b128 v[140:143], v2 offset:1664
	s_wait_loadcnt_dscnt 0x601
	v_mul_f64_e32 v[168:169], v[4:5], v[162:163]
	v_mul_f64_e32 v[162:163], v[6:7], v[162:163]
	v_add_f64_e32 v[138:139], v[144:145], v[148:149]
	v_add_f64_e32 v[144:145], v[150:151], v[180:181]
	s_wait_loadcnt_dscnt 0x500
	v_mul_f64_e32 v[148:149], v[140:141], v[174:175]
	v_mul_f64_e32 v[150:151], v[142:143], v[174:175]
	v_fmac_f64_e32 v[168:169], v[6:7], v[160:161]
	v_fma_f64 v[152:153], v[4:5], v[160:161], -v[162:163]
	v_add_f64_e32 v[154:155], v[138:139], v[136:137]
	v_add_f64_e32 v[144:145], v[144:145], v[146:147]
	ds_load_b128 v[4:7], v2 offset:1680
	ds_load_b128 v[136:139], v2 offset:1696
	v_fmac_f64_e32 v[148:149], v[142:143], v[172:173]
	v_fma_f64 v[140:141], v[140:141], v[172:173], -v[150:151]
	s_wait_loadcnt_dscnt 0x401
	v_mul_f64_e32 v[146:147], v[4:5], v[158:159]
	v_mul_f64_e32 v[158:159], v[6:7], v[158:159]
	s_wait_loadcnt_dscnt 0x300
	v_mul_f64_e32 v[150:151], v[136:137], v[10:11]
	v_mul_f64_e32 v[10:11], v[138:139], v[10:11]
	v_add_f64_e32 v[142:143], v[154:155], v[152:153]
	v_add_f64_e32 v[144:145], v[144:145], v[168:169]
	v_fmac_f64_e32 v[146:147], v[6:7], v[156:157]
	v_fma_f64 v[152:153], v[4:5], v[156:157], -v[158:159]
	v_fmac_f64_e32 v[150:151], v[138:139], v[8:9]
	v_fma_f64 v[8:9], v[136:137], v[8:9], -v[10:11]
	v_add_f64_e32 v[154:155], v[142:143], v[140:141]
	v_add_f64_e32 v[144:145], v[144:145], v[148:149]
	ds_load_b128 v[4:7], v2 offset:1712
	ds_load_b128 v[140:143], v2 offset:1728
	s_wait_loadcnt_dscnt 0x201
	v_mul_f64_e32 v[148:149], v[4:5], v[14:15]
	v_mul_f64_e32 v[14:15], v[6:7], v[14:15]
	s_wait_loadcnt_dscnt 0x100
	v_mul_f64_e32 v[138:139], v[140:141], v[130:131]
	v_mul_f64_e32 v[130:131], v[142:143], v[130:131]
	v_add_f64_e32 v[10:11], v[154:155], v[152:153]
	v_add_f64_e32 v[136:137], v[144:145], v[146:147]
	v_fmac_f64_e32 v[148:149], v[6:7], v[12:13]
	v_fma_f64 v[12:13], v[4:5], v[12:13], -v[14:15]
	ds_load_b128 v[4:7], v2 offset:1744
	v_fmac_f64_e32 v[138:139], v[142:143], v[128:129]
	v_fma_f64 v[128:129], v[140:141], v[128:129], -v[130:131]
	v_add_f64_e32 v[8:9], v[10:11], v[8:9]
	v_add_f64_e32 v[10:11], v[136:137], v[150:151]
	s_wait_loadcnt_dscnt 0x0
	v_mul_f64_e32 v[14:15], v[4:5], v[134:135]
	v_mul_f64_e32 v[134:135], v[6:7], v[134:135]
	s_delay_alu instid0(VALU_DEP_4) | instskip(NEXT) | instid1(VALU_DEP_4)
	v_add_f64_e32 v[8:9], v[8:9], v[12:13]
	v_add_f64_e32 v[10:11], v[10:11], v[148:149]
	s_delay_alu instid0(VALU_DEP_4) | instskip(NEXT) | instid1(VALU_DEP_4)
	v_fmac_f64_e32 v[14:15], v[6:7], v[132:133]
	v_fma_f64 v[4:5], v[4:5], v[132:133], -v[134:135]
	s_delay_alu instid0(VALU_DEP_4) | instskip(NEXT) | instid1(VALU_DEP_4)
	v_add_f64_e32 v[6:7], v[8:9], v[128:129]
	v_add_f64_e32 v[8:9], v[10:11], v[138:139]
	s_delay_alu instid0(VALU_DEP_2) | instskip(NEXT) | instid1(VALU_DEP_2)
	v_add_f64_e32 v[4:5], v[6:7], v[4:5]
	v_add_f64_e32 v[6:7], v[8:9], v[14:15]
	s_delay_alu instid0(VALU_DEP_2) | instskip(NEXT) | instid1(VALU_DEP_2)
	v_add_f64_e64 v[4:5], v[164:165], -v[4:5]
	v_add_f64_e64 v[6:7], v[166:167], -v[6:7]
	scratch_store_b128 off, v[4:7], off offset:400
	s_wait_xcnt 0x0
	v_cmpx_lt_u32_e32 24, v1
	s_cbranch_execz .LBB118_295
; %bb.294:
	scratch_load_b128 v[6:9], off, s47
	v_dual_mov_b32 v3, v2 :: v_dual_mov_b32 v4, v2
	v_mov_b32_e32 v5, v2
	scratch_store_b128 off, v[2:5], off offset:384
	s_wait_loadcnt 0x0
	ds_store_b128 v126, v[6:9]
.LBB118_295:
	s_wait_xcnt 0x0
	s_or_b32 exec_lo, exec_lo, s2
	s_wait_storecnt_dscnt 0x0
	s_barrier_signal -1
	s_barrier_wait -1
	s_clause 0x9
	scratch_load_b128 v[4:7], off, off offset:400
	scratch_load_b128 v[8:11], off, off offset:416
	;; [unrolled: 1-line block ×10, first 2 shown]
	ds_load_b128 v[156:159], v2 offset:1280
	ds_load_b128 v[164:167], v2 offset:1296
	s_clause 0x2
	scratch_load_b128 v[160:163], off, off offset:560
	scratch_load_b128 v[168:171], off, off offset:384
	scratch_load_b128 v[172:175], off, off offset:576
	s_mov_b32 s2, exec_lo
	s_wait_loadcnt_dscnt 0xc01
	v_mul_f64_e32 v[176:177], v[158:159], v[6:7]
	v_mul_f64_e32 v[180:181], v[156:157], v[6:7]
	s_wait_loadcnt_dscnt 0xb00
	v_mul_f64_e32 v[182:183], v[164:165], v[10:11]
	v_mul_f64_e32 v[10:11], v[166:167], v[10:11]
	s_delay_alu instid0(VALU_DEP_4) | instskip(NEXT) | instid1(VALU_DEP_4)
	v_fma_f64 v[184:185], v[156:157], v[4:5], -v[176:177]
	v_fmac_f64_e32 v[180:181], v[158:159], v[4:5]
	ds_load_b128 v[4:7], v2 offset:1312
	ds_load_b128 v[156:159], v2 offset:1328
	scratch_load_b128 v[176:179], off, off offset:592
	v_fmac_f64_e32 v[182:183], v[166:167], v[8:9]
	v_fma_f64 v[164:165], v[164:165], v[8:9], -v[10:11]
	scratch_load_b128 v[8:11], off, off offset:608
	s_wait_loadcnt_dscnt 0xc01
	v_mul_f64_e32 v[186:187], v[4:5], v[14:15]
	v_mul_f64_e32 v[14:15], v[6:7], v[14:15]
	v_add_f64_e32 v[166:167], 0, v[184:185]
	v_add_f64_e32 v[180:181], 0, v[180:181]
	s_wait_loadcnt_dscnt 0xb00
	v_mul_f64_e32 v[184:185], v[156:157], v[130:131]
	v_mul_f64_e32 v[130:131], v[158:159], v[130:131]
	v_fmac_f64_e32 v[186:187], v[6:7], v[12:13]
	v_fma_f64 v[188:189], v[4:5], v[12:13], -v[14:15]
	ds_load_b128 v[4:7], v2 offset:1344
	ds_load_b128 v[12:15], v2 offset:1360
	v_add_f64_e32 v[190:191], v[166:167], v[164:165]
	v_add_f64_e32 v[180:181], v[180:181], v[182:183]
	scratch_load_b128 v[164:167], off, off offset:624
	v_fmac_f64_e32 v[184:185], v[158:159], v[128:129]
	v_fma_f64 v[156:157], v[156:157], v[128:129], -v[130:131]
	scratch_load_b128 v[128:131], off, off offset:640
	s_wait_loadcnt_dscnt 0xc01
	v_mul_f64_e32 v[182:183], v[4:5], v[134:135]
	v_mul_f64_e32 v[134:135], v[6:7], v[134:135]
	v_add_f64_e32 v[158:159], v[190:191], v[188:189]
	v_add_f64_e32 v[180:181], v[180:181], v[186:187]
	s_wait_loadcnt_dscnt 0xb00
	v_mul_f64_e32 v[186:187], v[12:13], v[138:139]
	v_mul_f64_e32 v[138:139], v[14:15], v[138:139]
	v_fmac_f64_e32 v[182:183], v[6:7], v[132:133]
	v_fma_f64 v[188:189], v[4:5], v[132:133], -v[134:135]
	ds_load_b128 v[4:7], v2 offset:1376
	ds_load_b128 v[132:135], v2 offset:1392
	v_add_f64_e32 v[190:191], v[158:159], v[156:157]
	v_add_f64_e32 v[180:181], v[180:181], v[184:185]
	scratch_load_b128 v[156:159], off, off offset:656
	s_wait_loadcnt_dscnt 0xb01
	v_mul_f64_e32 v[184:185], v[4:5], v[142:143]
	v_mul_f64_e32 v[142:143], v[6:7], v[142:143]
	v_fmac_f64_e32 v[186:187], v[14:15], v[136:137]
	v_fma_f64 v[136:137], v[12:13], v[136:137], -v[138:139]
	scratch_load_b128 v[12:15], off, off offset:672
	v_add_f64_e32 v[138:139], v[190:191], v[188:189]
	v_add_f64_e32 v[180:181], v[180:181], v[182:183]
	s_wait_loadcnt_dscnt 0xb00
	v_mul_f64_e32 v[182:183], v[132:133], v[146:147]
	v_mul_f64_e32 v[146:147], v[134:135], v[146:147]
	v_fmac_f64_e32 v[184:185], v[6:7], v[140:141]
	v_fma_f64 v[188:189], v[4:5], v[140:141], -v[142:143]
	v_add_f64_e32 v[190:191], v[138:139], v[136:137]
	v_add_f64_e32 v[180:181], v[180:181], v[186:187]
	ds_load_b128 v[4:7], v2 offset:1408
	ds_load_b128 v[136:139], v2 offset:1424
	scratch_load_b128 v[140:143], off, off offset:688
	v_fmac_f64_e32 v[182:183], v[134:135], v[144:145]
	v_fma_f64 v[144:145], v[132:133], v[144:145], -v[146:147]
	scratch_load_b128 v[132:135], off, off offset:704
	s_wait_loadcnt_dscnt 0xc01
	v_mul_f64_e32 v[186:187], v[4:5], v[150:151]
	v_mul_f64_e32 v[150:151], v[6:7], v[150:151]
	v_add_f64_e32 v[146:147], v[190:191], v[188:189]
	v_add_f64_e32 v[180:181], v[180:181], v[184:185]
	s_wait_loadcnt_dscnt 0xb00
	v_mul_f64_e32 v[184:185], v[136:137], v[154:155]
	v_mul_f64_e32 v[154:155], v[138:139], v[154:155]
	v_fmac_f64_e32 v[186:187], v[6:7], v[148:149]
	v_fma_f64 v[188:189], v[4:5], v[148:149], -v[150:151]
	v_add_f64_e32 v[190:191], v[146:147], v[144:145]
	v_add_f64_e32 v[180:181], v[180:181], v[182:183]
	ds_load_b128 v[4:7], v2 offset:1440
	ds_load_b128 v[144:147], v2 offset:1456
	scratch_load_b128 v[148:151], off, off offset:720
	v_fmac_f64_e32 v[184:185], v[138:139], v[152:153]
	v_fma_f64 v[152:153], v[136:137], v[152:153], -v[154:155]
	scratch_load_b128 v[136:139], off, off offset:736
	s_wait_loadcnt_dscnt 0xc01
	v_mul_f64_e32 v[182:183], v[4:5], v[162:163]
	v_mul_f64_e32 v[162:163], v[6:7], v[162:163]
	;; [unrolled: 18-line block ×5, first 2 shown]
	v_add_f64_e32 v[174:175], v[190:191], v[188:189]
	v_add_f64_e32 v[180:181], v[180:181], v[186:187]
	s_wait_loadcnt_dscnt 0xa00
	v_mul_f64_e32 v[186:187], v[152:153], v[14:15]
	v_mul_f64_e32 v[14:15], v[154:155], v[14:15]
	v_fmac_f64_e32 v[182:183], v[6:7], v[156:157]
	v_fma_f64 v[188:189], v[4:5], v[156:157], -v[158:159]
	ds_load_b128 v[4:7], v2 offset:1568
	ds_load_b128 v[156:159], v2 offset:1584
	v_add_f64_e32 v[190:191], v[174:175], v[172:173]
	v_add_f64_e32 v[180:181], v[180:181], v[184:185]
	scratch_load_b128 v[172:175], off, off offset:848
	v_fmac_f64_e32 v[186:187], v[154:155], v[12:13]
	v_fma_f64 v[152:153], v[152:153], v[12:13], -v[14:15]
	scratch_load_b128 v[12:15], off, off offset:864
	s_wait_loadcnt_dscnt 0xb01
	v_mul_f64_e32 v[184:185], v[4:5], v[142:143]
	v_mul_f64_e32 v[142:143], v[6:7], v[142:143]
	v_add_f64_e32 v[154:155], v[190:191], v[188:189]
	v_add_f64_e32 v[180:181], v[180:181], v[182:183]
	s_wait_loadcnt_dscnt 0xa00
	v_mul_f64_e32 v[182:183], v[156:157], v[134:135]
	v_mul_f64_e32 v[134:135], v[158:159], v[134:135]
	v_fmac_f64_e32 v[184:185], v[6:7], v[140:141]
	v_fma_f64 v[188:189], v[4:5], v[140:141], -v[142:143]
	ds_load_b128 v[4:7], v2 offset:1600
	ds_load_b128 v[140:143], v2 offset:1616
	v_add_f64_e32 v[152:153], v[154:155], v[152:153]
	v_add_f64_e32 v[154:155], v[180:181], v[186:187]
	v_fmac_f64_e32 v[182:183], v[158:159], v[132:133]
	s_wait_loadcnt_dscnt 0x901
	v_mul_f64_e32 v[180:181], v[4:5], v[150:151]
	v_mul_f64_e32 v[150:151], v[6:7], v[150:151]
	v_fma_f64 v[132:133], v[156:157], v[132:133], -v[134:135]
	v_add_f64_e32 v[134:135], v[152:153], v[188:189]
	v_add_f64_e32 v[152:153], v[154:155], v[184:185]
	s_wait_loadcnt_dscnt 0x800
	v_mul_f64_e32 v[154:155], v[140:141], v[138:139]
	v_mul_f64_e32 v[138:139], v[142:143], v[138:139]
	v_fmac_f64_e32 v[180:181], v[6:7], v[148:149]
	v_fma_f64 v[148:149], v[4:5], v[148:149], -v[150:151]
	v_add_f64_e32 v[150:151], v[134:135], v[132:133]
	v_add_f64_e32 v[152:153], v[152:153], v[182:183]
	ds_load_b128 v[4:7], v2 offset:1632
	ds_load_b128 v[132:135], v2 offset:1648
	v_fmac_f64_e32 v[154:155], v[142:143], v[136:137]
	v_fma_f64 v[136:137], v[140:141], v[136:137], -v[138:139]
	s_wait_loadcnt_dscnt 0x701
	v_mul_f64_e32 v[156:157], v[4:5], v[162:163]
	v_mul_f64_e32 v[158:159], v[6:7], v[162:163]
	s_wait_loadcnt_dscnt 0x600
	v_mul_f64_e32 v[142:143], v[132:133], v[146:147]
	v_mul_f64_e32 v[146:147], v[134:135], v[146:147]
	v_add_f64_e32 v[138:139], v[150:151], v[148:149]
	v_add_f64_e32 v[140:141], v[152:153], v[180:181]
	v_fmac_f64_e32 v[156:157], v[6:7], v[160:161]
	v_fma_f64 v[148:149], v[4:5], v[160:161], -v[158:159]
	v_fmac_f64_e32 v[142:143], v[134:135], v[144:145]
	v_fma_f64 v[132:133], v[132:133], v[144:145], -v[146:147]
	v_add_f64_e32 v[150:151], v[138:139], v[136:137]
	v_add_f64_e32 v[140:141], v[140:141], v[154:155]
	ds_load_b128 v[4:7], v2 offset:1664
	ds_load_b128 v[136:139], v2 offset:1680
	s_wait_loadcnt_dscnt 0x501
	v_mul_f64_e32 v[152:153], v[4:5], v[178:179]
	v_mul_f64_e32 v[154:155], v[6:7], v[178:179]
	s_wait_loadcnt_dscnt 0x400
	v_mul_f64_e32 v[144:145], v[136:137], v[10:11]
	v_mul_f64_e32 v[10:11], v[138:139], v[10:11]
	v_add_f64_e32 v[134:135], v[150:151], v[148:149]
	v_add_f64_e32 v[140:141], v[140:141], v[156:157]
	v_fmac_f64_e32 v[152:153], v[6:7], v[176:177]
	v_fma_f64 v[146:147], v[4:5], v[176:177], -v[154:155]
	v_fmac_f64_e32 v[144:145], v[138:139], v[8:9]
	v_fma_f64 v[8:9], v[136:137], v[8:9], -v[10:11]
	v_add_f64_e32 v[148:149], v[134:135], v[132:133]
	v_add_f64_e32 v[140:141], v[140:141], v[142:143]
	ds_load_b128 v[4:7], v2 offset:1696
	ds_load_b128 v[132:135], v2 offset:1712
	s_wait_loadcnt_dscnt 0x301
	v_mul_f64_e32 v[142:143], v[4:5], v[166:167]
	v_mul_f64_e32 v[150:151], v[6:7], v[166:167]
	s_wait_loadcnt_dscnt 0x200
	v_mul_f64_e32 v[138:139], v[132:133], v[130:131]
	v_mul_f64_e32 v[130:131], v[134:135], v[130:131]
	v_add_f64_e32 v[10:11], v[148:149], v[146:147]
	v_add_f64_e32 v[136:137], v[140:141], v[152:153]
	v_fmac_f64_e32 v[142:143], v[6:7], v[164:165]
	v_fma_f64 v[140:141], v[4:5], v[164:165], -v[150:151]
	v_fmac_f64_e32 v[138:139], v[134:135], v[128:129]
	v_fma_f64 v[128:129], v[132:133], v[128:129], -v[130:131]
	v_add_f64_e32 v[146:147], v[10:11], v[8:9]
	v_add_f64_e32 v[136:137], v[136:137], v[144:145]
	ds_load_b128 v[4:7], v2 offset:1728
	ds_load_b128 v[8:11], v2 offset:1744
	s_wait_loadcnt_dscnt 0x101
	v_mul_f64_e32 v[2:3], v[4:5], v[174:175]
	v_mul_f64_e32 v[144:145], v[6:7], v[174:175]
	s_wait_loadcnt_dscnt 0x0
	v_mul_f64_e32 v[134:135], v[8:9], v[14:15]
	v_mul_f64_e32 v[14:15], v[10:11], v[14:15]
	v_add_f64_e32 v[130:131], v[146:147], v[140:141]
	v_add_f64_e32 v[132:133], v[136:137], v[142:143]
	v_fmac_f64_e32 v[2:3], v[6:7], v[172:173]
	v_fma_f64 v[4:5], v[4:5], v[172:173], -v[144:145]
	v_fmac_f64_e32 v[134:135], v[10:11], v[12:13]
	v_fma_f64 v[8:9], v[8:9], v[12:13], -v[14:15]
	v_add_f64_e32 v[6:7], v[130:131], v[128:129]
	v_add_f64_e32 v[128:129], v[132:133], v[138:139]
	s_delay_alu instid0(VALU_DEP_2) | instskip(NEXT) | instid1(VALU_DEP_2)
	v_add_f64_e32 v[4:5], v[6:7], v[4:5]
	v_add_f64_e32 v[2:3], v[128:129], v[2:3]
	s_delay_alu instid0(VALU_DEP_2) | instskip(NEXT) | instid1(VALU_DEP_2)
	;; [unrolled: 3-line block ×3, first 2 shown]
	v_add_f64_e64 v[2:3], v[168:169], -v[4:5]
	v_add_f64_e64 v[4:5], v[170:171], -v[6:7]
	scratch_store_b128 off, v[2:5], off offset:384
	s_wait_xcnt 0x0
	v_cmpx_lt_u32_e32 23, v1
	s_cbranch_execz .LBB118_297
; %bb.296:
	scratch_load_b128 v[2:5], off, s48
	v_mov_b32_e32 v6, 0
	s_delay_alu instid0(VALU_DEP_1)
	v_dual_mov_b32 v7, v6 :: v_dual_mov_b32 v8, v6
	v_mov_b32_e32 v9, v6
	scratch_store_b128 off, v[6:9], off offset:368
	s_wait_loadcnt 0x0
	ds_store_b128 v126, v[2:5]
.LBB118_297:
	s_wait_xcnt 0x0
	s_or_b32 exec_lo, exec_lo, s2
	s_wait_storecnt_dscnt 0x0
	s_barrier_signal -1
	s_barrier_wait -1
	s_clause 0x9
	scratch_load_b128 v[4:7], off, off offset:384
	scratch_load_b128 v[8:11], off, off offset:400
	;; [unrolled: 1-line block ×10, first 2 shown]
	v_mov_b32_e32 v2, 0
	s_mov_b32 s2, exec_lo
	ds_load_b128 v[156:159], v2 offset:1264
	s_clause 0x2
	scratch_load_b128 v[160:163], off, off offset:544
	scratch_load_b128 v[164:167], off, off offset:368
	;; [unrolled: 1-line block ×3, first 2 shown]
	s_wait_loadcnt_dscnt 0xc00
	v_mul_f64_e32 v[176:177], v[158:159], v[6:7]
	v_mul_f64_e32 v[180:181], v[156:157], v[6:7]
	ds_load_b128 v[168:171], v2 offset:1280
	v_fma_f64 v[184:185], v[156:157], v[4:5], -v[176:177]
	v_fmac_f64_e32 v[180:181], v[158:159], v[4:5]
	ds_load_b128 v[4:7], v2 offset:1296
	s_wait_loadcnt_dscnt 0xb01
	v_mul_f64_e32 v[182:183], v[168:169], v[10:11]
	v_mul_f64_e32 v[10:11], v[170:171], v[10:11]
	scratch_load_b128 v[156:159], off, off offset:576
	ds_load_b128 v[176:179], v2 offset:1312
	s_wait_loadcnt_dscnt 0xb01
	v_mul_f64_e32 v[186:187], v[4:5], v[14:15]
	v_mul_f64_e32 v[14:15], v[6:7], v[14:15]
	v_add_f64_e32 v[180:181], 0, v[180:181]
	v_fmac_f64_e32 v[182:183], v[170:171], v[8:9]
	v_fma_f64 v[168:169], v[168:169], v[8:9], -v[10:11]
	v_add_f64_e32 v[170:171], 0, v[184:185]
	scratch_load_b128 v[8:11], off, off offset:592
	v_fmac_f64_e32 v[186:187], v[6:7], v[12:13]
	v_fma_f64 v[188:189], v[4:5], v[12:13], -v[14:15]
	ds_load_b128 v[4:7], v2 offset:1328
	s_wait_loadcnt_dscnt 0xb01
	v_mul_f64_e32 v[184:185], v[176:177], v[130:131]
	v_mul_f64_e32 v[130:131], v[178:179], v[130:131]
	scratch_load_b128 v[12:15], off, off offset:608
	v_add_f64_e32 v[180:181], v[180:181], v[182:183]
	v_add_f64_e32 v[190:191], v[170:171], v[168:169]
	ds_load_b128 v[168:171], v2 offset:1344
	s_wait_loadcnt_dscnt 0xb01
	v_mul_f64_e32 v[182:183], v[4:5], v[134:135]
	v_mul_f64_e32 v[134:135], v[6:7], v[134:135]
	v_fmac_f64_e32 v[184:185], v[178:179], v[128:129]
	v_fma_f64 v[176:177], v[176:177], v[128:129], -v[130:131]
	scratch_load_b128 v[128:131], off, off offset:624
	v_add_f64_e32 v[180:181], v[180:181], v[186:187]
	v_add_f64_e32 v[178:179], v[190:191], v[188:189]
	v_fmac_f64_e32 v[182:183], v[6:7], v[132:133]
	v_fma_f64 v[188:189], v[4:5], v[132:133], -v[134:135]
	ds_load_b128 v[4:7], v2 offset:1360
	s_wait_loadcnt_dscnt 0xb01
	v_mul_f64_e32 v[186:187], v[168:169], v[138:139]
	v_mul_f64_e32 v[138:139], v[170:171], v[138:139]
	scratch_load_b128 v[132:135], off, off offset:640
	v_add_f64_e32 v[180:181], v[180:181], v[184:185]
	s_wait_loadcnt_dscnt 0xb00
	v_mul_f64_e32 v[184:185], v[4:5], v[142:143]
	v_add_f64_e32 v[190:191], v[178:179], v[176:177]
	v_mul_f64_e32 v[142:143], v[6:7], v[142:143]
	ds_load_b128 v[176:179], v2 offset:1376
	v_fmac_f64_e32 v[186:187], v[170:171], v[136:137]
	v_fma_f64 v[168:169], v[168:169], v[136:137], -v[138:139]
	scratch_load_b128 v[136:139], off, off offset:656
	v_add_f64_e32 v[180:181], v[180:181], v[182:183]
	v_fmac_f64_e32 v[184:185], v[6:7], v[140:141]
	v_add_f64_e32 v[170:171], v[190:191], v[188:189]
	v_fma_f64 v[188:189], v[4:5], v[140:141], -v[142:143]
	ds_load_b128 v[4:7], v2 offset:1392
	s_wait_loadcnt_dscnt 0xb01
	v_mul_f64_e32 v[182:183], v[176:177], v[146:147]
	v_mul_f64_e32 v[146:147], v[178:179], v[146:147]
	scratch_load_b128 v[140:143], off, off offset:672
	v_add_f64_e32 v[180:181], v[180:181], v[186:187]
	s_wait_loadcnt_dscnt 0xb00
	v_mul_f64_e32 v[186:187], v[4:5], v[150:151]
	v_add_f64_e32 v[190:191], v[170:171], v[168:169]
	v_mul_f64_e32 v[150:151], v[6:7], v[150:151]
	ds_load_b128 v[168:171], v2 offset:1408
	v_fmac_f64_e32 v[182:183], v[178:179], v[144:145]
	v_fma_f64 v[176:177], v[176:177], v[144:145], -v[146:147]
	scratch_load_b128 v[144:147], off, off offset:688
	v_add_f64_e32 v[180:181], v[180:181], v[184:185]
	v_fmac_f64_e32 v[186:187], v[6:7], v[148:149]
	v_add_f64_e32 v[178:179], v[190:191], v[188:189]
	;; [unrolled: 18-line block ×3, first 2 shown]
	v_fma_f64 v[188:189], v[4:5], v[160:161], -v[162:163]
	ds_load_b128 v[4:7], v2 offset:1456
	s_wait_loadcnt_dscnt 0xa01
	v_mul_f64_e32 v[186:187], v[176:177], v[174:175]
	v_mul_f64_e32 v[174:175], v[178:179], v[174:175]
	scratch_load_b128 v[160:163], off, off offset:736
	v_add_f64_e32 v[180:181], v[180:181], v[184:185]
	v_add_f64_e32 v[190:191], v[170:171], v[168:169]
	s_wait_loadcnt_dscnt 0xa00
	v_mul_f64_e32 v[184:185], v[4:5], v[158:159]
	v_mul_f64_e32 v[158:159], v[6:7], v[158:159]
	v_fmac_f64_e32 v[186:187], v[178:179], v[172:173]
	v_fma_f64 v[176:177], v[176:177], v[172:173], -v[174:175]
	ds_load_b128 v[168:171], v2 offset:1472
	scratch_load_b128 v[172:175], off, off offset:752
	v_add_f64_e32 v[180:181], v[180:181], v[182:183]
	v_add_f64_e32 v[178:179], v[190:191], v[188:189]
	v_fmac_f64_e32 v[184:185], v[6:7], v[156:157]
	v_fma_f64 v[188:189], v[4:5], v[156:157], -v[158:159]
	ds_load_b128 v[4:7], v2 offset:1488
	s_wait_loadcnt_dscnt 0xa01
	v_mul_f64_e32 v[182:183], v[168:169], v[10:11]
	v_mul_f64_e32 v[10:11], v[170:171], v[10:11]
	scratch_load_b128 v[156:159], off, off offset:768
	v_add_f64_e32 v[180:181], v[180:181], v[186:187]
	s_wait_loadcnt_dscnt 0xa00
	v_mul_f64_e32 v[186:187], v[4:5], v[14:15]
	v_add_f64_e32 v[190:191], v[178:179], v[176:177]
	v_mul_f64_e32 v[14:15], v[6:7], v[14:15]
	ds_load_b128 v[176:179], v2 offset:1504
	v_fmac_f64_e32 v[182:183], v[170:171], v[8:9]
	v_fma_f64 v[168:169], v[168:169], v[8:9], -v[10:11]
	scratch_load_b128 v[8:11], off, off offset:784
	v_add_f64_e32 v[180:181], v[180:181], v[184:185]
	v_fmac_f64_e32 v[186:187], v[6:7], v[12:13]
	v_add_f64_e32 v[170:171], v[190:191], v[188:189]
	v_fma_f64 v[188:189], v[4:5], v[12:13], -v[14:15]
	ds_load_b128 v[4:7], v2 offset:1520
	s_wait_loadcnt_dscnt 0xa01
	v_mul_f64_e32 v[184:185], v[176:177], v[130:131]
	v_mul_f64_e32 v[130:131], v[178:179], v[130:131]
	scratch_load_b128 v[12:15], off, off offset:800
	v_add_f64_e32 v[180:181], v[180:181], v[182:183]
	s_wait_loadcnt_dscnt 0xa00
	v_mul_f64_e32 v[182:183], v[4:5], v[134:135]
	v_add_f64_e32 v[190:191], v[170:171], v[168:169]
	v_mul_f64_e32 v[134:135], v[6:7], v[134:135]
	ds_load_b128 v[168:171], v2 offset:1536
	v_fmac_f64_e32 v[184:185], v[178:179], v[128:129]
	v_fma_f64 v[176:177], v[176:177], v[128:129], -v[130:131]
	scratch_load_b128 v[128:131], off, off offset:816
	v_add_f64_e32 v[180:181], v[180:181], v[186:187]
	v_fmac_f64_e32 v[182:183], v[6:7], v[132:133]
	v_add_f64_e32 v[178:179], v[190:191], v[188:189]
	;; [unrolled: 18-line block ×3, first 2 shown]
	v_fma_f64 v[188:189], v[4:5], v[140:141], -v[142:143]
	ds_load_b128 v[4:7], v2 offset:1584
	s_wait_loadcnt_dscnt 0xa01
	v_mul_f64_e32 v[182:183], v[176:177], v[146:147]
	v_mul_f64_e32 v[146:147], v[178:179], v[146:147]
	scratch_load_b128 v[140:143], off, off offset:864
	v_add_f64_e32 v[180:181], v[180:181], v[186:187]
	s_wait_loadcnt_dscnt 0xa00
	v_mul_f64_e32 v[186:187], v[4:5], v[150:151]
	v_add_f64_e32 v[190:191], v[170:171], v[168:169]
	v_mul_f64_e32 v[150:151], v[6:7], v[150:151]
	ds_load_b128 v[168:171], v2 offset:1600
	v_fmac_f64_e32 v[182:183], v[178:179], v[144:145]
	v_fma_f64 v[144:145], v[176:177], v[144:145], -v[146:147]
	s_wait_loadcnt_dscnt 0x900
	v_mul_f64_e32 v[178:179], v[168:169], v[154:155]
	v_mul_f64_e32 v[154:155], v[170:171], v[154:155]
	v_add_f64_e32 v[176:177], v[180:181], v[184:185]
	v_fmac_f64_e32 v[186:187], v[6:7], v[148:149]
	v_add_f64_e32 v[146:147], v[190:191], v[188:189]
	v_fma_f64 v[148:149], v[4:5], v[148:149], -v[150:151]
	v_fmac_f64_e32 v[178:179], v[170:171], v[152:153]
	v_fma_f64 v[152:153], v[168:169], v[152:153], -v[154:155]
	v_add_f64_e32 v[176:177], v[176:177], v[182:183]
	v_add_f64_e32 v[150:151], v[146:147], v[144:145]
	ds_load_b128 v[4:7], v2 offset:1616
	ds_load_b128 v[144:147], v2 offset:1632
	s_wait_loadcnt_dscnt 0x801
	v_mul_f64_e32 v[180:181], v[4:5], v[162:163]
	v_mul_f64_e32 v[162:163], v[6:7], v[162:163]
	s_wait_loadcnt_dscnt 0x700
	v_mul_f64_e32 v[154:155], v[144:145], v[174:175]
	v_mul_f64_e32 v[168:169], v[146:147], v[174:175]
	v_add_f64_e32 v[148:149], v[150:151], v[148:149]
	v_add_f64_e32 v[150:151], v[176:177], v[186:187]
	v_fmac_f64_e32 v[180:181], v[6:7], v[160:161]
	v_fma_f64 v[160:161], v[4:5], v[160:161], -v[162:163]
	v_fmac_f64_e32 v[154:155], v[146:147], v[172:173]
	v_fma_f64 v[144:145], v[144:145], v[172:173], -v[168:169]
	v_add_f64_e32 v[152:153], v[148:149], v[152:153]
	v_add_f64_e32 v[162:163], v[150:151], v[178:179]
	ds_load_b128 v[4:7], v2 offset:1648
	ds_load_b128 v[148:151], v2 offset:1664
	s_wait_loadcnt_dscnt 0x601
	v_mul_f64_e32 v[170:171], v[4:5], v[158:159]
	v_mul_f64_e32 v[158:159], v[6:7], v[158:159]
	v_add_f64_e32 v[146:147], v[152:153], v[160:161]
	v_add_f64_e32 v[152:153], v[162:163], v[180:181]
	s_wait_loadcnt_dscnt 0x500
	v_mul_f64_e32 v[160:161], v[148:149], v[10:11]
	v_mul_f64_e32 v[10:11], v[150:151], v[10:11]
	v_fmac_f64_e32 v[170:171], v[6:7], v[156:157]
	v_fma_f64 v[156:157], v[4:5], v[156:157], -v[158:159]
	v_add_f64_e32 v[158:159], v[146:147], v[144:145]
	v_add_f64_e32 v[152:153], v[152:153], v[154:155]
	ds_load_b128 v[4:7], v2 offset:1680
	ds_load_b128 v[144:147], v2 offset:1696
	v_fmac_f64_e32 v[160:161], v[150:151], v[8:9]
	v_fma_f64 v[8:9], v[148:149], v[8:9], -v[10:11]
	s_wait_loadcnt_dscnt 0x401
	v_mul_f64_e32 v[154:155], v[4:5], v[14:15]
	v_mul_f64_e32 v[14:15], v[6:7], v[14:15]
	s_wait_loadcnt_dscnt 0x300
	v_mul_f64_e32 v[150:151], v[144:145], v[130:131]
	v_mul_f64_e32 v[130:131], v[146:147], v[130:131]
	v_add_f64_e32 v[10:11], v[158:159], v[156:157]
	v_add_f64_e32 v[148:149], v[152:153], v[170:171]
	v_fmac_f64_e32 v[154:155], v[6:7], v[12:13]
	v_fma_f64 v[12:13], v[4:5], v[12:13], -v[14:15]
	v_fmac_f64_e32 v[150:151], v[146:147], v[128:129]
	v_fma_f64 v[128:129], v[144:145], v[128:129], -v[130:131]
	v_add_f64_e32 v[14:15], v[10:11], v[8:9]
	v_add_f64_e32 v[148:149], v[148:149], v[160:161]
	ds_load_b128 v[4:7], v2 offset:1712
	ds_load_b128 v[8:11], v2 offset:1728
	s_wait_loadcnt_dscnt 0x201
	v_mul_f64_e32 v[152:153], v[4:5], v[134:135]
	v_mul_f64_e32 v[134:135], v[6:7], v[134:135]
	s_wait_loadcnt_dscnt 0x100
	v_mul_f64_e32 v[130:131], v[8:9], v[138:139]
	v_mul_f64_e32 v[138:139], v[10:11], v[138:139]
	v_add_f64_e32 v[12:13], v[14:15], v[12:13]
	v_add_f64_e32 v[14:15], v[148:149], v[154:155]
	v_fmac_f64_e32 v[152:153], v[6:7], v[132:133]
	v_fma_f64 v[132:133], v[4:5], v[132:133], -v[134:135]
	ds_load_b128 v[4:7], v2 offset:1744
	v_fmac_f64_e32 v[130:131], v[10:11], v[136:137]
	v_fma_f64 v[8:9], v[8:9], v[136:137], -v[138:139]
	v_add_f64_e32 v[12:13], v[12:13], v[128:129]
	v_add_f64_e32 v[14:15], v[14:15], v[150:151]
	s_wait_loadcnt_dscnt 0x0
	v_mul_f64_e32 v[128:129], v[4:5], v[142:143]
	v_mul_f64_e32 v[134:135], v[6:7], v[142:143]
	s_delay_alu instid0(VALU_DEP_4) | instskip(NEXT) | instid1(VALU_DEP_4)
	v_add_f64_e32 v[10:11], v[12:13], v[132:133]
	v_add_f64_e32 v[12:13], v[14:15], v[152:153]
	s_delay_alu instid0(VALU_DEP_4) | instskip(NEXT) | instid1(VALU_DEP_4)
	v_fmac_f64_e32 v[128:129], v[6:7], v[140:141]
	v_fma_f64 v[4:5], v[4:5], v[140:141], -v[134:135]
	s_delay_alu instid0(VALU_DEP_4) | instskip(NEXT) | instid1(VALU_DEP_4)
	v_add_f64_e32 v[6:7], v[10:11], v[8:9]
	v_add_f64_e32 v[8:9], v[12:13], v[130:131]
	s_delay_alu instid0(VALU_DEP_2) | instskip(NEXT) | instid1(VALU_DEP_2)
	v_add_f64_e32 v[4:5], v[6:7], v[4:5]
	v_add_f64_e32 v[6:7], v[8:9], v[128:129]
	s_delay_alu instid0(VALU_DEP_2) | instskip(NEXT) | instid1(VALU_DEP_2)
	v_add_f64_e64 v[4:5], v[164:165], -v[4:5]
	v_add_f64_e64 v[6:7], v[166:167], -v[6:7]
	scratch_store_b128 off, v[4:7], off offset:368
	s_wait_xcnt 0x0
	v_cmpx_lt_u32_e32 22, v1
	s_cbranch_execz .LBB118_299
; %bb.298:
	scratch_load_b128 v[6:9], off, s49
	v_dual_mov_b32 v3, v2 :: v_dual_mov_b32 v4, v2
	v_mov_b32_e32 v5, v2
	scratch_store_b128 off, v[2:5], off offset:352
	s_wait_loadcnt 0x0
	ds_store_b128 v126, v[6:9]
.LBB118_299:
	s_wait_xcnt 0x0
	s_or_b32 exec_lo, exec_lo, s2
	s_wait_storecnt_dscnt 0x0
	s_barrier_signal -1
	s_barrier_wait -1
	s_clause 0x9
	scratch_load_b128 v[4:7], off, off offset:368
	scratch_load_b128 v[8:11], off, off offset:384
	;; [unrolled: 1-line block ×10, first 2 shown]
	ds_load_b128 v[156:159], v2 offset:1248
	ds_load_b128 v[164:167], v2 offset:1264
	s_clause 0x2
	scratch_load_b128 v[160:163], off, off offset:528
	scratch_load_b128 v[168:171], off, off offset:352
	;; [unrolled: 1-line block ×3, first 2 shown]
	s_mov_b32 s2, exec_lo
	s_wait_loadcnt_dscnt 0xc01
	v_mul_f64_e32 v[176:177], v[158:159], v[6:7]
	v_mul_f64_e32 v[180:181], v[156:157], v[6:7]
	s_wait_loadcnt_dscnt 0xb00
	v_mul_f64_e32 v[182:183], v[164:165], v[10:11]
	v_mul_f64_e32 v[10:11], v[166:167], v[10:11]
	s_delay_alu instid0(VALU_DEP_4) | instskip(NEXT) | instid1(VALU_DEP_4)
	v_fma_f64 v[184:185], v[156:157], v[4:5], -v[176:177]
	v_fmac_f64_e32 v[180:181], v[158:159], v[4:5]
	ds_load_b128 v[4:7], v2 offset:1280
	ds_load_b128 v[156:159], v2 offset:1296
	scratch_load_b128 v[176:179], off, off offset:560
	v_fmac_f64_e32 v[182:183], v[166:167], v[8:9]
	v_fma_f64 v[164:165], v[164:165], v[8:9], -v[10:11]
	scratch_load_b128 v[8:11], off, off offset:576
	s_wait_loadcnt_dscnt 0xc01
	v_mul_f64_e32 v[186:187], v[4:5], v[14:15]
	v_mul_f64_e32 v[14:15], v[6:7], v[14:15]
	v_add_f64_e32 v[166:167], 0, v[184:185]
	v_add_f64_e32 v[180:181], 0, v[180:181]
	s_wait_loadcnt_dscnt 0xb00
	v_mul_f64_e32 v[184:185], v[156:157], v[130:131]
	v_mul_f64_e32 v[130:131], v[158:159], v[130:131]
	v_fmac_f64_e32 v[186:187], v[6:7], v[12:13]
	v_fma_f64 v[188:189], v[4:5], v[12:13], -v[14:15]
	ds_load_b128 v[4:7], v2 offset:1312
	ds_load_b128 v[12:15], v2 offset:1328
	v_add_f64_e32 v[190:191], v[166:167], v[164:165]
	v_add_f64_e32 v[180:181], v[180:181], v[182:183]
	scratch_load_b128 v[164:167], off, off offset:592
	v_fmac_f64_e32 v[184:185], v[158:159], v[128:129]
	v_fma_f64 v[156:157], v[156:157], v[128:129], -v[130:131]
	scratch_load_b128 v[128:131], off, off offset:608
	s_wait_loadcnt_dscnt 0xc01
	v_mul_f64_e32 v[182:183], v[4:5], v[134:135]
	v_mul_f64_e32 v[134:135], v[6:7], v[134:135]
	v_add_f64_e32 v[158:159], v[190:191], v[188:189]
	v_add_f64_e32 v[180:181], v[180:181], v[186:187]
	s_wait_loadcnt_dscnt 0xb00
	v_mul_f64_e32 v[186:187], v[12:13], v[138:139]
	v_mul_f64_e32 v[138:139], v[14:15], v[138:139]
	v_fmac_f64_e32 v[182:183], v[6:7], v[132:133]
	v_fma_f64 v[188:189], v[4:5], v[132:133], -v[134:135]
	ds_load_b128 v[4:7], v2 offset:1344
	ds_load_b128 v[132:135], v2 offset:1360
	v_add_f64_e32 v[190:191], v[158:159], v[156:157]
	v_add_f64_e32 v[180:181], v[180:181], v[184:185]
	scratch_load_b128 v[156:159], off, off offset:624
	s_wait_loadcnt_dscnt 0xb01
	v_mul_f64_e32 v[184:185], v[4:5], v[142:143]
	v_mul_f64_e32 v[142:143], v[6:7], v[142:143]
	v_fmac_f64_e32 v[186:187], v[14:15], v[136:137]
	v_fma_f64 v[136:137], v[12:13], v[136:137], -v[138:139]
	scratch_load_b128 v[12:15], off, off offset:640
	v_add_f64_e32 v[138:139], v[190:191], v[188:189]
	v_add_f64_e32 v[180:181], v[180:181], v[182:183]
	s_wait_loadcnt_dscnt 0xb00
	v_mul_f64_e32 v[182:183], v[132:133], v[146:147]
	v_mul_f64_e32 v[146:147], v[134:135], v[146:147]
	v_fmac_f64_e32 v[184:185], v[6:7], v[140:141]
	v_fma_f64 v[188:189], v[4:5], v[140:141], -v[142:143]
	v_add_f64_e32 v[190:191], v[138:139], v[136:137]
	v_add_f64_e32 v[180:181], v[180:181], v[186:187]
	ds_load_b128 v[4:7], v2 offset:1376
	ds_load_b128 v[136:139], v2 offset:1392
	scratch_load_b128 v[140:143], off, off offset:656
	v_fmac_f64_e32 v[182:183], v[134:135], v[144:145]
	v_fma_f64 v[144:145], v[132:133], v[144:145], -v[146:147]
	scratch_load_b128 v[132:135], off, off offset:672
	s_wait_loadcnt_dscnt 0xc01
	v_mul_f64_e32 v[186:187], v[4:5], v[150:151]
	v_mul_f64_e32 v[150:151], v[6:7], v[150:151]
	v_add_f64_e32 v[146:147], v[190:191], v[188:189]
	v_add_f64_e32 v[180:181], v[180:181], v[184:185]
	s_wait_loadcnt_dscnt 0xb00
	v_mul_f64_e32 v[184:185], v[136:137], v[154:155]
	v_mul_f64_e32 v[154:155], v[138:139], v[154:155]
	v_fmac_f64_e32 v[186:187], v[6:7], v[148:149]
	v_fma_f64 v[188:189], v[4:5], v[148:149], -v[150:151]
	v_add_f64_e32 v[190:191], v[146:147], v[144:145]
	v_add_f64_e32 v[180:181], v[180:181], v[182:183]
	ds_load_b128 v[4:7], v2 offset:1408
	ds_load_b128 v[144:147], v2 offset:1424
	scratch_load_b128 v[148:151], off, off offset:688
	v_fmac_f64_e32 v[184:185], v[138:139], v[152:153]
	v_fma_f64 v[152:153], v[136:137], v[152:153], -v[154:155]
	scratch_load_b128 v[136:139], off, off offset:704
	s_wait_loadcnt_dscnt 0xc01
	v_mul_f64_e32 v[182:183], v[4:5], v[162:163]
	v_mul_f64_e32 v[162:163], v[6:7], v[162:163]
	v_add_f64_e32 v[154:155], v[190:191], v[188:189]
	v_add_f64_e32 v[180:181], v[180:181], v[186:187]
	s_wait_loadcnt_dscnt 0xa00
	v_mul_f64_e32 v[186:187], v[144:145], v[174:175]
	v_mul_f64_e32 v[174:175], v[146:147], v[174:175]
	v_fmac_f64_e32 v[182:183], v[6:7], v[160:161]
	v_fma_f64 v[188:189], v[4:5], v[160:161], -v[162:163]
	v_add_f64_e32 v[190:191], v[154:155], v[152:153]
	v_add_f64_e32 v[180:181], v[180:181], v[184:185]
	ds_load_b128 v[4:7], v2 offset:1440
	ds_load_b128 v[152:155], v2 offset:1456
	scratch_load_b128 v[160:163], off, off offset:720
	v_fmac_f64_e32 v[186:187], v[146:147], v[172:173]
	v_fma_f64 v[172:173], v[144:145], v[172:173], -v[174:175]
	scratch_load_b128 v[144:147], off, off offset:736
	s_wait_loadcnt_dscnt 0xb01
	v_mul_f64_e32 v[184:185], v[4:5], v[178:179]
	v_mul_f64_e32 v[178:179], v[6:7], v[178:179]
	v_add_f64_e32 v[174:175], v[190:191], v[188:189]
	v_add_f64_e32 v[180:181], v[180:181], v[182:183]
	s_wait_loadcnt_dscnt 0xa00
	v_mul_f64_e32 v[182:183], v[152:153], v[10:11]
	v_mul_f64_e32 v[10:11], v[154:155], v[10:11]
	v_fmac_f64_e32 v[184:185], v[6:7], v[176:177]
	v_fma_f64 v[188:189], v[4:5], v[176:177], -v[178:179]
	v_add_f64_e32 v[190:191], v[174:175], v[172:173]
	v_add_f64_e32 v[180:181], v[180:181], v[186:187]
	ds_load_b128 v[4:7], v2 offset:1472
	ds_load_b128 v[172:175], v2 offset:1488
	scratch_load_b128 v[176:179], off, off offset:752
	v_fmac_f64_e32 v[182:183], v[154:155], v[8:9]
	v_fma_f64 v[152:153], v[152:153], v[8:9], -v[10:11]
	scratch_load_b128 v[8:11], off, off offset:768
	s_wait_loadcnt_dscnt 0xb01
	v_mul_f64_e32 v[186:187], v[4:5], v[166:167]
	v_mul_f64_e32 v[166:167], v[6:7], v[166:167]
	v_add_f64_e32 v[154:155], v[190:191], v[188:189]
	v_add_f64_e32 v[180:181], v[180:181], v[184:185]
	s_wait_loadcnt_dscnt 0xa00
	v_mul_f64_e32 v[184:185], v[172:173], v[130:131]
	v_mul_f64_e32 v[130:131], v[174:175], v[130:131]
	v_fmac_f64_e32 v[186:187], v[6:7], v[164:165]
	v_fma_f64 v[188:189], v[4:5], v[164:165], -v[166:167]
	v_add_f64_e32 v[190:191], v[154:155], v[152:153]
	v_add_f64_e32 v[180:181], v[180:181], v[182:183]
	ds_load_b128 v[4:7], v2 offset:1504
	ds_load_b128 v[152:155], v2 offset:1520
	scratch_load_b128 v[164:167], off, off offset:784
	v_fmac_f64_e32 v[184:185], v[174:175], v[128:129]
	v_fma_f64 v[172:173], v[172:173], v[128:129], -v[130:131]
	scratch_load_b128 v[128:131], off, off offset:800
	s_wait_loadcnt_dscnt 0xb01
	v_mul_f64_e32 v[182:183], v[4:5], v[158:159]
	v_mul_f64_e32 v[158:159], v[6:7], v[158:159]
	v_add_f64_e32 v[174:175], v[190:191], v[188:189]
	v_add_f64_e32 v[180:181], v[180:181], v[186:187]
	s_wait_loadcnt_dscnt 0xa00
	v_mul_f64_e32 v[186:187], v[152:153], v[14:15]
	v_mul_f64_e32 v[14:15], v[154:155], v[14:15]
	v_fmac_f64_e32 v[182:183], v[6:7], v[156:157]
	v_fma_f64 v[188:189], v[4:5], v[156:157], -v[158:159]
	ds_load_b128 v[4:7], v2 offset:1536
	ds_load_b128 v[156:159], v2 offset:1552
	v_add_f64_e32 v[190:191], v[174:175], v[172:173]
	v_add_f64_e32 v[180:181], v[180:181], v[184:185]
	scratch_load_b128 v[172:175], off, off offset:816
	v_fmac_f64_e32 v[186:187], v[154:155], v[12:13]
	v_fma_f64 v[152:153], v[152:153], v[12:13], -v[14:15]
	scratch_load_b128 v[12:15], off, off offset:832
	s_wait_loadcnt_dscnt 0xb01
	v_mul_f64_e32 v[184:185], v[4:5], v[142:143]
	v_mul_f64_e32 v[142:143], v[6:7], v[142:143]
	v_add_f64_e32 v[154:155], v[190:191], v[188:189]
	v_add_f64_e32 v[180:181], v[180:181], v[182:183]
	s_wait_loadcnt_dscnt 0xa00
	v_mul_f64_e32 v[182:183], v[156:157], v[134:135]
	v_mul_f64_e32 v[134:135], v[158:159], v[134:135]
	v_fmac_f64_e32 v[184:185], v[6:7], v[140:141]
	v_fma_f64 v[188:189], v[4:5], v[140:141], -v[142:143]
	ds_load_b128 v[4:7], v2 offset:1568
	ds_load_b128 v[140:143], v2 offset:1584
	v_add_f64_e32 v[190:191], v[154:155], v[152:153]
	v_add_f64_e32 v[180:181], v[180:181], v[186:187]
	scratch_load_b128 v[152:155], off, off offset:848
	s_wait_loadcnt_dscnt 0xa01
	v_mul_f64_e32 v[186:187], v[4:5], v[150:151]
	v_mul_f64_e32 v[150:151], v[6:7], v[150:151]
	v_fmac_f64_e32 v[182:183], v[158:159], v[132:133]
	v_fma_f64 v[156:157], v[156:157], v[132:133], -v[134:135]
	scratch_load_b128 v[132:135], off, off offset:864
	v_add_f64_e32 v[158:159], v[190:191], v[188:189]
	v_add_f64_e32 v[180:181], v[180:181], v[184:185]
	s_wait_loadcnt_dscnt 0xa00
	v_mul_f64_e32 v[184:185], v[140:141], v[138:139]
	v_mul_f64_e32 v[138:139], v[142:143], v[138:139]
	v_fmac_f64_e32 v[186:187], v[6:7], v[148:149]
	v_fma_f64 v[188:189], v[4:5], v[148:149], -v[150:151]
	ds_load_b128 v[4:7], v2 offset:1600
	ds_load_b128 v[148:151], v2 offset:1616
	v_add_f64_e32 v[156:157], v[158:159], v[156:157]
	v_add_f64_e32 v[158:159], v[180:181], v[182:183]
	v_fmac_f64_e32 v[184:185], v[142:143], v[136:137]
	s_wait_loadcnt_dscnt 0x901
	v_mul_f64_e32 v[180:181], v[4:5], v[162:163]
	v_mul_f64_e32 v[162:163], v[6:7], v[162:163]
	v_fma_f64 v[136:137], v[140:141], v[136:137], -v[138:139]
	s_wait_loadcnt_dscnt 0x800
	v_mul_f64_e32 v[142:143], v[148:149], v[146:147]
	v_mul_f64_e32 v[146:147], v[150:151], v[146:147]
	v_add_f64_e32 v[138:139], v[156:157], v[188:189]
	v_add_f64_e32 v[140:141], v[158:159], v[186:187]
	v_fmac_f64_e32 v[180:181], v[6:7], v[160:161]
	v_fma_f64 v[156:157], v[4:5], v[160:161], -v[162:163]
	v_fmac_f64_e32 v[142:143], v[150:151], v[144:145]
	v_fma_f64 v[144:145], v[148:149], v[144:145], -v[146:147]
	v_add_f64_e32 v[158:159], v[138:139], v[136:137]
	v_add_f64_e32 v[140:141], v[140:141], v[184:185]
	ds_load_b128 v[4:7], v2 offset:1632
	ds_load_b128 v[136:139], v2 offset:1648
	s_wait_loadcnt_dscnt 0x701
	v_mul_f64_e32 v[160:161], v[4:5], v[178:179]
	v_mul_f64_e32 v[162:163], v[6:7], v[178:179]
	s_wait_loadcnt_dscnt 0x600
	v_mul_f64_e32 v[148:149], v[136:137], v[10:11]
	v_mul_f64_e32 v[10:11], v[138:139], v[10:11]
	v_add_f64_e32 v[146:147], v[158:159], v[156:157]
	v_add_f64_e32 v[140:141], v[140:141], v[180:181]
	v_fmac_f64_e32 v[160:161], v[6:7], v[176:177]
	v_fma_f64 v[150:151], v[4:5], v[176:177], -v[162:163]
	v_fmac_f64_e32 v[148:149], v[138:139], v[8:9]
	v_fma_f64 v[8:9], v[136:137], v[8:9], -v[10:11]
	v_add_f64_e32 v[144:145], v[146:147], v[144:145]
	v_add_f64_e32 v[146:147], v[140:141], v[142:143]
	ds_load_b128 v[4:7], v2 offset:1664
	ds_load_b128 v[140:143], v2 offset:1680
	s_wait_loadcnt_dscnt 0x501
	v_mul_f64_e32 v[156:157], v[4:5], v[166:167]
	v_mul_f64_e32 v[158:159], v[6:7], v[166:167]
	;; [unrolled: 16-line block ×4, first 2 shown]
	s_wait_loadcnt_dscnt 0x0
	v_mul_f64_e32 v[14:15], v[128:129], v[134:135]
	v_mul_f64_e32 v[134:135], v[130:131], v[134:135]
	v_add_f64_e32 v[10:11], v[144:145], v[142:143]
	v_add_f64_e32 v[12:13], v[136:137], v[148:149]
	v_fmac_f64_e32 v[2:3], v[6:7], v[152:153]
	v_fma_f64 v[4:5], v[4:5], v[152:153], -v[138:139]
	v_fmac_f64_e32 v[14:15], v[130:131], v[132:133]
	v_add_f64_e32 v[6:7], v[10:11], v[8:9]
	v_add_f64_e32 v[8:9], v[12:13], v[140:141]
	v_fma_f64 v[10:11], v[128:129], v[132:133], -v[134:135]
	s_delay_alu instid0(VALU_DEP_3) | instskip(NEXT) | instid1(VALU_DEP_3)
	v_add_f64_e32 v[4:5], v[6:7], v[4:5]
	v_add_f64_e32 v[2:3], v[8:9], v[2:3]
	s_delay_alu instid0(VALU_DEP_2) | instskip(NEXT) | instid1(VALU_DEP_2)
	v_add_f64_e32 v[4:5], v[4:5], v[10:11]
	v_add_f64_e32 v[6:7], v[2:3], v[14:15]
	s_delay_alu instid0(VALU_DEP_2) | instskip(NEXT) | instid1(VALU_DEP_2)
	v_add_f64_e64 v[2:3], v[168:169], -v[4:5]
	v_add_f64_e64 v[4:5], v[170:171], -v[6:7]
	scratch_store_b128 off, v[2:5], off offset:352
	s_wait_xcnt 0x0
	v_cmpx_lt_u32_e32 21, v1
	s_cbranch_execz .LBB118_301
; %bb.300:
	scratch_load_b128 v[2:5], off, s50
	v_mov_b32_e32 v6, 0
	s_delay_alu instid0(VALU_DEP_1)
	v_dual_mov_b32 v7, v6 :: v_dual_mov_b32 v8, v6
	v_mov_b32_e32 v9, v6
	scratch_store_b128 off, v[6:9], off offset:336
	s_wait_loadcnt 0x0
	ds_store_b128 v126, v[2:5]
.LBB118_301:
	s_wait_xcnt 0x0
	s_or_b32 exec_lo, exec_lo, s2
	s_wait_storecnt_dscnt 0x0
	s_barrier_signal -1
	s_barrier_wait -1
	s_clause 0x9
	scratch_load_b128 v[4:7], off, off offset:352
	scratch_load_b128 v[8:11], off, off offset:368
	;; [unrolled: 1-line block ×10, first 2 shown]
	v_mov_b32_e32 v2, 0
	s_mov_b32 s2, exec_lo
	ds_load_b128 v[156:159], v2 offset:1232
	s_clause 0x2
	scratch_load_b128 v[160:163], off, off offset:512
	scratch_load_b128 v[164:167], off, off offset:336
	;; [unrolled: 1-line block ×3, first 2 shown]
	s_wait_loadcnt_dscnt 0xc00
	v_mul_f64_e32 v[176:177], v[158:159], v[6:7]
	v_mul_f64_e32 v[180:181], v[156:157], v[6:7]
	ds_load_b128 v[168:171], v2 offset:1248
	v_fma_f64 v[184:185], v[156:157], v[4:5], -v[176:177]
	v_fmac_f64_e32 v[180:181], v[158:159], v[4:5]
	ds_load_b128 v[4:7], v2 offset:1264
	s_wait_loadcnt_dscnt 0xb01
	v_mul_f64_e32 v[182:183], v[168:169], v[10:11]
	v_mul_f64_e32 v[10:11], v[170:171], v[10:11]
	scratch_load_b128 v[156:159], off, off offset:544
	ds_load_b128 v[176:179], v2 offset:1280
	s_wait_loadcnt_dscnt 0xb01
	v_mul_f64_e32 v[186:187], v[4:5], v[14:15]
	v_mul_f64_e32 v[14:15], v[6:7], v[14:15]
	v_add_f64_e32 v[180:181], 0, v[180:181]
	v_fmac_f64_e32 v[182:183], v[170:171], v[8:9]
	v_fma_f64 v[168:169], v[168:169], v[8:9], -v[10:11]
	v_add_f64_e32 v[170:171], 0, v[184:185]
	scratch_load_b128 v[8:11], off, off offset:560
	v_fmac_f64_e32 v[186:187], v[6:7], v[12:13]
	v_fma_f64 v[188:189], v[4:5], v[12:13], -v[14:15]
	ds_load_b128 v[4:7], v2 offset:1296
	s_wait_loadcnt_dscnt 0xb01
	v_mul_f64_e32 v[184:185], v[176:177], v[130:131]
	v_mul_f64_e32 v[130:131], v[178:179], v[130:131]
	scratch_load_b128 v[12:15], off, off offset:576
	v_add_f64_e32 v[180:181], v[180:181], v[182:183]
	v_add_f64_e32 v[190:191], v[170:171], v[168:169]
	ds_load_b128 v[168:171], v2 offset:1312
	s_wait_loadcnt_dscnt 0xb01
	v_mul_f64_e32 v[182:183], v[4:5], v[134:135]
	v_mul_f64_e32 v[134:135], v[6:7], v[134:135]
	v_fmac_f64_e32 v[184:185], v[178:179], v[128:129]
	v_fma_f64 v[176:177], v[176:177], v[128:129], -v[130:131]
	scratch_load_b128 v[128:131], off, off offset:592
	v_add_f64_e32 v[180:181], v[180:181], v[186:187]
	v_add_f64_e32 v[178:179], v[190:191], v[188:189]
	v_fmac_f64_e32 v[182:183], v[6:7], v[132:133]
	v_fma_f64 v[188:189], v[4:5], v[132:133], -v[134:135]
	ds_load_b128 v[4:7], v2 offset:1328
	s_wait_loadcnt_dscnt 0xb01
	v_mul_f64_e32 v[186:187], v[168:169], v[138:139]
	v_mul_f64_e32 v[138:139], v[170:171], v[138:139]
	scratch_load_b128 v[132:135], off, off offset:608
	v_add_f64_e32 v[180:181], v[180:181], v[184:185]
	s_wait_loadcnt_dscnt 0xb00
	v_mul_f64_e32 v[184:185], v[4:5], v[142:143]
	v_add_f64_e32 v[190:191], v[178:179], v[176:177]
	v_mul_f64_e32 v[142:143], v[6:7], v[142:143]
	ds_load_b128 v[176:179], v2 offset:1344
	v_fmac_f64_e32 v[186:187], v[170:171], v[136:137]
	v_fma_f64 v[168:169], v[168:169], v[136:137], -v[138:139]
	scratch_load_b128 v[136:139], off, off offset:624
	v_add_f64_e32 v[180:181], v[180:181], v[182:183]
	v_fmac_f64_e32 v[184:185], v[6:7], v[140:141]
	v_add_f64_e32 v[170:171], v[190:191], v[188:189]
	v_fma_f64 v[188:189], v[4:5], v[140:141], -v[142:143]
	ds_load_b128 v[4:7], v2 offset:1360
	s_wait_loadcnt_dscnt 0xb01
	v_mul_f64_e32 v[182:183], v[176:177], v[146:147]
	v_mul_f64_e32 v[146:147], v[178:179], v[146:147]
	scratch_load_b128 v[140:143], off, off offset:640
	v_add_f64_e32 v[180:181], v[180:181], v[186:187]
	s_wait_loadcnt_dscnt 0xb00
	v_mul_f64_e32 v[186:187], v[4:5], v[150:151]
	v_add_f64_e32 v[190:191], v[170:171], v[168:169]
	v_mul_f64_e32 v[150:151], v[6:7], v[150:151]
	ds_load_b128 v[168:171], v2 offset:1376
	v_fmac_f64_e32 v[182:183], v[178:179], v[144:145]
	v_fma_f64 v[176:177], v[176:177], v[144:145], -v[146:147]
	scratch_load_b128 v[144:147], off, off offset:656
	v_add_f64_e32 v[180:181], v[180:181], v[184:185]
	v_fmac_f64_e32 v[186:187], v[6:7], v[148:149]
	v_add_f64_e32 v[178:179], v[190:191], v[188:189]
	;; [unrolled: 18-line block ×3, first 2 shown]
	v_fma_f64 v[188:189], v[4:5], v[160:161], -v[162:163]
	ds_load_b128 v[4:7], v2 offset:1424
	s_wait_loadcnt_dscnt 0xa01
	v_mul_f64_e32 v[186:187], v[176:177], v[174:175]
	v_mul_f64_e32 v[174:175], v[178:179], v[174:175]
	scratch_load_b128 v[160:163], off, off offset:704
	v_add_f64_e32 v[180:181], v[180:181], v[184:185]
	v_add_f64_e32 v[190:191], v[170:171], v[168:169]
	s_wait_loadcnt_dscnt 0xa00
	v_mul_f64_e32 v[184:185], v[4:5], v[158:159]
	v_mul_f64_e32 v[158:159], v[6:7], v[158:159]
	v_fmac_f64_e32 v[186:187], v[178:179], v[172:173]
	v_fma_f64 v[176:177], v[176:177], v[172:173], -v[174:175]
	ds_load_b128 v[168:171], v2 offset:1440
	scratch_load_b128 v[172:175], off, off offset:720
	v_add_f64_e32 v[180:181], v[180:181], v[182:183]
	v_add_f64_e32 v[178:179], v[190:191], v[188:189]
	v_fmac_f64_e32 v[184:185], v[6:7], v[156:157]
	v_fma_f64 v[188:189], v[4:5], v[156:157], -v[158:159]
	ds_load_b128 v[4:7], v2 offset:1456
	s_wait_loadcnt_dscnt 0xa01
	v_mul_f64_e32 v[182:183], v[168:169], v[10:11]
	v_mul_f64_e32 v[10:11], v[170:171], v[10:11]
	scratch_load_b128 v[156:159], off, off offset:736
	v_add_f64_e32 v[180:181], v[180:181], v[186:187]
	s_wait_loadcnt_dscnt 0xa00
	v_mul_f64_e32 v[186:187], v[4:5], v[14:15]
	v_add_f64_e32 v[190:191], v[178:179], v[176:177]
	v_mul_f64_e32 v[14:15], v[6:7], v[14:15]
	ds_load_b128 v[176:179], v2 offset:1472
	v_fmac_f64_e32 v[182:183], v[170:171], v[8:9]
	v_fma_f64 v[168:169], v[168:169], v[8:9], -v[10:11]
	scratch_load_b128 v[8:11], off, off offset:752
	v_add_f64_e32 v[180:181], v[180:181], v[184:185]
	v_fmac_f64_e32 v[186:187], v[6:7], v[12:13]
	v_add_f64_e32 v[170:171], v[190:191], v[188:189]
	v_fma_f64 v[188:189], v[4:5], v[12:13], -v[14:15]
	ds_load_b128 v[4:7], v2 offset:1488
	s_wait_loadcnt_dscnt 0xa01
	v_mul_f64_e32 v[184:185], v[176:177], v[130:131]
	v_mul_f64_e32 v[130:131], v[178:179], v[130:131]
	scratch_load_b128 v[12:15], off, off offset:768
	v_add_f64_e32 v[180:181], v[180:181], v[182:183]
	s_wait_loadcnt_dscnt 0xa00
	v_mul_f64_e32 v[182:183], v[4:5], v[134:135]
	v_add_f64_e32 v[190:191], v[170:171], v[168:169]
	v_mul_f64_e32 v[134:135], v[6:7], v[134:135]
	ds_load_b128 v[168:171], v2 offset:1504
	v_fmac_f64_e32 v[184:185], v[178:179], v[128:129]
	v_fma_f64 v[176:177], v[176:177], v[128:129], -v[130:131]
	scratch_load_b128 v[128:131], off, off offset:784
	v_add_f64_e32 v[180:181], v[180:181], v[186:187]
	v_fmac_f64_e32 v[182:183], v[6:7], v[132:133]
	v_add_f64_e32 v[178:179], v[190:191], v[188:189]
	;; [unrolled: 18-line block ×4, first 2 shown]
	v_fma_f64 v[188:189], v[4:5], v[148:149], -v[150:151]
	ds_load_b128 v[4:7], v2 offset:1584
	s_wait_loadcnt_dscnt 0xa01
	v_mul_f64_e32 v[184:185], v[168:169], v[154:155]
	v_mul_f64_e32 v[154:155], v[170:171], v[154:155]
	scratch_load_b128 v[148:151], off, off offset:864
	v_add_f64_e32 v[180:181], v[180:181], v[182:183]
	s_wait_loadcnt_dscnt 0xa00
	v_mul_f64_e32 v[182:183], v[4:5], v[162:163]
	v_add_f64_e32 v[190:191], v[178:179], v[176:177]
	v_mul_f64_e32 v[162:163], v[6:7], v[162:163]
	ds_load_b128 v[176:179], v2 offset:1600
	v_fmac_f64_e32 v[184:185], v[170:171], v[152:153]
	v_fma_f64 v[152:153], v[168:169], v[152:153], -v[154:155]
	s_wait_loadcnt_dscnt 0x900
	v_mul_f64_e32 v[170:171], v[176:177], v[174:175]
	v_mul_f64_e32 v[174:175], v[178:179], v[174:175]
	v_add_f64_e32 v[168:169], v[180:181], v[186:187]
	v_fmac_f64_e32 v[182:183], v[6:7], v[160:161]
	v_add_f64_e32 v[154:155], v[190:191], v[188:189]
	v_fma_f64 v[160:161], v[4:5], v[160:161], -v[162:163]
	v_fmac_f64_e32 v[170:171], v[178:179], v[172:173]
	v_fma_f64 v[172:173], v[176:177], v[172:173], -v[174:175]
	v_add_f64_e32 v[168:169], v[168:169], v[184:185]
	v_add_f64_e32 v[162:163], v[154:155], v[152:153]
	ds_load_b128 v[4:7], v2 offset:1616
	ds_load_b128 v[152:155], v2 offset:1632
	s_wait_loadcnt_dscnt 0x801
	v_mul_f64_e32 v[180:181], v[4:5], v[158:159]
	v_mul_f64_e32 v[158:159], v[6:7], v[158:159]
	v_add_f64_e32 v[160:161], v[162:163], v[160:161]
	v_add_f64_e32 v[162:163], v[168:169], v[182:183]
	s_wait_loadcnt_dscnt 0x700
	v_mul_f64_e32 v[168:169], v[152:153], v[10:11]
	v_mul_f64_e32 v[10:11], v[154:155], v[10:11]
	v_fmac_f64_e32 v[180:181], v[6:7], v[156:157]
	v_fma_f64 v[174:175], v[4:5], v[156:157], -v[158:159]
	ds_load_b128 v[4:7], v2 offset:1648
	ds_load_b128 v[156:159], v2 offset:1664
	v_add_f64_e32 v[160:161], v[160:161], v[172:173]
	v_add_f64_e32 v[162:163], v[162:163], v[170:171]
	v_fmac_f64_e32 v[168:169], v[154:155], v[8:9]
	v_fma_f64 v[8:9], v[152:153], v[8:9], -v[10:11]
	s_wait_loadcnt_dscnt 0x601
	v_mul_f64_e32 v[170:171], v[4:5], v[14:15]
	v_mul_f64_e32 v[14:15], v[6:7], v[14:15]
	s_wait_loadcnt_dscnt 0x500
	v_mul_f64_e32 v[154:155], v[156:157], v[130:131]
	v_mul_f64_e32 v[130:131], v[158:159], v[130:131]
	v_add_f64_e32 v[10:11], v[160:161], v[174:175]
	v_add_f64_e32 v[152:153], v[162:163], v[180:181]
	v_fmac_f64_e32 v[170:171], v[6:7], v[12:13]
	v_fma_f64 v[12:13], v[4:5], v[12:13], -v[14:15]
	v_fmac_f64_e32 v[154:155], v[158:159], v[128:129]
	v_fma_f64 v[128:129], v[156:157], v[128:129], -v[130:131]
	v_add_f64_e32 v[14:15], v[10:11], v[8:9]
	v_add_f64_e32 v[152:153], v[152:153], v[168:169]
	ds_load_b128 v[4:7], v2 offset:1680
	ds_load_b128 v[8:11], v2 offset:1696
	s_wait_loadcnt_dscnt 0x401
	v_mul_f64_e32 v[160:161], v[4:5], v[134:135]
	v_mul_f64_e32 v[134:135], v[6:7], v[134:135]
	s_wait_loadcnt_dscnt 0x300
	v_mul_f64_e32 v[130:131], v[8:9], v[138:139]
	v_mul_f64_e32 v[138:139], v[10:11], v[138:139]
	v_add_f64_e32 v[12:13], v[14:15], v[12:13]
	v_add_f64_e32 v[14:15], v[152:153], v[170:171]
	v_fmac_f64_e32 v[160:161], v[6:7], v[132:133]
	v_fma_f64 v[132:133], v[4:5], v[132:133], -v[134:135]
	v_fmac_f64_e32 v[130:131], v[10:11], v[136:137]
	v_fma_f64 v[8:9], v[8:9], v[136:137], -v[138:139]
	v_add_f64_e32 v[128:129], v[12:13], v[128:129]
	v_add_f64_e32 v[134:135], v[14:15], v[154:155]
	ds_load_b128 v[4:7], v2 offset:1712
	ds_load_b128 v[12:15], v2 offset:1728
	s_wait_loadcnt_dscnt 0x201
	v_mul_f64_e32 v[152:153], v[4:5], v[142:143]
	v_mul_f64_e32 v[142:143], v[6:7], v[142:143]
	v_add_f64_e32 v[10:11], v[128:129], v[132:133]
	v_add_f64_e32 v[128:129], v[134:135], v[160:161]
	s_wait_loadcnt_dscnt 0x100
	v_mul_f64_e32 v[132:133], v[12:13], v[146:147]
	v_mul_f64_e32 v[134:135], v[14:15], v[146:147]
	v_fmac_f64_e32 v[152:153], v[6:7], v[140:141]
	v_fma_f64 v[136:137], v[4:5], v[140:141], -v[142:143]
	ds_load_b128 v[4:7], v2 offset:1744
	v_add_f64_e32 v[8:9], v[10:11], v[8:9]
	v_add_f64_e32 v[10:11], v[128:129], v[130:131]
	v_fmac_f64_e32 v[132:133], v[14:15], v[144:145]
	v_fma_f64 v[12:13], v[12:13], v[144:145], -v[134:135]
	s_wait_loadcnt_dscnt 0x0
	v_mul_f64_e32 v[128:129], v[4:5], v[150:151]
	v_mul_f64_e32 v[130:131], v[6:7], v[150:151]
	v_add_f64_e32 v[8:9], v[8:9], v[136:137]
	v_add_f64_e32 v[10:11], v[10:11], v[152:153]
	s_delay_alu instid0(VALU_DEP_4) | instskip(NEXT) | instid1(VALU_DEP_4)
	v_fmac_f64_e32 v[128:129], v[6:7], v[148:149]
	v_fma_f64 v[4:5], v[4:5], v[148:149], -v[130:131]
	s_delay_alu instid0(VALU_DEP_4) | instskip(NEXT) | instid1(VALU_DEP_4)
	v_add_f64_e32 v[6:7], v[8:9], v[12:13]
	v_add_f64_e32 v[8:9], v[10:11], v[132:133]
	s_delay_alu instid0(VALU_DEP_2) | instskip(NEXT) | instid1(VALU_DEP_2)
	v_add_f64_e32 v[4:5], v[6:7], v[4:5]
	v_add_f64_e32 v[6:7], v[8:9], v[128:129]
	s_delay_alu instid0(VALU_DEP_2) | instskip(NEXT) | instid1(VALU_DEP_2)
	v_add_f64_e64 v[4:5], v[164:165], -v[4:5]
	v_add_f64_e64 v[6:7], v[166:167], -v[6:7]
	scratch_store_b128 off, v[4:7], off offset:336
	s_wait_xcnt 0x0
	v_cmpx_lt_u32_e32 20, v1
	s_cbranch_execz .LBB118_303
; %bb.302:
	scratch_load_b128 v[6:9], off, s51
	v_dual_mov_b32 v3, v2 :: v_dual_mov_b32 v4, v2
	v_mov_b32_e32 v5, v2
	scratch_store_b128 off, v[2:5], off offset:320
	s_wait_loadcnt 0x0
	ds_store_b128 v126, v[6:9]
.LBB118_303:
	s_wait_xcnt 0x0
	s_or_b32 exec_lo, exec_lo, s2
	s_wait_storecnt_dscnt 0x0
	s_barrier_signal -1
	s_barrier_wait -1
	s_clause 0x9
	scratch_load_b128 v[4:7], off, off offset:336
	scratch_load_b128 v[8:11], off, off offset:352
	;; [unrolled: 1-line block ×10, first 2 shown]
	ds_load_b128 v[156:159], v2 offset:1216
	ds_load_b128 v[164:167], v2 offset:1232
	s_clause 0x2
	scratch_load_b128 v[160:163], off, off offset:496
	scratch_load_b128 v[168:171], off, off offset:320
	;; [unrolled: 1-line block ×3, first 2 shown]
	s_mov_b32 s2, exec_lo
	s_wait_loadcnt_dscnt 0xc01
	v_mul_f64_e32 v[176:177], v[158:159], v[6:7]
	v_mul_f64_e32 v[180:181], v[156:157], v[6:7]
	s_wait_loadcnt_dscnt 0xb00
	v_mul_f64_e32 v[182:183], v[164:165], v[10:11]
	v_mul_f64_e32 v[10:11], v[166:167], v[10:11]
	s_delay_alu instid0(VALU_DEP_4) | instskip(NEXT) | instid1(VALU_DEP_4)
	v_fma_f64 v[184:185], v[156:157], v[4:5], -v[176:177]
	v_fmac_f64_e32 v[180:181], v[158:159], v[4:5]
	ds_load_b128 v[4:7], v2 offset:1248
	ds_load_b128 v[156:159], v2 offset:1264
	scratch_load_b128 v[176:179], off, off offset:528
	v_fmac_f64_e32 v[182:183], v[166:167], v[8:9]
	v_fma_f64 v[164:165], v[164:165], v[8:9], -v[10:11]
	scratch_load_b128 v[8:11], off, off offset:544
	s_wait_loadcnt_dscnt 0xc01
	v_mul_f64_e32 v[186:187], v[4:5], v[14:15]
	v_mul_f64_e32 v[14:15], v[6:7], v[14:15]
	v_add_f64_e32 v[166:167], 0, v[184:185]
	v_add_f64_e32 v[180:181], 0, v[180:181]
	s_wait_loadcnt_dscnt 0xb00
	v_mul_f64_e32 v[184:185], v[156:157], v[130:131]
	v_mul_f64_e32 v[130:131], v[158:159], v[130:131]
	v_fmac_f64_e32 v[186:187], v[6:7], v[12:13]
	v_fma_f64 v[188:189], v[4:5], v[12:13], -v[14:15]
	ds_load_b128 v[4:7], v2 offset:1280
	ds_load_b128 v[12:15], v2 offset:1296
	v_add_f64_e32 v[190:191], v[166:167], v[164:165]
	v_add_f64_e32 v[180:181], v[180:181], v[182:183]
	scratch_load_b128 v[164:167], off, off offset:560
	v_fmac_f64_e32 v[184:185], v[158:159], v[128:129]
	v_fma_f64 v[156:157], v[156:157], v[128:129], -v[130:131]
	scratch_load_b128 v[128:131], off, off offset:576
	s_wait_loadcnt_dscnt 0xc01
	v_mul_f64_e32 v[182:183], v[4:5], v[134:135]
	v_mul_f64_e32 v[134:135], v[6:7], v[134:135]
	v_add_f64_e32 v[158:159], v[190:191], v[188:189]
	v_add_f64_e32 v[180:181], v[180:181], v[186:187]
	s_wait_loadcnt_dscnt 0xb00
	v_mul_f64_e32 v[186:187], v[12:13], v[138:139]
	v_mul_f64_e32 v[138:139], v[14:15], v[138:139]
	v_fmac_f64_e32 v[182:183], v[6:7], v[132:133]
	v_fma_f64 v[188:189], v[4:5], v[132:133], -v[134:135]
	ds_load_b128 v[4:7], v2 offset:1312
	ds_load_b128 v[132:135], v2 offset:1328
	v_add_f64_e32 v[190:191], v[158:159], v[156:157]
	v_add_f64_e32 v[180:181], v[180:181], v[184:185]
	scratch_load_b128 v[156:159], off, off offset:592
	s_wait_loadcnt_dscnt 0xb01
	v_mul_f64_e32 v[184:185], v[4:5], v[142:143]
	v_mul_f64_e32 v[142:143], v[6:7], v[142:143]
	v_fmac_f64_e32 v[186:187], v[14:15], v[136:137]
	v_fma_f64 v[136:137], v[12:13], v[136:137], -v[138:139]
	scratch_load_b128 v[12:15], off, off offset:608
	v_add_f64_e32 v[138:139], v[190:191], v[188:189]
	v_add_f64_e32 v[180:181], v[180:181], v[182:183]
	s_wait_loadcnt_dscnt 0xb00
	v_mul_f64_e32 v[182:183], v[132:133], v[146:147]
	v_mul_f64_e32 v[146:147], v[134:135], v[146:147]
	v_fmac_f64_e32 v[184:185], v[6:7], v[140:141]
	v_fma_f64 v[188:189], v[4:5], v[140:141], -v[142:143]
	v_add_f64_e32 v[190:191], v[138:139], v[136:137]
	v_add_f64_e32 v[180:181], v[180:181], v[186:187]
	ds_load_b128 v[4:7], v2 offset:1344
	ds_load_b128 v[136:139], v2 offset:1360
	scratch_load_b128 v[140:143], off, off offset:624
	v_fmac_f64_e32 v[182:183], v[134:135], v[144:145]
	v_fma_f64 v[144:145], v[132:133], v[144:145], -v[146:147]
	scratch_load_b128 v[132:135], off, off offset:640
	s_wait_loadcnt_dscnt 0xc01
	v_mul_f64_e32 v[186:187], v[4:5], v[150:151]
	v_mul_f64_e32 v[150:151], v[6:7], v[150:151]
	v_add_f64_e32 v[146:147], v[190:191], v[188:189]
	v_add_f64_e32 v[180:181], v[180:181], v[184:185]
	s_wait_loadcnt_dscnt 0xb00
	v_mul_f64_e32 v[184:185], v[136:137], v[154:155]
	v_mul_f64_e32 v[154:155], v[138:139], v[154:155]
	v_fmac_f64_e32 v[186:187], v[6:7], v[148:149]
	v_fma_f64 v[188:189], v[4:5], v[148:149], -v[150:151]
	v_add_f64_e32 v[190:191], v[146:147], v[144:145]
	v_add_f64_e32 v[180:181], v[180:181], v[182:183]
	ds_load_b128 v[4:7], v2 offset:1376
	ds_load_b128 v[144:147], v2 offset:1392
	scratch_load_b128 v[148:151], off, off offset:656
	v_fmac_f64_e32 v[184:185], v[138:139], v[152:153]
	v_fma_f64 v[152:153], v[136:137], v[152:153], -v[154:155]
	scratch_load_b128 v[136:139], off, off offset:672
	s_wait_loadcnt_dscnt 0xc01
	v_mul_f64_e32 v[182:183], v[4:5], v[162:163]
	v_mul_f64_e32 v[162:163], v[6:7], v[162:163]
	;; [unrolled: 18-line block ×5, first 2 shown]
	v_add_f64_e32 v[174:175], v[190:191], v[188:189]
	v_add_f64_e32 v[180:181], v[180:181], v[186:187]
	s_wait_loadcnt_dscnt 0xa00
	v_mul_f64_e32 v[186:187], v[152:153], v[14:15]
	v_mul_f64_e32 v[14:15], v[154:155], v[14:15]
	v_fmac_f64_e32 v[182:183], v[6:7], v[156:157]
	v_fma_f64 v[188:189], v[4:5], v[156:157], -v[158:159]
	ds_load_b128 v[4:7], v2 offset:1504
	ds_load_b128 v[156:159], v2 offset:1520
	v_add_f64_e32 v[190:191], v[174:175], v[172:173]
	v_add_f64_e32 v[180:181], v[180:181], v[184:185]
	scratch_load_b128 v[172:175], off, off offset:784
	v_fmac_f64_e32 v[186:187], v[154:155], v[12:13]
	v_fma_f64 v[152:153], v[152:153], v[12:13], -v[14:15]
	scratch_load_b128 v[12:15], off, off offset:800
	s_wait_loadcnt_dscnt 0xb01
	v_mul_f64_e32 v[184:185], v[4:5], v[142:143]
	v_mul_f64_e32 v[142:143], v[6:7], v[142:143]
	v_add_f64_e32 v[154:155], v[190:191], v[188:189]
	v_add_f64_e32 v[180:181], v[180:181], v[182:183]
	s_wait_loadcnt_dscnt 0xa00
	v_mul_f64_e32 v[182:183], v[156:157], v[134:135]
	v_mul_f64_e32 v[134:135], v[158:159], v[134:135]
	v_fmac_f64_e32 v[184:185], v[6:7], v[140:141]
	v_fma_f64 v[188:189], v[4:5], v[140:141], -v[142:143]
	ds_load_b128 v[4:7], v2 offset:1536
	ds_load_b128 v[140:143], v2 offset:1552
	v_add_f64_e32 v[190:191], v[154:155], v[152:153]
	v_add_f64_e32 v[180:181], v[180:181], v[186:187]
	scratch_load_b128 v[152:155], off, off offset:816
	s_wait_loadcnt_dscnt 0xa01
	v_mul_f64_e32 v[186:187], v[4:5], v[150:151]
	v_mul_f64_e32 v[150:151], v[6:7], v[150:151]
	v_fmac_f64_e32 v[182:183], v[158:159], v[132:133]
	v_fma_f64 v[156:157], v[156:157], v[132:133], -v[134:135]
	scratch_load_b128 v[132:135], off, off offset:832
	v_add_f64_e32 v[158:159], v[190:191], v[188:189]
	v_add_f64_e32 v[180:181], v[180:181], v[184:185]
	s_wait_loadcnt_dscnt 0xa00
	v_mul_f64_e32 v[184:185], v[140:141], v[138:139]
	v_mul_f64_e32 v[138:139], v[142:143], v[138:139]
	v_fmac_f64_e32 v[186:187], v[6:7], v[148:149]
	v_fma_f64 v[188:189], v[4:5], v[148:149], -v[150:151]
	ds_load_b128 v[4:7], v2 offset:1568
	ds_load_b128 v[148:151], v2 offset:1584
	v_add_f64_e32 v[190:191], v[158:159], v[156:157]
	v_add_f64_e32 v[180:181], v[180:181], v[182:183]
	scratch_load_b128 v[156:159], off, off offset:848
	s_wait_loadcnt_dscnt 0xa01
	v_mul_f64_e32 v[182:183], v[4:5], v[162:163]
	v_mul_f64_e32 v[162:163], v[6:7], v[162:163]
	v_fmac_f64_e32 v[184:185], v[142:143], v[136:137]
	v_fma_f64 v[140:141], v[140:141], v[136:137], -v[138:139]
	scratch_load_b128 v[136:139], off, off offset:864
	v_add_f64_e32 v[142:143], v[190:191], v[188:189]
	v_add_f64_e32 v[180:181], v[180:181], v[186:187]
	s_wait_loadcnt_dscnt 0xa00
	v_mul_f64_e32 v[186:187], v[148:149], v[146:147]
	v_mul_f64_e32 v[146:147], v[150:151], v[146:147]
	v_fmac_f64_e32 v[182:183], v[6:7], v[160:161]
	v_fma_f64 v[160:161], v[4:5], v[160:161], -v[162:163]
	v_add_f64_e32 v[162:163], v[142:143], v[140:141]
	v_add_f64_e32 v[180:181], v[180:181], v[184:185]
	ds_load_b128 v[4:7], v2 offset:1600
	ds_load_b128 v[140:143], v2 offset:1616
	v_fmac_f64_e32 v[186:187], v[150:151], v[144:145]
	v_fma_f64 v[144:145], v[148:149], v[144:145], -v[146:147]
	s_wait_loadcnt_dscnt 0x901
	v_mul_f64_e32 v[184:185], v[4:5], v[178:179]
	v_mul_f64_e32 v[178:179], v[6:7], v[178:179]
	s_wait_loadcnt_dscnt 0x800
	v_mul_f64_e32 v[150:151], v[140:141], v[10:11]
	v_mul_f64_e32 v[10:11], v[142:143], v[10:11]
	v_add_f64_e32 v[146:147], v[162:163], v[160:161]
	v_add_f64_e32 v[148:149], v[180:181], v[182:183]
	v_fmac_f64_e32 v[184:185], v[6:7], v[176:177]
	v_fma_f64 v[160:161], v[4:5], v[176:177], -v[178:179]
	v_fmac_f64_e32 v[150:151], v[142:143], v[8:9]
	v_fma_f64 v[8:9], v[140:141], v[8:9], -v[10:11]
	v_add_f64_e32 v[162:163], v[146:147], v[144:145]
	v_add_f64_e32 v[148:149], v[148:149], v[186:187]
	ds_load_b128 v[4:7], v2 offset:1632
	ds_load_b128 v[144:147], v2 offset:1648
	s_wait_loadcnt_dscnt 0x701
	v_mul_f64_e32 v[176:177], v[4:5], v[166:167]
	v_mul_f64_e32 v[166:167], v[6:7], v[166:167]
	s_wait_loadcnt_dscnt 0x600
	v_mul_f64_e32 v[142:143], v[144:145], v[130:131]
	v_mul_f64_e32 v[130:131], v[146:147], v[130:131]
	v_add_f64_e32 v[10:11], v[162:163], v[160:161]
	v_add_f64_e32 v[140:141], v[148:149], v[184:185]
	v_fmac_f64_e32 v[176:177], v[6:7], v[164:165]
	v_fma_f64 v[148:149], v[4:5], v[164:165], -v[166:167]
	v_fmac_f64_e32 v[142:143], v[146:147], v[128:129]
	v_fma_f64 v[128:129], v[144:145], v[128:129], -v[130:131]
	v_add_f64_e32 v[160:161], v[10:11], v[8:9]
	v_add_f64_e32 v[140:141], v[140:141], v[150:151]
	ds_load_b128 v[4:7], v2 offset:1664
	ds_load_b128 v[8:11], v2 offset:1680
	;; [unrolled: 16-line block ×4, first 2 shown]
	s_wait_loadcnt_dscnt 0x101
	v_mul_f64_e32 v[2:3], v[4:5], v[158:159]
	v_mul_f64_e32 v[144:145], v[6:7], v[158:159]
	s_wait_loadcnt_dscnt 0x0
	v_mul_f64_e32 v[132:133], v[8:9], v[138:139]
	v_mul_f64_e32 v[134:135], v[10:11], v[138:139]
	v_add_f64_e32 v[130:131], v[146:147], v[140:141]
	v_add_f64_e32 v[12:13], v[12:13], v[142:143]
	v_fmac_f64_e32 v[2:3], v[6:7], v[156:157]
	v_fma_f64 v[4:5], v[4:5], v[156:157], -v[144:145]
	v_fmac_f64_e32 v[132:133], v[10:11], v[136:137]
	v_fma_f64 v[8:9], v[8:9], v[136:137], -v[134:135]
	v_add_f64_e32 v[6:7], v[130:131], v[128:129]
	v_add_f64_e32 v[12:13], v[12:13], v[14:15]
	s_delay_alu instid0(VALU_DEP_2) | instskip(NEXT) | instid1(VALU_DEP_2)
	v_add_f64_e32 v[4:5], v[6:7], v[4:5]
	v_add_f64_e32 v[2:3], v[12:13], v[2:3]
	s_delay_alu instid0(VALU_DEP_2) | instskip(NEXT) | instid1(VALU_DEP_2)
	;; [unrolled: 3-line block ×3, first 2 shown]
	v_add_f64_e64 v[2:3], v[168:169], -v[4:5]
	v_add_f64_e64 v[4:5], v[170:171], -v[6:7]
	scratch_store_b128 off, v[2:5], off offset:320
	s_wait_xcnt 0x0
	v_cmpx_lt_u32_e32 19, v1
	s_cbranch_execz .LBB118_305
; %bb.304:
	scratch_load_b128 v[2:5], off, s52
	v_mov_b32_e32 v6, 0
	s_delay_alu instid0(VALU_DEP_1)
	v_dual_mov_b32 v7, v6 :: v_dual_mov_b32 v8, v6
	v_mov_b32_e32 v9, v6
	scratch_store_b128 off, v[6:9], off offset:304
	s_wait_loadcnt 0x0
	ds_store_b128 v126, v[2:5]
.LBB118_305:
	s_wait_xcnt 0x0
	s_or_b32 exec_lo, exec_lo, s2
	s_wait_storecnt_dscnt 0x0
	s_barrier_signal -1
	s_barrier_wait -1
	s_clause 0x9
	scratch_load_b128 v[4:7], off, off offset:320
	scratch_load_b128 v[8:11], off, off offset:336
	;; [unrolled: 1-line block ×10, first 2 shown]
	v_mov_b32_e32 v2, 0
	s_mov_b32 s2, exec_lo
	ds_load_b128 v[156:159], v2 offset:1200
	s_clause 0x2
	scratch_load_b128 v[160:163], off, off offset:480
	scratch_load_b128 v[164:167], off, off offset:304
	;; [unrolled: 1-line block ×3, first 2 shown]
	s_wait_loadcnt_dscnt 0xc00
	v_mul_f64_e32 v[176:177], v[158:159], v[6:7]
	v_mul_f64_e32 v[180:181], v[156:157], v[6:7]
	ds_load_b128 v[168:171], v2 offset:1216
	v_fma_f64 v[184:185], v[156:157], v[4:5], -v[176:177]
	v_fmac_f64_e32 v[180:181], v[158:159], v[4:5]
	ds_load_b128 v[4:7], v2 offset:1232
	s_wait_loadcnt_dscnt 0xb01
	v_mul_f64_e32 v[182:183], v[168:169], v[10:11]
	v_mul_f64_e32 v[10:11], v[170:171], v[10:11]
	scratch_load_b128 v[156:159], off, off offset:512
	ds_load_b128 v[176:179], v2 offset:1248
	s_wait_loadcnt_dscnt 0xb01
	v_mul_f64_e32 v[186:187], v[4:5], v[14:15]
	v_mul_f64_e32 v[14:15], v[6:7], v[14:15]
	v_add_f64_e32 v[180:181], 0, v[180:181]
	v_fmac_f64_e32 v[182:183], v[170:171], v[8:9]
	v_fma_f64 v[168:169], v[168:169], v[8:9], -v[10:11]
	v_add_f64_e32 v[170:171], 0, v[184:185]
	scratch_load_b128 v[8:11], off, off offset:528
	v_fmac_f64_e32 v[186:187], v[6:7], v[12:13]
	v_fma_f64 v[188:189], v[4:5], v[12:13], -v[14:15]
	ds_load_b128 v[4:7], v2 offset:1264
	s_wait_loadcnt_dscnt 0xb01
	v_mul_f64_e32 v[184:185], v[176:177], v[130:131]
	v_mul_f64_e32 v[130:131], v[178:179], v[130:131]
	scratch_load_b128 v[12:15], off, off offset:544
	v_add_f64_e32 v[180:181], v[180:181], v[182:183]
	v_add_f64_e32 v[190:191], v[170:171], v[168:169]
	ds_load_b128 v[168:171], v2 offset:1280
	s_wait_loadcnt_dscnt 0xb01
	v_mul_f64_e32 v[182:183], v[4:5], v[134:135]
	v_mul_f64_e32 v[134:135], v[6:7], v[134:135]
	v_fmac_f64_e32 v[184:185], v[178:179], v[128:129]
	v_fma_f64 v[176:177], v[176:177], v[128:129], -v[130:131]
	scratch_load_b128 v[128:131], off, off offset:560
	v_add_f64_e32 v[180:181], v[180:181], v[186:187]
	v_add_f64_e32 v[178:179], v[190:191], v[188:189]
	v_fmac_f64_e32 v[182:183], v[6:7], v[132:133]
	v_fma_f64 v[188:189], v[4:5], v[132:133], -v[134:135]
	ds_load_b128 v[4:7], v2 offset:1296
	s_wait_loadcnt_dscnt 0xb01
	v_mul_f64_e32 v[186:187], v[168:169], v[138:139]
	v_mul_f64_e32 v[138:139], v[170:171], v[138:139]
	scratch_load_b128 v[132:135], off, off offset:576
	v_add_f64_e32 v[180:181], v[180:181], v[184:185]
	s_wait_loadcnt_dscnt 0xb00
	v_mul_f64_e32 v[184:185], v[4:5], v[142:143]
	v_add_f64_e32 v[190:191], v[178:179], v[176:177]
	v_mul_f64_e32 v[142:143], v[6:7], v[142:143]
	ds_load_b128 v[176:179], v2 offset:1312
	v_fmac_f64_e32 v[186:187], v[170:171], v[136:137]
	v_fma_f64 v[168:169], v[168:169], v[136:137], -v[138:139]
	scratch_load_b128 v[136:139], off, off offset:592
	v_add_f64_e32 v[180:181], v[180:181], v[182:183]
	v_fmac_f64_e32 v[184:185], v[6:7], v[140:141]
	v_add_f64_e32 v[170:171], v[190:191], v[188:189]
	v_fma_f64 v[188:189], v[4:5], v[140:141], -v[142:143]
	ds_load_b128 v[4:7], v2 offset:1328
	s_wait_loadcnt_dscnt 0xb01
	v_mul_f64_e32 v[182:183], v[176:177], v[146:147]
	v_mul_f64_e32 v[146:147], v[178:179], v[146:147]
	scratch_load_b128 v[140:143], off, off offset:608
	v_add_f64_e32 v[180:181], v[180:181], v[186:187]
	s_wait_loadcnt_dscnt 0xb00
	v_mul_f64_e32 v[186:187], v[4:5], v[150:151]
	v_add_f64_e32 v[190:191], v[170:171], v[168:169]
	v_mul_f64_e32 v[150:151], v[6:7], v[150:151]
	ds_load_b128 v[168:171], v2 offset:1344
	v_fmac_f64_e32 v[182:183], v[178:179], v[144:145]
	v_fma_f64 v[176:177], v[176:177], v[144:145], -v[146:147]
	scratch_load_b128 v[144:147], off, off offset:624
	v_add_f64_e32 v[180:181], v[180:181], v[184:185]
	v_fmac_f64_e32 v[186:187], v[6:7], v[148:149]
	v_add_f64_e32 v[178:179], v[190:191], v[188:189]
	v_fma_f64 v[188:189], v[4:5], v[148:149], -v[150:151]
	ds_load_b128 v[4:7], v2 offset:1360
	s_wait_loadcnt_dscnt 0xb01
	v_mul_f64_e32 v[184:185], v[168:169], v[154:155]
	v_mul_f64_e32 v[154:155], v[170:171], v[154:155]
	scratch_load_b128 v[148:151], off, off offset:640
	v_add_f64_e32 v[180:181], v[180:181], v[182:183]
	s_wait_loadcnt_dscnt 0xb00
	v_mul_f64_e32 v[182:183], v[4:5], v[162:163]
	v_add_f64_e32 v[190:191], v[178:179], v[176:177]
	v_mul_f64_e32 v[162:163], v[6:7], v[162:163]
	ds_load_b128 v[176:179], v2 offset:1376
	v_fmac_f64_e32 v[184:185], v[170:171], v[152:153]
	v_fma_f64 v[168:169], v[168:169], v[152:153], -v[154:155]
	scratch_load_b128 v[152:155], off, off offset:656
	v_add_f64_e32 v[180:181], v[180:181], v[186:187]
	v_fmac_f64_e32 v[182:183], v[6:7], v[160:161]
	v_add_f64_e32 v[170:171], v[190:191], v[188:189]
	v_fma_f64 v[188:189], v[4:5], v[160:161], -v[162:163]
	ds_load_b128 v[4:7], v2 offset:1392
	s_wait_loadcnt_dscnt 0xa01
	v_mul_f64_e32 v[186:187], v[176:177], v[174:175]
	v_mul_f64_e32 v[174:175], v[178:179], v[174:175]
	scratch_load_b128 v[160:163], off, off offset:672
	v_add_f64_e32 v[180:181], v[180:181], v[184:185]
	v_add_f64_e32 v[190:191], v[170:171], v[168:169]
	s_wait_loadcnt_dscnt 0xa00
	v_mul_f64_e32 v[184:185], v[4:5], v[158:159]
	v_mul_f64_e32 v[158:159], v[6:7], v[158:159]
	v_fmac_f64_e32 v[186:187], v[178:179], v[172:173]
	v_fma_f64 v[176:177], v[176:177], v[172:173], -v[174:175]
	ds_load_b128 v[168:171], v2 offset:1408
	scratch_load_b128 v[172:175], off, off offset:688
	v_add_f64_e32 v[180:181], v[180:181], v[182:183]
	v_add_f64_e32 v[178:179], v[190:191], v[188:189]
	v_fmac_f64_e32 v[184:185], v[6:7], v[156:157]
	v_fma_f64 v[188:189], v[4:5], v[156:157], -v[158:159]
	ds_load_b128 v[4:7], v2 offset:1424
	s_wait_loadcnt_dscnt 0xa01
	v_mul_f64_e32 v[182:183], v[168:169], v[10:11]
	v_mul_f64_e32 v[10:11], v[170:171], v[10:11]
	scratch_load_b128 v[156:159], off, off offset:704
	v_add_f64_e32 v[180:181], v[180:181], v[186:187]
	s_wait_loadcnt_dscnt 0xa00
	v_mul_f64_e32 v[186:187], v[4:5], v[14:15]
	v_add_f64_e32 v[190:191], v[178:179], v[176:177]
	v_mul_f64_e32 v[14:15], v[6:7], v[14:15]
	ds_load_b128 v[176:179], v2 offset:1440
	v_fmac_f64_e32 v[182:183], v[170:171], v[8:9]
	v_fma_f64 v[168:169], v[168:169], v[8:9], -v[10:11]
	scratch_load_b128 v[8:11], off, off offset:720
	v_add_f64_e32 v[180:181], v[180:181], v[184:185]
	v_fmac_f64_e32 v[186:187], v[6:7], v[12:13]
	v_add_f64_e32 v[170:171], v[190:191], v[188:189]
	v_fma_f64 v[188:189], v[4:5], v[12:13], -v[14:15]
	ds_load_b128 v[4:7], v2 offset:1456
	s_wait_loadcnt_dscnt 0xa01
	v_mul_f64_e32 v[184:185], v[176:177], v[130:131]
	v_mul_f64_e32 v[130:131], v[178:179], v[130:131]
	scratch_load_b128 v[12:15], off, off offset:736
	v_add_f64_e32 v[180:181], v[180:181], v[182:183]
	s_wait_loadcnt_dscnt 0xa00
	v_mul_f64_e32 v[182:183], v[4:5], v[134:135]
	v_add_f64_e32 v[190:191], v[170:171], v[168:169]
	v_mul_f64_e32 v[134:135], v[6:7], v[134:135]
	ds_load_b128 v[168:171], v2 offset:1472
	v_fmac_f64_e32 v[184:185], v[178:179], v[128:129]
	v_fma_f64 v[176:177], v[176:177], v[128:129], -v[130:131]
	scratch_load_b128 v[128:131], off, off offset:752
	v_add_f64_e32 v[180:181], v[180:181], v[186:187]
	v_fmac_f64_e32 v[182:183], v[6:7], v[132:133]
	v_add_f64_e32 v[178:179], v[190:191], v[188:189]
	;; [unrolled: 18-line block ×5, first 2 shown]
	v_fma_f64 v[188:189], v[4:5], v[160:161], -v[162:163]
	ds_load_b128 v[4:7], v2 offset:1584
	s_wait_loadcnt_dscnt 0xa01
	v_mul_f64_e32 v[186:187], v[176:177], v[174:175]
	v_mul_f64_e32 v[174:175], v[178:179], v[174:175]
	scratch_load_b128 v[160:163], off, off offset:864
	v_add_f64_e32 v[180:181], v[180:181], v[184:185]
	s_wait_loadcnt_dscnt 0xa00
	v_mul_f64_e32 v[184:185], v[4:5], v[158:159]
	v_add_f64_e32 v[190:191], v[170:171], v[168:169]
	v_mul_f64_e32 v[158:159], v[6:7], v[158:159]
	ds_load_b128 v[168:171], v2 offset:1600
	v_fmac_f64_e32 v[186:187], v[178:179], v[172:173]
	v_fma_f64 v[172:173], v[176:177], v[172:173], -v[174:175]
	s_wait_loadcnt_dscnt 0x900
	v_mul_f64_e32 v[178:179], v[168:169], v[10:11]
	v_mul_f64_e32 v[10:11], v[170:171], v[10:11]
	v_add_f64_e32 v[176:177], v[180:181], v[182:183]
	v_fmac_f64_e32 v[184:185], v[6:7], v[156:157]
	v_add_f64_e32 v[174:175], v[190:191], v[188:189]
	v_fma_f64 v[180:181], v[4:5], v[156:157], -v[158:159]
	ds_load_b128 v[4:7], v2 offset:1616
	ds_load_b128 v[156:159], v2 offset:1632
	v_fmac_f64_e32 v[178:179], v[170:171], v[8:9]
	v_fma_f64 v[8:9], v[168:169], v[8:9], -v[10:11]
	v_add_f64_e32 v[172:173], v[174:175], v[172:173]
	v_add_f64_e32 v[174:175], v[176:177], v[186:187]
	s_wait_loadcnt_dscnt 0x801
	v_mul_f64_e32 v[176:177], v[4:5], v[14:15]
	v_mul_f64_e32 v[14:15], v[6:7], v[14:15]
	s_wait_loadcnt_dscnt 0x700
	v_mul_f64_e32 v[170:171], v[156:157], v[130:131]
	v_mul_f64_e32 v[130:131], v[158:159], v[130:131]
	v_add_f64_e32 v[10:11], v[172:173], v[180:181]
	v_add_f64_e32 v[168:169], v[174:175], v[184:185]
	v_fmac_f64_e32 v[176:177], v[6:7], v[12:13]
	v_fma_f64 v[12:13], v[4:5], v[12:13], -v[14:15]
	v_fmac_f64_e32 v[170:171], v[158:159], v[128:129]
	v_fma_f64 v[128:129], v[156:157], v[128:129], -v[130:131]
	v_add_f64_e32 v[14:15], v[10:11], v[8:9]
	v_add_f64_e32 v[168:169], v[168:169], v[178:179]
	ds_load_b128 v[4:7], v2 offset:1648
	ds_load_b128 v[8:11], v2 offset:1664
	s_wait_loadcnt_dscnt 0x601
	v_mul_f64_e32 v[172:173], v[4:5], v[134:135]
	v_mul_f64_e32 v[134:135], v[6:7], v[134:135]
	s_wait_loadcnt_dscnt 0x500
	v_mul_f64_e32 v[130:131], v[8:9], v[138:139]
	v_mul_f64_e32 v[138:139], v[10:11], v[138:139]
	v_add_f64_e32 v[12:13], v[14:15], v[12:13]
	v_add_f64_e32 v[14:15], v[168:169], v[176:177]
	v_fmac_f64_e32 v[172:173], v[6:7], v[132:133]
	v_fma_f64 v[132:133], v[4:5], v[132:133], -v[134:135]
	v_fmac_f64_e32 v[130:131], v[10:11], v[136:137]
	v_fma_f64 v[8:9], v[8:9], v[136:137], -v[138:139]
	v_add_f64_e32 v[128:129], v[12:13], v[128:129]
	v_add_f64_e32 v[134:135], v[14:15], v[170:171]
	ds_load_b128 v[4:7], v2 offset:1680
	ds_load_b128 v[12:15], v2 offset:1696
	s_wait_loadcnt_dscnt 0x401
	v_mul_f64_e32 v[156:157], v[4:5], v[142:143]
	v_mul_f64_e32 v[142:143], v[6:7], v[142:143]
	v_add_f64_e32 v[10:11], v[128:129], v[132:133]
	v_add_f64_e32 v[128:129], v[134:135], v[172:173]
	s_wait_loadcnt_dscnt 0x300
	v_mul_f64_e32 v[132:133], v[12:13], v[146:147]
	v_mul_f64_e32 v[134:135], v[14:15], v[146:147]
	v_fmac_f64_e32 v[156:157], v[6:7], v[140:141]
	v_fma_f64 v[136:137], v[4:5], v[140:141], -v[142:143]
	v_add_f64_e32 v[138:139], v[10:11], v[8:9]
	v_add_f64_e32 v[128:129], v[128:129], v[130:131]
	ds_load_b128 v[4:7], v2 offset:1712
	ds_load_b128 v[8:11], v2 offset:1728
	v_fmac_f64_e32 v[132:133], v[14:15], v[144:145]
	v_fma_f64 v[12:13], v[12:13], v[144:145], -v[134:135]
	s_wait_loadcnt_dscnt 0x201
	v_mul_f64_e32 v[130:131], v[4:5], v[150:151]
	v_mul_f64_e32 v[140:141], v[6:7], v[150:151]
	s_wait_loadcnt_dscnt 0x100
	v_mul_f64_e32 v[134:135], v[8:9], v[154:155]
	v_add_f64_e32 v[14:15], v[138:139], v[136:137]
	v_add_f64_e32 v[128:129], v[128:129], v[156:157]
	v_mul_f64_e32 v[136:137], v[10:11], v[154:155]
	v_fmac_f64_e32 v[130:131], v[6:7], v[148:149]
	v_fma_f64 v[138:139], v[4:5], v[148:149], -v[140:141]
	ds_load_b128 v[4:7], v2 offset:1744
	v_fmac_f64_e32 v[134:135], v[10:11], v[152:153]
	v_add_f64_e32 v[12:13], v[14:15], v[12:13]
	v_add_f64_e32 v[14:15], v[128:129], v[132:133]
	v_fma_f64 v[8:9], v[8:9], v[152:153], -v[136:137]
	s_wait_loadcnt_dscnt 0x0
	v_mul_f64_e32 v[128:129], v[4:5], v[162:163]
	v_mul_f64_e32 v[132:133], v[6:7], v[162:163]
	v_add_f64_e32 v[10:11], v[12:13], v[138:139]
	v_add_f64_e32 v[12:13], v[14:15], v[130:131]
	s_delay_alu instid0(VALU_DEP_4) | instskip(NEXT) | instid1(VALU_DEP_4)
	v_fmac_f64_e32 v[128:129], v[6:7], v[160:161]
	v_fma_f64 v[4:5], v[4:5], v[160:161], -v[132:133]
	s_delay_alu instid0(VALU_DEP_4) | instskip(NEXT) | instid1(VALU_DEP_4)
	v_add_f64_e32 v[6:7], v[10:11], v[8:9]
	v_add_f64_e32 v[8:9], v[12:13], v[134:135]
	s_delay_alu instid0(VALU_DEP_2) | instskip(NEXT) | instid1(VALU_DEP_2)
	v_add_f64_e32 v[4:5], v[6:7], v[4:5]
	v_add_f64_e32 v[6:7], v[8:9], v[128:129]
	s_delay_alu instid0(VALU_DEP_2) | instskip(NEXT) | instid1(VALU_DEP_2)
	v_add_f64_e64 v[4:5], v[164:165], -v[4:5]
	v_add_f64_e64 v[6:7], v[166:167], -v[6:7]
	scratch_store_b128 off, v[4:7], off offset:304
	s_wait_xcnt 0x0
	v_cmpx_lt_u32_e32 18, v1
	s_cbranch_execz .LBB118_307
; %bb.306:
	scratch_load_b128 v[6:9], off, s53
	v_dual_mov_b32 v3, v2 :: v_dual_mov_b32 v4, v2
	v_mov_b32_e32 v5, v2
	scratch_store_b128 off, v[2:5], off offset:288
	s_wait_loadcnt 0x0
	ds_store_b128 v126, v[6:9]
.LBB118_307:
	s_wait_xcnt 0x0
	s_or_b32 exec_lo, exec_lo, s2
	s_wait_storecnt_dscnt 0x0
	s_barrier_signal -1
	s_barrier_wait -1
	s_clause 0x9
	scratch_load_b128 v[4:7], off, off offset:304
	scratch_load_b128 v[8:11], off, off offset:320
	;; [unrolled: 1-line block ×10, first 2 shown]
	ds_load_b128 v[156:159], v2 offset:1184
	ds_load_b128 v[164:167], v2 offset:1200
	s_clause 0x2
	scratch_load_b128 v[160:163], off, off offset:464
	scratch_load_b128 v[168:171], off, off offset:288
	;; [unrolled: 1-line block ×3, first 2 shown]
	s_mov_b32 s2, exec_lo
	s_wait_loadcnt_dscnt 0xc01
	v_mul_f64_e32 v[176:177], v[158:159], v[6:7]
	v_mul_f64_e32 v[180:181], v[156:157], v[6:7]
	s_wait_loadcnt_dscnt 0xb00
	v_mul_f64_e32 v[182:183], v[164:165], v[10:11]
	v_mul_f64_e32 v[10:11], v[166:167], v[10:11]
	s_delay_alu instid0(VALU_DEP_4) | instskip(NEXT) | instid1(VALU_DEP_4)
	v_fma_f64 v[184:185], v[156:157], v[4:5], -v[176:177]
	v_fmac_f64_e32 v[180:181], v[158:159], v[4:5]
	ds_load_b128 v[4:7], v2 offset:1216
	ds_load_b128 v[156:159], v2 offset:1232
	scratch_load_b128 v[176:179], off, off offset:496
	v_fmac_f64_e32 v[182:183], v[166:167], v[8:9]
	v_fma_f64 v[164:165], v[164:165], v[8:9], -v[10:11]
	scratch_load_b128 v[8:11], off, off offset:512
	s_wait_loadcnt_dscnt 0xc01
	v_mul_f64_e32 v[186:187], v[4:5], v[14:15]
	v_mul_f64_e32 v[14:15], v[6:7], v[14:15]
	v_add_f64_e32 v[166:167], 0, v[184:185]
	v_add_f64_e32 v[180:181], 0, v[180:181]
	s_wait_loadcnt_dscnt 0xb00
	v_mul_f64_e32 v[184:185], v[156:157], v[130:131]
	v_mul_f64_e32 v[130:131], v[158:159], v[130:131]
	v_fmac_f64_e32 v[186:187], v[6:7], v[12:13]
	v_fma_f64 v[188:189], v[4:5], v[12:13], -v[14:15]
	ds_load_b128 v[4:7], v2 offset:1248
	ds_load_b128 v[12:15], v2 offset:1264
	v_add_f64_e32 v[190:191], v[166:167], v[164:165]
	v_add_f64_e32 v[180:181], v[180:181], v[182:183]
	scratch_load_b128 v[164:167], off, off offset:528
	v_fmac_f64_e32 v[184:185], v[158:159], v[128:129]
	v_fma_f64 v[156:157], v[156:157], v[128:129], -v[130:131]
	scratch_load_b128 v[128:131], off, off offset:544
	s_wait_loadcnt_dscnt 0xc01
	v_mul_f64_e32 v[182:183], v[4:5], v[134:135]
	v_mul_f64_e32 v[134:135], v[6:7], v[134:135]
	v_add_f64_e32 v[158:159], v[190:191], v[188:189]
	v_add_f64_e32 v[180:181], v[180:181], v[186:187]
	s_wait_loadcnt_dscnt 0xb00
	v_mul_f64_e32 v[186:187], v[12:13], v[138:139]
	v_mul_f64_e32 v[138:139], v[14:15], v[138:139]
	v_fmac_f64_e32 v[182:183], v[6:7], v[132:133]
	v_fma_f64 v[188:189], v[4:5], v[132:133], -v[134:135]
	ds_load_b128 v[4:7], v2 offset:1280
	ds_load_b128 v[132:135], v2 offset:1296
	v_add_f64_e32 v[190:191], v[158:159], v[156:157]
	v_add_f64_e32 v[180:181], v[180:181], v[184:185]
	scratch_load_b128 v[156:159], off, off offset:560
	s_wait_loadcnt_dscnt 0xb01
	v_mul_f64_e32 v[184:185], v[4:5], v[142:143]
	v_mul_f64_e32 v[142:143], v[6:7], v[142:143]
	v_fmac_f64_e32 v[186:187], v[14:15], v[136:137]
	v_fma_f64 v[136:137], v[12:13], v[136:137], -v[138:139]
	scratch_load_b128 v[12:15], off, off offset:576
	v_add_f64_e32 v[138:139], v[190:191], v[188:189]
	v_add_f64_e32 v[180:181], v[180:181], v[182:183]
	s_wait_loadcnt_dscnt 0xb00
	v_mul_f64_e32 v[182:183], v[132:133], v[146:147]
	v_mul_f64_e32 v[146:147], v[134:135], v[146:147]
	v_fmac_f64_e32 v[184:185], v[6:7], v[140:141]
	v_fma_f64 v[188:189], v[4:5], v[140:141], -v[142:143]
	v_add_f64_e32 v[190:191], v[138:139], v[136:137]
	v_add_f64_e32 v[180:181], v[180:181], v[186:187]
	ds_load_b128 v[4:7], v2 offset:1312
	ds_load_b128 v[136:139], v2 offset:1328
	scratch_load_b128 v[140:143], off, off offset:592
	v_fmac_f64_e32 v[182:183], v[134:135], v[144:145]
	v_fma_f64 v[144:145], v[132:133], v[144:145], -v[146:147]
	scratch_load_b128 v[132:135], off, off offset:608
	s_wait_loadcnt_dscnt 0xc01
	v_mul_f64_e32 v[186:187], v[4:5], v[150:151]
	v_mul_f64_e32 v[150:151], v[6:7], v[150:151]
	v_add_f64_e32 v[146:147], v[190:191], v[188:189]
	v_add_f64_e32 v[180:181], v[180:181], v[184:185]
	s_wait_loadcnt_dscnt 0xb00
	v_mul_f64_e32 v[184:185], v[136:137], v[154:155]
	v_mul_f64_e32 v[154:155], v[138:139], v[154:155]
	v_fmac_f64_e32 v[186:187], v[6:7], v[148:149]
	v_fma_f64 v[188:189], v[4:5], v[148:149], -v[150:151]
	v_add_f64_e32 v[190:191], v[146:147], v[144:145]
	v_add_f64_e32 v[180:181], v[180:181], v[182:183]
	ds_load_b128 v[4:7], v2 offset:1344
	ds_load_b128 v[144:147], v2 offset:1360
	scratch_load_b128 v[148:151], off, off offset:624
	v_fmac_f64_e32 v[184:185], v[138:139], v[152:153]
	v_fma_f64 v[152:153], v[136:137], v[152:153], -v[154:155]
	scratch_load_b128 v[136:139], off, off offset:640
	s_wait_loadcnt_dscnt 0xc01
	v_mul_f64_e32 v[182:183], v[4:5], v[162:163]
	v_mul_f64_e32 v[162:163], v[6:7], v[162:163]
	;; [unrolled: 18-line block ×5, first 2 shown]
	v_add_f64_e32 v[174:175], v[190:191], v[188:189]
	v_add_f64_e32 v[180:181], v[180:181], v[186:187]
	s_wait_loadcnt_dscnt 0xa00
	v_mul_f64_e32 v[186:187], v[152:153], v[14:15]
	v_mul_f64_e32 v[14:15], v[154:155], v[14:15]
	v_fmac_f64_e32 v[182:183], v[6:7], v[156:157]
	v_fma_f64 v[188:189], v[4:5], v[156:157], -v[158:159]
	ds_load_b128 v[4:7], v2 offset:1472
	ds_load_b128 v[156:159], v2 offset:1488
	v_add_f64_e32 v[190:191], v[174:175], v[172:173]
	v_add_f64_e32 v[180:181], v[180:181], v[184:185]
	scratch_load_b128 v[172:175], off, off offset:752
	v_fmac_f64_e32 v[186:187], v[154:155], v[12:13]
	v_fma_f64 v[152:153], v[152:153], v[12:13], -v[14:15]
	scratch_load_b128 v[12:15], off, off offset:768
	s_wait_loadcnt_dscnt 0xb01
	v_mul_f64_e32 v[184:185], v[4:5], v[142:143]
	v_mul_f64_e32 v[142:143], v[6:7], v[142:143]
	v_add_f64_e32 v[154:155], v[190:191], v[188:189]
	v_add_f64_e32 v[180:181], v[180:181], v[182:183]
	s_wait_loadcnt_dscnt 0xa00
	v_mul_f64_e32 v[182:183], v[156:157], v[134:135]
	v_mul_f64_e32 v[134:135], v[158:159], v[134:135]
	v_fmac_f64_e32 v[184:185], v[6:7], v[140:141]
	v_fma_f64 v[188:189], v[4:5], v[140:141], -v[142:143]
	ds_load_b128 v[4:7], v2 offset:1504
	ds_load_b128 v[140:143], v2 offset:1520
	v_add_f64_e32 v[190:191], v[154:155], v[152:153]
	v_add_f64_e32 v[180:181], v[180:181], v[186:187]
	scratch_load_b128 v[152:155], off, off offset:784
	s_wait_loadcnt_dscnt 0xa01
	v_mul_f64_e32 v[186:187], v[4:5], v[150:151]
	v_mul_f64_e32 v[150:151], v[6:7], v[150:151]
	v_fmac_f64_e32 v[182:183], v[158:159], v[132:133]
	v_fma_f64 v[156:157], v[156:157], v[132:133], -v[134:135]
	scratch_load_b128 v[132:135], off, off offset:800
	v_add_f64_e32 v[158:159], v[190:191], v[188:189]
	v_add_f64_e32 v[180:181], v[180:181], v[184:185]
	s_wait_loadcnt_dscnt 0xa00
	v_mul_f64_e32 v[184:185], v[140:141], v[138:139]
	v_mul_f64_e32 v[138:139], v[142:143], v[138:139]
	v_fmac_f64_e32 v[186:187], v[6:7], v[148:149]
	v_fma_f64 v[188:189], v[4:5], v[148:149], -v[150:151]
	ds_load_b128 v[4:7], v2 offset:1536
	ds_load_b128 v[148:151], v2 offset:1552
	v_add_f64_e32 v[190:191], v[158:159], v[156:157]
	v_add_f64_e32 v[180:181], v[180:181], v[182:183]
	scratch_load_b128 v[156:159], off, off offset:816
	s_wait_loadcnt_dscnt 0xa01
	v_mul_f64_e32 v[182:183], v[4:5], v[162:163]
	v_mul_f64_e32 v[162:163], v[6:7], v[162:163]
	v_fmac_f64_e32 v[184:185], v[142:143], v[136:137]
	v_fma_f64 v[140:141], v[140:141], v[136:137], -v[138:139]
	scratch_load_b128 v[136:139], off, off offset:832
	v_add_f64_e32 v[142:143], v[190:191], v[188:189]
	v_add_f64_e32 v[180:181], v[180:181], v[186:187]
	s_wait_loadcnt_dscnt 0xa00
	v_mul_f64_e32 v[186:187], v[148:149], v[146:147]
	v_mul_f64_e32 v[146:147], v[150:151], v[146:147]
	v_fmac_f64_e32 v[182:183], v[6:7], v[160:161]
	v_fma_f64 v[188:189], v[4:5], v[160:161], -v[162:163]
	v_add_f64_e32 v[190:191], v[142:143], v[140:141]
	v_add_f64_e32 v[180:181], v[180:181], v[184:185]
	ds_load_b128 v[4:7], v2 offset:1568
	ds_load_b128 v[140:143], v2 offset:1584
	scratch_load_b128 v[160:163], off, off offset:848
	v_fmac_f64_e32 v[186:187], v[150:151], v[144:145]
	v_fma_f64 v[148:149], v[148:149], v[144:145], -v[146:147]
	scratch_load_b128 v[144:147], off, off offset:864
	s_wait_loadcnt_dscnt 0xb01
	v_mul_f64_e32 v[184:185], v[4:5], v[178:179]
	v_mul_f64_e32 v[178:179], v[6:7], v[178:179]
	v_add_f64_e32 v[150:151], v[190:191], v[188:189]
	v_add_f64_e32 v[180:181], v[180:181], v[182:183]
	s_wait_loadcnt_dscnt 0xa00
	v_mul_f64_e32 v[182:183], v[140:141], v[10:11]
	v_mul_f64_e32 v[10:11], v[142:143], v[10:11]
	v_fmac_f64_e32 v[184:185], v[6:7], v[176:177]
	v_fma_f64 v[176:177], v[4:5], v[176:177], -v[178:179]
	v_add_f64_e32 v[178:179], v[150:151], v[148:149]
	v_add_f64_e32 v[180:181], v[180:181], v[186:187]
	ds_load_b128 v[4:7], v2 offset:1600
	ds_load_b128 v[148:151], v2 offset:1616
	v_fmac_f64_e32 v[182:183], v[142:143], v[8:9]
	v_fma_f64 v[8:9], v[140:141], v[8:9], -v[10:11]
	s_wait_loadcnt_dscnt 0x901
	v_mul_f64_e32 v[186:187], v[4:5], v[166:167]
	v_mul_f64_e32 v[166:167], v[6:7], v[166:167]
	s_wait_loadcnt_dscnt 0x800
	v_mul_f64_e32 v[142:143], v[148:149], v[130:131]
	v_mul_f64_e32 v[130:131], v[150:151], v[130:131]
	v_add_f64_e32 v[10:11], v[178:179], v[176:177]
	v_add_f64_e32 v[140:141], v[180:181], v[184:185]
	v_fmac_f64_e32 v[186:187], v[6:7], v[164:165]
	v_fma_f64 v[164:165], v[4:5], v[164:165], -v[166:167]
	v_fmac_f64_e32 v[142:143], v[150:151], v[128:129]
	v_fma_f64 v[128:129], v[148:149], v[128:129], -v[130:131]
	v_add_f64_e32 v[166:167], v[10:11], v[8:9]
	v_add_f64_e32 v[140:141], v[140:141], v[182:183]
	ds_load_b128 v[4:7], v2 offset:1632
	ds_load_b128 v[8:11], v2 offset:1648
	s_wait_loadcnt_dscnt 0x701
	v_mul_f64_e32 v[176:177], v[4:5], v[174:175]
	v_mul_f64_e32 v[174:175], v[6:7], v[174:175]
	s_wait_loadcnt_dscnt 0x600
	v_mul_f64_e32 v[148:149], v[8:9], v[14:15]
	v_mul_f64_e32 v[14:15], v[10:11], v[14:15]
	v_add_f64_e32 v[130:131], v[166:167], v[164:165]
	v_add_f64_e32 v[140:141], v[140:141], v[186:187]
	v_fmac_f64_e32 v[176:177], v[6:7], v[172:173]
	v_fma_f64 v[150:151], v[4:5], v[172:173], -v[174:175]
	v_fmac_f64_e32 v[148:149], v[10:11], v[12:13]
	v_fma_f64 v[8:9], v[8:9], v[12:13], -v[14:15]
	v_add_f64_e32 v[164:165], v[130:131], v[128:129]
	v_add_f64_e32 v[140:141], v[140:141], v[142:143]
	ds_load_b128 v[4:7], v2 offset:1664
	ds_load_b128 v[128:131], v2 offset:1680
	;; [unrolled: 16-line block ×4, first 2 shown]
	s_wait_loadcnt_dscnt 0x101
	v_mul_f64_e32 v[2:3], v[4:5], v[162:163]
	v_mul_f64_e32 v[140:141], v[6:7], v[162:163]
	s_wait_loadcnt_dscnt 0x0
	v_mul_f64_e32 v[134:135], v[14:15], v[146:147]
	v_add_f64_e32 v[10:11], v[128:129], v[138:139]
	v_add_f64_e32 v[128:129], v[130:131], v[148:149]
	v_mul_f64_e32 v[130:131], v[12:13], v[146:147]
	v_fmac_f64_e32 v[2:3], v[6:7], v[160:161]
	v_fma_f64 v[4:5], v[4:5], v[160:161], -v[140:141]
	v_add_f64_e32 v[6:7], v[10:11], v[8:9]
	v_add_f64_e32 v[8:9], v[128:129], v[132:133]
	v_fmac_f64_e32 v[130:131], v[14:15], v[144:145]
	v_fma_f64 v[10:11], v[12:13], v[144:145], -v[134:135]
	s_delay_alu instid0(VALU_DEP_4) | instskip(NEXT) | instid1(VALU_DEP_4)
	v_add_f64_e32 v[4:5], v[6:7], v[4:5]
	v_add_f64_e32 v[2:3], v[8:9], v[2:3]
	s_delay_alu instid0(VALU_DEP_2) | instskip(NEXT) | instid1(VALU_DEP_2)
	v_add_f64_e32 v[4:5], v[4:5], v[10:11]
	v_add_f64_e32 v[6:7], v[2:3], v[130:131]
	s_delay_alu instid0(VALU_DEP_2) | instskip(NEXT) | instid1(VALU_DEP_2)
	v_add_f64_e64 v[2:3], v[168:169], -v[4:5]
	v_add_f64_e64 v[4:5], v[170:171], -v[6:7]
	scratch_store_b128 off, v[2:5], off offset:288
	s_wait_xcnt 0x0
	v_cmpx_lt_u32_e32 17, v1
	s_cbranch_execz .LBB118_309
; %bb.308:
	scratch_load_b128 v[2:5], off, s54
	v_mov_b32_e32 v6, 0
	s_delay_alu instid0(VALU_DEP_1)
	v_dual_mov_b32 v7, v6 :: v_dual_mov_b32 v8, v6
	v_mov_b32_e32 v9, v6
	scratch_store_b128 off, v[6:9], off offset:272
	s_wait_loadcnt 0x0
	ds_store_b128 v126, v[2:5]
.LBB118_309:
	s_wait_xcnt 0x0
	s_or_b32 exec_lo, exec_lo, s2
	s_wait_storecnt_dscnt 0x0
	s_barrier_signal -1
	s_barrier_wait -1
	s_clause 0x9
	scratch_load_b128 v[4:7], off, off offset:288
	scratch_load_b128 v[8:11], off, off offset:304
	;; [unrolled: 1-line block ×10, first 2 shown]
	v_mov_b32_e32 v2, 0
	s_mov_b32 s2, exec_lo
	ds_load_b128 v[156:159], v2 offset:1168
	s_clause 0x2
	scratch_load_b128 v[160:163], off, off offset:448
	scratch_load_b128 v[164:167], off, off offset:272
	;; [unrolled: 1-line block ×3, first 2 shown]
	s_wait_loadcnt_dscnt 0xc00
	v_mul_f64_e32 v[176:177], v[158:159], v[6:7]
	v_mul_f64_e32 v[180:181], v[156:157], v[6:7]
	ds_load_b128 v[168:171], v2 offset:1184
	v_fma_f64 v[184:185], v[156:157], v[4:5], -v[176:177]
	v_fmac_f64_e32 v[180:181], v[158:159], v[4:5]
	ds_load_b128 v[4:7], v2 offset:1200
	s_wait_loadcnt_dscnt 0xb01
	v_mul_f64_e32 v[182:183], v[168:169], v[10:11]
	v_mul_f64_e32 v[10:11], v[170:171], v[10:11]
	scratch_load_b128 v[156:159], off, off offset:480
	ds_load_b128 v[176:179], v2 offset:1216
	s_wait_loadcnt_dscnt 0xb01
	v_mul_f64_e32 v[186:187], v[4:5], v[14:15]
	v_mul_f64_e32 v[14:15], v[6:7], v[14:15]
	v_add_f64_e32 v[180:181], 0, v[180:181]
	v_fmac_f64_e32 v[182:183], v[170:171], v[8:9]
	v_fma_f64 v[168:169], v[168:169], v[8:9], -v[10:11]
	v_add_f64_e32 v[170:171], 0, v[184:185]
	scratch_load_b128 v[8:11], off, off offset:496
	v_fmac_f64_e32 v[186:187], v[6:7], v[12:13]
	v_fma_f64 v[188:189], v[4:5], v[12:13], -v[14:15]
	ds_load_b128 v[4:7], v2 offset:1232
	s_wait_loadcnt_dscnt 0xb01
	v_mul_f64_e32 v[184:185], v[176:177], v[130:131]
	v_mul_f64_e32 v[130:131], v[178:179], v[130:131]
	scratch_load_b128 v[12:15], off, off offset:512
	v_add_f64_e32 v[180:181], v[180:181], v[182:183]
	v_add_f64_e32 v[190:191], v[170:171], v[168:169]
	ds_load_b128 v[168:171], v2 offset:1248
	s_wait_loadcnt_dscnt 0xb01
	v_mul_f64_e32 v[182:183], v[4:5], v[134:135]
	v_mul_f64_e32 v[134:135], v[6:7], v[134:135]
	v_fmac_f64_e32 v[184:185], v[178:179], v[128:129]
	v_fma_f64 v[176:177], v[176:177], v[128:129], -v[130:131]
	scratch_load_b128 v[128:131], off, off offset:528
	v_add_f64_e32 v[180:181], v[180:181], v[186:187]
	v_add_f64_e32 v[178:179], v[190:191], v[188:189]
	v_fmac_f64_e32 v[182:183], v[6:7], v[132:133]
	v_fma_f64 v[188:189], v[4:5], v[132:133], -v[134:135]
	ds_load_b128 v[4:7], v2 offset:1264
	s_wait_loadcnt_dscnt 0xb01
	v_mul_f64_e32 v[186:187], v[168:169], v[138:139]
	v_mul_f64_e32 v[138:139], v[170:171], v[138:139]
	scratch_load_b128 v[132:135], off, off offset:544
	v_add_f64_e32 v[180:181], v[180:181], v[184:185]
	s_wait_loadcnt_dscnt 0xb00
	v_mul_f64_e32 v[184:185], v[4:5], v[142:143]
	v_add_f64_e32 v[190:191], v[178:179], v[176:177]
	v_mul_f64_e32 v[142:143], v[6:7], v[142:143]
	ds_load_b128 v[176:179], v2 offset:1280
	v_fmac_f64_e32 v[186:187], v[170:171], v[136:137]
	v_fma_f64 v[168:169], v[168:169], v[136:137], -v[138:139]
	scratch_load_b128 v[136:139], off, off offset:560
	v_add_f64_e32 v[180:181], v[180:181], v[182:183]
	v_fmac_f64_e32 v[184:185], v[6:7], v[140:141]
	v_add_f64_e32 v[170:171], v[190:191], v[188:189]
	v_fma_f64 v[188:189], v[4:5], v[140:141], -v[142:143]
	ds_load_b128 v[4:7], v2 offset:1296
	s_wait_loadcnt_dscnt 0xb01
	v_mul_f64_e32 v[182:183], v[176:177], v[146:147]
	v_mul_f64_e32 v[146:147], v[178:179], v[146:147]
	scratch_load_b128 v[140:143], off, off offset:576
	v_add_f64_e32 v[180:181], v[180:181], v[186:187]
	s_wait_loadcnt_dscnt 0xb00
	v_mul_f64_e32 v[186:187], v[4:5], v[150:151]
	v_add_f64_e32 v[190:191], v[170:171], v[168:169]
	v_mul_f64_e32 v[150:151], v[6:7], v[150:151]
	ds_load_b128 v[168:171], v2 offset:1312
	v_fmac_f64_e32 v[182:183], v[178:179], v[144:145]
	v_fma_f64 v[176:177], v[176:177], v[144:145], -v[146:147]
	scratch_load_b128 v[144:147], off, off offset:592
	v_add_f64_e32 v[180:181], v[180:181], v[184:185]
	v_fmac_f64_e32 v[186:187], v[6:7], v[148:149]
	v_add_f64_e32 v[178:179], v[190:191], v[188:189]
	;; [unrolled: 18-line block ×3, first 2 shown]
	v_fma_f64 v[188:189], v[4:5], v[160:161], -v[162:163]
	ds_load_b128 v[4:7], v2 offset:1360
	s_wait_loadcnt_dscnt 0xa01
	v_mul_f64_e32 v[186:187], v[176:177], v[174:175]
	v_mul_f64_e32 v[174:175], v[178:179], v[174:175]
	scratch_load_b128 v[160:163], off, off offset:640
	v_add_f64_e32 v[180:181], v[180:181], v[184:185]
	v_add_f64_e32 v[190:191], v[170:171], v[168:169]
	s_wait_loadcnt_dscnt 0xa00
	v_mul_f64_e32 v[184:185], v[4:5], v[158:159]
	v_mul_f64_e32 v[158:159], v[6:7], v[158:159]
	v_fmac_f64_e32 v[186:187], v[178:179], v[172:173]
	v_fma_f64 v[176:177], v[176:177], v[172:173], -v[174:175]
	ds_load_b128 v[168:171], v2 offset:1376
	scratch_load_b128 v[172:175], off, off offset:656
	v_add_f64_e32 v[180:181], v[180:181], v[182:183]
	v_add_f64_e32 v[178:179], v[190:191], v[188:189]
	v_fmac_f64_e32 v[184:185], v[6:7], v[156:157]
	v_fma_f64 v[188:189], v[4:5], v[156:157], -v[158:159]
	ds_load_b128 v[4:7], v2 offset:1392
	s_wait_loadcnt_dscnt 0xa01
	v_mul_f64_e32 v[182:183], v[168:169], v[10:11]
	v_mul_f64_e32 v[10:11], v[170:171], v[10:11]
	scratch_load_b128 v[156:159], off, off offset:672
	v_add_f64_e32 v[180:181], v[180:181], v[186:187]
	s_wait_loadcnt_dscnt 0xa00
	v_mul_f64_e32 v[186:187], v[4:5], v[14:15]
	v_add_f64_e32 v[190:191], v[178:179], v[176:177]
	v_mul_f64_e32 v[14:15], v[6:7], v[14:15]
	ds_load_b128 v[176:179], v2 offset:1408
	v_fmac_f64_e32 v[182:183], v[170:171], v[8:9]
	v_fma_f64 v[168:169], v[168:169], v[8:9], -v[10:11]
	scratch_load_b128 v[8:11], off, off offset:688
	v_add_f64_e32 v[180:181], v[180:181], v[184:185]
	v_fmac_f64_e32 v[186:187], v[6:7], v[12:13]
	v_add_f64_e32 v[170:171], v[190:191], v[188:189]
	v_fma_f64 v[188:189], v[4:5], v[12:13], -v[14:15]
	ds_load_b128 v[4:7], v2 offset:1424
	s_wait_loadcnt_dscnt 0xa01
	v_mul_f64_e32 v[184:185], v[176:177], v[130:131]
	v_mul_f64_e32 v[130:131], v[178:179], v[130:131]
	scratch_load_b128 v[12:15], off, off offset:704
	v_add_f64_e32 v[180:181], v[180:181], v[182:183]
	s_wait_loadcnt_dscnt 0xa00
	v_mul_f64_e32 v[182:183], v[4:5], v[134:135]
	v_add_f64_e32 v[190:191], v[170:171], v[168:169]
	v_mul_f64_e32 v[134:135], v[6:7], v[134:135]
	ds_load_b128 v[168:171], v2 offset:1440
	v_fmac_f64_e32 v[184:185], v[178:179], v[128:129]
	v_fma_f64 v[176:177], v[176:177], v[128:129], -v[130:131]
	scratch_load_b128 v[128:131], off, off offset:720
	v_add_f64_e32 v[180:181], v[180:181], v[186:187]
	v_fmac_f64_e32 v[182:183], v[6:7], v[132:133]
	v_add_f64_e32 v[178:179], v[190:191], v[188:189]
	;; [unrolled: 18-line block ×6, first 2 shown]
	v_fma_f64 v[188:189], v[4:5], v[156:157], -v[158:159]
	ds_load_b128 v[4:7], v2 offset:1584
	s_wait_loadcnt_dscnt 0xa01
	v_mul_f64_e32 v[182:183], v[168:169], v[10:11]
	v_mul_f64_e32 v[10:11], v[170:171], v[10:11]
	scratch_load_b128 v[156:159], off, off offset:864
	v_add_f64_e32 v[180:181], v[180:181], v[186:187]
	s_wait_loadcnt_dscnt 0xa00
	v_mul_f64_e32 v[186:187], v[4:5], v[14:15]
	v_add_f64_e32 v[190:191], v[178:179], v[176:177]
	v_mul_f64_e32 v[14:15], v[6:7], v[14:15]
	ds_load_b128 v[176:179], v2 offset:1600
	v_fmac_f64_e32 v[182:183], v[170:171], v[8:9]
	v_fma_f64 v[8:9], v[168:169], v[8:9], -v[10:11]
	s_wait_loadcnt_dscnt 0x900
	v_mul_f64_e32 v[170:171], v[176:177], v[130:131]
	v_mul_f64_e32 v[130:131], v[178:179], v[130:131]
	v_add_f64_e32 v[168:169], v[180:181], v[184:185]
	v_fmac_f64_e32 v[186:187], v[6:7], v[12:13]
	v_add_f64_e32 v[10:11], v[190:191], v[188:189]
	v_fma_f64 v[12:13], v[4:5], v[12:13], -v[14:15]
	v_fmac_f64_e32 v[170:171], v[178:179], v[128:129]
	v_fma_f64 v[128:129], v[176:177], v[128:129], -v[130:131]
	v_add_f64_e32 v[168:169], v[168:169], v[182:183]
	v_add_f64_e32 v[14:15], v[10:11], v[8:9]
	ds_load_b128 v[4:7], v2 offset:1616
	ds_load_b128 v[8:11], v2 offset:1632
	s_wait_loadcnt_dscnt 0x801
	v_mul_f64_e32 v[180:181], v[4:5], v[134:135]
	v_mul_f64_e32 v[134:135], v[6:7], v[134:135]
	s_wait_loadcnt_dscnt 0x700
	v_mul_f64_e32 v[130:131], v[8:9], v[138:139]
	v_mul_f64_e32 v[138:139], v[10:11], v[138:139]
	v_add_f64_e32 v[12:13], v[14:15], v[12:13]
	v_add_f64_e32 v[14:15], v[168:169], v[186:187]
	v_fmac_f64_e32 v[180:181], v[6:7], v[132:133]
	v_fma_f64 v[132:133], v[4:5], v[132:133], -v[134:135]
	v_fmac_f64_e32 v[130:131], v[10:11], v[136:137]
	v_fma_f64 v[8:9], v[8:9], v[136:137], -v[138:139]
	v_add_f64_e32 v[128:129], v[12:13], v[128:129]
	v_add_f64_e32 v[134:135], v[14:15], v[170:171]
	ds_load_b128 v[4:7], v2 offset:1648
	ds_load_b128 v[12:15], v2 offset:1664
	s_wait_loadcnt_dscnt 0x601
	v_mul_f64_e32 v[168:169], v[4:5], v[142:143]
	v_mul_f64_e32 v[142:143], v[6:7], v[142:143]
	v_add_f64_e32 v[10:11], v[128:129], v[132:133]
	v_add_f64_e32 v[128:129], v[134:135], v[180:181]
	s_wait_loadcnt_dscnt 0x500
	v_mul_f64_e32 v[132:133], v[12:13], v[146:147]
	v_mul_f64_e32 v[134:135], v[14:15], v[146:147]
	v_fmac_f64_e32 v[168:169], v[6:7], v[140:141]
	v_fma_f64 v[136:137], v[4:5], v[140:141], -v[142:143]
	v_add_f64_e32 v[138:139], v[10:11], v[8:9]
	v_add_f64_e32 v[128:129], v[128:129], v[130:131]
	ds_load_b128 v[4:7], v2 offset:1680
	ds_load_b128 v[8:11], v2 offset:1696
	v_fmac_f64_e32 v[132:133], v[14:15], v[144:145]
	v_fma_f64 v[12:13], v[12:13], v[144:145], -v[134:135]
	s_wait_loadcnt_dscnt 0x401
	v_mul_f64_e32 v[130:131], v[4:5], v[150:151]
	v_mul_f64_e32 v[140:141], v[6:7], v[150:151]
	s_wait_loadcnt_dscnt 0x300
	v_mul_f64_e32 v[134:135], v[8:9], v[154:155]
	v_add_f64_e32 v[14:15], v[138:139], v[136:137]
	v_add_f64_e32 v[128:129], v[128:129], v[168:169]
	v_mul_f64_e32 v[136:137], v[10:11], v[154:155]
	v_fmac_f64_e32 v[130:131], v[6:7], v[148:149]
	v_fma_f64 v[138:139], v[4:5], v[148:149], -v[140:141]
	v_fmac_f64_e32 v[134:135], v[10:11], v[152:153]
	v_add_f64_e32 v[140:141], v[14:15], v[12:13]
	v_add_f64_e32 v[128:129], v[128:129], v[132:133]
	ds_load_b128 v[4:7], v2 offset:1712
	ds_load_b128 v[12:15], v2 offset:1728
	v_fma_f64 v[8:9], v[8:9], v[152:153], -v[136:137]
	s_wait_loadcnt_dscnt 0x201
	v_mul_f64_e32 v[132:133], v[4:5], v[162:163]
	v_mul_f64_e32 v[142:143], v[6:7], v[162:163]
	s_wait_loadcnt_dscnt 0x100
	v_mul_f64_e32 v[136:137], v[14:15], v[174:175]
	v_add_f64_e32 v[10:11], v[140:141], v[138:139]
	v_add_f64_e32 v[128:129], v[128:129], v[130:131]
	v_mul_f64_e32 v[130:131], v[12:13], v[174:175]
	v_fmac_f64_e32 v[132:133], v[6:7], v[160:161]
	v_fma_f64 v[138:139], v[4:5], v[160:161], -v[142:143]
	ds_load_b128 v[4:7], v2 offset:1744
	v_fma_f64 v[12:13], v[12:13], v[172:173], -v[136:137]
	v_add_f64_e32 v[8:9], v[10:11], v[8:9]
	v_add_f64_e32 v[10:11], v[128:129], v[134:135]
	v_fmac_f64_e32 v[130:131], v[14:15], v[172:173]
	s_wait_loadcnt_dscnt 0x0
	v_mul_f64_e32 v[128:129], v[4:5], v[158:159]
	v_mul_f64_e32 v[134:135], v[6:7], v[158:159]
	v_add_f64_e32 v[8:9], v[8:9], v[138:139]
	v_add_f64_e32 v[10:11], v[10:11], v[132:133]
	s_delay_alu instid0(VALU_DEP_4) | instskip(NEXT) | instid1(VALU_DEP_4)
	v_fmac_f64_e32 v[128:129], v[6:7], v[156:157]
	v_fma_f64 v[4:5], v[4:5], v[156:157], -v[134:135]
	s_delay_alu instid0(VALU_DEP_4) | instskip(NEXT) | instid1(VALU_DEP_4)
	v_add_f64_e32 v[6:7], v[8:9], v[12:13]
	v_add_f64_e32 v[8:9], v[10:11], v[130:131]
	s_delay_alu instid0(VALU_DEP_2) | instskip(NEXT) | instid1(VALU_DEP_2)
	v_add_f64_e32 v[4:5], v[6:7], v[4:5]
	v_add_f64_e32 v[6:7], v[8:9], v[128:129]
	s_delay_alu instid0(VALU_DEP_2) | instskip(NEXT) | instid1(VALU_DEP_2)
	v_add_f64_e64 v[4:5], v[164:165], -v[4:5]
	v_add_f64_e64 v[6:7], v[166:167], -v[6:7]
	scratch_store_b128 off, v[4:7], off offset:272
	s_wait_xcnt 0x0
	v_cmpx_lt_u32_e32 16, v1
	s_cbranch_execz .LBB118_311
; %bb.310:
	scratch_load_b128 v[6:9], off, s55
	v_dual_mov_b32 v3, v2 :: v_dual_mov_b32 v4, v2
	v_mov_b32_e32 v5, v2
	scratch_store_b128 off, v[2:5], off offset:256
	s_wait_loadcnt 0x0
	ds_store_b128 v126, v[6:9]
.LBB118_311:
	s_wait_xcnt 0x0
	s_or_b32 exec_lo, exec_lo, s2
	s_wait_storecnt_dscnt 0x0
	s_barrier_signal -1
	s_barrier_wait -1
	s_clause 0x9
	scratch_load_b128 v[4:7], off, off offset:272
	scratch_load_b128 v[8:11], off, off offset:288
	;; [unrolled: 1-line block ×10, first 2 shown]
	ds_load_b128 v[156:159], v2 offset:1152
	ds_load_b128 v[164:167], v2 offset:1168
	s_clause 0x2
	scratch_load_b128 v[160:163], off, off offset:432
	scratch_load_b128 v[168:171], off, off offset:256
	;; [unrolled: 1-line block ×3, first 2 shown]
	s_mov_b32 s2, exec_lo
	s_wait_loadcnt_dscnt 0xc01
	v_mul_f64_e32 v[176:177], v[158:159], v[6:7]
	v_mul_f64_e32 v[180:181], v[156:157], v[6:7]
	s_wait_loadcnt_dscnt 0xb00
	v_mul_f64_e32 v[182:183], v[164:165], v[10:11]
	v_mul_f64_e32 v[10:11], v[166:167], v[10:11]
	s_delay_alu instid0(VALU_DEP_4) | instskip(NEXT) | instid1(VALU_DEP_4)
	v_fma_f64 v[184:185], v[156:157], v[4:5], -v[176:177]
	v_fmac_f64_e32 v[180:181], v[158:159], v[4:5]
	ds_load_b128 v[4:7], v2 offset:1184
	ds_load_b128 v[156:159], v2 offset:1200
	scratch_load_b128 v[176:179], off, off offset:464
	v_fmac_f64_e32 v[182:183], v[166:167], v[8:9]
	v_fma_f64 v[164:165], v[164:165], v[8:9], -v[10:11]
	scratch_load_b128 v[8:11], off, off offset:480
	s_wait_loadcnt_dscnt 0xc01
	v_mul_f64_e32 v[186:187], v[4:5], v[14:15]
	v_mul_f64_e32 v[14:15], v[6:7], v[14:15]
	v_add_f64_e32 v[166:167], 0, v[184:185]
	v_add_f64_e32 v[180:181], 0, v[180:181]
	s_wait_loadcnt_dscnt 0xb00
	v_mul_f64_e32 v[184:185], v[156:157], v[130:131]
	v_mul_f64_e32 v[130:131], v[158:159], v[130:131]
	v_fmac_f64_e32 v[186:187], v[6:7], v[12:13]
	v_fma_f64 v[188:189], v[4:5], v[12:13], -v[14:15]
	ds_load_b128 v[4:7], v2 offset:1216
	ds_load_b128 v[12:15], v2 offset:1232
	v_add_f64_e32 v[190:191], v[166:167], v[164:165]
	v_add_f64_e32 v[180:181], v[180:181], v[182:183]
	scratch_load_b128 v[164:167], off, off offset:496
	v_fmac_f64_e32 v[184:185], v[158:159], v[128:129]
	v_fma_f64 v[156:157], v[156:157], v[128:129], -v[130:131]
	scratch_load_b128 v[128:131], off, off offset:512
	s_wait_loadcnt_dscnt 0xc01
	v_mul_f64_e32 v[182:183], v[4:5], v[134:135]
	v_mul_f64_e32 v[134:135], v[6:7], v[134:135]
	v_add_f64_e32 v[158:159], v[190:191], v[188:189]
	v_add_f64_e32 v[180:181], v[180:181], v[186:187]
	s_wait_loadcnt_dscnt 0xb00
	v_mul_f64_e32 v[186:187], v[12:13], v[138:139]
	v_mul_f64_e32 v[138:139], v[14:15], v[138:139]
	v_fmac_f64_e32 v[182:183], v[6:7], v[132:133]
	v_fma_f64 v[188:189], v[4:5], v[132:133], -v[134:135]
	ds_load_b128 v[4:7], v2 offset:1248
	ds_load_b128 v[132:135], v2 offset:1264
	v_add_f64_e32 v[190:191], v[158:159], v[156:157]
	v_add_f64_e32 v[180:181], v[180:181], v[184:185]
	scratch_load_b128 v[156:159], off, off offset:528
	s_wait_loadcnt_dscnt 0xb01
	v_mul_f64_e32 v[184:185], v[4:5], v[142:143]
	v_mul_f64_e32 v[142:143], v[6:7], v[142:143]
	v_fmac_f64_e32 v[186:187], v[14:15], v[136:137]
	v_fma_f64 v[136:137], v[12:13], v[136:137], -v[138:139]
	scratch_load_b128 v[12:15], off, off offset:544
	v_add_f64_e32 v[138:139], v[190:191], v[188:189]
	v_add_f64_e32 v[180:181], v[180:181], v[182:183]
	s_wait_loadcnt_dscnt 0xb00
	v_mul_f64_e32 v[182:183], v[132:133], v[146:147]
	v_mul_f64_e32 v[146:147], v[134:135], v[146:147]
	v_fmac_f64_e32 v[184:185], v[6:7], v[140:141]
	v_fma_f64 v[188:189], v[4:5], v[140:141], -v[142:143]
	v_add_f64_e32 v[190:191], v[138:139], v[136:137]
	v_add_f64_e32 v[180:181], v[180:181], v[186:187]
	ds_load_b128 v[4:7], v2 offset:1280
	ds_load_b128 v[136:139], v2 offset:1296
	scratch_load_b128 v[140:143], off, off offset:560
	v_fmac_f64_e32 v[182:183], v[134:135], v[144:145]
	v_fma_f64 v[144:145], v[132:133], v[144:145], -v[146:147]
	scratch_load_b128 v[132:135], off, off offset:576
	s_wait_loadcnt_dscnt 0xc01
	v_mul_f64_e32 v[186:187], v[4:5], v[150:151]
	v_mul_f64_e32 v[150:151], v[6:7], v[150:151]
	v_add_f64_e32 v[146:147], v[190:191], v[188:189]
	v_add_f64_e32 v[180:181], v[180:181], v[184:185]
	s_wait_loadcnt_dscnt 0xb00
	v_mul_f64_e32 v[184:185], v[136:137], v[154:155]
	v_mul_f64_e32 v[154:155], v[138:139], v[154:155]
	v_fmac_f64_e32 v[186:187], v[6:7], v[148:149]
	v_fma_f64 v[188:189], v[4:5], v[148:149], -v[150:151]
	v_add_f64_e32 v[190:191], v[146:147], v[144:145]
	v_add_f64_e32 v[180:181], v[180:181], v[182:183]
	ds_load_b128 v[4:7], v2 offset:1312
	ds_load_b128 v[144:147], v2 offset:1328
	scratch_load_b128 v[148:151], off, off offset:592
	v_fmac_f64_e32 v[184:185], v[138:139], v[152:153]
	v_fma_f64 v[152:153], v[136:137], v[152:153], -v[154:155]
	scratch_load_b128 v[136:139], off, off offset:608
	s_wait_loadcnt_dscnt 0xc01
	v_mul_f64_e32 v[182:183], v[4:5], v[162:163]
	v_mul_f64_e32 v[162:163], v[6:7], v[162:163]
	;; [unrolled: 18-line block ×5, first 2 shown]
	v_add_f64_e32 v[174:175], v[190:191], v[188:189]
	v_add_f64_e32 v[180:181], v[180:181], v[186:187]
	s_wait_loadcnt_dscnt 0xa00
	v_mul_f64_e32 v[186:187], v[152:153], v[14:15]
	v_mul_f64_e32 v[14:15], v[154:155], v[14:15]
	v_fmac_f64_e32 v[182:183], v[6:7], v[156:157]
	v_fma_f64 v[188:189], v[4:5], v[156:157], -v[158:159]
	ds_load_b128 v[4:7], v2 offset:1440
	ds_load_b128 v[156:159], v2 offset:1456
	v_add_f64_e32 v[190:191], v[174:175], v[172:173]
	v_add_f64_e32 v[180:181], v[180:181], v[184:185]
	scratch_load_b128 v[172:175], off, off offset:720
	v_fmac_f64_e32 v[186:187], v[154:155], v[12:13]
	v_fma_f64 v[152:153], v[152:153], v[12:13], -v[14:15]
	scratch_load_b128 v[12:15], off, off offset:736
	s_wait_loadcnt_dscnt 0xb01
	v_mul_f64_e32 v[184:185], v[4:5], v[142:143]
	v_mul_f64_e32 v[142:143], v[6:7], v[142:143]
	v_add_f64_e32 v[154:155], v[190:191], v[188:189]
	v_add_f64_e32 v[180:181], v[180:181], v[182:183]
	s_wait_loadcnt_dscnt 0xa00
	v_mul_f64_e32 v[182:183], v[156:157], v[134:135]
	v_mul_f64_e32 v[134:135], v[158:159], v[134:135]
	v_fmac_f64_e32 v[184:185], v[6:7], v[140:141]
	v_fma_f64 v[188:189], v[4:5], v[140:141], -v[142:143]
	ds_load_b128 v[4:7], v2 offset:1472
	ds_load_b128 v[140:143], v2 offset:1488
	v_add_f64_e32 v[190:191], v[154:155], v[152:153]
	v_add_f64_e32 v[180:181], v[180:181], v[186:187]
	scratch_load_b128 v[152:155], off, off offset:752
	s_wait_loadcnt_dscnt 0xa01
	v_mul_f64_e32 v[186:187], v[4:5], v[150:151]
	v_mul_f64_e32 v[150:151], v[6:7], v[150:151]
	v_fmac_f64_e32 v[182:183], v[158:159], v[132:133]
	v_fma_f64 v[156:157], v[156:157], v[132:133], -v[134:135]
	scratch_load_b128 v[132:135], off, off offset:768
	v_add_f64_e32 v[158:159], v[190:191], v[188:189]
	v_add_f64_e32 v[180:181], v[180:181], v[184:185]
	s_wait_loadcnt_dscnt 0xa00
	v_mul_f64_e32 v[184:185], v[140:141], v[138:139]
	v_mul_f64_e32 v[138:139], v[142:143], v[138:139]
	v_fmac_f64_e32 v[186:187], v[6:7], v[148:149]
	v_fma_f64 v[188:189], v[4:5], v[148:149], -v[150:151]
	ds_load_b128 v[4:7], v2 offset:1504
	ds_load_b128 v[148:151], v2 offset:1520
	v_add_f64_e32 v[190:191], v[158:159], v[156:157]
	v_add_f64_e32 v[180:181], v[180:181], v[182:183]
	scratch_load_b128 v[156:159], off, off offset:784
	s_wait_loadcnt_dscnt 0xa01
	v_mul_f64_e32 v[182:183], v[4:5], v[162:163]
	v_mul_f64_e32 v[162:163], v[6:7], v[162:163]
	v_fmac_f64_e32 v[184:185], v[142:143], v[136:137]
	v_fma_f64 v[140:141], v[140:141], v[136:137], -v[138:139]
	scratch_load_b128 v[136:139], off, off offset:800
	v_add_f64_e32 v[142:143], v[190:191], v[188:189]
	v_add_f64_e32 v[180:181], v[180:181], v[186:187]
	s_wait_loadcnt_dscnt 0xa00
	v_mul_f64_e32 v[186:187], v[148:149], v[146:147]
	v_mul_f64_e32 v[146:147], v[150:151], v[146:147]
	v_fmac_f64_e32 v[182:183], v[6:7], v[160:161]
	v_fma_f64 v[188:189], v[4:5], v[160:161], -v[162:163]
	v_add_f64_e32 v[190:191], v[142:143], v[140:141]
	v_add_f64_e32 v[180:181], v[180:181], v[184:185]
	ds_load_b128 v[4:7], v2 offset:1536
	ds_load_b128 v[140:143], v2 offset:1552
	scratch_load_b128 v[160:163], off, off offset:816
	v_fmac_f64_e32 v[186:187], v[150:151], v[144:145]
	v_fma_f64 v[148:149], v[148:149], v[144:145], -v[146:147]
	scratch_load_b128 v[144:147], off, off offset:832
	s_wait_loadcnt_dscnt 0xb01
	v_mul_f64_e32 v[184:185], v[4:5], v[178:179]
	v_mul_f64_e32 v[178:179], v[6:7], v[178:179]
	v_add_f64_e32 v[150:151], v[190:191], v[188:189]
	v_add_f64_e32 v[180:181], v[180:181], v[182:183]
	s_wait_loadcnt_dscnt 0xa00
	v_mul_f64_e32 v[182:183], v[140:141], v[10:11]
	v_mul_f64_e32 v[10:11], v[142:143], v[10:11]
	v_fmac_f64_e32 v[184:185], v[6:7], v[176:177]
	v_fma_f64 v[188:189], v[4:5], v[176:177], -v[178:179]
	v_add_f64_e32 v[190:191], v[150:151], v[148:149]
	v_add_f64_e32 v[180:181], v[180:181], v[186:187]
	ds_load_b128 v[4:7], v2 offset:1568
	ds_load_b128 v[148:151], v2 offset:1584
	scratch_load_b128 v[176:179], off, off offset:848
	v_fmac_f64_e32 v[182:183], v[142:143], v[8:9]
	v_fma_f64 v[140:141], v[140:141], v[8:9], -v[10:11]
	scratch_load_b128 v[8:11], off, off offset:864
	s_wait_loadcnt_dscnt 0xb01
	v_mul_f64_e32 v[186:187], v[4:5], v[166:167]
	v_mul_f64_e32 v[166:167], v[6:7], v[166:167]
	v_add_f64_e32 v[142:143], v[190:191], v[188:189]
	v_add_f64_e32 v[180:181], v[180:181], v[184:185]
	s_wait_loadcnt_dscnt 0xa00
	v_mul_f64_e32 v[184:185], v[148:149], v[130:131]
	v_mul_f64_e32 v[130:131], v[150:151], v[130:131]
	v_fmac_f64_e32 v[186:187], v[6:7], v[164:165]
	v_fma_f64 v[164:165], v[4:5], v[164:165], -v[166:167]
	v_add_f64_e32 v[166:167], v[142:143], v[140:141]
	v_add_f64_e32 v[180:181], v[180:181], v[182:183]
	ds_load_b128 v[4:7], v2 offset:1600
	ds_load_b128 v[140:143], v2 offset:1616
	v_fmac_f64_e32 v[184:185], v[150:151], v[128:129]
	v_fma_f64 v[128:129], v[148:149], v[128:129], -v[130:131]
	s_wait_loadcnt_dscnt 0x901
	v_mul_f64_e32 v[182:183], v[4:5], v[174:175]
	v_mul_f64_e32 v[174:175], v[6:7], v[174:175]
	s_wait_loadcnt_dscnt 0x800
	v_mul_f64_e32 v[150:151], v[140:141], v[14:15]
	v_mul_f64_e32 v[14:15], v[142:143], v[14:15]
	v_add_f64_e32 v[130:131], v[166:167], v[164:165]
	v_add_f64_e32 v[148:149], v[180:181], v[186:187]
	v_fmac_f64_e32 v[182:183], v[6:7], v[172:173]
	v_fma_f64 v[164:165], v[4:5], v[172:173], -v[174:175]
	v_fmac_f64_e32 v[150:151], v[142:143], v[12:13]
	v_fma_f64 v[12:13], v[140:141], v[12:13], -v[14:15]
	v_add_f64_e32 v[166:167], v[130:131], v[128:129]
	v_add_f64_e32 v[148:149], v[148:149], v[184:185]
	ds_load_b128 v[4:7], v2 offset:1632
	ds_load_b128 v[128:131], v2 offset:1648
	s_wait_loadcnt_dscnt 0x701
	v_mul_f64_e32 v[172:173], v[4:5], v[154:155]
	v_mul_f64_e32 v[154:155], v[6:7], v[154:155]
	s_wait_loadcnt_dscnt 0x600
	v_mul_f64_e32 v[142:143], v[128:129], v[134:135]
	v_mul_f64_e32 v[134:135], v[130:131], v[134:135]
	v_add_f64_e32 v[14:15], v[166:167], v[164:165]
	v_add_f64_e32 v[140:141], v[148:149], v[182:183]
	v_fmac_f64_e32 v[172:173], v[6:7], v[152:153]
	v_fma_f64 v[148:149], v[4:5], v[152:153], -v[154:155]
	v_fmac_f64_e32 v[142:143], v[130:131], v[132:133]
	v_fma_f64 v[128:129], v[128:129], v[132:133], -v[134:135]
	v_add_f64_e32 v[152:153], v[14:15], v[12:13]
	v_add_f64_e32 v[140:141], v[140:141], v[150:151]
	ds_load_b128 v[4:7], v2 offset:1664
	ds_load_b128 v[12:15], v2 offset:1680
	;; [unrolled: 16-line block ×4, first 2 shown]
	s_wait_loadcnt_dscnt 0x101
	v_mul_f64_e32 v[2:3], v[4:5], v[178:179]
	v_mul_f64_e32 v[134:135], v[6:7], v[178:179]
	s_wait_loadcnt_dscnt 0x0
	v_mul_f64_e32 v[138:139], v[12:13], v[10:11]
	v_mul_f64_e32 v[10:11], v[14:15], v[10:11]
	v_add_f64_e32 v[130:131], v[146:147], v[140:141]
	v_add_f64_e32 v[132:133], v[132:133], v[142:143]
	v_fmac_f64_e32 v[2:3], v[6:7], v[176:177]
	v_fma_f64 v[4:5], v[4:5], v[176:177], -v[134:135]
	v_fmac_f64_e32 v[138:139], v[14:15], v[8:9]
	v_fma_f64 v[8:9], v[12:13], v[8:9], -v[10:11]
	v_add_f64_e32 v[6:7], v[130:131], v[128:129]
	v_add_f64_e32 v[128:129], v[132:133], v[136:137]
	s_delay_alu instid0(VALU_DEP_2) | instskip(NEXT) | instid1(VALU_DEP_2)
	v_add_f64_e32 v[4:5], v[6:7], v[4:5]
	v_add_f64_e32 v[2:3], v[128:129], v[2:3]
	s_delay_alu instid0(VALU_DEP_2) | instskip(NEXT) | instid1(VALU_DEP_2)
	;; [unrolled: 3-line block ×3, first 2 shown]
	v_add_f64_e64 v[2:3], v[168:169], -v[4:5]
	v_add_f64_e64 v[4:5], v[170:171], -v[6:7]
	scratch_store_b128 off, v[2:5], off offset:256
	s_wait_xcnt 0x0
	v_cmpx_lt_u32_e32 15, v1
	s_cbranch_execz .LBB118_313
; %bb.312:
	scratch_load_b128 v[2:5], off, s56
	v_mov_b32_e32 v6, 0
	s_delay_alu instid0(VALU_DEP_1)
	v_dual_mov_b32 v7, v6 :: v_dual_mov_b32 v8, v6
	v_mov_b32_e32 v9, v6
	scratch_store_b128 off, v[6:9], off offset:240
	s_wait_loadcnt 0x0
	ds_store_b128 v126, v[2:5]
.LBB118_313:
	s_wait_xcnt 0x0
	s_or_b32 exec_lo, exec_lo, s2
	s_wait_storecnt_dscnt 0x0
	s_barrier_signal -1
	s_barrier_wait -1
	s_clause 0x9
	scratch_load_b128 v[4:7], off, off offset:256
	scratch_load_b128 v[8:11], off, off offset:272
	;; [unrolled: 1-line block ×10, first 2 shown]
	v_mov_b32_e32 v2, 0
	s_mov_b32 s2, exec_lo
	ds_load_b128 v[156:159], v2 offset:1136
	s_clause 0x2
	scratch_load_b128 v[160:163], off, off offset:416
	scratch_load_b128 v[164:167], off, off offset:240
	;; [unrolled: 1-line block ×3, first 2 shown]
	s_wait_loadcnt_dscnt 0xc00
	v_mul_f64_e32 v[176:177], v[158:159], v[6:7]
	v_mul_f64_e32 v[180:181], v[156:157], v[6:7]
	ds_load_b128 v[168:171], v2 offset:1152
	v_fma_f64 v[184:185], v[156:157], v[4:5], -v[176:177]
	v_fmac_f64_e32 v[180:181], v[158:159], v[4:5]
	ds_load_b128 v[4:7], v2 offset:1168
	s_wait_loadcnt_dscnt 0xb01
	v_mul_f64_e32 v[182:183], v[168:169], v[10:11]
	v_mul_f64_e32 v[10:11], v[170:171], v[10:11]
	scratch_load_b128 v[156:159], off, off offset:448
	ds_load_b128 v[176:179], v2 offset:1184
	s_wait_loadcnt_dscnt 0xb01
	v_mul_f64_e32 v[186:187], v[4:5], v[14:15]
	v_mul_f64_e32 v[14:15], v[6:7], v[14:15]
	v_add_f64_e32 v[180:181], 0, v[180:181]
	v_fmac_f64_e32 v[182:183], v[170:171], v[8:9]
	v_fma_f64 v[168:169], v[168:169], v[8:9], -v[10:11]
	v_add_f64_e32 v[170:171], 0, v[184:185]
	scratch_load_b128 v[8:11], off, off offset:464
	v_fmac_f64_e32 v[186:187], v[6:7], v[12:13]
	v_fma_f64 v[188:189], v[4:5], v[12:13], -v[14:15]
	ds_load_b128 v[4:7], v2 offset:1200
	s_wait_loadcnt_dscnt 0xb01
	v_mul_f64_e32 v[184:185], v[176:177], v[130:131]
	v_mul_f64_e32 v[130:131], v[178:179], v[130:131]
	scratch_load_b128 v[12:15], off, off offset:480
	v_add_f64_e32 v[180:181], v[180:181], v[182:183]
	v_add_f64_e32 v[190:191], v[170:171], v[168:169]
	ds_load_b128 v[168:171], v2 offset:1216
	s_wait_loadcnt_dscnt 0xb01
	v_mul_f64_e32 v[182:183], v[4:5], v[134:135]
	v_mul_f64_e32 v[134:135], v[6:7], v[134:135]
	v_fmac_f64_e32 v[184:185], v[178:179], v[128:129]
	v_fma_f64 v[176:177], v[176:177], v[128:129], -v[130:131]
	scratch_load_b128 v[128:131], off, off offset:496
	v_add_f64_e32 v[180:181], v[180:181], v[186:187]
	v_add_f64_e32 v[178:179], v[190:191], v[188:189]
	v_fmac_f64_e32 v[182:183], v[6:7], v[132:133]
	v_fma_f64 v[188:189], v[4:5], v[132:133], -v[134:135]
	ds_load_b128 v[4:7], v2 offset:1232
	s_wait_loadcnt_dscnt 0xb01
	v_mul_f64_e32 v[186:187], v[168:169], v[138:139]
	v_mul_f64_e32 v[138:139], v[170:171], v[138:139]
	scratch_load_b128 v[132:135], off, off offset:512
	v_add_f64_e32 v[180:181], v[180:181], v[184:185]
	s_wait_loadcnt_dscnt 0xb00
	v_mul_f64_e32 v[184:185], v[4:5], v[142:143]
	v_add_f64_e32 v[190:191], v[178:179], v[176:177]
	v_mul_f64_e32 v[142:143], v[6:7], v[142:143]
	ds_load_b128 v[176:179], v2 offset:1248
	v_fmac_f64_e32 v[186:187], v[170:171], v[136:137]
	v_fma_f64 v[168:169], v[168:169], v[136:137], -v[138:139]
	scratch_load_b128 v[136:139], off, off offset:528
	v_add_f64_e32 v[180:181], v[180:181], v[182:183]
	v_fmac_f64_e32 v[184:185], v[6:7], v[140:141]
	v_add_f64_e32 v[170:171], v[190:191], v[188:189]
	v_fma_f64 v[188:189], v[4:5], v[140:141], -v[142:143]
	ds_load_b128 v[4:7], v2 offset:1264
	s_wait_loadcnt_dscnt 0xb01
	v_mul_f64_e32 v[182:183], v[176:177], v[146:147]
	v_mul_f64_e32 v[146:147], v[178:179], v[146:147]
	scratch_load_b128 v[140:143], off, off offset:544
	v_add_f64_e32 v[180:181], v[180:181], v[186:187]
	s_wait_loadcnt_dscnt 0xb00
	v_mul_f64_e32 v[186:187], v[4:5], v[150:151]
	v_add_f64_e32 v[190:191], v[170:171], v[168:169]
	v_mul_f64_e32 v[150:151], v[6:7], v[150:151]
	ds_load_b128 v[168:171], v2 offset:1280
	v_fmac_f64_e32 v[182:183], v[178:179], v[144:145]
	v_fma_f64 v[176:177], v[176:177], v[144:145], -v[146:147]
	scratch_load_b128 v[144:147], off, off offset:560
	v_add_f64_e32 v[180:181], v[180:181], v[184:185]
	v_fmac_f64_e32 v[186:187], v[6:7], v[148:149]
	v_add_f64_e32 v[178:179], v[190:191], v[188:189]
	;; [unrolled: 18-line block ×3, first 2 shown]
	v_fma_f64 v[188:189], v[4:5], v[160:161], -v[162:163]
	ds_load_b128 v[4:7], v2 offset:1328
	s_wait_loadcnt_dscnt 0xa01
	v_mul_f64_e32 v[186:187], v[176:177], v[174:175]
	v_mul_f64_e32 v[174:175], v[178:179], v[174:175]
	scratch_load_b128 v[160:163], off, off offset:608
	v_add_f64_e32 v[180:181], v[180:181], v[184:185]
	v_add_f64_e32 v[190:191], v[170:171], v[168:169]
	s_wait_loadcnt_dscnt 0xa00
	v_mul_f64_e32 v[184:185], v[4:5], v[158:159]
	v_mul_f64_e32 v[158:159], v[6:7], v[158:159]
	v_fmac_f64_e32 v[186:187], v[178:179], v[172:173]
	v_fma_f64 v[176:177], v[176:177], v[172:173], -v[174:175]
	ds_load_b128 v[168:171], v2 offset:1344
	scratch_load_b128 v[172:175], off, off offset:624
	v_add_f64_e32 v[180:181], v[180:181], v[182:183]
	v_add_f64_e32 v[178:179], v[190:191], v[188:189]
	v_fmac_f64_e32 v[184:185], v[6:7], v[156:157]
	v_fma_f64 v[188:189], v[4:5], v[156:157], -v[158:159]
	ds_load_b128 v[4:7], v2 offset:1360
	s_wait_loadcnt_dscnt 0xa01
	v_mul_f64_e32 v[182:183], v[168:169], v[10:11]
	v_mul_f64_e32 v[10:11], v[170:171], v[10:11]
	scratch_load_b128 v[156:159], off, off offset:640
	v_add_f64_e32 v[180:181], v[180:181], v[186:187]
	s_wait_loadcnt_dscnt 0xa00
	v_mul_f64_e32 v[186:187], v[4:5], v[14:15]
	v_add_f64_e32 v[190:191], v[178:179], v[176:177]
	v_mul_f64_e32 v[14:15], v[6:7], v[14:15]
	ds_load_b128 v[176:179], v2 offset:1376
	v_fmac_f64_e32 v[182:183], v[170:171], v[8:9]
	v_fma_f64 v[168:169], v[168:169], v[8:9], -v[10:11]
	scratch_load_b128 v[8:11], off, off offset:656
	v_add_f64_e32 v[180:181], v[180:181], v[184:185]
	v_fmac_f64_e32 v[186:187], v[6:7], v[12:13]
	v_add_f64_e32 v[170:171], v[190:191], v[188:189]
	v_fma_f64 v[188:189], v[4:5], v[12:13], -v[14:15]
	ds_load_b128 v[4:7], v2 offset:1392
	s_wait_loadcnt_dscnt 0xa01
	v_mul_f64_e32 v[184:185], v[176:177], v[130:131]
	v_mul_f64_e32 v[130:131], v[178:179], v[130:131]
	scratch_load_b128 v[12:15], off, off offset:672
	v_add_f64_e32 v[180:181], v[180:181], v[182:183]
	s_wait_loadcnt_dscnt 0xa00
	v_mul_f64_e32 v[182:183], v[4:5], v[134:135]
	v_add_f64_e32 v[190:191], v[170:171], v[168:169]
	v_mul_f64_e32 v[134:135], v[6:7], v[134:135]
	ds_load_b128 v[168:171], v2 offset:1408
	v_fmac_f64_e32 v[184:185], v[178:179], v[128:129]
	v_fma_f64 v[176:177], v[176:177], v[128:129], -v[130:131]
	scratch_load_b128 v[128:131], off, off offset:688
	v_add_f64_e32 v[180:181], v[180:181], v[186:187]
	v_fmac_f64_e32 v[182:183], v[6:7], v[132:133]
	v_add_f64_e32 v[178:179], v[190:191], v[188:189]
	v_fma_f64 v[188:189], v[4:5], v[132:133], -v[134:135]
	ds_load_b128 v[4:7], v2 offset:1424
	s_wait_loadcnt_dscnt 0xa01
	v_mul_f64_e32 v[186:187], v[168:169], v[138:139]
	v_mul_f64_e32 v[138:139], v[170:171], v[138:139]
	scratch_load_b128 v[132:135], off, off offset:704
	v_add_f64_e32 v[180:181], v[180:181], v[184:185]
	s_wait_loadcnt_dscnt 0xa00
	v_mul_f64_e32 v[184:185], v[4:5], v[142:143]
	v_add_f64_e32 v[190:191], v[178:179], v[176:177]
	v_mul_f64_e32 v[142:143], v[6:7], v[142:143]
	ds_load_b128 v[176:179], v2 offset:1440
	v_fmac_f64_e32 v[186:187], v[170:171], v[136:137]
	v_fma_f64 v[168:169], v[168:169], v[136:137], -v[138:139]
	scratch_load_b128 v[136:139], off, off offset:720
	v_add_f64_e32 v[180:181], v[180:181], v[182:183]
	v_fmac_f64_e32 v[184:185], v[6:7], v[140:141]
	v_add_f64_e32 v[170:171], v[190:191], v[188:189]
	v_fma_f64 v[188:189], v[4:5], v[140:141], -v[142:143]
	ds_load_b128 v[4:7], v2 offset:1456
	s_wait_loadcnt_dscnt 0xa01
	v_mul_f64_e32 v[182:183], v[176:177], v[146:147]
	v_mul_f64_e32 v[146:147], v[178:179], v[146:147]
	scratch_load_b128 v[140:143], off, off offset:736
	v_add_f64_e32 v[180:181], v[180:181], v[186:187]
	s_wait_loadcnt_dscnt 0xa00
	v_mul_f64_e32 v[186:187], v[4:5], v[150:151]
	v_add_f64_e32 v[190:191], v[170:171], v[168:169]
	v_mul_f64_e32 v[150:151], v[6:7], v[150:151]
	ds_load_b128 v[168:171], v2 offset:1472
	v_fmac_f64_e32 v[182:183], v[178:179], v[144:145]
	v_fma_f64 v[176:177], v[176:177], v[144:145], -v[146:147]
	scratch_load_b128 v[144:147], off, off offset:752
	v_add_f64_e32 v[180:181], v[180:181], v[184:185]
	v_fmac_f64_e32 v[186:187], v[6:7], v[148:149]
	v_add_f64_e32 v[178:179], v[190:191], v[188:189]
	v_fma_f64 v[188:189], v[4:5], v[148:149], -v[150:151]
	ds_load_b128 v[4:7], v2 offset:1488
	s_wait_loadcnt_dscnt 0xa01
	v_mul_f64_e32 v[184:185], v[168:169], v[154:155]
	v_mul_f64_e32 v[154:155], v[170:171], v[154:155]
	scratch_load_b128 v[148:151], off, off offset:768
	v_add_f64_e32 v[180:181], v[180:181], v[182:183]
	s_wait_loadcnt_dscnt 0xa00
	v_mul_f64_e32 v[182:183], v[4:5], v[162:163]
	v_add_f64_e32 v[190:191], v[178:179], v[176:177]
	v_mul_f64_e32 v[162:163], v[6:7], v[162:163]
	ds_load_b128 v[176:179], v2 offset:1504
	v_fmac_f64_e32 v[184:185], v[170:171], v[152:153]
	v_fma_f64 v[168:169], v[168:169], v[152:153], -v[154:155]
	scratch_load_b128 v[152:155], off, off offset:784
	v_add_f64_e32 v[180:181], v[180:181], v[186:187]
	v_fmac_f64_e32 v[182:183], v[6:7], v[160:161]
	v_add_f64_e32 v[170:171], v[190:191], v[188:189]
	v_fma_f64 v[188:189], v[4:5], v[160:161], -v[162:163]
	ds_load_b128 v[4:7], v2 offset:1520
	s_wait_loadcnt_dscnt 0xa01
	v_mul_f64_e32 v[186:187], v[176:177], v[174:175]
	v_mul_f64_e32 v[174:175], v[178:179], v[174:175]
	scratch_load_b128 v[160:163], off, off offset:800
	v_add_f64_e32 v[180:181], v[180:181], v[184:185]
	s_wait_loadcnt_dscnt 0xa00
	v_mul_f64_e32 v[184:185], v[4:5], v[158:159]
	v_add_f64_e32 v[190:191], v[170:171], v[168:169]
	v_mul_f64_e32 v[158:159], v[6:7], v[158:159]
	ds_load_b128 v[168:171], v2 offset:1536
	v_fmac_f64_e32 v[186:187], v[178:179], v[172:173]
	v_fma_f64 v[176:177], v[176:177], v[172:173], -v[174:175]
	scratch_load_b128 v[172:175], off, off offset:816
	v_add_f64_e32 v[180:181], v[180:181], v[182:183]
	v_fmac_f64_e32 v[184:185], v[6:7], v[156:157]
	v_add_f64_e32 v[178:179], v[190:191], v[188:189]
	v_fma_f64 v[188:189], v[4:5], v[156:157], -v[158:159]
	ds_load_b128 v[4:7], v2 offset:1552
	s_wait_loadcnt_dscnt 0xa01
	v_mul_f64_e32 v[182:183], v[168:169], v[10:11]
	v_mul_f64_e32 v[10:11], v[170:171], v[10:11]
	scratch_load_b128 v[156:159], off, off offset:832
	v_add_f64_e32 v[180:181], v[180:181], v[186:187]
	s_wait_loadcnt_dscnt 0xa00
	v_mul_f64_e32 v[186:187], v[4:5], v[14:15]
	v_add_f64_e32 v[190:191], v[178:179], v[176:177]
	v_mul_f64_e32 v[14:15], v[6:7], v[14:15]
	ds_load_b128 v[176:179], v2 offset:1568
	v_fmac_f64_e32 v[182:183], v[170:171], v[8:9]
	v_fma_f64 v[168:169], v[168:169], v[8:9], -v[10:11]
	scratch_load_b128 v[8:11], off, off offset:848
	v_add_f64_e32 v[180:181], v[180:181], v[184:185]
	v_fmac_f64_e32 v[186:187], v[6:7], v[12:13]
	v_add_f64_e32 v[170:171], v[190:191], v[188:189]
	v_fma_f64 v[188:189], v[4:5], v[12:13], -v[14:15]
	ds_load_b128 v[4:7], v2 offset:1584
	s_wait_loadcnt_dscnt 0xa01
	v_mul_f64_e32 v[184:185], v[176:177], v[130:131]
	v_mul_f64_e32 v[130:131], v[178:179], v[130:131]
	scratch_load_b128 v[12:15], off, off offset:864
	v_add_f64_e32 v[180:181], v[180:181], v[182:183]
	s_wait_loadcnt_dscnt 0xa00
	v_mul_f64_e32 v[182:183], v[4:5], v[134:135]
	v_add_f64_e32 v[190:191], v[170:171], v[168:169]
	v_mul_f64_e32 v[134:135], v[6:7], v[134:135]
	ds_load_b128 v[168:171], v2 offset:1600
	v_fmac_f64_e32 v[184:185], v[178:179], v[128:129]
	v_fma_f64 v[128:129], v[176:177], v[128:129], -v[130:131]
	s_wait_loadcnt_dscnt 0x900
	v_mul_f64_e32 v[178:179], v[168:169], v[138:139]
	v_mul_f64_e32 v[138:139], v[170:171], v[138:139]
	v_add_f64_e32 v[176:177], v[180:181], v[186:187]
	v_fmac_f64_e32 v[182:183], v[6:7], v[132:133]
	v_add_f64_e32 v[130:131], v[190:191], v[188:189]
	v_fma_f64 v[132:133], v[4:5], v[132:133], -v[134:135]
	v_fmac_f64_e32 v[178:179], v[170:171], v[136:137]
	v_fma_f64 v[136:137], v[168:169], v[136:137], -v[138:139]
	v_add_f64_e32 v[176:177], v[176:177], v[184:185]
	v_add_f64_e32 v[134:135], v[130:131], v[128:129]
	ds_load_b128 v[4:7], v2 offset:1616
	ds_load_b128 v[128:131], v2 offset:1632
	s_wait_loadcnt_dscnt 0x801
	v_mul_f64_e32 v[180:181], v[4:5], v[142:143]
	v_mul_f64_e32 v[142:143], v[6:7], v[142:143]
	s_wait_loadcnt_dscnt 0x700
	v_mul_f64_e32 v[138:139], v[128:129], v[146:147]
	v_mul_f64_e32 v[146:147], v[130:131], v[146:147]
	v_add_f64_e32 v[132:133], v[134:135], v[132:133]
	v_add_f64_e32 v[134:135], v[176:177], v[182:183]
	v_fmac_f64_e32 v[180:181], v[6:7], v[140:141]
	v_fma_f64 v[140:141], v[4:5], v[140:141], -v[142:143]
	v_fmac_f64_e32 v[138:139], v[130:131], v[144:145]
	v_fma_f64 v[128:129], v[128:129], v[144:145], -v[146:147]
	v_add_f64_e32 v[136:137], v[132:133], v[136:137]
	v_add_f64_e32 v[142:143], v[134:135], v[178:179]
	ds_load_b128 v[4:7], v2 offset:1648
	ds_load_b128 v[132:135], v2 offset:1664
	s_wait_loadcnt_dscnt 0x601
	v_mul_f64_e32 v[168:169], v[4:5], v[150:151]
	v_mul_f64_e32 v[150:151], v[6:7], v[150:151]
	v_add_f64_e32 v[130:131], v[136:137], v[140:141]
	v_add_f64_e32 v[136:137], v[142:143], v[180:181]
	s_wait_loadcnt_dscnt 0x500
	v_mul_f64_e32 v[140:141], v[132:133], v[154:155]
	v_mul_f64_e32 v[142:143], v[134:135], v[154:155]
	v_fmac_f64_e32 v[168:169], v[6:7], v[148:149]
	v_fma_f64 v[144:145], v[4:5], v[148:149], -v[150:151]
	v_add_f64_e32 v[146:147], v[130:131], v[128:129]
	v_add_f64_e32 v[136:137], v[136:137], v[138:139]
	ds_load_b128 v[4:7], v2 offset:1680
	ds_load_b128 v[128:131], v2 offset:1696
	v_fmac_f64_e32 v[140:141], v[134:135], v[152:153]
	v_fma_f64 v[132:133], v[132:133], v[152:153], -v[142:143]
	s_wait_loadcnt_dscnt 0x401
	v_mul_f64_e32 v[138:139], v[4:5], v[162:163]
	v_mul_f64_e32 v[148:149], v[6:7], v[162:163]
	s_wait_loadcnt_dscnt 0x300
	v_mul_f64_e32 v[142:143], v[128:129], v[174:175]
	v_add_f64_e32 v[134:135], v[146:147], v[144:145]
	v_add_f64_e32 v[136:137], v[136:137], v[168:169]
	v_mul_f64_e32 v[144:145], v[130:131], v[174:175]
	v_fmac_f64_e32 v[138:139], v[6:7], v[160:161]
	v_fma_f64 v[146:147], v[4:5], v[160:161], -v[148:149]
	v_fmac_f64_e32 v[142:143], v[130:131], v[172:173]
	v_add_f64_e32 v[148:149], v[134:135], v[132:133]
	v_add_f64_e32 v[136:137], v[136:137], v[140:141]
	ds_load_b128 v[4:7], v2 offset:1712
	ds_load_b128 v[132:135], v2 offset:1728
	v_fma_f64 v[128:129], v[128:129], v[172:173], -v[144:145]
	s_wait_loadcnt_dscnt 0x201
	v_mul_f64_e32 v[140:141], v[4:5], v[158:159]
	v_mul_f64_e32 v[150:151], v[6:7], v[158:159]
	v_add_f64_e32 v[130:131], v[148:149], v[146:147]
	v_add_f64_e32 v[136:137], v[136:137], v[138:139]
	s_wait_loadcnt_dscnt 0x100
	v_mul_f64_e32 v[138:139], v[132:133], v[10:11]
	v_mul_f64_e32 v[10:11], v[134:135], v[10:11]
	v_fmac_f64_e32 v[140:141], v[6:7], v[156:157]
	v_fma_f64 v[144:145], v[4:5], v[156:157], -v[150:151]
	ds_load_b128 v[4:7], v2 offset:1744
	v_add_f64_e32 v[128:129], v[130:131], v[128:129]
	v_add_f64_e32 v[130:131], v[136:137], v[142:143]
	v_fmac_f64_e32 v[138:139], v[134:135], v[8:9]
	v_fma_f64 v[8:9], v[132:133], v[8:9], -v[10:11]
	s_wait_loadcnt_dscnt 0x0
	v_mul_f64_e32 v[136:137], v[4:5], v[14:15]
	v_mul_f64_e32 v[14:15], v[6:7], v[14:15]
	v_add_f64_e32 v[10:11], v[128:129], v[144:145]
	v_add_f64_e32 v[128:129], v[130:131], v[140:141]
	s_delay_alu instid0(VALU_DEP_4) | instskip(NEXT) | instid1(VALU_DEP_4)
	v_fmac_f64_e32 v[136:137], v[6:7], v[12:13]
	v_fma_f64 v[4:5], v[4:5], v[12:13], -v[14:15]
	s_delay_alu instid0(VALU_DEP_4) | instskip(NEXT) | instid1(VALU_DEP_4)
	v_add_f64_e32 v[6:7], v[10:11], v[8:9]
	v_add_f64_e32 v[8:9], v[128:129], v[138:139]
	s_delay_alu instid0(VALU_DEP_2) | instskip(NEXT) | instid1(VALU_DEP_2)
	v_add_f64_e32 v[4:5], v[6:7], v[4:5]
	v_add_f64_e32 v[6:7], v[8:9], v[136:137]
	s_delay_alu instid0(VALU_DEP_2) | instskip(NEXT) | instid1(VALU_DEP_2)
	v_add_f64_e64 v[4:5], v[164:165], -v[4:5]
	v_add_f64_e64 v[6:7], v[166:167], -v[6:7]
	scratch_store_b128 off, v[4:7], off offset:240
	s_wait_xcnt 0x0
	v_cmpx_lt_u32_e32 14, v1
	s_cbranch_execz .LBB118_315
; %bb.314:
	scratch_load_b128 v[6:9], off, s57
	v_dual_mov_b32 v3, v2 :: v_dual_mov_b32 v4, v2
	v_mov_b32_e32 v5, v2
	scratch_store_b128 off, v[2:5], off offset:224
	s_wait_loadcnt 0x0
	ds_store_b128 v126, v[6:9]
.LBB118_315:
	s_wait_xcnt 0x0
	s_or_b32 exec_lo, exec_lo, s2
	s_wait_storecnt_dscnt 0x0
	s_barrier_signal -1
	s_barrier_wait -1
	s_clause 0x9
	scratch_load_b128 v[4:7], off, off offset:240
	scratch_load_b128 v[8:11], off, off offset:256
	;; [unrolled: 1-line block ×10, first 2 shown]
	ds_load_b128 v[156:159], v2 offset:1120
	ds_load_b128 v[164:167], v2 offset:1136
	s_clause 0x2
	scratch_load_b128 v[160:163], off, off offset:400
	scratch_load_b128 v[168:171], off, off offset:224
	;; [unrolled: 1-line block ×3, first 2 shown]
	s_mov_b32 s2, exec_lo
	s_wait_loadcnt_dscnt 0xc01
	v_mul_f64_e32 v[176:177], v[158:159], v[6:7]
	v_mul_f64_e32 v[180:181], v[156:157], v[6:7]
	s_wait_loadcnt_dscnt 0xb00
	v_mul_f64_e32 v[182:183], v[164:165], v[10:11]
	v_mul_f64_e32 v[10:11], v[166:167], v[10:11]
	s_delay_alu instid0(VALU_DEP_4) | instskip(NEXT) | instid1(VALU_DEP_4)
	v_fma_f64 v[184:185], v[156:157], v[4:5], -v[176:177]
	v_fmac_f64_e32 v[180:181], v[158:159], v[4:5]
	ds_load_b128 v[4:7], v2 offset:1152
	ds_load_b128 v[156:159], v2 offset:1168
	scratch_load_b128 v[176:179], off, off offset:432
	v_fmac_f64_e32 v[182:183], v[166:167], v[8:9]
	v_fma_f64 v[164:165], v[164:165], v[8:9], -v[10:11]
	scratch_load_b128 v[8:11], off, off offset:448
	s_wait_loadcnt_dscnt 0xc01
	v_mul_f64_e32 v[186:187], v[4:5], v[14:15]
	v_mul_f64_e32 v[14:15], v[6:7], v[14:15]
	v_add_f64_e32 v[166:167], 0, v[184:185]
	v_add_f64_e32 v[180:181], 0, v[180:181]
	s_wait_loadcnt_dscnt 0xb00
	v_mul_f64_e32 v[184:185], v[156:157], v[130:131]
	v_mul_f64_e32 v[130:131], v[158:159], v[130:131]
	v_fmac_f64_e32 v[186:187], v[6:7], v[12:13]
	v_fma_f64 v[188:189], v[4:5], v[12:13], -v[14:15]
	ds_load_b128 v[4:7], v2 offset:1184
	ds_load_b128 v[12:15], v2 offset:1200
	v_add_f64_e32 v[190:191], v[166:167], v[164:165]
	v_add_f64_e32 v[180:181], v[180:181], v[182:183]
	scratch_load_b128 v[164:167], off, off offset:464
	v_fmac_f64_e32 v[184:185], v[158:159], v[128:129]
	v_fma_f64 v[156:157], v[156:157], v[128:129], -v[130:131]
	scratch_load_b128 v[128:131], off, off offset:480
	s_wait_loadcnt_dscnt 0xc01
	v_mul_f64_e32 v[182:183], v[4:5], v[134:135]
	v_mul_f64_e32 v[134:135], v[6:7], v[134:135]
	v_add_f64_e32 v[158:159], v[190:191], v[188:189]
	v_add_f64_e32 v[180:181], v[180:181], v[186:187]
	s_wait_loadcnt_dscnt 0xb00
	v_mul_f64_e32 v[186:187], v[12:13], v[138:139]
	v_mul_f64_e32 v[138:139], v[14:15], v[138:139]
	v_fmac_f64_e32 v[182:183], v[6:7], v[132:133]
	v_fma_f64 v[188:189], v[4:5], v[132:133], -v[134:135]
	ds_load_b128 v[4:7], v2 offset:1216
	ds_load_b128 v[132:135], v2 offset:1232
	v_add_f64_e32 v[190:191], v[158:159], v[156:157]
	v_add_f64_e32 v[180:181], v[180:181], v[184:185]
	scratch_load_b128 v[156:159], off, off offset:496
	s_wait_loadcnt_dscnt 0xb01
	v_mul_f64_e32 v[184:185], v[4:5], v[142:143]
	v_mul_f64_e32 v[142:143], v[6:7], v[142:143]
	v_fmac_f64_e32 v[186:187], v[14:15], v[136:137]
	v_fma_f64 v[136:137], v[12:13], v[136:137], -v[138:139]
	scratch_load_b128 v[12:15], off, off offset:512
	v_add_f64_e32 v[138:139], v[190:191], v[188:189]
	v_add_f64_e32 v[180:181], v[180:181], v[182:183]
	s_wait_loadcnt_dscnt 0xb00
	v_mul_f64_e32 v[182:183], v[132:133], v[146:147]
	v_mul_f64_e32 v[146:147], v[134:135], v[146:147]
	v_fmac_f64_e32 v[184:185], v[6:7], v[140:141]
	v_fma_f64 v[188:189], v[4:5], v[140:141], -v[142:143]
	v_add_f64_e32 v[190:191], v[138:139], v[136:137]
	v_add_f64_e32 v[180:181], v[180:181], v[186:187]
	ds_load_b128 v[4:7], v2 offset:1248
	ds_load_b128 v[136:139], v2 offset:1264
	scratch_load_b128 v[140:143], off, off offset:528
	v_fmac_f64_e32 v[182:183], v[134:135], v[144:145]
	v_fma_f64 v[144:145], v[132:133], v[144:145], -v[146:147]
	scratch_load_b128 v[132:135], off, off offset:544
	s_wait_loadcnt_dscnt 0xc01
	v_mul_f64_e32 v[186:187], v[4:5], v[150:151]
	v_mul_f64_e32 v[150:151], v[6:7], v[150:151]
	v_add_f64_e32 v[146:147], v[190:191], v[188:189]
	v_add_f64_e32 v[180:181], v[180:181], v[184:185]
	s_wait_loadcnt_dscnt 0xb00
	v_mul_f64_e32 v[184:185], v[136:137], v[154:155]
	v_mul_f64_e32 v[154:155], v[138:139], v[154:155]
	v_fmac_f64_e32 v[186:187], v[6:7], v[148:149]
	v_fma_f64 v[188:189], v[4:5], v[148:149], -v[150:151]
	v_add_f64_e32 v[190:191], v[146:147], v[144:145]
	v_add_f64_e32 v[180:181], v[180:181], v[182:183]
	ds_load_b128 v[4:7], v2 offset:1280
	ds_load_b128 v[144:147], v2 offset:1296
	scratch_load_b128 v[148:151], off, off offset:560
	v_fmac_f64_e32 v[184:185], v[138:139], v[152:153]
	v_fma_f64 v[152:153], v[136:137], v[152:153], -v[154:155]
	scratch_load_b128 v[136:139], off, off offset:576
	s_wait_loadcnt_dscnt 0xc01
	v_mul_f64_e32 v[182:183], v[4:5], v[162:163]
	v_mul_f64_e32 v[162:163], v[6:7], v[162:163]
	;; [unrolled: 18-line block ×5, first 2 shown]
	v_add_f64_e32 v[174:175], v[190:191], v[188:189]
	v_add_f64_e32 v[180:181], v[180:181], v[186:187]
	s_wait_loadcnt_dscnt 0xa00
	v_mul_f64_e32 v[186:187], v[152:153], v[14:15]
	v_mul_f64_e32 v[14:15], v[154:155], v[14:15]
	v_fmac_f64_e32 v[182:183], v[6:7], v[156:157]
	v_fma_f64 v[188:189], v[4:5], v[156:157], -v[158:159]
	ds_load_b128 v[4:7], v2 offset:1408
	ds_load_b128 v[156:159], v2 offset:1424
	v_add_f64_e32 v[190:191], v[174:175], v[172:173]
	v_add_f64_e32 v[180:181], v[180:181], v[184:185]
	scratch_load_b128 v[172:175], off, off offset:688
	v_fmac_f64_e32 v[186:187], v[154:155], v[12:13]
	v_fma_f64 v[152:153], v[152:153], v[12:13], -v[14:15]
	scratch_load_b128 v[12:15], off, off offset:704
	s_wait_loadcnt_dscnt 0xb01
	v_mul_f64_e32 v[184:185], v[4:5], v[142:143]
	v_mul_f64_e32 v[142:143], v[6:7], v[142:143]
	v_add_f64_e32 v[154:155], v[190:191], v[188:189]
	v_add_f64_e32 v[180:181], v[180:181], v[182:183]
	s_wait_loadcnt_dscnt 0xa00
	v_mul_f64_e32 v[182:183], v[156:157], v[134:135]
	v_mul_f64_e32 v[134:135], v[158:159], v[134:135]
	v_fmac_f64_e32 v[184:185], v[6:7], v[140:141]
	v_fma_f64 v[188:189], v[4:5], v[140:141], -v[142:143]
	ds_load_b128 v[4:7], v2 offset:1440
	ds_load_b128 v[140:143], v2 offset:1456
	v_add_f64_e32 v[190:191], v[154:155], v[152:153]
	v_add_f64_e32 v[180:181], v[180:181], v[186:187]
	scratch_load_b128 v[152:155], off, off offset:720
	s_wait_loadcnt_dscnt 0xa01
	v_mul_f64_e32 v[186:187], v[4:5], v[150:151]
	v_mul_f64_e32 v[150:151], v[6:7], v[150:151]
	v_fmac_f64_e32 v[182:183], v[158:159], v[132:133]
	v_fma_f64 v[156:157], v[156:157], v[132:133], -v[134:135]
	scratch_load_b128 v[132:135], off, off offset:736
	v_add_f64_e32 v[158:159], v[190:191], v[188:189]
	v_add_f64_e32 v[180:181], v[180:181], v[184:185]
	s_wait_loadcnt_dscnt 0xa00
	v_mul_f64_e32 v[184:185], v[140:141], v[138:139]
	v_mul_f64_e32 v[138:139], v[142:143], v[138:139]
	v_fmac_f64_e32 v[186:187], v[6:7], v[148:149]
	v_fma_f64 v[188:189], v[4:5], v[148:149], -v[150:151]
	ds_load_b128 v[4:7], v2 offset:1472
	ds_load_b128 v[148:151], v2 offset:1488
	v_add_f64_e32 v[190:191], v[158:159], v[156:157]
	v_add_f64_e32 v[180:181], v[180:181], v[182:183]
	scratch_load_b128 v[156:159], off, off offset:752
	s_wait_loadcnt_dscnt 0xa01
	v_mul_f64_e32 v[182:183], v[4:5], v[162:163]
	v_mul_f64_e32 v[162:163], v[6:7], v[162:163]
	v_fmac_f64_e32 v[184:185], v[142:143], v[136:137]
	v_fma_f64 v[140:141], v[140:141], v[136:137], -v[138:139]
	scratch_load_b128 v[136:139], off, off offset:768
	v_add_f64_e32 v[142:143], v[190:191], v[188:189]
	v_add_f64_e32 v[180:181], v[180:181], v[186:187]
	s_wait_loadcnt_dscnt 0xa00
	v_mul_f64_e32 v[186:187], v[148:149], v[146:147]
	v_mul_f64_e32 v[146:147], v[150:151], v[146:147]
	v_fmac_f64_e32 v[182:183], v[6:7], v[160:161]
	v_fma_f64 v[188:189], v[4:5], v[160:161], -v[162:163]
	v_add_f64_e32 v[190:191], v[142:143], v[140:141]
	v_add_f64_e32 v[180:181], v[180:181], v[184:185]
	ds_load_b128 v[4:7], v2 offset:1504
	ds_load_b128 v[140:143], v2 offset:1520
	scratch_load_b128 v[160:163], off, off offset:784
	v_fmac_f64_e32 v[186:187], v[150:151], v[144:145]
	v_fma_f64 v[148:149], v[148:149], v[144:145], -v[146:147]
	scratch_load_b128 v[144:147], off, off offset:800
	s_wait_loadcnt_dscnt 0xb01
	v_mul_f64_e32 v[184:185], v[4:5], v[178:179]
	v_mul_f64_e32 v[178:179], v[6:7], v[178:179]
	v_add_f64_e32 v[150:151], v[190:191], v[188:189]
	v_add_f64_e32 v[180:181], v[180:181], v[182:183]
	s_wait_loadcnt_dscnt 0xa00
	v_mul_f64_e32 v[182:183], v[140:141], v[10:11]
	v_mul_f64_e32 v[10:11], v[142:143], v[10:11]
	v_fmac_f64_e32 v[184:185], v[6:7], v[176:177]
	v_fma_f64 v[188:189], v[4:5], v[176:177], -v[178:179]
	v_add_f64_e32 v[190:191], v[150:151], v[148:149]
	v_add_f64_e32 v[180:181], v[180:181], v[186:187]
	ds_load_b128 v[4:7], v2 offset:1536
	ds_load_b128 v[148:151], v2 offset:1552
	scratch_load_b128 v[176:179], off, off offset:816
	v_fmac_f64_e32 v[182:183], v[142:143], v[8:9]
	v_fma_f64 v[140:141], v[140:141], v[8:9], -v[10:11]
	scratch_load_b128 v[8:11], off, off offset:832
	s_wait_loadcnt_dscnt 0xb01
	v_mul_f64_e32 v[186:187], v[4:5], v[166:167]
	v_mul_f64_e32 v[166:167], v[6:7], v[166:167]
	;; [unrolled: 18-line block ×3, first 2 shown]
	v_add_f64_e32 v[150:151], v[190:191], v[188:189]
	v_add_f64_e32 v[180:181], v[180:181], v[186:187]
	s_wait_loadcnt_dscnt 0xa00
	v_mul_f64_e32 v[186:187], v[140:141], v[14:15]
	v_mul_f64_e32 v[14:15], v[142:143], v[14:15]
	v_fmac_f64_e32 v[182:183], v[6:7], v[172:173]
	v_fma_f64 v[172:173], v[4:5], v[172:173], -v[174:175]
	v_add_f64_e32 v[174:175], v[150:151], v[148:149]
	v_add_f64_e32 v[180:181], v[180:181], v[184:185]
	ds_load_b128 v[4:7], v2 offset:1600
	ds_load_b128 v[148:151], v2 offset:1616
	v_fmac_f64_e32 v[186:187], v[142:143], v[12:13]
	v_fma_f64 v[12:13], v[140:141], v[12:13], -v[14:15]
	s_wait_loadcnt_dscnt 0x901
	v_mul_f64_e32 v[184:185], v[4:5], v[154:155]
	v_mul_f64_e32 v[154:155], v[6:7], v[154:155]
	s_wait_loadcnt_dscnt 0x800
	v_mul_f64_e32 v[142:143], v[148:149], v[134:135]
	v_mul_f64_e32 v[134:135], v[150:151], v[134:135]
	v_add_f64_e32 v[14:15], v[174:175], v[172:173]
	v_add_f64_e32 v[140:141], v[180:181], v[182:183]
	v_fmac_f64_e32 v[184:185], v[6:7], v[152:153]
	v_fma_f64 v[152:153], v[4:5], v[152:153], -v[154:155]
	v_fmac_f64_e32 v[142:143], v[150:151], v[132:133]
	v_fma_f64 v[132:133], v[148:149], v[132:133], -v[134:135]
	v_add_f64_e32 v[154:155], v[14:15], v[12:13]
	v_add_f64_e32 v[140:141], v[140:141], v[186:187]
	ds_load_b128 v[4:7], v2 offset:1632
	ds_load_b128 v[12:15], v2 offset:1648
	s_wait_loadcnt_dscnt 0x701
	v_mul_f64_e32 v[172:173], v[4:5], v[158:159]
	v_mul_f64_e32 v[158:159], v[6:7], v[158:159]
	s_wait_loadcnt_dscnt 0x600
	v_mul_f64_e32 v[148:149], v[12:13], v[138:139]
	v_mul_f64_e32 v[138:139], v[14:15], v[138:139]
	v_add_f64_e32 v[134:135], v[154:155], v[152:153]
	v_add_f64_e32 v[140:141], v[140:141], v[184:185]
	v_fmac_f64_e32 v[172:173], v[6:7], v[156:157]
	v_fma_f64 v[150:151], v[4:5], v[156:157], -v[158:159]
	v_fmac_f64_e32 v[148:149], v[14:15], v[136:137]
	v_fma_f64 v[12:13], v[12:13], v[136:137], -v[138:139]
	v_add_f64_e32 v[152:153], v[134:135], v[132:133]
	v_add_f64_e32 v[140:141], v[140:141], v[142:143]
	ds_load_b128 v[4:7], v2 offset:1664
	ds_load_b128 v[132:135], v2 offset:1680
	s_wait_loadcnt_dscnt 0x501
	v_mul_f64_e32 v[142:143], v[4:5], v[162:163]
	v_mul_f64_e32 v[154:155], v[6:7], v[162:163]
	s_wait_loadcnt_dscnt 0x400
	v_mul_f64_e32 v[138:139], v[132:133], v[146:147]
	v_add_f64_e32 v[14:15], v[152:153], v[150:151]
	v_add_f64_e32 v[136:137], v[140:141], v[172:173]
	v_mul_f64_e32 v[140:141], v[134:135], v[146:147]
	v_fmac_f64_e32 v[142:143], v[6:7], v[160:161]
	v_fma_f64 v[146:147], v[4:5], v[160:161], -v[154:155]
	v_fmac_f64_e32 v[138:139], v[134:135], v[144:145]
	v_add_f64_e32 v[150:151], v[14:15], v[12:13]
	v_add_f64_e32 v[136:137], v[136:137], v[148:149]
	ds_load_b128 v[4:7], v2 offset:1696
	ds_load_b128 v[12:15], v2 offset:1712
	v_fma_f64 v[132:133], v[132:133], v[144:145], -v[140:141]
	s_wait_loadcnt_dscnt 0x301
	v_mul_f64_e32 v[148:149], v[4:5], v[178:179]
	v_mul_f64_e32 v[152:153], v[6:7], v[178:179]
	s_wait_loadcnt_dscnt 0x200
	v_mul_f64_e32 v[140:141], v[12:13], v[10:11]
	v_mul_f64_e32 v[10:11], v[14:15], v[10:11]
	v_add_f64_e32 v[134:135], v[150:151], v[146:147]
	v_add_f64_e32 v[136:137], v[136:137], v[142:143]
	v_fmac_f64_e32 v[148:149], v[6:7], v[176:177]
	v_fma_f64 v[142:143], v[4:5], v[176:177], -v[152:153]
	v_fmac_f64_e32 v[140:141], v[14:15], v[8:9]
	v_fma_f64 v[8:9], v[12:13], v[8:9], -v[10:11]
	v_add_f64_e32 v[144:145], v[134:135], v[132:133]
	v_add_f64_e32 v[136:137], v[136:137], v[138:139]
	ds_load_b128 v[4:7], v2 offset:1728
	ds_load_b128 v[132:135], v2 offset:1744
	s_wait_loadcnt_dscnt 0x101
	v_mul_f64_e32 v[2:3], v[4:5], v[166:167]
	v_mul_f64_e32 v[138:139], v[6:7], v[166:167]
	s_wait_loadcnt_dscnt 0x0
	v_mul_f64_e32 v[14:15], v[132:133], v[130:131]
	v_mul_f64_e32 v[130:131], v[134:135], v[130:131]
	v_add_f64_e32 v[10:11], v[144:145], v[142:143]
	v_add_f64_e32 v[12:13], v[136:137], v[148:149]
	v_fmac_f64_e32 v[2:3], v[6:7], v[164:165]
	v_fma_f64 v[4:5], v[4:5], v[164:165], -v[138:139]
	v_fmac_f64_e32 v[14:15], v[134:135], v[128:129]
	v_add_f64_e32 v[6:7], v[10:11], v[8:9]
	v_add_f64_e32 v[8:9], v[12:13], v[140:141]
	v_fma_f64 v[10:11], v[132:133], v[128:129], -v[130:131]
	s_delay_alu instid0(VALU_DEP_3) | instskip(NEXT) | instid1(VALU_DEP_3)
	v_add_f64_e32 v[4:5], v[6:7], v[4:5]
	v_add_f64_e32 v[2:3], v[8:9], v[2:3]
	s_delay_alu instid0(VALU_DEP_2) | instskip(NEXT) | instid1(VALU_DEP_2)
	v_add_f64_e32 v[4:5], v[4:5], v[10:11]
	v_add_f64_e32 v[6:7], v[2:3], v[14:15]
	s_delay_alu instid0(VALU_DEP_2) | instskip(NEXT) | instid1(VALU_DEP_2)
	v_add_f64_e64 v[2:3], v[168:169], -v[4:5]
	v_add_f64_e64 v[4:5], v[170:171], -v[6:7]
	scratch_store_b128 off, v[2:5], off offset:224
	s_wait_xcnt 0x0
	v_cmpx_lt_u32_e32 13, v1
	s_cbranch_execz .LBB118_317
; %bb.316:
	scratch_load_b128 v[2:5], off, s58
	v_mov_b32_e32 v6, 0
	s_delay_alu instid0(VALU_DEP_1)
	v_dual_mov_b32 v7, v6 :: v_dual_mov_b32 v8, v6
	v_mov_b32_e32 v9, v6
	scratch_store_b128 off, v[6:9], off offset:208
	s_wait_loadcnt 0x0
	ds_store_b128 v126, v[2:5]
.LBB118_317:
	s_wait_xcnt 0x0
	s_or_b32 exec_lo, exec_lo, s2
	s_wait_storecnt_dscnt 0x0
	s_barrier_signal -1
	s_barrier_wait -1
	s_clause 0x9
	scratch_load_b128 v[4:7], off, off offset:224
	scratch_load_b128 v[8:11], off, off offset:240
	;; [unrolled: 1-line block ×10, first 2 shown]
	v_mov_b32_e32 v2, 0
	s_mov_b32 s2, exec_lo
	ds_load_b128 v[156:159], v2 offset:1104
	s_clause 0x2
	scratch_load_b128 v[160:163], off, off offset:384
	scratch_load_b128 v[164:167], off, off offset:208
	scratch_load_b128 v[172:175], off, off offset:400
	s_wait_loadcnt_dscnt 0xc00
	v_mul_f64_e32 v[176:177], v[158:159], v[6:7]
	v_mul_f64_e32 v[180:181], v[156:157], v[6:7]
	ds_load_b128 v[168:171], v2 offset:1120
	v_fma_f64 v[184:185], v[156:157], v[4:5], -v[176:177]
	v_fmac_f64_e32 v[180:181], v[158:159], v[4:5]
	ds_load_b128 v[4:7], v2 offset:1136
	s_wait_loadcnt_dscnt 0xb01
	v_mul_f64_e32 v[182:183], v[168:169], v[10:11]
	v_mul_f64_e32 v[10:11], v[170:171], v[10:11]
	scratch_load_b128 v[156:159], off, off offset:416
	ds_load_b128 v[176:179], v2 offset:1152
	s_wait_loadcnt_dscnt 0xb01
	v_mul_f64_e32 v[186:187], v[4:5], v[14:15]
	v_mul_f64_e32 v[14:15], v[6:7], v[14:15]
	v_add_f64_e32 v[180:181], 0, v[180:181]
	v_fmac_f64_e32 v[182:183], v[170:171], v[8:9]
	v_fma_f64 v[168:169], v[168:169], v[8:9], -v[10:11]
	v_add_f64_e32 v[170:171], 0, v[184:185]
	scratch_load_b128 v[8:11], off, off offset:432
	v_fmac_f64_e32 v[186:187], v[6:7], v[12:13]
	v_fma_f64 v[188:189], v[4:5], v[12:13], -v[14:15]
	ds_load_b128 v[4:7], v2 offset:1168
	s_wait_loadcnt_dscnt 0xb01
	v_mul_f64_e32 v[184:185], v[176:177], v[130:131]
	v_mul_f64_e32 v[130:131], v[178:179], v[130:131]
	scratch_load_b128 v[12:15], off, off offset:448
	v_add_f64_e32 v[180:181], v[180:181], v[182:183]
	v_add_f64_e32 v[190:191], v[170:171], v[168:169]
	ds_load_b128 v[168:171], v2 offset:1184
	s_wait_loadcnt_dscnt 0xb01
	v_mul_f64_e32 v[182:183], v[4:5], v[134:135]
	v_mul_f64_e32 v[134:135], v[6:7], v[134:135]
	v_fmac_f64_e32 v[184:185], v[178:179], v[128:129]
	v_fma_f64 v[176:177], v[176:177], v[128:129], -v[130:131]
	scratch_load_b128 v[128:131], off, off offset:464
	v_add_f64_e32 v[180:181], v[180:181], v[186:187]
	v_add_f64_e32 v[178:179], v[190:191], v[188:189]
	v_fmac_f64_e32 v[182:183], v[6:7], v[132:133]
	v_fma_f64 v[188:189], v[4:5], v[132:133], -v[134:135]
	ds_load_b128 v[4:7], v2 offset:1200
	s_wait_loadcnt_dscnt 0xb01
	v_mul_f64_e32 v[186:187], v[168:169], v[138:139]
	v_mul_f64_e32 v[138:139], v[170:171], v[138:139]
	scratch_load_b128 v[132:135], off, off offset:480
	v_add_f64_e32 v[180:181], v[180:181], v[184:185]
	s_wait_loadcnt_dscnt 0xb00
	v_mul_f64_e32 v[184:185], v[4:5], v[142:143]
	v_add_f64_e32 v[190:191], v[178:179], v[176:177]
	v_mul_f64_e32 v[142:143], v[6:7], v[142:143]
	ds_load_b128 v[176:179], v2 offset:1216
	v_fmac_f64_e32 v[186:187], v[170:171], v[136:137]
	v_fma_f64 v[168:169], v[168:169], v[136:137], -v[138:139]
	scratch_load_b128 v[136:139], off, off offset:496
	v_add_f64_e32 v[180:181], v[180:181], v[182:183]
	v_fmac_f64_e32 v[184:185], v[6:7], v[140:141]
	v_add_f64_e32 v[170:171], v[190:191], v[188:189]
	v_fma_f64 v[188:189], v[4:5], v[140:141], -v[142:143]
	ds_load_b128 v[4:7], v2 offset:1232
	s_wait_loadcnt_dscnt 0xb01
	v_mul_f64_e32 v[182:183], v[176:177], v[146:147]
	v_mul_f64_e32 v[146:147], v[178:179], v[146:147]
	scratch_load_b128 v[140:143], off, off offset:512
	v_add_f64_e32 v[180:181], v[180:181], v[186:187]
	s_wait_loadcnt_dscnt 0xb00
	v_mul_f64_e32 v[186:187], v[4:5], v[150:151]
	v_add_f64_e32 v[190:191], v[170:171], v[168:169]
	v_mul_f64_e32 v[150:151], v[6:7], v[150:151]
	ds_load_b128 v[168:171], v2 offset:1248
	v_fmac_f64_e32 v[182:183], v[178:179], v[144:145]
	v_fma_f64 v[176:177], v[176:177], v[144:145], -v[146:147]
	scratch_load_b128 v[144:147], off, off offset:528
	v_add_f64_e32 v[180:181], v[180:181], v[184:185]
	v_fmac_f64_e32 v[186:187], v[6:7], v[148:149]
	v_add_f64_e32 v[178:179], v[190:191], v[188:189]
	;; [unrolled: 18-line block ×3, first 2 shown]
	v_fma_f64 v[188:189], v[4:5], v[160:161], -v[162:163]
	ds_load_b128 v[4:7], v2 offset:1296
	s_wait_loadcnt_dscnt 0xa01
	v_mul_f64_e32 v[186:187], v[176:177], v[174:175]
	v_mul_f64_e32 v[174:175], v[178:179], v[174:175]
	scratch_load_b128 v[160:163], off, off offset:576
	v_add_f64_e32 v[180:181], v[180:181], v[184:185]
	v_add_f64_e32 v[190:191], v[170:171], v[168:169]
	s_wait_loadcnt_dscnt 0xa00
	v_mul_f64_e32 v[184:185], v[4:5], v[158:159]
	v_mul_f64_e32 v[158:159], v[6:7], v[158:159]
	v_fmac_f64_e32 v[186:187], v[178:179], v[172:173]
	v_fma_f64 v[176:177], v[176:177], v[172:173], -v[174:175]
	ds_load_b128 v[168:171], v2 offset:1312
	scratch_load_b128 v[172:175], off, off offset:592
	v_add_f64_e32 v[180:181], v[180:181], v[182:183]
	v_add_f64_e32 v[178:179], v[190:191], v[188:189]
	v_fmac_f64_e32 v[184:185], v[6:7], v[156:157]
	v_fma_f64 v[188:189], v[4:5], v[156:157], -v[158:159]
	ds_load_b128 v[4:7], v2 offset:1328
	s_wait_loadcnt_dscnt 0xa01
	v_mul_f64_e32 v[182:183], v[168:169], v[10:11]
	v_mul_f64_e32 v[10:11], v[170:171], v[10:11]
	scratch_load_b128 v[156:159], off, off offset:608
	v_add_f64_e32 v[180:181], v[180:181], v[186:187]
	s_wait_loadcnt_dscnt 0xa00
	v_mul_f64_e32 v[186:187], v[4:5], v[14:15]
	v_add_f64_e32 v[190:191], v[178:179], v[176:177]
	v_mul_f64_e32 v[14:15], v[6:7], v[14:15]
	ds_load_b128 v[176:179], v2 offset:1344
	v_fmac_f64_e32 v[182:183], v[170:171], v[8:9]
	v_fma_f64 v[168:169], v[168:169], v[8:9], -v[10:11]
	scratch_load_b128 v[8:11], off, off offset:624
	v_add_f64_e32 v[180:181], v[180:181], v[184:185]
	v_fmac_f64_e32 v[186:187], v[6:7], v[12:13]
	v_add_f64_e32 v[170:171], v[190:191], v[188:189]
	v_fma_f64 v[188:189], v[4:5], v[12:13], -v[14:15]
	ds_load_b128 v[4:7], v2 offset:1360
	s_wait_loadcnt_dscnt 0xa01
	v_mul_f64_e32 v[184:185], v[176:177], v[130:131]
	v_mul_f64_e32 v[130:131], v[178:179], v[130:131]
	scratch_load_b128 v[12:15], off, off offset:640
	v_add_f64_e32 v[180:181], v[180:181], v[182:183]
	s_wait_loadcnt_dscnt 0xa00
	v_mul_f64_e32 v[182:183], v[4:5], v[134:135]
	v_add_f64_e32 v[190:191], v[170:171], v[168:169]
	v_mul_f64_e32 v[134:135], v[6:7], v[134:135]
	ds_load_b128 v[168:171], v2 offset:1376
	v_fmac_f64_e32 v[184:185], v[178:179], v[128:129]
	v_fma_f64 v[176:177], v[176:177], v[128:129], -v[130:131]
	scratch_load_b128 v[128:131], off, off offset:656
	v_add_f64_e32 v[180:181], v[180:181], v[186:187]
	v_fmac_f64_e32 v[182:183], v[6:7], v[132:133]
	v_add_f64_e32 v[178:179], v[190:191], v[188:189]
	;; [unrolled: 18-line block ×8, first 2 shown]
	v_fma_f64 v[188:189], v[4:5], v[132:133], -v[134:135]
	ds_load_b128 v[4:7], v2 offset:1584
	s_wait_loadcnt_dscnt 0xa01
	v_mul_f64_e32 v[186:187], v[168:169], v[138:139]
	v_mul_f64_e32 v[138:139], v[170:171], v[138:139]
	scratch_load_b128 v[132:135], off, off offset:864
	v_add_f64_e32 v[180:181], v[180:181], v[184:185]
	s_wait_loadcnt_dscnt 0xa00
	v_mul_f64_e32 v[184:185], v[4:5], v[142:143]
	v_add_f64_e32 v[190:191], v[178:179], v[176:177]
	v_mul_f64_e32 v[142:143], v[6:7], v[142:143]
	ds_load_b128 v[176:179], v2 offset:1600
	v_fmac_f64_e32 v[186:187], v[170:171], v[136:137]
	v_fma_f64 v[136:137], v[168:169], v[136:137], -v[138:139]
	s_wait_loadcnt_dscnt 0x900
	v_mul_f64_e32 v[170:171], v[176:177], v[146:147]
	v_mul_f64_e32 v[146:147], v[178:179], v[146:147]
	v_add_f64_e32 v[168:169], v[180:181], v[182:183]
	v_fmac_f64_e32 v[184:185], v[6:7], v[140:141]
	v_add_f64_e32 v[138:139], v[190:191], v[188:189]
	v_fma_f64 v[140:141], v[4:5], v[140:141], -v[142:143]
	v_fmac_f64_e32 v[170:171], v[178:179], v[144:145]
	v_fma_f64 v[144:145], v[176:177], v[144:145], -v[146:147]
	v_add_f64_e32 v[168:169], v[168:169], v[186:187]
	v_add_f64_e32 v[142:143], v[138:139], v[136:137]
	ds_load_b128 v[4:7], v2 offset:1616
	ds_load_b128 v[136:139], v2 offset:1632
	s_wait_loadcnt_dscnt 0x801
	v_mul_f64_e32 v[180:181], v[4:5], v[150:151]
	v_mul_f64_e32 v[150:151], v[6:7], v[150:151]
	s_wait_loadcnt_dscnt 0x700
	v_mul_f64_e32 v[146:147], v[136:137], v[154:155]
	v_mul_f64_e32 v[154:155], v[138:139], v[154:155]
	v_add_f64_e32 v[140:141], v[142:143], v[140:141]
	v_add_f64_e32 v[142:143], v[168:169], v[184:185]
	v_fmac_f64_e32 v[180:181], v[6:7], v[148:149]
	v_fma_f64 v[148:149], v[4:5], v[148:149], -v[150:151]
	v_fmac_f64_e32 v[146:147], v[138:139], v[152:153]
	v_fma_f64 v[136:137], v[136:137], v[152:153], -v[154:155]
	v_add_f64_e32 v[144:145], v[140:141], v[144:145]
	v_add_f64_e32 v[150:151], v[142:143], v[170:171]
	ds_load_b128 v[4:7], v2 offset:1648
	ds_load_b128 v[140:143], v2 offset:1664
	s_wait_loadcnt_dscnt 0x601
	v_mul_f64_e32 v[168:169], v[4:5], v[162:163]
	v_mul_f64_e32 v[162:163], v[6:7], v[162:163]
	v_add_f64_e32 v[138:139], v[144:145], v[148:149]
	v_add_f64_e32 v[144:145], v[150:151], v[180:181]
	s_wait_loadcnt_dscnt 0x500
	v_mul_f64_e32 v[148:149], v[140:141], v[174:175]
	v_mul_f64_e32 v[150:151], v[142:143], v[174:175]
	v_fmac_f64_e32 v[168:169], v[6:7], v[160:161]
	v_fma_f64 v[152:153], v[4:5], v[160:161], -v[162:163]
	v_add_f64_e32 v[154:155], v[138:139], v[136:137]
	v_add_f64_e32 v[144:145], v[144:145], v[146:147]
	ds_load_b128 v[4:7], v2 offset:1680
	ds_load_b128 v[136:139], v2 offset:1696
	v_fmac_f64_e32 v[148:149], v[142:143], v[172:173]
	v_fma_f64 v[140:141], v[140:141], v[172:173], -v[150:151]
	s_wait_loadcnt_dscnt 0x401
	v_mul_f64_e32 v[146:147], v[4:5], v[158:159]
	v_mul_f64_e32 v[158:159], v[6:7], v[158:159]
	s_wait_loadcnt_dscnt 0x300
	v_mul_f64_e32 v[150:151], v[136:137], v[10:11]
	v_mul_f64_e32 v[10:11], v[138:139], v[10:11]
	v_add_f64_e32 v[142:143], v[154:155], v[152:153]
	v_add_f64_e32 v[144:145], v[144:145], v[168:169]
	v_fmac_f64_e32 v[146:147], v[6:7], v[156:157]
	v_fma_f64 v[152:153], v[4:5], v[156:157], -v[158:159]
	v_fmac_f64_e32 v[150:151], v[138:139], v[8:9]
	v_fma_f64 v[8:9], v[136:137], v[8:9], -v[10:11]
	v_add_f64_e32 v[154:155], v[142:143], v[140:141]
	v_add_f64_e32 v[144:145], v[144:145], v[148:149]
	ds_load_b128 v[4:7], v2 offset:1712
	ds_load_b128 v[140:143], v2 offset:1728
	s_wait_loadcnt_dscnt 0x201
	v_mul_f64_e32 v[148:149], v[4:5], v[14:15]
	v_mul_f64_e32 v[14:15], v[6:7], v[14:15]
	s_wait_loadcnt_dscnt 0x100
	v_mul_f64_e32 v[138:139], v[140:141], v[130:131]
	v_mul_f64_e32 v[130:131], v[142:143], v[130:131]
	v_add_f64_e32 v[10:11], v[154:155], v[152:153]
	v_add_f64_e32 v[136:137], v[144:145], v[146:147]
	v_fmac_f64_e32 v[148:149], v[6:7], v[12:13]
	v_fma_f64 v[12:13], v[4:5], v[12:13], -v[14:15]
	ds_load_b128 v[4:7], v2 offset:1744
	v_fmac_f64_e32 v[138:139], v[142:143], v[128:129]
	v_fma_f64 v[128:129], v[140:141], v[128:129], -v[130:131]
	v_add_f64_e32 v[8:9], v[10:11], v[8:9]
	v_add_f64_e32 v[10:11], v[136:137], v[150:151]
	s_wait_loadcnt_dscnt 0x0
	v_mul_f64_e32 v[14:15], v[4:5], v[134:135]
	v_mul_f64_e32 v[134:135], v[6:7], v[134:135]
	s_delay_alu instid0(VALU_DEP_4) | instskip(NEXT) | instid1(VALU_DEP_4)
	v_add_f64_e32 v[8:9], v[8:9], v[12:13]
	v_add_f64_e32 v[10:11], v[10:11], v[148:149]
	s_delay_alu instid0(VALU_DEP_4) | instskip(NEXT) | instid1(VALU_DEP_4)
	v_fmac_f64_e32 v[14:15], v[6:7], v[132:133]
	v_fma_f64 v[4:5], v[4:5], v[132:133], -v[134:135]
	s_delay_alu instid0(VALU_DEP_4) | instskip(NEXT) | instid1(VALU_DEP_4)
	v_add_f64_e32 v[6:7], v[8:9], v[128:129]
	v_add_f64_e32 v[8:9], v[10:11], v[138:139]
	s_delay_alu instid0(VALU_DEP_2) | instskip(NEXT) | instid1(VALU_DEP_2)
	v_add_f64_e32 v[4:5], v[6:7], v[4:5]
	v_add_f64_e32 v[6:7], v[8:9], v[14:15]
	s_delay_alu instid0(VALU_DEP_2) | instskip(NEXT) | instid1(VALU_DEP_2)
	v_add_f64_e64 v[4:5], v[164:165], -v[4:5]
	v_add_f64_e64 v[6:7], v[166:167], -v[6:7]
	scratch_store_b128 off, v[4:7], off offset:208
	s_wait_xcnt 0x0
	v_cmpx_lt_u32_e32 12, v1
	s_cbranch_execz .LBB118_319
; %bb.318:
	scratch_load_b128 v[6:9], off, s59
	v_dual_mov_b32 v3, v2 :: v_dual_mov_b32 v4, v2
	v_mov_b32_e32 v5, v2
	scratch_store_b128 off, v[2:5], off offset:192
	s_wait_loadcnt 0x0
	ds_store_b128 v126, v[6:9]
.LBB118_319:
	s_wait_xcnt 0x0
	s_or_b32 exec_lo, exec_lo, s2
	s_wait_storecnt_dscnt 0x0
	s_barrier_signal -1
	s_barrier_wait -1
	s_clause 0x9
	scratch_load_b128 v[4:7], off, off offset:208
	scratch_load_b128 v[8:11], off, off offset:224
	;; [unrolled: 1-line block ×10, first 2 shown]
	ds_load_b128 v[156:159], v2 offset:1088
	ds_load_b128 v[164:167], v2 offset:1104
	s_clause 0x2
	scratch_load_b128 v[160:163], off, off offset:368
	scratch_load_b128 v[168:171], off, off offset:192
	;; [unrolled: 1-line block ×3, first 2 shown]
	s_mov_b32 s2, exec_lo
	s_wait_loadcnt_dscnt 0xc01
	v_mul_f64_e32 v[176:177], v[158:159], v[6:7]
	v_mul_f64_e32 v[180:181], v[156:157], v[6:7]
	s_wait_loadcnt_dscnt 0xb00
	v_mul_f64_e32 v[182:183], v[164:165], v[10:11]
	v_mul_f64_e32 v[10:11], v[166:167], v[10:11]
	s_delay_alu instid0(VALU_DEP_4) | instskip(NEXT) | instid1(VALU_DEP_4)
	v_fma_f64 v[184:185], v[156:157], v[4:5], -v[176:177]
	v_fmac_f64_e32 v[180:181], v[158:159], v[4:5]
	ds_load_b128 v[4:7], v2 offset:1120
	ds_load_b128 v[156:159], v2 offset:1136
	scratch_load_b128 v[176:179], off, off offset:400
	v_fmac_f64_e32 v[182:183], v[166:167], v[8:9]
	v_fma_f64 v[164:165], v[164:165], v[8:9], -v[10:11]
	scratch_load_b128 v[8:11], off, off offset:416
	s_wait_loadcnt_dscnt 0xc01
	v_mul_f64_e32 v[186:187], v[4:5], v[14:15]
	v_mul_f64_e32 v[14:15], v[6:7], v[14:15]
	v_add_f64_e32 v[166:167], 0, v[184:185]
	v_add_f64_e32 v[180:181], 0, v[180:181]
	s_wait_loadcnt_dscnt 0xb00
	v_mul_f64_e32 v[184:185], v[156:157], v[130:131]
	v_mul_f64_e32 v[130:131], v[158:159], v[130:131]
	v_fmac_f64_e32 v[186:187], v[6:7], v[12:13]
	v_fma_f64 v[188:189], v[4:5], v[12:13], -v[14:15]
	ds_load_b128 v[4:7], v2 offset:1152
	ds_load_b128 v[12:15], v2 offset:1168
	v_add_f64_e32 v[190:191], v[166:167], v[164:165]
	v_add_f64_e32 v[180:181], v[180:181], v[182:183]
	scratch_load_b128 v[164:167], off, off offset:432
	v_fmac_f64_e32 v[184:185], v[158:159], v[128:129]
	v_fma_f64 v[156:157], v[156:157], v[128:129], -v[130:131]
	scratch_load_b128 v[128:131], off, off offset:448
	s_wait_loadcnt_dscnt 0xc01
	v_mul_f64_e32 v[182:183], v[4:5], v[134:135]
	v_mul_f64_e32 v[134:135], v[6:7], v[134:135]
	v_add_f64_e32 v[158:159], v[190:191], v[188:189]
	v_add_f64_e32 v[180:181], v[180:181], v[186:187]
	s_wait_loadcnt_dscnt 0xb00
	v_mul_f64_e32 v[186:187], v[12:13], v[138:139]
	v_mul_f64_e32 v[138:139], v[14:15], v[138:139]
	v_fmac_f64_e32 v[182:183], v[6:7], v[132:133]
	v_fma_f64 v[188:189], v[4:5], v[132:133], -v[134:135]
	ds_load_b128 v[4:7], v2 offset:1184
	ds_load_b128 v[132:135], v2 offset:1200
	v_add_f64_e32 v[190:191], v[158:159], v[156:157]
	v_add_f64_e32 v[180:181], v[180:181], v[184:185]
	scratch_load_b128 v[156:159], off, off offset:464
	s_wait_loadcnt_dscnt 0xb01
	v_mul_f64_e32 v[184:185], v[4:5], v[142:143]
	v_mul_f64_e32 v[142:143], v[6:7], v[142:143]
	v_fmac_f64_e32 v[186:187], v[14:15], v[136:137]
	v_fma_f64 v[136:137], v[12:13], v[136:137], -v[138:139]
	scratch_load_b128 v[12:15], off, off offset:480
	v_add_f64_e32 v[138:139], v[190:191], v[188:189]
	v_add_f64_e32 v[180:181], v[180:181], v[182:183]
	s_wait_loadcnt_dscnt 0xb00
	v_mul_f64_e32 v[182:183], v[132:133], v[146:147]
	v_mul_f64_e32 v[146:147], v[134:135], v[146:147]
	v_fmac_f64_e32 v[184:185], v[6:7], v[140:141]
	v_fma_f64 v[188:189], v[4:5], v[140:141], -v[142:143]
	v_add_f64_e32 v[190:191], v[138:139], v[136:137]
	v_add_f64_e32 v[180:181], v[180:181], v[186:187]
	ds_load_b128 v[4:7], v2 offset:1216
	ds_load_b128 v[136:139], v2 offset:1232
	scratch_load_b128 v[140:143], off, off offset:496
	v_fmac_f64_e32 v[182:183], v[134:135], v[144:145]
	v_fma_f64 v[144:145], v[132:133], v[144:145], -v[146:147]
	scratch_load_b128 v[132:135], off, off offset:512
	s_wait_loadcnt_dscnt 0xc01
	v_mul_f64_e32 v[186:187], v[4:5], v[150:151]
	v_mul_f64_e32 v[150:151], v[6:7], v[150:151]
	v_add_f64_e32 v[146:147], v[190:191], v[188:189]
	v_add_f64_e32 v[180:181], v[180:181], v[184:185]
	s_wait_loadcnt_dscnt 0xb00
	v_mul_f64_e32 v[184:185], v[136:137], v[154:155]
	v_mul_f64_e32 v[154:155], v[138:139], v[154:155]
	v_fmac_f64_e32 v[186:187], v[6:7], v[148:149]
	v_fma_f64 v[188:189], v[4:5], v[148:149], -v[150:151]
	v_add_f64_e32 v[190:191], v[146:147], v[144:145]
	v_add_f64_e32 v[180:181], v[180:181], v[182:183]
	ds_load_b128 v[4:7], v2 offset:1248
	ds_load_b128 v[144:147], v2 offset:1264
	scratch_load_b128 v[148:151], off, off offset:528
	v_fmac_f64_e32 v[184:185], v[138:139], v[152:153]
	v_fma_f64 v[152:153], v[136:137], v[152:153], -v[154:155]
	scratch_load_b128 v[136:139], off, off offset:544
	s_wait_loadcnt_dscnt 0xc01
	v_mul_f64_e32 v[182:183], v[4:5], v[162:163]
	v_mul_f64_e32 v[162:163], v[6:7], v[162:163]
	;; [unrolled: 18-line block ×5, first 2 shown]
	v_add_f64_e32 v[174:175], v[190:191], v[188:189]
	v_add_f64_e32 v[180:181], v[180:181], v[186:187]
	s_wait_loadcnt_dscnt 0xa00
	v_mul_f64_e32 v[186:187], v[152:153], v[14:15]
	v_mul_f64_e32 v[14:15], v[154:155], v[14:15]
	v_fmac_f64_e32 v[182:183], v[6:7], v[156:157]
	v_fma_f64 v[188:189], v[4:5], v[156:157], -v[158:159]
	ds_load_b128 v[4:7], v2 offset:1376
	ds_load_b128 v[156:159], v2 offset:1392
	v_add_f64_e32 v[190:191], v[174:175], v[172:173]
	v_add_f64_e32 v[180:181], v[180:181], v[184:185]
	scratch_load_b128 v[172:175], off, off offset:656
	v_fmac_f64_e32 v[186:187], v[154:155], v[12:13]
	v_fma_f64 v[152:153], v[152:153], v[12:13], -v[14:15]
	scratch_load_b128 v[12:15], off, off offset:672
	s_wait_loadcnt_dscnt 0xb01
	v_mul_f64_e32 v[184:185], v[4:5], v[142:143]
	v_mul_f64_e32 v[142:143], v[6:7], v[142:143]
	v_add_f64_e32 v[154:155], v[190:191], v[188:189]
	v_add_f64_e32 v[180:181], v[180:181], v[182:183]
	s_wait_loadcnt_dscnt 0xa00
	v_mul_f64_e32 v[182:183], v[156:157], v[134:135]
	v_mul_f64_e32 v[134:135], v[158:159], v[134:135]
	v_fmac_f64_e32 v[184:185], v[6:7], v[140:141]
	v_fma_f64 v[188:189], v[4:5], v[140:141], -v[142:143]
	ds_load_b128 v[4:7], v2 offset:1408
	ds_load_b128 v[140:143], v2 offset:1424
	v_add_f64_e32 v[190:191], v[154:155], v[152:153]
	v_add_f64_e32 v[180:181], v[180:181], v[186:187]
	scratch_load_b128 v[152:155], off, off offset:688
	s_wait_loadcnt_dscnt 0xa01
	v_mul_f64_e32 v[186:187], v[4:5], v[150:151]
	v_mul_f64_e32 v[150:151], v[6:7], v[150:151]
	v_fmac_f64_e32 v[182:183], v[158:159], v[132:133]
	v_fma_f64 v[156:157], v[156:157], v[132:133], -v[134:135]
	scratch_load_b128 v[132:135], off, off offset:704
	v_add_f64_e32 v[158:159], v[190:191], v[188:189]
	v_add_f64_e32 v[180:181], v[180:181], v[184:185]
	s_wait_loadcnt_dscnt 0xa00
	v_mul_f64_e32 v[184:185], v[140:141], v[138:139]
	v_mul_f64_e32 v[138:139], v[142:143], v[138:139]
	v_fmac_f64_e32 v[186:187], v[6:7], v[148:149]
	v_fma_f64 v[188:189], v[4:5], v[148:149], -v[150:151]
	ds_load_b128 v[4:7], v2 offset:1440
	ds_load_b128 v[148:151], v2 offset:1456
	v_add_f64_e32 v[190:191], v[158:159], v[156:157]
	v_add_f64_e32 v[180:181], v[180:181], v[182:183]
	scratch_load_b128 v[156:159], off, off offset:720
	s_wait_loadcnt_dscnt 0xa01
	v_mul_f64_e32 v[182:183], v[4:5], v[162:163]
	v_mul_f64_e32 v[162:163], v[6:7], v[162:163]
	v_fmac_f64_e32 v[184:185], v[142:143], v[136:137]
	v_fma_f64 v[140:141], v[140:141], v[136:137], -v[138:139]
	scratch_load_b128 v[136:139], off, off offset:736
	v_add_f64_e32 v[142:143], v[190:191], v[188:189]
	v_add_f64_e32 v[180:181], v[180:181], v[186:187]
	s_wait_loadcnt_dscnt 0xa00
	v_mul_f64_e32 v[186:187], v[148:149], v[146:147]
	v_mul_f64_e32 v[146:147], v[150:151], v[146:147]
	v_fmac_f64_e32 v[182:183], v[6:7], v[160:161]
	v_fma_f64 v[188:189], v[4:5], v[160:161], -v[162:163]
	v_add_f64_e32 v[190:191], v[142:143], v[140:141]
	v_add_f64_e32 v[180:181], v[180:181], v[184:185]
	ds_load_b128 v[4:7], v2 offset:1472
	ds_load_b128 v[140:143], v2 offset:1488
	scratch_load_b128 v[160:163], off, off offset:752
	v_fmac_f64_e32 v[186:187], v[150:151], v[144:145]
	v_fma_f64 v[148:149], v[148:149], v[144:145], -v[146:147]
	scratch_load_b128 v[144:147], off, off offset:768
	s_wait_loadcnt_dscnt 0xb01
	v_mul_f64_e32 v[184:185], v[4:5], v[178:179]
	v_mul_f64_e32 v[178:179], v[6:7], v[178:179]
	v_add_f64_e32 v[150:151], v[190:191], v[188:189]
	v_add_f64_e32 v[180:181], v[180:181], v[182:183]
	s_wait_loadcnt_dscnt 0xa00
	v_mul_f64_e32 v[182:183], v[140:141], v[10:11]
	v_mul_f64_e32 v[10:11], v[142:143], v[10:11]
	v_fmac_f64_e32 v[184:185], v[6:7], v[176:177]
	v_fma_f64 v[188:189], v[4:5], v[176:177], -v[178:179]
	v_add_f64_e32 v[190:191], v[150:151], v[148:149]
	v_add_f64_e32 v[180:181], v[180:181], v[186:187]
	ds_load_b128 v[4:7], v2 offset:1504
	ds_load_b128 v[148:151], v2 offset:1520
	scratch_load_b128 v[176:179], off, off offset:784
	v_fmac_f64_e32 v[182:183], v[142:143], v[8:9]
	v_fma_f64 v[140:141], v[140:141], v[8:9], -v[10:11]
	scratch_load_b128 v[8:11], off, off offset:800
	s_wait_loadcnt_dscnt 0xb01
	v_mul_f64_e32 v[186:187], v[4:5], v[166:167]
	v_mul_f64_e32 v[166:167], v[6:7], v[166:167]
	;; [unrolled: 18-line block ×4, first 2 shown]
	v_add_f64_e32 v[142:143], v[190:191], v[188:189]
	v_add_f64_e32 v[180:181], v[180:181], v[182:183]
	s_wait_loadcnt_dscnt 0xa00
	v_mul_f64_e32 v[182:183], v[148:149], v[134:135]
	v_mul_f64_e32 v[134:135], v[150:151], v[134:135]
	v_fmac_f64_e32 v[184:185], v[6:7], v[152:153]
	v_fma_f64 v[152:153], v[4:5], v[152:153], -v[154:155]
	v_add_f64_e32 v[154:155], v[142:143], v[140:141]
	v_add_f64_e32 v[180:181], v[180:181], v[186:187]
	ds_load_b128 v[4:7], v2 offset:1600
	ds_load_b128 v[140:143], v2 offset:1616
	v_fmac_f64_e32 v[182:183], v[150:151], v[132:133]
	v_fma_f64 v[132:133], v[148:149], v[132:133], -v[134:135]
	s_wait_loadcnt_dscnt 0x901
	v_mul_f64_e32 v[186:187], v[4:5], v[158:159]
	v_mul_f64_e32 v[158:159], v[6:7], v[158:159]
	s_wait_loadcnt_dscnt 0x800
	v_mul_f64_e32 v[150:151], v[140:141], v[138:139]
	v_mul_f64_e32 v[138:139], v[142:143], v[138:139]
	v_add_f64_e32 v[134:135], v[154:155], v[152:153]
	v_add_f64_e32 v[148:149], v[180:181], v[184:185]
	v_fmac_f64_e32 v[186:187], v[6:7], v[156:157]
	v_fma_f64 v[152:153], v[4:5], v[156:157], -v[158:159]
	v_fmac_f64_e32 v[150:151], v[142:143], v[136:137]
	v_fma_f64 v[136:137], v[140:141], v[136:137], -v[138:139]
	v_add_f64_e32 v[154:155], v[134:135], v[132:133]
	v_add_f64_e32 v[148:149], v[148:149], v[182:183]
	ds_load_b128 v[4:7], v2 offset:1632
	ds_load_b128 v[132:135], v2 offset:1648
	s_wait_loadcnt_dscnt 0x701
	v_mul_f64_e32 v[156:157], v[4:5], v[162:163]
	v_mul_f64_e32 v[158:159], v[6:7], v[162:163]
	s_wait_loadcnt_dscnt 0x600
	v_mul_f64_e32 v[142:143], v[132:133], v[146:147]
	v_mul_f64_e32 v[146:147], v[134:135], v[146:147]
	v_add_f64_e32 v[138:139], v[154:155], v[152:153]
	v_add_f64_e32 v[140:141], v[148:149], v[186:187]
	v_fmac_f64_e32 v[156:157], v[6:7], v[160:161]
	v_fma_f64 v[148:149], v[4:5], v[160:161], -v[158:159]
	v_fmac_f64_e32 v[142:143], v[134:135], v[144:145]
	v_fma_f64 v[132:133], v[132:133], v[144:145], -v[146:147]
	v_add_f64_e32 v[152:153], v[138:139], v[136:137]
	v_add_f64_e32 v[140:141], v[140:141], v[150:151]
	ds_load_b128 v[4:7], v2 offset:1664
	ds_load_b128 v[136:139], v2 offset:1680
	;; [unrolled: 16-line block ×4, first 2 shown]
	s_wait_loadcnt_dscnt 0x101
	v_mul_f64_e32 v[2:3], v[4:5], v[174:175]
	v_mul_f64_e32 v[144:145], v[6:7], v[174:175]
	s_wait_loadcnt_dscnt 0x0
	v_mul_f64_e32 v[134:135], v[8:9], v[14:15]
	v_mul_f64_e32 v[14:15], v[10:11], v[14:15]
	v_add_f64_e32 v[130:131], v[146:147], v[140:141]
	v_add_f64_e32 v[132:133], v[136:137], v[142:143]
	v_fmac_f64_e32 v[2:3], v[6:7], v[172:173]
	v_fma_f64 v[4:5], v[4:5], v[172:173], -v[144:145]
	v_fmac_f64_e32 v[134:135], v[10:11], v[12:13]
	v_fma_f64 v[8:9], v[8:9], v[12:13], -v[14:15]
	v_add_f64_e32 v[6:7], v[130:131], v[128:129]
	v_add_f64_e32 v[128:129], v[132:133], v[138:139]
	s_delay_alu instid0(VALU_DEP_2) | instskip(NEXT) | instid1(VALU_DEP_2)
	v_add_f64_e32 v[4:5], v[6:7], v[4:5]
	v_add_f64_e32 v[2:3], v[128:129], v[2:3]
	s_delay_alu instid0(VALU_DEP_2) | instskip(NEXT) | instid1(VALU_DEP_2)
	v_add_f64_e32 v[4:5], v[4:5], v[8:9]
	v_add_f64_e32 v[6:7], v[2:3], v[134:135]
	s_delay_alu instid0(VALU_DEP_2) | instskip(NEXT) | instid1(VALU_DEP_2)
	v_add_f64_e64 v[2:3], v[168:169], -v[4:5]
	v_add_f64_e64 v[4:5], v[170:171], -v[6:7]
	scratch_store_b128 off, v[2:5], off offset:192
	s_wait_xcnt 0x0
	v_cmpx_lt_u32_e32 11, v1
	s_cbranch_execz .LBB118_321
; %bb.320:
	scratch_load_b128 v[2:5], off, s60
	v_mov_b32_e32 v6, 0
	s_delay_alu instid0(VALU_DEP_1)
	v_dual_mov_b32 v7, v6 :: v_dual_mov_b32 v8, v6
	v_mov_b32_e32 v9, v6
	scratch_store_b128 off, v[6:9], off offset:176
	s_wait_loadcnt 0x0
	ds_store_b128 v126, v[2:5]
.LBB118_321:
	s_wait_xcnt 0x0
	s_or_b32 exec_lo, exec_lo, s2
	s_wait_storecnt_dscnt 0x0
	s_barrier_signal -1
	s_barrier_wait -1
	s_clause 0x9
	scratch_load_b128 v[4:7], off, off offset:192
	scratch_load_b128 v[8:11], off, off offset:208
	;; [unrolled: 1-line block ×10, first 2 shown]
	v_mov_b32_e32 v2, 0
	s_mov_b32 s2, exec_lo
	ds_load_b128 v[156:159], v2 offset:1072
	s_clause 0x2
	scratch_load_b128 v[160:163], off, off offset:352
	scratch_load_b128 v[164:167], off, off offset:176
	;; [unrolled: 1-line block ×3, first 2 shown]
	s_wait_loadcnt_dscnt 0xc00
	v_mul_f64_e32 v[176:177], v[158:159], v[6:7]
	v_mul_f64_e32 v[180:181], v[156:157], v[6:7]
	ds_load_b128 v[168:171], v2 offset:1088
	v_fma_f64 v[184:185], v[156:157], v[4:5], -v[176:177]
	v_fmac_f64_e32 v[180:181], v[158:159], v[4:5]
	ds_load_b128 v[4:7], v2 offset:1104
	s_wait_loadcnt_dscnt 0xb01
	v_mul_f64_e32 v[182:183], v[168:169], v[10:11]
	v_mul_f64_e32 v[10:11], v[170:171], v[10:11]
	scratch_load_b128 v[156:159], off, off offset:384
	ds_load_b128 v[176:179], v2 offset:1120
	s_wait_loadcnt_dscnt 0xb01
	v_mul_f64_e32 v[186:187], v[4:5], v[14:15]
	v_mul_f64_e32 v[14:15], v[6:7], v[14:15]
	v_add_f64_e32 v[180:181], 0, v[180:181]
	v_fmac_f64_e32 v[182:183], v[170:171], v[8:9]
	v_fma_f64 v[168:169], v[168:169], v[8:9], -v[10:11]
	v_add_f64_e32 v[170:171], 0, v[184:185]
	scratch_load_b128 v[8:11], off, off offset:400
	v_fmac_f64_e32 v[186:187], v[6:7], v[12:13]
	v_fma_f64 v[188:189], v[4:5], v[12:13], -v[14:15]
	ds_load_b128 v[4:7], v2 offset:1136
	s_wait_loadcnt_dscnt 0xb01
	v_mul_f64_e32 v[184:185], v[176:177], v[130:131]
	v_mul_f64_e32 v[130:131], v[178:179], v[130:131]
	scratch_load_b128 v[12:15], off, off offset:416
	v_add_f64_e32 v[180:181], v[180:181], v[182:183]
	v_add_f64_e32 v[190:191], v[170:171], v[168:169]
	ds_load_b128 v[168:171], v2 offset:1152
	s_wait_loadcnt_dscnt 0xb01
	v_mul_f64_e32 v[182:183], v[4:5], v[134:135]
	v_mul_f64_e32 v[134:135], v[6:7], v[134:135]
	v_fmac_f64_e32 v[184:185], v[178:179], v[128:129]
	v_fma_f64 v[176:177], v[176:177], v[128:129], -v[130:131]
	scratch_load_b128 v[128:131], off, off offset:432
	v_add_f64_e32 v[180:181], v[180:181], v[186:187]
	v_add_f64_e32 v[178:179], v[190:191], v[188:189]
	v_fmac_f64_e32 v[182:183], v[6:7], v[132:133]
	v_fma_f64 v[188:189], v[4:5], v[132:133], -v[134:135]
	ds_load_b128 v[4:7], v2 offset:1168
	s_wait_loadcnt_dscnt 0xb01
	v_mul_f64_e32 v[186:187], v[168:169], v[138:139]
	v_mul_f64_e32 v[138:139], v[170:171], v[138:139]
	scratch_load_b128 v[132:135], off, off offset:448
	v_add_f64_e32 v[180:181], v[180:181], v[184:185]
	s_wait_loadcnt_dscnt 0xb00
	v_mul_f64_e32 v[184:185], v[4:5], v[142:143]
	v_add_f64_e32 v[190:191], v[178:179], v[176:177]
	v_mul_f64_e32 v[142:143], v[6:7], v[142:143]
	ds_load_b128 v[176:179], v2 offset:1184
	v_fmac_f64_e32 v[186:187], v[170:171], v[136:137]
	v_fma_f64 v[168:169], v[168:169], v[136:137], -v[138:139]
	scratch_load_b128 v[136:139], off, off offset:464
	v_add_f64_e32 v[180:181], v[180:181], v[182:183]
	v_fmac_f64_e32 v[184:185], v[6:7], v[140:141]
	v_add_f64_e32 v[170:171], v[190:191], v[188:189]
	v_fma_f64 v[188:189], v[4:5], v[140:141], -v[142:143]
	ds_load_b128 v[4:7], v2 offset:1200
	s_wait_loadcnt_dscnt 0xb01
	v_mul_f64_e32 v[182:183], v[176:177], v[146:147]
	v_mul_f64_e32 v[146:147], v[178:179], v[146:147]
	scratch_load_b128 v[140:143], off, off offset:480
	v_add_f64_e32 v[180:181], v[180:181], v[186:187]
	s_wait_loadcnt_dscnt 0xb00
	v_mul_f64_e32 v[186:187], v[4:5], v[150:151]
	v_add_f64_e32 v[190:191], v[170:171], v[168:169]
	v_mul_f64_e32 v[150:151], v[6:7], v[150:151]
	ds_load_b128 v[168:171], v2 offset:1216
	v_fmac_f64_e32 v[182:183], v[178:179], v[144:145]
	v_fma_f64 v[176:177], v[176:177], v[144:145], -v[146:147]
	scratch_load_b128 v[144:147], off, off offset:496
	v_add_f64_e32 v[180:181], v[180:181], v[184:185]
	v_fmac_f64_e32 v[186:187], v[6:7], v[148:149]
	v_add_f64_e32 v[178:179], v[190:191], v[188:189]
	;; [unrolled: 18-line block ×3, first 2 shown]
	v_fma_f64 v[188:189], v[4:5], v[160:161], -v[162:163]
	ds_load_b128 v[4:7], v2 offset:1264
	s_wait_loadcnt_dscnt 0xa01
	v_mul_f64_e32 v[186:187], v[176:177], v[174:175]
	v_mul_f64_e32 v[174:175], v[178:179], v[174:175]
	scratch_load_b128 v[160:163], off, off offset:544
	v_add_f64_e32 v[180:181], v[180:181], v[184:185]
	v_add_f64_e32 v[190:191], v[170:171], v[168:169]
	s_wait_loadcnt_dscnt 0xa00
	v_mul_f64_e32 v[184:185], v[4:5], v[158:159]
	v_mul_f64_e32 v[158:159], v[6:7], v[158:159]
	v_fmac_f64_e32 v[186:187], v[178:179], v[172:173]
	v_fma_f64 v[176:177], v[176:177], v[172:173], -v[174:175]
	ds_load_b128 v[168:171], v2 offset:1280
	scratch_load_b128 v[172:175], off, off offset:560
	v_add_f64_e32 v[180:181], v[180:181], v[182:183]
	v_add_f64_e32 v[178:179], v[190:191], v[188:189]
	v_fmac_f64_e32 v[184:185], v[6:7], v[156:157]
	v_fma_f64 v[188:189], v[4:5], v[156:157], -v[158:159]
	ds_load_b128 v[4:7], v2 offset:1296
	s_wait_loadcnt_dscnt 0xa01
	v_mul_f64_e32 v[182:183], v[168:169], v[10:11]
	v_mul_f64_e32 v[10:11], v[170:171], v[10:11]
	scratch_load_b128 v[156:159], off, off offset:576
	v_add_f64_e32 v[180:181], v[180:181], v[186:187]
	s_wait_loadcnt_dscnt 0xa00
	v_mul_f64_e32 v[186:187], v[4:5], v[14:15]
	v_add_f64_e32 v[190:191], v[178:179], v[176:177]
	v_mul_f64_e32 v[14:15], v[6:7], v[14:15]
	ds_load_b128 v[176:179], v2 offset:1312
	v_fmac_f64_e32 v[182:183], v[170:171], v[8:9]
	v_fma_f64 v[168:169], v[168:169], v[8:9], -v[10:11]
	scratch_load_b128 v[8:11], off, off offset:592
	v_add_f64_e32 v[180:181], v[180:181], v[184:185]
	v_fmac_f64_e32 v[186:187], v[6:7], v[12:13]
	v_add_f64_e32 v[170:171], v[190:191], v[188:189]
	v_fma_f64 v[188:189], v[4:5], v[12:13], -v[14:15]
	ds_load_b128 v[4:7], v2 offset:1328
	s_wait_loadcnt_dscnt 0xa01
	v_mul_f64_e32 v[184:185], v[176:177], v[130:131]
	v_mul_f64_e32 v[130:131], v[178:179], v[130:131]
	scratch_load_b128 v[12:15], off, off offset:608
	v_add_f64_e32 v[180:181], v[180:181], v[182:183]
	s_wait_loadcnt_dscnt 0xa00
	v_mul_f64_e32 v[182:183], v[4:5], v[134:135]
	v_add_f64_e32 v[190:191], v[170:171], v[168:169]
	v_mul_f64_e32 v[134:135], v[6:7], v[134:135]
	ds_load_b128 v[168:171], v2 offset:1344
	v_fmac_f64_e32 v[184:185], v[178:179], v[128:129]
	v_fma_f64 v[176:177], v[176:177], v[128:129], -v[130:131]
	scratch_load_b128 v[128:131], off, off offset:624
	v_add_f64_e32 v[180:181], v[180:181], v[186:187]
	v_fmac_f64_e32 v[182:183], v[6:7], v[132:133]
	v_add_f64_e32 v[178:179], v[190:191], v[188:189]
	;; [unrolled: 18-line block ×9, first 2 shown]
	v_fma_f64 v[188:189], v[4:5], v[140:141], -v[142:143]
	ds_load_b128 v[4:7], v2 offset:1584
	s_wait_loadcnt_dscnt 0xa01
	v_mul_f64_e32 v[182:183], v[176:177], v[146:147]
	v_mul_f64_e32 v[146:147], v[178:179], v[146:147]
	scratch_load_b128 v[140:143], off, off offset:864
	v_add_f64_e32 v[180:181], v[180:181], v[186:187]
	s_wait_loadcnt_dscnt 0xa00
	v_mul_f64_e32 v[186:187], v[4:5], v[150:151]
	v_add_f64_e32 v[190:191], v[170:171], v[168:169]
	v_mul_f64_e32 v[150:151], v[6:7], v[150:151]
	ds_load_b128 v[168:171], v2 offset:1600
	v_fmac_f64_e32 v[182:183], v[178:179], v[144:145]
	v_fma_f64 v[144:145], v[176:177], v[144:145], -v[146:147]
	s_wait_loadcnt_dscnt 0x900
	v_mul_f64_e32 v[178:179], v[168:169], v[154:155]
	v_mul_f64_e32 v[154:155], v[170:171], v[154:155]
	v_add_f64_e32 v[176:177], v[180:181], v[184:185]
	v_fmac_f64_e32 v[186:187], v[6:7], v[148:149]
	v_add_f64_e32 v[146:147], v[190:191], v[188:189]
	v_fma_f64 v[148:149], v[4:5], v[148:149], -v[150:151]
	v_fmac_f64_e32 v[178:179], v[170:171], v[152:153]
	v_fma_f64 v[152:153], v[168:169], v[152:153], -v[154:155]
	v_add_f64_e32 v[176:177], v[176:177], v[182:183]
	v_add_f64_e32 v[150:151], v[146:147], v[144:145]
	ds_load_b128 v[4:7], v2 offset:1616
	ds_load_b128 v[144:147], v2 offset:1632
	s_wait_loadcnt_dscnt 0x801
	v_mul_f64_e32 v[180:181], v[4:5], v[162:163]
	v_mul_f64_e32 v[162:163], v[6:7], v[162:163]
	s_wait_loadcnt_dscnt 0x700
	v_mul_f64_e32 v[154:155], v[144:145], v[174:175]
	v_mul_f64_e32 v[168:169], v[146:147], v[174:175]
	v_add_f64_e32 v[148:149], v[150:151], v[148:149]
	v_add_f64_e32 v[150:151], v[176:177], v[186:187]
	v_fmac_f64_e32 v[180:181], v[6:7], v[160:161]
	v_fma_f64 v[160:161], v[4:5], v[160:161], -v[162:163]
	v_fmac_f64_e32 v[154:155], v[146:147], v[172:173]
	v_fma_f64 v[144:145], v[144:145], v[172:173], -v[168:169]
	v_add_f64_e32 v[152:153], v[148:149], v[152:153]
	v_add_f64_e32 v[162:163], v[150:151], v[178:179]
	ds_load_b128 v[4:7], v2 offset:1648
	ds_load_b128 v[148:151], v2 offset:1664
	s_wait_loadcnt_dscnt 0x601
	v_mul_f64_e32 v[170:171], v[4:5], v[158:159]
	v_mul_f64_e32 v[158:159], v[6:7], v[158:159]
	v_add_f64_e32 v[146:147], v[152:153], v[160:161]
	v_add_f64_e32 v[152:153], v[162:163], v[180:181]
	s_wait_loadcnt_dscnt 0x500
	v_mul_f64_e32 v[160:161], v[148:149], v[10:11]
	v_mul_f64_e32 v[10:11], v[150:151], v[10:11]
	v_fmac_f64_e32 v[170:171], v[6:7], v[156:157]
	v_fma_f64 v[156:157], v[4:5], v[156:157], -v[158:159]
	v_add_f64_e32 v[158:159], v[146:147], v[144:145]
	v_add_f64_e32 v[152:153], v[152:153], v[154:155]
	ds_load_b128 v[4:7], v2 offset:1680
	ds_load_b128 v[144:147], v2 offset:1696
	v_fmac_f64_e32 v[160:161], v[150:151], v[8:9]
	v_fma_f64 v[8:9], v[148:149], v[8:9], -v[10:11]
	s_wait_loadcnt_dscnt 0x401
	v_mul_f64_e32 v[154:155], v[4:5], v[14:15]
	v_mul_f64_e32 v[14:15], v[6:7], v[14:15]
	s_wait_loadcnt_dscnt 0x300
	v_mul_f64_e32 v[150:151], v[144:145], v[130:131]
	v_mul_f64_e32 v[130:131], v[146:147], v[130:131]
	v_add_f64_e32 v[10:11], v[158:159], v[156:157]
	v_add_f64_e32 v[148:149], v[152:153], v[170:171]
	v_fmac_f64_e32 v[154:155], v[6:7], v[12:13]
	v_fma_f64 v[12:13], v[4:5], v[12:13], -v[14:15]
	v_fmac_f64_e32 v[150:151], v[146:147], v[128:129]
	v_fma_f64 v[128:129], v[144:145], v[128:129], -v[130:131]
	v_add_f64_e32 v[14:15], v[10:11], v[8:9]
	v_add_f64_e32 v[148:149], v[148:149], v[160:161]
	ds_load_b128 v[4:7], v2 offset:1712
	ds_load_b128 v[8:11], v2 offset:1728
	s_wait_loadcnt_dscnt 0x201
	v_mul_f64_e32 v[152:153], v[4:5], v[134:135]
	v_mul_f64_e32 v[134:135], v[6:7], v[134:135]
	s_wait_loadcnt_dscnt 0x100
	v_mul_f64_e32 v[130:131], v[8:9], v[138:139]
	v_mul_f64_e32 v[138:139], v[10:11], v[138:139]
	v_add_f64_e32 v[12:13], v[14:15], v[12:13]
	v_add_f64_e32 v[14:15], v[148:149], v[154:155]
	v_fmac_f64_e32 v[152:153], v[6:7], v[132:133]
	v_fma_f64 v[132:133], v[4:5], v[132:133], -v[134:135]
	ds_load_b128 v[4:7], v2 offset:1744
	v_fmac_f64_e32 v[130:131], v[10:11], v[136:137]
	v_fma_f64 v[8:9], v[8:9], v[136:137], -v[138:139]
	v_add_f64_e32 v[12:13], v[12:13], v[128:129]
	v_add_f64_e32 v[14:15], v[14:15], v[150:151]
	s_wait_loadcnt_dscnt 0x0
	v_mul_f64_e32 v[128:129], v[4:5], v[142:143]
	v_mul_f64_e32 v[134:135], v[6:7], v[142:143]
	s_delay_alu instid0(VALU_DEP_4) | instskip(NEXT) | instid1(VALU_DEP_4)
	v_add_f64_e32 v[10:11], v[12:13], v[132:133]
	v_add_f64_e32 v[12:13], v[14:15], v[152:153]
	s_delay_alu instid0(VALU_DEP_4) | instskip(NEXT) | instid1(VALU_DEP_4)
	v_fmac_f64_e32 v[128:129], v[6:7], v[140:141]
	v_fma_f64 v[4:5], v[4:5], v[140:141], -v[134:135]
	s_delay_alu instid0(VALU_DEP_4) | instskip(NEXT) | instid1(VALU_DEP_4)
	v_add_f64_e32 v[6:7], v[10:11], v[8:9]
	v_add_f64_e32 v[8:9], v[12:13], v[130:131]
	s_delay_alu instid0(VALU_DEP_2) | instskip(NEXT) | instid1(VALU_DEP_2)
	v_add_f64_e32 v[4:5], v[6:7], v[4:5]
	v_add_f64_e32 v[6:7], v[8:9], v[128:129]
	s_delay_alu instid0(VALU_DEP_2) | instskip(NEXT) | instid1(VALU_DEP_2)
	v_add_f64_e64 v[4:5], v[164:165], -v[4:5]
	v_add_f64_e64 v[6:7], v[166:167], -v[6:7]
	scratch_store_b128 off, v[4:7], off offset:176
	s_wait_xcnt 0x0
	v_cmpx_lt_u32_e32 10, v1
	s_cbranch_execz .LBB118_323
; %bb.322:
	scratch_load_b128 v[6:9], off, s61
	v_dual_mov_b32 v3, v2 :: v_dual_mov_b32 v4, v2
	v_mov_b32_e32 v5, v2
	scratch_store_b128 off, v[2:5], off offset:160
	s_wait_loadcnt 0x0
	ds_store_b128 v126, v[6:9]
.LBB118_323:
	s_wait_xcnt 0x0
	s_or_b32 exec_lo, exec_lo, s2
	s_wait_storecnt_dscnt 0x0
	s_barrier_signal -1
	s_barrier_wait -1
	s_clause 0x9
	scratch_load_b128 v[4:7], off, off offset:176
	scratch_load_b128 v[8:11], off, off offset:192
	;; [unrolled: 1-line block ×10, first 2 shown]
	ds_load_b128 v[156:159], v2 offset:1056
	ds_load_b128 v[164:167], v2 offset:1072
	s_clause 0x2
	scratch_load_b128 v[160:163], off, off offset:336
	scratch_load_b128 v[168:171], off, off offset:160
	;; [unrolled: 1-line block ×3, first 2 shown]
	s_mov_b32 s2, exec_lo
	s_wait_loadcnt_dscnt 0xc01
	v_mul_f64_e32 v[176:177], v[158:159], v[6:7]
	v_mul_f64_e32 v[180:181], v[156:157], v[6:7]
	s_wait_loadcnt_dscnt 0xb00
	v_mul_f64_e32 v[182:183], v[164:165], v[10:11]
	v_mul_f64_e32 v[10:11], v[166:167], v[10:11]
	s_delay_alu instid0(VALU_DEP_4) | instskip(NEXT) | instid1(VALU_DEP_4)
	v_fma_f64 v[184:185], v[156:157], v[4:5], -v[176:177]
	v_fmac_f64_e32 v[180:181], v[158:159], v[4:5]
	ds_load_b128 v[4:7], v2 offset:1088
	ds_load_b128 v[156:159], v2 offset:1104
	scratch_load_b128 v[176:179], off, off offset:368
	v_fmac_f64_e32 v[182:183], v[166:167], v[8:9]
	v_fma_f64 v[164:165], v[164:165], v[8:9], -v[10:11]
	scratch_load_b128 v[8:11], off, off offset:384
	s_wait_loadcnt_dscnt 0xc01
	v_mul_f64_e32 v[186:187], v[4:5], v[14:15]
	v_mul_f64_e32 v[14:15], v[6:7], v[14:15]
	v_add_f64_e32 v[166:167], 0, v[184:185]
	v_add_f64_e32 v[180:181], 0, v[180:181]
	s_wait_loadcnt_dscnt 0xb00
	v_mul_f64_e32 v[184:185], v[156:157], v[130:131]
	v_mul_f64_e32 v[130:131], v[158:159], v[130:131]
	v_fmac_f64_e32 v[186:187], v[6:7], v[12:13]
	v_fma_f64 v[188:189], v[4:5], v[12:13], -v[14:15]
	ds_load_b128 v[4:7], v2 offset:1120
	ds_load_b128 v[12:15], v2 offset:1136
	v_add_f64_e32 v[190:191], v[166:167], v[164:165]
	v_add_f64_e32 v[180:181], v[180:181], v[182:183]
	scratch_load_b128 v[164:167], off, off offset:400
	v_fmac_f64_e32 v[184:185], v[158:159], v[128:129]
	v_fma_f64 v[156:157], v[156:157], v[128:129], -v[130:131]
	scratch_load_b128 v[128:131], off, off offset:416
	s_wait_loadcnt_dscnt 0xc01
	v_mul_f64_e32 v[182:183], v[4:5], v[134:135]
	v_mul_f64_e32 v[134:135], v[6:7], v[134:135]
	v_add_f64_e32 v[158:159], v[190:191], v[188:189]
	v_add_f64_e32 v[180:181], v[180:181], v[186:187]
	s_wait_loadcnt_dscnt 0xb00
	v_mul_f64_e32 v[186:187], v[12:13], v[138:139]
	v_mul_f64_e32 v[138:139], v[14:15], v[138:139]
	v_fmac_f64_e32 v[182:183], v[6:7], v[132:133]
	v_fma_f64 v[188:189], v[4:5], v[132:133], -v[134:135]
	ds_load_b128 v[4:7], v2 offset:1152
	ds_load_b128 v[132:135], v2 offset:1168
	v_add_f64_e32 v[190:191], v[158:159], v[156:157]
	v_add_f64_e32 v[180:181], v[180:181], v[184:185]
	scratch_load_b128 v[156:159], off, off offset:432
	s_wait_loadcnt_dscnt 0xb01
	v_mul_f64_e32 v[184:185], v[4:5], v[142:143]
	v_mul_f64_e32 v[142:143], v[6:7], v[142:143]
	v_fmac_f64_e32 v[186:187], v[14:15], v[136:137]
	v_fma_f64 v[136:137], v[12:13], v[136:137], -v[138:139]
	scratch_load_b128 v[12:15], off, off offset:448
	v_add_f64_e32 v[138:139], v[190:191], v[188:189]
	v_add_f64_e32 v[180:181], v[180:181], v[182:183]
	s_wait_loadcnt_dscnt 0xb00
	v_mul_f64_e32 v[182:183], v[132:133], v[146:147]
	v_mul_f64_e32 v[146:147], v[134:135], v[146:147]
	v_fmac_f64_e32 v[184:185], v[6:7], v[140:141]
	v_fma_f64 v[188:189], v[4:5], v[140:141], -v[142:143]
	v_add_f64_e32 v[190:191], v[138:139], v[136:137]
	v_add_f64_e32 v[180:181], v[180:181], v[186:187]
	ds_load_b128 v[4:7], v2 offset:1184
	ds_load_b128 v[136:139], v2 offset:1200
	scratch_load_b128 v[140:143], off, off offset:464
	v_fmac_f64_e32 v[182:183], v[134:135], v[144:145]
	v_fma_f64 v[144:145], v[132:133], v[144:145], -v[146:147]
	scratch_load_b128 v[132:135], off, off offset:480
	s_wait_loadcnt_dscnt 0xc01
	v_mul_f64_e32 v[186:187], v[4:5], v[150:151]
	v_mul_f64_e32 v[150:151], v[6:7], v[150:151]
	v_add_f64_e32 v[146:147], v[190:191], v[188:189]
	v_add_f64_e32 v[180:181], v[180:181], v[184:185]
	s_wait_loadcnt_dscnt 0xb00
	v_mul_f64_e32 v[184:185], v[136:137], v[154:155]
	v_mul_f64_e32 v[154:155], v[138:139], v[154:155]
	v_fmac_f64_e32 v[186:187], v[6:7], v[148:149]
	v_fma_f64 v[188:189], v[4:5], v[148:149], -v[150:151]
	v_add_f64_e32 v[190:191], v[146:147], v[144:145]
	v_add_f64_e32 v[180:181], v[180:181], v[182:183]
	ds_load_b128 v[4:7], v2 offset:1216
	ds_load_b128 v[144:147], v2 offset:1232
	scratch_load_b128 v[148:151], off, off offset:496
	v_fmac_f64_e32 v[184:185], v[138:139], v[152:153]
	v_fma_f64 v[152:153], v[136:137], v[152:153], -v[154:155]
	scratch_load_b128 v[136:139], off, off offset:512
	s_wait_loadcnt_dscnt 0xc01
	v_mul_f64_e32 v[182:183], v[4:5], v[162:163]
	v_mul_f64_e32 v[162:163], v[6:7], v[162:163]
	;; [unrolled: 18-line block ×5, first 2 shown]
	v_add_f64_e32 v[174:175], v[190:191], v[188:189]
	v_add_f64_e32 v[180:181], v[180:181], v[186:187]
	s_wait_loadcnt_dscnt 0xa00
	v_mul_f64_e32 v[186:187], v[152:153], v[14:15]
	v_mul_f64_e32 v[14:15], v[154:155], v[14:15]
	v_fmac_f64_e32 v[182:183], v[6:7], v[156:157]
	v_fma_f64 v[188:189], v[4:5], v[156:157], -v[158:159]
	ds_load_b128 v[4:7], v2 offset:1344
	ds_load_b128 v[156:159], v2 offset:1360
	v_add_f64_e32 v[190:191], v[174:175], v[172:173]
	v_add_f64_e32 v[180:181], v[180:181], v[184:185]
	scratch_load_b128 v[172:175], off, off offset:624
	v_fmac_f64_e32 v[186:187], v[154:155], v[12:13]
	v_fma_f64 v[152:153], v[152:153], v[12:13], -v[14:15]
	scratch_load_b128 v[12:15], off, off offset:640
	s_wait_loadcnt_dscnt 0xb01
	v_mul_f64_e32 v[184:185], v[4:5], v[142:143]
	v_mul_f64_e32 v[142:143], v[6:7], v[142:143]
	v_add_f64_e32 v[154:155], v[190:191], v[188:189]
	v_add_f64_e32 v[180:181], v[180:181], v[182:183]
	s_wait_loadcnt_dscnt 0xa00
	v_mul_f64_e32 v[182:183], v[156:157], v[134:135]
	v_mul_f64_e32 v[134:135], v[158:159], v[134:135]
	v_fmac_f64_e32 v[184:185], v[6:7], v[140:141]
	v_fma_f64 v[188:189], v[4:5], v[140:141], -v[142:143]
	ds_load_b128 v[4:7], v2 offset:1376
	ds_load_b128 v[140:143], v2 offset:1392
	v_add_f64_e32 v[190:191], v[154:155], v[152:153]
	v_add_f64_e32 v[180:181], v[180:181], v[186:187]
	scratch_load_b128 v[152:155], off, off offset:656
	s_wait_loadcnt_dscnt 0xa01
	v_mul_f64_e32 v[186:187], v[4:5], v[150:151]
	v_mul_f64_e32 v[150:151], v[6:7], v[150:151]
	v_fmac_f64_e32 v[182:183], v[158:159], v[132:133]
	v_fma_f64 v[156:157], v[156:157], v[132:133], -v[134:135]
	scratch_load_b128 v[132:135], off, off offset:672
	v_add_f64_e32 v[158:159], v[190:191], v[188:189]
	v_add_f64_e32 v[180:181], v[180:181], v[184:185]
	s_wait_loadcnt_dscnt 0xa00
	v_mul_f64_e32 v[184:185], v[140:141], v[138:139]
	v_mul_f64_e32 v[138:139], v[142:143], v[138:139]
	v_fmac_f64_e32 v[186:187], v[6:7], v[148:149]
	v_fma_f64 v[188:189], v[4:5], v[148:149], -v[150:151]
	ds_load_b128 v[4:7], v2 offset:1408
	ds_load_b128 v[148:151], v2 offset:1424
	v_add_f64_e32 v[190:191], v[158:159], v[156:157]
	v_add_f64_e32 v[180:181], v[180:181], v[182:183]
	scratch_load_b128 v[156:159], off, off offset:688
	s_wait_loadcnt_dscnt 0xa01
	v_mul_f64_e32 v[182:183], v[4:5], v[162:163]
	v_mul_f64_e32 v[162:163], v[6:7], v[162:163]
	v_fmac_f64_e32 v[184:185], v[142:143], v[136:137]
	v_fma_f64 v[140:141], v[140:141], v[136:137], -v[138:139]
	scratch_load_b128 v[136:139], off, off offset:704
	v_add_f64_e32 v[142:143], v[190:191], v[188:189]
	v_add_f64_e32 v[180:181], v[180:181], v[186:187]
	s_wait_loadcnt_dscnt 0xa00
	v_mul_f64_e32 v[186:187], v[148:149], v[146:147]
	v_mul_f64_e32 v[146:147], v[150:151], v[146:147]
	v_fmac_f64_e32 v[182:183], v[6:7], v[160:161]
	v_fma_f64 v[188:189], v[4:5], v[160:161], -v[162:163]
	v_add_f64_e32 v[190:191], v[142:143], v[140:141]
	v_add_f64_e32 v[180:181], v[180:181], v[184:185]
	ds_load_b128 v[4:7], v2 offset:1440
	ds_load_b128 v[140:143], v2 offset:1456
	scratch_load_b128 v[160:163], off, off offset:720
	v_fmac_f64_e32 v[186:187], v[150:151], v[144:145]
	v_fma_f64 v[148:149], v[148:149], v[144:145], -v[146:147]
	scratch_load_b128 v[144:147], off, off offset:736
	s_wait_loadcnt_dscnt 0xb01
	v_mul_f64_e32 v[184:185], v[4:5], v[178:179]
	v_mul_f64_e32 v[178:179], v[6:7], v[178:179]
	v_add_f64_e32 v[150:151], v[190:191], v[188:189]
	v_add_f64_e32 v[180:181], v[180:181], v[182:183]
	s_wait_loadcnt_dscnt 0xa00
	v_mul_f64_e32 v[182:183], v[140:141], v[10:11]
	v_mul_f64_e32 v[10:11], v[142:143], v[10:11]
	v_fmac_f64_e32 v[184:185], v[6:7], v[176:177]
	v_fma_f64 v[188:189], v[4:5], v[176:177], -v[178:179]
	v_add_f64_e32 v[190:191], v[150:151], v[148:149]
	v_add_f64_e32 v[180:181], v[180:181], v[186:187]
	ds_load_b128 v[4:7], v2 offset:1472
	ds_load_b128 v[148:151], v2 offset:1488
	scratch_load_b128 v[176:179], off, off offset:752
	v_fmac_f64_e32 v[182:183], v[142:143], v[8:9]
	v_fma_f64 v[140:141], v[140:141], v[8:9], -v[10:11]
	scratch_load_b128 v[8:11], off, off offset:768
	s_wait_loadcnt_dscnt 0xb01
	v_mul_f64_e32 v[186:187], v[4:5], v[166:167]
	v_mul_f64_e32 v[166:167], v[6:7], v[166:167]
	;; [unrolled: 18-line block ×5, first 2 shown]
	v_add_f64_e32 v[150:151], v[190:191], v[188:189]
	v_add_f64_e32 v[180:181], v[180:181], v[184:185]
	s_wait_loadcnt_dscnt 0xa00
	v_mul_f64_e32 v[184:185], v[140:141], v[138:139]
	v_mul_f64_e32 v[138:139], v[142:143], v[138:139]
	v_fmac_f64_e32 v[186:187], v[6:7], v[156:157]
	v_fma_f64 v[156:157], v[4:5], v[156:157], -v[158:159]
	v_add_f64_e32 v[158:159], v[150:151], v[148:149]
	v_add_f64_e32 v[180:181], v[180:181], v[182:183]
	ds_load_b128 v[4:7], v2 offset:1600
	ds_load_b128 v[148:151], v2 offset:1616
	v_fmac_f64_e32 v[184:185], v[142:143], v[136:137]
	v_fma_f64 v[136:137], v[140:141], v[136:137], -v[138:139]
	s_wait_loadcnt_dscnt 0x901
	v_mul_f64_e32 v[182:183], v[4:5], v[162:163]
	v_mul_f64_e32 v[162:163], v[6:7], v[162:163]
	s_wait_loadcnt_dscnt 0x800
	v_mul_f64_e32 v[142:143], v[148:149], v[146:147]
	v_mul_f64_e32 v[146:147], v[150:151], v[146:147]
	v_add_f64_e32 v[138:139], v[158:159], v[156:157]
	v_add_f64_e32 v[140:141], v[180:181], v[186:187]
	v_fmac_f64_e32 v[182:183], v[6:7], v[160:161]
	v_fma_f64 v[156:157], v[4:5], v[160:161], -v[162:163]
	v_fmac_f64_e32 v[142:143], v[150:151], v[144:145]
	v_fma_f64 v[144:145], v[148:149], v[144:145], -v[146:147]
	v_add_f64_e32 v[158:159], v[138:139], v[136:137]
	v_add_f64_e32 v[140:141], v[140:141], v[184:185]
	ds_load_b128 v[4:7], v2 offset:1632
	ds_load_b128 v[136:139], v2 offset:1648
	s_wait_loadcnt_dscnt 0x701
	v_mul_f64_e32 v[160:161], v[4:5], v[178:179]
	v_mul_f64_e32 v[162:163], v[6:7], v[178:179]
	s_wait_loadcnt_dscnt 0x600
	v_mul_f64_e32 v[148:149], v[136:137], v[10:11]
	v_mul_f64_e32 v[10:11], v[138:139], v[10:11]
	v_add_f64_e32 v[146:147], v[158:159], v[156:157]
	v_add_f64_e32 v[140:141], v[140:141], v[182:183]
	v_fmac_f64_e32 v[160:161], v[6:7], v[176:177]
	v_fma_f64 v[150:151], v[4:5], v[176:177], -v[162:163]
	v_fmac_f64_e32 v[148:149], v[138:139], v[8:9]
	v_fma_f64 v[8:9], v[136:137], v[8:9], -v[10:11]
	v_add_f64_e32 v[144:145], v[146:147], v[144:145]
	v_add_f64_e32 v[146:147], v[140:141], v[142:143]
	ds_load_b128 v[4:7], v2 offset:1664
	ds_load_b128 v[140:143], v2 offset:1680
	;; [unrolled: 16-line block ×4, first 2 shown]
	s_wait_loadcnt_dscnt 0x101
	v_mul_f64_e32 v[2:3], v[4:5], v[154:155]
	v_mul_f64_e32 v[138:139], v[6:7], v[154:155]
	s_wait_loadcnt_dscnt 0x0
	v_mul_f64_e32 v[14:15], v[128:129], v[134:135]
	v_mul_f64_e32 v[134:135], v[130:131], v[134:135]
	v_add_f64_e32 v[10:11], v[144:145], v[142:143]
	v_add_f64_e32 v[12:13], v[136:137], v[148:149]
	v_fmac_f64_e32 v[2:3], v[6:7], v[152:153]
	v_fma_f64 v[4:5], v[4:5], v[152:153], -v[138:139]
	v_fmac_f64_e32 v[14:15], v[130:131], v[132:133]
	v_add_f64_e32 v[6:7], v[10:11], v[8:9]
	v_add_f64_e32 v[8:9], v[12:13], v[140:141]
	v_fma_f64 v[10:11], v[128:129], v[132:133], -v[134:135]
	s_delay_alu instid0(VALU_DEP_3) | instskip(NEXT) | instid1(VALU_DEP_3)
	v_add_f64_e32 v[4:5], v[6:7], v[4:5]
	v_add_f64_e32 v[2:3], v[8:9], v[2:3]
	s_delay_alu instid0(VALU_DEP_2) | instskip(NEXT) | instid1(VALU_DEP_2)
	v_add_f64_e32 v[4:5], v[4:5], v[10:11]
	v_add_f64_e32 v[6:7], v[2:3], v[14:15]
	s_delay_alu instid0(VALU_DEP_2) | instskip(NEXT) | instid1(VALU_DEP_2)
	v_add_f64_e64 v[2:3], v[168:169], -v[4:5]
	v_add_f64_e64 v[4:5], v[170:171], -v[6:7]
	scratch_store_b128 off, v[2:5], off offset:160
	s_wait_xcnt 0x0
	v_cmpx_lt_u32_e32 9, v1
	s_cbranch_execz .LBB118_325
; %bb.324:
	scratch_load_b128 v[2:5], off, s62
	v_mov_b32_e32 v6, 0
	s_delay_alu instid0(VALU_DEP_1)
	v_dual_mov_b32 v7, v6 :: v_dual_mov_b32 v8, v6
	v_mov_b32_e32 v9, v6
	scratch_store_b128 off, v[6:9], off offset:144
	s_wait_loadcnt 0x0
	ds_store_b128 v126, v[2:5]
.LBB118_325:
	s_wait_xcnt 0x0
	s_or_b32 exec_lo, exec_lo, s2
	s_wait_storecnt_dscnt 0x0
	s_barrier_signal -1
	s_barrier_wait -1
	s_clause 0x9
	scratch_load_b128 v[4:7], off, off offset:160
	scratch_load_b128 v[8:11], off, off offset:176
	;; [unrolled: 1-line block ×10, first 2 shown]
	v_mov_b32_e32 v2, 0
	s_mov_b32 s2, exec_lo
	ds_load_b128 v[156:159], v2 offset:1040
	s_clause 0x2
	scratch_load_b128 v[160:163], off, off offset:320
	scratch_load_b128 v[164:167], off, off offset:144
	;; [unrolled: 1-line block ×3, first 2 shown]
	s_wait_loadcnt_dscnt 0xc00
	v_mul_f64_e32 v[176:177], v[158:159], v[6:7]
	v_mul_f64_e32 v[180:181], v[156:157], v[6:7]
	ds_load_b128 v[168:171], v2 offset:1056
	v_fma_f64 v[184:185], v[156:157], v[4:5], -v[176:177]
	v_fmac_f64_e32 v[180:181], v[158:159], v[4:5]
	ds_load_b128 v[4:7], v2 offset:1072
	s_wait_loadcnt_dscnt 0xb01
	v_mul_f64_e32 v[182:183], v[168:169], v[10:11]
	v_mul_f64_e32 v[10:11], v[170:171], v[10:11]
	scratch_load_b128 v[156:159], off, off offset:352
	ds_load_b128 v[176:179], v2 offset:1088
	s_wait_loadcnt_dscnt 0xb01
	v_mul_f64_e32 v[186:187], v[4:5], v[14:15]
	v_mul_f64_e32 v[14:15], v[6:7], v[14:15]
	v_add_f64_e32 v[180:181], 0, v[180:181]
	v_fmac_f64_e32 v[182:183], v[170:171], v[8:9]
	v_fma_f64 v[168:169], v[168:169], v[8:9], -v[10:11]
	v_add_f64_e32 v[170:171], 0, v[184:185]
	scratch_load_b128 v[8:11], off, off offset:368
	v_fmac_f64_e32 v[186:187], v[6:7], v[12:13]
	v_fma_f64 v[188:189], v[4:5], v[12:13], -v[14:15]
	ds_load_b128 v[4:7], v2 offset:1104
	s_wait_loadcnt_dscnt 0xb01
	v_mul_f64_e32 v[184:185], v[176:177], v[130:131]
	v_mul_f64_e32 v[130:131], v[178:179], v[130:131]
	scratch_load_b128 v[12:15], off, off offset:384
	v_add_f64_e32 v[180:181], v[180:181], v[182:183]
	v_add_f64_e32 v[190:191], v[170:171], v[168:169]
	ds_load_b128 v[168:171], v2 offset:1120
	s_wait_loadcnt_dscnt 0xb01
	v_mul_f64_e32 v[182:183], v[4:5], v[134:135]
	v_mul_f64_e32 v[134:135], v[6:7], v[134:135]
	v_fmac_f64_e32 v[184:185], v[178:179], v[128:129]
	v_fma_f64 v[176:177], v[176:177], v[128:129], -v[130:131]
	scratch_load_b128 v[128:131], off, off offset:400
	v_add_f64_e32 v[180:181], v[180:181], v[186:187]
	v_add_f64_e32 v[178:179], v[190:191], v[188:189]
	v_fmac_f64_e32 v[182:183], v[6:7], v[132:133]
	v_fma_f64 v[188:189], v[4:5], v[132:133], -v[134:135]
	ds_load_b128 v[4:7], v2 offset:1136
	s_wait_loadcnt_dscnt 0xb01
	v_mul_f64_e32 v[186:187], v[168:169], v[138:139]
	v_mul_f64_e32 v[138:139], v[170:171], v[138:139]
	scratch_load_b128 v[132:135], off, off offset:416
	v_add_f64_e32 v[180:181], v[180:181], v[184:185]
	s_wait_loadcnt_dscnt 0xb00
	v_mul_f64_e32 v[184:185], v[4:5], v[142:143]
	v_add_f64_e32 v[190:191], v[178:179], v[176:177]
	v_mul_f64_e32 v[142:143], v[6:7], v[142:143]
	ds_load_b128 v[176:179], v2 offset:1152
	v_fmac_f64_e32 v[186:187], v[170:171], v[136:137]
	v_fma_f64 v[168:169], v[168:169], v[136:137], -v[138:139]
	scratch_load_b128 v[136:139], off, off offset:432
	v_add_f64_e32 v[180:181], v[180:181], v[182:183]
	v_fmac_f64_e32 v[184:185], v[6:7], v[140:141]
	v_add_f64_e32 v[170:171], v[190:191], v[188:189]
	v_fma_f64 v[188:189], v[4:5], v[140:141], -v[142:143]
	ds_load_b128 v[4:7], v2 offset:1168
	s_wait_loadcnt_dscnt 0xb01
	v_mul_f64_e32 v[182:183], v[176:177], v[146:147]
	v_mul_f64_e32 v[146:147], v[178:179], v[146:147]
	scratch_load_b128 v[140:143], off, off offset:448
	v_add_f64_e32 v[180:181], v[180:181], v[186:187]
	s_wait_loadcnt_dscnt 0xb00
	v_mul_f64_e32 v[186:187], v[4:5], v[150:151]
	v_add_f64_e32 v[190:191], v[170:171], v[168:169]
	v_mul_f64_e32 v[150:151], v[6:7], v[150:151]
	ds_load_b128 v[168:171], v2 offset:1184
	v_fmac_f64_e32 v[182:183], v[178:179], v[144:145]
	v_fma_f64 v[176:177], v[176:177], v[144:145], -v[146:147]
	scratch_load_b128 v[144:147], off, off offset:464
	v_add_f64_e32 v[180:181], v[180:181], v[184:185]
	v_fmac_f64_e32 v[186:187], v[6:7], v[148:149]
	v_add_f64_e32 v[178:179], v[190:191], v[188:189]
	;; [unrolled: 18-line block ×3, first 2 shown]
	v_fma_f64 v[188:189], v[4:5], v[160:161], -v[162:163]
	ds_load_b128 v[4:7], v2 offset:1232
	s_wait_loadcnt_dscnt 0xa01
	v_mul_f64_e32 v[186:187], v[176:177], v[174:175]
	v_mul_f64_e32 v[174:175], v[178:179], v[174:175]
	scratch_load_b128 v[160:163], off, off offset:512
	v_add_f64_e32 v[180:181], v[180:181], v[184:185]
	v_add_f64_e32 v[190:191], v[170:171], v[168:169]
	s_wait_loadcnt_dscnt 0xa00
	v_mul_f64_e32 v[184:185], v[4:5], v[158:159]
	v_mul_f64_e32 v[158:159], v[6:7], v[158:159]
	v_fmac_f64_e32 v[186:187], v[178:179], v[172:173]
	v_fma_f64 v[176:177], v[176:177], v[172:173], -v[174:175]
	ds_load_b128 v[168:171], v2 offset:1248
	scratch_load_b128 v[172:175], off, off offset:528
	v_add_f64_e32 v[180:181], v[180:181], v[182:183]
	v_add_f64_e32 v[178:179], v[190:191], v[188:189]
	v_fmac_f64_e32 v[184:185], v[6:7], v[156:157]
	v_fma_f64 v[188:189], v[4:5], v[156:157], -v[158:159]
	ds_load_b128 v[4:7], v2 offset:1264
	s_wait_loadcnt_dscnt 0xa01
	v_mul_f64_e32 v[182:183], v[168:169], v[10:11]
	v_mul_f64_e32 v[10:11], v[170:171], v[10:11]
	scratch_load_b128 v[156:159], off, off offset:544
	v_add_f64_e32 v[180:181], v[180:181], v[186:187]
	s_wait_loadcnt_dscnt 0xa00
	v_mul_f64_e32 v[186:187], v[4:5], v[14:15]
	v_add_f64_e32 v[190:191], v[178:179], v[176:177]
	v_mul_f64_e32 v[14:15], v[6:7], v[14:15]
	ds_load_b128 v[176:179], v2 offset:1280
	v_fmac_f64_e32 v[182:183], v[170:171], v[8:9]
	v_fma_f64 v[168:169], v[168:169], v[8:9], -v[10:11]
	scratch_load_b128 v[8:11], off, off offset:560
	v_add_f64_e32 v[180:181], v[180:181], v[184:185]
	v_fmac_f64_e32 v[186:187], v[6:7], v[12:13]
	v_add_f64_e32 v[170:171], v[190:191], v[188:189]
	v_fma_f64 v[188:189], v[4:5], v[12:13], -v[14:15]
	ds_load_b128 v[4:7], v2 offset:1296
	s_wait_loadcnt_dscnt 0xa01
	v_mul_f64_e32 v[184:185], v[176:177], v[130:131]
	v_mul_f64_e32 v[130:131], v[178:179], v[130:131]
	scratch_load_b128 v[12:15], off, off offset:576
	v_add_f64_e32 v[180:181], v[180:181], v[182:183]
	s_wait_loadcnt_dscnt 0xa00
	v_mul_f64_e32 v[182:183], v[4:5], v[134:135]
	v_add_f64_e32 v[190:191], v[170:171], v[168:169]
	v_mul_f64_e32 v[134:135], v[6:7], v[134:135]
	ds_load_b128 v[168:171], v2 offset:1312
	v_fmac_f64_e32 v[184:185], v[178:179], v[128:129]
	v_fma_f64 v[176:177], v[176:177], v[128:129], -v[130:131]
	scratch_load_b128 v[128:131], off, off offset:592
	v_add_f64_e32 v[180:181], v[180:181], v[186:187]
	v_fmac_f64_e32 v[182:183], v[6:7], v[132:133]
	v_add_f64_e32 v[178:179], v[190:191], v[188:189]
	;; [unrolled: 18-line block ×10, first 2 shown]
	v_fma_f64 v[188:189], v[4:5], v[148:149], -v[150:151]
	ds_load_b128 v[4:7], v2 offset:1584
	s_wait_loadcnt_dscnt 0xa01
	v_mul_f64_e32 v[184:185], v[168:169], v[154:155]
	v_mul_f64_e32 v[154:155], v[170:171], v[154:155]
	scratch_load_b128 v[148:151], off, off offset:864
	v_add_f64_e32 v[180:181], v[180:181], v[182:183]
	s_wait_loadcnt_dscnt 0xa00
	v_mul_f64_e32 v[182:183], v[4:5], v[162:163]
	v_add_f64_e32 v[190:191], v[178:179], v[176:177]
	v_mul_f64_e32 v[162:163], v[6:7], v[162:163]
	ds_load_b128 v[176:179], v2 offset:1600
	v_fmac_f64_e32 v[184:185], v[170:171], v[152:153]
	v_fma_f64 v[152:153], v[168:169], v[152:153], -v[154:155]
	s_wait_loadcnt_dscnt 0x900
	v_mul_f64_e32 v[170:171], v[176:177], v[174:175]
	v_mul_f64_e32 v[174:175], v[178:179], v[174:175]
	v_add_f64_e32 v[168:169], v[180:181], v[186:187]
	v_fmac_f64_e32 v[182:183], v[6:7], v[160:161]
	v_add_f64_e32 v[154:155], v[190:191], v[188:189]
	v_fma_f64 v[160:161], v[4:5], v[160:161], -v[162:163]
	v_fmac_f64_e32 v[170:171], v[178:179], v[172:173]
	v_fma_f64 v[172:173], v[176:177], v[172:173], -v[174:175]
	v_add_f64_e32 v[168:169], v[168:169], v[184:185]
	v_add_f64_e32 v[162:163], v[154:155], v[152:153]
	ds_load_b128 v[4:7], v2 offset:1616
	ds_load_b128 v[152:155], v2 offset:1632
	s_wait_loadcnt_dscnt 0x801
	v_mul_f64_e32 v[180:181], v[4:5], v[158:159]
	v_mul_f64_e32 v[158:159], v[6:7], v[158:159]
	v_add_f64_e32 v[160:161], v[162:163], v[160:161]
	v_add_f64_e32 v[162:163], v[168:169], v[182:183]
	s_wait_loadcnt_dscnt 0x700
	v_mul_f64_e32 v[168:169], v[152:153], v[10:11]
	v_mul_f64_e32 v[10:11], v[154:155], v[10:11]
	v_fmac_f64_e32 v[180:181], v[6:7], v[156:157]
	v_fma_f64 v[174:175], v[4:5], v[156:157], -v[158:159]
	ds_load_b128 v[4:7], v2 offset:1648
	ds_load_b128 v[156:159], v2 offset:1664
	v_add_f64_e32 v[160:161], v[160:161], v[172:173]
	v_add_f64_e32 v[162:163], v[162:163], v[170:171]
	v_fmac_f64_e32 v[168:169], v[154:155], v[8:9]
	v_fma_f64 v[8:9], v[152:153], v[8:9], -v[10:11]
	s_wait_loadcnt_dscnt 0x601
	v_mul_f64_e32 v[170:171], v[4:5], v[14:15]
	v_mul_f64_e32 v[14:15], v[6:7], v[14:15]
	s_wait_loadcnt_dscnt 0x500
	v_mul_f64_e32 v[154:155], v[156:157], v[130:131]
	v_mul_f64_e32 v[130:131], v[158:159], v[130:131]
	v_add_f64_e32 v[10:11], v[160:161], v[174:175]
	v_add_f64_e32 v[152:153], v[162:163], v[180:181]
	v_fmac_f64_e32 v[170:171], v[6:7], v[12:13]
	v_fma_f64 v[12:13], v[4:5], v[12:13], -v[14:15]
	v_fmac_f64_e32 v[154:155], v[158:159], v[128:129]
	v_fma_f64 v[128:129], v[156:157], v[128:129], -v[130:131]
	v_add_f64_e32 v[14:15], v[10:11], v[8:9]
	v_add_f64_e32 v[152:153], v[152:153], v[168:169]
	ds_load_b128 v[4:7], v2 offset:1680
	ds_load_b128 v[8:11], v2 offset:1696
	s_wait_loadcnt_dscnt 0x401
	v_mul_f64_e32 v[160:161], v[4:5], v[134:135]
	v_mul_f64_e32 v[134:135], v[6:7], v[134:135]
	s_wait_loadcnt_dscnt 0x300
	v_mul_f64_e32 v[130:131], v[8:9], v[138:139]
	v_mul_f64_e32 v[138:139], v[10:11], v[138:139]
	v_add_f64_e32 v[12:13], v[14:15], v[12:13]
	v_add_f64_e32 v[14:15], v[152:153], v[170:171]
	v_fmac_f64_e32 v[160:161], v[6:7], v[132:133]
	v_fma_f64 v[132:133], v[4:5], v[132:133], -v[134:135]
	v_fmac_f64_e32 v[130:131], v[10:11], v[136:137]
	v_fma_f64 v[8:9], v[8:9], v[136:137], -v[138:139]
	v_add_f64_e32 v[128:129], v[12:13], v[128:129]
	v_add_f64_e32 v[134:135], v[14:15], v[154:155]
	ds_load_b128 v[4:7], v2 offset:1712
	ds_load_b128 v[12:15], v2 offset:1728
	s_wait_loadcnt_dscnt 0x201
	v_mul_f64_e32 v[152:153], v[4:5], v[142:143]
	v_mul_f64_e32 v[142:143], v[6:7], v[142:143]
	v_add_f64_e32 v[10:11], v[128:129], v[132:133]
	v_add_f64_e32 v[128:129], v[134:135], v[160:161]
	s_wait_loadcnt_dscnt 0x100
	v_mul_f64_e32 v[132:133], v[12:13], v[146:147]
	v_mul_f64_e32 v[134:135], v[14:15], v[146:147]
	v_fmac_f64_e32 v[152:153], v[6:7], v[140:141]
	v_fma_f64 v[136:137], v[4:5], v[140:141], -v[142:143]
	ds_load_b128 v[4:7], v2 offset:1744
	v_add_f64_e32 v[8:9], v[10:11], v[8:9]
	v_add_f64_e32 v[10:11], v[128:129], v[130:131]
	v_fmac_f64_e32 v[132:133], v[14:15], v[144:145]
	v_fma_f64 v[12:13], v[12:13], v[144:145], -v[134:135]
	s_wait_loadcnt_dscnt 0x0
	v_mul_f64_e32 v[128:129], v[4:5], v[150:151]
	v_mul_f64_e32 v[130:131], v[6:7], v[150:151]
	v_add_f64_e32 v[8:9], v[8:9], v[136:137]
	v_add_f64_e32 v[10:11], v[10:11], v[152:153]
	s_delay_alu instid0(VALU_DEP_4) | instskip(NEXT) | instid1(VALU_DEP_4)
	v_fmac_f64_e32 v[128:129], v[6:7], v[148:149]
	v_fma_f64 v[4:5], v[4:5], v[148:149], -v[130:131]
	s_delay_alu instid0(VALU_DEP_4) | instskip(NEXT) | instid1(VALU_DEP_4)
	v_add_f64_e32 v[6:7], v[8:9], v[12:13]
	v_add_f64_e32 v[8:9], v[10:11], v[132:133]
	s_delay_alu instid0(VALU_DEP_2) | instskip(NEXT) | instid1(VALU_DEP_2)
	v_add_f64_e32 v[4:5], v[6:7], v[4:5]
	v_add_f64_e32 v[6:7], v[8:9], v[128:129]
	s_delay_alu instid0(VALU_DEP_2) | instskip(NEXT) | instid1(VALU_DEP_2)
	v_add_f64_e64 v[4:5], v[164:165], -v[4:5]
	v_add_f64_e64 v[6:7], v[166:167], -v[6:7]
	scratch_store_b128 off, v[4:7], off offset:144
	s_wait_xcnt 0x0
	v_cmpx_lt_u32_e32 8, v1
	s_cbranch_execz .LBB118_327
; %bb.326:
	scratch_load_b128 v[6:9], off, s63
	v_dual_mov_b32 v3, v2 :: v_dual_mov_b32 v4, v2
	v_mov_b32_e32 v5, v2
	scratch_store_b128 off, v[2:5], off offset:128
	s_wait_loadcnt 0x0
	ds_store_b128 v126, v[6:9]
.LBB118_327:
	s_wait_xcnt 0x0
	s_or_b32 exec_lo, exec_lo, s2
	s_wait_storecnt_dscnt 0x0
	s_barrier_signal -1
	s_barrier_wait -1
	s_clause 0x9
	scratch_load_b128 v[4:7], off, off offset:144
	scratch_load_b128 v[8:11], off, off offset:160
	;; [unrolled: 1-line block ×10, first 2 shown]
	ds_load_b128 v[156:159], v2 offset:1024
	ds_load_b128 v[164:167], v2 offset:1040
	s_clause 0x2
	scratch_load_b128 v[160:163], off, off offset:304
	scratch_load_b128 v[168:171], off, off offset:128
	scratch_load_b128 v[172:175], off, off offset:320
	s_mov_b32 s2, exec_lo
	s_wait_loadcnt_dscnt 0xc01
	v_mul_f64_e32 v[176:177], v[158:159], v[6:7]
	v_mul_f64_e32 v[180:181], v[156:157], v[6:7]
	s_wait_loadcnt_dscnt 0xb00
	v_mul_f64_e32 v[182:183], v[164:165], v[10:11]
	v_mul_f64_e32 v[10:11], v[166:167], v[10:11]
	s_delay_alu instid0(VALU_DEP_4) | instskip(NEXT) | instid1(VALU_DEP_4)
	v_fma_f64 v[184:185], v[156:157], v[4:5], -v[176:177]
	v_fmac_f64_e32 v[180:181], v[158:159], v[4:5]
	ds_load_b128 v[4:7], v2 offset:1056
	ds_load_b128 v[156:159], v2 offset:1072
	scratch_load_b128 v[176:179], off, off offset:336
	v_fmac_f64_e32 v[182:183], v[166:167], v[8:9]
	v_fma_f64 v[164:165], v[164:165], v[8:9], -v[10:11]
	scratch_load_b128 v[8:11], off, off offset:352
	s_wait_loadcnt_dscnt 0xc01
	v_mul_f64_e32 v[186:187], v[4:5], v[14:15]
	v_mul_f64_e32 v[14:15], v[6:7], v[14:15]
	v_add_f64_e32 v[166:167], 0, v[184:185]
	v_add_f64_e32 v[180:181], 0, v[180:181]
	s_wait_loadcnt_dscnt 0xb00
	v_mul_f64_e32 v[184:185], v[156:157], v[130:131]
	v_mul_f64_e32 v[130:131], v[158:159], v[130:131]
	v_fmac_f64_e32 v[186:187], v[6:7], v[12:13]
	v_fma_f64 v[188:189], v[4:5], v[12:13], -v[14:15]
	ds_load_b128 v[4:7], v2 offset:1088
	ds_load_b128 v[12:15], v2 offset:1104
	v_add_f64_e32 v[190:191], v[166:167], v[164:165]
	v_add_f64_e32 v[180:181], v[180:181], v[182:183]
	scratch_load_b128 v[164:167], off, off offset:368
	v_fmac_f64_e32 v[184:185], v[158:159], v[128:129]
	v_fma_f64 v[156:157], v[156:157], v[128:129], -v[130:131]
	scratch_load_b128 v[128:131], off, off offset:384
	s_wait_loadcnt_dscnt 0xc01
	v_mul_f64_e32 v[182:183], v[4:5], v[134:135]
	v_mul_f64_e32 v[134:135], v[6:7], v[134:135]
	v_add_f64_e32 v[158:159], v[190:191], v[188:189]
	v_add_f64_e32 v[180:181], v[180:181], v[186:187]
	s_wait_loadcnt_dscnt 0xb00
	v_mul_f64_e32 v[186:187], v[12:13], v[138:139]
	v_mul_f64_e32 v[138:139], v[14:15], v[138:139]
	v_fmac_f64_e32 v[182:183], v[6:7], v[132:133]
	v_fma_f64 v[188:189], v[4:5], v[132:133], -v[134:135]
	ds_load_b128 v[4:7], v2 offset:1120
	ds_load_b128 v[132:135], v2 offset:1136
	v_add_f64_e32 v[190:191], v[158:159], v[156:157]
	v_add_f64_e32 v[180:181], v[180:181], v[184:185]
	scratch_load_b128 v[156:159], off, off offset:400
	s_wait_loadcnt_dscnt 0xb01
	v_mul_f64_e32 v[184:185], v[4:5], v[142:143]
	v_mul_f64_e32 v[142:143], v[6:7], v[142:143]
	v_fmac_f64_e32 v[186:187], v[14:15], v[136:137]
	v_fma_f64 v[136:137], v[12:13], v[136:137], -v[138:139]
	scratch_load_b128 v[12:15], off, off offset:416
	v_add_f64_e32 v[138:139], v[190:191], v[188:189]
	v_add_f64_e32 v[180:181], v[180:181], v[182:183]
	s_wait_loadcnt_dscnt 0xb00
	v_mul_f64_e32 v[182:183], v[132:133], v[146:147]
	v_mul_f64_e32 v[146:147], v[134:135], v[146:147]
	v_fmac_f64_e32 v[184:185], v[6:7], v[140:141]
	v_fma_f64 v[188:189], v[4:5], v[140:141], -v[142:143]
	v_add_f64_e32 v[190:191], v[138:139], v[136:137]
	v_add_f64_e32 v[180:181], v[180:181], v[186:187]
	ds_load_b128 v[4:7], v2 offset:1152
	ds_load_b128 v[136:139], v2 offset:1168
	scratch_load_b128 v[140:143], off, off offset:432
	v_fmac_f64_e32 v[182:183], v[134:135], v[144:145]
	v_fma_f64 v[144:145], v[132:133], v[144:145], -v[146:147]
	scratch_load_b128 v[132:135], off, off offset:448
	s_wait_loadcnt_dscnt 0xc01
	v_mul_f64_e32 v[186:187], v[4:5], v[150:151]
	v_mul_f64_e32 v[150:151], v[6:7], v[150:151]
	v_add_f64_e32 v[146:147], v[190:191], v[188:189]
	v_add_f64_e32 v[180:181], v[180:181], v[184:185]
	s_wait_loadcnt_dscnt 0xb00
	v_mul_f64_e32 v[184:185], v[136:137], v[154:155]
	v_mul_f64_e32 v[154:155], v[138:139], v[154:155]
	v_fmac_f64_e32 v[186:187], v[6:7], v[148:149]
	v_fma_f64 v[188:189], v[4:5], v[148:149], -v[150:151]
	v_add_f64_e32 v[190:191], v[146:147], v[144:145]
	v_add_f64_e32 v[180:181], v[180:181], v[182:183]
	ds_load_b128 v[4:7], v2 offset:1184
	ds_load_b128 v[144:147], v2 offset:1200
	scratch_load_b128 v[148:151], off, off offset:464
	v_fmac_f64_e32 v[184:185], v[138:139], v[152:153]
	v_fma_f64 v[152:153], v[136:137], v[152:153], -v[154:155]
	scratch_load_b128 v[136:139], off, off offset:480
	s_wait_loadcnt_dscnt 0xc01
	v_mul_f64_e32 v[182:183], v[4:5], v[162:163]
	v_mul_f64_e32 v[162:163], v[6:7], v[162:163]
	;; [unrolled: 18-line block ×5, first 2 shown]
	v_add_f64_e32 v[174:175], v[190:191], v[188:189]
	v_add_f64_e32 v[180:181], v[180:181], v[186:187]
	s_wait_loadcnt_dscnt 0xa00
	v_mul_f64_e32 v[186:187], v[152:153], v[14:15]
	v_mul_f64_e32 v[14:15], v[154:155], v[14:15]
	v_fmac_f64_e32 v[182:183], v[6:7], v[156:157]
	v_fma_f64 v[188:189], v[4:5], v[156:157], -v[158:159]
	ds_load_b128 v[4:7], v2 offset:1312
	ds_load_b128 v[156:159], v2 offset:1328
	v_add_f64_e32 v[190:191], v[174:175], v[172:173]
	v_add_f64_e32 v[180:181], v[180:181], v[184:185]
	scratch_load_b128 v[172:175], off, off offset:592
	v_fmac_f64_e32 v[186:187], v[154:155], v[12:13]
	v_fma_f64 v[152:153], v[152:153], v[12:13], -v[14:15]
	scratch_load_b128 v[12:15], off, off offset:608
	s_wait_loadcnt_dscnt 0xb01
	v_mul_f64_e32 v[184:185], v[4:5], v[142:143]
	v_mul_f64_e32 v[142:143], v[6:7], v[142:143]
	v_add_f64_e32 v[154:155], v[190:191], v[188:189]
	v_add_f64_e32 v[180:181], v[180:181], v[182:183]
	s_wait_loadcnt_dscnt 0xa00
	v_mul_f64_e32 v[182:183], v[156:157], v[134:135]
	v_mul_f64_e32 v[134:135], v[158:159], v[134:135]
	v_fmac_f64_e32 v[184:185], v[6:7], v[140:141]
	v_fma_f64 v[188:189], v[4:5], v[140:141], -v[142:143]
	ds_load_b128 v[4:7], v2 offset:1344
	ds_load_b128 v[140:143], v2 offset:1360
	v_add_f64_e32 v[190:191], v[154:155], v[152:153]
	v_add_f64_e32 v[180:181], v[180:181], v[186:187]
	scratch_load_b128 v[152:155], off, off offset:624
	s_wait_loadcnt_dscnt 0xa01
	v_mul_f64_e32 v[186:187], v[4:5], v[150:151]
	v_mul_f64_e32 v[150:151], v[6:7], v[150:151]
	v_fmac_f64_e32 v[182:183], v[158:159], v[132:133]
	v_fma_f64 v[156:157], v[156:157], v[132:133], -v[134:135]
	scratch_load_b128 v[132:135], off, off offset:640
	v_add_f64_e32 v[158:159], v[190:191], v[188:189]
	v_add_f64_e32 v[180:181], v[180:181], v[184:185]
	s_wait_loadcnt_dscnt 0xa00
	v_mul_f64_e32 v[184:185], v[140:141], v[138:139]
	v_mul_f64_e32 v[138:139], v[142:143], v[138:139]
	v_fmac_f64_e32 v[186:187], v[6:7], v[148:149]
	v_fma_f64 v[188:189], v[4:5], v[148:149], -v[150:151]
	ds_load_b128 v[4:7], v2 offset:1376
	ds_load_b128 v[148:151], v2 offset:1392
	v_add_f64_e32 v[190:191], v[158:159], v[156:157]
	v_add_f64_e32 v[180:181], v[180:181], v[182:183]
	scratch_load_b128 v[156:159], off, off offset:656
	s_wait_loadcnt_dscnt 0xa01
	v_mul_f64_e32 v[182:183], v[4:5], v[162:163]
	v_mul_f64_e32 v[162:163], v[6:7], v[162:163]
	v_fmac_f64_e32 v[184:185], v[142:143], v[136:137]
	v_fma_f64 v[140:141], v[140:141], v[136:137], -v[138:139]
	scratch_load_b128 v[136:139], off, off offset:672
	v_add_f64_e32 v[142:143], v[190:191], v[188:189]
	v_add_f64_e32 v[180:181], v[180:181], v[186:187]
	s_wait_loadcnt_dscnt 0xa00
	v_mul_f64_e32 v[186:187], v[148:149], v[146:147]
	v_mul_f64_e32 v[146:147], v[150:151], v[146:147]
	v_fmac_f64_e32 v[182:183], v[6:7], v[160:161]
	v_fma_f64 v[188:189], v[4:5], v[160:161], -v[162:163]
	v_add_f64_e32 v[190:191], v[142:143], v[140:141]
	v_add_f64_e32 v[180:181], v[180:181], v[184:185]
	ds_load_b128 v[4:7], v2 offset:1408
	ds_load_b128 v[140:143], v2 offset:1424
	scratch_load_b128 v[160:163], off, off offset:688
	v_fmac_f64_e32 v[186:187], v[150:151], v[144:145]
	v_fma_f64 v[148:149], v[148:149], v[144:145], -v[146:147]
	scratch_load_b128 v[144:147], off, off offset:704
	s_wait_loadcnt_dscnt 0xb01
	v_mul_f64_e32 v[184:185], v[4:5], v[178:179]
	v_mul_f64_e32 v[178:179], v[6:7], v[178:179]
	v_add_f64_e32 v[150:151], v[190:191], v[188:189]
	v_add_f64_e32 v[180:181], v[180:181], v[182:183]
	s_wait_loadcnt_dscnt 0xa00
	v_mul_f64_e32 v[182:183], v[140:141], v[10:11]
	v_mul_f64_e32 v[10:11], v[142:143], v[10:11]
	v_fmac_f64_e32 v[184:185], v[6:7], v[176:177]
	v_fma_f64 v[188:189], v[4:5], v[176:177], -v[178:179]
	v_add_f64_e32 v[190:191], v[150:151], v[148:149]
	v_add_f64_e32 v[180:181], v[180:181], v[186:187]
	ds_load_b128 v[4:7], v2 offset:1440
	ds_load_b128 v[148:151], v2 offset:1456
	scratch_load_b128 v[176:179], off, off offset:720
	v_fmac_f64_e32 v[182:183], v[142:143], v[8:9]
	v_fma_f64 v[140:141], v[140:141], v[8:9], -v[10:11]
	scratch_load_b128 v[8:11], off, off offset:736
	s_wait_loadcnt_dscnt 0xb01
	v_mul_f64_e32 v[186:187], v[4:5], v[166:167]
	v_mul_f64_e32 v[166:167], v[6:7], v[166:167]
	;; [unrolled: 18-line block ×6, first 2 shown]
	v_add_f64_e32 v[142:143], v[190:191], v[188:189]
	v_add_f64_e32 v[180:181], v[180:181], v[186:187]
	s_wait_loadcnt_dscnt 0xa00
	v_mul_f64_e32 v[186:187], v[148:149], v[146:147]
	v_mul_f64_e32 v[146:147], v[150:151], v[146:147]
	v_fmac_f64_e32 v[182:183], v[6:7], v[160:161]
	v_fma_f64 v[160:161], v[4:5], v[160:161], -v[162:163]
	v_add_f64_e32 v[162:163], v[142:143], v[140:141]
	v_add_f64_e32 v[180:181], v[180:181], v[184:185]
	ds_load_b128 v[4:7], v2 offset:1600
	ds_load_b128 v[140:143], v2 offset:1616
	v_fmac_f64_e32 v[186:187], v[150:151], v[144:145]
	v_fma_f64 v[144:145], v[148:149], v[144:145], -v[146:147]
	s_wait_loadcnt_dscnt 0x901
	v_mul_f64_e32 v[184:185], v[4:5], v[178:179]
	v_mul_f64_e32 v[178:179], v[6:7], v[178:179]
	s_wait_loadcnt_dscnt 0x800
	v_mul_f64_e32 v[150:151], v[140:141], v[10:11]
	v_mul_f64_e32 v[10:11], v[142:143], v[10:11]
	v_add_f64_e32 v[146:147], v[162:163], v[160:161]
	v_add_f64_e32 v[148:149], v[180:181], v[182:183]
	v_fmac_f64_e32 v[184:185], v[6:7], v[176:177]
	v_fma_f64 v[160:161], v[4:5], v[176:177], -v[178:179]
	v_fmac_f64_e32 v[150:151], v[142:143], v[8:9]
	v_fma_f64 v[8:9], v[140:141], v[8:9], -v[10:11]
	v_add_f64_e32 v[162:163], v[146:147], v[144:145]
	v_add_f64_e32 v[148:149], v[148:149], v[186:187]
	ds_load_b128 v[4:7], v2 offset:1632
	ds_load_b128 v[144:147], v2 offset:1648
	s_wait_loadcnt_dscnt 0x701
	v_mul_f64_e32 v[176:177], v[4:5], v[166:167]
	v_mul_f64_e32 v[166:167], v[6:7], v[166:167]
	s_wait_loadcnt_dscnt 0x600
	v_mul_f64_e32 v[142:143], v[144:145], v[130:131]
	v_mul_f64_e32 v[130:131], v[146:147], v[130:131]
	v_add_f64_e32 v[10:11], v[162:163], v[160:161]
	v_add_f64_e32 v[140:141], v[148:149], v[184:185]
	v_fmac_f64_e32 v[176:177], v[6:7], v[164:165]
	v_fma_f64 v[148:149], v[4:5], v[164:165], -v[166:167]
	v_fmac_f64_e32 v[142:143], v[146:147], v[128:129]
	v_fma_f64 v[128:129], v[144:145], v[128:129], -v[130:131]
	v_add_f64_e32 v[160:161], v[10:11], v[8:9]
	v_add_f64_e32 v[140:141], v[140:141], v[150:151]
	ds_load_b128 v[4:7], v2 offset:1664
	ds_load_b128 v[8:11], v2 offset:1680
	;; [unrolled: 16-line block ×4, first 2 shown]
	s_wait_loadcnt_dscnt 0x101
	v_mul_f64_e32 v[2:3], v[4:5], v[158:159]
	v_mul_f64_e32 v[144:145], v[6:7], v[158:159]
	s_wait_loadcnt_dscnt 0x0
	v_mul_f64_e32 v[132:133], v[8:9], v[138:139]
	v_mul_f64_e32 v[134:135], v[10:11], v[138:139]
	v_add_f64_e32 v[130:131], v[146:147], v[140:141]
	v_add_f64_e32 v[12:13], v[12:13], v[142:143]
	v_fmac_f64_e32 v[2:3], v[6:7], v[156:157]
	v_fma_f64 v[4:5], v[4:5], v[156:157], -v[144:145]
	v_fmac_f64_e32 v[132:133], v[10:11], v[136:137]
	v_fma_f64 v[8:9], v[8:9], v[136:137], -v[134:135]
	v_add_f64_e32 v[6:7], v[130:131], v[128:129]
	v_add_f64_e32 v[12:13], v[12:13], v[14:15]
	s_delay_alu instid0(VALU_DEP_2) | instskip(NEXT) | instid1(VALU_DEP_2)
	v_add_f64_e32 v[4:5], v[6:7], v[4:5]
	v_add_f64_e32 v[2:3], v[12:13], v[2:3]
	s_delay_alu instid0(VALU_DEP_2) | instskip(NEXT) | instid1(VALU_DEP_2)
	v_add_f64_e32 v[4:5], v[4:5], v[8:9]
	v_add_f64_e32 v[6:7], v[2:3], v[132:133]
	s_delay_alu instid0(VALU_DEP_2) | instskip(NEXT) | instid1(VALU_DEP_2)
	v_add_f64_e64 v[2:3], v[168:169], -v[4:5]
	v_add_f64_e64 v[4:5], v[170:171], -v[6:7]
	scratch_store_b128 off, v[2:5], off offset:128
	s_wait_xcnt 0x0
	v_cmpx_lt_u32_e32 7, v1
	s_cbranch_execz .LBB118_329
; %bb.328:
	scratch_load_b128 v[2:5], off, s64
	v_mov_b32_e32 v6, 0
	s_delay_alu instid0(VALU_DEP_1)
	v_dual_mov_b32 v7, v6 :: v_dual_mov_b32 v8, v6
	v_mov_b32_e32 v9, v6
	scratch_store_b128 off, v[6:9], off offset:112
	s_wait_loadcnt 0x0
	ds_store_b128 v126, v[2:5]
.LBB118_329:
	s_wait_xcnt 0x0
	s_or_b32 exec_lo, exec_lo, s2
	s_wait_storecnt_dscnt 0x0
	s_barrier_signal -1
	s_barrier_wait -1
	s_clause 0x9
	scratch_load_b128 v[4:7], off, off offset:128
	scratch_load_b128 v[8:11], off, off offset:144
	;; [unrolled: 1-line block ×10, first 2 shown]
	v_mov_b32_e32 v2, 0
	s_mov_b32 s2, exec_lo
	ds_load_b128 v[156:159], v2 offset:1008
	s_clause 0x2
	scratch_load_b128 v[160:163], off, off offset:288
	scratch_load_b128 v[164:167], off, off offset:112
	;; [unrolled: 1-line block ×3, first 2 shown]
	s_wait_loadcnt_dscnt 0xc00
	v_mul_f64_e32 v[176:177], v[158:159], v[6:7]
	v_mul_f64_e32 v[180:181], v[156:157], v[6:7]
	ds_load_b128 v[168:171], v2 offset:1024
	v_fma_f64 v[184:185], v[156:157], v[4:5], -v[176:177]
	v_fmac_f64_e32 v[180:181], v[158:159], v[4:5]
	ds_load_b128 v[4:7], v2 offset:1040
	s_wait_loadcnt_dscnt 0xb01
	v_mul_f64_e32 v[182:183], v[168:169], v[10:11]
	v_mul_f64_e32 v[10:11], v[170:171], v[10:11]
	scratch_load_b128 v[156:159], off, off offset:320
	ds_load_b128 v[176:179], v2 offset:1056
	s_wait_loadcnt_dscnt 0xb01
	v_mul_f64_e32 v[186:187], v[4:5], v[14:15]
	v_mul_f64_e32 v[14:15], v[6:7], v[14:15]
	v_add_f64_e32 v[180:181], 0, v[180:181]
	v_fmac_f64_e32 v[182:183], v[170:171], v[8:9]
	v_fma_f64 v[168:169], v[168:169], v[8:9], -v[10:11]
	v_add_f64_e32 v[170:171], 0, v[184:185]
	scratch_load_b128 v[8:11], off, off offset:336
	v_fmac_f64_e32 v[186:187], v[6:7], v[12:13]
	v_fma_f64 v[188:189], v[4:5], v[12:13], -v[14:15]
	ds_load_b128 v[4:7], v2 offset:1072
	s_wait_loadcnt_dscnt 0xb01
	v_mul_f64_e32 v[184:185], v[176:177], v[130:131]
	v_mul_f64_e32 v[130:131], v[178:179], v[130:131]
	scratch_load_b128 v[12:15], off, off offset:352
	v_add_f64_e32 v[180:181], v[180:181], v[182:183]
	v_add_f64_e32 v[190:191], v[170:171], v[168:169]
	ds_load_b128 v[168:171], v2 offset:1088
	s_wait_loadcnt_dscnt 0xb01
	v_mul_f64_e32 v[182:183], v[4:5], v[134:135]
	v_mul_f64_e32 v[134:135], v[6:7], v[134:135]
	v_fmac_f64_e32 v[184:185], v[178:179], v[128:129]
	v_fma_f64 v[176:177], v[176:177], v[128:129], -v[130:131]
	scratch_load_b128 v[128:131], off, off offset:368
	v_add_f64_e32 v[180:181], v[180:181], v[186:187]
	v_add_f64_e32 v[178:179], v[190:191], v[188:189]
	v_fmac_f64_e32 v[182:183], v[6:7], v[132:133]
	v_fma_f64 v[188:189], v[4:5], v[132:133], -v[134:135]
	ds_load_b128 v[4:7], v2 offset:1104
	s_wait_loadcnt_dscnt 0xb01
	v_mul_f64_e32 v[186:187], v[168:169], v[138:139]
	v_mul_f64_e32 v[138:139], v[170:171], v[138:139]
	scratch_load_b128 v[132:135], off, off offset:384
	v_add_f64_e32 v[180:181], v[180:181], v[184:185]
	s_wait_loadcnt_dscnt 0xb00
	v_mul_f64_e32 v[184:185], v[4:5], v[142:143]
	v_add_f64_e32 v[190:191], v[178:179], v[176:177]
	v_mul_f64_e32 v[142:143], v[6:7], v[142:143]
	ds_load_b128 v[176:179], v2 offset:1120
	v_fmac_f64_e32 v[186:187], v[170:171], v[136:137]
	v_fma_f64 v[168:169], v[168:169], v[136:137], -v[138:139]
	scratch_load_b128 v[136:139], off, off offset:400
	v_add_f64_e32 v[180:181], v[180:181], v[182:183]
	v_fmac_f64_e32 v[184:185], v[6:7], v[140:141]
	v_add_f64_e32 v[170:171], v[190:191], v[188:189]
	v_fma_f64 v[188:189], v[4:5], v[140:141], -v[142:143]
	ds_load_b128 v[4:7], v2 offset:1136
	s_wait_loadcnt_dscnt 0xb01
	v_mul_f64_e32 v[182:183], v[176:177], v[146:147]
	v_mul_f64_e32 v[146:147], v[178:179], v[146:147]
	scratch_load_b128 v[140:143], off, off offset:416
	v_add_f64_e32 v[180:181], v[180:181], v[186:187]
	s_wait_loadcnt_dscnt 0xb00
	v_mul_f64_e32 v[186:187], v[4:5], v[150:151]
	v_add_f64_e32 v[190:191], v[170:171], v[168:169]
	v_mul_f64_e32 v[150:151], v[6:7], v[150:151]
	ds_load_b128 v[168:171], v2 offset:1152
	v_fmac_f64_e32 v[182:183], v[178:179], v[144:145]
	v_fma_f64 v[176:177], v[176:177], v[144:145], -v[146:147]
	scratch_load_b128 v[144:147], off, off offset:432
	v_add_f64_e32 v[180:181], v[180:181], v[184:185]
	v_fmac_f64_e32 v[186:187], v[6:7], v[148:149]
	v_add_f64_e32 v[178:179], v[190:191], v[188:189]
	;; [unrolled: 18-line block ×3, first 2 shown]
	v_fma_f64 v[188:189], v[4:5], v[160:161], -v[162:163]
	ds_load_b128 v[4:7], v2 offset:1200
	s_wait_loadcnt_dscnt 0xa01
	v_mul_f64_e32 v[186:187], v[176:177], v[174:175]
	v_mul_f64_e32 v[174:175], v[178:179], v[174:175]
	scratch_load_b128 v[160:163], off, off offset:480
	v_add_f64_e32 v[180:181], v[180:181], v[184:185]
	v_add_f64_e32 v[190:191], v[170:171], v[168:169]
	s_wait_loadcnt_dscnt 0xa00
	v_mul_f64_e32 v[184:185], v[4:5], v[158:159]
	v_mul_f64_e32 v[158:159], v[6:7], v[158:159]
	v_fmac_f64_e32 v[186:187], v[178:179], v[172:173]
	v_fma_f64 v[176:177], v[176:177], v[172:173], -v[174:175]
	ds_load_b128 v[168:171], v2 offset:1216
	scratch_load_b128 v[172:175], off, off offset:496
	v_add_f64_e32 v[180:181], v[180:181], v[182:183]
	v_add_f64_e32 v[178:179], v[190:191], v[188:189]
	v_fmac_f64_e32 v[184:185], v[6:7], v[156:157]
	v_fma_f64 v[188:189], v[4:5], v[156:157], -v[158:159]
	ds_load_b128 v[4:7], v2 offset:1232
	s_wait_loadcnt_dscnt 0xa01
	v_mul_f64_e32 v[182:183], v[168:169], v[10:11]
	v_mul_f64_e32 v[10:11], v[170:171], v[10:11]
	scratch_load_b128 v[156:159], off, off offset:512
	v_add_f64_e32 v[180:181], v[180:181], v[186:187]
	s_wait_loadcnt_dscnt 0xa00
	v_mul_f64_e32 v[186:187], v[4:5], v[14:15]
	v_add_f64_e32 v[190:191], v[178:179], v[176:177]
	v_mul_f64_e32 v[14:15], v[6:7], v[14:15]
	ds_load_b128 v[176:179], v2 offset:1248
	v_fmac_f64_e32 v[182:183], v[170:171], v[8:9]
	v_fma_f64 v[168:169], v[168:169], v[8:9], -v[10:11]
	scratch_load_b128 v[8:11], off, off offset:528
	v_add_f64_e32 v[180:181], v[180:181], v[184:185]
	v_fmac_f64_e32 v[186:187], v[6:7], v[12:13]
	v_add_f64_e32 v[170:171], v[190:191], v[188:189]
	v_fma_f64 v[188:189], v[4:5], v[12:13], -v[14:15]
	ds_load_b128 v[4:7], v2 offset:1264
	s_wait_loadcnt_dscnt 0xa01
	v_mul_f64_e32 v[184:185], v[176:177], v[130:131]
	v_mul_f64_e32 v[130:131], v[178:179], v[130:131]
	scratch_load_b128 v[12:15], off, off offset:544
	v_add_f64_e32 v[180:181], v[180:181], v[182:183]
	s_wait_loadcnt_dscnt 0xa00
	v_mul_f64_e32 v[182:183], v[4:5], v[134:135]
	v_add_f64_e32 v[190:191], v[170:171], v[168:169]
	v_mul_f64_e32 v[134:135], v[6:7], v[134:135]
	ds_load_b128 v[168:171], v2 offset:1280
	v_fmac_f64_e32 v[184:185], v[178:179], v[128:129]
	v_fma_f64 v[176:177], v[176:177], v[128:129], -v[130:131]
	scratch_load_b128 v[128:131], off, off offset:560
	v_add_f64_e32 v[180:181], v[180:181], v[186:187]
	v_fmac_f64_e32 v[182:183], v[6:7], v[132:133]
	v_add_f64_e32 v[178:179], v[190:191], v[188:189]
	;; [unrolled: 18-line block ×11, first 2 shown]
	v_fma_f64 v[188:189], v[4:5], v[160:161], -v[162:163]
	ds_load_b128 v[4:7], v2 offset:1584
	s_wait_loadcnt_dscnt 0xa01
	v_mul_f64_e32 v[186:187], v[176:177], v[174:175]
	v_mul_f64_e32 v[174:175], v[178:179], v[174:175]
	scratch_load_b128 v[160:163], off, off offset:864
	v_add_f64_e32 v[180:181], v[180:181], v[184:185]
	s_wait_loadcnt_dscnt 0xa00
	v_mul_f64_e32 v[184:185], v[4:5], v[158:159]
	v_add_f64_e32 v[190:191], v[170:171], v[168:169]
	v_mul_f64_e32 v[158:159], v[6:7], v[158:159]
	ds_load_b128 v[168:171], v2 offset:1600
	v_fmac_f64_e32 v[186:187], v[178:179], v[172:173]
	v_fma_f64 v[172:173], v[176:177], v[172:173], -v[174:175]
	s_wait_loadcnt_dscnt 0x900
	v_mul_f64_e32 v[178:179], v[168:169], v[10:11]
	v_mul_f64_e32 v[10:11], v[170:171], v[10:11]
	v_add_f64_e32 v[176:177], v[180:181], v[182:183]
	v_fmac_f64_e32 v[184:185], v[6:7], v[156:157]
	v_add_f64_e32 v[174:175], v[190:191], v[188:189]
	v_fma_f64 v[180:181], v[4:5], v[156:157], -v[158:159]
	ds_load_b128 v[4:7], v2 offset:1616
	ds_load_b128 v[156:159], v2 offset:1632
	v_fmac_f64_e32 v[178:179], v[170:171], v[8:9]
	v_fma_f64 v[8:9], v[168:169], v[8:9], -v[10:11]
	v_add_f64_e32 v[172:173], v[174:175], v[172:173]
	v_add_f64_e32 v[174:175], v[176:177], v[186:187]
	s_wait_loadcnt_dscnt 0x801
	v_mul_f64_e32 v[176:177], v[4:5], v[14:15]
	v_mul_f64_e32 v[14:15], v[6:7], v[14:15]
	s_wait_loadcnt_dscnt 0x700
	v_mul_f64_e32 v[170:171], v[156:157], v[130:131]
	v_mul_f64_e32 v[130:131], v[158:159], v[130:131]
	v_add_f64_e32 v[10:11], v[172:173], v[180:181]
	v_add_f64_e32 v[168:169], v[174:175], v[184:185]
	v_fmac_f64_e32 v[176:177], v[6:7], v[12:13]
	v_fma_f64 v[12:13], v[4:5], v[12:13], -v[14:15]
	v_fmac_f64_e32 v[170:171], v[158:159], v[128:129]
	v_fma_f64 v[128:129], v[156:157], v[128:129], -v[130:131]
	v_add_f64_e32 v[14:15], v[10:11], v[8:9]
	v_add_f64_e32 v[168:169], v[168:169], v[178:179]
	ds_load_b128 v[4:7], v2 offset:1648
	ds_load_b128 v[8:11], v2 offset:1664
	s_wait_loadcnt_dscnt 0x601
	v_mul_f64_e32 v[172:173], v[4:5], v[134:135]
	v_mul_f64_e32 v[134:135], v[6:7], v[134:135]
	s_wait_loadcnt_dscnt 0x500
	v_mul_f64_e32 v[130:131], v[8:9], v[138:139]
	v_mul_f64_e32 v[138:139], v[10:11], v[138:139]
	v_add_f64_e32 v[12:13], v[14:15], v[12:13]
	v_add_f64_e32 v[14:15], v[168:169], v[176:177]
	v_fmac_f64_e32 v[172:173], v[6:7], v[132:133]
	v_fma_f64 v[132:133], v[4:5], v[132:133], -v[134:135]
	v_fmac_f64_e32 v[130:131], v[10:11], v[136:137]
	v_fma_f64 v[8:9], v[8:9], v[136:137], -v[138:139]
	v_add_f64_e32 v[128:129], v[12:13], v[128:129]
	v_add_f64_e32 v[134:135], v[14:15], v[170:171]
	ds_load_b128 v[4:7], v2 offset:1680
	ds_load_b128 v[12:15], v2 offset:1696
	s_wait_loadcnt_dscnt 0x401
	v_mul_f64_e32 v[156:157], v[4:5], v[142:143]
	v_mul_f64_e32 v[142:143], v[6:7], v[142:143]
	v_add_f64_e32 v[10:11], v[128:129], v[132:133]
	v_add_f64_e32 v[128:129], v[134:135], v[172:173]
	s_wait_loadcnt_dscnt 0x300
	v_mul_f64_e32 v[132:133], v[12:13], v[146:147]
	v_mul_f64_e32 v[134:135], v[14:15], v[146:147]
	v_fmac_f64_e32 v[156:157], v[6:7], v[140:141]
	v_fma_f64 v[136:137], v[4:5], v[140:141], -v[142:143]
	v_add_f64_e32 v[138:139], v[10:11], v[8:9]
	v_add_f64_e32 v[128:129], v[128:129], v[130:131]
	ds_load_b128 v[4:7], v2 offset:1712
	ds_load_b128 v[8:11], v2 offset:1728
	v_fmac_f64_e32 v[132:133], v[14:15], v[144:145]
	v_fma_f64 v[12:13], v[12:13], v[144:145], -v[134:135]
	s_wait_loadcnt_dscnt 0x201
	v_mul_f64_e32 v[130:131], v[4:5], v[150:151]
	v_mul_f64_e32 v[140:141], v[6:7], v[150:151]
	s_wait_loadcnt_dscnt 0x100
	v_mul_f64_e32 v[134:135], v[8:9], v[154:155]
	v_add_f64_e32 v[14:15], v[138:139], v[136:137]
	v_add_f64_e32 v[128:129], v[128:129], v[156:157]
	v_mul_f64_e32 v[136:137], v[10:11], v[154:155]
	v_fmac_f64_e32 v[130:131], v[6:7], v[148:149]
	v_fma_f64 v[138:139], v[4:5], v[148:149], -v[140:141]
	ds_load_b128 v[4:7], v2 offset:1744
	v_fmac_f64_e32 v[134:135], v[10:11], v[152:153]
	v_add_f64_e32 v[12:13], v[14:15], v[12:13]
	v_add_f64_e32 v[14:15], v[128:129], v[132:133]
	v_fma_f64 v[8:9], v[8:9], v[152:153], -v[136:137]
	s_wait_loadcnt_dscnt 0x0
	v_mul_f64_e32 v[128:129], v[4:5], v[162:163]
	v_mul_f64_e32 v[132:133], v[6:7], v[162:163]
	v_add_f64_e32 v[10:11], v[12:13], v[138:139]
	v_add_f64_e32 v[12:13], v[14:15], v[130:131]
	s_delay_alu instid0(VALU_DEP_4) | instskip(NEXT) | instid1(VALU_DEP_4)
	v_fmac_f64_e32 v[128:129], v[6:7], v[160:161]
	v_fma_f64 v[4:5], v[4:5], v[160:161], -v[132:133]
	s_delay_alu instid0(VALU_DEP_4) | instskip(NEXT) | instid1(VALU_DEP_4)
	v_add_f64_e32 v[6:7], v[10:11], v[8:9]
	v_add_f64_e32 v[8:9], v[12:13], v[134:135]
	s_delay_alu instid0(VALU_DEP_2) | instskip(NEXT) | instid1(VALU_DEP_2)
	v_add_f64_e32 v[4:5], v[6:7], v[4:5]
	v_add_f64_e32 v[6:7], v[8:9], v[128:129]
	s_delay_alu instid0(VALU_DEP_2) | instskip(NEXT) | instid1(VALU_DEP_2)
	v_add_f64_e64 v[4:5], v[164:165], -v[4:5]
	v_add_f64_e64 v[6:7], v[166:167], -v[6:7]
	scratch_store_b128 off, v[4:7], off offset:112
	s_wait_xcnt 0x0
	v_cmpx_lt_u32_e32 6, v1
	s_cbranch_execz .LBB118_331
; %bb.330:
	scratch_load_b128 v[6:9], off, s65
	v_dual_mov_b32 v3, v2 :: v_dual_mov_b32 v4, v2
	v_mov_b32_e32 v5, v2
	scratch_store_b128 off, v[2:5], off offset:96
	s_wait_loadcnt 0x0
	ds_store_b128 v126, v[6:9]
.LBB118_331:
	s_wait_xcnt 0x0
	s_or_b32 exec_lo, exec_lo, s2
	s_wait_storecnt_dscnt 0x0
	s_barrier_signal -1
	s_barrier_wait -1
	s_clause 0x9
	scratch_load_b128 v[4:7], off, off offset:112
	scratch_load_b128 v[8:11], off, off offset:128
	;; [unrolled: 1-line block ×10, first 2 shown]
	ds_load_b128 v[156:159], v2 offset:992
	ds_load_b128 v[164:167], v2 offset:1008
	s_clause 0x2
	scratch_load_b128 v[160:163], off, off offset:272
	scratch_load_b128 v[168:171], off, off offset:96
	scratch_load_b128 v[172:175], off, off offset:288
	s_mov_b32 s2, exec_lo
	s_wait_loadcnt_dscnt 0xc01
	v_mul_f64_e32 v[176:177], v[158:159], v[6:7]
	v_mul_f64_e32 v[180:181], v[156:157], v[6:7]
	s_wait_loadcnt_dscnt 0xb00
	v_mul_f64_e32 v[182:183], v[164:165], v[10:11]
	v_mul_f64_e32 v[10:11], v[166:167], v[10:11]
	s_delay_alu instid0(VALU_DEP_4) | instskip(NEXT) | instid1(VALU_DEP_4)
	v_fma_f64 v[184:185], v[156:157], v[4:5], -v[176:177]
	v_fmac_f64_e32 v[180:181], v[158:159], v[4:5]
	ds_load_b128 v[4:7], v2 offset:1024
	ds_load_b128 v[156:159], v2 offset:1040
	scratch_load_b128 v[176:179], off, off offset:304
	v_fmac_f64_e32 v[182:183], v[166:167], v[8:9]
	v_fma_f64 v[164:165], v[164:165], v[8:9], -v[10:11]
	scratch_load_b128 v[8:11], off, off offset:320
	s_wait_loadcnt_dscnt 0xc01
	v_mul_f64_e32 v[186:187], v[4:5], v[14:15]
	v_mul_f64_e32 v[14:15], v[6:7], v[14:15]
	v_add_f64_e32 v[166:167], 0, v[184:185]
	v_add_f64_e32 v[180:181], 0, v[180:181]
	s_wait_loadcnt_dscnt 0xb00
	v_mul_f64_e32 v[184:185], v[156:157], v[130:131]
	v_mul_f64_e32 v[130:131], v[158:159], v[130:131]
	v_fmac_f64_e32 v[186:187], v[6:7], v[12:13]
	v_fma_f64 v[188:189], v[4:5], v[12:13], -v[14:15]
	ds_load_b128 v[4:7], v2 offset:1056
	ds_load_b128 v[12:15], v2 offset:1072
	v_add_f64_e32 v[190:191], v[166:167], v[164:165]
	v_add_f64_e32 v[180:181], v[180:181], v[182:183]
	scratch_load_b128 v[164:167], off, off offset:336
	v_fmac_f64_e32 v[184:185], v[158:159], v[128:129]
	v_fma_f64 v[156:157], v[156:157], v[128:129], -v[130:131]
	scratch_load_b128 v[128:131], off, off offset:352
	s_wait_loadcnt_dscnt 0xc01
	v_mul_f64_e32 v[182:183], v[4:5], v[134:135]
	v_mul_f64_e32 v[134:135], v[6:7], v[134:135]
	v_add_f64_e32 v[158:159], v[190:191], v[188:189]
	v_add_f64_e32 v[180:181], v[180:181], v[186:187]
	s_wait_loadcnt_dscnt 0xb00
	v_mul_f64_e32 v[186:187], v[12:13], v[138:139]
	v_mul_f64_e32 v[138:139], v[14:15], v[138:139]
	v_fmac_f64_e32 v[182:183], v[6:7], v[132:133]
	v_fma_f64 v[188:189], v[4:5], v[132:133], -v[134:135]
	ds_load_b128 v[4:7], v2 offset:1088
	ds_load_b128 v[132:135], v2 offset:1104
	v_add_f64_e32 v[190:191], v[158:159], v[156:157]
	v_add_f64_e32 v[180:181], v[180:181], v[184:185]
	scratch_load_b128 v[156:159], off, off offset:368
	s_wait_loadcnt_dscnt 0xb01
	v_mul_f64_e32 v[184:185], v[4:5], v[142:143]
	v_mul_f64_e32 v[142:143], v[6:7], v[142:143]
	v_fmac_f64_e32 v[186:187], v[14:15], v[136:137]
	v_fma_f64 v[136:137], v[12:13], v[136:137], -v[138:139]
	scratch_load_b128 v[12:15], off, off offset:384
	v_add_f64_e32 v[138:139], v[190:191], v[188:189]
	v_add_f64_e32 v[180:181], v[180:181], v[182:183]
	s_wait_loadcnt_dscnt 0xb00
	v_mul_f64_e32 v[182:183], v[132:133], v[146:147]
	v_mul_f64_e32 v[146:147], v[134:135], v[146:147]
	v_fmac_f64_e32 v[184:185], v[6:7], v[140:141]
	v_fma_f64 v[188:189], v[4:5], v[140:141], -v[142:143]
	v_add_f64_e32 v[190:191], v[138:139], v[136:137]
	v_add_f64_e32 v[180:181], v[180:181], v[186:187]
	ds_load_b128 v[4:7], v2 offset:1120
	ds_load_b128 v[136:139], v2 offset:1136
	scratch_load_b128 v[140:143], off, off offset:400
	v_fmac_f64_e32 v[182:183], v[134:135], v[144:145]
	v_fma_f64 v[144:145], v[132:133], v[144:145], -v[146:147]
	scratch_load_b128 v[132:135], off, off offset:416
	s_wait_loadcnt_dscnt 0xc01
	v_mul_f64_e32 v[186:187], v[4:5], v[150:151]
	v_mul_f64_e32 v[150:151], v[6:7], v[150:151]
	v_add_f64_e32 v[146:147], v[190:191], v[188:189]
	v_add_f64_e32 v[180:181], v[180:181], v[184:185]
	s_wait_loadcnt_dscnt 0xb00
	v_mul_f64_e32 v[184:185], v[136:137], v[154:155]
	v_mul_f64_e32 v[154:155], v[138:139], v[154:155]
	v_fmac_f64_e32 v[186:187], v[6:7], v[148:149]
	v_fma_f64 v[188:189], v[4:5], v[148:149], -v[150:151]
	v_add_f64_e32 v[190:191], v[146:147], v[144:145]
	v_add_f64_e32 v[180:181], v[180:181], v[182:183]
	ds_load_b128 v[4:7], v2 offset:1152
	ds_load_b128 v[144:147], v2 offset:1168
	scratch_load_b128 v[148:151], off, off offset:432
	v_fmac_f64_e32 v[184:185], v[138:139], v[152:153]
	v_fma_f64 v[152:153], v[136:137], v[152:153], -v[154:155]
	scratch_load_b128 v[136:139], off, off offset:448
	s_wait_loadcnt_dscnt 0xc01
	v_mul_f64_e32 v[182:183], v[4:5], v[162:163]
	v_mul_f64_e32 v[162:163], v[6:7], v[162:163]
	v_add_f64_e32 v[154:155], v[190:191], v[188:189]
	v_add_f64_e32 v[180:181], v[180:181], v[186:187]
	s_wait_loadcnt_dscnt 0xa00
	v_mul_f64_e32 v[186:187], v[144:145], v[174:175]
	v_mul_f64_e32 v[174:175], v[146:147], v[174:175]
	v_fmac_f64_e32 v[182:183], v[6:7], v[160:161]
	v_fma_f64 v[188:189], v[4:5], v[160:161], -v[162:163]
	v_add_f64_e32 v[190:191], v[154:155], v[152:153]
	v_add_f64_e32 v[180:181], v[180:181], v[184:185]
	ds_load_b128 v[4:7], v2 offset:1184
	ds_load_b128 v[152:155], v2 offset:1200
	scratch_load_b128 v[160:163], off, off offset:464
	v_fmac_f64_e32 v[186:187], v[146:147], v[172:173]
	v_fma_f64 v[172:173], v[144:145], v[172:173], -v[174:175]
	scratch_load_b128 v[144:147], off, off offset:480
	s_wait_loadcnt_dscnt 0xb01
	v_mul_f64_e32 v[184:185], v[4:5], v[178:179]
	v_mul_f64_e32 v[178:179], v[6:7], v[178:179]
	v_add_f64_e32 v[174:175], v[190:191], v[188:189]
	v_add_f64_e32 v[180:181], v[180:181], v[182:183]
	s_wait_loadcnt_dscnt 0xa00
	v_mul_f64_e32 v[182:183], v[152:153], v[10:11]
	v_mul_f64_e32 v[10:11], v[154:155], v[10:11]
	v_fmac_f64_e32 v[184:185], v[6:7], v[176:177]
	v_fma_f64 v[188:189], v[4:5], v[176:177], -v[178:179]
	v_add_f64_e32 v[190:191], v[174:175], v[172:173]
	v_add_f64_e32 v[180:181], v[180:181], v[186:187]
	ds_load_b128 v[4:7], v2 offset:1216
	ds_load_b128 v[172:175], v2 offset:1232
	scratch_load_b128 v[176:179], off, off offset:496
	v_fmac_f64_e32 v[182:183], v[154:155], v[8:9]
	v_fma_f64 v[152:153], v[152:153], v[8:9], -v[10:11]
	scratch_load_b128 v[8:11], off, off offset:512
	s_wait_loadcnt_dscnt 0xb01
	v_mul_f64_e32 v[186:187], v[4:5], v[166:167]
	v_mul_f64_e32 v[166:167], v[6:7], v[166:167]
	v_add_f64_e32 v[154:155], v[190:191], v[188:189]
	v_add_f64_e32 v[180:181], v[180:181], v[184:185]
	s_wait_loadcnt_dscnt 0xa00
	v_mul_f64_e32 v[184:185], v[172:173], v[130:131]
	v_mul_f64_e32 v[130:131], v[174:175], v[130:131]
	v_fmac_f64_e32 v[186:187], v[6:7], v[164:165]
	v_fma_f64 v[188:189], v[4:5], v[164:165], -v[166:167]
	v_add_f64_e32 v[190:191], v[154:155], v[152:153]
	v_add_f64_e32 v[180:181], v[180:181], v[182:183]
	ds_load_b128 v[4:7], v2 offset:1248
	ds_load_b128 v[152:155], v2 offset:1264
	scratch_load_b128 v[164:167], off, off offset:528
	v_fmac_f64_e32 v[184:185], v[174:175], v[128:129]
	v_fma_f64 v[172:173], v[172:173], v[128:129], -v[130:131]
	scratch_load_b128 v[128:131], off, off offset:544
	s_wait_loadcnt_dscnt 0xb01
	v_mul_f64_e32 v[182:183], v[4:5], v[158:159]
	v_mul_f64_e32 v[158:159], v[6:7], v[158:159]
	v_add_f64_e32 v[174:175], v[190:191], v[188:189]
	v_add_f64_e32 v[180:181], v[180:181], v[186:187]
	s_wait_loadcnt_dscnt 0xa00
	v_mul_f64_e32 v[186:187], v[152:153], v[14:15]
	v_mul_f64_e32 v[14:15], v[154:155], v[14:15]
	v_fmac_f64_e32 v[182:183], v[6:7], v[156:157]
	v_fma_f64 v[188:189], v[4:5], v[156:157], -v[158:159]
	ds_load_b128 v[4:7], v2 offset:1280
	ds_load_b128 v[156:159], v2 offset:1296
	v_add_f64_e32 v[190:191], v[174:175], v[172:173]
	v_add_f64_e32 v[180:181], v[180:181], v[184:185]
	scratch_load_b128 v[172:175], off, off offset:560
	v_fmac_f64_e32 v[186:187], v[154:155], v[12:13]
	v_fma_f64 v[152:153], v[152:153], v[12:13], -v[14:15]
	scratch_load_b128 v[12:15], off, off offset:576
	s_wait_loadcnt_dscnt 0xb01
	v_mul_f64_e32 v[184:185], v[4:5], v[142:143]
	v_mul_f64_e32 v[142:143], v[6:7], v[142:143]
	v_add_f64_e32 v[154:155], v[190:191], v[188:189]
	v_add_f64_e32 v[180:181], v[180:181], v[182:183]
	s_wait_loadcnt_dscnt 0xa00
	v_mul_f64_e32 v[182:183], v[156:157], v[134:135]
	v_mul_f64_e32 v[134:135], v[158:159], v[134:135]
	v_fmac_f64_e32 v[184:185], v[6:7], v[140:141]
	v_fma_f64 v[188:189], v[4:5], v[140:141], -v[142:143]
	ds_load_b128 v[4:7], v2 offset:1312
	ds_load_b128 v[140:143], v2 offset:1328
	v_add_f64_e32 v[190:191], v[154:155], v[152:153]
	v_add_f64_e32 v[180:181], v[180:181], v[186:187]
	scratch_load_b128 v[152:155], off, off offset:592
	s_wait_loadcnt_dscnt 0xa01
	v_mul_f64_e32 v[186:187], v[4:5], v[150:151]
	v_mul_f64_e32 v[150:151], v[6:7], v[150:151]
	v_fmac_f64_e32 v[182:183], v[158:159], v[132:133]
	v_fma_f64 v[156:157], v[156:157], v[132:133], -v[134:135]
	scratch_load_b128 v[132:135], off, off offset:608
	v_add_f64_e32 v[158:159], v[190:191], v[188:189]
	v_add_f64_e32 v[180:181], v[180:181], v[184:185]
	s_wait_loadcnt_dscnt 0xa00
	v_mul_f64_e32 v[184:185], v[140:141], v[138:139]
	v_mul_f64_e32 v[138:139], v[142:143], v[138:139]
	v_fmac_f64_e32 v[186:187], v[6:7], v[148:149]
	v_fma_f64 v[188:189], v[4:5], v[148:149], -v[150:151]
	ds_load_b128 v[4:7], v2 offset:1344
	ds_load_b128 v[148:151], v2 offset:1360
	v_add_f64_e32 v[190:191], v[158:159], v[156:157]
	v_add_f64_e32 v[180:181], v[180:181], v[182:183]
	scratch_load_b128 v[156:159], off, off offset:624
	s_wait_loadcnt_dscnt 0xa01
	v_mul_f64_e32 v[182:183], v[4:5], v[162:163]
	v_mul_f64_e32 v[162:163], v[6:7], v[162:163]
	v_fmac_f64_e32 v[184:185], v[142:143], v[136:137]
	v_fma_f64 v[140:141], v[140:141], v[136:137], -v[138:139]
	scratch_load_b128 v[136:139], off, off offset:640
	v_add_f64_e32 v[142:143], v[190:191], v[188:189]
	v_add_f64_e32 v[180:181], v[180:181], v[186:187]
	s_wait_loadcnt_dscnt 0xa00
	v_mul_f64_e32 v[186:187], v[148:149], v[146:147]
	v_mul_f64_e32 v[146:147], v[150:151], v[146:147]
	v_fmac_f64_e32 v[182:183], v[6:7], v[160:161]
	v_fma_f64 v[188:189], v[4:5], v[160:161], -v[162:163]
	v_add_f64_e32 v[190:191], v[142:143], v[140:141]
	v_add_f64_e32 v[180:181], v[180:181], v[184:185]
	ds_load_b128 v[4:7], v2 offset:1376
	ds_load_b128 v[140:143], v2 offset:1392
	scratch_load_b128 v[160:163], off, off offset:656
	v_fmac_f64_e32 v[186:187], v[150:151], v[144:145]
	v_fma_f64 v[148:149], v[148:149], v[144:145], -v[146:147]
	scratch_load_b128 v[144:147], off, off offset:672
	s_wait_loadcnt_dscnt 0xb01
	v_mul_f64_e32 v[184:185], v[4:5], v[178:179]
	v_mul_f64_e32 v[178:179], v[6:7], v[178:179]
	v_add_f64_e32 v[150:151], v[190:191], v[188:189]
	v_add_f64_e32 v[180:181], v[180:181], v[182:183]
	s_wait_loadcnt_dscnt 0xa00
	v_mul_f64_e32 v[182:183], v[140:141], v[10:11]
	v_mul_f64_e32 v[10:11], v[142:143], v[10:11]
	v_fmac_f64_e32 v[184:185], v[6:7], v[176:177]
	v_fma_f64 v[188:189], v[4:5], v[176:177], -v[178:179]
	v_add_f64_e32 v[190:191], v[150:151], v[148:149]
	v_add_f64_e32 v[180:181], v[180:181], v[186:187]
	ds_load_b128 v[4:7], v2 offset:1408
	ds_load_b128 v[148:151], v2 offset:1424
	scratch_load_b128 v[176:179], off, off offset:688
	v_fmac_f64_e32 v[182:183], v[142:143], v[8:9]
	v_fma_f64 v[140:141], v[140:141], v[8:9], -v[10:11]
	scratch_load_b128 v[8:11], off, off offset:704
	s_wait_loadcnt_dscnt 0xb01
	v_mul_f64_e32 v[186:187], v[4:5], v[166:167]
	v_mul_f64_e32 v[166:167], v[6:7], v[166:167]
	;; [unrolled: 18-line block ×7, first 2 shown]
	v_add_f64_e32 v[150:151], v[190:191], v[188:189]
	v_add_f64_e32 v[180:181], v[180:181], v[182:183]
	s_wait_loadcnt_dscnt 0xa00
	v_mul_f64_e32 v[182:183], v[140:141], v[10:11]
	v_mul_f64_e32 v[10:11], v[142:143], v[10:11]
	v_fmac_f64_e32 v[184:185], v[6:7], v[176:177]
	v_fma_f64 v[176:177], v[4:5], v[176:177], -v[178:179]
	v_add_f64_e32 v[178:179], v[150:151], v[148:149]
	v_add_f64_e32 v[180:181], v[180:181], v[186:187]
	ds_load_b128 v[4:7], v2 offset:1600
	ds_load_b128 v[148:151], v2 offset:1616
	v_fmac_f64_e32 v[182:183], v[142:143], v[8:9]
	v_fma_f64 v[8:9], v[140:141], v[8:9], -v[10:11]
	s_wait_loadcnt_dscnt 0x901
	v_mul_f64_e32 v[186:187], v[4:5], v[166:167]
	v_mul_f64_e32 v[166:167], v[6:7], v[166:167]
	s_wait_loadcnt_dscnt 0x800
	v_mul_f64_e32 v[142:143], v[148:149], v[130:131]
	v_mul_f64_e32 v[130:131], v[150:151], v[130:131]
	v_add_f64_e32 v[10:11], v[178:179], v[176:177]
	v_add_f64_e32 v[140:141], v[180:181], v[184:185]
	v_fmac_f64_e32 v[186:187], v[6:7], v[164:165]
	v_fma_f64 v[164:165], v[4:5], v[164:165], -v[166:167]
	v_fmac_f64_e32 v[142:143], v[150:151], v[128:129]
	v_fma_f64 v[128:129], v[148:149], v[128:129], -v[130:131]
	v_add_f64_e32 v[166:167], v[10:11], v[8:9]
	v_add_f64_e32 v[140:141], v[140:141], v[182:183]
	ds_load_b128 v[4:7], v2 offset:1632
	ds_load_b128 v[8:11], v2 offset:1648
	s_wait_loadcnt_dscnt 0x701
	v_mul_f64_e32 v[176:177], v[4:5], v[174:175]
	v_mul_f64_e32 v[174:175], v[6:7], v[174:175]
	s_wait_loadcnt_dscnt 0x600
	v_mul_f64_e32 v[148:149], v[8:9], v[14:15]
	v_mul_f64_e32 v[14:15], v[10:11], v[14:15]
	v_add_f64_e32 v[130:131], v[166:167], v[164:165]
	v_add_f64_e32 v[140:141], v[140:141], v[186:187]
	v_fmac_f64_e32 v[176:177], v[6:7], v[172:173]
	v_fma_f64 v[150:151], v[4:5], v[172:173], -v[174:175]
	v_fmac_f64_e32 v[148:149], v[10:11], v[12:13]
	v_fma_f64 v[8:9], v[8:9], v[12:13], -v[14:15]
	v_add_f64_e32 v[164:165], v[130:131], v[128:129]
	v_add_f64_e32 v[140:141], v[140:141], v[142:143]
	ds_load_b128 v[4:7], v2 offset:1664
	ds_load_b128 v[128:131], v2 offset:1680
	;; [unrolled: 16-line block ×4, first 2 shown]
	s_wait_loadcnt_dscnt 0x101
	v_mul_f64_e32 v[2:3], v[4:5], v[162:163]
	v_mul_f64_e32 v[140:141], v[6:7], v[162:163]
	s_wait_loadcnt_dscnt 0x0
	v_mul_f64_e32 v[134:135], v[14:15], v[146:147]
	v_add_f64_e32 v[10:11], v[128:129], v[138:139]
	v_add_f64_e32 v[128:129], v[130:131], v[148:149]
	v_mul_f64_e32 v[130:131], v[12:13], v[146:147]
	v_fmac_f64_e32 v[2:3], v[6:7], v[160:161]
	v_fma_f64 v[4:5], v[4:5], v[160:161], -v[140:141]
	v_add_f64_e32 v[6:7], v[10:11], v[8:9]
	v_add_f64_e32 v[8:9], v[128:129], v[132:133]
	v_fmac_f64_e32 v[130:131], v[14:15], v[144:145]
	v_fma_f64 v[10:11], v[12:13], v[144:145], -v[134:135]
	s_delay_alu instid0(VALU_DEP_4) | instskip(NEXT) | instid1(VALU_DEP_4)
	v_add_f64_e32 v[4:5], v[6:7], v[4:5]
	v_add_f64_e32 v[2:3], v[8:9], v[2:3]
	s_delay_alu instid0(VALU_DEP_2) | instskip(NEXT) | instid1(VALU_DEP_2)
	v_add_f64_e32 v[4:5], v[4:5], v[10:11]
	v_add_f64_e32 v[6:7], v[2:3], v[130:131]
	s_delay_alu instid0(VALU_DEP_2) | instskip(NEXT) | instid1(VALU_DEP_2)
	v_add_f64_e64 v[2:3], v[168:169], -v[4:5]
	v_add_f64_e64 v[4:5], v[170:171], -v[6:7]
	scratch_store_b128 off, v[2:5], off offset:96
	s_wait_xcnt 0x0
	v_cmpx_lt_u32_e32 5, v1
	s_cbranch_execz .LBB118_333
; %bb.332:
	scratch_load_b128 v[2:5], off, s66
	v_mov_b32_e32 v6, 0
	s_delay_alu instid0(VALU_DEP_1)
	v_dual_mov_b32 v7, v6 :: v_dual_mov_b32 v8, v6
	v_mov_b32_e32 v9, v6
	scratch_store_b128 off, v[6:9], off offset:80
	s_wait_loadcnt 0x0
	ds_store_b128 v126, v[2:5]
.LBB118_333:
	s_wait_xcnt 0x0
	s_or_b32 exec_lo, exec_lo, s2
	s_wait_storecnt_dscnt 0x0
	s_barrier_signal -1
	s_barrier_wait -1
	s_clause 0x9
	scratch_load_b128 v[4:7], off, off offset:96
	scratch_load_b128 v[8:11], off, off offset:112
	;; [unrolled: 1-line block ×10, first 2 shown]
	v_mov_b32_e32 v2, 0
	s_mov_b32 s2, exec_lo
	ds_load_b128 v[156:159], v2 offset:976
	s_clause 0x2
	scratch_load_b128 v[160:163], off, off offset:256
	scratch_load_b128 v[164:167], off, off offset:80
	;; [unrolled: 1-line block ×3, first 2 shown]
	s_wait_loadcnt_dscnt 0xc00
	v_mul_f64_e32 v[176:177], v[158:159], v[6:7]
	v_mul_f64_e32 v[180:181], v[156:157], v[6:7]
	ds_load_b128 v[168:171], v2 offset:992
	v_fma_f64 v[184:185], v[156:157], v[4:5], -v[176:177]
	v_fmac_f64_e32 v[180:181], v[158:159], v[4:5]
	ds_load_b128 v[4:7], v2 offset:1008
	s_wait_loadcnt_dscnt 0xb01
	v_mul_f64_e32 v[182:183], v[168:169], v[10:11]
	v_mul_f64_e32 v[10:11], v[170:171], v[10:11]
	scratch_load_b128 v[156:159], off, off offset:288
	ds_load_b128 v[176:179], v2 offset:1024
	s_wait_loadcnt_dscnt 0xb01
	v_mul_f64_e32 v[186:187], v[4:5], v[14:15]
	v_mul_f64_e32 v[14:15], v[6:7], v[14:15]
	v_add_f64_e32 v[180:181], 0, v[180:181]
	v_fmac_f64_e32 v[182:183], v[170:171], v[8:9]
	v_fma_f64 v[168:169], v[168:169], v[8:9], -v[10:11]
	v_add_f64_e32 v[170:171], 0, v[184:185]
	scratch_load_b128 v[8:11], off, off offset:304
	v_fmac_f64_e32 v[186:187], v[6:7], v[12:13]
	v_fma_f64 v[188:189], v[4:5], v[12:13], -v[14:15]
	ds_load_b128 v[4:7], v2 offset:1040
	s_wait_loadcnt_dscnt 0xb01
	v_mul_f64_e32 v[184:185], v[176:177], v[130:131]
	v_mul_f64_e32 v[130:131], v[178:179], v[130:131]
	scratch_load_b128 v[12:15], off, off offset:320
	v_add_f64_e32 v[180:181], v[180:181], v[182:183]
	v_add_f64_e32 v[190:191], v[170:171], v[168:169]
	ds_load_b128 v[168:171], v2 offset:1056
	s_wait_loadcnt_dscnt 0xb01
	v_mul_f64_e32 v[182:183], v[4:5], v[134:135]
	v_mul_f64_e32 v[134:135], v[6:7], v[134:135]
	v_fmac_f64_e32 v[184:185], v[178:179], v[128:129]
	v_fma_f64 v[176:177], v[176:177], v[128:129], -v[130:131]
	scratch_load_b128 v[128:131], off, off offset:336
	v_add_f64_e32 v[180:181], v[180:181], v[186:187]
	v_add_f64_e32 v[178:179], v[190:191], v[188:189]
	v_fmac_f64_e32 v[182:183], v[6:7], v[132:133]
	v_fma_f64 v[188:189], v[4:5], v[132:133], -v[134:135]
	ds_load_b128 v[4:7], v2 offset:1072
	s_wait_loadcnt_dscnt 0xb01
	v_mul_f64_e32 v[186:187], v[168:169], v[138:139]
	v_mul_f64_e32 v[138:139], v[170:171], v[138:139]
	scratch_load_b128 v[132:135], off, off offset:352
	v_add_f64_e32 v[180:181], v[180:181], v[184:185]
	s_wait_loadcnt_dscnt 0xb00
	v_mul_f64_e32 v[184:185], v[4:5], v[142:143]
	v_add_f64_e32 v[190:191], v[178:179], v[176:177]
	v_mul_f64_e32 v[142:143], v[6:7], v[142:143]
	ds_load_b128 v[176:179], v2 offset:1088
	v_fmac_f64_e32 v[186:187], v[170:171], v[136:137]
	v_fma_f64 v[168:169], v[168:169], v[136:137], -v[138:139]
	scratch_load_b128 v[136:139], off, off offset:368
	v_add_f64_e32 v[180:181], v[180:181], v[182:183]
	v_fmac_f64_e32 v[184:185], v[6:7], v[140:141]
	v_add_f64_e32 v[170:171], v[190:191], v[188:189]
	v_fma_f64 v[188:189], v[4:5], v[140:141], -v[142:143]
	ds_load_b128 v[4:7], v2 offset:1104
	s_wait_loadcnt_dscnt 0xb01
	v_mul_f64_e32 v[182:183], v[176:177], v[146:147]
	v_mul_f64_e32 v[146:147], v[178:179], v[146:147]
	scratch_load_b128 v[140:143], off, off offset:384
	v_add_f64_e32 v[180:181], v[180:181], v[186:187]
	s_wait_loadcnt_dscnt 0xb00
	v_mul_f64_e32 v[186:187], v[4:5], v[150:151]
	v_add_f64_e32 v[190:191], v[170:171], v[168:169]
	v_mul_f64_e32 v[150:151], v[6:7], v[150:151]
	ds_load_b128 v[168:171], v2 offset:1120
	v_fmac_f64_e32 v[182:183], v[178:179], v[144:145]
	v_fma_f64 v[176:177], v[176:177], v[144:145], -v[146:147]
	scratch_load_b128 v[144:147], off, off offset:400
	v_add_f64_e32 v[180:181], v[180:181], v[184:185]
	v_fmac_f64_e32 v[186:187], v[6:7], v[148:149]
	v_add_f64_e32 v[178:179], v[190:191], v[188:189]
	;; [unrolled: 18-line block ×3, first 2 shown]
	v_fma_f64 v[188:189], v[4:5], v[160:161], -v[162:163]
	ds_load_b128 v[4:7], v2 offset:1168
	s_wait_loadcnt_dscnt 0xa01
	v_mul_f64_e32 v[186:187], v[176:177], v[174:175]
	v_mul_f64_e32 v[174:175], v[178:179], v[174:175]
	scratch_load_b128 v[160:163], off, off offset:448
	v_add_f64_e32 v[180:181], v[180:181], v[184:185]
	v_add_f64_e32 v[190:191], v[170:171], v[168:169]
	s_wait_loadcnt_dscnt 0xa00
	v_mul_f64_e32 v[184:185], v[4:5], v[158:159]
	v_mul_f64_e32 v[158:159], v[6:7], v[158:159]
	v_fmac_f64_e32 v[186:187], v[178:179], v[172:173]
	v_fma_f64 v[176:177], v[176:177], v[172:173], -v[174:175]
	ds_load_b128 v[168:171], v2 offset:1184
	scratch_load_b128 v[172:175], off, off offset:464
	v_add_f64_e32 v[180:181], v[180:181], v[182:183]
	v_add_f64_e32 v[178:179], v[190:191], v[188:189]
	v_fmac_f64_e32 v[184:185], v[6:7], v[156:157]
	v_fma_f64 v[188:189], v[4:5], v[156:157], -v[158:159]
	ds_load_b128 v[4:7], v2 offset:1200
	s_wait_loadcnt_dscnt 0xa01
	v_mul_f64_e32 v[182:183], v[168:169], v[10:11]
	v_mul_f64_e32 v[10:11], v[170:171], v[10:11]
	scratch_load_b128 v[156:159], off, off offset:480
	v_add_f64_e32 v[180:181], v[180:181], v[186:187]
	s_wait_loadcnt_dscnt 0xa00
	v_mul_f64_e32 v[186:187], v[4:5], v[14:15]
	v_add_f64_e32 v[190:191], v[178:179], v[176:177]
	v_mul_f64_e32 v[14:15], v[6:7], v[14:15]
	ds_load_b128 v[176:179], v2 offset:1216
	v_fmac_f64_e32 v[182:183], v[170:171], v[8:9]
	v_fma_f64 v[168:169], v[168:169], v[8:9], -v[10:11]
	scratch_load_b128 v[8:11], off, off offset:496
	v_add_f64_e32 v[180:181], v[180:181], v[184:185]
	v_fmac_f64_e32 v[186:187], v[6:7], v[12:13]
	v_add_f64_e32 v[170:171], v[190:191], v[188:189]
	v_fma_f64 v[188:189], v[4:5], v[12:13], -v[14:15]
	ds_load_b128 v[4:7], v2 offset:1232
	s_wait_loadcnt_dscnt 0xa01
	v_mul_f64_e32 v[184:185], v[176:177], v[130:131]
	v_mul_f64_e32 v[130:131], v[178:179], v[130:131]
	scratch_load_b128 v[12:15], off, off offset:512
	v_add_f64_e32 v[180:181], v[180:181], v[182:183]
	s_wait_loadcnt_dscnt 0xa00
	v_mul_f64_e32 v[182:183], v[4:5], v[134:135]
	v_add_f64_e32 v[190:191], v[170:171], v[168:169]
	v_mul_f64_e32 v[134:135], v[6:7], v[134:135]
	ds_load_b128 v[168:171], v2 offset:1248
	v_fmac_f64_e32 v[184:185], v[178:179], v[128:129]
	v_fma_f64 v[176:177], v[176:177], v[128:129], -v[130:131]
	scratch_load_b128 v[128:131], off, off offset:528
	v_add_f64_e32 v[180:181], v[180:181], v[186:187]
	v_fmac_f64_e32 v[182:183], v[6:7], v[132:133]
	v_add_f64_e32 v[178:179], v[190:191], v[188:189]
	;; [unrolled: 18-line block ×12, first 2 shown]
	v_fma_f64 v[188:189], v[4:5], v[156:157], -v[158:159]
	ds_load_b128 v[4:7], v2 offset:1584
	s_wait_loadcnt_dscnt 0xa01
	v_mul_f64_e32 v[182:183], v[168:169], v[10:11]
	v_mul_f64_e32 v[10:11], v[170:171], v[10:11]
	scratch_load_b128 v[156:159], off, off offset:864
	v_add_f64_e32 v[180:181], v[180:181], v[186:187]
	s_wait_loadcnt_dscnt 0xa00
	v_mul_f64_e32 v[186:187], v[4:5], v[14:15]
	v_add_f64_e32 v[190:191], v[178:179], v[176:177]
	v_mul_f64_e32 v[14:15], v[6:7], v[14:15]
	ds_load_b128 v[176:179], v2 offset:1600
	v_fmac_f64_e32 v[182:183], v[170:171], v[8:9]
	v_fma_f64 v[8:9], v[168:169], v[8:9], -v[10:11]
	s_wait_loadcnt_dscnt 0x900
	v_mul_f64_e32 v[170:171], v[176:177], v[130:131]
	v_mul_f64_e32 v[130:131], v[178:179], v[130:131]
	v_add_f64_e32 v[168:169], v[180:181], v[184:185]
	v_fmac_f64_e32 v[186:187], v[6:7], v[12:13]
	v_add_f64_e32 v[10:11], v[190:191], v[188:189]
	v_fma_f64 v[12:13], v[4:5], v[12:13], -v[14:15]
	v_fmac_f64_e32 v[170:171], v[178:179], v[128:129]
	v_fma_f64 v[128:129], v[176:177], v[128:129], -v[130:131]
	v_add_f64_e32 v[168:169], v[168:169], v[182:183]
	v_add_f64_e32 v[14:15], v[10:11], v[8:9]
	ds_load_b128 v[4:7], v2 offset:1616
	ds_load_b128 v[8:11], v2 offset:1632
	s_wait_loadcnt_dscnt 0x801
	v_mul_f64_e32 v[180:181], v[4:5], v[134:135]
	v_mul_f64_e32 v[134:135], v[6:7], v[134:135]
	s_wait_loadcnt_dscnt 0x700
	v_mul_f64_e32 v[130:131], v[8:9], v[138:139]
	v_mul_f64_e32 v[138:139], v[10:11], v[138:139]
	v_add_f64_e32 v[12:13], v[14:15], v[12:13]
	v_add_f64_e32 v[14:15], v[168:169], v[186:187]
	v_fmac_f64_e32 v[180:181], v[6:7], v[132:133]
	v_fma_f64 v[132:133], v[4:5], v[132:133], -v[134:135]
	v_fmac_f64_e32 v[130:131], v[10:11], v[136:137]
	v_fma_f64 v[8:9], v[8:9], v[136:137], -v[138:139]
	v_add_f64_e32 v[128:129], v[12:13], v[128:129]
	v_add_f64_e32 v[134:135], v[14:15], v[170:171]
	ds_load_b128 v[4:7], v2 offset:1648
	ds_load_b128 v[12:15], v2 offset:1664
	s_wait_loadcnt_dscnt 0x601
	v_mul_f64_e32 v[168:169], v[4:5], v[142:143]
	v_mul_f64_e32 v[142:143], v[6:7], v[142:143]
	v_add_f64_e32 v[10:11], v[128:129], v[132:133]
	v_add_f64_e32 v[128:129], v[134:135], v[180:181]
	s_wait_loadcnt_dscnt 0x500
	v_mul_f64_e32 v[132:133], v[12:13], v[146:147]
	v_mul_f64_e32 v[134:135], v[14:15], v[146:147]
	v_fmac_f64_e32 v[168:169], v[6:7], v[140:141]
	v_fma_f64 v[136:137], v[4:5], v[140:141], -v[142:143]
	v_add_f64_e32 v[138:139], v[10:11], v[8:9]
	v_add_f64_e32 v[128:129], v[128:129], v[130:131]
	ds_load_b128 v[4:7], v2 offset:1680
	ds_load_b128 v[8:11], v2 offset:1696
	v_fmac_f64_e32 v[132:133], v[14:15], v[144:145]
	v_fma_f64 v[12:13], v[12:13], v[144:145], -v[134:135]
	s_wait_loadcnt_dscnt 0x401
	v_mul_f64_e32 v[130:131], v[4:5], v[150:151]
	v_mul_f64_e32 v[140:141], v[6:7], v[150:151]
	s_wait_loadcnt_dscnt 0x300
	v_mul_f64_e32 v[134:135], v[8:9], v[154:155]
	v_add_f64_e32 v[14:15], v[138:139], v[136:137]
	v_add_f64_e32 v[128:129], v[128:129], v[168:169]
	v_mul_f64_e32 v[136:137], v[10:11], v[154:155]
	v_fmac_f64_e32 v[130:131], v[6:7], v[148:149]
	v_fma_f64 v[138:139], v[4:5], v[148:149], -v[140:141]
	v_fmac_f64_e32 v[134:135], v[10:11], v[152:153]
	v_add_f64_e32 v[140:141], v[14:15], v[12:13]
	v_add_f64_e32 v[128:129], v[128:129], v[132:133]
	ds_load_b128 v[4:7], v2 offset:1712
	ds_load_b128 v[12:15], v2 offset:1728
	v_fma_f64 v[8:9], v[8:9], v[152:153], -v[136:137]
	s_wait_loadcnt_dscnt 0x201
	v_mul_f64_e32 v[132:133], v[4:5], v[162:163]
	v_mul_f64_e32 v[142:143], v[6:7], v[162:163]
	s_wait_loadcnt_dscnt 0x100
	v_mul_f64_e32 v[136:137], v[14:15], v[174:175]
	v_add_f64_e32 v[10:11], v[140:141], v[138:139]
	v_add_f64_e32 v[128:129], v[128:129], v[130:131]
	v_mul_f64_e32 v[130:131], v[12:13], v[174:175]
	v_fmac_f64_e32 v[132:133], v[6:7], v[160:161]
	v_fma_f64 v[138:139], v[4:5], v[160:161], -v[142:143]
	ds_load_b128 v[4:7], v2 offset:1744
	v_fma_f64 v[12:13], v[12:13], v[172:173], -v[136:137]
	v_add_f64_e32 v[8:9], v[10:11], v[8:9]
	v_add_f64_e32 v[10:11], v[128:129], v[134:135]
	v_fmac_f64_e32 v[130:131], v[14:15], v[172:173]
	s_wait_loadcnt_dscnt 0x0
	v_mul_f64_e32 v[128:129], v[4:5], v[158:159]
	v_mul_f64_e32 v[134:135], v[6:7], v[158:159]
	v_add_f64_e32 v[8:9], v[8:9], v[138:139]
	v_add_f64_e32 v[10:11], v[10:11], v[132:133]
	s_delay_alu instid0(VALU_DEP_4) | instskip(NEXT) | instid1(VALU_DEP_4)
	v_fmac_f64_e32 v[128:129], v[6:7], v[156:157]
	v_fma_f64 v[4:5], v[4:5], v[156:157], -v[134:135]
	s_delay_alu instid0(VALU_DEP_4) | instskip(NEXT) | instid1(VALU_DEP_4)
	v_add_f64_e32 v[6:7], v[8:9], v[12:13]
	v_add_f64_e32 v[8:9], v[10:11], v[130:131]
	s_delay_alu instid0(VALU_DEP_2) | instskip(NEXT) | instid1(VALU_DEP_2)
	v_add_f64_e32 v[4:5], v[6:7], v[4:5]
	v_add_f64_e32 v[6:7], v[8:9], v[128:129]
	s_delay_alu instid0(VALU_DEP_2) | instskip(NEXT) | instid1(VALU_DEP_2)
	v_add_f64_e64 v[4:5], v[164:165], -v[4:5]
	v_add_f64_e64 v[6:7], v[166:167], -v[6:7]
	scratch_store_b128 off, v[4:7], off offset:80
	s_wait_xcnt 0x0
	v_cmpx_lt_u32_e32 4, v1
	s_cbranch_execz .LBB118_335
; %bb.334:
	scratch_load_b128 v[6:9], off, s12
	v_dual_mov_b32 v3, v2 :: v_dual_mov_b32 v4, v2
	v_mov_b32_e32 v5, v2
	scratch_store_b128 off, v[2:5], off offset:64
	s_wait_loadcnt 0x0
	ds_store_b128 v126, v[6:9]
.LBB118_335:
	s_wait_xcnt 0x0
	s_or_b32 exec_lo, exec_lo, s2
	s_wait_storecnt_dscnt 0x0
	s_barrier_signal -1
	s_barrier_wait -1
	s_clause 0x9
	scratch_load_b128 v[4:7], off, off offset:80
	scratch_load_b128 v[8:11], off, off offset:96
	;; [unrolled: 1-line block ×10, first 2 shown]
	ds_load_b128 v[156:159], v2 offset:960
	ds_load_b128 v[164:167], v2 offset:976
	s_clause 0x2
	scratch_load_b128 v[160:163], off, off offset:240
	scratch_load_b128 v[168:171], off, off offset:64
	scratch_load_b128 v[172:175], off, off offset:256
	s_mov_b32 s2, exec_lo
	s_wait_loadcnt_dscnt 0xc01
	v_mul_f64_e32 v[176:177], v[158:159], v[6:7]
	v_mul_f64_e32 v[180:181], v[156:157], v[6:7]
	s_wait_loadcnt_dscnt 0xb00
	v_mul_f64_e32 v[182:183], v[164:165], v[10:11]
	v_mul_f64_e32 v[10:11], v[166:167], v[10:11]
	s_delay_alu instid0(VALU_DEP_4) | instskip(NEXT) | instid1(VALU_DEP_4)
	v_fma_f64 v[184:185], v[156:157], v[4:5], -v[176:177]
	v_fmac_f64_e32 v[180:181], v[158:159], v[4:5]
	ds_load_b128 v[4:7], v2 offset:992
	ds_load_b128 v[156:159], v2 offset:1008
	scratch_load_b128 v[176:179], off, off offset:272
	v_fmac_f64_e32 v[182:183], v[166:167], v[8:9]
	v_fma_f64 v[164:165], v[164:165], v[8:9], -v[10:11]
	scratch_load_b128 v[8:11], off, off offset:288
	s_wait_loadcnt_dscnt 0xc01
	v_mul_f64_e32 v[186:187], v[4:5], v[14:15]
	v_mul_f64_e32 v[14:15], v[6:7], v[14:15]
	v_add_f64_e32 v[166:167], 0, v[184:185]
	v_add_f64_e32 v[180:181], 0, v[180:181]
	s_wait_loadcnt_dscnt 0xb00
	v_mul_f64_e32 v[184:185], v[156:157], v[130:131]
	v_mul_f64_e32 v[130:131], v[158:159], v[130:131]
	v_fmac_f64_e32 v[186:187], v[6:7], v[12:13]
	v_fma_f64 v[188:189], v[4:5], v[12:13], -v[14:15]
	ds_load_b128 v[4:7], v2 offset:1024
	ds_load_b128 v[12:15], v2 offset:1040
	v_add_f64_e32 v[190:191], v[166:167], v[164:165]
	v_add_f64_e32 v[180:181], v[180:181], v[182:183]
	scratch_load_b128 v[164:167], off, off offset:304
	v_fmac_f64_e32 v[184:185], v[158:159], v[128:129]
	v_fma_f64 v[156:157], v[156:157], v[128:129], -v[130:131]
	scratch_load_b128 v[128:131], off, off offset:320
	s_wait_loadcnt_dscnt 0xc01
	v_mul_f64_e32 v[182:183], v[4:5], v[134:135]
	v_mul_f64_e32 v[134:135], v[6:7], v[134:135]
	v_add_f64_e32 v[158:159], v[190:191], v[188:189]
	v_add_f64_e32 v[180:181], v[180:181], v[186:187]
	s_wait_loadcnt_dscnt 0xb00
	v_mul_f64_e32 v[186:187], v[12:13], v[138:139]
	v_mul_f64_e32 v[138:139], v[14:15], v[138:139]
	v_fmac_f64_e32 v[182:183], v[6:7], v[132:133]
	v_fma_f64 v[188:189], v[4:5], v[132:133], -v[134:135]
	ds_load_b128 v[4:7], v2 offset:1056
	ds_load_b128 v[132:135], v2 offset:1072
	v_add_f64_e32 v[190:191], v[158:159], v[156:157]
	v_add_f64_e32 v[180:181], v[180:181], v[184:185]
	scratch_load_b128 v[156:159], off, off offset:336
	s_wait_loadcnt_dscnt 0xb01
	v_mul_f64_e32 v[184:185], v[4:5], v[142:143]
	v_mul_f64_e32 v[142:143], v[6:7], v[142:143]
	v_fmac_f64_e32 v[186:187], v[14:15], v[136:137]
	v_fma_f64 v[136:137], v[12:13], v[136:137], -v[138:139]
	scratch_load_b128 v[12:15], off, off offset:352
	v_add_f64_e32 v[138:139], v[190:191], v[188:189]
	v_add_f64_e32 v[180:181], v[180:181], v[182:183]
	s_wait_loadcnt_dscnt 0xb00
	v_mul_f64_e32 v[182:183], v[132:133], v[146:147]
	v_mul_f64_e32 v[146:147], v[134:135], v[146:147]
	v_fmac_f64_e32 v[184:185], v[6:7], v[140:141]
	v_fma_f64 v[188:189], v[4:5], v[140:141], -v[142:143]
	v_add_f64_e32 v[190:191], v[138:139], v[136:137]
	v_add_f64_e32 v[180:181], v[180:181], v[186:187]
	ds_load_b128 v[4:7], v2 offset:1088
	ds_load_b128 v[136:139], v2 offset:1104
	scratch_load_b128 v[140:143], off, off offset:368
	v_fmac_f64_e32 v[182:183], v[134:135], v[144:145]
	v_fma_f64 v[144:145], v[132:133], v[144:145], -v[146:147]
	scratch_load_b128 v[132:135], off, off offset:384
	s_wait_loadcnt_dscnt 0xc01
	v_mul_f64_e32 v[186:187], v[4:5], v[150:151]
	v_mul_f64_e32 v[150:151], v[6:7], v[150:151]
	v_add_f64_e32 v[146:147], v[190:191], v[188:189]
	v_add_f64_e32 v[180:181], v[180:181], v[184:185]
	s_wait_loadcnt_dscnt 0xb00
	v_mul_f64_e32 v[184:185], v[136:137], v[154:155]
	v_mul_f64_e32 v[154:155], v[138:139], v[154:155]
	v_fmac_f64_e32 v[186:187], v[6:7], v[148:149]
	v_fma_f64 v[188:189], v[4:5], v[148:149], -v[150:151]
	v_add_f64_e32 v[190:191], v[146:147], v[144:145]
	v_add_f64_e32 v[180:181], v[180:181], v[182:183]
	ds_load_b128 v[4:7], v2 offset:1120
	ds_load_b128 v[144:147], v2 offset:1136
	scratch_load_b128 v[148:151], off, off offset:400
	v_fmac_f64_e32 v[184:185], v[138:139], v[152:153]
	v_fma_f64 v[152:153], v[136:137], v[152:153], -v[154:155]
	scratch_load_b128 v[136:139], off, off offset:416
	s_wait_loadcnt_dscnt 0xc01
	v_mul_f64_e32 v[182:183], v[4:5], v[162:163]
	v_mul_f64_e32 v[162:163], v[6:7], v[162:163]
	;; [unrolled: 18-line block ×5, first 2 shown]
	v_add_f64_e32 v[174:175], v[190:191], v[188:189]
	v_add_f64_e32 v[180:181], v[180:181], v[186:187]
	s_wait_loadcnt_dscnt 0xa00
	v_mul_f64_e32 v[186:187], v[152:153], v[14:15]
	v_mul_f64_e32 v[14:15], v[154:155], v[14:15]
	v_fmac_f64_e32 v[182:183], v[6:7], v[156:157]
	v_fma_f64 v[188:189], v[4:5], v[156:157], -v[158:159]
	ds_load_b128 v[4:7], v2 offset:1248
	ds_load_b128 v[156:159], v2 offset:1264
	v_add_f64_e32 v[190:191], v[174:175], v[172:173]
	v_add_f64_e32 v[180:181], v[180:181], v[184:185]
	scratch_load_b128 v[172:175], off, off offset:528
	v_fmac_f64_e32 v[186:187], v[154:155], v[12:13]
	v_fma_f64 v[152:153], v[152:153], v[12:13], -v[14:15]
	scratch_load_b128 v[12:15], off, off offset:544
	s_wait_loadcnt_dscnt 0xb01
	v_mul_f64_e32 v[184:185], v[4:5], v[142:143]
	v_mul_f64_e32 v[142:143], v[6:7], v[142:143]
	v_add_f64_e32 v[154:155], v[190:191], v[188:189]
	v_add_f64_e32 v[180:181], v[180:181], v[182:183]
	s_wait_loadcnt_dscnt 0xa00
	v_mul_f64_e32 v[182:183], v[156:157], v[134:135]
	v_mul_f64_e32 v[134:135], v[158:159], v[134:135]
	v_fmac_f64_e32 v[184:185], v[6:7], v[140:141]
	v_fma_f64 v[188:189], v[4:5], v[140:141], -v[142:143]
	ds_load_b128 v[4:7], v2 offset:1280
	ds_load_b128 v[140:143], v2 offset:1296
	v_add_f64_e32 v[190:191], v[154:155], v[152:153]
	v_add_f64_e32 v[180:181], v[180:181], v[186:187]
	scratch_load_b128 v[152:155], off, off offset:560
	s_wait_loadcnt_dscnt 0xa01
	v_mul_f64_e32 v[186:187], v[4:5], v[150:151]
	v_mul_f64_e32 v[150:151], v[6:7], v[150:151]
	v_fmac_f64_e32 v[182:183], v[158:159], v[132:133]
	v_fma_f64 v[156:157], v[156:157], v[132:133], -v[134:135]
	scratch_load_b128 v[132:135], off, off offset:576
	v_add_f64_e32 v[158:159], v[190:191], v[188:189]
	v_add_f64_e32 v[180:181], v[180:181], v[184:185]
	s_wait_loadcnt_dscnt 0xa00
	v_mul_f64_e32 v[184:185], v[140:141], v[138:139]
	v_mul_f64_e32 v[138:139], v[142:143], v[138:139]
	v_fmac_f64_e32 v[186:187], v[6:7], v[148:149]
	v_fma_f64 v[188:189], v[4:5], v[148:149], -v[150:151]
	ds_load_b128 v[4:7], v2 offset:1312
	ds_load_b128 v[148:151], v2 offset:1328
	v_add_f64_e32 v[190:191], v[158:159], v[156:157]
	v_add_f64_e32 v[180:181], v[180:181], v[182:183]
	scratch_load_b128 v[156:159], off, off offset:592
	s_wait_loadcnt_dscnt 0xa01
	v_mul_f64_e32 v[182:183], v[4:5], v[162:163]
	v_mul_f64_e32 v[162:163], v[6:7], v[162:163]
	v_fmac_f64_e32 v[184:185], v[142:143], v[136:137]
	v_fma_f64 v[140:141], v[140:141], v[136:137], -v[138:139]
	scratch_load_b128 v[136:139], off, off offset:608
	v_add_f64_e32 v[142:143], v[190:191], v[188:189]
	v_add_f64_e32 v[180:181], v[180:181], v[186:187]
	s_wait_loadcnt_dscnt 0xa00
	v_mul_f64_e32 v[186:187], v[148:149], v[146:147]
	v_mul_f64_e32 v[146:147], v[150:151], v[146:147]
	v_fmac_f64_e32 v[182:183], v[6:7], v[160:161]
	v_fma_f64 v[188:189], v[4:5], v[160:161], -v[162:163]
	v_add_f64_e32 v[190:191], v[142:143], v[140:141]
	v_add_f64_e32 v[180:181], v[180:181], v[184:185]
	ds_load_b128 v[4:7], v2 offset:1344
	ds_load_b128 v[140:143], v2 offset:1360
	scratch_load_b128 v[160:163], off, off offset:624
	v_fmac_f64_e32 v[186:187], v[150:151], v[144:145]
	v_fma_f64 v[148:149], v[148:149], v[144:145], -v[146:147]
	scratch_load_b128 v[144:147], off, off offset:640
	s_wait_loadcnt_dscnt 0xb01
	v_mul_f64_e32 v[184:185], v[4:5], v[178:179]
	v_mul_f64_e32 v[178:179], v[6:7], v[178:179]
	v_add_f64_e32 v[150:151], v[190:191], v[188:189]
	v_add_f64_e32 v[180:181], v[180:181], v[182:183]
	s_wait_loadcnt_dscnt 0xa00
	v_mul_f64_e32 v[182:183], v[140:141], v[10:11]
	v_mul_f64_e32 v[10:11], v[142:143], v[10:11]
	v_fmac_f64_e32 v[184:185], v[6:7], v[176:177]
	v_fma_f64 v[188:189], v[4:5], v[176:177], -v[178:179]
	v_add_f64_e32 v[190:191], v[150:151], v[148:149]
	v_add_f64_e32 v[180:181], v[180:181], v[186:187]
	ds_load_b128 v[4:7], v2 offset:1376
	ds_load_b128 v[148:151], v2 offset:1392
	scratch_load_b128 v[176:179], off, off offset:656
	v_fmac_f64_e32 v[182:183], v[142:143], v[8:9]
	v_fma_f64 v[140:141], v[140:141], v[8:9], -v[10:11]
	scratch_load_b128 v[8:11], off, off offset:672
	s_wait_loadcnt_dscnt 0xb01
	v_mul_f64_e32 v[186:187], v[4:5], v[166:167]
	v_mul_f64_e32 v[166:167], v[6:7], v[166:167]
	;; [unrolled: 18-line block ×8, first 2 shown]
	v_add_f64_e32 v[142:143], v[190:191], v[188:189]
	v_add_f64_e32 v[180:181], v[180:181], v[184:185]
	s_wait_loadcnt_dscnt 0xa00
	v_mul_f64_e32 v[184:185], v[148:149], v[130:131]
	v_mul_f64_e32 v[130:131], v[150:151], v[130:131]
	v_fmac_f64_e32 v[186:187], v[6:7], v[164:165]
	v_fma_f64 v[164:165], v[4:5], v[164:165], -v[166:167]
	v_add_f64_e32 v[166:167], v[142:143], v[140:141]
	v_add_f64_e32 v[180:181], v[180:181], v[182:183]
	ds_load_b128 v[4:7], v2 offset:1600
	ds_load_b128 v[140:143], v2 offset:1616
	v_fmac_f64_e32 v[184:185], v[150:151], v[128:129]
	v_fma_f64 v[128:129], v[148:149], v[128:129], -v[130:131]
	s_wait_loadcnt_dscnt 0x901
	v_mul_f64_e32 v[182:183], v[4:5], v[174:175]
	v_mul_f64_e32 v[174:175], v[6:7], v[174:175]
	s_wait_loadcnt_dscnt 0x800
	v_mul_f64_e32 v[150:151], v[140:141], v[14:15]
	v_mul_f64_e32 v[14:15], v[142:143], v[14:15]
	v_add_f64_e32 v[130:131], v[166:167], v[164:165]
	v_add_f64_e32 v[148:149], v[180:181], v[186:187]
	v_fmac_f64_e32 v[182:183], v[6:7], v[172:173]
	v_fma_f64 v[164:165], v[4:5], v[172:173], -v[174:175]
	v_fmac_f64_e32 v[150:151], v[142:143], v[12:13]
	v_fma_f64 v[12:13], v[140:141], v[12:13], -v[14:15]
	v_add_f64_e32 v[166:167], v[130:131], v[128:129]
	v_add_f64_e32 v[148:149], v[148:149], v[184:185]
	ds_load_b128 v[4:7], v2 offset:1632
	ds_load_b128 v[128:131], v2 offset:1648
	s_wait_loadcnt_dscnt 0x701
	v_mul_f64_e32 v[172:173], v[4:5], v[154:155]
	v_mul_f64_e32 v[154:155], v[6:7], v[154:155]
	s_wait_loadcnt_dscnt 0x600
	v_mul_f64_e32 v[142:143], v[128:129], v[134:135]
	v_mul_f64_e32 v[134:135], v[130:131], v[134:135]
	v_add_f64_e32 v[14:15], v[166:167], v[164:165]
	v_add_f64_e32 v[140:141], v[148:149], v[182:183]
	v_fmac_f64_e32 v[172:173], v[6:7], v[152:153]
	v_fma_f64 v[148:149], v[4:5], v[152:153], -v[154:155]
	v_fmac_f64_e32 v[142:143], v[130:131], v[132:133]
	v_fma_f64 v[128:129], v[128:129], v[132:133], -v[134:135]
	v_add_f64_e32 v[152:153], v[14:15], v[12:13]
	v_add_f64_e32 v[140:141], v[140:141], v[150:151]
	ds_load_b128 v[4:7], v2 offset:1664
	ds_load_b128 v[12:15], v2 offset:1680
	;; [unrolled: 16-line block ×4, first 2 shown]
	s_wait_loadcnt_dscnt 0x101
	v_mul_f64_e32 v[2:3], v[4:5], v[178:179]
	v_mul_f64_e32 v[134:135], v[6:7], v[178:179]
	s_wait_loadcnt_dscnt 0x0
	v_mul_f64_e32 v[138:139], v[12:13], v[10:11]
	v_mul_f64_e32 v[10:11], v[14:15], v[10:11]
	v_add_f64_e32 v[130:131], v[146:147], v[140:141]
	v_add_f64_e32 v[132:133], v[132:133], v[142:143]
	v_fmac_f64_e32 v[2:3], v[6:7], v[176:177]
	v_fma_f64 v[4:5], v[4:5], v[176:177], -v[134:135]
	v_fmac_f64_e32 v[138:139], v[14:15], v[8:9]
	v_fma_f64 v[8:9], v[12:13], v[8:9], -v[10:11]
	v_add_f64_e32 v[6:7], v[130:131], v[128:129]
	v_add_f64_e32 v[128:129], v[132:133], v[136:137]
	s_delay_alu instid0(VALU_DEP_2) | instskip(NEXT) | instid1(VALU_DEP_2)
	v_add_f64_e32 v[4:5], v[6:7], v[4:5]
	v_add_f64_e32 v[2:3], v[128:129], v[2:3]
	s_delay_alu instid0(VALU_DEP_2) | instskip(NEXT) | instid1(VALU_DEP_2)
	;; [unrolled: 3-line block ×3, first 2 shown]
	v_add_f64_e64 v[2:3], v[168:169], -v[4:5]
	v_add_f64_e64 v[4:5], v[170:171], -v[6:7]
	scratch_store_b128 off, v[2:5], off offset:64
	s_wait_xcnt 0x0
	v_cmpx_lt_u32_e32 3, v1
	s_cbranch_execz .LBB118_337
; %bb.336:
	scratch_load_b128 v[2:5], off, s14
	v_mov_b32_e32 v6, 0
	s_delay_alu instid0(VALU_DEP_1)
	v_dual_mov_b32 v7, v6 :: v_dual_mov_b32 v8, v6
	v_mov_b32_e32 v9, v6
	scratch_store_b128 off, v[6:9], off offset:48
	s_wait_loadcnt 0x0
	ds_store_b128 v126, v[2:5]
.LBB118_337:
	s_wait_xcnt 0x0
	s_or_b32 exec_lo, exec_lo, s2
	s_wait_storecnt_dscnt 0x0
	s_barrier_signal -1
	s_barrier_wait -1
	s_clause 0x9
	scratch_load_b128 v[4:7], off, off offset:64
	scratch_load_b128 v[8:11], off, off offset:80
	;; [unrolled: 1-line block ×10, first 2 shown]
	v_mov_b32_e32 v2, 0
	s_mov_b32 s2, exec_lo
	ds_load_b128 v[156:159], v2 offset:944
	s_clause 0x2
	scratch_load_b128 v[160:163], off, off offset:224
	scratch_load_b128 v[164:167], off, off offset:48
	;; [unrolled: 1-line block ×3, first 2 shown]
	s_wait_loadcnt_dscnt 0xc00
	v_mul_f64_e32 v[176:177], v[158:159], v[6:7]
	v_mul_f64_e32 v[180:181], v[156:157], v[6:7]
	ds_load_b128 v[168:171], v2 offset:960
	v_fma_f64 v[184:185], v[156:157], v[4:5], -v[176:177]
	v_fmac_f64_e32 v[180:181], v[158:159], v[4:5]
	ds_load_b128 v[4:7], v2 offset:976
	s_wait_loadcnt_dscnt 0xb01
	v_mul_f64_e32 v[182:183], v[168:169], v[10:11]
	v_mul_f64_e32 v[10:11], v[170:171], v[10:11]
	scratch_load_b128 v[156:159], off, off offset:256
	ds_load_b128 v[176:179], v2 offset:992
	s_wait_loadcnt_dscnt 0xb01
	v_mul_f64_e32 v[186:187], v[4:5], v[14:15]
	v_mul_f64_e32 v[14:15], v[6:7], v[14:15]
	v_add_f64_e32 v[180:181], 0, v[180:181]
	v_fmac_f64_e32 v[182:183], v[170:171], v[8:9]
	v_fma_f64 v[168:169], v[168:169], v[8:9], -v[10:11]
	v_add_f64_e32 v[170:171], 0, v[184:185]
	scratch_load_b128 v[8:11], off, off offset:272
	v_fmac_f64_e32 v[186:187], v[6:7], v[12:13]
	v_fma_f64 v[188:189], v[4:5], v[12:13], -v[14:15]
	ds_load_b128 v[4:7], v2 offset:1008
	s_wait_loadcnt_dscnt 0xb01
	v_mul_f64_e32 v[184:185], v[176:177], v[130:131]
	v_mul_f64_e32 v[130:131], v[178:179], v[130:131]
	scratch_load_b128 v[12:15], off, off offset:288
	v_add_f64_e32 v[180:181], v[180:181], v[182:183]
	v_add_f64_e32 v[190:191], v[170:171], v[168:169]
	ds_load_b128 v[168:171], v2 offset:1024
	s_wait_loadcnt_dscnt 0xb01
	v_mul_f64_e32 v[182:183], v[4:5], v[134:135]
	v_mul_f64_e32 v[134:135], v[6:7], v[134:135]
	v_fmac_f64_e32 v[184:185], v[178:179], v[128:129]
	v_fma_f64 v[176:177], v[176:177], v[128:129], -v[130:131]
	scratch_load_b128 v[128:131], off, off offset:304
	v_add_f64_e32 v[180:181], v[180:181], v[186:187]
	v_add_f64_e32 v[178:179], v[190:191], v[188:189]
	v_fmac_f64_e32 v[182:183], v[6:7], v[132:133]
	v_fma_f64 v[188:189], v[4:5], v[132:133], -v[134:135]
	ds_load_b128 v[4:7], v2 offset:1040
	s_wait_loadcnt_dscnt 0xb01
	v_mul_f64_e32 v[186:187], v[168:169], v[138:139]
	v_mul_f64_e32 v[138:139], v[170:171], v[138:139]
	scratch_load_b128 v[132:135], off, off offset:320
	v_add_f64_e32 v[180:181], v[180:181], v[184:185]
	s_wait_loadcnt_dscnt 0xb00
	v_mul_f64_e32 v[184:185], v[4:5], v[142:143]
	v_add_f64_e32 v[190:191], v[178:179], v[176:177]
	v_mul_f64_e32 v[142:143], v[6:7], v[142:143]
	ds_load_b128 v[176:179], v2 offset:1056
	v_fmac_f64_e32 v[186:187], v[170:171], v[136:137]
	v_fma_f64 v[168:169], v[168:169], v[136:137], -v[138:139]
	scratch_load_b128 v[136:139], off, off offset:336
	v_add_f64_e32 v[180:181], v[180:181], v[182:183]
	v_fmac_f64_e32 v[184:185], v[6:7], v[140:141]
	v_add_f64_e32 v[170:171], v[190:191], v[188:189]
	v_fma_f64 v[188:189], v[4:5], v[140:141], -v[142:143]
	ds_load_b128 v[4:7], v2 offset:1072
	s_wait_loadcnt_dscnt 0xb01
	v_mul_f64_e32 v[182:183], v[176:177], v[146:147]
	v_mul_f64_e32 v[146:147], v[178:179], v[146:147]
	scratch_load_b128 v[140:143], off, off offset:352
	v_add_f64_e32 v[180:181], v[180:181], v[186:187]
	s_wait_loadcnt_dscnt 0xb00
	v_mul_f64_e32 v[186:187], v[4:5], v[150:151]
	v_add_f64_e32 v[190:191], v[170:171], v[168:169]
	v_mul_f64_e32 v[150:151], v[6:7], v[150:151]
	ds_load_b128 v[168:171], v2 offset:1088
	v_fmac_f64_e32 v[182:183], v[178:179], v[144:145]
	v_fma_f64 v[176:177], v[176:177], v[144:145], -v[146:147]
	scratch_load_b128 v[144:147], off, off offset:368
	v_add_f64_e32 v[180:181], v[180:181], v[184:185]
	v_fmac_f64_e32 v[186:187], v[6:7], v[148:149]
	v_add_f64_e32 v[178:179], v[190:191], v[188:189]
	;; [unrolled: 18-line block ×3, first 2 shown]
	v_fma_f64 v[188:189], v[4:5], v[160:161], -v[162:163]
	ds_load_b128 v[4:7], v2 offset:1136
	s_wait_loadcnt_dscnt 0xa01
	v_mul_f64_e32 v[186:187], v[176:177], v[174:175]
	v_mul_f64_e32 v[174:175], v[178:179], v[174:175]
	scratch_load_b128 v[160:163], off, off offset:416
	v_add_f64_e32 v[180:181], v[180:181], v[184:185]
	v_add_f64_e32 v[190:191], v[170:171], v[168:169]
	s_wait_loadcnt_dscnt 0xa00
	v_mul_f64_e32 v[184:185], v[4:5], v[158:159]
	v_mul_f64_e32 v[158:159], v[6:7], v[158:159]
	v_fmac_f64_e32 v[186:187], v[178:179], v[172:173]
	v_fma_f64 v[176:177], v[176:177], v[172:173], -v[174:175]
	ds_load_b128 v[168:171], v2 offset:1152
	scratch_load_b128 v[172:175], off, off offset:432
	v_add_f64_e32 v[180:181], v[180:181], v[182:183]
	v_add_f64_e32 v[178:179], v[190:191], v[188:189]
	v_fmac_f64_e32 v[184:185], v[6:7], v[156:157]
	v_fma_f64 v[188:189], v[4:5], v[156:157], -v[158:159]
	ds_load_b128 v[4:7], v2 offset:1168
	s_wait_loadcnt_dscnt 0xa01
	v_mul_f64_e32 v[182:183], v[168:169], v[10:11]
	v_mul_f64_e32 v[10:11], v[170:171], v[10:11]
	scratch_load_b128 v[156:159], off, off offset:448
	v_add_f64_e32 v[180:181], v[180:181], v[186:187]
	s_wait_loadcnt_dscnt 0xa00
	v_mul_f64_e32 v[186:187], v[4:5], v[14:15]
	v_add_f64_e32 v[190:191], v[178:179], v[176:177]
	v_mul_f64_e32 v[14:15], v[6:7], v[14:15]
	ds_load_b128 v[176:179], v2 offset:1184
	v_fmac_f64_e32 v[182:183], v[170:171], v[8:9]
	v_fma_f64 v[168:169], v[168:169], v[8:9], -v[10:11]
	scratch_load_b128 v[8:11], off, off offset:464
	v_add_f64_e32 v[180:181], v[180:181], v[184:185]
	v_fmac_f64_e32 v[186:187], v[6:7], v[12:13]
	v_add_f64_e32 v[170:171], v[190:191], v[188:189]
	v_fma_f64 v[188:189], v[4:5], v[12:13], -v[14:15]
	ds_load_b128 v[4:7], v2 offset:1200
	s_wait_loadcnt_dscnt 0xa01
	v_mul_f64_e32 v[184:185], v[176:177], v[130:131]
	v_mul_f64_e32 v[130:131], v[178:179], v[130:131]
	scratch_load_b128 v[12:15], off, off offset:480
	v_add_f64_e32 v[180:181], v[180:181], v[182:183]
	s_wait_loadcnt_dscnt 0xa00
	v_mul_f64_e32 v[182:183], v[4:5], v[134:135]
	v_add_f64_e32 v[190:191], v[170:171], v[168:169]
	v_mul_f64_e32 v[134:135], v[6:7], v[134:135]
	ds_load_b128 v[168:171], v2 offset:1216
	v_fmac_f64_e32 v[184:185], v[178:179], v[128:129]
	v_fma_f64 v[176:177], v[176:177], v[128:129], -v[130:131]
	scratch_load_b128 v[128:131], off, off offset:496
	v_add_f64_e32 v[180:181], v[180:181], v[186:187]
	v_fmac_f64_e32 v[182:183], v[6:7], v[132:133]
	v_add_f64_e32 v[178:179], v[190:191], v[188:189]
	;; [unrolled: 18-line block ×13, first 2 shown]
	v_fma_f64 v[188:189], v[4:5], v[12:13], -v[14:15]
	ds_load_b128 v[4:7], v2 offset:1584
	s_wait_loadcnt_dscnt 0xa01
	v_mul_f64_e32 v[184:185], v[176:177], v[130:131]
	v_mul_f64_e32 v[130:131], v[178:179], v[130:131]
	scratch_load_b128 v[12:15], off, off offset:864
	v_add_f64_e32 v[180:181], v[180:181], v[182:183]
	s_wait_loadcnt_dscnt 0xa00
	v_mul_f64_e32 v[182:183], v[4:5], v[134:135]
	v_add_f64_e32 v[190:191], v[170:171], v[168:169]
	v_mul_f64_e32 v[134:135], v[6:7], v[134:135]
	ds_load_b128 v[168:171], v2 offset:1600
	v_fmac_f64_e32 v[184:185], v[178:179], v[128:129]
	v_fma_f64 v[128:129], v[176:177], v[128:129], -v[130:131]
	s_wait_loadcnt_dscnt 0x900
	v_mul_f64_e32 v[178:179], v[168:169], v[138:139]
	v_mul_f64_e32 v[138:139], v[170:171], v[138:139]
	v_add_f64_e32 v[176:177], v[180:181], v[186:187]
	v_fmac_f64_e32 v[182:183], v[6:7], v[132:133]
	v_add_f64_e32 v[130:131], v[190:191], v[188:189]
	v_fma_f64 v[132:133], v[4:5], v[132:133], -v[134:135]
	v_fmac_f64_e32 v[178:179], v[170:171], v[136:137]
	v_fma_f64 v[136:137], v[168:169], v[136:137], -v[138:139]
	v_add_f64_e32 v[176:177], v[176:177], v[184:185]
	v_add_f64_e32 v[134:135], v[130:131], v[128:129]
	ds_load_b128 v[4:7], v2 offset:1616
	ds_load_b128 v[128:131], v2 offset:1632
	s_wait_loadcnt_dscnt 0x801
	v_mul_f64_e32 v[180:181], v[4:5], v[142:143]
	v_mul_f64_e32 v[142:143], v[6:7], v[142:143]
	s_wait_loadcnt_dscnt 0x700
	v_mul_f64_e32 v[138:139], v[128:129], v[146:147]
	v_mul_f64_e32 v[146:147], v[130:131], v[146:147]
	v_add_f64_e32 v[132:133], v[134:135], v[132:133]
	v_add_f64_e32 v[134:135], v[176:177], v[182:183]
	v_fmac_f64_e32 v[180:181], v[6:7], v[140:141]
	v_fma_f64 v[140:141], v[4:5], v[140:141], -v[142:143]
	v_fmac_f64_e32 v[138:139], v[130:131], v[144:145]
	v_fma_f64 v[128:129], v[128:129], v[144:145], -v[146:147]
	v_add_f64_e32 v[136:137], v[132:133], v[136:137]
	v_add_f64_e32 v[142:143], v[134:135], v[178:179]
	ds_load_b128 v[4:7], v2 offset:1648
	ds_load_b128 v[132:135], v2 offset:1664
	s_wait_loadcnt_dscnt 0x601
	v_mul_f64_e32 v[168:169], v[4:5], v[150:151]
	v_mul_f64_e32 v[150:151], v[6:7], v[150:151]
	v_add_f64_e32 v[130:131], v[136:137], v[140:141]
	v_add_f64_e32 v[136:137], v[142:143], v[180:181]
	s_wait_loadcnt_dscnt 0x500
	v_mul_f64_e32 v[140:141], v[132:133], v[154:155]
	v_mul_f64_e32 v[142:143], v[134:135], v[154:155]
	v_fmac_f64_e32 v[168:169], v[6:7], v[148:149]
	v_fma_f64 v[144:145], v[4:5], v[148:149], -v[150:151]
	v_add_f64_e32 v[146:147], v[130:131], v[128:129]
	v_add_f64_e32 v[136:137], v[136:137], v[138:139]
	ds_load_b128 v[4:7], v2 offset:1680
	ds_load_b128 v[128:131], v2 offset:1696
	v_fmac_f64_e32 v[140:141], v[134:135], v[152:153]
	v_fma_f64 v[132:133], v[132:133], v[152:153], -v[142:143]
	s_wait_loadcnt_dscnt 0x401
	v_mul_f64_e32 v[138:139], v[4:5], v[162:163]
	v_mul_f64_e32 v[148:149], v[6:7], v[162:163]
	s_wait_loadcnt_dscnt 0x300
	v_mul_f64_e32 v[142:143], v[128:129], v[174:175]
	v_add_f64_e32 v[134:135], v[146:147], v[144:145]
	v_add_f64_e32 v[136:137], v[136:137], v[168:169]
	v_mul_f64_e32 v[144:145], v[130:131], v[174:175]
	v_fmac_f64_e32 v[138:139], v[6:7], v[160:161]
	v_fma_f64 v[146:147], v[4:5], v[160:161], -v[148:149]
	v_fmac_f64_e32 v[142:143], v[130:131], v[172:173]
	v_add_f64_e32 v[148:149], v[134:135], v[132:133]
	v_add_f64_e32 v[136:137], v[136:137], v[140:141]
	ds_load_b128 v[4:7], v2 offset:1712
	ds_load_b128 v[132:135], v2 offset:1728
	v_fma_f64 v[128:129], v[128:129], v[172:173], -v[144:145]
	s_wait_loadcnt_dscnt 0x201
	v_mul_f64_e32 v[140:141], v[4:5], v[158:159]
	v_mul_f64_e32 v[150:151], v[6:7], v[158:159]
	v_add_f64_e32 v[130:131], v[148:149], v[146:147]
	v_add_f64_e32 v[136:137], v[136:137], v[138:139]
	s_wait_loadcnt_dscnt 0x100
	v_mul_f64_e32 v[138:139], v[132:133], v[10:11]
	v_mul_f64_e32 v[10:11], v[134:135], v[10:11]
	v_fmac_f64_e32 v[140:141], v[6:7], v[156:157]
	v_fma_f64 v[144:145], v[4:5], v[156:157], -v[150:151]
	ds_load_b128 v[4:7], v2 offset:1744
	v_add_f64_e32 v[128:129], v[130:131], v[128:129]
	v_add_f64_e32 v[130:131], v[136:137], v[142:143]
	v_fmac_f64_e32 v[138:139], v[134:135], v[8:9]
	v_fma_f64 v[8:9], v[132:133], v[8:9], -v[10:11]
	s_wait_loadcnt_dscnt 0x0
	v_mul_f64_e32 v[136:137], v[4:5], v[14:15]
	v_mul_f64_e32 v[14:15], v[6:7], v[14:15]
	v_add_f64_e32 v[10:11], v[128:129], v[144:145]
	v_add_f64_e32 v[128:129], v[130:131], v[140:141]
	s_delay_alu instid0(VALU_DEP_4) | instskip(NEXT) | instid1(VALU_DEP_4)
	v_fmac_f64_e32 v[136:137], v[6:7], v[12:13]
	v_fma_f64 v[4:5], v[4:5], v[12:13], -v[14:15]
	s_delay_alu instid0(VALU_DEP_4) | instskip(NEXT) | instid1(VALU_DEP_4)
	v_add_f64_e32 v[6:7], v[10:11], v[8:9]
	v_add_f64_e32 v[8:9], v[128:129], v[138:139]
	s_delay_alu instid0(VALU_DEP_2) | instskip(NEXT) | instid1(VALU_DEP_2)
	v_add_f64_e32 v[4:5], v[6:7], v[4:5]
	v_add_f64_e32 v[6:7], v[8:9], v[136:137]
	s_delay_alu instid0(VALU_DEP_2) | instskip(NEXT) | instid1(VALU_DEP_2)
	v_add_f64_e64 v[4:5], v[164:165], -v[4:5]
	v_add_f64_e64 v[6:7], v[166:167], -v[6:7]
	scratch_store_b128 off, v[4:7], off offset:48
	s_wait_xcnt 0x0
	v_cmpx_lt_u32_e32 2, v1
	s_cbranch_execz .LBB118_339
; %bb.338:
	scratch_load_b128 v[6:9], off, s16
	v_dual_mov_b32 v3, v2 :: v_dual_mov_b32 v4, v2
	v_mov_b32_e32 v5, v2
	scratch_store_b128 off, v[2:5], off offset:32
	s_wait_loadcnt 0x0
	ds_store_b128 v126, v[6:9]
.LBB118_339:
	s_wait_xcnt 0x0
	s_or_b32 exec_lo, exec_lo, s2
	s_wait_storecnt_dscnt 0x0
	s_barrier_signal -1
	s_barrier_wait -1
	s_clause 0x9
	scratch_load_b128 v[4:7], off, off offset:48
	scratch_load_b128 v[8:11], off, off offset:64
	;; [unrolled: 1-line block ×10, first 2 shown]
	ds_load_b128 v[156:159], v2 offset:928
	ds_load_b128 v[164:167], v2 offset:944
	s_clause 0x2
	scratch_load_b128 v[160:163], off, off offset:208
	scratch_load_b128 v[168:171], off, off offset:32
	;; [unrolled: 1-line block ×3, first 2 shown]
	s_mov_b32 s2, exec_lo
	v_ashrrev_i32_e32 v21, 31, v20
	v_ashrrev_i32_e32 v25, 31, v24
	;; [unrolled: 1-line block ×3, first 2 shown]
	v_dual_ashrrev_i32 v33, 31, v32 :: v_dual_ashrrev_i32 v23, 31, v22
	v_dual_ashrrev_i32 v27, 31, v26 :: v_dual_ashrrev_i32 v37, 31, v36
	;; [unrolled: 1-line block ×8, first 2 shown]
	v_ashrrev_i32_e32 v65, 31, v64
	v_ashrrev_i32_e32 v69, 31, v68
	v_dual_ashrrev_i32 v73, 31, v72 :: v_dual_ashrrev_i32 v55, 31, v54
	v_ashrrev_i32_e32 v59, 31, v58
	v_ashrrev_i32_e32 v63, 31, v62
	v_dual_ashrrev_i32 v67, 31, v66 :: v_dual_ashrrev_i32 v77, 31, v76
	v_dual_ashrrev_i32 v81, 31, v80 :: v_dual_ashrrev_i32 v71, 31, v70
	;; [unrolled: 1-line block ×3, first 2 shown]
	v_ashrrev_i32_e32 v89, 31, v88
	v_dual_ashrrev_i32 v93, 31, v92 :: v_dual_ashrrev_i32 v79, 31, v78
	v_dual_ashrrev_i32 v97, 31, v96 :: v_dual_ashrrev_i32 v83, 31, v82
	v_ashrrev_i32_e32 v101, 31, v100
	v_dual_ashrrev_i32 v105, 31, v104 :: v_dual_ashrrev_i32 v87, 31, v86
	v_ashrrev_i32_e32 v91, 31, v90
	v_dual_ashrrev_i32 v95, 31, v94 :: v_dual_ashrrev_i32 v109, 31, v108
	v_dual_ashrrev_i32 v113, 31, v112 :: v_dual_ashrrev_i32 v99, 31, v98
	;; [unrolled: 1-line block ×3, first 2 shown]
	v_ashrrev_i32_e32 v121, 31, v120
	v_dual_ashrrev_i32 v125, 31, v124 :: v_dual_ashrrev_i32 v107, 31, v106
	v_ashrrev_i32_e32 v111, 31, v110
	v_ashrrev_i32_e32 v115, 31, v114
	;; [unrolled: 1-line block ×4, first 2 shown]
	s_wait_loadcnt_dscnt 0xc01
	v_mul_f64_e32 v[176:177], v[158:159], v[6:7]
	v_mul_f64_e32 v[180:181], v[156:157], v[6:7]
	s_wait_loadcnt_dscnt 0xb00
	v_mul_f64_e32 v[182:183], v[164:165], v[10:11]
	v_mul_f64_e32 v[10:11], v[166:167], v[10:11]
	s_delay_alu instid0(VALU_DEP_4) | instskip(NEXT) | instid1(VALU_DEP_4)
	v_fma_f64 v[184:185], v[156:157], v[4:5], -v[176:177]
	v_fmac_f64_e32 v[180:181], v[158:159], v[4:5]
	ds_load_b128 v[4:7], v2 offset:960
	ds_load_b128 v[176:179], v2 offset:976
	scratch_load_b128 v[156:159], off, off offset:240
	v_fmac_f64_e32 v[182:183], v[166:167], v[8:9]
	v_fma_f64 v[164:165], v[164:165], v[8:9], -v[10:11]
	scratch_load_b128 v[8:11], off, off offset:256
	s_wait_loadcnt_dscnt 0xc01
	v_mul_f64_e32 v[186:187], v[4:5], v[14:15]
	v_mul_f64_e32 v[14:15], v[6:7], v[14:15]
	v_add_f64_e32 v[166:167], 0, v[184:185]
	v_add_f64_e32 v[180:181], 0, v[180:181]
	s_wait_loadcnt_dscnt 0xb00
	v_mul_f64_e32 v[184:185], v[176:177], v[130:131]
	v_mul_f64_e32 v[130:131], v[178:179], v[130:131]
	v_fmac_f64_e32 v[186:187], v[6:7], v[12:13]
	v_fma_f64 v[188:189], v[4:5], v[12:13], -v[14:15]
	ds_load_b128 v[4:7], v2 offset:992
	scratch_load_b128 v[12:15], off, off offset:272
	v_add_f64_e32 v[190:191], v[166:167], v[164:165]
	v_add_f64_e32 v[180:181], v[180:181], v[182:183]
	ds_load_b128 v[164:167], v2 offset:1008
	v_fmac_f64_e32 v[184:185], v[178:179], v[128:129]
	v_fma_f64 v[176:177], v[176:177], v[128:129], -v[130:131]
	scratch_load_b128 v[128:131], off, off offset:288
	s_wait_loadcnt_dscnt 0xc01
	v_mul_f64_e32 v[182:183], v[4:5], v[134:135]
	v_mul_f64_e32 v[134:135], v[6:7], v[134:135]
	v_add_f64_e32 v[178:179], v[190:191], v[188:189]
	v_add_f64_e32 v[180:181], v[180:181], v[186:187]
	s_wait_loadcnt_dscnt 0xb00
	v_mul_f64_e32 v[186:187], v[164:165], v[138:139]
	v_mul_f64_e32 v[138:139], v[166:167], v[138:139]
	v_fmac_f64_e32 v[182:183], v[6:7], v[132:133]
	v_fma_f64 v[188:189], v[4:5], v[132:133], -v[134:135]
	ds_load_b128 v[4:7], v2 offset:1024
	scratch_load_b128 v[132:135], off, off offset:304
	v_add_f64_e32 v[190:191], v[178:179], v[176:177]
	v_add_f64_e32 v[180:181], v[180:181], v[184:185]
	ds_load_b128 v[176:179], v2 offset:1040
	s_wait_loadcnt_dscnt 0xb01
	v_mul_f64_e32 v[184:185], v[4:5], v[142:143]
	v_mul_f64_e32 v[142:143], v[6:7], v[142:143]
	v_fmac_f64_e32 v[186:187], v[166:167], v[136:137]
	v_fma_f64 v[164:165], v[164:165], v[136:137], -v[138:139]
	scratch_load_b128 v[136:139], off, off offset:320
	v_add_f64_e32 v[166:167], v[190:191], v[188:189]
	v_add_f64_e32 v[180:181], v[180:181], v[182:183]
	s_wait_loadcnt_dscnt 0xb00
	v_mul_f64_e32 v[182:183], v[176:177], v[146:147]
	v_mul_f64_e32 v[146:147], v[178:179], v[146:147]
	v_fmac_f64_e32 v[184:185], v[6:7], v[140:141]
	v_fma_f64 v[188:189], v[4:5], v[140:141], -v[142:143]
	ds_load_b128 v[4:7], v2 offset:1056
	scratch_load_b128 v[140:143], off, off offset:336
	v_add_f64_e32 v[190:191], v[166:167], v[164:165]
	v_add_f64_e32 v[180:181], v[180:181], v[186:187]
	ds_load_b128 v[164:167], v2 offset:1072
	s_wait_loadcnt_dscnt 0xb01
	v_mul_f64_e32 v[186:187], v[4:5], v[150:151]
	v_mul_f64_e32 v[150:151], v[6:7], v[150:151]
	v_fmac_f64_e32 v[182:183], v[178:179], v[144:145]
	v_fma_f64 v[176:177], v[176:177], v[144:145], -v[146:147]
	scratch_load_b128 v[144:147], off, off offset:352
	;; [unrolled: 18-line block ×3, first 2 shown]
	v_add_f64_e32 v[166:167], v[190:191], v[188:189]
	v_add_f64_e32 v[180:181], v[180:181], v[186:187]
	s_wait_loadcnt_dscnt 0xa00
	v_mul_f64_e32 v[186:187], v[176:177], v[174:175]
	v_mul_f64_e32 v[174:175], v[178:179], v[174:175]
	v_fmac_f64_e32 v[182:183], v[6:7], v[160:161]
	v_fma_f64 v[188:189], v[4:5], v[160:161], -v[162:163]
	ds_load_b128 v[4:7], v2 offset:1120
	scratch_load_b128 v[160:163], off, off offset:400
	v_add_f64_e32 v[190:191], v[166:167], v[164:165]
	v_add_f64_e32 v[180:181], v[180:181], v[184:185]
	ds_load_b128 v[164:167], v2 offset:1136
	v_fmac_f64_e32 v[186:187], v[178:179], v[172:173]
	s_wait_loadcnt_dscnt 0xa01
	v_mul_f64_e32 v[184:185], v[4:5], v[158:159]
	v_mul_f64_e32 v[158:159], v[6:7], v[158:159]
	v_fma_f64 v[176:177], v[176:177], v[172:173], -v[174:175]
	scratch_load_b128 v[172:175], off, off offset:416
	v_add_f64_e32 v[178:179], v[190:191], v[188:189]
	v_add_f64_e32 v[180:181], v[180:181], v[182:183]
	s_wait_loadcnt_dscnt 0xa00
	v_mul_f64_e32 v[182:183], v[164:165], v[10:11]
	v_mul_f64_e32 v[10:11], v[166:167], v[10:11]
	v_fmac_f64_e32 v[184:185], v[6:7], v[156:157]
	v_fma_f64 v[188:189], v[4:5], v[156:157], -v[158:159]
	ds_load_b128 v[4:7], v2 offset:1152
	scratch_load_b128 v[156:159], off, off offset:432
	v_add_f64_e32 v[190:191], v[178:179], v[176:177]
	v_add_f64_e32 v[180:181], v[180:181], v[186:187]
	ds_load_b128 v[176:179], v2 offset:1168
	s_wait_loadcnt_dscnt 0xa01
	v_mul_f64_e32 v[186:187], v[4:5], v[14:15]
	v_mul_f64_e32 v[14:15], v[6:7], v[14:15]
	v_fmac_f64_e32 v[182:183], v[166:167], v[8:9]
	v_fma_f64 v[164:165], v[164:165], v[8:9], -v[10:11]
	scratch_load_b128 v[8:11], off, off offset:448
	v_add_f64_e32 v[166:167], v[190:191], v[188:189]
	v_add_f64_e32 v[180:181], v[180:181], v[184:185]
	s_wait_loadcnt_dscnt 0xa00
	v_mul_f64_e32 v[184:185], v[176:177], v[130:131]
	v_mul_f64_e32 v[130:131], v[178:179], v[130:131]
	v_fmac_f64_e32 v[186:187], v[6:7], v[12:13]
	v_fma_f64 v[188:189], v[4:5], v[12:13], -v[14:15]
	ds_load_b128 v[4:7], v2 offset:1184
	scratch_load_b128 v[12:15], off, off offset:464
	v_add_f64_e32 v[190:191], v[166:167], v[164:165]
	v_add_f64_e32 v[180:181], v[180:181], v[182:183]
	ds_load_b128 v[164:167], v2 offset:1200
	s_wait_loadcnt_dscnt 0xa01
	v_mul_f64_e32 v[182:183], v[4:5], v[134:135]
	v_mul_f64_e32 v[134:135], v[6:7], v[134:135]
	v_fmac_f64_e32 v[184:185], v[178:179], v[128:129]
	;; [unrolled: 18-line block ×14, first 2 shown]
	v_fma_f64 v[176:177], v[176:177], v[128:129], -v[130:131]
	scratch_load_b128 v[128:131], off, off offset:864
	v_add_f64_e32 v[178:179], v[190:191], v[188:189]
	v_add_f64_e32 v[180:181], v[180:181], v[186:187]
	s_wait_loadcnt_dscnt 0xa00
	v_mul_f64_e32 v[186:187], v[164:165], v[138:139]
	v_mul_f64_e32 v[138:139], v[166:167], v[138:139]
	v_fmac_f64_e32 v[182:183], v[6:7], v[132:133]
	v_fma_f64 v[188:189], v[4:5], v[132:133], -v[134:135]
	ds_load_b128 v[4:7], v2 offset:1600
	ds_load_b128 v[132:135], v2 offset:1616
	v_add_f64_e32 v[176:177], v[178:179], v[176:177]
	v_add_f64_e32 v[178:179], v[180:181], v[184:185]
	s_wait_loadcnt_dscnt 0x901
	v_mul_f64_e32 v[180:181], v[4:5], v[142:143]
	v_mul_f64_e32 v[142:143], v[6:7], v[142:143]
	v_fmac_f64_e32 v[186:187], v[166:167], v[136:137]
	v_fma_f64 v[136:137], v[164:165], v[136:137], -v[138:139]
	s_wait_loadcnt_dscnt 0x800
	v_mul_f64_e32 v[166:167], v[132:133], v[146:147]
	v_mul_f64_e32 v[146:147], v[134:135], v[146:147]
	v_add_f64_e32 v[138:139], v[176:177], v[188:189]
	v_add_f64_e32 v[164:165], v[178:179], v[182:183]
	v_fmac_f64_e32 v[180:181], v[6:7], v[140:141]
	v_fma_f64 v[140:141], v[4:5], v[140:141], -v[142:143]
	v_fmac_f64_e32 v[166:167], v[134:135], v[144:145]
	v_fma_f64 v[132:133], v[132:133], v[144:145], -v[146:147]
	v_add_f64_e32 v[142:143], v[138:139], v[136:137]
	v_add_f64_e32 v[164:165], v[164:165], v[186:187]
	ds_load_b128 v[4:7], v2 offset:1632
	ds_load_b128 v[136:139], v2 offset:1648
	s_wait_loadcnt_dscnt 0x701
	v_mul_f64_e32 v[176:177], v[4:5], v[150:151]
	v_mul_f64_e32 v[150:151], v[6:7], v[150:151]
	s_wait_loadcnt_dscnt 0x600
	v_mul_f64_e32 v[144:145], v[138:139], v[154:155]
	v_add_f64_e32 v[134:135], v[142:143], v[140:141]
	v_add_f64_e32 v[140:141], v[164:165], v[180:181]
	v_mul_f64_e32 v[142:143], v[136:137], v[154:155]
	v_fmac_f64_e32 v[176:177], v[6:7], v[148:149]
	v_fma_f64 v[146:147], v[4:5], v[148:149], -v[150:151]
	v_fma_f64 v[136:137], v[136:137], v[152:153], -v[144:145]
	v_add_f64_e32 v[148:149], v[134:135], v[132:133]
	v_add_f64_e32 v[140:141], v[140:141], v[166:167]
	ds_load_b128 v[4:7], v2 offset:1664
	ds_load_b128 v[132:135], v2 offset:1680
	v_fmac_f64_e32 v[142:143], v[138:139], v[152:153]
	s_wait_loadcnt_dscnt 0x501
	v_mul_f64_e32 v[150:151], v[4:5], v[162:163]
	v_mul_f64_e32 v[154:155], v[6:7], v[162:163]
	s_wait_loadcnt_dscnt 0x400
	v_mul_f64_e32 v[144:145], v[132:133], v[174:175]
	v_add_f64_e32 v[138:139], v[148:149], v[146:147]
	v_add_f64_e32 v[140:141], v[140:141], v[176:177]
	v_mul_f64_e32 v[146:147], v[134:135], v[174:175]
	v_fmac_f64_e32 v[150:151], v[6:7], v[160:161]
	v_fma_f64 v[148:149], v[4:5], v[160:161], -v[154:155]
	v_fmac_f64_e32 v[144:145], v[134:135], v[172:173]
	v_add_f64_e32 v[152:153], v[138:139], v[136:137]
	v_add_f64_e32 v[140:141], v[140:141], v[142:143]
	ds_load_b128 v[4:7], v2 offset:1696
	ds_load_b128 v[136:139], v2 offset:1712
	v_fma_f64 v[132:133], v[132:133], v[172:173], -v[146:147]
	s_wait_loadcnt_dscnt 0x301
	v_mul_f64_e32 v[142:143], v[4:5], v[158:159]
	v_mul_f64_e32 v[154:155], v[6:7], v[158:159]
	s_wait_loadcnt_dscnt 0x200
	v_mul_f64_e32 v[146:147], v[136:137], v[10:11]
	v_mul_f64_e32 v[10:11], v[138:139], v[10:11]
	v_add_f64_e32 v[134:135], v[152:153], v[148:149]
	v_add_f64_e32 v[140:141], v[140:141], v[150:151]
	v_fmac_f64_e32 v[142:143], v[6:7], v[156:157]
	v_fma_f64 v[148:149], v[4:5], v[156:157], -v[154:155]
	v_fmac_f64_e32 v[146:147], v[138:139], v[8:9]
	v_fma_f64 v[8:9], v[136:137], v[8:9], -v[10:11]
	v_add_f64_e32 v[150:151], v[134:135], v[132:133]
	v_add_f64_e32 v[140:141], v[140:141], v[144:145]
	ds_load_b128 v[4:7], v2 offset:1728
	ds_load_b128 v[132:135], v2 offset:1744
	s_wait_loadcnt_dscnt 0x101
	v_mul_f64_e32 v[2:3], v[4:5], v[14:15]
	v_mul_f64_e32 v[14:15], v[6:7], v[14:15]
	s_wait_loadcnt_dscnt 0x0
	v_mul_f64_e32 v[138:139], v[132:133], v[130:131]
	v_mul_f64_e32 v[130:131], v[134:135], v[130:131]
	v_add_f64_e32 v[10:11], v[150:151], v[148:149]
	v_add_f64_e32 v[136:137], v[140:141], v[142:143]
	v_fmac_f64_e32 v[2:3], v[6:7], v[12:13]
	v_fma_f64 v[4:5], v[4:5], v[12:13], -v[14:15]
	v_fmac_f64_e32 v[138:139], v[134:135], v[128:129]
	v_add_f64_e32 v[6:7], v[10:11], v[8:9]
	v_add_f64_e32 v[8:9], v[136:137], v[146:147]
	v_fma_f64 v[10:11], v[132:133], v[128:129], -v[130:131]
	s_delay_alu instid0(VALU_DEP_3) | instskip(NEXT) | instid1(VALU_DEP_3)
	v_add_f64_e32 v[4:5], v[6:7], v[4:5]
	v_add_f64_e32 v[2:3], v[8:9], v[2:3]
	s_delay_alu instid0(VALU_DEP_2) | instskip(NEXT) | instid1(VALU_DEP_2)
	v_add_f64_e32 v[4:5], v[4:5], v[10:11]
	v_add_f64_e32 v[6:7], v[2:3], v[138:139]
	s_delay_alu instid0(VALU_DEP_2) | instskip(NEXT) | instid1(VALU_DEP_2)
	v_add_f64_e64 v[2:3], v[168:169], -v[4:5]
	v_add_f64_e64 v[4:5], v[170:171], -v[6:7]
	scratch_store_b128 off, v[2:5], off offset:32
	s_wait_xcnt 0x0
	v_cmpx_lt_u32_e32 1, v1
	s_cbranch_execz .LBB118_341
; %bb.340:
	scratch_load_b128 v[2:5], off, s18
	v_mov_b32_e32 v6, 0
	s_delay_alu instid0(VALU_DEP_1)
	v_dual_mov_b32 v7, v6 :: v_dual_mov_b32 v8, v6
	v_mov_b32_e32 v9, v6
	scratch_store_b128 off, v[6:9], off offset:16
	s_wait_loadcnt 0x0
	ds_store_b128 v126, v[2:5]
.LBB118_341:
	s_wait_xcnt 0x0
	s_or_b32 exec_lo, exec_lo, s2
	s_wait_storecnt_dscnt 0x0
	s_barrier_signal -1
	s_barrier_wait -1
	s_clause 0x9
	scratch_load_b128 v[4:7], off, off offset:32
	scratch_load_b128 v[8:11], off, off offset:48
	;; [unrolled: 1-line block ×10, first 2 shown]
	v_mov_b32_e32 v2, 0
	s_mov_b32 s2, exec_lo
	ds_load_b128 v[156:159], v2 offset:912
	s_clause 0x2
	scratch_load_b128 v[160:163], off, off offset:192
	scratch_load_b128 v[164:167], off, off offset:16
	;; [unrolled: 1-line block ×3, first 2 shown]
	s_wait_loadcnt_dscnt 0xc00
	v_mul_f64_e32 v[176:177], v[158:159], v[6:7]
	v_mul_f64_e32 v[180:181], v[156:157], v[6:7]
	ds_load_b128 v[168:171], v2 offset:928
	v_fma_f64 v[184:185], v[156:157], v[4:5], -v[176:177]
	v_fmac_f64_e32 v[180:181], v[158:159], v[4:5]
	ds_load_b128 v[4:7], v2 offset:944
	s_wait_loadcnt_dscnt 0xb01
	v_mul_f64_e32 v[182:183], v[168:169], v[10:11]
	v_mul_f64_e32 v[10:11], v[170:171], v[10:11]
	scratch_load_b128 v[156:159], off, off offset:224
	ds_load_b128 v[176:179], v2 offset:960
	s_wait_loadcnt_dscnt 0xb01
	v_mul_f64_e32 v[186:187], v[4:5], v[14:15]
	v_mul_f64_e32 v[14:15], v[6:7], v[14:15]
	v_add_f64_e32 v[180:181], 0, v[180:181]
	v_fmac_f64_e32 v[182:183], v[170:171], v[8:9]
	v_fma_f64 v[168:169], v[168:169], v[8:9], -v[10:11]
	v_add_f64_e32 v[170:171], 0, v[184:185]
	scratch_load_b128 v[8:11], off, off offset:240
	v_fmac_f64_e32 v[186:187], v[6:7], v[12:13]
	v_fma_f64 v[188:189], v[4:5], v[12:13], -v[14:15]
	ds_load_b128 v[4:7], v2 offset:976
	s_wait_loadcnt_dscnt 0xb01
	v_mul_f64_e32 v[184:185], v[176:177], v[130:131]
	v_mul_f64_e32 v[130:131], v[178:179], v[130:131]
	scratch_load_b128 v[12:15], off, off offset:256
	v_add_f64_e32 v[180:181], v[180:181], v[182:183]
	v_add_f64_e32 v[190:191], v[170:171], v[168:169]
	ds_load_b128 v[168:171], v2 offset:992
	s_wait_loadcnt_dscnt 0xb01
	v_mul_f64_e32 v[182:183], v[4:5], v[134:135]
	v_mul_f64_e32 v[134:135], v[6:7], v[134:135]
	v_fmac_f64_e32 v[184:185], v[178:179], v[128:129]
	v_fma_f64 v[176:177], v[176:177], v[128:129], -v[130:131]
	scratch_load_b128 v[128:131], off, off offset:272
	v_add_f64_e32 v[180:181], v[180:181], v[186:187]
	v_add_f64_e32 v[178:179], v[190:191], v[188:189]
	v_fmac_f64_e32 v[182:183], v[6:7], v[132:133]
	v_fma_f64 v[188:189], v[4:5], v[132:133], -v[134:135]
	ds_load_b128 v[4:7], v2 offset:1008
	s_wait_loadcnt_dscnt 0xb01
	v_mul_f64_e32 v[186:187], v[168:169], v[138:139]
	v_mul_f64_e32 v[138:139], v[170:171], v[138:139]
	scratch_load_b128 v[132:135], off, off offset:288
	v_add_f64_e32 v[180:181], v[180:181], v[184:185]
	s_wait_loadcnt_dscnt 0xb00
	v_mul_f64_e32 v[184:185], v[4:5], v[142:143]
	v_add_f64_e32 v[190:191], v[178:179], v[176:177]
	v_mul_f64_e32 v[142:143], v[6:7], v[142:143]
	ds_load_b128 v[176:179], v2 offset:1024
	v_fmac_f64_e32 v[186:187], v[170:171], v[136:137]
	v_fma_f64 v[168:169], v[168:169], v[136:137], -v[138:139]
	scratch_load_b128 v[136:139], off, off offset:304
	v_add_f64_e32 v[180:181], v[180:181], v[182:183]
	v_fmac_f64_e32 v[184:185], v[6:7], v[140:141]
	v_add_f64_e32 v[170:171], v[190:191], v[188:189]
	v_fma_f64 v[188:189], v[4:5], v[140:141], -v[142:143]
	ds_load_b128 v[4:7], v2 offset:1040
	s_wait_loadcnt_dscnt 0xb01
	v_mul_f64_e32 v[182:183], v[176:177], v[146:147]
	v_mul_f64_e32 v[146:147], v[178:179], v[146:147]
	scratch_load_b128 v[140:143], off, off offset:320
	v_add_f64_e32 v[180:181], v[180:181], v[186:187]
	s_wait_loadcnt_dscnt 0xb00
	v_mul_f64_e32 v[186:187], v[4:5], v[150:151]
	v_add_f64_e32 v[190:191], v[170:171], v[168:169]
	v_mul_f64_e32 v[150:151], v[6:7], v[150:151]
	ds_load_b128 v[168:171], v2 offset:1056
	v_fmac_f64_e32 v[182:183], v[178:179], v[144:145]
	v_fma_f64 v[176:177], v[176:177], v[144:145], -v[146:147]
	scratch_load_b128 v[144:147], off, off offset:336
	v_add_f64_e32 v[180:181], v[180:181], v[184:185]
	v_fmac_f64_e32 v[186:187], v[6:7], v[148:149]
	v_add_f64_e32 v[178:179], v[190:191], v[188:189]
	;; [unrolled: 18-line block ×3, first 2 shown]
	v_fma_f64 v[188:189], v[4:5], v[160:161], -v[162:163]
	ds_load_b128 v[4:7], v2 offset:1104
	s_wait_loadcnt_dscnt 0xa01
	v_mul_f64_e32 v[186:187], v[176:177], v[174:175]
	v_mul_f64_e32 v[174:175], v[178:179], v[174:175]
	scratch_load_b128 v[160:163], off, off offset:384
	v_add_f64_e32 v[180:181], v[180:181], v[184:185]
	v_add_f64_e32 v[190:191], v[170:171], v[168:169]
	s_wait_loadcnt_dscnt 0xa00
	v_mul_f64_e32 v[184:185], v[4:5], v[158:159]
	v_mul_f64_e32 v[158:159], v[6:7], v[158:159]
	v_fmac_f64_e32 v[186:187], v[178:179], v[172:173]
	v_fma_f64 v[176:177], v[176:177], v[172:173], -v[174:175]
	ds_load_b128 v[168:171], v2 offset:1120
	scratch_load_b128 v[172:175], off, off offset:400
	v_add_f64_e32 v[180:181], v[180:181], v[182:183]
	v_add_f64_e32 v[178:179], v[190:191], v[188:189]
	v_fmac_f64_e32 v[184:185], v[6:7], v[156:157]
	v_fma_f64 v[188:189], v[4:5], v[156:157], -v[158:159]
	ds_load_b128 v[4:7], v2 offset:1136
	s_wait_loadcnt_dscnt 0xa01
	v_mul_f64_e32 v[182:183], v[168:169], v[10:11]
	v_mul_f64_e32 v[10:11], v[170:171], v[10:11]
	scratch_load_b128 v[156:159], off, off offset:416
	v_add_f64_e32 v[180:181], v[180:181], v[186:187]
	s_wait_loadcnt_dscnt 0xa00
	v_mul_f64_e32 v[186:187], v[4:5], v[14:15]
	v_add_f64_e32 v[190:191], v[178:179], v[176:177]
	v_mul_f64_e32 v[14:15], v[6:7], v[14:15]
	ds_load_b128 v[176:179], v2 offset:1152
	v_fmac_f64_e32 v[182:183], v[170:171], v[8:9]
	v_fma_f64 v[168:169], v[168:169], v[8:9], -v[10:11]
	scratch_load_b128 v[8:11], off, off offset:432
	v_add_f64_e32 v[180:181], v[180:181], v[184:185]
	v_fmac_f64_e32 v[186:187], v[6:7], v[12:13]
	v_add_f64_e32 v[170:171], v[190:191], v[188:189]
	v_fma_f64 v[188:189], v[4:5], v[12:13], -v[14:15]
	ds_load_b128 v[4:7], v2 offset:1168
	s_wait_loadcnt_dscnt 0xa01
	v_mul_f64_e32 v[184:185], v[176:177], v[130:131]
	v_mul_f64_e32 v[130:131], v[178:179], v[130:131]
	scratch_load_b128 v[12:15], off, off offset:448
	v_add_f64_e32 v[180:181], v[180:181], v[182:183]
	s_wait_loadcnt_dscnt 0xa00
	v_mul_f64_e32 v[182:183], v[4:5], v[134:135]
	v_add_f64_e32 v[190:191], v[170:171], v[168:169]
	v_mul_f64_e32 v[134:135], v[6:7], v[134:135]
	ds_load_b128 v[168:171], v2 offset:1184
	v_fmac_f64_e32 v[184:185], v[178:179], v[128:129]
	v_fma_f64 v[176:177], v[176:177], v[128:129], -v[130:131]
	scratch_load_b128 v[128:131], off, off offset:464
	v_add_f64_e32 v[180:181], v[180:181], v[186:187]
	v_fmac_f64_e32 v[182:183], v[6:7], v[132:133]
	v_add_f64_e32 v[178:179], v[190:191], v[188:189]
	;; [unrolled: 18-line block ×14, first 2 shown]
	v_fma_f64 v[188:189], v[4:5], v[132:133], -v[134:135]
	ds_load_b128 v[4:7], v2 offset:1584
	s_wait_loadcnt_dscnt 0xa01
	v_mul_f64_e32 v[186:187], v[168:169], v[138:139]
	v_mul_f64_e32 v[138:139], v[170:171], v[138:139]
	scratch_load_b128 v[132:135], off, off offset:864
	v_add_f64_e32 v[180:181], v[180:181], v[184:185]
	s_wait_loadcnt_dscnt 0xa00
	v_mul_f64_e32 v[184:185], v[4:5], v[142:143]
	v_add_f64_e32 v[190:191], v[178:179], v[176:177]
	v_mul_f64_e32 v[142:143], v[6:7], v[142:143]
	ds_load_b128 v[176:179], v2 offset:1600
	v_fmac_f64_e32 v[186:187], v[170:171], v[136:137]
	v_fma_f64 v[136:137], v[168:169], v[136:137], -v[138:139]
	s_wait_loadcnt_dscnt 0x900
	v_mul_f64_e32 v[170:171], v[176:177], v[146:147]
	v_mul_f64_e32 v[146:147], v[178:179], v[146:147]
	v_add_f64_e32 v[168:169], v[180:181], v[182:183]
	v_fmac_f64_e32 v[184:185], v[6:7], v[140:141]
	v_add_f64_e32 v[138:139], v[190:191], v[188:189]
	v_fma_f64 v[140:141], v[4:5], v[140:141], -v[142:143]
	v_fmac_f64_e32 v[170:171], v[178:179], v[144:145]
	v_fma_f64 v[144:145], v[176:177], v[144:145], -v[146:147]
	v_add_f64_e32 v[168:169], v[168:169], v[186:187]
	v_add_f64_e32 v[142:143], v[138:139], v[136:137]
	ds_load_b128 v[4:7], v2 offset:1616
	ds_load_b128 v[136:139], v2 offset:1632
	s_wait_loadcnt_dscnt 0x801
	v_mul_f64_e32 v[180:181], v[4:5], v[150:151]
	v_mul_f64_e32 v[150:151], v[6:7], v[150:151]
	s_wait_loadcnt_dscnt 0x700
	v_mul_f64_e32 v[146:147], v[136:137], v[154:155]
	v_mul_f64_e32 v[154:155], v[138:139], v[154:155]
	v_add_f64_e32 v[140:141], v[142:143], v[140:141]
	v_add_f64_e32 v[142:143], v[168:169], v[184:185]
	v_fmac_f64_e32 v[180:181], v[6:7], v[148:149]
	v_fma_f64 v[148:149], v[4:5], v[148:149], -v[150:151]
	v_fmac_f64_e32 v[146:147], v[138:139], v[152:153]
	v_fma_f64 v[136:137], v[136:137], v[152:153], -v[154:155]
	v_add_f64_e32 v[144:145], v[140:141], v[144:145]
	v_add_f64_e32 v[150:151], v[142:143], v[170:171]
	ds_load_b128 v[4:7], v2 offset:1648
	ds_load_b128 v[140:143], v2 offset:1664
	s_wait_loadcnt_dscnt 0x601
	v_mul_f64_e32 v[168:169], v[4:5], v[162:163]
	v_mul_f64_e32 v[162:163], v[6:7], v[162:163]
	v_add_f64_e32 v[138:139], v[144:145], v[148:149]
	v_add_f64_e32 v[144:145], v[150:151], v[180:181]
	s_wait_loadcnt_dscnt 0x500
	v_mul_f64_e32 v[148:149], v[140:141], v[174:175]
	v_mul_f64_e32 v[150:151], v[142:143], v[174:175]
	v_fmac_f64_e32 v[168:169], v[6:7], v[160:161]
	v_fma_f64 v[152:153], v[4:5], v[160:161], -v[162:163]
	v_add_f64_e32 v[154:155], v[138:139], v[136:137]
	v_add_f64_e32 v[144:145], v[144:145], v[146:147]
	ds_load_b128 v[4:7], v2 offset:1680
	ds_load_b128 v[136:139], v2 offset:1696
	v_fmac_f64_e32 v[148:149], v[142:143], v[172:173]
	v_fma_f64 v[140:141], v[140:141], v[172:173], -v[150:151]
	s_wait_loadcnt_dscnt 0x401
	v_mul_f64_e32 v[146:147], v[4:5], v[158:159]
	v_mul_f64_e32 v[158:159], v[6:7], v[158:159]
	s_wait_loadcnt_dscnt 0x300
	v_mul_f64_e32 v[150:151], v[136:137], v[10:11]
	v_mul_f64_e32 v[10:11], v[138:139], v[10:11]
	v_add_f64_e32 v[142:143], v[154:155], v[152:153]
	v_add_f64_e32 v[144:145], v[144:145], v[168:169]
	v_fmac_f64_e32 v[146:147], v[6:7], v[156:157]
	v_fma_f64 v[152:153], v[4:5], v[156:157], -v[158:159]
	v_fmac_f64_e32 v[150:151], v[138:139], v[8:9]
	v_fma_f64 v[8:9], v[136:137], v[8:9], -v[10:11]
	v_add_f64_e32 v[154:155], v[142:143], v[140:141]
	v_add_f64_e32 v[144:145], v[144:145], v[148:149]
	ds_load_b128 v[4:7], v2 offset:1712
	ds_load_b128 v[140:143], v2 offset:1728
	s_wait_loadcnt_dscnt 0x201
	v_mul_f64_e32 v[148:149], v[4:5], v[14:15]
	v_mul_f64_e32 v[14:15], v[6:7], v[14:15]
	s_wait_loadcnt_dscnt 0x100
	v_mul_f64_e32 v[138:139], v[140:141], v[130:131]
	v_mul_f64_e32 v[130:131], v[142:143], v[130:131]
	v_add_f64_e32 v[10:11], v[154:155], v[152:153]
	v_add_f64_e32 v[136:137], v[144:145], v[146:147]
	v_fmac_f64_e32 v[148:149], v[6:7], v[12:13]
	v_fma_f64 v[12:13], v[4:5], v[12:13], -v[14:15]
	ds_load_b128 v[4:7], v2 offset:1744
	v_fmac_f64_e32 v[138:139], v[142:143], v[128:129]
	v_fma_f64 v[128:129], v[140:141], v[128:129], -v[130:131]
	v_add_f64_e32 v[8:9], v[10:11], v[8:9]
	v_add_f64_e32 v[10:11], v[136:137], v[150:151]
	s_wait_loadcnt_dscnt 0x0
	v_mul_f64_e32 v[14:15], v[4:5], v[134:135]
	v_mul_f64_e32 v[134:135], v[6:7], v[134:135]
	s_delay_alu instid0(VALU_DEP_4) | instskip(NEXT) | instid1(VALU_DEP_4)
	v_add_f64_e32 v[8:9], v[8:9], v[12:13]
	v_add_f64_e32 v[10:11], v[10:11], v[148:149]
	s_delay_alu instid0(VALU_DEP_4) | instskip(NEXT) | instid1(VALU_DEP_4)
	v_fmac_f64_e32 v[14:15], v[6:7], v[132:133]
	v_fma_f64 v[4:5], v[4:5], v[132:133], -v[134:135]
	s_delay_alu instid0(VALU_DEP_4) | instskip(NEXT) | instid1(VALU_DEP_4)
	v_add_f64_e32 v[6:7], v[8:9], v[128:129]
	v_add_f64_e32 v[8:9], v[10:11], v[138:139]
	s_delay_alu instid0(VALU_DEP_2) | instskip(NEXT) | instid1(VALU_DEP_2)
	v_add_f64_e32 v[4:5], v[6:7], v[4:5]
	v_add_f64_e32 v[6:7], v[8:9], v[14:15]
	s_delay_alu instid0(VALU_DEP_2) | instskip(NEXT) | instid1(VALU_DEP_2)
	v_add_f64_e64 v[4:5], v[164:165], -v[4:5]
	v_add_f64_e64 v[6:7], v[166:167], -v[6:7]
	scratch_store_b128 off, v[4:7], off offset:16
	s_wait_xcnt 0x0
	v_cmpx_ne_u32_e32 0, v1
	s_cbranch_execz .LBB118_343
; %bb.342:
	scratch_load_b128 v[6:9], off, off
	v_dual_mov_b32 v3, v2 :: v_dual_mov_b32 v4, v2
	v_mov_b32_e32 v5, v2
	scratch_store_b128 off, v[2:5], off
	s_wait_loadcnt 0x0
	ds_store_b128 v126, v[6:9]
.LBB118_343:
	s_wait_xcnt 0x0
	s_or_b32 exec_lo, exec_lo, s2
	s_wait_storecnt_dscnt 0x0
	s_barrier_signal -1
	s_barrier_wait -1
	s_clause 0x9
	scratch_load_b128 v[4:7], off, off offset:16
	scratch_load_b128 v[8:11], off, off offset:32
	;; [unrolled: 1-line block ×10, first 2 shown]
	ds_load_b128 v[154:157], v2 offset:896
	ds_load_b128 v[162:165], v2 offset:912
	s_clause 0x2
	scratch_load_b128 v[158:161], off, off offset:176
	scratch_load_b128 v[170:173], off, off
	scratch_load_b128 v[166:169], off, off offset:192
	s_and_b32 vcc_lo, exec_lo, s67
	s_wait_loadcnt_dscnt 0xc01
	v_mul_f64_e32 v[174:175], v[156:157], v[6:7]
	v_mul_f64_e32 v[178:179], v[154:155], v[6:7]
	s_wait_loadcnt_dscnt 0xb00
	v_mul_f64_e32 v[180:181], v[162:163], v[10:11]
	v_mul_f64_e32 v[10:11], v[164:165], v[10:11]
	s_delay_alu instid0(VALU_DEP_4) | instskip(NEXT) | instid1(VALU_DEP_4)
	v_fma_f64 v[182:183], v[154:155], v[4:5], -v[174:175]
	v_fmac_f64_e32 v[178:179], v[156:157], v[4:5]
	ds_load_b128 v[4:7], v2 offset:928
	ds_load_b128 v[154:157], v2 offset:944
	scratch_load_b128 v[174:177], off, off offset:208
	v_fmac_f64_e32 v[180:181], v[164:165], v[8:9]
	v_fma_f64 v[162:163], v[162:163], v[8:9], -v[10:11]
	scratch_load_b128 v[8:11], off, off offset:224
	s_wait_loadcnt_dscnt 0xc01
	v_mul_f64_e32 v[184:185], v[4:5], v[14:15]
	v_mul_f64_e32 v[14:15], v[6:7], v[14:15]
	v_add_f64_e32 v[164:165], 0, v[182:183]
	v_add_f64_e32 v[178:179], 0, v[178:179]
	s_wait_loadcnt_dscnt 0xb00
	v_mul_f64_e32 v[182:183], v[154:155], v[128:129]
	v_mul_f64_e32 v[128:129], v[156:157], v[128:129]
	v_fmac_f64_e32 v[184:185], v[6:7], v[12:13]
	v_fma_f64 v[186:187], v[4:5], v[12:13], -v[14:15]
	ds_load_b128 v[4:7], v2 offset:960
	ds_load_b128 v[12:15], v2 offset:976
	v_add_f64_e32 v[188:189], v[164:165], v[162:163]
	v_add_f64_e32 v[178:179], v[178:179], v[180:181]
	scratch_load_b128 v[162:165], off, off offset:240
	v_fmac_f64_e32 v[182:183], v[156:157], v[126:127]
	v_fma_f64 v[154:155], v[154:155], v[126:127], -v[128:129]
	scratch_load_b128 v[126:129], off, off offset:256
	s_wait_loadcnt_dscnt 0xc01
	v_mul_f64_e32 v[180:181], v[4:5], v[132:133]
	v_mul_f64_e32 v[132:133], v[6:7], v[132:133]
	v_add_f64_e32 v[156:157], v[188:189], v[186:187]
	v_add_f64_e32 v[178:179], v[178:179], v[184:185]
	s_wait_loadcnt_dscnt 0xb00
	v_mul_f64_e32 v[184:185], v[12:13], v[136:137]
	v_mul_f64_e32 v[136:137], v[14:15], v[136:137]
	v_fmac_f64_e32 v[180:181], v[6:7], v[130:131]
	v_fma_f64 v[186:187], v[4:5], v[130:131], -v[132:133]
	ds_load_b128 v[4:7], v2 offset:992
	ds_load_b128 v[130:133], v2 offset:1008
	v_add_f64_e32 v[188:189], v[156:157], v[154:155]
	v_add_f64_e32 v[178:179], v[178:179], v[182:183]
	scratch_load_b128 v[154:157], off, off offset:272
	s_wait_loadcnt_dscnt 0xb01
	v_mul_f64_e32 v[182:183], v[4:5], v[140:141]
	v_mul_f64_e32 v[140:141], v[6:7], v[140:141]
	v_fmac_f64_e32 v[184:185], v[14:15], v[134:135]
	v_fma_f64 v[134:135], v[12:13], v[134:135], -v[136:137]
	scratch_load_b128 v[12:15], off, off offset:288
	v_add_f64_e32 v[136:137], v[188:189], v[186:187]
	v_add_f64_e32 v[178:179], v[178:179], v[180:181]
	s_wait_loadcnt_dscnt 0xb00
	v_mul_f64_e32 v[180:181], v[130:131], v[144:145]
	v_mul_f64_e32 v[144:145], v[132:133], v[144:145]
	v_fmac_f64_e32 v[182:183], v[6:7], v[138:139]
	v_fma_f64 v[186:187], v[4:5], v[138:139], -v[140:141]
	v_add_f64_e32 v[188:189], v[136:137], v[134:135]
	v_add_f64_e32 v[178:179], v[178:179], v[184:185]
	ds_load_b128 v[4:7], v2 offset:1024
	ds_load_b128 v[134:137], v2 offset:1040
	scratch_load_b128 v[138:141], off, off offset:304
	v_fmac_f64_e32 v[180:181], v[132:133], v[142:143]
	v_fma_f64 v[142:143], v[130:131], v[142:143], -v[144:145]
	scratch_load_b128 v[130:133], off, off offset:320
	s_wait_loadcnt_dscnt 0xc01
	v_mul_f64_e32 v[184:185], v[4:5], v[148:149]
	v_mul_f64_e32 v[148:149], v[6:7], v[148:149]
	v_add_f64_e32 v[144:145], v[188:189], v[186:187]
	v_add_f64_e32 v[178:179], v[178:179], v[182:183]
	s_wait_loadcnt_dscnt 0xb00
	v_mul_f64_e32 v[182:183], v[134:135], v[152:153]
	v_mul_f64_e32 v[152:153], v[136:137], v[152:153]
	v_fmac_f64_e32 v[184:185], v[6:7], v[146:147]
	v_fma_f64 v[186:187], v[4:5], v[146:147], -v[148:149]
	v_add_f64_e32 v[188:189], v[144:145], v[142:143]
	v_add_f64_e32 v[178:179], v[178:179], v[180:181]
	ds_load_b128 v[4:7], v2 offset:1056
	ds_load_b128 v[142:145], v2 offset:1072
	scratch_load_b128 v[146:149], off, off offset:336
	v_fmac_f64_e32 v[182:183], v[136:137], v[150:151]
	v_fma_f64 v[150:151], v[134:135], v[150:151], -v[152:153]
	scratch_load_b128 v[134:137], off, off offset:352
	s_wait_loadcnt_dscnt 0xc01
	v_mul_f64_e32 v[180:181], v[4:5], v[160:161]
	v_mul_f64_e32 v[160:161], v[6:7], v[160:161]
	;; [unrolled: 18-line block ×5, first 2 shown]
	v_add_f64_e32 v[168:169], v[188:189], v[186:187]
	v_add_f64_e32 v[178:179], v[178:179], v[184:185]
	s_wait_loadcnt_dscnt 0xa00
	v_mul_f64_e32 v[184:185], v[150:151], v[14:15]
	v_mul_f64_e32 v[14:15], v[152:153], v[14:15]
	v_fmac_f64_e32 v[180:181], v[6:7], v[154:155]
	v_fma_f64 v[186:187], v[4:5], v[154:155], -v[156:157]
	ds_load_b128 v[4:7], v2 offset:1184
	ds_load_b128 v[154:157], v2 offset:1200
	v_add_f64_e32 v[188:189], v[168:169], v[166:167]
	v_add_f64_e32 v[178:179], v[178:179], v[182:183]
	scratch_load_b128 v[166:169], off, off offset:464
	v_fmac_f64_e32 v[184:185], v[152:153], v[12:13]
	v_fma_f64 v[150:151], v[150:151], v[12:13], -v[14:15]
	scratch_load_b128 v[12:15], off, off offset:480
	s_wait_loadcnt_dscnt 0xb01
	v_mul_f64_e32 v[182:183], v[4:5], v[140:141]
	v_mul_f64_e32 v[140:141], v[6:7], v[140:141]
	v_add_f64_e32 v[152:153], v[188:189], v[186:187]
	v_add_f64_e32 v[178:179], v[178:179], v[180:181]
	s_wait_loadcnt_dscnt 0xa00
	v_mul_f64_e32 v[180:181], v[154:155], v[132:133]
	v_mul_f64_e32 v[132:133], v[156:157], v[132:133]
	v_fmac_f64_e32 v[182:183], v[6:7], v[138:139]
	v_fma_f64 v[186:187], v[4:5], v[138:139], -v[140:141]
	ds_load_b128 v[4:7], v2 offset:1216
	ds_load_b128 v[138:141], v2 offset:1232
	v_add_f64_e32 v[188:189], v[152:153], v[150:151]
	v_add_f64_e32 v[178:179], v[178:179], v[184:185]
	scratch_load_b128 v[150:153], off, off offset:496
	s_wait_loadcnt_dscnt 0xa01
	v_mul_f64_e32 v[184:185], v[4:5], v[148:149]
	v_mul_f64_e32 v[148:149], v[6:7], v[148:149]
	v_fmac_f64_e32 v[180:181], v[156:157], v[130:131]
	v_fma_f64 v[154:155], v[154:155], v[130:131], -v[132:133]
	scratch_load_b128 v[130:133], off, off offset:512
	v_add_f64_e32 v[156:157], v[188:189], v[186:187]
	v_add_f64_e32 v[178:179], v[178:179], v[182:183]
	s_wait_loadcnt_dscnt 0xa00
	v_mul_f64_e32 v[182:183], v[138:139], v[136:137]
	v_mul_f64_e32 v[136:137], v[140:141], v[136:137]
	v_fmac_f64_e32 v[184:185], v[6:7], v[146:147]
	v_fma_f64 v[186:187], v[4:5], v[146:147], -v[148:149]
	ds_load_b128 v[4:7], v2 offset:1248
	ds_load_b128 v[146:149], v2 offset:1264
	v_add_f64_e32 v[188:189], v[156:157], v[154:155]
	v_add_f64_e32 v[178:179], v[178:179], v[180:181]
	scratch_load_b128 v[154:157], off, off offset:528
	s_wait_loadcnt_dscnt 0xa01
	v_mul_f64_e32 v[180:181], v[4:5], v[160:161]
	v_mul_f64_e32 v[160:161], v[6:7], v[160:161]
	v_fmac_f64_e32 v[182:183], v[140:141], v[134:135]
	v_fma_f64 v[138:139], v[138:139], v[134:135], -v[136:137]
	scratch_load_b128 v[134:137], off, off offset:544
	v_add_f64_e32 v[140:141], v[188:189], v[186:187]
	v_add_f64_e32 v[178:179], v[178:179], v[184:185]
	s_wait_loadcnt_dscnt 0xa00
	v_mul_f64_e32 v[184:185], v[146:147], v[144:145]
	v_mul_f64_e32 v[144:145], v[148:149], v[144:145]
	v_fmac_f64_e32 v[180:181], v[6:7], v[158:159]
	v_fma_f64 v[186:187], v[4:5], v[158:159], -v[160:161]
	v_add_f64_e32 v[188:189], v[140:141], v[138:139]
	v_add_f64_e32 v[178:179], v[178:179], v[182:183]
	ds_load_b128 v[4:7], v2 offset:1280
	ds_load_b128 v[138:141], v2 offset:1296
	scratch_load_b128 v[158:161], off, off offset:560
	v_fmac_f64_e32 v[184:185], v[148:149], v[142:143]
	v_fma_f64 v[146:147], v[146:147], v[142:143], -v[144:145]
	scratch_load_b128 v[142:145], off, off offset:576
	s_wait_loadcnt_dscnt 0xb01
	v_mul_f64_e32 v[182:183], v[4:5], v[176:177]
	v_mul_f64_e32 v[176:177], v[6:7], v[176:177]
	v_add_f64_e32 v[148:149], v[188:189], v[186:187]
	v_add_f64_e32 v[178:179], v[178:179], v[180:181]
	s_wait_loadcnt_dscnt 0xa00
	v_mul_f64_e32 v[180:181], v[138:139], v[10:11]
	v_mul_f64_e32 v[10:11], v[140:141], v[10:11]
	v_fmac_f64_e32 v[182:183], v[6:7], v[174:175]
	v_fma_f64 v[186:187], v[4:5], v[174:175], -v[176:177]
	v_add_f64_e32 v[188:189], v[148:149], v[146:147]
	v_add_f64_e32 v[178:179], v[178:179], v[184:185]
	ds_load_b128 v[4:7], v2 offset:1312
	ds_load_b128 v[146:149], v2 offset:1328
	scratch_load_b128 v[174:177], off, off offset:592
	v_fmac_f64_e32 v[180:181], v[140:141], v[8:9]
	v_fma_f64 v[138:139], v[138:139], v[8:9], -v[10:11]
	scratch_load_b128 v[8:11], off, off offset:608
	s_wait_loadcnt_dscnt 0xb01
	v_mul_f64_e32 v[184:185], v[4:5], v[164:165]
	v_mul_f64_e32 v[164:165], v[6:7], v[164:165]
	;; [unrolled: 18-line block ×10, first 2 shown]
	v_add_f64_e32 v[140:141], v[188:189], v[186:187]
	v_add_f64_e32 v[178:179], v[178:179], v[180:181]
	s_wait_loadcnt_dscnt 0xa00
	v_mul_f64_e32 v[180:181], v[146:147], v[132:133]
	v_mul_f64_e32 v[132:133], v[148:149], v[132:133]
	v_fmac_f64_e32 v[182:183], v[6:7], v[150:151]
	v_fma_f64 v[150:151], v[4:5], v[150:151], -v[152:153]
	v_add_f64_e32 v[152:153], v[140:141], v[138:139]
	v_add_f64_e32 v[178:179], v[178:179], v[184:185]
	ds_load_b128 v[4:7], v2 offset:1600
	ds_load_b128 v[138:141], v2 offset:1616
	v_fmac_f64_e32 v[180:181], v[148:149], v[130:131]
	v_fma_f64 v[130:131], v[146:147], v[130:131], -v[132:133]
	s_wait_loadcnt_dscnt 0x901
	v_mul_f64_e32 v[184:185], v[4:5], v[156:157]
	v_mul_f64_e32 v[156:157], v[6:7], v[156:157]
	s_wait_loadcnt_dscnt 0x800
	v_mul_f64_e32 v[148:149], v[138:139], v[136:137]
	v_mul_f64_e32 v[136:137], v[140:141], v[136:137]
	v_add_f64_e32 v[132:133], v[152:153], v[150:151]
	v_add_f64_e32 v[146:147], v[178:179], v[182:183]
	v_fmac_f64_e32 v[184:185], v[6:7], v[154:155]
	v_fma_f64 v[150:151], v[4:5], v[154:155], -v[156:157]
	v_fmac_f64_e32 v[148:149], v[140:141], v[134:135]
	v_fma_f64 v[134:135], v[138:139], v[134:135], -v[136:137]
	v_add_f64_e32 v[152:153], v[132:133], v[130:131]
	v_add_f64_e32 v[146:147], v[146:147], v[180:181]
	ds_load_b128 v[4:7], v2 offset:1632
	ds_load_b128 v[130:133], v2 offset:1648
	s_wait_loadcnt_dscnt 0x701
	v_mul_f64_e32 v[154:155], v[4:5], v[160:161]
	v_mul_f64_e32 v[156:157], v[6:7], v[160:161]
	s_wait_loadcnt_dscnt 0x600
	v_mul_f64_e32 v[140:141], v[130:131], v[144:145]
	v_mul_f64_e32 v[144:145], v[132:133], v[144:145]
	v_lshl_add_u64 v[160:161], v[28:29], 4, s[4:5]
	v_lshl_add_u64 v[28:29], v[102:103], 4, s[4:5]
	v_add_f64_e32 v[136:137], v[152:153], v[150:151]
	v_add_f64_e32 v[138:139], v[146:147], v[184:185]
	v_fmac_f64_e32 v[154:155], v[6:7], v[158:159]
	v_fma_f64 v[146:147], v[4:5], v[158:159], -v[156:157]
	v_fmac_f64_e32 v[140:141], v[132:133], v[142:143]
	v_fma_f64 v[130:131], v[130:131], v[142:143], -v[144:145]
	v_lshl_add_u64 v[158:159], v[30:31], 4, s[4:5]
	v_lshl_add_u64 v[156:157], v[32:33], 4, s[4:5]
	;; [unrolled: 1-line block ×4, first 2 shown]
	v_add_f64_e32 v[150:151], v[136:137], v[134:135]
	v_add_f64_e32 v[138:139], v[138:139], v[148:149]
	ds_load_b128 v[4:7], v2 offset:1664
	ds_load_b128 v[134:137], v2 offset:1680
	s_wait_loadcnt_dscnt 0x501
	v_mul_f64_e32 v[148:149], v[4:5], v[176:177]
	v_mul_f64_e32 v[152:153], v[6:7], v[176:177]
	s_wait_loadcnt_dscnt 0x400
	v_mul_f64_e32 v[142:143], v[134:135], v[10:11]
	v_mul_f64_e32 v[10:11], v[136:137], v[10:11]
	v_add_f64_e32 v[132:133], v[150:151], v[146:147]
	v_add_f64_e32 v[138:139], v[138:139], v[154:155]
	v_lshl_add_u64 v[154:155], v[34:35], 4, s[4:5]
	v_lshl_add_u64 v[34:35], v[96:97], 4, s[4:5]
	v_fmac_f64_e32 v[148:149], v[6:7], v[174:175]
	v_fma_f64 v[144:145], v[4:5], v[174:175], -v[152:153]
	v_fmac_f64_e32 v[142:143], v[136:137], v[8:9]
	v_fma_f64 v[8:9], v[134:135], v[8:9], -v[10:11]
	v_lshl_add_u64 v[152:153], v[36:37], 4, s[4:5]
	v_lshl_add_u64 v[36:37], v[94:95], 4, s[4:5]
	v_add_f64_e32 v[146:147], v[132:133], v[130:131]
	v_add_f64_e32 v[138:139], v[138:139], v[140:141]
	ds_load_b128 v[4:7], v2 offset:1696
	ds_load_b128 v[130:133], v2 offset:1712
	s_wait_loadcnt_dscnt 0x301
	v_mul_f64_e32 v[140:141], v[4:5], v[164:165]
	v_mul_f64_e32 v[150:151], v[6:7], v[164:165]
	s_wait_loadcnt_dscnt 0x200
	v_mul_f64_e32 v[136:137], v[130:131], v[128:129]
	v_mul_f64_e32 v[128:129], v[132:133], v[128:129]
	v_lshl_add_u64 v[164:165], v[24:25], 4, s[4:5]
	v_lshl_add_u64 v[24:25], v[106:107], 4, s[4:5]
	v_add_f64_e32 v[10:11], v[146:147], v[144:145]
	v_add_f64_e32 v[134:135], v[138:139], v[148:149]
	v_lshl_add_u64 v[148:149], v[40:41], 4, s[4:5]
	v_lshl_add_u64 v[146:147], v[42:43], 4, s[4:5]
	;; [unrolled: 1-line block ×4, first 2 shown]
	v_fmac_f64_e32 v[140:141], v[6:7], v[162:163]
	v_fma_f64 v[138:139], v[4:5], v[162:163], -v[150:151]
	v_fmac_f64_e32 v[136:137], v[132:133], v[126:127]
	v_fma_f64 v[126:127], v[130:131], v[126:127], -v[128:129]
	v_lshl_add_u64 v[162:163], v[26:27], 4, s[4:5]
	v_lshl_add_u64 v[150:151], v[38:39], 4, s[4:5]
	;; [unrolled: 1-line block ×4, first 2 shown]
	v_add_f64_e32 v[144:145], v[10:11], v[8:9]
	v_add_f64_e32 v[134:135], v[134:135], v[142:143]
	ds_load_b128 v[4:7], v2 offset:1728
	ds_load_b128 v[8:11], v2 offset:1744
	s_wait_loadcnt_dscnt 0x101
	v_mul_f64_e32 v[2:3], v[4:5], v[168:169]
	v_mul_f64_e32 v[142:143], v[6:7], v[168:169]
	s_wait_loadcnt_dscnt 0x0
	v_mul_f64_e32 v[132:133], v[8:9], v[14:15]
	v_mul_f64_e32 v[14:15], v[10:11], v[14:15]
	v_lshl_add_u64 v[168:169], v[20:21], 4, s[4:5]
	v_lshl_add_u64 v[20:21], v[110:111], 4, s[4:5]
	v_add_f64_e32 v[128:129], v[144:145], v[138:139]
	v_add_f64_e32 v[130:131], v[134:135], v[140:141]
	v_lshl_add_u64 v[144:145], v[44:45], 4, s[4:5]
	v_lshl_add_u64 v[140:141], v[48:49], 4, s[4:5]
	;; [unrolled: 1-line block ×8, first 2 shown]
	v_fmac_f64_e32 v[2:3], v[6:7], v[166:167]
	v_fma_f64 v[4:5], v[4:5], v[166:167], -v[142:143]
	v_fmac_f64_e32 v[132:133], v[10:11], v[12:13]
	v_fma_f64 v[8:9], v[8:9], v[12:13], -v[14:15]
	v_lshl_add_u64 v[166:167], v[22:23], 4, s[4:5]
	v_lshl_add_u64 v[142:143], v[46:47], 4, s[4:5]
	v_lshl_add_u64 v[46:47], v[84:85], 4, s[4:5]
	v_lshl_add_u64 v[22:23], v[108:109], 4, s[4:5]
	v_lshl_add_u64 v[14:15], v[112:113], 4, s[4:5]
	v_lshl_add_u64 v[12:13], v[114:115], 4, s[4:5]
	v_lshl_add_u64 v[10:11], v[116:117], 4, s[4:5]
	v_add_f64_e32 v[6:7], v[128:129], v[126:127]
	v_add_f64_e32 v[126:127], v[130:131], v[136:137]
	v_lshl_add_u64 v[136:137], v[52:53], 4, s[4:5]
	v_lshl_add_u64 v[130:131], v[56:57], 4, s[4:5]
	;; [unrolled: 1-line block ×7, first 2 shown]
	v_add_f64_e32 v[4:5], v[6:7], v[4:5]
	v_add_f64_e32 v[2:3], v[126:127], v[2:3]
	v_lshl_add_u64 v[126:127], v[60:61], 4, s[4:5]
	v_lshl_add_u64 v[60:61], v[74:75], 4, s[4:5]
	;; [unrolled: 1-line block ×3, first 2 shown]
	v_add_f64_e32 v[4:5], v[4:5], v[8:9]
	v_add_f64_e32 v[2:3], v[2:3], v[132:133]
	v_lshl_add_u64 v[132:133], v[54:55], 4, s[4:5]
	v_lshl_add_u64 v[54:55], v[66:67], 4, s[4:5]
	;; [unrolled: 1-line block ×4, first 2 shown]
	v_add_f64_e64 v[170:171], v[170:171], -v[4:5]
	v_add_f64_e64 v[172:173], v[172:173], -v[2:3]
	v_lshl_add_u64 v[4:5], v[122:123], 4, s[4:5]
	v_lshl_add_u64 v[2:3], v[124:125], 4, s[4:5]
	scratch_store_b128 off, v[170:173], off
	s_cbranch_vccz .LBB118_452
; %bb.344:
	v_mov_b32_e32 v68, 0
	s_load_b64 s[2:3], s[0:1], 0x4
	v_bfe_u32 v70, v0, 10, 10
	v_bfe_u32 v0, v0, 20, 10
	global_load_b32 v69, v68, s[8:9] offset:212
	s_wait_kmcnt 0x0
	s_lshr_b32 s0, s2, 16
	v_mul_u32_u24_e32 v70, s3, v70
	s_mul_i32 s0, s0, s3
	s_delay_alu instid0(SALU_CYCLE_1) | instskip(NEXT) | instid1(VALU_DEP_1)
	v_mul_u32_u24_e32 v1, s0, v1
	v_add3_u32 v0, v1, v70, v0
	s_delay_alu instid0(VALU_DEP_1)
	v_lshl_add_u32 v0, v0, 4, 0x6e8
	s_wait_loadcnt 0x0
	v_cmp_ne_u32_e32 vcc_lo, 54, v69
	s_cbranch_vccz .LBB118_346
; %bb.345:
	v_lshlrev_b32_e32 v1, 4, v69
	s_clause 0x1
	scratch_load_b128 v[70:73], off, s15
	scratch_load_b128 v[74:77], v1, off offset:-16
	s_wait_loadcnt 0x1
	ds_store_2addr_b64 v0, v[70:71], v[72:73] offset1:1
	s_wait_loadcnt 0x0
	s_clause 0x1
	scratch_store_b128 off, v[74:77], s15
	scratch_store_b128 v1, v[70:73], off offset:-16
.LBB118_346:
	global_load_b32 v1, v68, s[8:9] offset:208
	s_wait_loadcnt 0x0
	v_cmp_eq_u32_e32 vcc_lo, 53, v1
	s_cbranch_vccnz .LBB118_348
; %bb.347:
	v_lshlrev_b32_e32 v1, 4, v1
	s_clause 0x1
	scratch_load_b128 v[68:71], off, s17
	scratch_load_b128 v[72:75], v1, off offset:-16
	s_wait_loadcnt 0x1
	ds_store_2addr_b64 v0, v[68:69], v[70:71] offset1:1
	s_wait_loadcnt 0x0
	s_clause 0x1
	scratch_store_b128 off, v[72:75], s17
	scratch_store_b128 v1, v[68:71], off offset:-16
.LBB118_348:
	s_wait_xcnt 0x0
	v_mov_b32_e32 v1, 0
	global_load_b32 v68, v1, s[8:9] offset:204
	s_wait_loadcnt 0x0
	v_cmp_eq_u32_e32 vcc_lo, 52, v68
	s_cbranch_vccnz .LBB118_350
; %bb.349:
	v_lshlrev_b32_e32 v68, 4, v68
	s_delay_alu instid0(VALU_DEP_1)
	v_mov_b32_e32 v76, v68
	s_clause 0x1
	scratch_load_b128 v[68:71], off, s19
	scratch_load_b128 v[72:75], v76, off offset:-16
	s_wait_loadcnt 0x1
	ds_store_2addr_b64 v0, v[68:69], v[70:71] offset1:1
	s_wait_loadcnt 0x0
	s_clause 0x1
	scratch_store_b128 off, v[72:75], s19
	scratch_store_b128 v76, v[68:71], off offset:-16
.LBB118_350:
	global_load_b32 v1, v1, s[8:9] offset:200
	s_wait_loadcnt 0x0
	v_cmp_eq_u32_e32 vcc_lo, 51, v1
	s_cbranch_vccnz .LBB118_352
; %bb.351:
	s_wait_xcnt 0x0
	v_lshlrev_b32_e32 v1, 4, v1
	s_clause 0x1
	scratch_load_b128 v[68:71], off, s20
	scratch_load_b128 v[72:75], v1, off offset:-16
	s_wait_loadcnt 0x1
	ds_store_2addr_b64 v0, v[68:69], v[70:71] offset1:1
	s_wait_loadcnt 0x0
	s_clause 0x1
	scratch_store_b128 off, v[72:75], s20
	scratch_store_b128 v1, v[68:71], off offset:-16
.LBB118_352:
	s_wait_xcnt 0x0
	v_mov_b32_e32 v1, 0
	global_load_b32 v68, v1, s[8:9] offset:196
	s_wait_loadcnt 0x0
	v_cmp_eq_u32_e32 vcc_lo, 50, v68
	s_cbranch_vccnz .LBB118_354
; %bb.353:
	v_lshlrev_b32_e32 v68, 4, v68
	s_delay_alu instid0(VALU_DEP_1)
	v_mov_b32_e32 v76, v68
	s_clause 0x1
	scratch_load_b128 v[68:71], off, s21
	scratch_load_b128 v[72:75], v76, off offset:-16
	s_wait_loadcnt 0x1
	ds_store_2addr_b64 v0, v[68:69], v[70:71] offset1:1
	s_wait_loadcnt 0x0
	s_clause 0x1
	scratch_store_b128 off, v[72:75], s21
	scratch_store_b128 v76, v[68:71], off offset:-16
.LBB118_354:
	global_load_b32 v1, v1, s[8:9] offset:192
	s_wait_loadcnt 0x0
	v_cmp_eq_u32_e32 vcc_lo, 49, v1
	s_cbranch_vccnz .LBB118_356
; %bb.355:
	s_wait_xcnt 0x0
	v_lshlrev_b32_e32 v1, 4, v1
	s_clause 0x1
	scratch_load_b128 v[68:71], off, s22
	scratch_load_b128 v[72:75], v1, off offset:-16
	s_wait_loadcnt 0x1
	ds_store_2addr_b64 v0, v[68:69], v[70:71] offset1:1
	s_wait_loadcnt 0x0
	s_clause 0x1
	scratch_store_b128 off, v[72:75], s22
	scratch_store_b128 v1, v[68:71], off offset:-16
.LBB118_356:
	;; [unrolled: 37-line block ×25, first 2 shown]
	s_wait_xcnt 0x0
	v_mov_b32_e32 v1, 0
	global_load_b32 v68, v1, s[8:9] offset:4
	s_wait_loadcnt 0x0
	v_cmp_eq_u32_e32 vcc_lo, 2, v68
	s_cbranch_vccnz .LBB118_450
; %bb.449:
	v_lshlrev_b32_e32 v68, 4, v68
	s_delay_alu instid0(VALU_DEP_1)
	v_mov_b32_e32 v76, v68
	s_clause 0x1
	scratch_load_b128 v[68:71], off, s18
	scratch_load_b128 v[72:75], v76, off offset:-16
	s_wait_loadcnt 0x1
	ds_store_2addr_b64 v0, v[68:69], v[70:71] offset1:1
	s_wait_loadcnt 0x0
	s_clause 0x1
	scratch_store_b128 off, v[72:75], s18
	scratch_store_b128 v76, v[68:71], off offset:-16
.LBB118_450:
	global_load_b32 v1, v1, s[8:9]
	s_wait_loadcnt 0x0
	v_cmp_eq_u32_e32 vcc_lo, 1, v1
	s_cbranch_vccnz .LBB118_452
; %bb.451:
	s_wait_xcnt 0x0
	v_lshlrev_b32_e32 v1, 4, v1
	scratch_load_b128 v[68:71], off, off
	scratch_load_b128 v[72:75], v1, off offset:-16
	s_wait_loadcnt 0x1
	ds_store_2addr_b64 v0, v[68:69], v[70:71] offset1:1
	s_wait_loadcnt 0x0
	scratch_store_b128 off, v[72:75], off
	scratch_store_b128 v1, v[68:71], off offset:-16
.LBB118_452:
	scratch_load_b128 v[68:71], off, off
	s_wait_loadcnt 0x0
	flat_store_b128 v[16:17], v[68:71]
	scratch_load_b128 v[68:71], off, s18
	s_wait_loadcnt 0x0
	flat_store_b128 v[18:19], v[68:71]
	scratch_load_b128 v[16:19], off, s16
	;; [unrolled: 3-line block ×54, first 2 shown]
	s_wait_loadcnt 0x0
	flat_store_b128 v[2:3], v[4:7]
	s_sendmsg sendmsg(MSG_DEALLOC_VGPRS)
	s_endpgm
	.section	.rodata,"a",@progbits
	.p2align	6, 0x0
	.amdhsa_kernel _ZN9rocsolver6v33100L18getri_kernel_smallILi55E19rocblas_complex_numIdEPKPS3_EEvT1_iilPiilS8_bb
		.amdhsa_group_segment_fixed_size 2792
		.amdhsa_private_segment_fixed_size 896
		.amdhsa_kernarg_size 60
		.amdhsa_user_sgpr_count 4
		.amdhsa_user_sgpr_dispatch_ptr 1
		.amdhsa_user_sgpr_queue_ptr 0
		.amdhsa_user_sgpr_kernarg_segment_ptr 1
		.amdhsa_user_sgpr_dispatch_id 0
		.amdhsa_user_sgpr_kernarg_preload_length 0
		.amdhsa_user_sgpr_kernarg_preload_offset 0
		.amdhsa_user_sgpr_private_segment_size 0
		.amdhsa_wavefront_size32 1
		.amdhsa_uses_dynamic_stack 0
		.amdhsa_enable_private_segment 1
		.amdhsa_system_sgpr_workgroup_id_x 1
		.amdhsa_system_sgpr_workgroup_id_y 0
		.amdhsa_system_sgpr_workgroup_id_z 0
		.amdhsa_system_sgpr_workgroup_info 0
		.amdhsa_system_vgpr_workitem_id 2
		.amdhsa_next_free_vgpr 192
		.amdhsa_next_free_sgpr 93
		.amdhsa_named_barrier_count 0
		.amdhsa_reserve_vcc 1
		.amdhsa_float_round_mode_32 0
		.amdhsa_float_round_mode_16_64 0
		.amdhsa_float_denorm_mode_32 3
		.amdhsa_float_denorm_mode_16_64 3
		.amdhsa_fp16_overflow 0
		.amdhsa_memory_ordered 1
		.amdhsa_forward_progress 1
		.amdhsa_inst_pref_size 255
		.amdhsa_round_robin_scheduling 0
		.amdhsa_exception_fp_ieee_invalid_op 0
		.amdhsa_exception_fp_denorm_src 0
		.amdhsa_exception_fp_ieee_div_zero 0
		.amdhsa_exception_fp_ieee_overflow 0
		.amdhsa_exception_fp_ieee_underflow 0
		.amdhsa_exception_fp_ieee_inexact 0
		.amdhsa_exception_int_div_zero 0
	.end_amdhsa_kernel
	.section	.text._ZN9rocsolver6v33100L18getri_kernel_smallILi55E19rocblas_complex_numIdEPKPS3_EEvT1_iilPiilS8_bb,"axG",@progbits,_ZN9rocsolver6v33100L18getri_kernel_smallILi55E19rocblas_complex_numIdEPKPS3_EEvT1_iilPiilS8_bb,comdat
.Lfunc_end118:
	.size	_ZN9rocsolver6v33100L18getri_kernel_smallILi55E19rocblas_complex_numIdEPKPS3_EEvT1_iilPiilS8_bb, .Lfunc_end118-_ZN9rocsolver6v33100L18getri_kernel_smallILi55E19rocblas_complex_numIdEPKPS3_EEvT1_iilPiilS8_bb
                                        ; -- End function
	.set _ZN9rocsolver6v33100L18getri_kernel_smallILi55E19rocblas_complex_numIdEPKPS3_EEvT1_iilPiilS8_bb.num_vgpr, 192
	.set _ZN9rocsolver6v33100L18getri_kernel_smallILi55E19rocblas_complex_numIdEPKPS3_EEvT1_iilPiilS8_bb.num_agpr, 0
	.set _ZN9rocsolver6v33100L18getri_kernel_smallILi55E19rocblas_complex_numIdEPKPS3_EEvT1_iilPiilS8_bb.numbered_sgpr, 93
	.set _ZN9rocsolver6v33100L18getri_kernel_smallILi55E19rocblas_complex_numIdEPKPS3_EEvT1_iilPiilS8_bb.num_named_barrier, 0
	.set _ZN9rocsolver6v33100L18getri_kernel_smallILi55E19rocblas_complex_numIdEPKPS3_EEvT1_iilPiilS8_bb.private_seg_size, 896
	.set _ZN9rocsolver6v33100L18getri_kernel_smallILi55E19rocblas_complex_numIdEPKPS3_EEvT1_iilPiilS8_bb.uses_vcc, 1
	.set _ZN9rocsolver6v33100L18getri_kernel_smallILi55E19rocblas_complex_numIdEPKPS3_EEvT1_iilPiilS8_bb.uses_flat_scratch, 1
	.set _ZN9rocsolver6v33100L18getri_kernel_smallILi55E19rocblas_complex_numIdEPKPS3_EEvT1_iilPiilS8_bb.has_dyn_sized_stack, 0
	.set _ZN9rocsolver6v33100L18getri_kernel_smallILi55E19rocblas_complex_numIdEPKPS3_EEvT1_iilPiilS8_bb.has_recursion, 0
	.set _ZN9rocsolver6v33100L18getri_kernel_smallILi55E19rocblas_complex_numIdEPKPS3_EEvT1_iilPiilS8_bb.has_indirect_call, 0
	.section	.AMDGPU.csdata,"",@progbits
; Kernel info:
; codeLenInByte = 111332
; TotalNumSgprs: 95
; NumVgprs: 192
; ScratchSize: 896
; MemoryBound: 0
; FloatMode: 240
; IeeeMode: 1
; LDSByteSize: 2792 bytes/workgroup (compile time only)
; SGPRBlocks: 0
; VGPRBlocks: 11
; NumSGPRsForWavesPerEU: 95
; NumVGPRsForWavesPerEU: 192
; NamedBarCnt: 0
; Occupancy: 5
; WaveLimiterHint : 1
; COMPUTE_PGM_RSRC2:SCRATCH_EN: 1
; COMPUTE_PGM_RSRC2:USER_SGPR: 4
; COMPUTE_PGM_RSRC2:TRAP_HANDLER: 0
; COMPUTE_PGM_RSRC2:TGID_X_EN: 1
; COMPUTE_PGM_RSRC2:TGID_Y_EN: 0
; COMPUTE_PGM_RSRC2:TGID_Z_EN: 0
; COMPUTE_PGM_RSRC2:TIDIG_COMP_CNT: 2
	.section	.text._ZN9rocsolver6v33100L18getri_kernel_smallILi56E19rocblas_complex_numIdEPKPS3_EEvT1_iilPiilS8_bb,"axG",@progbits,_ZN9rocsolver6v33100L18getri_kernel_smallILi56E19rocblas_complex_numIdEPKPS3_EEvT1_iilPiilS8_bb,comdat
	.globl	_ZN9rocsolver6v33100L18getri_kernel_smallILi56E19rocblas_complex_numIdEPKPS3_EEvT1_iilPiilS8_bb ; -- Begin function _ZN9rocsolver6v33100L18getri_kernel_smallILi56E19rocblas_complex_numIdEPKPS3_EEvT1_iilPiilS8_bb
	.p2align	8
	.type	_ZN9rocsolver6v33100L18getri_kernel_smallILi56E19rocblas_complex_numIdEPKPS3_EEvT1_iilPiilS8_bb,@function
_ZN9rocsolver6v33100L18getri_kernel_smallILi56E19rocblas_complex_numIdEPKPS3_EEvT1_iilPiilS8_bb: ; @_ZN9rocsolver6v33100L18getri_kernel_smallILi56E19rocblas_complex_numIdEPKPS3_EEvT1_iilPiilS8_bb
; %bb.0:
	v_and_b32_e32 v1, 0x3ff, v0
	s_mov_b32 s4, exec_lo
	s_delay_alu instid0(VALU_DEP_1)
	v_cmpx_gt_u32_e32 56, v1
	s_cbranch_execz .LBB119_238
; %bb.1:
	s_clause 0x1
	s_load_b32 s16, s[2:3], 0x38
	s_load_b64 s[8:9], s[2:3], 0x0
	s_getreg_b32 s6, hwreg(HW_REG_IB_STS2, 6, 4)
	s_wait_kmcnt 0x0
	s_bitcmp1_b32 s16, 8
	s_cselect_b32 s68, -1, 0
	s_bfe_u32 s4, ttmp6, 0x4000c
	s_and_b32 s5, ttmp6, 15
	s_add_co_i32 s4, s4, 1
	s_delay_alu instid0(SALU_CYCLE_1) | instskip(NEXT) | instid1(SALU_CYCLE_1)
	s_mul_i32 s4, ttmp9, s4
	s_add_co_i32 s5, s5, s4
	s_cmp_eq_u32 s6, 0
	s_cselect_b32 s10, ttmp9, s5
	s_load_b128 s[4:7], s[2:3], 0x28
	s_ashr_i32 s11, s10, 31
	s_delay_alu instid0(SALU_CYCLE_1) | instskip(NEXT) | instid1(SALU_CYCLE_1)
	s_lshl_b64 s[12:13], s[10:11], 3
	s_add_nc_u64 s[8:9], s[8:9], s[12:13]
	s_load_b64 s[14:15], s[8:9], 0x0
	s_wait_xcnt 0x0
	s_bfe_u32 s8, s16, 0x10008
	s_delay_alu instid0(SALU_CYCLE_1)
	s_cmp_eq_u32 s8, 0
                                        ; implicit-def: $sgpr8_sgpr9
	s_cbranch_scc1 .LBB119_3
; %bb.2:
	s_load_b96 s[16:18], s[2:3], 0x18
	s_wait_kmcnt 0x0
	s_mul_u64 s[4:5], s[4:5], s[10:11]
	s_delay_alu instid0(SALU_CYCLE_1) | instskip(SKIP_4) | instid1(SALU_CYCLE_1)
	s_lshl_b64 s[4:5], s[4:5], 2
	s_ashr_i32 s9, s18, 31
	s_mov_b32 s8, s18
	s_add_nc_u64 s[4:5], s[16:17], s[4:5]
	s_lshl_b64 s[8:9], s[8:9], 2
	s_add_nc_u64 s[8:9], s[4:5], s[8:9]
.LBB119_3:
	s_clause 0x1
	s_load_b64 s[12:13], s[2:3], 0x8
	s_load_b32 s69, s[2:3], 0x38
	v_dual_mov_b32 v127, 0 :: v_dual_lshlrev_b32 v126, 4, v1
	s_movk_i32 s70, 0x200
	s_movk_i32 s71, 0x210
	;; [unrolled: 1-line block ×16, first 2 shown]
	s_wait_kmcnt 0x0
	s_ashr_i32 s3, s12, 31
	s_mov_b32 s2, s12
	v_add3_u32 v18, s13, s13, v1
	s_lshl_b64 s[2:3], s[2:3], 4
	s_movk_i32 s86, 0x300
	s_add_nc_u64 s[4:5], s[14:15], s[2:3]
	s_ashr_i32 s3, s13, 31
	flat_load_b128 v[2:5], v1, s[4:5] scale_offset
	v_add_nc_u64_e32 v[14:15], s[4:5], v[126:127]
	s_mov_b32 s2, s13
	v_add_nc_u32_e32 v20, s13, v18
	s_movk_i32 s87, 0x310
	s_movk_i32 s88, 0x320
	;; [unrolled: 1-line block ×4, first 2 shown]
	v_lshl_add_u64 v[16:17], s[2:3], 4, v[14:15]
	v_add_nc_u32_e32 v22, s13, v20
	s_movk_i32 s91, 0x350
	s_movk_i32 s92, 0x360
	;; [unrolled: 1-line block ×3, first 2 shown]
	s_mov_b32 s18, 16
	v_add_nc_u32_e32 v24, s13, v22
	s_mov_b32 s16, 32
	s_mov_b32 s14, 48
	;; [unrolled: 1-line block ×3, first 2 shown]
	s_movk_i32 s67, 0x50
	v_add_nc_u32_e32 v26, s13, v24
	s_movk_i32 s66, 0x60
	s_movk_i32 s65, 0x70
	s_movk_i32 s64, 0x80
	s_movk_i32 s63, 0x90
	v_add_nc_u32_e32 v28, s13, v26
	s_movk_i32 s62, 0xa0
	s_movk_i32 s61, 0xb0
	s_movk_i32 s60, 0xc0
	;; [unrolled: 5-line block ×6, first 2 shown]
	s_movk_i32 s43, 0x1d0
	v_add_nc_u32_e32 v38, s13, v36
	s_movk_i32 s42, 0x1e0
	s_movk_i32 s41, 0x1f0
	s_mov_b32 s40, s70
	s_mov_b32 s39, s71
	v_add_nc_u32_e32 v40, s13, v38
	s_mov_b32 s38, s72
	s_mov_b32 s37, s73
	s_mov_b32 s36, s74
	s_mov_b32 s35, s75
	v_add_nc_u32_e32 v42, s13, v40
	s_mov_b32 s34, s76
	s_mov_b32 s33, s77
	;; [unrolled: 5-line block ×5, first 2 shown]
	s_mov_b32 s19, s90
	s_mov_b32 s17, s91
	v_add_nc_u32_e32 v50, s13, v48
	s_mov_b32 s15, s92
	s_bitcmp0_b32 s69, 0
	s_mov_b32 s3, -1
	s_delay_alu instid0(VALU_DEP_1) | instskip(NEXT) | instid1(VALU_DEP_1)
	v_add_nc_u32_e32 v52, s13, v50
	v_add_nc_u32_e32 v54, s13, v52
	s_delay_alu instid0(VALU_DEP_1) | instskip(NEXT) | instid1(VALU_DEP_1)
	v_add_nc_u32_e32 v56, s13, v54
	v_add_nc_u32_e32 v58, s13, v56
	;; [unrolled: 3-line block ×18, first 2 shown]
	s_delay_alu instid0(VALU_DEP_1)
	v_add_nc_u32_e32 v124, s13, v122
	s_mov_b32 s13, s93
	s_wait_loadcnt_dscnt 0x0
	scratch_store_b128 off, v[2:5], off
	flat_load_b128 v[2:5], v[16:17]
	s_wait_loadcnt_dscnt 0x0
	scratch_store_b128 off, v[2:5], off offset:16
	flat_load_b128 v[2:5], v18, s[4:5] scale_offset
	s_wait_loadcnt_dscnt 0x0
	scratch_store_b128 off, v[2:5], off offset:32
	flat_load_b128 v[2:5], v20, s[4:5] scale_offset
	;; [unrolled: 3-line block ×54, first 2 shown]
	s_wait_loadcnt_dscnt 0x0
	scratch_store_b128 off, v[2:5], off offset:880
	s_cbranch_scc1 .LBB119_236
; %bb.4:
	v_cmp_eq_u32_e64 s2, 0, v1
	s_wait_xcnt 0x0
	s_and_saveexec_b32 s3, s2
; %bb.5:
	v_mov_b32_e32 v2, 0
	ds_store_b32 v2, v2 offset:1792
; %bb.6:
	s_or_b32 exec_lo, exec_lo, s3
	s_wait_storecnt_dscnt 0x0
	s_barrier_signal -1
	s_barrier_wait -1
	scratch_load_b128 v[2:5], v1, off scale_offset
	s_wait_loadcnt 0x0
	v_cmp_eq_f64_e32 vcc_lo, 0, v[2:3]
	v_cmp_eq_f64_e64 s3, 0, v[4:5]
	s_and_b32 s3, vcc_lo, s3
	s_delay_alu instid0(SALU_CYCLE_1)
	s_and_saveexec_b32 s69, s3
	s_cbranch_execz .LBB119_10
; %bb.7:
	v_mov_b32_e32 v2, 0
	s_mov_b32 s70, 0
	ds_load_b32 v3, v2 offset:1792
	s_wait_dscnt 0x0
	v_readfirstlane_b32 s3, v3
	v_add_nc_u32_e32 v3, 1, v1
	s_cmp_eq_u32 s3, 0
	s_delay_alu instid0(VALU_DEP_1) | instskip(SKIP_1) | instid1(SALU_CYCLE_1)
	v_cmp_gt_i32_e32 vcc_lo, s3, v3
	s_cselect_b32 s71, -1, 0
	s_or_b32 s71, s71, vcc_lo
	s_delay_alu instid0(SALU_CYCLE_1)
	s_and_b32 exec_lo, exec_lo, s71
	s_cbranch_execz .LBB119_10
; %bb.8:
	v_mov_b32_e32 v4, s3
.LBB119_9:                              ; =>This Inner Loop Header: Depth=1
	ds_cmpstore_rtn_b32 v4, v2, v3, v4 offset:1792
	s_wait_dscnt 0x0
	v_cmp_ne_u32_e32 vcc_lo, 0, v4
	v_cmp_le_i32_e64 s3, v4, v3
	s_and_b32 s3, vcc_lo, s3
	s_delay_alu instid0(SALU_CYCLE_1) | instskip(NEXT) | instid1(SALU_CYCLE_1)
	s_and_b32 s3, exec_lo, s3
	s_or_b32 s70, s3, s70
	s_delay_alu instid0(SALU_CYCLE_1)
	s_and_not1_b32 exec_lo, exec_lo, s70
	s_cbranch_execnz .LBB119_9
.LBB119_10:
	s_or_b32 exec_lo, exec_lo, s69
	v_mov_b32_e32 v2, 0
	s_barrier_signal -1
	s_barrier_wait -1
	ds_load_b32 v3, v2 offset:1792
	s_and_saveexec_b32 s3, s2
	s_cbranch_execz .LBB119_12
; %bb.11:
	s_lshl_b64 s[70:71], s[10:11], 2
	s_delay_alu instid0(SALU_CYCLE_1)
	s_add_nc_u64 s[70:71], s[6:7], s[70:71]
	s_wait_dscnt 0x0
	global_store_b32 v2, v3, s[70:71]
.LBB119_12:
	s_wait_xcnt 0x0
	s_or_b32 exec_lo, exec_lo, s3
	s_wait_dscnt 0x0
	v_cmp_ne_u32_e32 vcc_lo, 0, v3
	s_mov_b32 s3, 0
	s_cbranch_vccnz .LBB119_236
; %bb.13:
	v_lshl_add_u32 v19, v1, 4, 0
                                        ; implicit-def: $vgpr6_vgpr7
                                        ; implicit-def: $vgpr10_vgpr11
	scratch_load_b128 v[2:5], v19, off
	s_wait_loadcnt 0x0
	v_cmp_ngt_f64_e64 s3, |v[2:3]|, |v[4:5]|
	s_wait_xcnt 0x0
	s_and_saveexec_b32 s69, s3
	s_delay_alu instid0(SALU_CYCLE_1)
	s_xor_b32 s3, exec_lo, s69
	s_cbranch_execz .LBB119_15
; %bb.14:
	v_div_scale_f64 v[6:7], null, v[4:5], v[4:5], v[2:3]
	v_div_scale_f64 v[12:13], vcc_lo, v[2:3], v[4:5], v[2:3]
	s_delay_alu instid0(VALU_DEP_2) | instskip(SKIP_1) | instid1(TRANS32_DEP_1)
	v_rcp_f64_e32 v[8:9], v[6:7]
	v_nop
	v_fma_f64 v[10:11], -v[6:7], v[8:9], 1.0
	s_delay_alu instid0(VALU_DEP_1) | instskip(NEXT) | instid1(VALU_DEP_1)
	v_fmac_f64_e32 v[8:9], v[8:9], v[10:11]
	v_fma_f64 v[10:11], -v[6:7], v[8:9], 1.0
	s_delay_alu instid0(VALU_DEP_1) | instskip(NEXT) | instid1(VALU_DEP_1)
	v_fmac_f64_e32 v[8:9], v[8:9], v[10:11]
	v_mul_f64_e32 v[10:11], v[12:13], v[8:9]
	s_delay_alu instid0(VALU_DEP_1) | instskip(NEXT) | instid1(VALU_DEP_1)
	v_fma_f64 v[6:7], -v[6:7], v[10:11], v[12:13]
	v_div_fmas_f64 v[6:7], v[6:7], v[8:9], v[10:11]
	s_delay_alu instid0(VALU_DEP_1) | instskip(NEXT) | instid1(VALU_DEP_1)
	v_div_fixup_f64 v[6:7], v[6:7], v[4:5], v[2:3]
	v_fmac_f64_e32 v[4:5], v[2:3], v[6:7]
	s_delay_alu instid0(VALU_DEP_1) | instskip(SKIP_1) | instid1(VALU_DEP_2)
	v_div_scale_f64 v[2:3], null, v[4:5], v[4:5], 1.0
	v_div_scale_f64 v[12:13], vcc_lo, 1.0, v[4:5], 1.0
	v_rcp_f64_e32 v[8:9], v[2:3]
	v_nop
	s_delay_alu instid0(TRANS32_DEP_1) | instskip(NEXT) | instid1(VALU_DEP_1)
	v_fma_f64 v[10:11], -v[2:3], v[8:9], 1.0
	v_fmac_f64_e32 v[8:9], v[8:9], v[10:11]
	s_delay_alu instid0(VALU_DEP_1) | instskip(NEXT) | instid1(VALU_DEP_1)
	v_fma_f64 v[10:11], -v[2:3], v[8:9], 1.0
	v_fmac_f64_e32 v[8:9], v[8:9], v[10:11]
	s_delay_alu instid0(VALU_DEP_1) | instskip(NEXT) | instid1(VALU_DEP_1)
	v_mul_f64_e32 v[10:11], v[12:13], v[8:9]
	v_fma_f64 v[2:3], -v[2:3], v[10:11], v[12:13]
	s_delay_alu instid0(VALU_DEP_1) | instskip(NEXT) | instid1(VALU_DEP_1)
	v_div_fmas_f64 v[2:3], v[2:3], v[8:9], v[10:11]
	v_div_fixup_f64 v[8:9], v[2:3], v[4:5], 1.0
                                        ; implicit-def: $vgpr2_vgpr3
	s_delay_alu instid0(VALU_DEP_1) | instskip(SKIP_1) | instid1(VALU_DEP_2)
	v_mul_f64_e32 v[6:7], v[6:7], v[8:9]
	v_xor_b32_e32 v9, 0x80000000, v9
	v_xor_b32_e32 v11, 0x80000000, v7
	s_delay_alu instid0(VALU_DEP_3)
	v_mov_b32_e32 v10, v6
.LBB119_15:
	s_and_not1_saveexec_b32 s3, s3
	s_cbranch_execz .LBB119_17
; %bb.16:
	v_div_scale_f64 v[6:7], null, v[2:3], v[2:3], v[4:5]
	v_div_scale_f64 v[12:13], vcc_lo, v[4:5], v[2:3], v[4:5]
	s_delay_alu instid0(VALU_DEP_2) | instskip(SKIP_1) | instid1(TRANS32_DEP_1)
	v_rcp_f64_e32 v[8:9], v[6:7]
	v_nop
	v_fma_f64 v[10:11], -v[6:7], v[8:9], 1.0
	s_delay_alu instid0(VALU_DEP_1) | instskip(NEXT) | instid1(VALU_DEP_1)
	v_fmac_f64_e32 v[8:9], v[8:9], v[10:11]
	v_fma_f64 v[10:11], -v[6:7], v[8:9], 1.0
	s_delay_alu instid0(VALU_DEP_1) | instskip(NEXT) | instid1(VALU_DEP_1)
	v_fmac_f64_e32 v[8:9], v[8:9], v[10:11]
	v_mul_f64_e32 v[10:11], v[12:13], v[8:9]
	s_delay_alu instid0(VALU_DEP_1) | instskip(NEXT) | instid1(VALU_DEP_1)
	v_fma_f64 v[6:7], -v[6:7], v[10:11], v[12:13]
	v_div_fmas_f64 v[6:7], v[6:7], v[8:9], v[10:11]
	s_delay_alu instid0(VALU_DEP_1) | instskip(NEXT) | instid1(VALU_DEP_1)
	v_div_fixup_f64 v[8:9], v[6:7], v[2:3], v[4:5]
	v_fmac_f64_e32 v[2:3], v[4:5], v[8:9]
	s_delay_alu instid0(VALU_DEP_1) | instskip(NEXT) | instid1(VALU_DEP_1)
	v_div_scale_f64 v[4:5], null, v[2:3], v[2:3], 1.0
	v_rcp_f64_e32 v[6:7], v[4:5]
	v_nop
	s_delay_alu instid0(TRANS32_DEP_1) | instskip(NEXT) | instid1(VALU_DEP_1)
	v_fma_f64 v[10:11], -v[4:5], v[6:7], 1.0
	v_fmac_f64_e32 v[6:7], v[6:7], v[10:11]
	s_delay_alu instid0(VALU_DEP_1) | instskip(NEXT) | instid1(VALU_DEP_1)
	v_fma_f64 v[10:11], -v[4:5], v[6:7], 1.0
	v_fmac_f64_e32 v[6:7], v[6:7], v[10:11]
	v_div_scale_f64 v[10:11], vcc_lo, 1.0, v[2:3], 1.0
	s_delay_alu instid0(VALU_DEP_1) | instskip(NEXT) | instid1(VALU_DEP_1)
	v_mul_f64_e32 v[12:13], v[10:11], v[6:7]
	v_fma_f64 v[4:5], -v[4:5], v[12:13], v[10:11]
	s_delay_alu instid0(VALU_DEP_1) | instskip(NEXT) | instid1(VALU_DEP_1)
	v_div_fmas_f64 v[4:5], v[4:5], v[6:7], v[12:13]
	v_div_fixup_f64 v[6:7], v[4:5], v[2:3], 1.0
	s_delay_alu instid0(VALU_DEP_1)
	v_mul_f64_e64 v[8:9], v[8:9], -v[6:7]
	v_xor_b32_e32 v11, 0x80000000, v7
	v_mov_b32_e32 v10, v6
.LBB119_17:
	s_or_b32 exec_lo, exec_lo, s3
	s_clause 0x1
	scratch_store_b128 v19, v[6:9], off
	scratch_load_b128 v[2:5], off, s18
	v_xor_b32_e32 v13, 0x80000000, v9
	v_mov_b32_e32 v12, v8
	s_wait_xcnt 0x1
	v_add_nc_u32_e32 v6, 0x380, v126
	ds_store_b128 v126, v[10:13]
	s_wait_loadcnt 0x0
	ds_store_b128 v126, v[2:5] offset:896
	s_wait_storecnt_dscnt 0x0
	s_barrier_signal -1
	s_barrier_wait -1
	s_wait_xcnt 0x0
	s_and_saveexec_b32 s3, s2
	s_cbranch_execz .LBB119_19
; %bb.18:
	scratch_load_b128 v[2:5], v19, off
	ds_load_b128 v[8:11], v6
	v_mov_b32_e32 v7, 0
	ds_load_b128 v[128:131], v7 offset:16
	s_wait_loadcnt_dscnt 0x1
	v_mul_f64_e32 v[12:13], v[8:9], v[4:5]
	v_mul_f64_e32 v[4:5], v[10:11], v[4:5]
	s_delay_alu instid0(VALU_DEP_2) | instskip(NEXT) | instid1(VALU_DEP_2)
	v_fmac_f64_e32 v[12:13], v[10:11], v[2:3]
	v_fma_f64 v[2:3], v[8:9], v[2:3], -v[4:5]
	s_delay_alu instid0(VALU_DEP_2) | instskip(NEXT) | instid1(VALU_DEP_2)
	v_add_f64_e32 v[8:9], 0, v[12:13]
	v_add_f64_e32 v[2:3], 0, v[2:3]
	s_wait_dscnt 0x0
	s_delay_alu instid0(VALU_DEP_2) | instskip(NEXT) | instid1(VALU_DEP_2)
	v_mul_f64_e32 v[10:11], v[8:9], v[130:131]
	v_mul_f64_e32 v[4:5], v[2:3], v[130:131]
	s_delay_alu instid0(VALU_DEP_2) | instskip(NEXT) | instid1(VALU_DEP_2)
	v_fma_f64 v[2:3], v[2:3], v[128:129], -v[10:11]
	v_fmac_f64_e32 v[4:5], v[8:9], v[128:129]
	scratch_store_b128 off, v[2:5], off offset:16
.LBB119_19:
	s_wait_xcnt 0x0
	s_or_b32 exec_lo, exec_lo, s3
	s_wait_storecnt 0x0
	s_barrier_signal -1
	s_barrier_wait -1
	scratch_load_b128 v[2:5], off, s16
	s_mov_b32 s3, exec_lo
	s_wait_loadcnt 0x0
	ds_store_b128 v6, v[2:5]
	s_wait_dscnt 0x0
	s_barrier_signal -1
	s_barrier_wait -1
	v_cmpx_gt_u32_e32 2, v1
	s_cbranch_execz .LBB119_23
; %bb.20:
	scratch_load_b128 v[2:5], v19, off
	ds_load_b128 v[8:11], v6
	s_wait_loadcnt_dscnt 0x0
	v_mul_f64_e32 v[12:13], v[10:11], v[4:5]
	v_mul_f64_e32 v[128:129], v[8:9], v[4:5]
	s_delay_alu instid0(VALU_DEP_2) | instskip(NEXT) | instid1(VALU_DEP_2)
	v_fma_f64 v[4:5], v[8:9], v[2:3], -v[12:13]
	v_fmac_f64_e32 v[128:129], v[10:11], v[2:3]
	s_delay_alu instid0(VALU_DEP_2) | instskip(NEXT) | instid1(VALU_DEP_2)
	v_add_f64_e32 v[4:5], 0, v[4:5]
	v_add_f64_e32 v[2:3], 0, v[128:129]
	s_and_saveexec_b32 s69, s2
	s_cbranch_execz .LBB119_22
; %bb.21:
	scratch_load_b128 v[8:11], off, off offset:16
	v_mov_b32_e32 v7, 0
	ds_load_b128 v[128:131], v7 offset:912
	s_wait_loadcnt_dscnt 0x0
	v_mul_f64_e32 v[12:13], v[128:129], v[10:11]
	v_mul_f64_e32 v[10:11], v[130:131], v[10:11]
	s_delay_alu instid0(VALU_DEP_2) | instskip(NEXT) | instid1(VALU_DEP_2)
	v_fmac_f64_e32 v[12:13], v[130:131], v[8:9]
	v_fma_f64 v[8:9], v[128:129], v[8:9], -v[10:11]
	s_delay_alu instid0(VALU_DEP_2) | instskip(NEXT) | instid1(VALU_DEP_2)
	v_add_f64_e32 v[2:3], v[2:3], v[12:13]
	v_add_f64_e32 v[4:5], v[4:5], v[8:9]
.LBB119_22:
	s_or_b32 exec_lo, exec_lo, s69
	v_mov_b32_e32 v7, 0
	ds_load_b128 v[8:11], v7 offset:32
	s_wait_dscnt 0x0
	v_mul_f64_e32 v[128:129], v[2:3], v[10:11]
	v_mul_f64_e32 v[12:13], v[4:5], v[10:11]
	s_delay_alu instid0(VALU_DEP_2) | instskip(NEXT) | instid1(VALU_DEP_2)
	v_fma_f64 v[10:11], v[4:5], v[8:9], -v[128:129]
	v_fmac_f64_e32 v[12:13], v[2:3], v[8:9]
	scratch_store_b128 off, v[10:13], off offset:32
.LBB119_23:
	s_wait_xcnt 0x0
	s_or_b32 exec_lo, exec_lo, s3
	s_wait_storecnt 0x0
	s_barrier_signal -1
	s_barrier_wait -1
	scratch_load_b128 v[2:5], off, s14
	v_add_nc_u32_e32 v7, -1, v1
	s_mov_b32 s2, exec_lo
	s_wait_loadcnt 0x0
	ds_store_b128 v6, v[2:5]
	s_wait_dscnt 0x0
	s_barrier_signal -1
	s_barrier_wait -1
	v_cmpx_gt_u32_e32 3, v1
	s_cbranch_execz .LBB119_27
; %bb.24:
	v_dual_mov_b32 v10, v126 :: v_dual_add_nc_u32 v8, -1, v1
	v_mov_b64_e32 v[2:3], 0
	v_mov_b64_e32 v[4:5], 0
	v_add_nc_u32_e32 v9, 0x380, v126
	s_delay_alu instid0(VALU_DEP_4)
	v_or_b32_e32 v10, 8, v10
	s_mov_b32 s3, 0
.LBB119_25:                             ; =>This Inner Loop Header: Depth=1
	scratch_load_b128 v[128:131], v10, off offset:-8
	ds_load_b128 v[132:135], v9
	v_dual_add_nc_u32 v8, 1, v8 :: v_dual_add_nc_u32 v9, 16, v9
	s_wait_xcnt 0x0
	v_add_nc_u32_e32 v10, 16, v10
	s_delay_alu instid0(VALU_DEP_2) | instskip(SKIP_4) | instid1(VALU_DEP_2)
	v_cmp_lt_u32_e32 vcc_lo, 1, v8
	s_or_b32 s3, vcc_lo, s3
	s_wait_loadcnt_dscnt 0x0
	v_mul_f64_e32 v[12:13], v[134:135], v[130:131]
	v_mul_f64_e32 v[130:131], v[132:133], v[130:131]
	v_fma_f64 v[12:13], v[132:133], v[128:129], -v[12:13]
	s_delay_alu instid0(VALU_DEP_2) | instskip(NEXT) | instid1(VALU_DEP_2)
	v_fmac_f64_e32 v[130:131], v[134:135], v[128:129]
	v_add_f64_e32 v[4:5], v[4:5], v[12:13]
	s_delay_alu instid0(VALU_DEP_2)
	v_add_f64_e32 v[2:3], v[2:3], v[130:131]
	s_and_not1_b32 exec_lo, exec_lo, s3
	s_cbranch_execnz .LBB119_25
; %bb.26:
	s_or_b32 exec_lo, exec_lo, s3
	v_mov_b32_e32 v8, 0
	ds_load_b128 v[8:11], v8 offset:48
	s_wait_dscnt 0x0
	v_mul_f64_e32 v[128:129], v[2:3], v[10:11]
	v_mul_f64_e32 v[12:13], v[4:5], v[10:11]
	s_delay_alu instid0(VALU_DEP_2) | instskip(NEXT) | instid1(VALU_DEP_2)
	v_fma_f64 v[10:11], v[4:5], v[8:9], -v[128:129]
	v_fmac_f64_e32 v[12:13], v[2:3], v[8:9]
	scratch_store_b128 off, v[10:13], off offset:48
.LBB119_27:
	s_wait_xcnt 0x0
	s_or_b32 exec_lo, exec_lo, s2
	s_wait_storecnt 0x0
	s_barrier_signal -1
	s_barrier_wait -1
	scratch_load_b128 v[2:5], off, s12
	s_mov_b32 s2, exec_lo
	s_wait_loadcnt 0x0
	ds_store_b128 v6, v[2:5]
	s_wait_dscnt 0x0
	s_barrier_signal -1
	s_barrier_wait -1
	v_cmpx_gt_u32_e32 4, v1
	s_cbranch_execz .LBB119_31
; %bb.28:
	v_dual_mov_b32 v10, v126 :: v_dual_add_nc_u32 v8, -1, v1
	v_mov_b64_e32 v[2:3], 0
	v_mov_b64_e32 v[4:5], 0
	v_add_nc_u32_e32 v9, 0x380, v126
	s_delay_alu instid0(VALU_DEP_4)
	v_or_b32_e32 v10, 8, v10
	s_mov_b32 s3, 0
.LBB119_29:                             ; =>This Inner Loop Header: Depth=1
	scratch_load_b128 v[128:131], v10, off offset:-8
	ds_load_b128 v[132:135], v9
	v_dual_add_nc_u32 v8, 1, v8 :: v_dual_add_nc_u32 v9, 16, v9
	s_wait_xcnt 0x0
	v_add_nc_u32_e32 v10, 16, v10
	s_delay_alu instid0(VALU_DEP_2) | instskip(SKIP_4) | instid1(VALU_DEP_2)
	v_cmp_lt_u32_e32 vcc_lo, 2, v8
	s_or_b32 s3, vcc_lo, s3
	s_wait_loadcnt_dscnt 0x0
	v_mul_f64_e32 v[12:13], v[134:135], v[130:131]
	v_mul_f64_e32 v[130:131], v[132:133], v[130:131]
	v_fma_f64 v[12:13], v[132:133], v[128:129], -v[12:13]
	s_delay_alu instid0(VALU_DEP_2) | instskip(NEXT) | instid1(VALU_DEP_2)
	v_fmac_f64_e32 v[130:131], v[134:135], v[128:129]
	v_add_f64_e32 v[4:5], v[4:5], v[12:13]
	s_delay_alu instid0(VALU_DEP_2)
	v_add_f64_e32 v[2:3], v[2:3], v[130:131]
	s_and_not1_b32 exec_lo, exec_lo, s3
	s_cbranch_execnz .LBB119_29
; %bb.30:
	s_or_b32 exec_lo, exec_lo, s3
	v_mov_b32_e32 v8, 0
	ds_load_b128 v[8:11], v8 offset:64
	s_wait_dscnt 0x0
	v_mul_f64_e32 v[128:129], v[2:3], v[10:11]
	v_mul_f64_e32 v[12:13], v[4:5], v[10:11]
	s_delay_alu instid0(VALU_DEP_2) | instskip(NEXT) | instid1(VALU_DEP_2)
	v_fma_f64 v[10:11], v[4:5], v[8:9], -v[128:129]
	v_fmac_f64_e32 v[12:13], v[2:3], v[8:9]
	scratch_store_b128 off, v[10:13], off offset:64
.LBB119_31:
	s_wait_xcnt 0x0
	s_or_b32 exec_lo, exec_lo, s2
	s_wait_storecnt 0x0
	s_barrier_signal -1
	s_barrier_wait -1
	scratch_load_b128 v[2:5], off, s67
	;; [unrolled: 54-line block ×19, first 2 shown]
	s_mov_b32 s2, exec_lo
	s_wait_loadcnt 0x0
	ds_store_b128 v6, v[2:5]
	s_wait_dscnt 0x0
	s_barrier_signal -1
	s_barrier_wait -1
	v_cmpx_gt_u32_e32 22, v1
	s_cbranch_execz .LBB119_103
; %bb.100:
	v_dual_mov_b32 v10, v126 :: v_dual_add_nc_u32 v8, -1, v1
	v_mov_b64_e32 v[2:3], 0
	v_mov_b64_e32 v[4:5], 0
	v_add_nc_u32_e32 v9, 0x380, v126
	s_delay_alu instid0(VALU_DEP_4)
	v_or_b32_e32 v10, 8, v10
	s_mov_b32 s3, 0
.LBB119_101:                            ; =>This Inner Loop Header: Depth=1
	scratch_load_b128 v[128:131], v10, off offset:-8
	ds_load_b128 v[132:135], v9
	v_dual_add_nc_u32 v8, 1, v8 :: v_dual_add_nc_u32 v9, 16, v9
	s_wait_xcnt 0x0
	v_add_nc_u32_e32 v10, 16, v10
	s_delay_alu instid0(VALU_DEP_2) | instskip(SKIP_4) | instid1(VALU_DEP_2)
	v_cmp_lt_u32_e32 vcc_lo, 20, v8
	s_or_b32 s3, vcc_lo, s3
	s_wait_loadcnt_dscnt 0x0
	v_mul_f64_e32 v[12:13], v[134:135], v[130:131]
	v_mul_f64_e32 v[130:131], v[132:133], v[130:131]
	v_fma_f64 v[12:13], v[132:133], v[128:129], -v[12:13]
	s_delay_alu instid0(VALU_DEP_2) | instskip(NEXT) | instid1(VALU_DEP_2)
	v_fmac_f64_e32 v[130:131], v[134:135], v[128:129]
	v_add_f64_e32 v[4:5], v[4:5], v[12:13]
	s_delay_alu instid0(VALU_DEP_2)
	v_add_f64_e32 v[2:3], v[2:3], v[130:131]
	s_and_not1_b32 exec_lo, exec_lo, s3
	s_cbranch_execnz .LBB119_101
; %bb.102:
	s_or_b32 exec_lo, exec_lo, s3
	v_mov_b32_e32 v8, 0
	ds_load_b128 v[8:11], v8 offset:352
	s_wait_dscnt 0x0
	v_mul_f64_e32 v[128:129], v[2:3], v[10:11]
	v_mul_f64_e32 v[12:13], v[4:5], v[10:11]
	s_delay_alu instid0(VALU_DEP_2) | instskip(NEXT) | instid1(VALU_DEP_2)
	v_fma_f64 v[10:11], v[4:5], v[8:9], -v[128:129]
	v_fmac_f64_e32 v[12:13], v[2:3], v[8:9]
	scratch_store_b128 off, v[10:13], off offset:352
.LBB119_103:
	s_wait_xcnt 0x0
	s_or_b32 exec_lo, exec_lo, s2
	s_wait_storecnt 0x0
	s_barrier_signal -1
	s_barrier_wait -1
	scratch_load_b128 v[2:5], off, s49
	s_mov_b32 s2, exec_lo
	s_wait_loadcnt 0x0
	ds_store_b128 v6, v[2:5]
	s_wait_dscnt 0x0
	s_barrier_signal -1
	s_barrier_wait -1
	v_cmpx_gt_u32_e32 23, v1
	s_cbranch_execz .LBB119_107
; %bb.104:
	v_dual_mov_b32 v10, v126 :: v_dual_add_nc_u32 v8, -1, v1
	v_mov_b64_e32 v[2:3], 0
	v_mov_b64_e32 v[4:5], 0
	v_add_nc_u32_e32 v9, 0x380, v126
	s_delay_alu instid0(VALU_DEP_4)
	v_or_b32_e32 v10, 8, v10
	s_mov_b32 s3, 0
.LBB119_105:                            ; =>This Inner Loop Header: Depth=1
	scratch_load_b128 v[128:131], v10, off offset:-8
	ds_load_b128 v[132:135], v9
	v_dual_add_nc_u32 v8, 1, v8 :: v_dual_add_nc_u32 v9, 16, v9
	s_wait_xcnt 0x0
	v_add_nc_u32_e32 v10, 16, v10
	s_delay_alu instid0(VALU_DEP_2) | instskip(SKIP_4) | instid1(VALU_DEP_2)
	v_cmp_lt_u32_e32 vcc_lo, 21, v8
	s_or_b32 s3, vcc_lo, s3
	s_wait_loadcnt_dscnt 0x0
	v_mul_f64_e32 v[12:13], v[134:135], v[130:131]
	v_mul_f64_e32 v[130:131], v[132:133], v[130:131]
	v_fma_f64 v[12:13], v[132:133], v[128:129], -v[12:13]
	s_delay_alu instid0(VALU_DEP_2) | instskip(NEXT) | instid1(VALU_DEP_2)
	v_fmac_f64_e32 v[130:131], v[134:135], v[128:129]
	v_add_f64_e32 v[4:5], v[4:5], v[12:13]
	s_delay_alu instid0(VALU_DEP_2)
	v_add_f64_e32 v[2:3], v[2:3], v[130:131]
	s_and_not1_b32 exec_lo, exec_lo, s3
	s_cbranch_execnz .LBB119_105
; %bb.106:
	s_or_b32 exec_lo, exec_lo, s3
	v_mov_b32_e32 v8, 0
	ds_load_b128 v[8:11], v8 offset:368
	s_wait_dscnt 0x0
	v_mul_f64_e32 v[128:129], v[2:3], v[10:11]
	v_mul_f64_e32 v[12:13], v[4:5], v[10:11]
	s_delay_alu instid0(VALU_DEP_2) | instskip(NEXT) | instid1(VALU_DEP_2)
	v_fma_f64 v[10:11], v[4:5], v[8:9], -v[128:129]
	v_fmac_f64_e32 v[12:13], v[2:3], v[8:9]
	scratch_store_b128 off, v[10:13], off offset:368
.LBB119_107:
	s_wait_xcnt 0x0
	s_or_b32 exec_lo, exec_lo, s2
	s_wait_storecnt 0x0
	s_barrier_signal -1
	s_barrier_wait -1
	scratch_load_b128 v[2:5], off, s48
	;; [unrolled: 54-line block ×33, first 2 shown]
	s_mov_b32 s2, exec_lo
	s_wait_loadcnt 0x0
	ds_store_b128 v6, v[2:5]
	s_wait_dscnt 0x0
	s_barrier_signal -1
	s_barrier_wait -1
	v_cmpx_ne_u32_e32 55, v1
	s_cbranch_execz .LBB119_235
; %bb.232:
	v_mov_b32_e32 v8, v126
	v_mov_b64_e32 v[2:3], 0
	v_mov_b64_e32 v[4:5], 0
	s_mov_b32 s3, 0
	s_delay_alu instid0(VALU_DEP_3)
	v_or_b32_e32 v8, 8, v8
.LBB119_233:                            ; =>This Inner Loop Header: Depth=1
	scratch_load_b128 v[10:13], v8, off offset:-8
	ds_load_b128 v[126:129], v6
	v_dual_add_nc_u32 v7, 1, v7 :: v_dual_add_nc_u32 v6, 16, v6
	s_wait_xcnt 0x0
	v_add_nc_u32_e32 v8, 16, v8
	s_delay_alu instid0(VALU_DEP_2) | instskip(SKIP_4) | instid1(VALU_DEP_2)
	v_cmp_lt_u32_e32 vcc_lo, 53, v7
	s_or_b32 s3, vcc_lo, s3
	s_wait_loadcnt_dscnt 0x0
	v_mul_f64_e32 v[130:131], v[128:129], v[12:13]
	v_mul_f64_e32 v[12:13], v[126:127], v[12:13]
	v_fma_f64 v[126:127], v[126:127], v[10:11], -v[130:131]
	s_delay_alu instid0(VALU_DEP_2) | instskip(NEXT) | instid1(VALU_DEP_2)
	v_fmac_f64_e32 v[12:13], v[128:129], v[10:11]
	v_add_f64_e32 v[4:5], v[4:5], v[126:127]
	s_delay_alu instid0(VALU_DEP_2)
	v_add_f64_e32 v[2:3], v[2:3], v[12:13]
	s_and_not1_b32 exec_lo, exec_lo, s3
	s_cbranch_execnz .LBB119_233
; %bb.234:
	s_or_b32 exec_lo, exec_lo, s3
	v_mov_b32_e32 v6, 0
	ds_load_b128 v[6:9], v6 offset:880
	s_wait_dscnt 0x0
	v_mul_f64_e32 v[12:13], v[2:3], v[8:9]
	v_mul_f64_e32 v[10:11], v[4:5], v[8:9]
	s_delay_alu instid0(VALU_DEP_2) | instskip(NEXT) | instid1(VALU_DEP_2)
	v_fma_f64 v[8:9], v[4:5], v[6:7], -v[12:13]
	v_fmac_f64_e32 v[10:11], v[2:3], v[6:7]
	scratch_store_b128 off, v[8:11], off offset:880
.LBB119_235:
	s_wait_xcnt 0x0
	s_or_b32 exec_lo, exec_lo, s2
	s_mov_b32 s3, -1
	s_wait_storecnt 0x0
	s_barrier_signal -1
	s_barrier_wait -1
.LBB119_236:
	s_and_b32 vcc_lo, exec_lo, s3
	s_cbranch_vccz .LBB119_238
; %bb.237:
	s_wait_xcnt 0x0
	v_mov_b32_e32 v2, 0
	s_lshl_b64 s[2:3], s[10:11], 2
	s_delay_alu instid0(SALU_CYCLE_1)
	s_add_nc_u64 s[2:3], s[6:7], s[2:3]
	global_load_b32 v2, v2, s[2:3]
	s_wait_loadcnt 0x0
	v_cmp_ne_u32_e32 vcc_lo, 0, v2
	s_cbranch_vccz .LBB119_239
.LBB119_238:
	s_sendmsg sendmsg(MSG_DEALLOC_VGPRS)
	s_endpgm
.LBB119_239:
	v_lshl_add_u32 v12, v1, 4, 0x380
	s_wait_xcnt 0x0
	s_mov_b32 s2, exec_lo
	v_cmpx_eq_u32_e32 55, v1
	s_cbranch_execz .LBB119_241
; %bb.240:
	scratch_load_b128 v[2:5], off, s15
	v_mov_b32_e32 v6, 0
	s_delay_alu instid0(VALU_DEP_1)
	v_dual_mov_b32 v7, v6 :: v_dual_mov_b32 v8, v6
	v_mov_b32_e32 v9, v6
	scratch_store_b128 off, v[6:9], off offset:864
	s_wait_loadcnt 0x0
	ds_store_b128 v12, v[2:5]
.LBB119_241:
	s_wait_xcnt 0x0
	s_or_b32 exec_lo, exec_lo, s2
	s_wait_storecnt_dscnt 0x0
	s_barrier_signal -1
	s_barrier_wait -1
	s_clause 0x1
	scratch_load_b128 v[4:7], off, off offset:880
	scratch_load_b128 v[8:11], off, off offset:864
	v_mov_b32_e32 v2, 0
	s_mov_b32 s2, exec_lo
	ds_load_b128 v[126:129], v2 offset:1776
	s_wait_loadcnt_dscnt 0x100
	v_mul_f64_e32 v[130:131], v[128:129], v[6:7]
	v_mul_f64_e32 v[6:7], v[126:127], v[6:7]
	s_delay_alu instid0(VALU_DEP_2) | instskip(NEXT) | instid1(VALU_DEP_2)
	v_fma_f64 v[126:127], v[126:127], v[4:5], -v[130:131]
	v_fmac_f64_e32 v[6:7], v[128:129], v[4:5]
	s_delay_alu instid0(VALU_DEP_2) | instskip(NEXT) | instid1(VALU_DEP_2)
	v_add_f64_e32 v[4:5], 0, v[126:127]
	v_add_f64_e32 v[6:7], 0, v[6:7]
	s_wait_loadcnt 0x0
	s_delay_alu instid0(VALU_DEP_2) | instskip(NEXT) | instid1(VALU_DEP_2)
	v_add_f64_e64 v[4:5], v[8:9], -v[4:5]
	v_add_f64_e64 v[6:7], v[10:11], -v[6:7]
	scratch_store_b128 off, v[4:7], off offset:864
	s_wait_xcnt 0x0
	v_cmpx_lt_u32_e32 53, v1
	s_cbranch_execz .LBB119_243
; %bb.242:
	scratch_load_b128 v[6:9], off, s17
	v_dual_mov_b32 v3, v2 :: v_dual_mov_b32 v4, v2
	v_mov_b32_e32 v5, v2
	scratch_store_b128 off, v[2:5], off offset:848
	s_wait_loadcnt 0x0
	ds_store_b128 v12, v[6:9]
.LBB119_243:
	s_wait_xcnt 0x0
	s_or_b32 exec_lo, exec_lo, s2
	s_wait_storecnt_dscnt 0x0
	s_barrier_signal -1
	s_barrier_wait -1
	s_clause 0x2
	scratch_load_b128 v[4:7], off, off offset:864
	scratch_load_b128 v[8:11], off, off offset:880
	scratch_load_b128 v[126:129], off, off offset:848
	ds_load_b128 v[130:133], v2 offset:1760
	ds_load_b128 v[134:137], v2 offset:1776
	s_mov_b32 s2, exec_lo
	s_wait_loadcnt_dscnt 0x201
	v_mul_f64_e32 v[2:3], v[132:133], v[6:7]
	v_mul_f64_e32 v[6:7], v[130:131], v[6:7]
	s_wait_loadcnt_dscnt 0x100
	v_mul_f64_e32 v[138:139], v[134:135], v[10:11]
	v_mul_f64_e32 v[10:11], v[136:137], v[10:11]
	s_delay_alu instid0(VALU_DEP_4) | instskip(NEXT) | instid1(VALU_DEP_4)
	v_fma_f64 v[2:3], v[130:131], v[4:5], -v[2:3]
	v_fmac_f64_e32 v[6:7], v[132:133], v[4:5]
	s_delay_alu instid0(VALU_DEP_4) | instskip(NEXT) | instid1(VALU_DEP_4)
	v_fmac_f64_e32 v[138:139], v[136:137], v[8:9]
	v_fma_f64 v[4:5], v[134:135], v[8:9], -v[10:11]
	s_delay_alu instid0(VALU_DEP_4) | instskip(NEXT) | instid1(VALU_DEP_4)
	v_add_f64_e32 v[2:3], 0, v[2:3]
	v_add_f64_e32 v[6:7], 0, v[6:7]
	s_delay_alu instid0(VALU_DEP_2) | instskip(NEXT) | instid1(VALU_DEP_2)
	v_add_f64_e32 v[2:3], v[2:3], v[4:5]
	v_add_f64_e32 v[4:5], v[6:7], v[138:139]
	s_wait_loadcnt 0x0
	s_delay_alu instid0(VALU_DEP_2) | instskip(NEXT) | instid1(VALU_DEP_2)
	v_add_f64_e64 v[2:3], v[126:127], -v[2:3]
	v_add_f64_e64 v[4:5], v[128:129], -v[4:5]
	scratch_store_b128 off, v[2:5], off offset:848
	s_wait_xcnt 0x0
	v_cmpx_lt_u32_e32 52, v1
	s_cbranch_execz .LBB119_245
; %bb.244:
	scratch_load_b128 v[2:5], off, s19
	v_mov_b32_e32 v6, 0
	s_delay_alu instid0(VALU_DEP_1)
	v_dual_mov_b32 v7, v6 :: v_dual_mov_b32 v8, v6
	v_mov_b32_e32 v9, v6
	scratch_store_b128 off, v[6:9], off offset:832
	s_wait_loadcnt 0x0
	ds_store_b128 v12, v[2:5]
.LBB119_245:
	s_wait_xcnt 0x0
	s_or_b32 exec_lo, exec_lo, s2
	s_wait_storecnt_dscnt 0x0
	s_barrier_signal -1
	s_barrier_wait -1
	s_clause 0x3
	scratch_load_b128 v[4:7], off, off offset:848
	scratch_load_b128 v[8:11], off, off offset:864
	;; [unrolled: 1-line block ×4, first 2 shown]
	v_mov_b32_e32 v2, 0
	ds_load_b128 v[134:137], v2 offset:1744
	ds_load_b128 v[138:141], v2 offset:1760
	s_mov_b32 s2, exec_lo
	s_wait_loadcnt_dscnt 0x301
	v_mul_f64_e32 v[142:143], v[136:137], v[6:7]
	v_mul_f64_e32 v[144:145], v[134:135], v[6:7]
	s_wait_loadcnt_dscnt 0x200
	v_mul_f64_e32 v[146:147], v[138:139], v[10:11]
	v_mul_f64_e32 v[10:11], v[140:141], v[10:11]
	s_delay_alu instid0(VALU_DEP_4) | instskip(NEXT) | instid1(VALU_DEP_4)
	v_fma_f64 v[134:135], v[134:135], v[4:5], -v[142:143]
	v_fmac_f64_e32 v[144:145], v[136:137], v[4:5]
	ds_load_b128 v[4:7], v2 offset:1776
	v_fmac_f64_e32 v[146:147], v[140:141], v[8:9]
	v_fma_f64 v[8:9], v[138:139], v[8:9], -v[10:11]
	s_wait_loadcnt_dscnt 0x100
	v_mul_f64_e32 v[136:137], v[4:5], v[128:129]
	v_mul_f64_e32 v[128:129], v[6:7], v[128:129]
	v_add_f64_e32 v[10:11], 0, v[134:135]
	v_add_f64_e32 v[134:135], 0, v[144:145]
	s_delay_alu instid0(VALU_DEP_4) | instskip(NEXT) | instid1(VALU_DEP_4)
	v_fmac_f64_e32 v[136:137], v[6:7], v[126:127]
	v_fma_f64 v[4:5], v[4:5], v[126:127], -v[128:129]
	s_delay_alu instid0(VALU_DEP_4) | instskip(NEXT) | instid1(VALU_DEP_4)
	v_add_f64_e32 v[6:7], v[10:11], v[8:9]
	v_add_f64_e32 v[8:9], v[134:135], v[146:147]
	s_delay_alu instid0(VALU_DEP_2) | instskip(NEXT) | instid1(VALU_DEP_2)
	v_add_f64_e32 v[4:5], v[6:7], v[4:5]
	v_add_f64_e32 v[6:7], v[8:9], v[136:137]
	s_wait_loadcnt 0x0
	s_delay_alu instid0(VALU_DEP_2) | instskip(NEXT) | instid1(VALU_DEP_2)
	v_add_f64_e64 v[4:5], v[130:131], -v[4:5]
	v_add_f64_e64 v[6:7], v[132:133], -v[6:7]
	scratch_store_b128 off, v[4:7], off offset:832
	s_wait_xcnt 0x0
	v_cmpx_lt_u32_e32 51, v1
	s_cbranch_execz .LBB119_247
; %bb.246:
	scratch_load_b128 v[6:9], off, s20
	v_dual_mov_b32 v3, v2 :: v_dual_mov_b32 v4, v2
	v_mov_b32_e32 v5, v2
	scratch_store_b128 off, v[2:5], off offset:816
	s_wait_loadcnt 0x0
	ds_store_b128 v12, v[6:9]
.LBB119_247:
	s_wait_xcnt 0x0
	s_or_b32 exec_lo, exec_lo, s2
	s_wait_storecnt_dscnt 0x0
	s_barrier_signal -1
	s_barrier_wait -1
	s_clause 0x4
	scratch_load_b128 v[4:7], off, off offset:832
	scratch_load_b128 v[8:11], off, off offset:848
	;; [unrolled: 1-line block ×5, first 2 shown]
	ds_load_b128 v[138:141], v2 offset:1728
	ds_load_b128 v[142:145], v2 offset:1744
	s_mov_b32 s2, exec_lo
	s_wait_loadcnt_dscnt 0x401
	v_mul_f64_e32 v[146:147], v[140:141], v[6:7]
	v_mul_f64_e32 v[148:149], v[138:139], v[6:7]
	s_wait_loadcnt_dscnt 0x300
	v_mul_f64_e32 v[150:151], v[142:143], v[10:11]
	v_mul_f64_e32 v[10:11], v[144:145], v[10:11]
	s_delay_alu instid0(VALU_DEP_4) | instskip(NEXT) | instid1(VALU_DEP_4)
	v_fma_f64 v[146:147], v[138:139], v[4:5], -v[146:147]
	v_fmac_f64_e32 v[148:149], v[140:141], v[4:5]
	ds_load_b128 v[4:7], v2 offset:1760
	ds_load_b128 v[138:141], v2 offset:1776
	v_fmac_f64_e32 v[150:151], v[144:145], v[8:9]
	v_fma_f64 v[8:9], v[142:143], v[8:9], -v[10:11]
	s_wait_loadcnt_dscnt 0x201
	v_mul_f64_e32 v[2:3], v[4:5], v[128:129]
	v_mul_f64_e32 v[128:129], v[6:7], v[128:129]
	s_wait_loadcnt_dscnt 0x100
	v_mul_f64_e32 v[144:145], v[138:139], v[132:133]
	v_mul_f64_e32 v[132:133], v[140:141], v[132:133]
	v_add_f64_e32 v[10:11], 0, v[146:147]
	v_add_f64_e32 v[142:143], 0, v[148:149]
	v_fmac_f64_e32 v[2:3], v[6:7], v[126:127]
	v_fma_f64 v[4:5], v[4:5], v[126:127], -v[128:129]
	v_fmac_f64_e32 v[144:145], v[140:141], v[130:131]
	v_add_f64_e32 v[6:7], v[10:11], v[8:9]
	v_add_f64_e32 v[8:9], v[142:143], v[150:151]
	v_fma_f64 v[10:11], v[138:139], v[130:131], -v[132:133]
	s_delay_alu instid0(VALU_DEP_3) | instskip(NEXT) | instid1(VALU_DEP_3)
	v_add_f64_e32 v[4:5], v[6:7], v[4:5]
	v_add_f64_e32 v[2:3], v[8:9], v[2:3]
	s_delay_alu instid0(VALU_DEP_2) | instskip(NEXT) | instid1(VALU_DEP_2)
	v_add_f64_e32 v[4:5], v[4:5], v[10:11]
	v_add_f64_e32 v[6:7], v[2:3], v[144:145]
	s_wait_loadcnt 0x0
	s_delay_alu instid0(VALU_DEP_2) | instskip(NEXT) | instid1(VALU_DEP_2)
	v_add_f64_e64 v[2:3], v[134:135], -v[4:5]
	v_add_f64_e64 v[4:5], v[136:137], -v[6:7]
	scratch_store_b128 off, v[2:5], off offset:816
	s_wait_xcnt 0x0
	v_cmpx_lt_u32_e32 50, v1
	s_cbranch_execz .LBB119_249
; %bb.248:
	scratch_load_b128 v[2:5], off, s21
	v_mov_b32_e32 v6, 0
	s_delay_alu instid0(VALU_DEP_1)
	v_dual_mov_b32 v7, v6 :: v_dual_mov_b32 v8, v6
	v_mov_b32_e32 v9, v6
	scratch_store_b128 off, v[6:9], off offset:800
	s_wait_loadcnt 0x0
	ds_store_b128 v12, v[2:5]
.LBB119_249:
	s_wait_xcnt 0x0
	s_or_b32 exec_lo, exec_lo, s2
	s_wait_storecnt_dscnt 0x0
	s_barrier_signal -1
	s_barrier_wait -1
	s_clause 0x5
	scratch_load_b128 v[4:7], off, off offset:816
	scratch_load_b128 v[8:11], off, off offset:832
	;; [unrolled: 1-line block ×6, first 2 shown]
	v_mov_b32_e32 v2, 0
	ds_load_b128 v[142:145], v2 offset:1712
	ds_load_b128 v[146:149], v2 offset:1728
	s_mov_b32 s2, exec_lo
	s_wait_loadcnt_dscnt 0x501
	v_mul_f64_e32 v[150:151], v[144:145], v[6:7]
	v_mul_f64_e32 v[152:153], v[142:143], v[6:7]
	s_wait_loadcnt_dscnt 0x400
	v_mul_f64_e32 v[154:155], v[146:147], v[10:11]
	v_mul_f64_e32 v[10:11], v[148:149], v[10:11]
	s_delay_alu instid0(VALU_DEP_4) | instskip(NEXT) | instid1(VALU_DEP_4)
	v_fma_f64 v[150:151], v[142:143], v[4:5], -v[150:151]
	v_fmac_f64_e32 v[152:153], v[144:145], v[4:5]
	ds_load_b128 v[4:7], v2 offset:1744
	ds_load_b128 v[142:145], v2 offset:1760
	v_fmac_f64_e32 v[154:155], v[148:149], v[8:9]
	v_fma_f64 v[8:9], v[146:147], v[8:9], -v[10:11]
	s_wait_loadcnt_dscnt 0x301
	v_mul_f64_e32 v[156:157], v[4:5], v[128:129]
	v_mul_f64_e32 v[128:129], v[6:7], v[128:129]
	s_wait_loadcnt_dscnt 0x200
	v_mul_f64_e32 v[148:149], v[142:143], v[132:133]
	v_mul_f64_e32 v[132:133], v[144:145], v[132:133]
	v_add_f64_e32 v[10:11], 0, v[150:151]
	v_add_f64_e32 v[146:147], 0, v[152:153]
	v_fmac_f64_e32 v[156:157], v[6:7], v[126:127]
	v_fma_f64 v[126:127], v[4:5], v[126:127], -v[128:129]
	ds_load_b128 v[4:7], v2 offset:1776
	v_fmac_f64_e32 v[148:149], v[144:145], v[130:131]
	v_fma_f64 v[130:131], v[142:143], v[130:131], -v[132:133]
	v_add_f64_e32 v[8:9], v[10:11], v[8:9]
	v_add_f64_e32 v[10:11], v[146:147], v[154:155]
	s_wait_loadcnt_dscnt 0x100
	v_mul_f64_e32 v[128:129], v[4:5], v[136:137]
	v_mul_f64_e32 v[136:137], v[6:7], v[136:137]
	s_delay_alu instid0(VALU_DEP_4) | instskip(NEXT) | instid1(VALU_DEP_4)
	v_add_f64_e32 v[8:9], v[8:9], v[126:127]
	v_add_f64_e32 v[10:11], v[10:11], v[156:157]
	s_delay_alu instid0(VALU_DEP_4) | instskip(NEXT) | instid1(VALU_DEP_4)
	v_fmac_f64_e32 v[128:129], v[6:7], v[134:135]
	v_fma_f64 v[4:5], v[4:5], v[134:135], -v[136:137]
	s_delay_alu instid0(VALU_DEP_4) | instskip(NEXT) | instid1(VALU_DEP_4)
	v_add_f64_e32 v[6:7], v[8:9], v[130:131]
	v_add_f64_e32 v[8:9], v[10:11], v[148:149]
	s_delay_alu instid0(VALU_DEP_2) | instskip(NEXT) | instid1(VALU_DEP_2)
	v_add_f64_e32 v[4:5], v[6:7], v[4:5]
	v_add_f64_e32 v[6:7], v[8:9], v[128:129]
	s_wait_loadcnt 0x0
	s_delay_alu instid0(VALU_DEP_2) | instskip(NEXT) | instid1(VALU_DEP_2)
	v_add_f64_e64 v[4:5], v[138:139], -v[4:5]
	v_add_f64_e64 v[6:7], v[140:141], -v[6:7]
	scratch_store_b128 off, v[4:7], off offset:800
	s_wait_xcnt 0x0
	v_cmpx_lt_u32_e32 49, v1
	s_cbranch_execz .LBB119_251
; %bb.250:
	scratch_load_b128 v[6:9], off, s22
	v_dual_mov_b32 v3, v2 :: v_dual_mov_b32 v4, v2
	v_mov_b32_e32 v5, v2
	scratch_store_b128 off, v[2:5], off offset:784
	s_wait_loadcnt 0x0
	ds_store_b128 v12, v[6:9]
.LBB119_251:
	s_wait_xcnt 0x0
	s_or_b32 exec_lo, exec_lo, s2
	s_wait_storecnt_dscnt 0x0
	s_barrier_signal -1
	s_barrier_wait -1
	s_clause 0x6
	scratch_load_b128 v[4:7], off, off offset:800
	scratch_load_b128 v[8:11], off, off offset:816
	;; [unrolled: 1-line block ×7, first 2 shown]
	ds_load_b128 v[146:149], v2 offset:1696
	ds_load_b128 v[150:153], v2 offset:1712
	s_mov_b32 s2, exec_lo
	s_wait_loadcnt_dscnt 0x601
	v_mul_f64_e32 v[154:155], v[148:149], v[6:7]
	v_mul_f64_e32 v[156:157], v[146:147], v[6:7]
	s_wait_loadcnt_dscnt 0x500
	v_mul_f64_e32 v[158:159], v[150:151], v[10:11]
	v_mul_f64_e32 v[10:11], v[152:153], v[10:11]
	s_delay_alu instid0(VALU_DEP_4) | instskip(NEXT) | instid1(VALU_DEP_4)
	v_fma_f64 v[154:155], v[146:147], v[4:5], -v[154:155]
	v_fmac_f64_e32 v[156:157], v[148:149], v[4:5]
	ds_load_b128 v[4:7], v2 offset:1728
	ds_load_b128 v[146:149], v2 offset:1744
	v_fmac_f64_e32 v[158:159], v[152:153], v[8:9]
	v_fma_f64 v[8:9], v[150:151], v[8:9], -v[10:11]
	s_wait_loadcnt_dscnt 0x401
	v_mul_f64_e32 v[160:161], v[4:5], v[128:129]
	v_mul_f64_e32 v[128:129], v[6:7], v[128:129]
	s_wait_loadcnt_dscnt 0x300
	v_mul_f64_e32 v[152:153], v[146:147], v[132:133]
	v_mul_f64_e32 v[132:133], v[148:149], v[132:133]
	v_add_f64_e32 v[10:11], 0, v[154:155]
	v_add_f64_e32 v[150:151], 0, v[156:157]
	v_fmac_f64_e32 v[160:161], v[6:7], v[126:127]
	v_fma_f64 v[126:127], v[4:5], v[126:127], -v[128:129]
	v_fmac_f64_e32 v[152:153], v[148:149], v[130:131]
	v_fma_f64 v[130:131], v[146:147], v[130:131], -v[132:133]
	v_add_f64_e32 v[128:129], v[10:11], v[8:9]
	v_add_f64_e32 v[150:151], v[150:151], v[158:159]
	ds_load_b128 v[4:7], v2 offset:1760
	ds_load_b128 v[8:11], v2 offset:1776
	s_wait_loadcnt_dscnt 0x201
	v_mul_f64_e32 v[2:3], v[4:5], v[136:137]
	v_mul_f64_e32 v[136:137], v[6:7], v[136:137]
	s_wait_loadcnt_dscnt 0x100
	v_mul_f64_e32 v[132:133], v[8:9], v[140:141]
	v_mul_f64_e32 v[140:141], v[10:11], v[140:141]
	v_add_f64_e32 v[126:127], v[128:129], v[126:127]
	v_add_f64_e32 v[128:129], v[150:151], v[160:161]
	v_fmac_f64_e32 v[2:3], v[6:7], v[134:135]
	v_fma_f64 v[4:5], v[4:5], v[134:135], -v[136:137]
	v_fmac_f64_e32 v[132:133], v[10:11], v[138:139]
	v_fma_f64 v[8:9], v[8:9], v[138:139], -v[140:141]
	v_add_f64_e32 v[6:7], v[126:127], v[130:131]
	v_add_f64_e32 v[126:127], v[128:129], v[152:153]
	s_delay_alu instid0(VALU_DEP_2) | instskip(NEXT) | instid1(VALU_DEP_2)
	v_add_f64_e32 v[4:5], v[6:7], v[4:5]
	v_add_f64_e32 v[2:3], v[126:127], v[2:3]
	s_delay_alu instid0(VALU_DEP_2) | instskip(NEXT) | instid1(VALU_DEP_2)
	v_add_f64_e32 v[4:5], v[4:5], v[8:9]
	v_add_f64_e32 v[6:7], v[2:3], v[132:133]
	s_wait_loadcnt 0x0
	s_delay_alu instid0(VALU_DEP_2) | instskip(NEXT) | instid1(VALU_DEP_2)
	v_add_f64_e64 v[2:3], v[142:143], -v[4:5]
	v_add_f64_e64 v[4:5], v[144:145], -v[6:7]
	scratch_store_b128 off, v[2:5], off offset:784
	s_wait_xcnt 0x0
	v_cmpx_lt_u32_e32 48, v1
	s_cbranch_execz .LBB119_253
; %bb.252:
	scratch_load_b128 v[2:5], off, s23
	v_mov_b32_e32 v6, 0
	s_delay_alu instid0(VALU_DEP_1)
	v_dual_mov_b32 v7, v6 :: v_dual_mov_b32 v8, v6
	v_mov_b32_e32 v9, v6
	scratch_store_b128 off, v[6:9], off offset:768
	s_wait_loadcnt 0x0
	ds_store_b128 v12, v[2:5]
.LBB119_253:
	s_wait_xcnt 0x0
	s_or_b32 exec_lo, exec_lo, s2
	s_wait_storecnt_dscnt 0x0
	s_barrier_signal -1
	s_barrier_wait -1
	s_clause 0x7
	scratch_load_b128 v[4:7], off, off offset:784
	scratch_load_b128 v[8:11], off, off offset:800
	;; [unrolled: 1-line block ×8, first 2 shown]
	v_mov_b32_e32 v2, 0
	ds_load_b128 v[150:153], v2 offset:1680
	ds_load_b128 v[154:157], v2 offset:1696
	s_mov_b32 s2, exec_lo
	s_wait_loadcnt_dscnt 0x701
	v_mul_f64_e32 v[158:159], v[152:153], v[6:7]
	v_mul_f64_e32 v[160:161], v[150:151], v[6:7]
	s_wait_loadcnt_dscnt 0x600
	v_mul_f64_e32 v[162:163], v[154:155], v[10:11]
	v_mul_f64_e32 v[10:11], v[156:157], v[10:11]
	s_delay_alu instid0(VALU_DEP_4) | instskip(NEXT) | instid1(VALU_DEP_4)
	v_fma_f64 v[158:159], v[150:151], v[4:5], -v[158:159]
	v_fmac_f64_e32 v[160:161], v[152:153], v[4:5]
	ds_load_b128 v[4:7], v2 offset:1712
	ds_load_b128 v[150:153], v2 offset:1728
	v_fmac_f64_e32 v[162:163], v[156:157], v[8:9]
	v_fma_f64 v[8:9], v[154:155], v[8:9], -v[10:11]
	s_wait_loadcnt_dscnt 0x501
	v_mul_f64_e32 v[164:165], v[4:5], v[128:129]
	v_mul_f64_e32 v[128:129], v[6:7], v[128:129]
	s_wait_loadcnt_dscnt 0x400
	v_mul_f64_e32 v[156:157], v[150:151], v[132:133]
	v_mul_f64_e32 v[132:133], v[152:153], v[132:133]
	v_add_f64_e32 v[10:11], 0, v[158:159]
	v_add_f64_e32 v[154:155], 0, v[160:161]
	v_fmac_f64_e32 v[164:165], v[6:7], v[126:127]
	v_fma_f64 v[126:127], v[4:5], v[126:127], -v[128:129]
	v_fmac_f64_e32 v[156:157], v[152:153], v[130:131]
	v_fma_f64 v[130:131], v[150:151], v[130:131], -v[132:133]
	v_add_f64_e32 v[128:129], v[10:11], v[8:9]
	v_add_f64_e32 v[154:155], v[154:155], v[162:163]
	ds_load_b128 v[4:7], v2 offset:1744
	ds_load_b128 v[8:11], v2 offset:1760
	s_wait_loadcnt_dscnt 0x301
	v_mul_f64_e32 v[158:159], v[4:5], v[136:137]
	v_mul_f64_e32 v[136:137], v[6:7], v[136:137]
	s_wait_loadcnt_dscnt 0x200
	v_mul_f64_e32 v[132:133], v[8:9], v[140:141]
	v_mul_f64_e32 v[140:141], v[10:11], v[140:141]
	v_add_f64_e32 v[126:127], v[128:129], v[126:127]
	v_add_f64_e32 v[128:129], v[154:155], v[164:165]
	v_fmac_f64_e32 v[158:159], v[6:7], v[134:135]
	v_fma_f64 v[134:135], v[4:5], v[134:135], -v[136:137]
	ds_load_b128 v[4:7], v2 offset:1776
	v_fmac_f64_e32 v[132:133], v[10:11], v[138:139]
	v_fma_f64 v[8:9], v[8:9], v[138:139], -v[140:141]
	v_add_f64_e32 v[126:127], v[126:127], v[130:131]
	v_add_f64_e32 v[128:129], v[128:129], v[156:157]
	s_wait_loadcnt_dscnt 0x100
	v_mul_f64_e32 v[130:131], v[4:5], v[144:145]
	v_mul_f64_e32 v[136:137], v[6:7], v[144:145]
	s_delay_alu instid0(VALU_DEP_4) | instskip(NEXT) | instid1(VALU_DEP_4)
	v_add_f64_e32 v[10:11], v[126:127], v[134:135]
	v_add_f64_e32 v[126:127], v[128:129], v[158:159]
	s_delay_alu instid0(VALU_DEP_4) | instskip(NEXT) | instid1(VALU_DEP_4)
	v_fmac_f64_e32 v[130:131], v[6:7], v[142:143]
	v_fma_f64 v[4:5], v[4:5], v[142:143], -v[136:137]
	s_delay_alu instid0(VALU_DEP_4) | instskip(NEXT) | instid1(VALU_DEP_4)
	v_add_f64_e32 v[6:7], v[10:11], v[8:9]
	v_add_f64_e32 v[8:9], v[126:127], v[132:133]
	s_delay_alu instid0(VALU_DEP_2) | instskip(NEXT) | instid1(VALU_DEP_2)
	v_add_f64_e32 v[4:5], v[6:7], v[4:5]
	v_add_f64_e32 v[6:7], v[8:9], v[130:131]
	s_wait_loadcnt 0x0
	s_delay_alu instid0(VALU_DEP_2) | instskip(NEXT) | instid1(VALU_DEP_2)
	v_add_f64_e64 v[4:5], v[146:147], -v[4:5]
	v_add_f64_e64 v[6:7], v[148:149], -v[6:7]
	scratch_store_b128 off, v[4:7], off offset:768
	s_wait_xcnt 0x0
	v_cmpx_lt_u32_e32 47, v1
	s_cbranch_execz .LBB119_255
; %bb.254:
	scratch_load_b128 v[6:9], off, s24
	v_dual_mov_b32 v3, v2 :: v_dual_mov_b32 v4, v2
	v_mov_b32_e32 v5, v2
	scratch_store_b128 off, v[2:5], off offset:752
	s_wait_loadcnt 0x0
	ds_store_b128 v12, v[6:9]
.LBB119_255:
	s_wait_xcnt 0x0
	s_or_b32 exec_lo, exec_lo, s2
	s_wait_storecnt_dscnt 0x0
	s_barrier_signal -1
	s_barrier_wait -1
	s_clause 0x7
	scratch_load_b128 v[4:7], off, off offset:768
	scratch_load_b128 v[8:11], off, off offset:784
	;; [unrolled: 1-line block ×8, first 2 shown]
	ds_load_b128 v[150:153], v2 offset:1664
	ds_load_b128 v[154:157], v2 offset:1680
	scratch_load_b128 v[158:161], off, off offset:752
	s_mov_b32 s2, exec_lo
	s_wait_loadcnt_dscnt 0x801
	v_mul_f64_e32 v[162:163], v[152:153], v[6:7]
	v_mul_f64_e32 v[164:165], v[150:151], v[6:7]
	s_wait_loadcnt_dscnt 0x700
	v_mul_f64_e32 v[166:167], v[154:155], v[10:11]
	v_mul_f64_e32 v[10:11], v[156:157], v[10:11]
	s_delay_alu instid0(VALU_DEP_4) | instskip(NEXT) | instid1(VALU_DEP_4)
	v_fma_f64 v[162:163], v[150:151], v[4:5], -v[162:163]
	v_fmac_f64_e32 v[164:165], v[152:153], v[4:5]
	ds_load_b128 v[4:7], v2 offset:1696
	ds_load_b128 v[150:153], v2 offset:1712
	v_fmac_f64_e32 v[166:167], v[156:157], v[8:9]
	v_fma_f64 v[8:9], v[154:155], v[8:9], -v[10:11]
	s_wait_loadcnt_dscnt 0x601
	v_mul_f64_e32 v[168:169], v[4:5], v[128:129]
	v_mul_f64_e32 v[128:129], v[6:7], v[128:129]
	s_wait_loadcnt_dscnt 0x500
	v_mul_f64_e32 v[156:157], v[150:151], v[132:133]
	v_mul_f64_e32 v[132:133], v[152:153], v[132:133]
	v_add_f64_e32 v[10:11], 0, v[162:163]
	v_add_f64_e32 v[154:155], 0, v[164:165]
	v_fmac_f64_e32 v[168:169], v[6:7], v[126:127]
	v_fma_f64 v[126:127], v[4:5], v[126:127], -v[128:129]
	v_fmac_f64_e32 v[156:157], v[152:153], v[130:131]
	v_fma_f64 v[130:131], v[150:151], v[130:131], -v[132:133]
	v_add_f64_e32 v[128:129], v[10:11], v[8:9]
	v_add_f64_e32 v[154:155], v[154:155], v[166:167]
	ds_load_b128 v[4:7], v2 offset:1728
	ds_load_b128 v[8:11], v2 offset:1744
	s_wait_loadcnt_dscnt 0x401
	v_mul_f64_e32 v[162:163], v[4:5], v[136:137]
	v_mul_f64_e32 v[136:137], v[6:7], v[136:137]
	s_wait_loadcnt_dscnt 0x300
	v_mul_f64_e32 v[132:133], v[8:9], v[140:141]
	v_mul_f64_e32 v[140:141], v[10:11], v[140:141]
	v_add_f64_e32 v[126:127], v[128:129], v[126:127]
	v_add_f64_e32 v[128:129], v[154:155], v[168:169]
	v_fmac_f64_e32 v[162:163], v[6:7], v[134:135]
	v_fma_f64 v[134:135], v[4:5], v[134:135], -v[136:137]
	v_fmac_f64_e32 v[132:133], v[10:11], v[138:139]
	v_fma_f64 v[8:9], v[8:9], v[138:139], -v[140:141]
	v_add_f64_e32 v[130:131], v[126:127], v[130:131]
	v_add_f64_e32 v[136:137], v[128:129], v[156:157]
	ds_load_b128 v[4:7], v2 offset:1760
	ds_load_b128 v[126:129], v2 offset:1776
	s_wait_loadcnt_dscnt 0x201
	v_mul_f64_e32 v[2:3], v[4:5], v[144:145]
	v_mul_f64_e32 v[144:145], v[6:7], v[144:145]
	v_add_f64_e32 v[10:11], v[130:131], v[134:135]
	v_add_f64_e32 v[130:131], v[136:137], v[162:163]
	s_wait_loadcnt_dscnt 0x100
	v_mul_f64_e32 v[134:135], v[126:127], v[148:149]
	v_mul_f64_e32 v[136:137], v[128:129], v[148:149]
	v_fmac_f64_e32 v[2:3], v[6:7], v[142:143]
	v_fma_f64 v[4:5], v[4:5], v[142:143], -v[144:145]
	v_add_f64_e32 v[6:7], v[10:11], v[8:9]
	v_add_f64_e32 v[8:9], v[130:131], v[132:133]
	v_fmac_f64_e32 v[134:135], v[128:129], v[146:147]
	v_fma_f64 v[10:11], v[126:127], v[146:147], -v[136:137]
	s_delay_alu instid0(VALU_DEP_4) | instskip(NEXT) | instid1(VALU_DEP_4)
	v_add_f64_e32 v[4:5], v[6:7], v[4:5]
	v_add_f64_e32 v[2:3], v[8:9], v[2:3]
	s_delay_alu instid0(VALU_DEP_2) | instskip(NEXT) | instid1(VALU_DEP_2)
	v_add_f64_e32 v[4:5], v[4:5], v[10:11]
	v_add_f64_e32 v[6:7], v[2:3], v[134:135]
	s_wait_loadcnt 0x0
	s_delay_alu instid0(VALU_DEP_2) | instskip(NEXT) | instid1(VALU_DEP_2)
	v_add_f64_e64 v[2:3], v[158:159], -v[4:5]
	v_add_f64_e64 v[4:5], v[160:161], -v[6:7]
	scratch_store_b128 off, v[2:5], off offset:752
	s_wait_xcnt 0x0
	v_cmpx_lt_u32_e32 46, v1
	s_cbranch_execz .LBB119_257
; %bb.256:
	scratch_load_b128 v[2:5], off, s25
	v_mov_b32_e32 v6, 0
	s_delay_alu instid0(VALU_DEP_1)
	v_dual_mov_b32 v7, v6 :: v_dual_mov_b32 v8, v6
	v_mov_b32_e32 v9, v6
	scratch_store_b128 off, v[6:9], off offset:736
	s_wait_loadcnt 0x0
	ds_store_b128 v12, v[2:5]
.LBB119_257:
	s_wait_xcnt 0x0
	s_or_b32 exec_lo, exec_lo, s2
	s_wait_storecnt_dscnt 0x0
	s_barrier_signal -1
	s_barrier_wait -1
	s_clause 0x8
	scratch_load_b128 v[4:7], off, off offset:752
	scratch_load_b128 v[8:11], off, off offset:768
	;; [unrolled: 1-line block ×9, first 2 shown]
	v_mov_b32_e32 v2, 0
	scratch_load_b128 v[158:161], off, off offset:736
	s_mov_b32 s2, exec_lo
	ds_load_b128 v[154:157], v2 offset:1648
	ds_load_b128 v[162:165], v2 offset:1664
	s_wait_loadcnt_dscnt 0x901
	v_mul_f64_e32 v[166:167], v[156:157], v[6:7]
	v_mul_f64_e32 v[168:169], v[154:155], v[6:7]
	s_wait_loadcnt_dscnt 0x800
	v_mul_f64_e32 v[170:171], v[162:163], v[10:11]
	v_mul_f64_e32 v[10:11], v[164:165], v[10:11]
	s_delay_alu instid0(VALU_DEP_4) | instskip(NEXT) | instid1(VALU_DEP_4)
	v_fma_f64 v[166:167], v[154:155], v[4:5], -v[166:167]
	v_fmac_f64_e32 v[168:169], v[156:157], v[4:5]
	ds_load_b128 v[4:7], v2 offset:1680
	ds_load_b128 v[154:157], v2 offset:1696
	v_fmac_f64_e32 v[170:171], v[164:165], v[8:9]
	v_fma_f64 v[8:9], v[162:163], v[8:9], -v[10:11]
	s_wait_loadcnt_dscnt 0x701
	v_mul_f64_e32 v[172:173], v[4:5], v[128:129]
	v_mul_f64_e32 v[128:129], v[6:7], v[128:129]
	s_wait_loadcnt_dscnt 0x600
	v_mul_f64_e32 v[164:165], v[154:155], v[132:133]
	v_mul_f64_e32 v[132:133], v[156:157], v[132:133]
	v_add_f64_e32 v[10:11], 0, v[166:167]
	v_add_f64_e32 v[162:163], 0, v[168:169]
	v_fmac_f64_e32 v[172:173], v[6:7], v[126:127]
	v_fma_f64 v[126:127], v[4:5], v[126:127], -v[128:129]
	v_fmac_f64_e32 v[164:165], v[156:157], v[130:131]
	v_fma_f64 v[130:131], v[154:155], v[130:131], -v[132:133]
	v_add_f64_e32 v[128:129], v[10:11], v[8:9]
	v_add_f64_e32 v[162:163], v[162:163], v[170:171]
	ds_load_b128 v[4:7], v2 offset:1712
	ds_load_b128 v[8:11], v2 offset:1728
	s_wait_loadcnt_dscnt 0x501
	v_mul_f64_e32 v[166:167], v[4:5], v[136:137]
	v_mul_f64_e32 v[136:137], v[6:7], v[136:137]
	s_wait_loadcnt_dscnt 0x400
	v_mul_f64_e32 v[132:133], v[8:9], v[140:141]
	v_mul_f64_e32 v[140:141], v[10:11], v[140:141]
	v_add_f64_e32 v[126:127], v[128:129], v[126:127]
	v_add_f64_e32 v[128:129], v[162:163], v[172:173]
	v_fmac_f64_e32 v[166:167], v[6:7], v[134:135]
	v_fma_f64 v[134:135], v[4:5], v[134:135], -v[136:137]
	v_fmac_f64_e32 v[132:133], v[10:11], v[138:139]
	v_fma_f64 v[8:9], v[8:9], v[138:139], -v[140:141]
	v_add_f64_e32 v[130:131], v[126:127], v[130:131]
	v_add_f64_e32 v[136:137], v[128:129], v[164:165]
	ds_load_b128 v[4:7], v2 offset:1744
	ds_load_b128 v[126:129], v2 offset:1760
	s_wait_loadcnt_dscnt 0x301
	v_mul_f64_e32 v[154:155], v[4:5], v[144:145]
	v_mul_f64_e32 v[144:145], v[6:7], v[144:145]
	v_add_f64_e32 v[10:11], v[130:131], v[134:135]
	v_add_f64_e32 v[130:131], v[136:137], v[166:167]
	s_wait_loadcnt_dscnt 0x200
	v_mul_f64_e32 v[134:135], v[126:127], v[148:149]
	v_mul_f64_e32 v[136:137], v[128:129], v[148:149]
	v_fmac_f64_e32 v[154:155], v[6:7], v[142:143]
	v_fma_f64 v[138:139], v[4:5], v[142:143], -v[144:145]
	ds_load_b128 v[4:7], v2 offset:1776
	v_add_f64_e32 v[8:9], v[10:11], v[8:9]
	v_add_f64_e32 v[10:11], v[130:131], v[132:133]
	v_fmac_f64_e32 v[134:135], v[128:129], v[146:147]
	v_fma_f64 v[126:127], v[126:127], v[146:147], -v[136:137]
	s_wait_loadcnt_dscnt 0x100
	v_mul_f64_e32 v[130:131], v[4:5], v[152:153]
	v_mul_f64_e32 v[132:133], v[6:7], v[152:153]
	v_add_f64_e32 v[8:9], v[8:9], v[138:139]
	v_add_f64_e32 v[10:11], v[10:11], v[154:155]
	s_delay_alu instid0(VALU_DEP_4) | instskip(NEXT) | instid1(VALU_DEP_4)
	v_fmac_f64_e32 v[130:131], v[6:7], v[150:151]
	v_fma_f64 v[4:5], v[4:5], v[150:151], -v[132:133]
	s_delay_alu instid0(VALU_DEP_4) | instskip(NEXT) | instid1(VALU_DEP_4)
	v_add_f64_e32 v[6:7], v[8:9], v[126:127]
	v_add_f64_e32 v[8:9], v[10:11], v[134:135]
	s_delay_alu instid0(VALU_DEP_2) | instskip(NEXT) | instid1(VALU_DEP_2)
	v_add_f64_e32 v[4:5], v[6:7], v[4:5]
	v_add_f64_e32 v[6:7], v[8:9], v[130:131]
	s_wait_loadcnt 0x0
	s_delay_alu instid0(VALU_DEP_2) | instskip(NEXT) | instid1(VALU_DEP_2)
	v_add_f64_e64 v[4:5], v[158:159], -v[4:5]
	v_add_f64_e64 v[6:7], v[160:161], -v[6:7]
	scratch_store_b128 off, v[4:7], off offset:736
	s_wait_xcnt 0x0
	v_cmpx_lt_u32_e32 45, v1
	s_cbranch_execz .LBB119_259
; %bb.258:
	scratch_load_b128 v[6:9], off, s26
	v_dual_mov_b32 v3, v2 :: v_dual_mov_b32 v4, v2
	v_mov_b32_e32 v5, v2
	scratch_store_b128 off, v[2:5], off offset:720
	s_wait_loadcnt 0x0
	ds_store_b128 v12, v[6:9]
.LBB119_259:
	s_wait_xcnt 0x0
	s_or_b32 exec_lo, exec_lo, s2
	s_wait_storecnt_dscnt 0x0
	s_barrier_signal -1
	s_barrier_wait -1
	s_clause 0x9
	scratch_load_b128 v[4:7], off, off offset:736
	scratch_load_b128 v[8:11], off, off offset:752
	;; [unrolled: 1-line block ×10, first 2 shown]
	ds_load_b128 v[158:161], v2 offset:1632
	ds_load_b128 v[162:165], v2 offset:1648
	scratch_load_b128 v[166:169], off, off offset:720
	s_mov_b32 s2, exec_lo
	s_wait_loadcnt_dscnt 0xa01
	v_mul_f64_e32 v[170:171], v[160:161], v[6:7]
	v_mul_f64_e32 v[172:173], v[158:159], v[6:7]
	s_wait_loadcnt_dscnt 0x900
	v_mul_f64_e32 v[174:175], v[162:163], v[10:11]
	v_mul_f64_e32 v[10:11], v[164:165], v[10:11]
	s_delay_alu instid0(VALU_DEP_4) | instskip(NEXT) | instid1(VALU_DEP_4)
	v_fma_f64 v[170:171], v[158:159], v[4:5], -v[170:171]
	v_fmac_f64_e32 v[172:173], v[160:161], v[4:5]
	ds_load_b128 v[4:7], v2 offset:1664
	ds_load_b128 v[158:161], v2 offset:1680
	v_fmac_f64_e32 v[174:175], v[164:165], v[8:9]
	v_fma_f64 v[8:9], v[162:163], v[8:9], -v[10:11]
	s_wait_loadcnt_dscnt 0x801
	v_mul_f64_e32 v[176:177], v[4:5], v[128:129]
	v_mul_f64_e32 v[128:129], v[6:7], v[128:129]
	s_wait_loadcnt_dscnt 0x700
	v_mul_f64_e32 v[164:165], v[158:159], v[132:133]
	v_mul_f64_e32 v[132:133], v[160:161], v[132:133]
	v_add_f64_e32 v[10:11], 0, v[170:171]
	v_add_f64_e32 v[162:163], 0, v[172:173]
	v_fmac_f64_e32 v[176:177], v[6:7], v[126:127]
	v_fma_f64 v[126:127], v[4:5], v[126:127], -v[128:129]
	v_fmac_f64_e32 v[164:165], v[160:161], v[130:131]
	v_fma_f64 v[130:131], v[158:159], v[130:131], -v[132:133]
	v_add_f64_e32 v[128:129], v[10:11], v[8:9]
	v_add_f64_e32 v[162:163], v[162:163], v[174:175]
	ds_load_b128 v[4:7], v2 offset:1696
	ds_load_b128 v[8:11], v2 offset:1712
	s_wait_loadcnt_dscnt 0x601
	v_mul_f64_e32 v[170:171], v[4:5], v[136:137]
	v_mul_f64_e32 v[136:137], v[6:7], v[136:137]
	s_wait_loadcnt_dscnt 0x500
	v_mul_f64_e32 v[132:133], v[8:9], v[140:141]
	v_mul_f64_e32 v[140:141], v[10:11], v[140:141]
	v_add_f64_e32 v[126:127], v[128:129], v[126:127]
	v_add_f64_e32 v[128:129], v[162:163], v[176:177]
	v_fmac_f64_e32 v[170:171], v[6:7], v[134:135]
	v_fma_f64 v[134:135], v[4:5], v[134:135], -v[136:137]
	v_fmac_f64_e32 v[132:133], v[10:11], v[138:139]
	v_fma_f64 v[8:9], v[8:9], v[138:139], -v[140:141]
	v_add_f64_e32 v[130:131], v[126:127], v[130:131]
	v_add_f64_e32 v[136:137], v[128:129], v[164:165]
	ds_load_b128 v[4:7], v2 offset:1728
	ds_load_b128 v[126:129], v2 offset:1744
	s_wait_loadcnt_dscnt 0x401
	v_mul_f64_e32 v[158:159], v[4:5], v[144:145]
	v_mul_f64_e32 v[144:145], v[6:7], v[144:145]
	v_add_f64_e32 v[10:11], v[130:131], v[134:135]
	v_add_f64_e32 v[130:131], v[136:137], v[170:171]
	s_wait_loadcnt_dscnt 0x300
	v_mul_f64_e32 v[134:135], v[126:127], v[148:149]
	v_mul_f64_e32 v[136:137], v[128:129], v[148:149]
	v_fmac_f64_e32 v[158:159], v[6:7], v[142:143]
	v_fma_f64 v[138:139], v[4:5], v[142:143], -v[144:145]
	v_add_f64_e32 v[140:141], v[10:11], v[8:9]
	v_add_f64_e32 v[130:131], v[130:131], v[132:133]
	ds_load_b128 v[4:7], v2 offset:1760
	ds_load_b128 v[8:11], v2 offset:1776
	v_fmac_f64_e32 v[134:135], v[128:129], v[146:147]
	v_fma_f64 v[126:127], v[126:127], v[146:147], -v[136:137]
	s_wait_loadcnt_dscnt 0x201
	v_mul_f64_e32 v[2:3], v[4:5], v[152:153]
	v_mul_f64_e32 v[132:133], v[6:7], v[152:153]
	s_wait_loadcnt_dscnt 0x100
	v_mul_f64_e32 v[136:137], v[8:9], v[156:157]
	v_add_f64_e32 v[128:129], v[140:141], v[138:139]
	v_add_f64_e32 v[130:131], v[130:131], v[158:159]
	v_mul_f64_e32 v[138:139], v[10:11], v[156:157]
	v_fmac_f64_e32 v[2:3], v[6:7], v[150:151]
	v_fma_f64 v[4:5], v[4:5], v[150:151], -v[132:133]
	v_fmac_f64_e32 v[136:137], v[10:11], v[154:155]
	v_add_f64_e32 v[6:7], v[128:129], v[126:127]
	v_add_f64_e32 v[126:127], v[130:131], v[134:135]
	v_fma_f64 v[8:9], v[8:9], v[154:155], -v[138:139]
	s_delay_alu instid0(VALU_DEP_3) | instskip(NEXT) | instid1(VALU_DEP_3)
	v_add_f64_e32 v[4:5], v[6:7], v[4:5]
	v_add_f64_e32 v[2:3], v[126:127], v[2:3]
	s_delay_alu instid0(VALU_DEP_2) | instskip(NEXT) | instid1(VALU_DEP_2)
	v_add_f64_e32 v[4:5], v[4:5], v[8:9]
	v_add_f64_e32 v[6:7], v[2:3], v[136:137]
	s_wait_loadcnt 0x0
	s_delay_alu instid0(VALU_DEP_2) | instskip(NEXT) | instid1(VALU_DEP_2)
	v_add_f64_e64 v[2:3], v[166:167], -v[4:5]
	v_add_f64_e64 v[4:5], v[168:169], -v[6:7]
	scratch_store_b128 off, v[2:5], off offset:720
	s_wait_xcnt 0x0
	v_cmpx_lt_u32_e32 44, v1
	s_cbranch_execz .LBB119_261
; %bb.260:
	scratch_load_b128 v[2:5], off, s27
	v_mov_b32_e32 v6, 0
	s_delay_alu instid0(VALU_DEP_1)
	v_dual_mov_b32 v7, v6 :: v_dual_mov_b32 v8, v6
	v_mov_b32_e32 v9, v6
	scratch_store_b128 off, v[6:9], off offset:704
	s_wait_loadcnt 0x0
	ds_store_b128 v12, v[2:5]
.LBB119_261:
	s_wait_xcnt 0x0
	s_or_b32 exec_lo, exec_lo, s2
	s_wait_storecnt_dscnt 0x0
	s_barrier_signal -1
	s_barrier_wait -1
	s_clause 0x9
	scratch_load_b128 v[4:7], off, off offset:720
	scratch_load_b128 v[8:11], off, off offset:736
	scratch_load_b128 v[126:129], off, off offset:752
	scratch_load_b128 v[130:133], off, off offset:768
	scratch_load_b128 v[134:137], off, off offset:784
	scratch_load_b128 v[138:141], off, off offset:800
	scratch_load_b128 v[142:145], off, off offset:816
	scratch_load_b128 v[146:149], off, off offset:832
	scratch_load_b128 v[150:153], off, off offset:848
	scratch_load_b128 v[154:157], off, off offset:864
	v_mov_b32_e32 v2, 0
	s_mov_b32 s2, exec_lo
	ds_load_b128 v[158:161], v2 offset:1616
	s_clause 0x1
	scratch_load_b128 v[162:165], off, off offset:880
	scratch_load_b128 v[166:169], off, off offset:704
	s_wait_loadcnt_dscnt 0xb00
	v_mul_f64_e32 v[174:175], v[160:161], v[6:7]
	v_mul_f64_e32 v[176:177], v[158:159], v[6:7]
	ds_load_b128 v[170:173], v2 offset:1632
	s_wait_loadcnt_dscnt 0xa00
	v_mul_f64_e32 v[178:179], v[170:171], v[10:11]
	v_mul_f64_e32 v[10:11], v[172:173], v[10:11]
	v_fma_f64 v[174:175], v[158:159], v[4:5], -v[174:175]
	v_fmac_f64_e32 v[176:177], v[160:161], v[4:5]
	ds_load_b128 v[4:7], v2 offset:1648
	ds_load_b128 v[158:161], v2 offset:1664
	s_wait_loadcnt_dscnt 0x901
	v_mul_f64_e32 v[180:181], v[4:5], v[128:129]
	v_mul_f64_e32 v[128:129], v[6:7], v[128:129]
	v_fmac_f64_e32 v[178:179], v[172:173], v[8:9]
	v_fma_f64 v[8:9], v[170:171], v[8:9], -v[10:11]
	s_wait_loadcnt_dscnt 0x800
	v_mul_f64_e32 v[172:173], v[158:159], v[132:133]
	v_mul_f64_e32 v[132:133], v[160:161], v[132:133]
	v_add_f64_e32 v[10:11], 0, v[174:175]
	v_add_f64_e32 v[170:171], 0, v[176:177]
	v_fmac_f64_e32 v[180:181], v[6:7], v[126:127]
	v_fma_f64 v[126:127], v[4:5], v[126:127], -v[128:129]
	v_fmac_f64_e32 v[172:173], v[160:161], v[130:131]
	v_fma_f64 v[130:131], v[158:159], v[130:131], -v[132:133]
	v_add_f64_e32 v[128:129], v[10:11], v[8:9]
	v_add_f64_e32 v[170:171], v[170:171], v[178:179]
	ds_load_b128 v[4:7], v2 offset:1680
	ds_load_b128 v[8:11], v2 offset:1696
	s_wait_loadcnt_dscnt 0x701
	v_mul_f64_e32 v[174:175], v[4:5], v[136:137]
	v_mul_f64_e32 v[136:137], v[6:7], v[136:137]
	s_wait_loadcnt_dscnt 0x600
	v_mul_f64_e32 v[132:133], v[8:9], v[140:141]
	v_mul_f64_e32 v[140:141], v[10:11], v[140:141]
	v_add_f64_e32 v[126:127], v[128:129], v[126:127]
	v_add_f64_e32 v[128:129], v[170:171], v[180:181]
	v_fmac_f64_e32 v[174:175], v[6:7], v[134:135]
	v_fma_f64 v[134:135], v[4:5], v[134:135], -v[136:137]
	v_fmac_f64_e32 v[132:133], v[10:11], v[138:139]
	v_fma_f64 v[8:9], v[8:9], v[138:139], -v[140:141]
	v_add_f64_e32 v[130:131], v[126:127], v[130:131]
	v_add_f64_e32 v[136:137], v[128:129], v[172:173]
	ds_load_b128 v[4:7], v2 offset:1712
	ds_load_b128 v[126:129], v2 offset:1728
	s_wait_loadcnt_dscnt 0x501
	v_mul_f64_e32 v[158:159], v[4:5], v[144:145]
	v_mul_f64_e32 v[144:145], v[6:7], v[144:145]
	v_add_f64_e32 v[10:11], v[130:131], v[134:135]
	v_add_f64_e32 v[130:131], v[136:137], v[174:175]
	s_wait_loadcnt_dscnt 0x400
	v_mul_f64_e32 v[134:135], v[126:127], v[148:149]
	v_mul_f64_e32 v[136:137], v[128:129], v[148:149]
	v_fmac_f64_e32 v[158:159], v[6:7], v[142:143]
	v_fma_f64 v[138:139], v[4:5], v[142:143], -v[144:145]
	v_add_f64_e32 v[140:141], v[10:11], v[8:9]
	v_add_f64_e32 v[130:131], v[130:131], v[132:133]
	ds_load_b128 v[4:7], v2 offset:1744
	ds_load_b128 v[8:11], v2 offset:1760
	v_fmac_f64_e32 v[134:135], v[128:129], v[146:147]
	v_fma_f64 v[126:127], v[126:127], v[146:147], -v[136:137]
	s_wait_loadcnt_dscnt 0x301
	v_mul_f64_e32 v[132:133], v[4:5], v[152:153]
	v_mul_f64_e32 v[142:143], v[6:7], v[152:153]
	s_wait_loadcnt_dscnt 0x200
	v_mul_f64_e32 v[136:137], v[8:9], v[156:157]
	v_add_f64_e32 v[128:129], v[140:141], v[138:139]
	v_add_f64_e32 v[130:131], v[130:131], v[158:159]
	v_mul_f64_e32 v[138:139], v[10:11], v[156:157]
	v_fmac_f64_e32 v[132:133], v[6:7], v[150:151]
	v_fma_f64 v[140:141], v[4:5], v[150:151], -v[142:143]
	ds_load_b128 v[4:7], v2 offset:1776
	v_fmac_f64_e32 v[136:137], v[10:11], v[154:155]
	v_add_f64_e32 v[126:127], v[128:129], v[126:127]
	v_add_f64_e32 v[128:129], v[130:131], v[134:135]
	v_fma_f64 v[8:9], v[8:9], v[154:155], -v[138:139]
	s_wait_loadcnt_dscnt 0x100
	v_mul_f64_e32 v[130:131], v[4:5], v[164:165]
	v_mul_f64_e32 v[134:135], v[6:7], v[164:165]
	v_add_f64_e32 v[10:11], v[126:127], v[140:141]
	v_add_f64_e32 v[126:127], v[128:129], v[132:133]
	s_delay_alu instid0(VALU_DEP_4) | instskip(NEXT) | instid1(VALU_DEP_4)
	v_fmac_f64_e32 v[130:131], v[6:7], v[162:163]
	v_fma_f64 v[4:5], v[4:5], v[162:163], -v[134:135]
	s_delay_alu instid0(VALU_DEP_4) | instskip(NEXT) | instid1(VALU_DEP_4)
	v_add_f64_e32 v[6:7], v[10:11], v[8:9]
	v_add_f64_e32 v[8:9], v[126:127], v[136:137]
	s_delay_alu instid0(VALU_DEP_2) | instskip(NEXT) | instid1(VALU_DEP_2)
	v_add_f64_e32 v[4:5], v[6:7], v[4:5]
	v_add_f64_e32 v[6:7], v[8:9], v[130:131]
	s_wait_loadcnt 0x0
	s_delay_alu instid0(VALU_DEP_2) | instskip(NEXT) | instid1(VALU_DEP_2)
	v_add_f64_e64 v[4:5], v[166:167], -v[4:5]
	v_add_f64_e64 v[6:7], v[168:169], -v[6:7]
	scratch_store_b128 off, v[4:7], off offset:704
	s_wait_xcnt 0x0
	v_cmpx_lt_u32_e32 43, v1
	s_cbranch_execz .LBB119_263
; %bb.262:
	scratch_load_b128 v[6:9], off, s28
	v_dual_mov_b32 v3, v2 :: v_dual_mov_b32 v4, v2
	v_mov_b32_e32 v5, v2
	scratch_store_b128 off, v[2:5], off offset:688
	s_wait_loadcnt 0x0
	ds_store_b128 v12, v[6:9]
.LBB119_263:
	s_wait_xcnt 0x0
	s_or_b32 exec_lo, exec_lo, s2
	s_wait_storecnt_dscnt 0x0
	s_barrier_signal -1
	s_barrier_wait -1
	s_clause 0x9
	scratch_load_b128 v[4:7], off, off offset:704
	scratch_load_b128 v[8:11], off, off offset:720
	;; [unrolled: 1-line block ×10, first 2 shown]
	ds_load_b128 v[158:161], v2 offset:1600
	ds_load_b128 v[166:169], v2 offset:1616
	s_clause 0x2
	scratch_load_b128 v[162:165], off, off offset:864
	scratch_load_b128 v[170:173], off, off offset:688
	;; [unrolled: 1-line block ×3, first 2 shown]
	s_mov_b32 s2, exec_lo
	s_wait_loadcnt_dscnt 0xc01
	v_mul_f64_e32 v[178:179], v[160:161], v[6:7]
	v_mul_f64_e32 v[180:181], v[158:159], v[6:7]
	s_wait_loadcnt_dscnt 0xb00
	v_mul_f64_e32 v[182:183], v[166:167], v[10:11]
	v_mul_f64_e32 v[10:11], v[168:169], v[10:11]
	s_delay_alu instid0(VALU_DEP_4) | instskip(NEXT) | instid1(VALU_DEP_4)
	v_fma_f64 v[178:179], v[158:159], v[4:5], -v[178:179]
	v_fmac_f64_e32 v[180:181], v[160:161], v[4:5]
	ds_load_b128 v[4:7], v2 offset:1632
	ds_load_b128 v[158:161], v2 offset:1648
	v_fmac_f64_e32 v[182:183], v[168:169], v[8:9]
	v_fma_f64 v[8:9], v[166:167], v[8:9], -v[10:11]
	s_wait_loadcnt_dscnt 0xa01
	v_mul_f64_e32 v[184:185], v[4:5], v[128:129]
	v_mul_f64_e32 v[128:129], v[6:7], v[128:129]
	s_wait_loadcnt_dscnt 0x900
	v_mul_f64_e32 v[168:169], v[158:159], v[132:133]
	v_mul_f64_e32 v[132:133], v[160:161], v[132:133]
	v_add_f64_e32 v[10:11], 0, v[178:179]
	v_add_f64_e32 v[166:167], 0, v[180:181]
	v_fmac_f64_e32 v[184:185], v[6:7], v[126:127]
	v_fma_f64 v[126:127], v[4:5], v[126:127], -v[128:129]
	v_fmac_f64_e32 v[168:169], v[160:161], v[130:131]
	v_fma_f64 v[130:131], v[158:159], v[130:131], -v[132:133]
	v_add_f64_e32 v[128:129], v[10:11], v[8:9]
	v_add_f64_e32 v[166:167], v[166:167], v[182:183]
	ds_load_b128 v[4:7], v2 offset:1664
	ds_load_b128 v[8:11], v2 offset:1680
	s_wait_loadcnt_dscnt 0x801
	v_mul_f64_e32 v[178:179], v[4:5], v[136:137]
	v_mul_f64_e32 v[136:137], v[6:7], v[136:137]
	s_wait_loadcnt_dscnt 0x700
	v_mul_f64_e32 v[132:133], v[8:9], v[140:141]
	v_mul_f64_e32 v[140:141], v[10:11], v[140:141]
	v_add_f64_e32 v[126:127], v[128:129], v[126:127]
	v_add_f64_e32 v[128:129], v[166:167], v[184:185]
	v_fmac_f64_e32 v[178:179], v[6:7], v[134:135]
	v_fma_f64 v[134:135], v[4:5], v[134:135], -v[136:137]
	v_fmac_f64_e32 v[132:133], v[10:11], v[138:139]
	v_fma_f64 v[8:9], v[8:9], v[138:139], -v[140:141]
	v_add_f64_e32 v[130:131], v[126:127], v[130:131]
	v_add_f64_e32 v[136:137], v[128:129], v[168:169]
	ds_load_b128 v[4:7], v2 offset:1696
	ds_load_b128 v[126:129], v2 offset:1712
	s_wait_loadcnt_dscnt 0x601
	v_mul_f64_e32 v[158:159], v[4:5], v[144:145]
	v_mul_f64_e32 v[144:145], v[6:7], v[144:145]
	v_add_f64_e32 v[10:11], v[130:131], v[134:135]
	v_add_f64_e32 v[130:131], v[136:137], v[178:179]
	s_wait_loadcnt_dscnt 0x500
	v_mul_f64_e32 v[134:135], v[126:127], v[148:149]
	v_mul_f64_e32 v[136:137], v[128:129], v[148:149]
	v_fmac_f64_e32 v[158:159], v[6:7], v[142:143]
	v_fma_f64 v[138:139], v[4:5], v[142:143], -v[144:145]
	v_add_f64_e32 v[140:141], v[10:11], v[8:9]
	v_add_f64_e32 v[130:131], v[130:131], v[132:133]
	ds_load_b128 v[4:7], v2 offset:1728
	ds_load_b128 v[8:11], v2 offset:1744
	v_fmac_f64_e32 v[134:135], v[128:129], v[146:147]
	v_fma_f64 v[126:127], v[126:127], v[146:147], -v[136:137]
	s_wait_loadcnt_dscnt 0x401
	v_mul_f64_e32 v[132:133], v[4:5], v[152:153]
	v_mul_f64_e32 v[142:143], v[6:7], v[152:153]
	s_wait_loadcnt_dscnt 0x300
	v_mul_f64_e32 v[136:137], v[8:9], v[156:157]
	v_add_f64_e32 v[128:129], v[140:141], v[138:139]
	v_add_f64_e32 v[130:131], v[130:131], v[158:159]
	v_mul_f64_e32 v[138:139], v[10:11], v[156:157]
	v_fmac_f64_e32 v[132:133], v[6:7], v[150:151]
	v_fma_f64 v[140:141], v[4:5], v[150:151], -v[142:143]
	v_fmac_f64_e32 v[136:137], v[10:11], v[154:155]
	v_add_f64_e32 v[142:143], v[128:129], v[126:127]
	v_add_f64_e32 v[130:131], v[130:131], v[134:135]
	ds_load_b128 v[4:7], v2 offset:1760
	ds_load_b128 v[126:129], v2 offset:1776
	v_fma_f64 v[8:9], v[8:9], v[154:155], -v[138:139]
	s_wait_loadcnt_dscnt 0x201
	v_mul_f64_e32 v[2:3], v[4:5], v[164:165]
	v_mul_f64_e32 v[134:135], v[6:7], v[164:165]
	s_wait_loadcnt_dscnt 0x0
	v_mul_f64_e32 v[138:139], v[128:129], v[176:177]
	v_add_f64_e32 v[10:11], v[142:143], v[140:141]
	v_add_f64_e32 v[130:131], v[130:131], v[132:133]
	v_mul_f64_e32 v[132:133], v[126:127], v[176:177]
	v_fmac_f64_e32 v[2:3], v[6:7], v[162:163]
	v_fma_f64 v[4:5], v[4:5], v[162:163], -v[134:135]
	v_add_f64_e32 v[6:7], v[10:11], v[8:9]
	v_add_f64_e32 v[8:9], v[130:131], v[136:137]
	v_fmac_f64_e32 v[132:133], v[128:129], v[174:175]
	v_fma_f64 v[10:11], v[126:127], v[174:175], -v[138:139]
	s_delay_alu instid0(VALU_DEP_4) | instskip(NEXT) | instid1(VALU_DEP_4)
	v_add_f64_e32 v[4:5], v[6:7], v[4:5]
	v_add_f64_e32 v[2:3], v[8:9], v[2:3]
	s_delay_alu instid0(VALU_DEP_2) | instskip(NEXT) | instid1(VALU_DEP_2)
	v_add_f64_e32 v[4:5], v[4:5], v[10:11]
	v_add_f64_e32 v[6:7], v[2:3], v[132:133]
	s_delay_alu instid0(VALU_DEP_2) | instskip(NEXT) | instid1(VALU_DEP_2)
	v_add_f64_e64 v[2:3], v[170:171], -v[4:5]
	v_add_f64_e64 v[4:5], v[172:173], -v[6:7]
	scratch_store_b128 off, v[2:5], off offset:688
	s_wait_xcnt 0x0
	v_cmpx_lt_u32_e32 42, v1
	s_cbranch_execz .LBB119_265
; %bb.264:
	scratch_load_b128 v[2:5], off, s29
	v_mov_b32_e32 v6, 0
	s_delay_alu instid0(VALU_DEP_1)
	v_dual_mov_b32 v7, v6 :: v_dual_mov_b32 v8, v6
	v_mov_b32_e32 v9, v6
	scratch_store_b128 off, v[6:9], off offset:672
	s_wait_loadcnt 0x0
	ds_store_b128 v12, v[2:5]
.LBB119_265:
	s_wait_xcnt 0x0
	s_or_b32 exec_lo, exec_lo, s2
	s_wait_storecnt_dscnt 0x0
	s_barrier_signal -1
	s_barrier_wait -1
	s_clause 0x9
	scratch_load_b128 v[4:7], off, off offset:688
	scratch_load_b128 v[8:11], off, off offset:704
	;; [unrolled: 1-line block ×10, first 2 shown]
	v_mov_b32_e32 v2, 0
	s_mov_b32 s2, exec_lo
	ds_load_b128 v[158:161], v2 offset:1584
	s_clause 0x2
	scratch_load_b128 v[162:165], off, off offset:848
	scratch_load_b128 v[166:169], off, off offset:672
	;; [unrolled: 1-line block ×3, first 2 shown]
	s_wait_loadcnt_dscnt 0xc00
	v_mul_f64_e32 v[178:179], v[160:161], v[6:7]
	v_mul_f64_e32 v[182:183], v[158:159], v[6:7]
	ds_load_b128 v[170:173], v2 offset:1600
	v_fma_f64 v[186:187], v[158:159], v[4:5], -v[178:179]
	v_fmac_f64_e32 v[182:183], v[160:161], v[4:5]
	ds_load_b128 v[4:7], v2 offset:1616
	s_wait_loadcnt_dscnt 0xb01
	v_mul_f64_e32 v[184:185], v[170:171], v[10:11]
	v_mul_f64_e32 v[10:11], v[172:173], v[10:11]
	scratch_load_b128 v[158:161], off, off offset:880
	ds_load_b128 v[178:181], v2 offset:1632
	s_wait_loadcnt_dscnt 0xb01
	v_mul_f64_e32 v[188:189], v[4:5], v[128:129]
	v_mul_f64_e32 v[128:129], v[6:7], v[128:129]
	v_fmac_f64_e32 v[184:185], v[172:173], v[8:9]
	v_fma_f64 v[8:9], v[170:171], v[8:9], -v[10:11]
	v_add_f64_e32 v[10:11], 0, v[186:187]
	v_add_f64_e32 v[170:171], 0, v[182:183]
	s_wait_loadcnt_dscnt 0xa00
	v_mul_f64_e32 v[172:173], v[178:179], v[132:133]
	v_mul_f64_e32 v[132:133], v[180:181], v[132:133]
	v_fmac_f64_e32 v[188:189], v[6:7], v[126:127]
	v_fma_f64 v[126:127], v[4:5], v[126:127], -v[128:129]
	v_add_f64_e32 v[128:129], v[10:11], v[8:9]
	v_add_f64_e32 v[170:171], v[170:171], v[184:185]
	ds_load_b128 v[4:7], v2 offset:1648
	ds_load_b128 v[8:11], v2 offset:1664
	v_fmac_f64_e32 v[172:173], v[180:181], v[130:131]
	v_fma_f64 v[130:131], v[178:179], v[130:131], -v[132:133]
	s_wait_loadcnt_dscnt 0x901
	v_mul_f64_e32 v[182:183], v[4:5], v[136:137]
	v_mul_f64_e32 v[136:137], v[6:7], v[136:137]
	s_wait_loadcnt_dscnt 0x800
	v_mul_f64_e32 v[132:133], v[8:9], v[140:141]
	v_mul_f64_e32 v[140:141], v[10:11], v[140:141]
	v_add_f64_e32 v[126:127], v[128:129], v[126:127]
	v_add_f64_e32 v[128:129], v[170:171], v[188:189]
	v_fmac_f64_e32 v[182:183], v[6:7], v[134:135]
	v_fma_f64 v[134:135], v[4:5], v[134:135], -v[136:137]
	v_fmac_f64_e32 v[132:133], v[10:11], v[138:139]
	v_fma_f64 v[8:9], v[8:9], v[138:139], -v[140:141]
	v_add_f64_e32 v[130:131], v[126:127], v[130:131]
	v_add_f64_e32 v[136:137], v[128:129], v[172:173]
	ds_load_b128 v[4:7], v2 offset:1680
	ds_load_b128 v[126:129], v2 offset:1696
	s_wait_loadcnt_dscnt 0x701
	v_mul_f64_e32 v[170:171], v[4:5], v[144:145]
	v_mul_f64_e32 v[144:145], v[6:7], v[144:145]
	v_add_f64_e32 v[10:11], v[130:131], v[134:135]
	v_add_f64_e32 v[130:131], v[136:137], v[182:183]
	s_wait_loadcnt_dscnt 0x600
	v_mul_f64_e32 v[134:135], v[126:127], v[148:149]
	v_mul_f64_e32 v[136:137], v[128:129], v[148:149]
	v_fmac_f64_e32 v[170:171], v[6:7], v[142:143]
	v_fma_f64 v[138:139], v[4:5], v[142:143], -v[144:145]
	v_add_f64_e32 v[140:141], v[10:11], v[8:9]
	v_add_f64_e32 v[130:131], v[130:131], v[132:133]
	ds_load_b128 v[4:7], v2 offset:1712
	ds_load_b128 v[8:11], v2 offset:1728
	v_fmac_f64_e32 v[134:135], v[128:129], v[146:147]
	v_fma_f64 v[126:127], v[126:127], v[146:147], -v[136:137]
	s_wait_loadcnt_dscnt 0x501
	v_mul_f64_e32 v[132:133], v[4:5], v[152:153]
	v_mul_f64_e32 v[142:143], v[6:7], v[152:153]
	s_wait_loadcnt_dscnt 0x400
	v_mul_f64_e32 v[136:137], v[8:9], v[156:157]
	v_add_f64_e32 v[128:129], v[140:141], v[138:139]
	v_add_f64_e32 v[130:131], v[130:131], v[170:171]
	v_mul_f64_e32 v[138:139], v[10:11], v[156:157]
	v_fmac_f64_e32 v[132:133], v[6:7], v[150:151]
	v_fma_f64 v[140:141], v[4:5], v[150:151], -v[142:143]
	v_fmac_f64_e32 v[136:137], v[10:11], v[154:155]
	v_add_f64_e32 v[142:143], v[128:129], v[126:127]
	v_add_f64_e32 v[130:131], v[130:131], v[134:135]
	ds_load_b128 v[4:7], v2 offset:1744
	ds_load_b128 v[126:129], v2 offset:1760
	v_fma_f64 v[8:9], v[8:9], v[154:155], -v[138:139]
	s_wait_loadcnt_dscnt 0x301
	v_mul_f64_e32 v[134:135], v[4:5], v[164:165]
	v_mul_f64_e32 v[144:145], v[6:7], v[164:165]
	s_wait_loadcnt_dscnt 0x100
	v_mul_f64_e32 v[138:139], v[128:129], v[176:177]
	v_add_f64_e32 v[10:11], v[142:143], v[140:141]
	v_add_f64_e32 v[130:131], v[130:131], v[132:133]
	v_mul_f64_e32 v[132:133], v[126:127], v[176:177]
	v_fmac_f64_e32 v[134:135], v[6:7], v[162:163]
	v_fma_f64 v[140:141], v[4:5], v[162:163], -v[144:145]
	ds_load_b128 v[4:7], v2 offset:1776
	v_fma_f64 v[126:127], v[126:127], v[174:175], -v[138:139]
	v_add_f64_e32 v[8:9], v[10:11], v[8:9]
	v_add_f64_e32 v[10:11], v[130:131], v[136:137]
	v_fmac_f64_e32 v[132:133], v[128:129], v[174:175]
	s_wait_loadcnt_dscnt 0x0
	v_mul_f64_e32 v[130:131], v[4:5], v[160:161]
	v_mul_f64_e32 v[136:137], v[6:7], v[160:161]
	v_add_f64_e32 v[8:9], v[8:9], v[140:141]
	v_add_f64_e32 v[10:11], v[10:11], v[134:135]
	s_delay_alu instid0(VALU_DEP_4) | instskip(NEXT) | instid1(VALU_DEP_4)
	v_fmac_f64_e32 v[130:131], v[6:7], v[158:159]
	v_fma_f64 v[4:5], v[4:5], v[158:159], -v[136:137]
	s_delay_alu instid0(VALU_DEP_4) | instskip(NEXT) | instid1(VALU_DEP_4)
	v_add_f64_e32 v[6:7], v[8:9], v[126:127]
	v_add_f64_e32 v[8:9], v[10:11], v[132:133]
	s_delay_alu instid0(VALU_DEP_2) | instskip(NEXT) | instid1(VALU_DEP_2)
	v_add_f64_e32 v[4:5], v[6:7], v[4:5]
	v_add_f64_e32 v[6:7], v[8:9], v[130:131]
	s_delay_alu instid0(VALU_DEP_2) | instskip(NEXT) | instid1(VALU_DEP_2)
	v_add_f64_e64 v[4:5], v[166:167], -v[4:5]
	v_add_f64_e64 v[6:7], v[168:169], -v[6:7]
	scratch_store_b128 off, v[4:7], off offset:672
	s_wait_xcnt 0x0
	v_cmpx_lt_u32_e32 41, v1
	s_cbranch_execz .LBB119_267
; %bb.266:
	scratch_load_b128 v[6:9], off, s30
	v_dual_mov_b32 v3, v2 :: v_dual_mov_b32 v4, v2
	v_mov_b32_e32 v5, v2
	scratch_store_b128 off, v[2:5], off offset:656
	s_wait_loadcnt 0x0
	ds_store_b128 v12, v[6:9]
.LBB119_267:
	s_wait_xcnt 0x0
	s_or_b32 exec_lo, exec_lo, s2
	s_wait_storecnt_dscnt 0x0
	s_barrier_signal -1
	s_barrier_wait -1
	s_clause 0x9
	scratch_load_b128 v[4:7], off, off offset:672
	scratch_load_b128 v[8:11], off, off offset:688
	;; [unrolled: 1-line block ×10, first 2 shown]
	ds_load_b128 v[158:161], v2 offset:1568
	ds_load_b128 v[166:169], v2 offset:1584
	s_clause 0x2
	scratch_load_b128 v[162:165], off, off offset:832
	scratch_load_b128 v[170:173], off, off offset:656
	;; [unrolled: 1-line block ×3, first 2 shown]
	s_mov_b32 s2, exec_lo
	s_wait_loadcnt_dscnt 0xc01
	v_mul_f64_e32 v[178:179], v[160:161], v[6:7]
	v_mul_f64_e32 v[182:183], v[158:159], v[6:7]
	s_wait_loadcnt_dscnt 0xb00
	v_mul_f64_e32 v[184:185], v[166:167], v[10:11]
	v_mul_f64_e32 v[10:11], v[168:169], v[10:11]
	s_delay_alu instid0(VALU_DEP_4) | instskip(NEXT) | instid1(VALU_DEP_4)
	v_fma_f64 v[186:187], v[158:159], v[4:5], -v[178:179]
	v_fmac_f64_e32 v[182:183], v[160:161], v[4:5]
	ds_load_b128 v[4:7], v2 offset:1600
	ds_load_b128 v[158:161], v2 offset:1616
	scratch_load_b128 v[178:181], off, off offset:864
	v_fmac_f64_e32 v[184:185], v[168:169], v[8:9]
	v_fma_f64 v[166:167], v[166:167], v[8:9], -v[10:11]
	scratch_load_b128 v[8:11], off, off offset:880
	s_wait_loadcnt_dscnt 0xc01
	v_mul_f64_e32 v[188:189], v[4:5], v[128:129]
	v_mul_f64_e32 v[128:129], v[6:7], v[128:129]
	v_add_f64_e32 v[168:169], 0, v[186:187]
	v_add_f64_e32 v[182:183], 0, v[182:183]
	s_wait_loadcnt_dscnt 0xb00
	v_mul_f64_e32 v[186:187], v[158:159], v[132:133]
	v_mul_f64_e32 v[132:133], v[160:161], v[132:133]
	v_fmac_f64_e32 v[188:189], v[6:7], v[126:127]
	v_fma_f64 v[190:191], v[4:5], v[126:127], -v[128:129]
	ds_load_b128 v[4:7], v2 offset:1632
	ds_load_b128 v[126:129], v2 offset:1648
	v_add_f64_e32 v[166:167], v[168:169], v[166:167]
	v_add_f64_e32 v[168:169], v[182:183], v[184:185]
	v_fmac_f64_e32 v[186:187], v[160:161], v[130:131]
	v_fma_f64 v[130:131], v[158:159], v[130:131], -v[132:133]
	s_wait_loadcnt_dscnt 0xa01
	v_mul_f64_e32 v[182:183], v[4:5], v[136:137]
	v_mul_f64_e32 v[136:137], v[6:7], v[136:137]
	s_wait_loadcnt_dscnt 0x900
	v_mul_f64_e32 v[160:161], v[126:127], v[140:141]
	v_mul_f64_e32 v[140:141], v[128:129], v[140:141]
	v_add_f64_e32 v[132:133], v[166:167], v[190:191]
	v_add_f64_e32 v[158:159], v[168:169], v[188:189]
	v_fmac_f64_e32 v[182:183], v[6:7], v[134:135]
	v_fma_f64 v[134:135], v[4:5], v[134:135], -v[136:137]
	v_fmac_f64_e32 v[160:161], v[128:129], v[138:139]
	v_fma_f64 v[126:127], v[126:127], v[138:139], -v[140:141]
	v_add_f64_e32 v[136:137], v[132:133], v[130:131]
	v_add_f64_e32 v[158:159], v[158:159], v[186:187]
	ds_load_b128 v[4:7], v2 offset:1664
	ds_load_b128 v[130:133], v2 offset:1680
	s_wait_loadcnt_dscnt 0x801
	v_mul_f64_e32 v[166:167], v[4:5], v[144:145]
	v_mul_f64_e32 v[144:145], v[6:7], v[144:145]
	s_wait_loadcnt_dscnt 0x700
	v_mul_f64_e32 v[138:139], v[132:133], v[148:149]
	v_add_f64_e32 v[128:129], v[136:137], v[134:135]
	v_add_f64_e32 v[134:135], v[158:159], v[182:183]
	v_mul_f64_e32 v[136:137], v[130:131], v[148:149]
	v_fmac_f64_e32 v[166:167], v[6:7], v[142:143]
	v_fma_f64 v[140:141], v[4:5], v[142:143], -v[144:145]
	v_fma_f64 v[130:131], v[130:131], v[146:147], -v[138:139]
	v_add_f64_e32 v[142:143], v[128:129], v[126:127]
	v_add_f64_e32 v[134:135], v[134:135], v[160:161]
	ds_load_b128 v[4:7], v2 offset:1696
	ds_load_b128 v[126:129], v2 offset:1712
	v_fmac_f64_e32 v[136:137], v[132:133], v[146:147]
	s_wait_loadcnt_dscnt 0x601
	v_mul_f64_e32 v[144:145], v[4:5], v[152:153]
	v_mul_f64_e32 v[148:149], v[6:7], v[152:153]
	s_wait_loadcnt_dscnt 0x500
	v_mul_f64_e32 v[138:139], v[126:127], v[156:157]
	v_add_f64_e32 v[132:133], v[142:143], v[140:141]
	v_add_f64_e32 v[134:135], v[134:135], v[166:167]
	v_mul_f64_e32 v[140:141], v[128:129], v[156:157]
	v_fmac_f64_e32 v[144:145], v[6:7], v[150:151]
	v_fma_f64 v[142:143], v[4:5], v[150:151], -v[148:149]
	v_fmac_f64_e32 v[138:139], v[128:129], v[154:155]
	v_add_f64_e32 v[146:147], v[132:133], v[130:131]
	v_add_f64_e32 v[134:135], v[134:135], v[136:137]
	ds_load_b128 v[4:7], v2 offset:1728
	ds_load_b128 v[130:133], v2 offset:1744
	v_fma_f64 v[126:127], v[126:127], v[154:155], -v[140:141]
	s_wait_loadcnt_dscnt 0x401
	v_mul_f64_e32 v[136:137], v[4:5], v[164:165]
	v_mul_f64_e32 v[148:149], v[6:7], v[164:165]
	s_wait_loadcnt_dscnt 0x200
	v_mul_f64_e32 v[140:141], v[130:131], v[176:177]
	v_add_f64_e32 v[128:129], v[146:147], v[142:143]
	v_add_f64_e32 v[134:135], v[134:135], v[144:145]
	v_mul_f64_e32 v[142:143], v[132:133], v[176:177]
	v_fmac_f64_e32 v[136:137], v[6:7], v[162:163]
	v_fma_f64 v[144:145], v[4:5], v[162:163], -v[148:149]
	v_fmac_f64_e32 v[140:141], v[132:133], v[174:175]
	v_add_f64_e32 v[146:147], v[128:129], v[126:127]
	v_add_f64_e32 v[134:135], v[134:135], v[138:139]
	ds_load_b128 v[4:7], v2 offset:1760
	ds_load_b128 v[126:129], v2 offset:1776
	v_fma_f64 v[130:131], v[130:131], v[174:175], -v[142:143]
	s_wait_loadcnt_dscnt 0x101
	v_mul_f64_e32 v[2:3], v[4:5], v[180:181]
	v_mul_f64_e32 v[138:139], v[6:7], v[180:181]
	v_add_f64_e32 v[132:133], v[146:147], v[144:145]
	v_add_f64_e32 v[134:135], v[134:135], v[136:137]
	s_wait_loadcnt_dscnt 0x0
	v_mul_f64_e32 v[136:137], v[126:127], v[10:11]
	v_mul_f64_e32 v[10:11], v[128:129], v[10:11]
	v_fmac_f64_e32 v[2:3], v[6:7], v[178:179]
	v_fma_f64 v[4:5], v[4:5], v[178:179], -v[138:139]
	v_add_f64_e32 v[6:7], v[132:133], v[130:131]
	v_add_f64_e32 v[130:131], v[134:135], v[140:141]
	v_fmac_f64_e32 v[136:137], v[128:129], v[8:9]
	v_fma_f64 v[8:9], v[126:127], v[8:9], -v[10:11]
	s_delay_alu instid0(VALU_DEP_4) | instskip(NEXT) | instid1(VALU_DEP_4)
	v_add_f64_e32 v[4:5], v[6:7], v[4:5]
	v_add_f64_e32 v[2:3], v[130:131], v[2:3]
	s_delay_alu instid0(VALU_DEP_2) | instskip(NEXT) | instid1(VALU_DEP_2)
	v_add_f64_e32 v[4:5], v[4:5], v[8:9]
	v_add_f64_e32 v[6:7], v[2:3], v[136:137]
	s_delay_alu instid0(VALU_DEP_2) | instskip(NEXT) | instid1(VALU_DEP_2)
	v_add_f64_e64 v[2:3], v[170:171], -v[4:5]
	v_add_f64_e64 v[4:5], v[172:173], -v[6:7]
	scratch_store_b128 off, v[2:5], off offset:656
	s_wait_xcnt 0x0
	v_cmpx_lt_u32_e32 40, v1
	s_cbranch_execz .LBB119_269
; %bb.268:
	scratch_load_b128 v[2:5], off, s31
	v_mov_b32_e32 v6, 0
	s_delay_alu instid0(VALU_DEP_1)
	v_dual_mov_b32 v7, v6 :: v_dual_mov_b32 v8, v6
	v_mov_b32_e32 v9, v6
	scratch_store_b128 off, v[6:9], off offset:640
	s_wait_loadcnt 0x0
	ds_store_b128 v12, v[2:5]
.LBB119_269:
	s_wait_xcnt 0x0
	s_or_b32 exec_lo, exec_lo, s2
	s_wait_storecnt_dscnt 0x0
	s_barrier_signal -1
	s_barrier_wait -1
	s_clause 0x9
	scratch_load_b128 v[4:7], off, off offset:656
	scratch_load_b128 v[8:11], off, off offset:672
	scratch_load_b128 v[126:129], off, off offset:688
	scratch_load_b128 v[130:133], off, off offset:704
	scratch_load_b128 v[134:137], off, off offset:720
	scratch_load_b128 v[138:141], off, off offset:736
	scratch_load_b128 v[142:145], off, off offset:752
	scratch_load_b128 v[146:149], off, off offset:768
	scratch_load_b128 v[150:153], off, off offset:784
	scratch_load_b128 v[154:157], off, off offset:800
	v_mov_b32_e32 v2, 0
	s_mov_b32 s2, exec_lo
	ds_load_b128 v[158:161], v2 offset:1552
	s_clause 0x2
	scratch_load_b128 v[162:165], off, off offset:816
	scratch_load_b128 v[166:169], off, off offset:640
	;; [unrolled: 1-line block ×3, first 2 shown]
	s_wait_loadcnt_dscnt 0xc00
	v_mul_f64_e32 v[178:179], v[160:161], v[6:7]
	v_mul_f64_e32 v[182:183], v[158:159], v[6:7]
	ds_load_b128 v[170:173], v2 offset:1568
	v_fma_f64 v[186:187], v[158:159], v[4:5], -v[178:179]
	v_fmac_f64_e32 v[182:183], v[160:161], v[4:5]
	ds_load_b128 v[4:7], v2 offset:1584
	s_wait_loadcnt_dscnt 0xb01
	v_mul_f64_e32 v[184:185], v[170:171], v[10:11]
	v_mul_f64_e32 v[10:11], v[172:173], v[10:11]
	scratch_load_b128 v[158:161], off, off offset:848
	ds_load_b128 v[178:181], v2 offset:1600
	s_wait_loadcnt_dscnt 0xb01
	v_mul_f64_e32 v[188:189], v[4:5], v[128:129]
	v_mul_f64_e32 v[128:129], v[6:7], v[128:129]
	v_add_f64_e32 v[182:183], 0, v[182:183]
	v_fmac_f64_e32 v[184:185], v[172:173], v[8:9]
	v_fma_f64 v[170:171], v[170:171], v[8:9], -v[10:11]
	v_add_f64_e32 v[172:173], 0, v[186:187]
	scratch_load_b128 v[8:11], off, off offset:864
	v_fmac_f64_e32 v[188:189], v[6:7], v[126:127]
	v_fma_f64 v[190:191], v[4:5], v[126:127], -v[128:129]
	ds_load_b128 v[4:7], v2 offset:1616
	s_wait_loadcnt_dscnt 0xb01
	v_mul_f64_e32 v[186:187], v[178:179], v[132:133]
	v_mul_f64_e32 v[132:133], v[180:181], v[132:133]
	scratch_load_b128 v[126:129], off, off offset:880
	v_add_f64_e32 v[182:183], v[182:183], v[184:185]
	v_add_f64_e32 v[192:193], v[172:173], v[170:171]
	ds_load_b128 v[170:173], v2 offset:1632
	s_wait_loadcnt_dscnt 0xb01
	v_mul_f64_e32 v[184:185], v[4:5], v[136:137]
	v_mul_f64_e32 v[136:137], v[6:7], v[136:137]
	v_fmac_f64_e32 v[186:187], v[180:181], v[130:131]
	v_fma_f64 v[130:131], v[178:179], v[130:131], -v[132:133]
	s_wait_loadcnt_dscnt 0xa00
	v_mul_f64_e32 v[180:181], v[170:171], v[140:141]
	v_mul_f64_e32 v[140:141], v[172:173], v[140:141]
	v_add_f64_e32 v[178:179], v[182:183], v[188:189]
	v_add_f64_e32 v[132:133], v[192:193], v[190:191]
	v_fmac_f64_e32 v[184:185], v[6:7], v[134:135]
	v_fma_f64 v[134:135], v[4:5], v[134:135], -v[136:137]
	v_fmac_f64_e32 v[180:181], v[172:173], v[138:139]
	v_fma_f64 v[138:139], v[170:171], v[138:139], -v[140:141]
	v_add_f64_e32 v[178:179], v[178:179], v[186:187]
	v_add_f64_e32 v[136:137], v[132:133], v[130:131]
	ds_load_b128 v[4:7], v2 offset:1648
	ds_load_b128 v[130:133], v2 offset:1664
	s_wait_loadcnt_dscnt 0x901
	v_mul_f64_e32 v[182:183], v[4:5], v[144:145]
	v_mul_f64_e32 v[144:145], v[6:7], v[144:145]
	s_wait_loadcnt_dscnt 0x800
	v_mul_f64_e32 v[140:141], v[130:131], v[148:149]
	v_mul_f64_e32 v[148:149], v[132:133], v[148:149]
	v_add_f64_e32 v[134:135], v[136:137], v[134:135]
	v_add_f64_e32 v[136:137], v[178:179], v[184:185]
	v_fmac_f64_e32 v[182:183], v[6:7], v[142:143]
	v_fma_f64 v[142:143], v[4:5], v[142:143], -v[144:145]
	v_fmac_f64_e32 v[140:141], v[132:133], v[146:147]
	v_fma_f64 v[130:131], v[130:131], v[146:147], -v[148:149]
	v_add_f64_e32 v[138:139], v[134:135], v[138:139]
	v_add_f64_e32 v[144:145], v[136:137], v[180:181]
	ds_load_b128 v[4:7], v2 offset:1680
	ds_load_b128 v[134:137], v2 offset:1696
	s_wait_loadcnt_dscnt 0x701
	v_mul_f64_e32 v[170:171], v[4:5], v[152:153]
	v_mul_f64_e32 v[152:153], v[6:7], v[152:153]
	v_add_f64_e32 v[132:133], v[138:139], v[142:143]
	v_add_f64_e32 v[138:139], v[144:145], v[182:183]
	s_wait_loadcnt_dscnt 0x600
	v_mul_f64_e32 v[142:143], v[134:135], v[156:157]
	v_mul_f64_e32 v[144:145], v[136:137], v[156:157]
	v_fmac_f64_e32 v[170:171], v[6:7], v[150:151]
	v_fma_f64 v[146:147], v[4:5], v[150:151], -v[152:153]
	v_add_f64_e32 v[148:149], v[132:133], v[130:131]
	v_add_f64_e32 v[138:139], v[138:139], v[140:141]
	ds_load_b128 v[4:7], v2 offset:1712
	ds_load_b128 v[130:133], v2 offset:1728
	v_fmac_f64_e32 v[142:143], v[136:137], v[154:155]
	v_fma_f64 v[134:135], v[134:135], v[154:155], -v[144:145]
	s_wait_loadcnt_dscnt 0x501
	v_mul_f64_e32 v[140:141], v[4:5], v[164:165]
	v_mul_f64_e32 v[150:151], v[6:7], v[164:165]
	s_wait_loadcnt_dscnt 0x300
	v_mul_f64_e32 v[144:145], v[130:131], v[176:177]
	v_add_f64_e32 v[136:137], v[148:149], v[146:147]
	v_add_f64_e32 v[138:139], v[138:139], v[170:171]
	v_mul_f64_e32 v[146:147], v[132:133], v[176:177]
	v_fmac_f64_e32 v[140:141], v[6:7], v[162:163]
	v_fma_f64 v[148:149], v[4:5], v[162:163], -v[150:151]
	v_fmac_f64_e32 v[144:145], v[132:133], v[174:175]
	v_add_f64_e32 v[150:151], v[136:137], v[134:135]
	v_add_f64_e32 v[138:139], v[138:139], v[142:143]
	ds_load_b128 v[4:7], v2 offset:1744
	ds_load_b128 v[134:137], v2 offset:1760
	v_fma_f64 v[130:131], v[130:131], v[174:175], -v[146:147]
	s_wait_loadcnt_dscnt 0x201
	v_mul_f64_e32 v[142:143], v[4:5], v[160:161]
	v_mul_f64_e32 v[152:153], v[6:7], v[160:161]
	v_add_f64_e32 v[132:133], v[150:151], v[148:149]
	v_add_f64_e32 v[138:139], v[138:139], v[140:141]
	s_wait_loadcnt_dscnt 0x100
	v_mul_f64_e32 v[140:141], v[134:135], v[10:11]
	v_mul_f64_e32 v[10:11], v[136:137], v[10:11]
	v_fmac_f64_e32 v[142:143], v[6:7], v[158:159]
	v_fma_f64 v[146:147], v[4:5], v[158:159], -v[152:153]
	ds_load_b128 v[4:7], v2 offset:1776
	v_add_f64_e32 v[130:131], v[132:133], v[130:131]
	v_add_f64_e32 v[132:133], v[138:139], v[144:145]
	v_fmac_f64_e32 v[140:141], v[136:137], v[8:9]
	v_fma_f64 v[8:9], v[134:135], v[8:9], -v[10:11]
	s_wait_loadcnt_dscnt 0x0
	v_mul_f64_e32 v[138:139], v[4:5], v[128:129]
	v_mul_f64_e32 v[128:129], v[6:7], v[128:129]
	v_add_f64_e32 v[10:11], v[130:131], v[146:147]
	v_add_f64_e32 v[130:131], v[132:133], v[142:143]
	s_delay_alu instid0(VALU_DEP_4) | instskip(NEXT) | instid1(VALU_DEP_4)
	v_fmac_f64_e32 v[138:139], v[6:7], v[126:127]
	v_fma_f64 v[4:5], v[4:5], v[126:127], -v[128:129]
	s_delay_alu instid0(VALU_DEP_4) | instskip(NEXT) | instid1(VALU_DEP_4)
	v_add_f64_e32 v[6:7], v[10:11], v[8:9]
	v_add_f64_e32 v[8:9], v[130:131], v[140:141]
	s_delay_alu instid0(VALU_DEP_2) | instskip(NEXT) | instid1(VALU_DEP_2)
	v_add_f64_e32 v[4:5], v[6:7], v[4:5]
	v_add_f64_e32 v[6:7], v[8:9], v[138:139]
	s_delay_alu instid0(VALU_DEP_2) | instskip(NEXT) | instid1(VALU_DEP_2)
	v_add_f64_e64 v[4:5], v[166:167], -v[4:5]
	v_add_f64_e64 v[6:7], v[168:169], -v[6:7]
	scratch_store_b128 off, v[4:7], off offset:640
	s_wait_xcnt 0x0
	v_cmpx_lt_u32_e32 39, v1
	s_cbranch_execz .LBB119_271
; %bb.270:
	scratch_load_b128 v[6:9], off, s33
	v_dual_mov_b32 v3, v2 :: v_dual_mov_b32 v4, v2
	v_mov_b32_e32 v5, v2
	scratch_store_b128 off, v[2:5], off offset:624
	s_wait_loadcnt 0x0
	ds_store_b128 v12, v[6:9]
.LBB119_271:
	s_wait_xcnt 0x0
	s_or_b32 exec_lo, exec_lo, s2
	s_wait_storecnt_dscnt 0x0
	s_barrier_signal -1
	s_barrier_wait -1
	s_clause 0x9
	scratch_load_b128 v[4:7], off, off offset:640
	scratch_load_b128 v[8:11], off, off offset:656
	scratch_load_b128 v[126:129], off, off offset:672
	scratch_load_b128 v[130:133], off, off offset:688
	scratch_load_b128 v[134:137], off, off offset:704
	scratch_load_b128 v[138:141], off, off offset:720
	scratch_load_b128 v[142:145], off, off offset:736
	scratch_load_b128 v[146:149], off, off offset:752
	scratch_load_b128 v[150:153], off, off offset:768
	scratch_load_b128 v[154:157], off, off offset:784
	ds_load_b128 v[158:161], v2 offset:1536
	ds_load_b128 v[166:169], v2 offset:1552
	s_clause 0x2
	scratch_load_b128 v[162:165], off, off offset:800
	scratch_load_b128 v[170:173], off, off offset:624
	;; [unrolled: 1-line block ×3, first 2 shown]
	s_mov_b32 s2, exec_lo
	s_wait_loadcnt_dscnt 0xc01
	v_mul_f64_e32 v[178:179], v[160:161], v[6:7]
	v_mul_f64_e32 v[182:183], v[158:159], v[6:7]
	s_wait_loadcnt_dscnt 0xb00
	v_mul_f64_e32 v[184:185], v[166:167], v[10:11]
	v_mul_f64_e32 v[10:11], v[168:169], v[10:11]
	s_delay_alu instid0(VALU_DEP_4) | instskip(NEXT) | instid1(VALU_DEP_4)
	v_fma_f64 v[186:187], v[158:159], v[4:5], -v[178:179]
	v_fmac_f64_e32 v[182:183], v[160:161], v[4:5]
	ds_load_b128 v[4:7], v2 offset:1568
	ds_load_b128 v[158:161], v2 offset:1584
	scratch_load_b128 v[178:181], off, off offset:832
	v_fmac_f64_e32 v[184:185], v[168:169], v[8:9]
	v_fma_f64 v[166:167], v[166:167], v[8:9], -v[10:11]
	scratch_load_b128 v[8:11], off, off offset:848
	s_wait_loadcnt_dscnt 0xc01
	v_mul_f64_e32 v[188:189], v[4:5], v[128:129]
	v_mul_f64_e32 v[128:129], v[6:7], v[128:129]
	v_add_f64_e32 v[168:169], 0, v[186:187]
	v_add_f64_e32 v[182:183], 0, v[182:183]
	s_wait_loadcnt_dscnt 0xb00
	v_mul_f64_e32 v[186:187], v[158:159], v[132:133]
	v_mul_f64_e32 v[132:133], v[160:161], v[132:133]
	v_fmac_f64_e32 v[188:189], v[6:7], v[126:127]
	v_fma_f64 v[190:191], v[4:5], v[126:127], -v[128:129]
	ds_load_b128 v[4:7], v2 offset:1600
	ds_load_b128 v[126:129], v2 offset:1616
	v_add_f64_e32 v[192:193], v[168:169], v[166:167]
	v_add_f64_e32 v[182:183], v[182:183], v[184:185]
	scratch_load_b128 v[166:169], off, off offset:864
	v_fmac_f64_e32 v[186:187], v[160:161], v[130:131]
	v_fma_f64 v[158:159], v[158:159], v[130:131], -v[132:133]
	scratch_load_b128 v[130:133], off, off offset:880
	s_wait_loadcnt_dscnt 0xc01
	v_mul_f64_e32 v[184:185], v[4:5], v[136:137]
	v_mul_f64_e32 v[136:137], v[6:7], v[136:137]
	v_add_f64_e32 v[160:161], v[192:193], v[190:191]
	v_add_f64_e32 v[182:183], v[182:183], v[188:189]
	s_wait_loadcnt_dscnt 0xb00
	v_mul_f64_e32 v[188:189], v[126:127], v[140:141]
	v_mul_f64_e32 v[140:141], v[128:129], v[140:141]
	v_fmac_f64_e32 v[184:185], v[6:7], v[134:135]
	v_fma_f64 v[190:191], v[4:5], v[134:135], -v[136:137]
	ds_load_b128 v[4:7], v2 offset:1632
	ds_load_b128 v[134:137], v2 offset:1648
	v_add_f64_e32 v[158:159], v[160:161], v[158:159]
	v_add_f64_e32 v[160:161], v[182:183], v[186:187]
	s_wait_loadcnt_dscnt 0xa01
	v_mul_f64_e32 v[182:183], v[4:5], v[144:145]
	v_mul_f64_e32 v[144:145], v[6:7], v[144:145]
	v_fmac_f64_e32 v[188:189], v[128:129], v[138:139]
	v_fma_f64 v[126:127], v[126:127], v[138:139], -v[140:141]
	s_wait_loadcnt_dscnt 0x900
	v_mul_f64_e32 v[140:141], v[134:135], v[148:149]
	v_mul_f64_e32 v[148:149], v[136:137], v[148:149]
	v_add_f64_e32 v[128:129], v[158:159], v[190:191]
	v_add_f64_e32 v[138:139], v[160:161], v[184:185]
	v_fmac_f64_e32 v[182:183], v[6:7], v[142:143]
	v_fma_f64 v[142:143], v[4:5], v[142:143], -v[144:145]
	v_fmac_f64_e32 v[140:141], v[136:137], v[146:147]
	v_fma_f64 v[134:135], v[134:135], v[146:147], -v[148:149]
	v_add_f64_e32 v[144:145], v[128:129], v[126:127]
	v_add_f64_e32 v[138:139], v[138:139], v[188:189]
	ds_load_b128 v[4:7], v2 offset:1664
	ds_load_b128 v[126:129], v2 offset:1680
	s_wait_loadcnt_dscnt 0x801
	v_mul_f64_e32 v[158:159], v[4:5], v[152:153]
	v_mul_f64_e32 v[152:153], v[6:7], v[152:153]
	v_add_f64_e32 v[136:137], v[144:145], v[142:143]
	v_add_f64_e32 v[138:139], v[138:139], v[182:183]
	s_wait_loadcnt_dscnt 0x700
	v_mul_f64_e32 v[142:143], v[126:127], v[156:157]
	v_mul_f64_e32 v[144:145], v[128:129], v[156:157]
	v_fmac_f64_e32 v[158:159], v[6:7], v[150:151]
	v_fma_f64 v[146:147], v[4:5], v[150:151], -v[152:153]
	v_add_f64_e32 v[148:149], v[136:137], v[134:135]
	v_add_f64_e32 v[138:139], v[138:139], v[140:141]
	ds_load_b128 v[4:7], v2 offset:1696
	ds_load_b128 v[134:137], v2 offset:1712
	v_fmac_f64_e32 v[142:143], v[128:129], v[154:155]
	v_fma_f64 v[126:127], v[126:127], v[154:155], -v[144:145]
	s_wait_loadcnt_dscnt 0x601
	v_mul_f64_e32 v[140:141], v[4:5], v[164:165]
	v_mul_f64_e32 v[150:151], v[6:7], v[164:165]
	s_wait_loadcnt_dscnt 0x400
	v_mul_f64_e32 v[144:145], v[134:135], v[176:177]
	v_add_f64_e32 v[128:129], v[148:149], v[146:147]
	v_add_f64_e32 v[138:139], v[138:139], v[158:159]
	v_mul_f64_e32 v[146:147], v[136:137], v[176:177]
	v_fmac_f64_e32 v[140:141], v[6:7], v[162:163]
	v_fma_f64 v[148:149], v[4:5], v[162:163], -v[150:151]
	v_fmac_f64_e32 v[144:145], v[136:137], v[174:175]
	v_add_f64_e32 v[150:151], v[128:129], v[126:127]
	v_add_f64_e32 v[138:139], v[138:139], v[142:143]
	ds_load_b128 v[4:7], v2 offset:1728
	ds_load_b128 v[126:129], v2 offset:1744
	v_fma_f64 v[134:135], v[134:135], v[174:175], -v[146:147]
	s_wait_loadcnt_dscnt 0x301
	v_mul_f64_e32 v[142:143], v[4:5], v[180:181]
	v_mul_f64_e32 v[152:153], v[6:7], v[180:181]
	v_add_f64_e32 v[136:137], v[150:151], v[148:149]
	v_add_f64_e32 v[138:139], v[138:139], v[140:141]
	s_wait_loadcnt_dscnt 0x200
	v_mul_f64_e32 v[140:141], v[126:127], v[10:11]
	v_mul_f64_e32 v[10:11], v[128:129], v[10:11]
	v_fmac_f64_e32 v[142:143], v[6:7], v[178:179]
	v_fma_f64 v[146:147], v[4:5], v[178:179], -v[152:153]
	v_add_f64_e32 v[148:149], v[136:137], v[134:135]
	v_add_f64_e32 v[138:139], v[138:139], v[144:145]
	ds_load_b128 v[4:7], v2 offset:1760
	ds_load_b128 v[134:137], v2 offset:1776
	v_fmac_f64_e32 v[140:141], v[128:129], v[8:9]
	v_fma_f64 v[8:9], v[126:127], v[8:9], -v[10:11]
	s_wait_loadcnt_dscnt 0x101
	v_mul_f64_e32 v[2:3], v[4:5], v[168:169]
	v_mul_f64_e32 v[144:145], v[6:7], v[168:169]
	s_wait_loadcnt_dscnt 0x0
	v_mul_f64_e32 v[128:129], v[134:135], v[132:133]
	v_mul_f64_e32 v[132:133], v[136:137], v[132:133]
	v_add_f64_e32 v[10:11], v[148:149], v[146:147]
	v_add_f64_e32 v[126:127], v[138:139], v[142:143]
	v_fmac_f64_e32 v[2:3], v[6:7], v[166:167]
	v_fma_f64 v[4:5], v[4:5], v[166:167], -v[144:145]
	v_fmac_f64_e32 v[128:129], v[136:137], v[130:131]
	v_add_f64_e32 v[6:7], v[10:11], v[8:9]
	v_add_f64_e32 v[8:9], v[126:127], v[140:141]
	v_fma_f64 v[10:11], v[134:135], v[130:131], -v[132:133]
	s_delay_alu instid0(VALU_DEP_3) | instskip(NEXT) | instid1(VALU_DEP_3)
	v_add_f64_e32 v[4:5], v[6:7], v[4:5]
	v_add_f64_e32 v[2:3], v[8:9], v[2:3]
	s_delay_alu instid0(VALU_DEP_2) | instskip(NEXT) | instid1(VALU_DEP_2)
	v_add_f64_e32 v[4:5], v[4:5], v[10:11]
	v_add_f64_e32 v[6:7], v[2:3], v[128:129]
	s_delay_alu instid0(VALU_DEP_2) | instskip(NEXT) | instid1(VALU_DEP_2)
	v_add_f64_e64 v[2:3], v[170:171], -v[4:5]
	v_add_f64_e64 v[4:5], v[172:173], -v[6:7]
	scratch_store_b128 off, v[2:5], off offset:624
	s_wait_xcnt 0x0
	v_cmpx_lt_u32_e32 38, v1
	s_cbranch_execz .LBB119_273
; %bb.272:
	scratch_load_b128 v[2:5], off, s34
	v_mov_b32_e32 v6, 0
	s_delay_alu instid0(VALU_DEP_1)
	v_dual_mov_b32 v7, v6 :: v_dual_mov_b32 v8, v6
	v_mov_b32_e32 v9, v6
	scratch_store_b128 off, v[6:9], off offset:608
	s_wait_loadcnt 0x0
	ds_store_b128 v12, v[2:5]
.LBB119_273:
	s_wait_xcnt 0x0
	s_or_b32 exec_lo, exec_lo, s2
	s_wait_storecnt_dscnt 0x0
	s_barrier_signal -1
	s_barrier_wait -1
	s_clause 0x9
	scratch_load_b128 v[4:7], off, off offset:624
	scratch_load_b128 v[8:11], off, off offset:640
	;; [unrolled: 1-line block ×10, first 2 shown]
	v_mov_b32_e32 v2, 0
	s_mov_b32 s2, exec_lo
	ds_load_b128 v[158:161], v2 offset:1520
	s_clause 0x2
	scratch_load_b128 v[162:165], off, off offset:784
	scratch_load_b128 v[166:169], off, off offset:608
	;; [unrolled: 1-line block ×3, first 2 shown]
	s_wait_loadcnt_dscnt 0xc00
	v_mul_f64_e32 v[178:179], v[160:161], v[6:7]
	v_mul_f64_e32 v[182:183], v[158:159], v[6:7]
	ds_load_b128 v[170:173], v2 offset:1536
	v_fma_f64 v[186:187], v[158:159], v[4:5], -v[178:179]
	v_fmac_f64_e32 v[182:183], v[160:161], v[4:5]
	ds_load_b128 v[4:7], v2 offset:1552
	s_wait_loadcnt_dscnt 0xb01
	v_mul_f64_e32 v[184:185], v[170:171], v[10:11]
	v_mul_f64_e32 v[10:11], v[172:173], v[10:11]
	scratch_load_b128 v[158:161], off, off offset:816
	ds_load_b128 v[178:181], v2 offset:1568
	s_wait_loadcnt_dscnt 0xb01
	v_mul_f64_e32 v[188:189], v[4:5], v[128:129]
	v_mul_f64_e32 v[128:129], v[6:7], v[128:129]
	v_add_f64_e32 v[182:183], 0, v[182:183]
	v_fmac_f64_e32 v[184:185], v[172:173], v[8:9]
	v_fma_f64 v[170:171], v[170:171], v[8:9], -v[10:11]
	v_add_f64_e32 v[172:173], 0, v[186:187]
	scratch_load_b128 v[8:11], off, off offset:832
	v_fmac_f64_e32 v[188:189], v[6:7], v[126:127]
	v_fma_f64 v[190:191], v[4:5], v[126:127], -v[128:129]
	ds_load_b128 v[4:7], v2 offset:1584
	s_wait_loadcnt_dscnt 0xb01
	v_mul_f64_e32 v[186:187], v[178:179], v[132:133]
	v_mul_f64_e32 v[132:133], v[180:181], v[132:133]
	scratch_load_b128 v[126:129], off, off offset:848
	v_add_f64_e32 v[182:183], v[182:183], v[184:185]
	v_add_f64_e32 v[192:193], v[172:173], v[170:171]
	ds_load_b128 v[170:173], v2 offset:1600
	s_wait_loadcnt_dscnt 0xb01
	v_mul_f64_e32 v[184:185], v[4:5], v[136:137]
	v_mul_f64_e32 v[136:137], v[6:7], v[136:137]
	v_fmac_f64_e32 v[186:187], v[180:181], v[130:131]
	v_fma_f64 v[178:179], v[178:179], v[130:131], -v[132:133]
	scratch_load_b128 v[130:133], off, off offset:864
	v_add_f64_e32 v[182:183], v[182:183], v[188:189]
	v_add_f64_e32 v[180:181], v[192:193], v[190:191]
	v_fmac_f64_e32 v[184:185], v[6:7], v[134:135]
	v_fma_f64 v[190:191], v[4:5], v[134:135], -v[136:137]
	ds_load_b128 v[4:7], v2 offset:1616
	s_wait_loadcnt_dscnt 0xb01
	v_mul_f64_e32 v[188:189], v[170:171], v[140:141]
	v_mul_f64_e32 v[140:141], v[172:173], v[140:141]
	scratch_load_b128 v[134:137], off, off offset:880
	v_add_f64_e32 v[182:183], v[182:183], v[186:187]
	s_wait_loadcnt_dscnt 0xb00
	v_mul_f64_e32 v[186:187], v[4:5], v[144:145]
	v_add_f64_e32 v[192:193], v[180:181], v[178:179]
	v_mul_f64_e32 v[144:145], v[6:7], v[144:145]
	ds_load_b128 v[178:181], v2 offset:1632
	v_fmac_f64_e32 v[188:189], v[172:173], v[138:139]
	v_fma_f64 v[138:139], v[170:171], v[138:139], -v[140:141]
	s_wait_loadcnt_dscnt 0xa00
	v_mul_f64_e32 v[172:173], v[178:179], v[148:149]
	v_mul_f64_e32 v[148:149], v[180:181], v[148:149]
	v_add_f64_e32 v[170:171], v[182:183], v[184:185]
	v_fmac_f64_e32 v[186:187], v[6:7], v[142:143]
	v_add_f64_e32 v[140:141], v[192:193], v[190:191]
	v_fma_f64 v[142:143], v[4:5], v[142:143], -v[144:145]
	v_fmac_f64_e32 v[172:173], v[180:181], v[146:147]
	v_fma_f64 v[146:147], v[178:179], v[146:147], -v[148:149]
	v_add_f64_e32 v[170:171], v[170:171], v[188:189]
	v_add_f64_e32 v[144:145], v[140:141], v[138:139]
	ds_load_b128 v[4:7], v2 offset:1648
	ds_load_b128 v[138:141], v2 offset:1664
	s_wait_loadcnt_dscnt 0x901
	v_mul_f64_e32 v[182:183], v[4:5], v[152:153]
	v_mul_f64_e32 v[152:153], v[6:7], v[152:153]
	s_wait_loadcnt_dscnt 0x800
	v_mul_f64_e32 v[148:149], v[138:139], v[156:157]
	v_mul_f64_e32 v[156:157], v[140:141], v[156:157]
	v_add_f64_e32 v[142:143], v[144:145], v[142:143]
	v_add_f64_e32 v[144:145], v[170:171], v[186:187]
	v_fmac_f64_e32 v[182:183], v[6:7], v[150:151]
	v_fma_f64 v[150:151], v[4:5], v[150:151], -v[152:153]
	v_fmac_f64_e32 v[148:149], v[140:141], v[154:155]
	v_fma_f64 v[138:139], v[138:139], v[154:155], -v[156:157]
	v_add_f64_e32 v[146:147], v[142:143], v[146:147]
	v_add_f64_e32 v[152:153], v[144:145], v[172:173]
	ds_load_b128 v[4:7], v2 offset:1680
	ds_load_b128 v[142:145], v2 offset:1696
	s_wait_loadcnt_dscnt 0x701
	v_mul_f64_e32 v[170:171], v[4:5], v[164:165]
	v_mul_f64_e32 v[164:165], v[6:7], v[164:165]
	v_add_f64_e32 v[140:141], v[146:147], v[150:151]
	v_add_f64_e32 v[146:147], v[152:153], v[182:183]
	s_wait_loadcnt_dscnt 0x500
	v_mul_f64_e32 v[150:151], v[142:143], v[176:177]
	v_mul_f64_e32 v[152:153], v[144:145], v[176:177]
	v_fmac_f64_e32 v[170:171], v[6:7], v[162:163]
	v_fma_f64 v[154:155], v[4:5], v[162:163], -v[164:165]
	v_add_f64_e32 v[156:157], v[140:141], v[138:139]
	v_add_f64_e32 v[146:147], v[146:147], v[148:149]
	ds_load_b128 v[4:7], v2 offset:1712
	ds_load_b128 v[138:141], v2 offset:1728
	v_fmac_f64_e32 v[150:151], v[144:145], v[174:175]
	v_fma_f64 v[142:143], v[142:143], v[174:175], -v[152:153]
	s_wait_loadcnt_dscnt 0x401
	v_mul_f64_e32 v[148:149], v[4:5], v[160:161]
	v_mul_f64_e32 v[160:161], v[6:7], v[160:161]
	v_add_f64_e32 v[144:145], v[156:157], v[154:155]
	v_add_f64_e32 v[146:147], v[146:147], v[170:171]
	s_wait_loadcnt_dscnt 0x300
	v_mul_f64_e32 v[152:153], v[138:139], v[10:11]
	v_mul_f64_e32 v[10:11], v[140:141], v[10:11]
	v_fmac_f64_e32 v[148:149], v[6:7], v[158:159]
	v_fma_f64 v[154:155], v[4:5], v[158:159], -v[160:161]
	v_add_f64_e32 v[156:157], v[144:145], v[142:143]
	v_add_f64_e32 v[146:147], v[146:147], v[150:151]
	ds_load_b128 v[4:7], v2 offset:1744
	ds_load_b128 v[142:145], v2 offset:1760
	v_fmac_f64_e32 v[152:153], v[140:141], v[8:9]
	v_fma_f64 v[8:9], v[138:139], v[8:9], -v[10:11]
	s_wait_loadcnt_dscnt 0x201
	v_mul_f64_e32 v[150:151], v[4:5], v[128:129]
	v_mul_f64_e32 v[128:129], v[6:7], v[128:129]
	s_wait_loadcnt_dscnt 0x100
	v_mul_f64_e32 v[140:141], v[142:143], v[132:133]
	v_mul_f64_e32 v[132:133], v[144:145], v[132:133]
	v_add_f64_e32 v[10:11], v[156:157], v[154:155]
	v_add_f64_e32 v[138:139], v[146:147], v[148:149]
	v_fmac_f64_e32 v[150:151], v[6:7], v[126:127]
	v_fma_f64 v[126:127], v[4:5], v[126:127], -v[128:129]
	ds_load_b128 v[4:7], v2 offset:1776
	v_fmac_f64_e32 v[140:141], v[144:145], v[130:131]
	v_fma_f64 v[130:131], v[142:143], v[130:131], -v[132:133]
	v_add_f64_e32 v[8:9], v[10:11], v[8:9]
	v_add_f64_e32 v[10:11], v[138:139], v[152:153]
	s_wait_loadcnt_dscnt 0x0
	v_mul_f64_e32 v[128:129], v[4:5], v[136:137]
	v_mul_f64_e32 v[136:137], v[6:7], v[136:137]
	s_delay_alu instid0(VALU_DEP_4) | instskip(NEXT) | instid1(VALU_DEP_4)
	v_add_f64_e32 v[8:9], v[8:9], v[126:127]
	v_add_f64_e32 v[10:11], v[10:11], v[150:151]
	s_delay_alu instid0(VALU_DEP_4) | instskip(NEXT) | instid1(VALU_DEP_4)
	v_fmac_f64_e32 v[128:129], v[6:7], v[134:135]
	v_fma_f64 v[4:5], v[4:5], v[134:135], -v[136:137]
	s_delay_alu instid0(VALU_DEP_4) | instskip(NEXT) | instid1(VALU_DEP_4)
	v_add_f64_e32 v[6:7], v[8:9], v[130:131]
	v_add_f64_e32 v[8:9], v[10:11], v[140:141]
	s_delay_alu instid0(VALU_DEP_2) | instskip(NEXT) | instid1(VALU_DEP_2)
	v_add_f64_e32 v[4:5], v[6:7], v[4:5]
	v_add_f64_e32 v[6:7], v[8:9], v[128:129]
	s_delay_alu instid0(VALU_DEP_2) | instskip(NEXT) | instid1(VALU_DEP_2)
	v_add_f64_e64 v[4:5], v[166:167], -v[4:5]
	v_add_f64_e64 v[6:7], v[168:169], -v[6:7]
	scratch_store_b128 off, v[4:7], off offset:608
	s_wait_xcnt 0x0
	v_cmpx_lt_u32_e32 37, v1
	s_cbranch_execz .LBB119_275
; %bb.274:
	scratch_load_b128 v[6:9], off, s35
	v_dual_mov_b32 v3, v2 :: v_dual_mov_b32 v4, v2
	v_mov_b32_e32 v5, v2
	scratch_store_b128 off, v[2:5], off offset:592
	s_wait_loadcnt 0x0
	ds_store_b128 v12, v[6:9]
.LBB119_275:
	s_wait_xcnt 0x0
	s_or_b32 exec_lo, exec_lo, s2
	s_wait_storecnt_dscnt 0x0
	s_barrier_signal -1
	s_barrier_wait -1
	s_clause 0x9
	scratch_load_b128 v[4:7], off, off offset:608
	scratch_load_b128 v[8:11], off, off offset:624
	;; [unrolled: 1-line block ×10, first 2 shown]
	ds_load_b128 v[158:161], v2 offset:1504
	ds_load_b128 v[166:169], v2 offset:1520
	s_clause 0x2
	scratch_load_b128 v[162:165], off, off offset:768
	scratch_load_b128 v[170:173], off, off offset:592
	;; [unrolled: 1-line block ×3, first 2 shown]
	s_mov_b32 s2, exec_lo
	s_wait_loadcnt_dscnt 0xc01
	v_mul_f64_e32 v[178:179], v[160:161], v[6:7]
	v_mul_f64_e32 v[182:183], v[158:159], v[6:7]
	s_wait_loadcnt_dscnt 0xb00
	v_mul_f64_e32 v[184:185], v[166:167], v[10:11]
	v_mul_f64_e32 v[10:11], v[168:169], v[10:11]
	s_delay_alu instid0(VALU_DEP_4) | instskip(NEXT) | instid1(VALU_DEP_4)
	v_fma_f64 v[186:187], v[158:159], v[4:5], -v[178:179]
	v_fmac_f64_e32 v[182:183], v[160:161], v[4:5]
	ds_load_b128 v[4:7], v2 offset:1536
	ds_load_b128 v[158:161], v2 offset:1552
	scratch_load_b128 v[178:181], off, off offset:800
	v_fmac_f64_e32 v[184:185], v[168:169], v[8:9]
	v_fma_f64 v[166:167], v[166:167], v[8:9], -v[10:11]
	scratch_load_b128 v[8:11], off, off offset:816
	s_wait_loadcnt_dscnt 0xc01
	v_mul_f64_e32 v[188:189], v[4:5], v[128:129]
	v_mul_f64_e32 v[128:129], v[6:7], v[128:129]
	v_add_f64_e32 v[168:169], 0, v[186:187]
	v_add_f64_e32 v[182:183], 0, v[182:183]
	s_wait_loadcnt_dscnt 0xb00
	v_mul_f64_e32 v[186:187], v[158:159], v[132:133]
	v_mul_f64_e32 v[132:133], v[160:161], v[132:133]
	v_fmac_f64_e32 v[188:189], v[6:7], v[126:127]
	v_fma_f64 v[190:191], v[4:5], v[126:127], -v[128:129]
	ds_load_b128 v[4:7], v2 offset:1568
	ds_load_b128 v[126:129], v2 offset:1584
	v_add_f64_e32 v[192:193], v[168:169], v[166:167]
	v_add_f64_e32 v[182:183], v[182:183], v[184:185]
	scratch_load_b128 v[166:169], off, off offset:832
	v_fmac_f64_e32 v[186:187], v[160:161], v[130:131]
	v_fma_f64 v[158:159], v[158:159], v[130:131], -v[132:133]
	scratch_load_b128 v[130:133], off, off offset:848
	s_wait_loadcnt_dscnt 0xc01
	v_mul_f64_e32 v[184:185], v[4:5], v[136:137]
	v_mul_f64_e32 v[136:137], v[6:7], v[136:137]
	v_add_f64_e32 v[160:161], v[192:193], v[190:191]
	v_add_f64_e32 v[182:183], v[182:183], v[188:189]
	s_wait_loadcnt_dscnt 0xb00
	v_mul_f64_e32 v[188:189], v[126:127], v[140:141]
	v_mul_f64_e32 v[140:141], v[128:129], v[140:141]
	v_fmac_f64_e32 v[184:185], v[6:7], v[134:135]
	v_fma_f64 v[190:191], v[4:5], v[134:135], -v[136:137]
	ds_load_b128 v[4:7], v2 offset:1600
	ds_load_b128 v[134:137], v2 offset:1616
	v_add_f64_e32 v[192:193], v[160:161], v[158:159]
	v_add_f64_e32 v[182:183], v[182:183], v[186:187]
	scratch_load_b128 v[158:161], off, off offset:864
	s_wait_loadcnt_dscnt 0xb01
	v_mul_f64_e32 v[186:187], v[4:5], v[144:145]
	v_mul_f64_e32 v[144:145], v[6:7], v[144:145]
	v_fmac_f64_e32 v[188:189], v[128:129], v[138:139]
	v_fma_f64 v[138:139], v[126:127], v[138:139], -v[140:141]
	scratch_load_b128 v[126:129], off, off offset:880
	v_add_f64_e32 v[140:141], v[192:193], v[190:191]
	v_add_f64_e32 v[182:183], v[182:183], v[184:185]
	s_wait_loadcnt_dscnt 0xb00
	v_mul_f64_e32 v[184:185], v[134:135], v[148:149]
	v_mul_f64_e32 v[148:149], v[136:137], v[148:149]
	v_fmac_f64_e32 v[186:187], v[6:7], v[142:143]
	v_fma_f64 v[142:143], v[4:5], v[142:143], -v[144:145]
	v_add_f64_e32 v[144:145], v[140:141], v[138:139]
	v_add_f64_e32 v[182:183], v[182:183], v[188:189]
	ds_load_b128 v[4:7], v2 offset:1632
	ds_load_b128 v[138:141], v2 offset:1648
	v_fmac_f64_e32 v[184:185], v[136:137], v[146:147]
	v_fma_f64 v[134:135], v[134:135], v[146:147], -v[148:149]
	s_wait_loadcnt_dscnt 0xa01
	v_mul_f64_e32 v[188:189], v[4:5], v[152:153]
	v_mul_f64_e32 v[152:153], v[6:7], v[152:153]
	s_wait_loadcnt_dscnt 0x900
	v_mul_f64_e32 v[146:147], v[140:141], v[156:157]
	v_add_f64_e32 v[136:137], v[144:145], v[142:143]
	v_add_f64_e32 v[142:143], v[182:183], v[186:187]
	v_mul_f64_e32 v[144:145], v[138:139], v[156:157]
	v_fmac_f64_e32 v[188:189], v[6:7], v[150:151]
	v_fma_f64 v[148:149], v[4:5], v[150:151], -v[152:153]
	v_fma_f64 v[138:139], v[138:139], v[154:155], -v[146:147]
	v_add_f64_e32 v[150:151], v[136:137], v[134:135]
	v_add_f64_e32 v[142:143], v[142:143], v[184:185]
	ds_load_b128 v[4:7], v2 offset:1664
	ds_load_b128 v[134:137], v2 offset:1680
	v_fmac_f64_e32 v[144:145], v[140:141], v[154:155]
	s_wait_loadcnt_dscnt 0x801
	v_mul_f64_e32 v[152:153], v[4:5], v[164:165]
	v_mul_f64_e32 v[156:157], v[6:7], v[164:165]
	s_wait_loadcnt_dscnt 0x600
	v_mul_f64_e32 v[146:147], v[134:135], v[176:177]
	v_add_f64_e32 v[140:141], v[150:151], v[148:149]
	v_add_f64_e32 v[142:143], v[142:143], v[188:189]
	v_mul_f64_e32 v[148:149], v[136:137], v[176:177]
	v_fmac_f64_e32 v[152:153], v[6:7], v[162:163]
	v_fma_f64 v[150:151], v[4:5], v[162:163], -v[156:157]
	v_fmac_f64_e32 v[146:147], v[136:137], v[174:175]
	v_add_f64_e32 v[154:155], v[140:141], v[138:139]
	v_add_f64_e32 v[142:143], v[142:143], v[144:145]
	ds_load_b128 v[4:7], v2 offset:1696
	ds_load_b128 v[138:141], v2 offset:1712
	v_fma_f64 v[134:135], v[134:135], v[174:175], -v[148:149]
	s_wait_loadcnt_dscnt 0x501
	v_mul_f64_e32 v[144:145], v[4:5], v[180:181]
	v_mul_f64_e32 v[156:157], v[6:7], v[180:181]
	s_wait_loadcnt_dscnt 0x400
	v_mul_f64_e32 v[148:149], v[138:139], v[10:11]
	v_mul_f64_e32 v[10:11], v[140:141], v[10:11]
	v_add_f64_e32 v[136:137], v[154:155], v[150:151]
	v_add_f64_e32 v[142:143], v[142:143], v[152:153]
	v_fmac_f64_e32 v[144:145], v[6:7], v[178:179]
	v_fma_f64 v[150:151], v[4:5], v[178:179], -v[156:157]
	v_fmac_f64_e32 v[148:149], v[140:141], v[8:9]
	v_fma_f64 v[8:9], v[138:139], v[8:9], -v[10:11]
	v_add_f64_e32 v[152:153], v[136:137], v[134:135]
	v_add_f64_e32 v[142:143], v[142:143], v[146:147]
	ds_load_b128 v[4:7], v2 offset:1728
	ds_load_b128 v[134:137], v2 offset:1744
	s_wait_loadcnt_dscnt 0x301
	v_mul_f64_e32 v[146:147], v[4:5], v[168:169]
	v_mul_f64_e32 v[154:155], v[6:7], v[168:169]
	s_wait_loadcnt_dscnt 0x200
	v_mul_f64_e32 v[140:141], v[134:135], v[132:133]
	v_mul_f64_e32 v[132:133], v[136:137], v[132:133]
	v_add_f64_e32 v[10:11], v[152:153], v[150:151]
	v_add_f64_e32 v[138:139], v[142:143], v[144:145]
	v_fmac_f64_e32 v[146:147], v[6:7], v[166:167]
	v_fma_f64 v[142:143], v[4:5], v[166:167], -v[154:155]
	v_fmac_f64_e32 v[140:141], v[136:137], v[130:131]
	v_fma_f64 v[130:131], v[134:135], v[130:131], -v[132:133]
	v_add_f64_e32 v[144:145], v[10:11], v[8:9]
	v_add_f64_e32 v[138:139], v[138:139], v[148:149]
	ds_load_b128 v[4:7], v2 offset:1760
	ds_load_b128 v[8:11], v2 offset:1776
	s_wait_loadcnt_dscnt 0x101
	v_mul_f64_e32 v[2:3], v[4:5], v[160:161]
	v_mul_f64_e32 v[148:149], v[6:7], v[160:161]
	s_wait_loadcnt_dscnt 0x0
	v_mul_f64_e32 v[136:137], v[8:9], v[128:129]
	v_mul_f64_e32 v[128:129], v[10:11], v[128:129]
	v_add_f64_e32 v[132:133], v[144:145], v[142:143]
	v_add_f64_e32 v[134:135], v[138:139], v[146:147]
	v_fmac_f64_e32 v[2:3], v[6:7], v[158:159]
	v_fma_f64 v[4:5], v[4:5], v[158:159], -v[148:149]
	v_fmac_f64_e32 v[136:137], v[10:11], v[126:127]
	v_fma_f64 v[8:9], v[8:9], v[126:127], -v[128:129]
	v_add_f64_e32 v[6:7], v[132:133], v[130:131]
	v_add_f64_e32 v[130:131], v[134:135], v[140:141]
	s_delay_alu instid0(VALU_DEP_2) | instskip(NEXT) | instid1(VALU_DEP_2)
	v_add_f64_e32 v[4:5], v[6:7], v[4:5]
	v_add_f64_e32 v[2:3], v[130:131], v[2:3]
	s_delay_alu instid0(VALU_DEP_2) | instskip(NEXT) | instid1(VALU_DEP_2)
	;; [unrolled: 3-line block ×3, first 2 shown]
	v_add_f64_e64 v[2:3], v[170:171], -v[4:5]
	v_add_f64_e64 v[4:5], v[172:173], -v[6:7]
	scratch_store_b128 off, v[2:5], off offset:592
	s_wait_xcnt 0x0
	v_cmpx_lt_u32_e32 36, v1
	s_cbranch_execz .LBB119_277
; %bb.276:
	scratch_load_b128 v[2:5], off, s36
	v_mov_b32_e32 v6, 0
	s_delay_alu instid0(VALU_DEP_1)
	v_dual_mov_b32 v7, v6 :: v_dual_mov_b32 v8, v6
	v_mov_b32_e32 v9, v6
	scratch_store_b128 off, v[6:9], off offset:576
	s_wait_loadcnt 0x0
	ds_store_b128 v12, v[2:5]
.LBB119_277:
	s_wait_xcnt 0x0
	s_or_b32 exec_lo, exec_lo, s2
	s_wait_storecnt_dscnt 0x0
	s_barrier_signal -1
	s_barrier_wait -1
	s_clause 0x9
	scratch_load_b128 v[4:7], off, off offset:592
	scratch_load_b128 v[8:11], off, off offset:608
	;; [unrolled: 1-line block ×10, first 2 shown]
	v_mov_b32_e32 v2, 0
	s_mov_b32 s2, exec_lo
	ds_load_b128 v[158:161], v2 offset:1488
	s_clause 0x2
	scratch_load_b128 v[162:165], off, off offset:752
	scratch_load_b128 v[166:169], off, off offset:576
	scratch_load_b128 v[174:177], off, off offset:768
	s_wait_loadcnt_dscnt 0xc00
	v_mul_f64_e32 v[178:179], v[160:161], v[6:7]
	v_mul_f64_e32 v[182:183], v[158:159], v[6:7]
	ds_load_b128 v[170:173], v2 offset:1504
	v_fma_f64 v[186:187], v[158:159], v[4:5], -v[178:179]
	v_fmac_f64_e32 v[182:183], v[160:161], v[4:5]
	ds_load_b128 v[4:7], v2 offset:1520
	s_wait_loadcnt_dscnt 0xb01
	v_mul_f64_e32 v[184:185], v[170:171], v[10:11]
	v_mul_f64_e32 v[10:11], v[172:173], v[10:11]
	scratch_load_b128 v[158:161], off, off offset:784
	ds_load_b128 v[178:181], v2 offset:1536
	s_wait_loadcnt_dscnt 0xb01
	v_mul_f64_e32 v[188:189], v[4:5], v[128:129]
	v_mul_f64_e32 v[128:129], v[6:7], v[128:129]
	v_add_f64_e32 v[182:183], 0, v[182:183]
	v_fmac_f64_e32 v[184:185], v[172:173], v[8:9]
	v_fma_f64 v[170:171], v[170:171], v[8:9], -v[10:11]
	v_add_f64_e32 v[172:173], 0, v[186:187]
	scratch_load_b128 v[8:11], off, off offset:800
	v_fmac_f64_e32 v[188:189], v[6:7], v[126:127]
	v_fma_f64 v[190:191], v[4:5], v[126:127], -v[128:129]
	ds_load_b128 v[4:7], v2 offset:1552
	s_wait_loadcnt_dscnt 0xb01
	v_mul_f64_e32 v[186:187], v[178:179], v[132:133]
	v_mul_f64_e32 v[132:133], v[180:181], v[132:133]
	scratch_load_b128 v[126:129], off, off offset:816
	v_add_f64_e32 v[182:183], v[182:183], v[184:185]
	v_add_f64_e32 v[192:193], v[172:173], v[170:171]
	ds_load_b128 v[170:173], v2 offset:1568
	s_wait_loadcnt_dscnt 0xb01
	v_mul_f64_e32 v[184:185], v[4:5], v[136:137]
	v_mul_f64_e32 v[136:137], v[6:7], v[136:137]
	v_fmac_f64_e32 v[186:187], v[180:181], v[130:131]
	v_fma_f64 v[178:179], v[178:179], v[130:131], -v[132:133]
	scratch_load_b128 v[130:133], off, off offset:832
	v_add_f64_e32 v[182:183], v[182:183], v[188:189]
	v_add_f64_e32 v[180:181], v[192:193], v[190:191]
	v_fmac_f64_e32 v[184:185], v[6:7], v[134:135]
	v_fma_f64 v[190:191], v[4:5], v[134:135], -v[136:137]
	ds_load_b128 v[4:7], v2 offset:1584
	s_wait_loadcnt_dscnt 0xb01
	v_mul_f64_e32 v[188:189], v[170:171], v[140:141]
	v_mul_f64_e32 v[140:141], v[172:173], v[140:141]
	scratch_load_b128 v[134:137], off, off offset:848
	v_add_f64_e32 v[182:183], v[182:183], v[186:187]
	s_wait_loadcnt_dscnt 0xb00
	v_mul_f64_e32 v[186:187], v[4:5], v[144:145]
	v_add_f64_e32 v[192:193], v[180:181], v[178:179]
	v_mul_f64_e32 v[144:145], v[6:7], v[144:145]
	ds_load_b128 v[178:181], v2 offset:1600
	v_fmac_f64_e32 v[188:189], v[172:173], v[138:139]
	v_fma_f64 v[170:171], v[170:171], v[138:139], -v[140:141]
	scratch_load_b128 v[138:141], off, off offset:864
	v_add_f64_e32 v[182:183], v[182:183], v[184:185]
	v_fmac_f64_e32 v[186:187], v[6:7], v[142:143]
	v_add_f64_e32 v[172:173], v[192:193], v[190:191]
	v_fma_f64 v[190:191], v[4:5], v[142:143], -v[144:145]
	ds_load_b128 v[4:7], v2 offset:1616
	s_wait_loadcnt_dscnt 0xb01
	v_mul_f64_e32 v[184:185], v[178:179], v[148:149]
	v_mul_f64_e32 v[148:149], v[180:181], v[148:149]
	scratch_load_b128 v[142:145], off, off offset:880
	v_add_f64_e32 v[182:183], v[182:183], v[188:189]
	s_wait_loadcnt_dscnt 0xb00
	v_mul_f64_e32 v[188:189], v[4:5], v[152:153]
	v_add_f64_e32 v[192:193], v[172:173], v[170:171]
	v_mul_f64_e32 v[152:153], v[6:7], v[152:153]
	ds_load_b128 v[170:173], v2 offset:1632
	v_fmac_f64_e32 v[184:185], v[180:181], v[146:147]
	v_fma_f64 v[146:147], v[178:179], v[146:147], -v[148:149]
	s_wait_loadcnt_dscnt 0xa00
	v_mul_f64_e32 v[180:181], v[170:171], v[156:157]
	v_mul_f64_e32 v[156:157], v[172:173], v[156:157]
	v_add_f64_e32 v[178:179], v[182:183], v[186:187]
	v_fmac_f64_e32 v[188:189], v[6:7], v[150:151]
	v_add_f64_e32 v[148:149], v[192:193], v[190:191]
	v_fma_f64 v[150:151], v[4:5], v[150:151], -v[152:153]
	v_fmac_f64_e32 v[180:181], v[172:173], v[154:155]
	v_fma_f64 v[154:155], v[170:171], v[154:155], -v[156:157]
	v_add_f64_e32 v[178:179], v[178:179], v[184:185]
	v_add_f64_e32 v[152:153], v[148:149], v[146:147]
	ds_load_b128 v[4:7], v2 offset:1648
	ds_load_b128 v[146:149], v2 offset:1664
	s_wait_loadcnt_dscnt 0x901
	v_mul_f64_e32 v[182:183], v[4:5], v[164:165]
	v_mul_f64_e32 v[164:165], v[6:7], v[164:165]
	s_wait_loadcnt_dscnt 0x700
	v_mul_f64_e32 v[156:157], v[146:147], v[176:177]
	v_mul_f64_e32 v[170:171], v[148:149], v[176:177]
	v_add_f64_e32 v[150:151], v[152:153], v[150:151]
	v_add_f64_e32 v[152:153], v[178:179], v[188:189]
	v_fmac_f64_e32 v[182:183], v[6:7], v[162:163]
	v_fma_f64 v[162:163], v[4:5], v[162:163], -v[164:165]
	v_fmac_f64_e32 v[156:157], v[148:149], v[174:175]
	v_fma_f64 v[146:147], v[146:147], v[174:175], -v[170:171]
	v_add_f64_e32 v[154:155], v[150:151], v[154:155]
	v_add_f64_e32 v[164:165], v[152:153], v[180:181]
	ds_load_b128 v[4:7], v2 offset:1680
	ds_load_b128 v[150:153], v2 offset:1696
	s_wait_loadcnt_dscnt 0x601
	v_mul_f64_e32 v[172:173], v[4:5], v[160:161]
	v_mul_f64_e32 v[160:161], v[6:7], v[160:161]
	v_add_f64_e32 v[148:149], v[154:155], v[162:163]
	v_add_f64_e32 v[154:155], v[164:165], v[182:183]
	s_wait_loadcnt_dscnt 0x500
	v_mul_f64_e32 v[162:163], v[150:151], v[10:11]
	v_mul_f64_e32 v[10:11], v[152:153], v[10:11]
	v_fmac_f64_e32 v[172:173], v[6:7], v[158:159]
	v_fma_f64 v[158:159], v[4:5], v[158:159], -v[160:161]
	v_add_f64_e32 v[160:161], v[148:149], v[146:147]
	v_add_f64_e32 v[154:155], v[154:155], v[156:157]
	ds_load_b128 v[4:7], v2 offset:1712
	ds_load_b128 v[146:149], v2 offset:1728
	v_fmac_f64_e32 v[162:163], v[152:153], v[8:9]
	v_fma_f64 v[8:9], v[150:151], v[8:9], -v[10:11]
	s_wait_loadcnt_dscnt 0x401
	v_mul_f64_e32 v[156:157], v[4:5], v[128:129]
	v_mul_f64_e32 v[128:129], v[6:7], v[128:129]
	s_wait_loadcnt_dscnt 0x300
	v_mul_f64_e32 v[152:153], v[146:147], v[132:133]
	v_mul_f64_e32 v[132:133], v[148:149], v[132:133]
	v_add_f64_e32 v[10:11], v[160:161], v[158:159]
	v_add_f64_e32 v[150:151], v[154:155], v[172:173]
	v_fmac_f64_e32 v[156:157], v[6:7], v[126:127]
	v_fma_f64 v[126:127], v[4:5], v[126:127], -v[128:129]
	v_fmac_f64_e32 v[152:153], v[148:149], v[130:131]
	v_fma_f64 v[130:131], v[146:147], v[130:131], -v[132:133]
	v_add_f64_e32 v[128:129], v[10:11], v[8:9]
	v_add_f64_e32 v[150:151], v[150:151], v[162:163]
	ds_load_b128 v[4:7], v2 offset:1744
	ds_load_b128 v[8:11], v2 offset:1760
	s_wait_loadcnt_dscnt 0x201
	v_mul_f64_e32 v[154:155], v[4:5], v[136:137]
	v_mul_f64_e32 v[136:137], v[6:7], v[136:137]
	s_wait_loadcnt_dscnt 0x100
	v_mul_f64_e32 v[132:133], v[8:9], v[140:141]
	v_mul_f64_e32 v[140:141], v[10:11], v[140:141]
	v_add_f64_e32 v[126:127], v[128:129], v[126:127]
	v_add_f64_e32 v[128:129], v[150:151], v[156:157]
	v_fmac_f64_e32 v[154:155], v[6:7], v[134:135]
	v_fma_f64 v[134:135], v[4:5], v[134:135], -v[136:137]
	ds_load_b128 v[4:7], v2 offset:1776
	v_fmac_f64_e32 v[132:133], v[10:11], v[138:139]
	v_fma_f64 v[8:9], v[8:9], v[138:139], -v[140:141]
	v_add_f64_e32 v[126:127], v[126:127], v[130:131]
	v_add_f64_e32 v[128:129], v[128:129], v[152:153]
	s_wait_loadcnt_dscnt 0x0
	v_mul_f64_e32 v[130:131], v[4:5], v[144:145]
	v_mul_f64_e32 v[136:137], v[6:7], v[144:145]
	s_delay_alu instid0(VALU_DEP_4) | instskip(NEXT) | instid1(VALU_DEP_4)
	v_add_f64_e32 v[10:11], v[126:127], v[134:135]
	v_add_f64_e32 v[126:127], v[128:129], v[154:155]
	s_delay_alu instid0(VALU_DEP_4) | instskip(NEXT) | instid1(VALU_DEP_4)
	v_fmac_f64_e32 v[130:131], v[6:7], v[142:143]
	v_fma_f64 v[4:5], v[4:5], v[142:143], -v[136:137]
	s_delay_alu instid0(VALU_DEP_4) | instskip(NEXT) | instid1(VALU_DEP_4)
	v_add_f64_e32 v[6:7], v[10:11], v[8:9]
	v_add_f64_e32 v[8:9], v[126:127], v[132:133]
	s_delay_alu instid0(VALU_DEP_2) | instskip(NEXT) | instid1(VALU_DEP_2)
	v_add_f64_e32 v[4:5], v[6:7], v[4:5]
	v_add_f64_e32 v[6:7], v[8:9], v[130:131]
	s_delay_alu instid0(VALU_DEP_2) | instskip(NEXT) | instid1(VALU_DEP_2)
	v_add_f64_e64 v[4:5], v[166:167], -v[4:5]
	v_add_f64_e64 v[6:7], v[168:169], -v[6:7]
	scratch_store_b128 off, v[4:7], off offset:576
	s_wait_xcnt 0x0
	v_cmpx_lt_u32_e32 35, v1
	s_cbranch_execz .LBB119_279
; %bb.278:
	scratch_load_b128 v[6:9], off, s37
	v_dual_mov_b32 v3, v2 :: v_dual_mov_b32 v4, v2
	v_mov_b32_e32 v5, v2
	scratch_store_b128 off, v[2:5], off offset:560
	s_wait_loadcnt 0x0
	ds_store_b128 v12, v[6:9]
.LBB119_279:
	s_wait_xcnt 0x0
	s_or_b32 exec_lo, exec_lo, s2
	s_wait_storecnt_dscnt 0x0
	s_barrier_signal -1
	s_barrier_wait -1
	s_clause 0x9
	scratch_load_b128 v[4:7], off, off offset:576
	scratch_load_b128 v[8:11], off, off offset:592
	;; [unrolled: 1-line block ×10, first 2 shown]
	ds_load_b128 v[158:161], v2 offset:1472
	ds_load_b128 v[166:169], v2 offset:1488
	s_clause 0x2
	scratch_load_b128 v[162:165], off, off offset:736
	scratch_load_b128 v[170:173], off, off offset:560
	scratch_load_b128 v[174:177], off, off offset:752
	s_mov_b32 s2, exec_lo
	s_wait_loadcnt_dscnt 0xc01
	v_mul_f64_e32 v[178:179], v[160:161], v[6:7]
	v_mul_f64_e32 v[182:183], v[158:159], v[6:7]
	s_wait_loadcnt_dscnt 0xb00
	v_mul_f64_e32 v[184:185], v[166:167], v[10:11]
	v_mul_f64_e32 v[10:11], v[168:169], v[10:11]
	s_delay_alu instid0(VALU_DEP_4) | instskip(NEXT) | instid1(VALU_DEP_4)
	v_fma_f64 v[186:187], v[158:159], v[4:5], -v[178:179]
	v_fmac_f64_e32 v[182:183], v[160:161], v[4:5]
	ds_load_b128 v[4:7], v2 offset:1504
	ds_load_b128 v[158:161], v2 offset:1520
	scratch_load_b128 v[178:181], off, off offset:768
	v_fmac_f64_e32 v[184:185], v[168:169], v[8:9]
	v_fma_f64 v[166:167], v[166:167], v[8:9], -v[10:11]
	scratch_load_b128 v[8:11], off, off offset:784
	s_wait_loadcnt_dscnt 0xc01
	v_mul_f64_e32 v[188:189], v[4:5], v[128:129]
	v_mul_f64_e32 v[128:129], v[6:7], v[128:129]
	v_add_f64_e32 v[168:169], 0, v[186:187]
	v_add_f64_e32 v[182:183], 0, v[182:183]
	s_wait_loadcnt_dscnt 0xb00
	v_mul_f64_e32 v[186:187], v[158:159], v[132:133]
	v_mul_f64_e32 v[132:133], v[160:161], v[132:133]
	v_fmac_f64_e32 v[188:189], v[6:7], v[126:127]
	v_fma_f64 v[190:191], v[4:5], v[126:127], -v[128:129]
	ds_load_b128 v[4:7], v2 offset:1536
	ds_load_b128 v[126:129], v2 offset:1552
	v_add_f64_e32 v[192:193], v[168:169], v[166:167]
	v_add_f64_e32 v[182:183], v[182:183], v[184:185]
	scratch_load_b128 v[166:169], off, off offset:800
	v_fmac_f64_e32 v[186:187], v[160:161], v[130:131]
	v_fma_f64 v[158:159], v[158:159], v[130:131], -v[132:133]
	scratch_load_b128 v[130:133], off, off offset:816
	s_wait_loadcnt_dscnt 0xc01
	v_mul_f64_e32 v[184:185], v[4:5], v[136:137]
	v_mul_f64_e32 v[136:137], v[6:7], v[136:137]
	v_add_f64_e32 v[160:161], v[192:193], v[190:191]
	v_add_f64_e32 v[182:183], v[182:183], v[188:189]
	s_wait_loadcnt_dscnt 0xb00
	v_mul_f64_e32 v[188:189], v[126:127], v[140:141]
	v_mul_f64_e32 v[140:141], v[128:129], v[140:141]
	v_fmac_f64_e32 v[184:185], v[6:7], v[134:135]
	v_fma_f64 v[190:191], v[4:5], v[134:135], -v[136:137]
	ds_load_b128 v[4:7], v2 offset:1568
	ds_load_b128 v[134:137], v2 offset:1584
	v_add_f64_e32 v[192:193], v[160:161], v[158:159]
	v_add_f64_e32 v[182:183], v[182:183], v[186:187]
	scratch_load_b128 v[158:161], off, off offset:832
	s_wait_loadcnt_dscnt 0xb01
	v_mul_f64_e32 v[186:187], v[4:5], v[144:145]
	v_mul_f64_e32 v[144:145], v[6:7], v[144:145]
	v_fmac_f64_e32 v[188:189], v[128:129], v[138:139]
	v_fma_f64 v[138:139], v[126:127], v[138:139], -v[140:141]
	scratch_load_b128 v[126:129], off, off offset:848
	v_add_f64_e32 v[140:141], v[192:193], v[190:191]
	v_add_f64_e32 v[182:183], v[182:183], v[184:185]
	s_wait_loadcnt_dscnt 0xb00
	v_mul_f64_e32 v[184:185], v[134:135], v[148:149]
	v_mul_f64_e32 v[148:149], v[136:137], v[148:149]
	v_fmac_f64_e32 v[186:187], v[6:7], v[142:143]
	v_fma_f64 v[190:191], v[4:5], v[142:143], -v[144:145]
	v_add_f64_e32 v[192:193], v[140:141], v[138:139]
	v_add_f64_e32 v[182:183], v[182:183], v[188:189]
	ds_load_b128 v[4:7], v2 offset:1600
	ds_load_b128 v[138:141], v2 offset:1616
	scratch_load_b128 v[142:145], off, off offset:864
	v_fmac_f64_e32 v[184:185], v[136:137], v[146:147]
	v_fma_f64 v[146:147], v[134:135], v[146:147], -v[148:149]
	scratch_load_b128 v[134:137], off, off offset:880
	s_wait_loadcnt_dscnt 0xc01
	v_mul_f64_e32 v[188:189], v[4:5], v[152:153]
	v_mul_f64_e32 v[152:153], v[6:7], v[152:153]
	v_add_f64_e32 v[148:149], v[192:193], v[190:191]
	v_add_f64_e32 v[182:183], v[182:183], v[186:187]
	s_wait_loadcnt_dscnt 0xb00
	v_mul_f64_e32 v[186:187], v[138:139], v[156:157]
	v_mul_f64_e32 v[156:157], v[140:141], v[156:157]
	v_fmac_f64_e32 v[188:189], v[6:7], v[150:151]
	v_fma_f64 v[150:151], v[4:5], v[150:151], -v[152:153]
	v_add_f64_e32 v[152:153], v[148:149], v[146:147]
	v_add_f64_e32 v[182:183], v[182:183], v[184:185]
	ds_load_b128 v[4:7], v2 offset:1632
	ds_load_b128 v[146:149], v2 offset:1648
	v_fmac_f64_e32 v[186:187], v[140:141], v[154:155]
	v_fma_f64 v[138:139], v[138:139], v[154:155], -v[156:157]
	s_wait_loadcnt_dscnt 0xa01
	v_mul_f64_e32 v[184:185], v[4:5], v[164:165]
	v_mul_f64_e32 v[164:165], v[6:7], v[164:165]
	s_wait_loadcnt_dscnt 0x800
	v_mul_f64_e32 v[154:155], v[148:149], v[176:177]
	v_add_f64_e32 v[140:141], v[152:153], v[150:151]
	v_add_f64_e32 v[150:151], v[182:183], v[188:189]
	v_mul_f64_e32 v[152:153], v[146:147], v[176:177]
	v_fmac_f64_e32 v[184:185], v[6:7], v[162:163]
	v_fma_f64 v[156:157], v[4:5], v[162:163], -v[164:165]
	v_fma_f64 v[146:147], v[146:147], v[174:175], -v[154:155]
	v_add_f64_e32 v[162:163], v[140:141], v[138:139]
	v_add_f64_e32 v[150:151], v[150:151], v[186:187]
	ds_load_b128 v[4:7], v2 offset:1664
	ds_load_b128 v[138:141], v2 offset:1680
	v_fmac_f64_e32 v[152:153], v[148:149], v[174:175]
	s_wait_loadcnt_dscnt 0x701
	v_mul_f64_e32 v[164:165], v[4:5], v[180:181]
	v_mul_f64_e32 v[176:177], v[6:7], v[180:181]
	s_wait_loadcnt_dscnt 0x600
	v_mul_f64_e32 v[154:155], v[138:139], v[10:11]
	v_mul_f64_e32 v[10:11], v[140:141], v[10:11]
	v_add_f64_e32 v[148:149], v[162:163], v[156:157]
	v_add_f64_e32 v[150:151], v[150:151], v[184:185]
	v_fmac_f64_e32 v[164:165], v[6:7], v[178:179]
	v_fma_f64 v[156:157], v[4:5], v[178:179], -v[176:177]
	v_fmac_f64_e32 v[154:155], v[140:141], v[8:9]
	v_fma_f64 v[8:9], v[138:139], v[8:9], -v[10:11]
	v_add_f64_e32 v[162:163], v[148:149], v[146:147]
	v_add_f64_e32 v[150:151], v[150:151], v[152:153]
	ds_load_b128 v[4:7], v2 offset:1696
	ds_load_b128 v[146:149], v2 offset:1712
	s_wait_loadcnt_dscnt 0x501
	v_mul_f64_e32 v[152:153], v[4:5], v[168:169]
	v_mul_f64_e32 v[168:169], v[6:7], v[168:169]
	s_wait_loadcnt_dscnt 0x400
	v_mul_f64_e32 v[140:141], v[146:147], v[132:133]
	v_mul_f64_e32 v[132:133], v[148:149], v[132:133]
	v_add_f64_e32 v[10:11], v[162:163], v[156:157]
	v_add_f64_e32 v[138:139], v[150:151], v[164:165]
	v_fmac_f64_e32 v[152:153], v[6:7], v[166:167]
	v_fma_f64 v[150:151], v[4:5], v[166:167], -v[168:169]
	v_fmac_f64_e32 v[140:141], v[148:149], v[130:131]
	v_fma_f64 v[130:131], v[146:147], v[130:131], -v[132:133]
	v_add_f64_e32 v[156:157], v[10:11], v[8:9]
	v_add_f64_e32 v[138:139], v[138:139], v[154:155]
	ds_load_b128 v[4:7], v2 offset:1728
	ds_load_b128 v[8:11], v2 offset:1744
	;; [unrolled: 16-line block ×3, first 2 shown]
	s_wait_loadcnt_dscnt 0x101
	v_mul_f64_e32 v[2:3], v[4:5], v[144:145]
	v_mul_f64_e32 v[140:141], v[6:7], v[144:145]
	v_add_f64_e32 v[10:11], v[132:133], v[150:151]
	v_add_f64_e32 v[126:127], v[138:139], v[154:155]
	s_wait_loadcnt_dscnt 0x0
	v_mul_f64_e32 v[132:133], v[128:129], v[136:137]
	v_mul_f64_e32 v[136:137], v[130:131], v[136:137]
	v_fmac_f64_e32 v[2:3], v[6:7], v[142:143]
	v_fma_f64 v[4:5], v[4:5], v[142:143], -v[140:141]
	v_add_f64_e32 v[6:7], v[10:11], v[8:9]
	v_add_f64_e32 v[8:9], v[126:127], v[146:147]
	v_fmac_f64_e32 v[132:133], v[130:131], v[134:135]
	v_fma_f64 v[10:11], v[128:129], v[134:135], -v[136:137]
	s_delay_alu instid0(VALU_DEP_4) | instskip(NEXT) | instid1(VALU_DEP_4)
	v_add_f64_e32 v[4:5], v[6:7], v[4:5]
	v_add_f64_e32 v[2:3], v[8:9], v[2:3]
	s_delay_alu instid0(VALU_DEP_2) | instskip(NEXT) | instid1(VALU_DEP_2)
	v_add_f64_e32 v[4:5], v[4:5], v[10:11]
	v_add_f64_e32 v[6:7], v[2:3], v[132:133]
	s_delay_alu instid0(VALU_DEP_2) | instskip(NEXT) | instid1(VALU_DEP_2)
	v_add_f64_e64 v[2:3], v[170:171], -v[4:5]
	v_add_f64_e64 v[4:5], v[172:173], -v[6:7]
	scratch_store_b128 off, v[2:5], off offset:560
	s_wait_xcnt 0x0
	v_cmpx_lt_u32_e32 34, v1
	s_cbranch_execz .LBB119_281
; %bb.280:
	scratch_load_b128 v[2:5], off, s38
	v_mov_b32_e32 v6, 0
	s_delay_alu instid0(VALU_DEP_1)
	v_dual_mov_b32 v7, v6 :: v_dual_mov_b32 v8, v6
	v_mov_b32_e32 v9, v6
	scratch_store_b128 off, v[6:9], off offset:544
	s_wait_loadcnt 0x0
	ds_store_b128 v12, v[2:5]
.LBB119_281:
	s_wait_xcnt 0x0
	s_or_b32 exec_lo, exec_lo, s2
	s_wait_storecnt_dscnt 0x0
	s_barrier_signal -1
	s_barrier_wait -1
	s_clause 0x9
	scratch_load_b128 v[4:7], off, off offset:560
	scratch_load_b128 v[8:11], off, off offset:576
	;; [unrolled: 1-line block ×10, first 2 shown]
	v_mov_b32_e32 v2, 0
	s_mov_b32 s2, exec_lo
	ds_load_b128 v[158:161], v2 offset:1456
	s_clause 0x2
	scratch_load_b128 v[162:165], off, off offset:720
	scratch_load_b128 v[166:169], off, off offset:544
	;; [unrolled: 1-line block ×3, first 2 shown]
	s_wait_loadcnt_dscnt 0xc00
	v_mul_f64_e32 v[178:179], v[160:161], v[6:7]
	v_mul_f64_e32 v[182:183], v[158:159], v[6:7]
	ds_load_b128 v[170:173], v2 offset:1472
	v_fma_f64 v[186:187], v[158:159], v[4:5], -v[178:179]
	v_fmac_f64_e32 v[182:183], v[160:161], v[4:5]
	ds_load_b128 v[4:7], v2 offset:1488
	s_wait_loadcnt_dscnt 0xb01
	v_mul_f64_e32 v[184:185], v[170:171], v[10:11]
	v_mul_f64_e32 v[10:11], v[172:173], v[10:11]
	scratch_load_b128 v[158:161], off, off offset:752
	ds_load_b128 v[178:181], v2 offset:1504
	s_wait_loadcnt_dscnt 0xb01
	v_mul_f64_e32 v[188:189], v[4:5], v[128:129]
	v_mul_f64_e32 v[128:129], v[6:7], v[128:129]
	v_add_f64_e32 v[182:183], 0, v[182:183]
	v_fmac_f64_e32 v[184:185], v[172:173], v[8:9]
	v_fma_f64 v[170:171], v[170:171], v[8:9], -v[10:11]
	v_add_f64_e32 v[172:173], 0, v[186:187]
	scratch_load_b128 v[8:11], off, off offset:768
	v_fmac_f64_e32 v[188:189], v[6:7], v[126:127]
	v_fma_f64 v[190:191], v[4:5], v[126:127], -v[128:129]
	ds_load_b128 v[4:7], v2 offset:1520
	s_wait_loadcnt_dscnt 0xb01
	v_mul_f64_e32 v[186:187], v[178:179], v[132:133]
	v_mul_f64_e32 v[132:133], v[180:181], v[132:133]
	scratch_load_b128 v[126:129], off, off offset:784
	v_add_f64_e32 v[182:183], v[182:183], v[184:185]
	v_add_f64_e32 v[192:193], v[172:173], v[170:171]
	ds_load_b128 v[170:173], v2 offset:1536
	s_wait_loadcnt_dscnt 0xb01
	v_mul_f64_e32 v[184:185], v[4:5], v[136:137]
	v_mul_f64_e32 v[136:137], v[6:7], v[136:137]
	v_fmac_f64_e32 v[186:187], v[180:181], v[130:131]
	v_fma_f64 v[178:179], v[178:179], v[130:131], -v[132:133]
	scratch_load_b128 v[130:133], off, off offset:800
	v_add_f64_e32 v[182:183], v[182:183], v[188:189]
	v_add_f64_e32 v[180:181], v[192:193], v[190:191]
	v_fmac_f64_e32 v[184:185], v[6:7], v[134:135]
	v_fma_f64 v[190:191], v[4:5], v[134:135], -v[136:137]
	ds_load_b128 v[4:7], v2 offset:1552
	s_wait_loadcnt_dscnt 0xb01
	v_mul_f64_e32 v[188:189], v[170:171], v[140:141]
	v_mul_f64_e32 v[140:141], v[172:173], v[140:141]
	scratch_load_b128 v[134:137], off, off offset:816
	v_add_f64_e32 v[182:183], v[182:183], v[186:187]
	s_wait_loadcnt_dscnt 0xb00
	v_mul_f64_e32 v[186:187], v[4:5], v[144:145]
	v_add_f64_e32 v[192:193], v[180:181], v[178:179]
	v_mul_f64_e32 v[144:145], v[6:7], v[144:145]
	ds_load_b128 v[178:181], v2 offset:1568
	v_fmac_f64_e32 v[188:189], v[172:173], v[138:139]
	v_fma_f64 v[170:171], v[170:171], v[138:139], -v[140:141]
	scratch_load_b128 v[138:141], off, off offset:832
	v_add_f64_e32 v[182:183], v[182:183], v[184:185]
	v_fmac_f64_e32 v[186:187], v[6:7], v[142:143]
	v_add_f64_e32 v[172:173], v[192:193], v[190:191]
	v_fma_f64 v[190:191], v[4:5], v[142:143], -v[144:145]
	ds_load_b128 v[4:7], v2 offset:1584
	s_wait_loadcnt_dscnt 0xb01
	v_mul_f64_e32 v[184:185], v[178:179], v[148:149]
	v_mul_f64_e32 v[148:149], v[180:181], v[148:149]
	scratch_load_b128 v[142:145], off, off offset:848
	v_add_f64_e32 v[182:183], v[182:183], v[188:189]
	s_wait_loadcnt_dscnt 0xb00
	v_mul_f64_e32 v[188:189], v[4:5], v[152:153]
	v_add_f64_e32 v[192:193], v[172:173], v[170:171]
	v_mul_f64_e32 v[152:153], v[6:7], v[152:153]
	ds_load_b128 v[170:173], v2 offset:1600
	v_fmac_f64_e32 v[184:185], v[180:181], v[146:147]
	v_fma_f64 v[178:179], v[178:179], v[146:147], -v[148:149]
	scratch_load_b128 v[146:149], off, off offset:864
	v_add_f64_e32 v[182:183], v[182:183], v[186:187]
	v_fmac_f64_e32 v[188:189], v[6:7], v[150:151]
	v_add_f64_e32 v[180:181], v[192:193], v[190:191]
	v_fma_f64 v[190:191], v[4:5], v[150:151], -v[152:153]
	ds_load_b128 v[4:7], v2 offset:1616
	s_wait_loadcnt_dscnt 0xb01
	v_mul_f64_e32 v[186:187], v[170:171], v[156:157]
	v_mul_f64_e32 v[156:157], v[172:173], v[156:157]
	scratch_load_b128 v[150:153], off, off offset:880
	v_add_f64_e32 v[182:183], v[182:183], v[184:185]
	s_wait_loadcnt_dscnt 0xb00
	v_mul_f64_e32 v[184:185], v[4:5], v[164:165]
	v_add_f64_e32 v[192:193], v[180:181], v[178:179]
	v_mul_f64_e32 v[164:165], v[6:7], v[164:165]
	ds_load_b128 v[178:181], v2 offset:1632
	v_fmac_f64_e32 v[186:187], v[172:173], v[154:155]
	v_fma_f64 v[154:155], v[170:171], v[154:155], -v[156:157]
	s_wait_loadcnt_dscnt 0x900
	v_mul_f64_e32 v[172:173], v[178:179], v[176:177]
	v_mul_f64_e32 v[176:177], v[180:181], v[176:177]
	v_add_f64_e32 v[170:171], v[182:183], v[188:189]
	v_fmac_f64_e32 v[184:185], v[6:7], v[162:163]
	v_add_f64_e32 v[156:157], v[192:193], v[190:191]
	v_fma_f64 v[162:163], v[4:5], v[162:163], -v[164:165]
	v_fmac_f64_e32 v[172:173], v[180:181], v[174:175]
	v_fma_f64 v[174:175], v[178:179], v[174:175], -v[176:177]
	v_add_f64_e32 v[170:171], v[170:171], v[186:187]
	v_add_f64_e32 v[164:165], v[156:157], v[154:155]
	ds_load_b128 v[4:7], v2 offset:1648
	ds_load_b128 v[154:157], v2 offset:1664
	s_wait_loadcnt_dscnt 0x801
	v_mul_f64_e32 v[182:183], v[4:5], v[160:161]
	v_mul_f64_e32 v[160:161], v[6:7], v[160:161]
	v_add_f64_e32 v[162:163], v[164:165], v[162:163]
	v_add_f64_e32 v[164:165], v[170:171], v[184:185]
	s_wait_loadcnt_dscnt 0x700
	v_mul_f64_e32 v[170:171], v[154:155], v[10:11]
	v_mul_f64_e32 v[10:11], v[156:157], v[10:11]
	v_fmac_f64_e32 v[182:183], v[6:7], v[158:159]
	v_fma_f64 v[176:177], v[4:5], v[158:159], -v[160:161]
	ds_load_b128 v[4:7], v2 offset:1680
	ds_load_b128 v[158:161], v2 offset:1696
	v_add_f64_e32 v[162:163], v[162:163], v[174:175]
	v_add_f64_e32 v[164:165], v[164:165], v[172:173]
	v_fmac_f64_e32 v[170:171], v[156:157], v[8:9]
	v_fma_f64 v[8:9], v[154:155], v[8:9], -v[10:11]
	s_wait_loadcnt_dscnt 0x601
	v_mul_f64_e32 v[172:173], v[4:5], v[128:129]
	v_mul_f64_e32 v[128:129], v[6:7], v[128:129]
	s_wait_loadcnt_dscnt 0x500
	v_mul_f64_e32 v[156:157], v[158:159], v[132:133]
	v_mul_f64_e32 v[132:133], v[160:161], v[132:133]
	v_add_f64_e32 v[10:11], v[162:163], v[176:177]
	v_add_f64_e32 v[154:155], v[164:165], v[182:183]
	v_fmac_f64_e32 v[172:173], v[6:7], v[126:127]
	v_fma_f64 v[126:127], v[4:5], v[126:127], -v[128:129]
	v_fmac_f64_e32 v[156:157], v[160:161], v[130:131]
	v_fma_f64 v[130:131], v[158:159], v[130:131], -v[132:133]
	v_add_f64_e32 v[128:129], v[10:11], v[8:9]
	v_add_f64_e32 v[154:155], v[154:155], v[170:171]
	ds_load_b128 v[4:7], v2 offset:1712
	ds_load_b128 v[8:11], v2 offset:1728
	s_wait_loadcnt_dscnt 0x401
	v_mul_f64_e32 v[162:163], v[4:5], v[136:137]
	v_mul_f64_e32 v[136:137], v[6:7], v[136:137]
	s_wait_loadcnt_dscnt 0x300
	v_mul_f64_e32 v[132:133], v[8:9], v[140:141]
	v_mul_f64_e32 v[140:141], v[10:11], v[140:141]
	v_add_f64_e32 v[126:127], v[128:129], v[126:127]
	v_add_f64_e32 v[128:129], v[154:155], v[172:173]
	v_fmac_f64_e32 v[162:163], v[6:7], v[134:135]
	v_fma_f64 v[134:135], v[4:5], v[134:135], -v[136:137]
	v_fmac_f64_e32 v[132:133], v[10:11], v[138:139]
	v_fma_f64 v[8:9], v[8:9], v[138:139], -v[140:141]
	v_add_f64_e32 v[130:131], v[126:127], v[130:131]
	v_add_f64_e32 v[136:137], v[128:129], v[156:157]
	ds_load_b128 v[4:7], v2 offset:1744
	ds_load_b128 v[126:129], v2 offset:1760
	s_wait_loadcnt_dscnt 0x201
	v_mul_f64_e32 v[154:155], v[4:5], v[144:145]
	v_mul_f64_e32 v[144:145], v[6:7], v[144:145]
	v_add_f64_e32 v[10:11], v[130:131], v[134:135]
	v_add_f64_e32 v[130:131], v[136:137], v[162:163]
	s_wait_loadcnt_dscnt 0x100
	v_mul_f64_e32 v[134:135], v[126:127], v[148:149]
	v_mul_f64_e32 v[136:137], v[128:129], v[148:149]
	v_fmac_f64_e32 v[154:155], v[6:7], v[142:143]
	v_fma_f64 v[138:139], v[4:5], v[142:143], -v[144:145]
	ds_load_b128 v[4:7], v2 offset:1776
	v_add_f64_e32 v[8:9], v[10:11], v[8:9]
	v_add_f64_e32 v[10:11], v[130:131], v[132:133]
	v_fmac_f64_e32 v[134:135], v[128:129], v[146:147]
	v_fma_f64 v[126:127], v[126:127], v[146:147], -v[136:137]
	s_wait_loadcnt_dscnt 0x0
	v_mul_f64_e32 v[130:131], v[4:5], v[152:153]
	v_mul_f64_e32 v[132:133], v[6:7], v[152:153]
	v_add_f64_e32 v[8:9], v[8:9], v[138:139]
	v_add_f64_e32 v[10:11], v[10:11], v[154:155]
	s_delay_alu instid0(VALU_DEP_4) | instskip(NEXT) | instid1(VALU_DEP_4)
	v_fmac_f64_e32 v[130:131], v[6:7], v[150:151]
	v_fma_f64 v[4:5], v[4:5], v[150:151], -v[132:133]
	s_delay_alu instid0(VALU_DEP_4) | instskip(NEXT) | instid1(VALU_DEP_4)
	v_add_f64_e32 v[6:7], v[8:9], v[126:127]
	v_add_f64_e32 v[8:9], v[10:11], v[134:135]
	s_delay_alu instid0(VALU_DEP_2) | instskip(NEXT) | instid1(VALU_DEP_2)
	v_add_f64_e32 v[4:5], v[6:7], v[4:5]
	v_add_f64_e32 v[6:7], v[8:9], v[130:131]
	s_delay_alu instid0(VALU_DEP_2) | instskip(NEXT) | instid1(VALU_DEP_2)
	v_add_f64_e64 v[4:5], v[166:167], -v[4:5]
	v_add_f64_e64 v[6:7], v[168:169], -v[6:7]
	scratch_store_b128 off, v[4:7], off offset:544
	s_wait_xcnt 0x0
	v_cmpx_lt_u32_e32 33, v1
	s_cbranch_execz .LBB119_283
; %bb.282:
	scratch_load_b128 v[6:9], off, s39
	v_dual_mov_b32 v3, v2 :: v_dual_mov_b32 v4, v2
	v_mov_b32_e32 v5, v2
	scratch_store_b128 off, v[2:5], off offset:528
	s_wait_loadcnt 0x0
	ds_store_b128 v12, v[6:9]
.LBB119_283:
	s_wait_xcnt 0x0
	s_or_b32 exec_lo, exec_lo, s2
	s_wait_storecnt_dscnt 0x0
	s_barrier_signal -1
	s_barrier_wait -1
	s_clause 0x9
	scratch_load_b128 v[4:7], off, off offset:544
	scratch_load_b128 v[8:11], off, off offset:560
	;; [unrolled: 1-line block ×10, first 2 shown]
	ds_load_b128 v[158:161], v2 offset:1440
	ds_load_b128 v[166:169], v2 offset:1456
	s_clause 0x2
	scratch_load_b128 v[162:165], off, off offset:704
	scratch_load_b128 v[170:173], off, off offset:528
	;; [unrolled: 1-line block ×3, first 2 shown]
	s_mov_b32 s2, exec_lo
	s_wait_loadcnt_dscnt 0xc01
	v_mul_f64_e32 v[178:179], v[160:161], v[6:7]
	v_mul_f64_e32 v[182:183], v[158:159], v[6:7]
	s_wait_loadcnt_dscnt 0xb00
	v_mul_f64_e32 v[184:185], v[166:167], v[10:11]
	v_mul_f64_e32 v[10:11], v[168:169], v[10:11]
	s_delay_alu instid0(VALU_DEP_4) | instskip(NEXT) | instid1(VALU_DEP_4)
	v_fma_f64 v[186:187], v[158:159], v[4:5], -v[178:179]
	v_fmac_f64_e32 v[182:183], v[160:161], v[4:5]
	ds_load_b128 v[4:7], v2 offset:1472
	ds_load_b128 v[158:161], v2 offset:1488
	scratch_load_b128 v[178:181], off, off offset:736
	v_fmac_f64_e32 v[184:185], v[168:169], v[8:9]
	v_fma_f64 v[166:167], v[166:167], v[8:9], -v[10:11]
	scratch_load_b128 v[8:11], off, off offset:752
	s_wait_loadcnt_dscnt 0xc01
	v_mul_f64_e32 v[188:189], v[4:5], v[128:129]
	v_mul_f64_e32 v[128:129], v[6:7], v[128:129]
	v_add_f64_e32 v[168:169], 0, v[186:187]
	v_add_f64_e32 v[182:183], 0, v[182:183]
	s_wait_loadcnt_dscnt 0xb00
	v_mul_f64_e32 v[186:187], v[158:159], v[132:133]
	v_mul_f64_e32 v[132:133], v[160:161], v[132:133]
	v_fmac_f64_e32 v[188:189], v[6:7], v[126:127]
	v_fma_f64 v[190:191], v[4:5], v[126:127], -v[128:129]
	ds_load_b128 v[4:7], v2 offset:1504
	ds_load_b128 v[126:129], v2 offset:1520
	v_add_f64_e32 v[192:193], v[168:169], v[166:167]
	v_add_f64_e32 v[182:183], v[182:183], v[184:185]
	scratch_load_b128 v[166:169], off, off offset:768
	v_fmac_f64_e32 v[186:187], v[160:161], v[130:131]
	v_fma_f64 v[158:159], v[158:159], v[130:131], -v[132:133]
	scratch_load_b128 v[130:133], off, off offset:784
	s_wait_loadcnt_dscnt 0xc01
	v_mul_f64_e32 v[184:185], v[4:5], v[136:137]
	v_mul_f64_e32 v[136:137], v[6:7], v[136:137]
	v_add_f64_e32 v[160:161], v[192:193], v[190:191]
	v_add_f64_e32 v[182:183], v[182:183], v[188:189]
	s_wait_loadcnt_dscnt 0xb00
	v_mul_f64_e32 v[188:189], v[126:127], v[140:141]
	v_mul_f64_e32 v[140:141], v[128:129], v[140:141]
	v_fmac_f64_e32 v[184:185], v[6:7], v[134:135]
	v_fma_f64 v[190:191], v[4:5], v[134:135], -v[136:137]
	ds_load_b128 v[4:7], v2 offset:1536
	ds_load_b128 v[134:137], v2 offset:1552
	v_add_f64_e32 v[192:193], v[160:161], v[158:159]
	v_add_f64_e32 v[182:183], v[182:183], v[186:187]
	scratch_load_b128 v[158:161], off, off offset:800
	s_wait_loadcnt_dscnt 0xb01
	v_mul_f64_e32 v[186:187], v[4:5], v[144:145]
	v_mul_f64_e32 v[144:145], v[6:7], v[144:145]
	v_fmac_f64_e32 v[188:189], v[128:129], v[138:139]
	v_fma_f64 v[138:139], v[126:127], v[138:139], -v[140:141]
	scratch_load_b128 v[126:129], off, off offset:816
	v_add_f64_e32 v[140:141], v[192:193], v[190:191]
	v_add_f64_e32 v[182:183], v[182:183], v[184:185]
	s_wait_loadcnt_dscnt 0xb00
	v_mul_f64_e32 v[184:185], v[134:135], v[148:149]
	v_mul_f64_e32 v[148:149], v[136:137], v[148:149]
	v_fmac_f64_e32 v[186:187], v[6:7], v[142:143]
	v_fma_f64 v[190:191], v[4:5], v[142:143], -v[144:145]
	v_add_f64_e32 v[192:193], v[140:141], v[138:139]
	v_add_f64_e32 v[182:183], v[182:183], v[188:189]
	ds_load_b128 v[4:7], v2 offset:1568
	ds_load_b128 v[138:141], v2 offset:1584
	scratch_load_b128 v[142:145], off, off offset:832
	v_fmac_f64_e32 v[184:185], v[136:137], v[146:147]
	v_fma_f64 v[146:147], v[134:135], v[146:147], -v[148:149]
	scratch_load_b128 v[134:137], off, off offset:848
	s_wait_loadcnt_dscnt 0xc01
	v_mul_f64_e32 v[188:189], v[4:5], v[152:153]
	v_mul_f64_e32 v[152:153], v[6:7], v[152:153]
	v_add_f64_e32 v[148:149], v[192:193], v[190:191]
	v_add_f64_e32 v[182:183], v[182:183], v[186:187]
	s_wait_loadcnt_dscnt 0xb00
	v_mul_f64_e32 v[186:187], v[138:139], v[156:157]
	v_mul_f64_e32 v[156:157], v[140:141], v[156:157]
	v_fmac_f64_e32 v[188:189], v[6:7], v[150:151]
	v_fma_f64 v[190:191], v[4:5], v[150:151], -v[152:153]
	v_add_f64_e32 v[192:193], v[148:149], v[146:147]
	v_add_f64_e32 v[182:183], v[182:183], v[184:185]
	ds_load_b128 v[4:7], v2 offset:1600
	ds_load_b128 v[146:149], v2 offset:1616
	scratch_load_b128 v[150:153], off, off offset:864
	v_fmac_f64_e32 v[186:187], v[140:141], v[154:155]
	v_fma_f64 v[154:155], v[138:139], v[154:155], -v[156:157]
	scratch_load_b128 v[138:141], off, off offset:880
	s_wait_loadcnt_dscnt 0xc01
	v_mul_f64_e32 v[184:185], v[4:5], v[164:165]
	v_mul_f64_e32 v[164:165], v[6:7], v[164:165]
	v_add_f64_e32 v[156:157], v[192:193], v[190:191]
	v_add_f64_e32 v[182:183], v[182:183], v[188:189]
	s_wait_loadcnt_dscnt 0xa00
	v_mul_f64_e32 v[188:189], v[146:147], v[176:177]
	v_mul_f64_e32 v[176:177], v[148:149], v[176:177]
	v_fmac_f64_e32 v[184:185], v[6:7], v[162:163]
	v_fma_f64 v[162:163], v[4:5], v[162:163], -v[164:165]
	v_add_f64_e32 v[164:165], v[156:157], v[154:155]
	v_add_f64_e32 v[182:183], v[182:183], v[186:187]
	ds_load_b128 v[4:7], v2 offset:1632
	ds_load_b128 v[154:157], v2 offset:1648
	v_fmac_f64_e32 v[188:189], v[148:149], v[174:175]
	v_fma_f64 v[146:147], v[146:147], v[174:175], -v[176:177]
	s_wait_loadcnt_dscnt 0x901
	v_mul_f64_e32 v[186:187], v[4:5], v[180:181]
	v_mul_f64_e32 v[180:181], v[6:7], v[180:181]
	v_add_f64_e32 v[148:149], v[164:165], v[162:163]
	v_add_f64_e32 v[162:163], v[182:183], v[184:185]
	s_wait_loadcnt_dscnt 0x800
	v_mul_f64_e32 v[164:165], v[154:155], v[10:11]
	v_mul_f64_e32 v[10:11], v[156:157], v[10:11]
	v_fmac_f64_e32 v[186:187], v[6:7], v[178:179]
	v_fma_f64 v[174:175], v[4:5], v[178:179], -v[180:181]
	v_add_f64_e32 v[176:177], v[148:149], v[146:147]
	v_add_f64_e32 v[162:163], v[162:163], v[188:189]
	ds_load_b128 v[4:7], v2 offset:1664
	ds_load_b128 v[146:149], v2 offset:1680
	v_fmac_f64_e32 v[164:165], v[156:157], v[8:9]
	v_fma_f64 v[8:9], v[154:155], v[8:9], -v[10:11]
	s_wait_loadcnt_dscnt 0x701
	v_mul_f64_e32 v[178:179], v[4:5], v[168:169]
	v_mul_f64_e32 v[168:169], v[6:7], v[168:169]
	s_wait_loadcnt_dscnt 0x600
	v_mul_f64_e32 v[156:157], v[146:147], v[132:133]
	v_mul_f64_e32 v[132:133], v[148:149], v[132:133]
	v_add_f64_e32 v[10:11], v[176:177], v[174:175]
	v_add_f64_e32 v[154:155], v[162:163], v[186:187]
	v_fmac_f64_e32 v[178:179], v[6:7], v[166:167]
	v_fma_f64 v[162:163], v[4:5], v[166:167], -v[168:169]
	v_fmac_f64_e32 v[156:157], v[148:149], v[130:131]
	v_fma_f64 v[130:131], v[146:147], v[130:131], -v[132:133]
	v_add_f64_e32 v[166:167], v[10:11], v[8:9]
	v_add_f64_e32 v[154:155], v[154:155], v[164:165]
	ds_load_b128 v[4:7], v2 offset:1696
	ds_load_b128 v[8:11], v2 offset:1712
	s_wait_loadcnt_dscnt 0x501
	v_mul_f64_e32 v[164:165], v[4:5], v[160:161]
	v_mul_f64_e32 v[160:161], v[6:7], v[160:161]
	s_wait_loadcnt_dscnt 0x400
	v_mul_f64_e32 v[148:149], v[8:9], v[128:129]
	v_add_f64_e32 v[132:133], v[166:167], v[162:163]
	v_add_f64_e32 v[146:147], v[154:155], v[178:179]
	v_mul_f64_e32 v[154:155], v[10:11], v[128:129]
	v_fmac_f64_e32 v[164:165], v[6:7], v[158:159]
	v_fma_f64 v[158:159], v[4:5], v[158:159], -v[160:161]
	v_fmac_f64_e32 v[148:149], v[10:11], v[126:127]
	v_add_f64_e32 v[132:133], v[132:133], v[130:131]
	v_add_f64_e32 v[146:147], v[146:147], v[156:157]
	ds_load_b128 v[4:7], v2 offset:1728
	ds_load_b128 v[128:131], v2 offset:1744
	v_fma_f64 v[8:9], v[8:9], v[126:127], -v[154:155]
	s_wait_loadcnt_dscnt 0x301
	v_mul_f64_e32 v[156:157], v[4:5], v[144:145]
	v_mul_f64_e32 v[144:145], v[6:7], v[144:145]
	v_add_f64_e32 v[10:11], v[132:133], v[158:159]
	v_add_f64_e32 v[126:127], v[146:147], v[164:165]
	s_wait_loadcnt_dscnt 0x200
	v_mul_f64_e32 v[132:133], v[128:129], v[136:137]
	v_mul_f64_e32 v[136:137], v[130:131], v[136:137]
	v_fmac_f64_e32 v[156:157], v[6:7], v[142:143]
	v_fma_f64 v[142:143], v[4:5], v[142:143], -v[144:145]
	v_add_f64_e32 v[144:145], v[10:11], v[8:9]
	v_add_f64_e32 v[126:127], v[126:127], v[148:149]
	ds_load_b128 v[4:7], v2 offset:1760
	ds_load_b128 v[8:11], v2 offset:1776
	v_fmac_f64_e32 v[132:133], v[130:131], v[134:135]
	v_fma_f64 v[128:129], v[128:129], v[134:135], -v[136:137]
	s_wait_loadcnt_dscnt 0x101
	v_mul_f64_e32 v[2:3], v[4:5], v[152:153]
	v_mul_f64_e32 v[146:147], v[6:7], v[152:153]
	s_wait_loadcnt_dscnt 0x0
	v_mul_f64_e32 v[134:135], v[8:9], v[140:141]
	v_mul_f64_e32 v[136:137], v[10:11], v[140:141]
	v_add_f64_e32 v[130:131], v[144:145], v[142:143]
	v_add_f64_e32 v[126:127], v[126:127], v[156:157]
	v_fmac_f64_e32 v[2:3], v[6:7], v[150:151]
	v_fma_f64 v[4:5], v[4:5], v[150:151], -v[146:147]
	v_fmac_f64_e32 v[134:135], v[10:11], v[138:139]
	v_fma_f64 v[8:9], v[8:9], v[138:139], -v[136:137]
	v_add_f64_e32 v[6:7], v[130:131], v[128:129]
	v_add_f64_e32 v[126:127], v[126:127], v[132:133]
	s_delay_alu instid0(VALU_DEP_2) | instskip(NEXT) | instid1(VALU_DEP_2)
	v_add_f64_e32 v[4:5], v[6:7], v[4:5]
	v_add_f64_e32 v[2:3], v[126:127], v[2:3]
	s_delay_alu instid0(VALU_DEP_2) | instskip(NEXT) | instid1(VALU_DEP_2)
	;; [unrolled: 3-line block ×3, first 2 shown]
	v_add_f64_e64 v[2:3], v[170:171], -v[4:5]
	v_add_f64_e64 v[4:5], v[172:173], -v[6:7]
	scratch_store_b128 off, v[2:5], off offset:528
	s_wait_xcnt 0x0
	v_cmpx_lt_u32_e32 32, v1
	s_cbranch_execz .LBB119_285
; %bb.284:
	scratch_load_b128 v[2:5], off, s40
	v_mov_b32_e32 v6, 0
	s_delay_alu instid0(VALU_DEP_1)
	v_dual_mov_b32 v7, v6 :: v_dual_mov_b32 v8, v6
	v_mov_b32_e32 v9, v6
	scratch_store_b128 off, v[6:9], off offset:512
	s_wait_loadcnt 0x0
	ds_store_b128 v12, v[2:5]
.LBB119_285:
	s_wait_xcnt 0x0
	s_or_b32 exec_lo, exec_lo, s2
	s_wait_storecnt_dscnt 0x0
	s_barrier_signal -1
	s_barrier_wait -1
	s_clause 0x9
	scratch_load_b128 v[4:7], off, off offset:528
	scratch_load_b128 v[8:11], off, off offset:544
	;; [unrolled: 1-line block ×10, first 2 shown]
	v_mov_b32_e32 v2, 0
	s_mov_b32 s2, exec_lo
	ds_load_b128 v[158:161], v2 offset:1424
	s_clause 0x2
	scratch_load_b128 v[162:165], off, off offset:688
	scratch_load_b128 v[166:169], off, off offset:512
	;; [unrolled: 1-line block ×3, first 2 shown]
	s_wait_loadcnt_dscnt 0xc00
	v_mul_f64_e32 v[178:179], v[160:161], v[6:7]
	v_mul_f64_e32 v[182:183], v[158:159], v[6:7]
	ds_load_b128 v[170:173], v2 offset:1440
	v_fma_f64 v[186:187], v[158:159], v[4:5], -v[178:179]
	v_fmac_f64_e32 v[182:183], v[160:161], v[4:5]
	ds_load_b128 v[4:7], v2 offset:1456
	s_wait_loadcnt_dscnt 0xb01
	v_mul_f64_e32 v[184:185], v[170:171], v[10:11]
	v_mul_f64_e32 v[10:11], v[172:173], v[10:11]
	scratch_load_b128 v[158:161], off, off offset:720
	ds_load_b128 v[178:181], v2 offset:1472
	s_wait_loadcnt_dscnt 0xb01
	v_mul_f64_e32 v[188:189], v[4:5], v[128:129]
	v_mul_f64_e32 v[128:129], v[6:7], v[128:129]
	v_add_f64_e32 v[182:183], 0, v[182:183]
	v_fmac_f64_e32 v[184:185], v[172:173], v[8:9]
	v_fma_f64 v[170:171], v[170:171], v[8:9], -v[10:11]
	v_add_f64_e32 v[172:173], 0, v[186:187]
	scratch_load_b128 v[8:11], off, off offset:736
	v_fmac_f64_e32 v[188:189], v[6:7], v[126:127]
	v_fma_f64 v[190:191], v[4:5], v[126:127], -v[128:129]
	ds_load_b128 v[4:7], v2 offset:1488
	s_wait_loadcnt_dscnt 0xb01
	v_mul_f64_e32 v[186:187], v[178:179], v[132:133]
	v_mul_f64_e32 v[132:133], v[180:181], v[132:133]
	scratch_load_b128 v[126:129], off, off offset:752
	v_add_f64_e32 v[182:183], v[182:183], v[184:185]
	v_add_f64_e32 v[192:193], v[172:173], v[170:171]
	ds_load_b128 v[170:173], v2 offset:1504
	s_wait_loadcnt_dscnt 0xb01
	v_mul_f64_e32 v[184:185], v[4:5], v[136:137]
	v_mul_f64_e32 v[136:137], v[6:7], v[136:137]
	v_fmac_f64_e32 v[186:187], v[180:181], v[130:131]
	v_fma_f64 v[178:179], v[178:179], v[130:131], -v[132:133]
	scratch_load_b128 v[130:133], off, off offset:768
	v_add_f64_e32 v[182:183], v[182:183], v[188:189]
	v_add_f64_e32 v[180:181], v[192:193], v[190:191]
	v_fmac_f64_e32 v[184:185], v[6:7], v[134:135]
	v_fma_f64 v[190:191], v[4:5], v[134:135], -v[136:137]
	ds_load_b128 v[4:7], v2 offset:1520
	s_wait_loadcnt_dscnt 0xb01
	v_mul_f64_e32 v[188:189], v[170:171], v[140:141]
	v_mul_f64_e32 v[140:141], v[172:173], v[140:141]
	scratch_load_b128 v[134:137], off, off offset:784
	v_add_f64_e32 v[182:183], v[182:183], v[186:187]
	s_wait_loadcnt_dscnt 0xb00
	v_mul_f64_e32 v[186:187], v[4:5], v[144:145]
	v_add_f64_e32 v[192:193], v[180:181], v[178:179]
	v_mul_f64_e32 v[144:145], v[6:7], v[144:145]
	ds_load_b128 v[178:181], v2 offset:1536
	v_fmac_f64_e32 v[188:189], v[172:173], v[138:139]
	v_fma_f64 v[170:171], v[170:171], v[138:139], -v[140:141]
	scratch_load_b128 v[138:141], off, off offset:800
	v_add_f64_e32 v[182:183], v[182:183], v[184:185]
	v_fmac_f64_e32 v[186:187], v[6:7], v[142:143]
	v_add_f64_e32 v[172:173], v[192:193], v[190:191]
	v_fma_f64 v[190:191], v[4:5], v[142:143], -v[144:145]
	ds_load_b128 v[4:7], v2 offset:1552
	s_wait_loadcnt_dscnt 0xb01
	v_mul_f64_e32 v[184:185], v[178:179], v[148:149]
	v_mul_f64_e32 v[148:149], v[180:181], v[148:149]
	scratch_load_b128 v[142:145], off, off offset:816
	v_add_f64_e32 v[182:183], v[182:183], v[188:189]
	s_wait_loadcnt_dscnt 0xb00
	v_mul_f64_e32 v[188:189], v[4:5], v[152:153]
	v_add_f64_e32 v[192:193], v[172:173], v[170:171]
	v_mul_f64_e32 v[152:153], v[6:7], v[152:153]
	ds_load_b128 v[170:173], v2 offset:1568
	v_fmac_f64_e32 v[184:185], v[180:181], v[146:147]
	v_fma_f64 v[178:179], v[178:179], v[146:147], -v[148:149]
	scratch_load_b128 v[146:149], off, off offset:832
	v_add_f64_e32 v[182:183], v[182:183], v[186:187]
	v_fmac_f64_e32 v[188:189], v[6:7], v[150:151]
	v_add_f64_e32 v[180:181], v[192:193], v[190:191]
	;; [unrolled: 18-line block ×3, first 2 shown]
	v_fma_f64 v[190:191], v[4:5], v[162:163], -v[164:165]
	ds_load_b128 v[4:7], v2 offset:1616
	s_wait_loadcnt_dscnt 0xa01
	v_mul_f64_e32 v[188:189], v[178:179], v[176:177]
	v_mul_f64_e32 v[176:177], v[180:181], v[176:177]
	scratch_load_b128 v[162:165], off, off offset:880
	v_add_f64_e32 v[182:183], v[182:183], v[186:187]
	v_add_f64_e32 v[192:193], v[172:173], v[170:171]
	s_wait_loadcnt_dscnt 0xa00
	v_mul_f64_e32 v[186:187], v[4:5], v[160:161]
	v_mul_f64_e32 v[160:161], v[6:7], v[160:161]
	v_fmac_f64_e32 v[188:189], v[180:181], v[174:175]
	v_fma_f64 v[174:175], v[178:179], v[174:175], -v[176:177]
	ds_load_b128 v[170:173], v2 offset:1632
	v_add_f64_e32 v[178:179], v[182:183], v[184:185]
	v_add_f64_e32 v[176:177], v[192:193], v[190:191]
	s_wait_loadcnt_dscnt 0x900
	v_mul_f64_e32 v[180:181], v[170:171], v[10:11]
	v_mul_f64_e32 v[10:11], v[172:173], v[10:11]
	v_fmac_f64_e32 v[186:187], v[6:7], v[158:159]
	v_fma_f64 v[182:183], v[4:5], v[158:159], -v[160:161]
	ds_load_b128 v[4:7], v2 offset:1648
	ds_load_b128 v[158:161], v2 offset:1664
	v_add_f64_e32 v[174:175], v[176:177], v[174:175]
	v_add_f64_e32 v[176:177], v[178:179], v[188:189]
	s_wait_loadcnt_dscnt 0x801
	v_mul_f64_e32 v[178:179], v[4:5], v[128:129]
	v_mul_f64_e32 v[128:129], v[6:7], v[128:129]
	v_fmac_f64_e32 v[180:181], v[172:173], v[8:9]
	v_fma_f64 v[8:9], v[170:171], v[8:9], -v[10:11]
	s_wait_loadcnt_dscnt 0x700
	v_mul_f64_e32 v[172:173], v[158:159], v[132:133]
	v_mul_f64_e32 v[132:133], v[160:161], v[132:133]
	v_add_f64_e32 v[10:11], v[174:175], v[182:183]
	v_add_f64_e32 v[170:171], v[176:177], v[186:187]
	v_fmac_f64_e32 v[178:179], v[6:7], v[126:127]
	v_fma_f64 v[126:127], v[4:5], v[126:127], -v[128:129]
	v_fmac_f64_e32 v[172:173], v[160:161], v[130:131]
	v_fma_f64 v[130:131], v[158:159], v[130:131], -v[132:133]
	v_add_f64_e32 v[128:129], v[10:11], v[8:9]
	v_add_f64_e32 v[170:171], v[170:171], v[180:181]
	ds_load_b128 v[4:7], v2 offset:1680
	ds_load_b128 v[8:11], v2 offset:1696
	s_wait_loadcnt_dscnt 0x601
	v_mul_f64_e32 v[174:175], v[4:5], v[136:137]
	v_mul_f64_e32 v[136:137], v[6:7], v[136:137]
	s_wait_loadcnt_dscnt 0x500
	v_mul_f64_e32 v[132:133], v[8:9], v[140:141]
	v_mul_f64_e32 v[140:141], v[10:11], v[140:141]
	v_add_f64_e32 v[126:127], v[128:129], v[126:127]
	v_add_f64_e32 v[128:129], v[170:171], v[178:179]
	v_fmac_f64_e32 v[174:175], v[6:7], v[134:135]
	v_fma_f64 v[134:135], v[4:5], v[134:135], -v[136:137]
	v_fmac_f64_e32 v[132:133], v[10:11], v[138:139]
	v_fma_f64 v[8:9], v[8:9], v[138:139], -v[140:141]
	v_add_f64_e32 v[130:131], v[126:127], v[130:131]
	v_add_f64_e32 v[136:137], v[128:129], v[172:173]
	ds_load_b128 v[4:7], v2 offset:1712
	ds_load_b128 v[126:129], v2 offset:1728
	s_wait_loadcnt_dscnt 0x401
	v_mul_f64_e32 v[158:159], v[4:5], v[144:145]
	v_mul_f64_e32 v[144:145], v[6:7], v[144:145]
	v_add_f64_e32 v[10:11], v[130:131], v[134:135]
	v_add_f64_e32 v[130:131], v[136:137], v[174:175]
	s_wait_loadcnt_dscnt 0x300
	v_mul_f64_e32 v[134:135], v[126:127], v[148:149]
	v_mul_f64_e32 v[136:137], v[128:129], v[148:149]
	v_fmac_f64_e32 v[158:159], v[6:7], v[142:143]
	v_fma_f64 v[138:139], v[4:5], v[142:143], -v[144:145]
	v_add_f64_e32 v[140:141], v[10:11], v[8:9]
	v_add_f64_e32 v[130:131], v[130:131], v[132:133]
	ds_load_b128 v[4:7], v2 offset:1744
	ds_load_b128 v[8:11], v2 offset:1760
	v_fmac_f64_e32 v[134:135], v[128:129], v[146:147]
	v_fma_f64 v[126:127], v[126:127], v[146:147], -v[136:137]
	s_wait_loadcnt_dscnt 0x201
	v_mul_f64_e32 v[132:133], v[4:5], v[152:153]
	v_mul_f64_e32 v[142:143], v[6:7], v[152:153]
	s_wait_loadcnt_dscnt 0x100
	v_mul_f64_e32 v[136:137], v[8:9], v[156:157]
	v_add_f64_e32 v[128:129], v[140:141], v[138:139]
	v_add_f64_e32 v[130:131], v[130:131], v[158:159]
	v_mul_f64_e32 v[138:139], v[10:11], v[156:157]
	v_fmac_f64_e32 v[132:133], v[6:7], v[150:151]
	v_fma_f64 v[140:141], v[4:5], v[150:151], -v[142:143]
	ds_load_b128 v[4:7], v2 offset:1776
	v_fmac_f64_e32 v[136:137], v[10:11], v[154:155]
	v_add_f64_e32 v[126:127], v[128:129], v[126:127]
	v_add_f64_e32 v[128:129], v[130:131], v[134:135]
	v_fma_f64 v[8:9], v[8:9], v[154:155], -v[138:139]
	s_wait_loadcnt_dscnt 0x0
	v_mul_f64_e32 v[130:131], v[4:5], v[164:165]
	v_mul_f64_e32 v[134:135], v[6:7], v[164:165]
	v_add_f64_e32 v[10:11], v[126:127], v[140:141]
	v_add_f64_e32 v[126:127], v[128:129], v[132:133]
	s_delay_alu instid0(VALU_DEP_4) | instskip(NEXT) | instid1(VALU_DEP_4)
	v_fmac_f64_e32 v[130:131], v[6:7], v[162:163]
	v_fma_f64 v[4:5], v[4:5], v[162:163], -v[134:135]
	s_delay_alu instid0(VALU_DEP_4) | instskip(NEXT) | instid1(VALU_DEP_4)
	v_add_f64_e32 v[6:7], v[10:11], v[8:9]
	v_add_f64_e32 v[8:9], v[126:127], v[136:137]
	s_delay_alu instid0(VALU_DEP_2) | instskip(NEXT) | instid1(VALU_DEP_2)
	v_add_f64_e32 v[4:5], v[6:7], v[4:5]
	v_add_f64_e32 v[6:7], v[8:9], v[130:131]
	s_delay_alu instid0(VALU_DEP_2) | instskip(NEXT) | instid1(VALU_DEP_2)
	v_add_f64_e64 v[4:5], v[166:167], -v[4:5]
	v_add_f64_e64 v[6:7], v[168:169], -v[6:7]
	scratch_store_b128 off, v[4:7], off offset:512
	s_wait_xcnt 0x0
	v_cmpx_lt_u32_e32 31, v1
	s_cbranch_execz .LBB119_287
; %bb.286:
	scratch_load_b128 v[6:9], off, s41
	v_dual_mov_b32 v3, v2 :: v_dual_mov_b32 v4, v2
	v_mov_b32_e32 v5, v2
	scratch_store_b128 off, v[2:5], off offset:496
	s_wait_loadcnt 0x0
	ds_store_b128 v12, v[6:9]
.LBB119_287:
	s_wait_xcnt 0x0
	s_or_b32 exec_lo, exec_lo, s2
	s_wait_storecnt_dscnt 0x0
	s_barrier_signal -1
	s_barrier_wait -1
	s_clause 0x9
	scratch_load_b128 v[4:7], off, off offset:512
	scratch_load_b128 v[8:11], off, off offset:528
	;; [unrolled: 1-line block ×10, first 2 shown]
	ds_load_b128 v[158:161], v2 offset:1408
	ds_load_b128 v[166:169], v2 offset:1424
	s_clause 0x2
	scratch_load_b128 v[162:165], off, off offset:672
	scratch_load_b128 v[170:173], off, off offset:496
	;; [unrolled: 1-line block ×3, first 2 shown]
	s_mov_b32 s2, exec_lo
	s_wait_loadcnt_dscnt 0xc01
	v_mul_f64_e32 v[178:179], v[160:161], v[6:7]
	v_mul_f64_e32 v[182:183], v[158:159], v[6:7]
	s_wait_loadcnt_dscnt 0xb00
	v_mul_f64_e32 v[184:185], v[166:167], v[10:11]
	v_mul_f64_e32 v[10:11], v[168:169], v[10:11]
	s_delay_alu instid0(VALU_DEP_4) | instskip(NEXT) | instid1(VALU_DEP_4)
	v_fma_f64 v[186:187], v[158:159], v[4:5], -v[178:179]
	v_fmac_f64_e32 v[182:183], v[160:161], v[4:5]
	ds_load_b128 v[4:7], v2 offset:1440
	ds_load_b128 v[158:161], v2 offset:1456
	scratch_load_b128 v[178:181], off, off offset:704
	v_fmac_f64_e32 v[184:185], v[168:169], v[8:9]
	v_fma_f64 v[166:167], v[166:167], v[8:9], -v[10:11]
	scratch_load_b128 v[8:11], off, off offset:720
	s_wait_loadcnt_dscnt 0xc01
	v_mul_f64_e32 v[188:189], v[4:5], v[128:129]
	v_mul_f64_e32 v[128:129], v[6:7], v[128:129]
	v_add_f64_e32 v[168:169], 0, v[186:187]
	v_add_f64_e32 v[182:183], 0, v[182:183]
	s_wait_loadcnt_dscnt 0xb00
	v_mul_f64_e32 v[186:187], v[158:159], v[132:133]
	v_mul_f64_e32 v[132:133], v[160:161], v[132:133]
	v_fmac_f64_e32 v[188:189], v[6:7], v[126:127]
	v_fma_f64 v[190:191], v[4:5], v[126:127], -v[128:129]
	ds_load_b128 v[4:7], v2 offset:1472
	ds_load_b128 v[126:129], v2 offset:1488
	v_add_f64_e32 v[192:193], v[168:169], v[166:167]
	v_add_f64_e32 v[182:183], v[182:183], v[184:185]
	scratch_load_b128 v[166:169], off, off offset:736
	v_fmac_f64_e32 v[186:187], v[160:161], v[130:131]
	v_fma_f64 v[158:159], v[158:159], v[130:131], -v[132:133]
	scratch_load_b128 v[130:133], off, off offset:752
	s_wait_loadcnt_dscnt 0xc01
	v_mul_f64_e32 v[184:185], v[4:5], v[136:137]
	v_mul_f64_e32 v[136:137], v[6:7], v[136:137]
	v_add_f64_e32 v[160:161], v[192:193], v[190:191]
	v_add_f64_e32 v[182:183], v[182:183], v[188:189]
	s_wait_loadcnt_dscnt 0xb00
	v_mul_f64_e32 v[188:189], v[126:127], v[140:141]
	v_mul_f64_e32 v[140:141], v[128:129], v[140:141]
	v_fmac_f64_e32 v[184:185], v[6:7], v[134:135]
	v_fma_f64 v[190:191], v[4:5], v[134:135], -v[136:137]
	ds_load_b128 v[4:7], v2 offset:1504
	ds_load_b128 v[134:137], v2 offset:1520
	v_add_f64_e32 v[192:193], v[160:161], v[158:159]
	v_add_f64_e32 v[182:183], v[182:183], v[186:187]
	scratch_load_b128 v[158:161], off, off offset:768
	s_wait_loadcnt_dscnt 0xb01
	v_mul_f64_e32 v[186:187], v[4:5], v[144:145]
	v_mul_f64_e32 v[144:145], v[6:7], v[144:145]
	v_fmac_f64_e32 v[188:189], v[128:129], v[138:139]
	v_fma_f64 v[138:139], v[126:127], v[138:139], -v[140:141]
	scratch_load_b128 v[126:129], off, off offset:784
	v_add_f64_e32 v[140:141], v[192:193], v[190:191]
	v_add_f64_e32 v[182:183], v[182:183], v[184:185]
	s_wait_loadcnt_dscnt 0xb00
	v_mul_f64_e32 v[184:185], v[134:135], v[148:149]
	v_mul_f64_e32 v[148:149], v[136:137], v[148:149]
	v_fmac_f64_e32 v[186:187], v[6:7], v[142:143]
	v_fma_f64 v[190:191], v[4:5], v[142:143], -v[144:145]
	v_add_f64_e32 v[192:193], v[140:141], v[138:139]
	v_add_f64_e32 v[182:183], v[182:183], v[188:189]
	ds_load_b128 v[4:7], v2 offset:1536
	ds_load_b128 v[138:141], v2 offset:1552
	scratch_load_b128 v[142:145], off, off offset:800
	v_fmac_f64_e32 v[184:185], v[136:137], v[146:147]
	v_fma_f64 v[146:147], v[134:135], v[146:147], -v[148:149]
	scratch_load_b128 v[134:137], off, off offset:816
	s_wait_loadcnt_dscnt 0xc01
	v_mul_f64_e32 v[188:189], v[4:5], v[152:153]
	v_mul_f64_e32 v[152:153], v[6:7], v[152:153]
	v_add_f64_e32 v[148:149], v[192:193], v[190:191]
	v_add_f64_e32 v[182:183], v[182:183], v[186:187]
	s_wait_loadcnt_dscnt 0xb00
	v_mul_f64_e32 v[186:187], v[138:139], v[156:157]
	v_mul_f64_e32 v[156:157], v[140:141], v[156:157]
	v_fmac_f64_e32 v[188:189], v[6:7], v[150:151]
	v_fma_f64 v[190:191], v[4:5], v[150:151], -v[152:153]
	v_add_f64_e32 v[192:193], v[148:149], v[146:147]
	v_add_f64_e32 v[182:183], v[182:183], v[184:185]
	ds_load_b128 v[4:7], v2 offset:1568
	ds_load_b128 v[146:149], v2 offset:1584
	scratch_load_b128 v[150:153], off, off offset:832
	v_fmac_f64_e32 v[186:187], v[140:141], v[154:155]
	v_fma_f64 v[154:155], v[138:139], v[154:155], -v[156:157]
	scratch_load_b128 v[138:141], off, off offset:848
	s_wait_loadcnt_dscnt 0xc01
	v_mul_f64_e32 v[184:185], v[4:5], v[164:165]
	v_mul_f64_e32 v[164:165], v[6:7], v[164:165]
	;; [unrolled: 18-line block ×3, first 2 shown]
	v_add_f64_e32 v[176:177], v[192:193], v[190:191]
	v_add_f64_e32 v[182:183], v[182:183], v[184:185]
	s_wait_loadcnt_dscnt 0xa00
	v_mul_f64_e32 v[184:185], v[154:155], v[10:11]
	v_mul_f64_e32 v[10:11], v[156:157], v[10:11]
	v_fmac_f64_e32 v[186:187], v[6:7], v[178:179]
	v_fma_f64 v[178:179], v[4:5], v[178:179], -v[180:181]
	v_add_f64_e32 v[180:181], v[176:177], v[174:175]
	v_add_f64_e32 v[182:183], v[182:183], v[188:189]
	ds_load_b128 v[4:7], v2 offset:1632
	ds_load_b128 v[174:177], v2 offset:1648
	v_fmac_f64_e32 v[184:185], v[156:157], v[8:9]
	v_fma_f64 v[8:9], v[154:155], v[8:9], -v[10:11]
	s_wait_loadcnt_dscnt 0x901
	v_mul_f64_e32 v[188:189], v[4:5], v[168:169]
	v_mul_f64_e32 v[168:169], v[6:7], v[168:169]
	s_wait_loadcnt_dscnt 0x800
	v_mul_f64_e32 v[156:157], v[174:175], v[132:133]
	v_mul_f64_e32 v[132:133], v[176:177], v[132:133]
	v_add_f64_e32 v[10:11], v[180:181], v[178:179]
	v_add_f64_e32 v[154:155], v[182:183], v[186:187]
	v_fmac_f64_e32 v[188:189], v[6:7], v[166:167]
	v_fma_f64 v[166:167], v[4:5], v[166:167], -v[168:169]
	v_fmac_f64_e32 v[156:157], v[176:177], v[130:131]
	v_fma_f64 v[130:131], v[174:175], v[130:131], -v[132:133]
	v_add_f64_e32 v[168:169], v[10:11], v[8:9]
	v_add_f64_e32 v[154:155], v[154:155], v[184:185]
	ds_load_b128 v[4:7], v2 offset:1664
	ds_load_b128 v[8:11], v2 offset:1680
	s_wait_loadcnt_dscnt 0x701
	v_mul_f64_e32 v[178:179], v[4:5], v[160:161]
	v_mul_f64_e32 v[160:161], v[6:7], v[160:161]
	v_add_f64_e32 v[132:133], v[168:169], v[166:167]
	v_add_f64_e32 v[154:155], v[154:155], v[188:189]
	s_wait_loadcnt_dscnt 0x600
	v_mul_f64_e32 v[166:167], v[8:9], v[128:129]
	v_mul_f64_e32 v[168:169], v[10:11], v[128:129]
	v_fmac_f64_e32 v[178:179], v[6:7], v[158:159]
	v_fma_f64 v[158:159], v[4:5], v[158:159], -v[160:161]
	v_add_f64_e32 v[132:133], v[132:133], v[130:131]
	v_add_f64_e32 v[154:155], v[154:155], v[156:157]
	ds_load_b128 v[4:7], v2 offset:1696
	ds_load_b128 v[128:131], v2 offset:1712
	v_fmac_f64_e32 v[166:167], v[10:11], v[126:127]
	v_fma_f64 v[8:9], v[8:9], v[126:127], -v[168:169]
	s_wait_loadcnt_dscnt 0x501
	v_mul_f64_e32 v[156:157], v[4:5], v[144:145]
	v_mul_f64_e32 v[144:145], v[6:7], v[144:145]
	v_add_f64_e32 v[10:11], v[132:133], v[158:159]
	v_add_f64_e32 v[126:127], v[154:155], v[178:179]
	s_wait_loadcnt_dscnt 0x400
	v_mul_f64_e32 v[132:133], v[128:129], v[136:137]
	v_mul_f64_e32 v[136:137], v[130:131], v[136:137]
	v_fmac_f64_e32 v[156:157], v[6:7], v[142:143]
	v_fma_f64 v[142:143], v[4:5], v[142:143], -v[144:145]
	v_add_f64_e32 v[144:145], v[10:11], v[8:9]
	v_add_f64_e32 v[126:127], v[126:127], v[166:167]
	ds_load_b128 v[4:7], v2 offset:1728
	ds_load_b128 v[8:11], v2 offset:1744
	v_fmac_f64_e32 v[132:133], v[130:131], v[134:135]
	v_fma_f64 v[128:129], v[128:129], v[134:135], -v[136:137]
	s_wait_loadcnt_dscnt 0x301
	v_mul_f64_e32 v[154:155], v[4:5], v[152:153]
	v_mul_f64_e32 v[152:153], v[6:7], v[152:153]
	s_wait_loadcnt_dscnt 0x200
	v_mul_f64_e32 v[134:135], v[8:9], v[140:141]
	v_mul_f64_e32 v[136:137], v[10:11], v[140:141]
	v_add_f64_e32 v[130:131], v[144:145], v[142:143]
	v_add_f64_e32 v[126:127], v[126:127], v[156:157]
	v_fmac_f64_e32 v[154:155], v[6:7], v[150:151]
	v_fma_f64 v[140:141], v[4:5], v[150:151], -v[152:153]
	v_fmac_f64_e32 v[134:135], v[10:11], v[138:139]
	v_fma_f64 v[8:9], v[8:9], v[138:139], -v[136:137]
	v_add_f64_e32 v[130:131], v[130:131], v[128:129]
	v_add_f64_e32 v[132:133], v[126:127], v[132:133]
	ds_load_b128 v[4:7], v2 offset:1760
	ds_load_b128 v[126:129], v2 offset:1776
	s_wait_loadcnt_dscnt 0x101
	v_mul_f64_e32 v[2:3], v[4:5], v[164:165]
	v_mul_f64_e32 v[142:143], v[6:7], v[164:165]
	s_wait_loadcnt_dscnt 0x0
	v_mul_f64_e32 v[136:137], v[128:129], v[148:149]
	v_add_f64_e32 v[10:11], v[130:131], v[140:141]
	v_add_f64_e32 v[130:131], v[132:133], v[154:155]
	v_mul_f64_e32 v[132:133], v[126:127], v[148:149]
	v_fmac_f64_e32 v[2:3], v[6:7], v[162:163]
	v_fma_f64 v[4:5], v[4:5], v[162:163], -v[142:143]
	v_add_f64_e32 v[6:7], v[10:11], v[8:9]
	v_add_f64_e32 v[8:9], v[130:131], v[134:135]
	v_fmac_f64_e32 v[132:133], v[128:129], v[146:147]
	v_fma_f64 v[10:11], v[126:127], v[146:147], -v[136:137]
	s_delay_alu instid0(VALU_DEP_4) | instskip(NEXT) | instid1(VALU_DEP_4)
	v_add_f64_e32 v[4:5], v[6:7], v[4:5]
	v_add_f64_e32 v[2:3], v[8:9], v[2:3]
	s_delay_alu instid0(VALU_DEP_2) | instskip(NEXT) | instid1(VALU_DEP_2)
	v_add_f64_e32 v[4:5], v[4:5], v[10:11]
	v_add_f64_e32 v[6:7], v[2:3], v[132:133]
	s_delay_alu instid0(VALU_DEP_2) | instskip(NEXT) | instid1(VALU_DEP_2)
	v_add_f64_e64 v[2:3], v[170:171], -v[4:5]
	v_add_f64_e64 v[4:5], v[172:173], -v[6:7]
	scratch_store_b128 off, v[2:5], off offset:496
	s_wait_xcnt 0x0
	v_cmpx_lt_u32_e32 30, v1
	s_cbranch_execz .LBB119_289
; %bb.288:
	scratch_load_b128 v[2:5], off, s42
	v_mov_b32_e32 v6, 0
	s_delay_alu instid0(VALU_DEP_1)
	v_dual_mov_b32 v7, v6 :: v_dual_mov_b32 v8, v6
	v_mov_b32_e32 v9, v6
	scratch_store_b128 off, v[6:9], off offset:480
	s_wait_loadcnt 0x0
	ds_store_b128 v12, v[2:5]
.LBB119_289:
	s_wait_xcnt 0x0
	s_or_b32 exec_lo, exec_lo, s2
	s_wait_storecnt_dscnt 0x0
	s_barrier_signal -1
	s_barrier_wait -1
	s_clause 0x9
	scratch_load_b128 v[4:7], off, off offset:496
	scratch_load_b128 v[8:11], off, off offset:512
	;; [unrolled: 1-line block ×10, first 2 shown]
	v_mov_b32_e32 v2, 0
	s_mov_b32 s2, exec_lo
	ds_load_b128 v[158:161], v2 offset:1392
	s_clause 0x2
	scratch_load_b128 v[162:165], off, off offset:656
	scratch_load_b128 v[166:169], off, off offset:480
	;; [unrolled: 1-line block ×3, first 2 shown]
	s_wait_loadcnt_dscnt 0xc00
	v_mul_f64_e32 v[178:179], v[160:161], v[6:7]
	v_mul_f64_e32 v[182:183], v[158:159], v[6:7]
	ds_load_b128 v[170:173], v2 offset:1408
	v_fma_f64 v[186:187], v[158:159], v[4:5], -v[178:179]
	v_fmac_f64_e32 v[182:183], v[160:161], v[4:5]
	ds_load_b128 v[4:7], v2 offset:1424
	s_wait_loadcnt_dscnt 0xb01
	v_mul_f64_e32 v[184:185], v[170:171], v[10:11]
	v_mul_f64_e32 v[10:11], v[172:173], v[10:11]
	scratch_load_b128 v[158:161], off, off offset:688
	ds_load_b128 v[178:181], v2 offset:1440
	s_wait_loadcnt_dscnt 0xb01
	v_mul_f64_e32 v[188:189], v[4:5], v[128:129]
	v_mul_f64_e32 v[128:129], v[6:7], v[128:129]
	v_add_f64_e32 v[182:183], 0, v[182:183]
	v_fmac_f64_e32 v[184:185], v[172:173], v[8:9]
	v_fma_f64 v[170:171], v[170:171], v[8:9], -v[10:11]
	v_add_f64_e32 v[172:173], 0, v[186:187]
	scratch_load_b128 v[8:11], off, off offset:704
	v_fmac_f64_e32 v[188:189], v[6:7], v[126:127]
	v_fma_f64 v[190:191], v[4:5], v[126:127], -v[128:129]
	ds_load_b128 v[4:7], v2 offset:1456
	s_wait_loadcnt_dscnt 0xb01
	v_mul_f64_e32 v[186:187], v[178:179], v[132:133]
	v_mul_f64_e32 v[132:133], v[180:181], v[132:133]
	scratch_load_b128 v[126:129], off, off offset:720
	v_add_f64_e32 v[182:183], v[182:183], v[184:185]
	v_add_f64_e32 v[192:193], v[172:173], v[170:171]
	ds_load_b128 v[170:173], v2 offset:1472
	s_wait_loadcnt_dscnt 0xb01
	v_mul_f64_e32 v[184:185], v[4:5], v[136:137]
	v_mul_f64_e32 v[136:137], v[6:7], v[136:137]
	v_fmac_f64_e32 v[186:187], v[180:181], v[130:131]
	v_fma_f64 v[178:179], v[178:179], v[130:131], -v[132:133]
	scratch_load_b128 v[130:133], off, off offset:736
	v_add_f64_e32 v[182:183], v[182:183], v[188:189]
	v_add_f64_e32 v[180:181], v[192:193], v[190:191]
	v_fmac_f64_e32 v[184:185], v[6:7], v[134:135]
	v_fma_f64 v[190:191], v[4:5], v[134:135], -v[136:137]
	ds_load_b128 v[4:7], v2 offset:1488
	s_wait_loadcnt_dscnt 0xb01
	v_mul_f64_e32 v[188:189], v[170:171], v[140:141]
	v_mul_f64_e32 v[140:141], v[172:173], v[140:141]
	scratch_load_b128 v[134:137], off, off offset:752
	v_add_f64_e32 v[182:183], v[182:183], v[186:187]
	s_wait_loadcnt_dscnt 0xb00
	v_mul_f64_e32 v[186:187], v[4:5], v[144:145]
	v_add_f64_e32 v[192:193], v[180:181], v[178:179]
	v_mul_f64_e32 v[144:145], v[6:7], v[144:145]
	ds_load_b128 v[178:181], v2 offset:1504
	v_fmac_f64_e32 v[188:189], v[172:173], v[138:139]
	v_fma_f64 v[170:171], v[170:171], v[138:139], -v[140:141]
	scratch_load_b128 v[138:141], off, off offset:768
	v_add_f64_e32 v[182:183], v[182:183], v[184:185]
	v_fmac_f64_e32 v[186:187], v[6:7], v[142:143]
	v_add_f64_e32 v[172:173], v[192:193], v[190:191]
	v_fma_f64 v[190:191], v[4:5], v[142:143], -v[144:145]
	ds_load_b128 v[4:7], v2 offset:1520
	s_wait_loadcnt_dscnt 0xb01
	v_mul_f64_e32 v[184:185], v[178:179], v[148:149]
	v_mul_f64_e32 v[148:149], v[180:181], v[148:149]
	scratch_load_b128 v[142:145], off, off offset:784
	v_add_f64_e32 v[182:183], v[182:183], v[188:189]
	s_wait_loadcnt_dscnt 0xb00
	v_mul_f64_e32 v[188:189], v[4:5], v[152:153]
	v_add_f64_e32 v[192:193], v[172:173], v[170:171]
	v_mul_f64_e32 v[152:153], v[6:7], v[152:153]
	ds_load_b128 v[170:173], v2 offset:1536
	v_fmac_f64_e32 v[184:185], v[180:181], v[146:147]
	v_fma_f64 v[178:179], v[178:179], v[146:147], -v[148:149]
	scratch_load_b128 v[146:149], off, off offset:800
	v_add_f64_e32 v[182:183], v[182:183], v[186:187]
	v_fmac_f64_e32 v[188:189], v[6:7], v[150:151]
	v_add_f64_e32 v[180:181], v[192:193], v[190:191]
	;; [unrolled: 18-line block ×3, first 2 shown]
	v_fma_f64 v[190:191], v[4:5], v[162:163], -v[164:165]
	ds_load_b128 v[4:7], v2 offset:1584
	s_wait_loadcnt_dscnt 0xa01
	v_mul_f64_e32 v[188:189], v[178:179], v[176:177]
	v_mul_f64_e32 v[176:177], v[180:181], v[176:177]
	scratch_load_b128 v[162:165], off, off offset:848
	v_add_f64_e32 v[182:183], v[182:183], v[186:187]
	v_add_f64_e32 v[192:193], v[172:173], v[170:171]
	s_wait_loadcnt_dscnt 0xa00
	v_mul_f64_e32 v[186:187], v[4:5], v[160:161]
	v_mul_f64_e32 v[160:161], v[6:7], v[160:161]
	v_fmac_f64_e32 v[188:189], v[180:181], v[174:175]
	v_fma_f64 v[178:179], v[178:179], v[174:175], -v[176:177]
	ds_load_b128 v[170:173], v2 offset:1600
	scratch_load_b128 v[174:177], off, off offset:864
	v_add_f64_e32 v[182:183], v[182:183], v[184:185]
	v_add_f64_e32 v[180:181], v[192:193], v[190:191]
	v_fmac_f64_e32 v[186:187], v[6:7], v[158:159]
	v_fma_f64 v[190:191], v[4:5], v[158:159], -v[160:161]
	ds_load_b128 v[4:7], v2 offset:1616
	s_wait_loadcnt_dscnt 0xa01
	v_mul_f64_e32 v[184:185], v[170:171], v[10:11]
	v_mul_f64_e32 v[10:11], v[172:173], v[10:11]
	scratch_load_b128 v[158:161], off, off offset:880
	v_add_f64_e32 v[182:183], v[182:183], v[188:189]
	s_wait_loadcnt_dscnt 0xa00
	v_mul_f64_e32 v[188:189], v[4:5], v[128:129]
	v_add_f64_e32 v[192:193], v[180:181], v[178:179]
	v_mul_f64_e32 v[128:129], v[6:7], v[128:129]
	ds_load_b128 v[178:181], v2 offset:1632
	v_fmac_f64_e32 v[184:185], v[172:173], v[8:9]
	v_fma_f64 v[8:9], v[170:171], v[8:9], -v[10:11]
	s_wait_loadcnt_dscnt 0x900
	v_mul_f64_e32 v[172:173], v[178:179], v[132:133]
	v_mul_f64_e32 v[132:133], v[180:181], v[132:133]
	v_add_f64_e32 v[170:171], v[182:183], v[186:187]
	v_fmac_f64_e32 v[188:189], v[6:7], v[126:127]
	v_add_f64_e32 v[10:11], v[192:193], v[190:191]
	v_fma_f64 v[126:127], v[4:5], v[126:127], -v[128:129]
	v_fmac_f64_e32 v[172:173], v[180:181], v[130:131]
	v_fma_f64 v[130:131], v[178:179], v[130:131], -v[132:133]
	v_add_f64_e32 v[170:171], v[170:171], v[184:185]
	v_add_f64_e32 v[128:129], v[10:11], v[8:9]
	ds_load_b128 v[4:7], v2 offset:1648
	ds_load_b128 v[8:11], v2 offset:1664
	s_wait_loadcnt_dscnt 0x801
	v_mul_f64_e32 v[182:183], v[4:5], v[136:137]
	v_mul_f64_e32 v[136:137], v[6:7], v[136:137]
	s_wait_loadcnt_dscnt 0x700
	v_mul_f64_e32 v[132:133], v[8:9], v[140:141]
	v_mul_f64_e32 v[140:141], v[10:11], v[140:141]
	v_add_f64_e32 v[126:127], v[128:129], v[126:127]
	v_add_f64_e32 v[128:129], v[170:171], v[188:189]
	v_fmac_f64_e32 v[182:183], v[6:7], v[134:135]
	v_fma_f64 v[134:135], v[4:5], v[134:135], -v[136:137]
	v_fmac_f64_e32 v[132:133], v[10:11], v[138:139]
	v_fma_f64 v[8:9], v[8:9], v[138:139], -v[140:141]
	v_add_f64_e32 v[130:131], v[126:127], v[130:131]
	v_add_f64_e32 v[136:137], v[128:129], v[172:173]
	ds_load_b128 v[4:7], v2 offset:1680
	ds_load_b128 v[126:129], v2 offset:1696
	s_wait_loadcnt_dscnt 0x601
	v_mul_f64_e32 v[170:171], v[4:5], v[144:145]
	v_mul_f64_e32 v[144:145], v[6:7], v[144:145]
	v_add_f64_e32 v[10:11], v[130:131], v[134:135]
	v_add_f64_e32 v[130:131], v[136:137], v[182:183]
	s_wait_loadcnt_dscnt 0x500
	v_mul_f64_e32 v[134:135], v[126:127], v[148:149]
	v_mul_f64_e32 v[136:137], v[128:129], v[148:149]
	v_fmac_f64_e32 v[170:171], v[6:7], v[142:143]
	v_fma_f64 v[138:139], v[4:5], v[142:143], -v[144:145]
	v_add_f64_e32 v[140:141], v[10:11], v[8:9]
	v_add_f64_e32 v[130:131], v[130:131], v[132:133]
	ds_load_b128 v[4:7], v2 offset:1712
	ds_load_b128 v[8:11], v2 offset:1728
	v_fmac_f64_e32 v[134:135], v[128:129], v[146:147]
	v_fma_f64 v[126:127], v[126:127], v[146:147], -v[136:137]
	s_wait_loadcnt_dscnt 0x401
	v_mul_f64_e32 v[132:133], v[4:5], v[152:153]
	v_mul_f64_e32 v[142:143], v[6:7], v[152:153]
	s_wait_loadcnt_dscnt 0x300
	v_mul_f64_e32 v[136:137], v[8:9], v[156:157]
	v_add_f64_e32 v[128:129], v[140:141], v[138:139]
	v_add_f64_e32 v[130:131], v[130:131], v[170:171]
	v_mul_f64_e32 v[138:139], v[10:11], v[156:157]
	v_fmac_f64_e32 v[132:133], v[6:7], v[150:151]
	v_fma_f64 v[140:141], v[4:5], v[150:151], -v[142:143]
	v_fmac_f64_e32 v[136:137], v[10:11], v[154:155]
	v_add_f64_e32 v[142:143], v[128:129], v[126:127]
	v_add_f64_e32 v[130:131], v[130:131], v[134:135]
	ds_load_b128 v[4:7], v2 offset:1744
	ds_load_b128 v[126:129], v2 offset:1760
	v_fma_f64 v[8:9], v[8:9], v[154:155], -v[138:139]
	s_wait_loadcnt_dscnt 0x201
	v_mul_f64_e32 v[134:135], v[4:5], v[164:165]
	v_mul_f64_e32 v[144:145], v[6:7], v[164:165]
	s_wait_loadcnt_dscnt 0x100
	v_mul_f64_e32 v[138:139], v[128:129], v[176:177]
	v_add_f64_e32 v[10:11], v[142:143], v[140:141]
	v_add_f64_e32 v[130:131], v[130:131], v[132:133]
	v_mul_f64_e32 v[132:133], v[126:127], v[176:177]
	v_fmac_f64_e32 v[134:135], v[6:7], v[162:163]
	v_fma_f64 v[140:141], v[4:5], v[162:163], -v[144:145]
	ds_load_b128 v[4:7], v2 offset:1776
	v_fma_f64 v[126:127], v[126:127], v[174:175], -v[138:139]
	v_add_f64_e32 v[8:9], v[10:11], v[8:9]
	v_add_f64_e32 v[10:11], v[130:131], v[136:137]
	v_fmac_f64_e32 v[132:133], v[128:129], v[174:175]
	s_wait_loadcnt_dscnt 0x0
	v_mul_f64_e32 v[130:131], v[4:5], v[160:161]
	v_mul_f64_e32 v[136:137], v[6:7], v[160:161]
	v_add_f64_e32 v[8:9], v[8:9], v[140:141]
	v_add_f64_e32 v[10:11], v[10:11], v[134:135]
	s_delay_alu instid0(VALU_DEP_4) | instskip(NEXT) | instid1(VALU_DEP_4)
	v_fmac_f64_e32 v[130:131], v[6:7], v[158:159]
	v_fma_f64 v[4:5], v[4:5], v[158:159], -v[136:137]
	s_delay_alu instid0(VALU_DEP_4) | instskip(NEXT) | instid1(VALU_DEP_4)
	v_add_f64_e32 v[6:7], v[8:9], v[126:127]
	v_add_f64_e32 v[8:9], v[10:11], v[132:133]
	s_delay_alu instid0(VALU_DEP_2) | instskip(NEXT) | instid1(VALU_DEP_2)
	v_add_f64_e32 v[4:5], v[6:7], v[4:5]
	v_add_f64_e32 v[6:7], v[8:9], v[130:131]
	s_delay_alu instid0(VALU_DEP_2) | instskip(NEXT) | instid1(VALU_DEP_2)
	v_add_f64_e64 v[4:5], v[166:167], -v[4:5]
	v_add_f64_e64 v[6:7], v[168:169], -v[6:7]
	scratch_store_b128 off, v[4:7], off offset:480
	s_wait_xcnt 0x0
	v_cmpx_lt_u32_e32 29, v1
	s_cbranch_execz .LBB119_291
; %bb.290:
	scratch_load_b128 v[6:9], off, s43
	v_dual_mov_b32 v3, v2 :: v_dual_mov_b32 v4, v2
	v_mov_b32_e32 v5, v2
	scratch_store_b128 off, v[2:5], off offset:464
	s_wait_loadcnt 0x0
	ds_store_b128 v12, v[6:9]
.LBB119_291:
	s_wait_xcnt 0x0
	s_or_b32 exec_lo, exec_lo, s2
	s_wait_storecnt_dscnt 0x0
	s_barrier_signal -1
	s_barrier_wait -1
	s_clause 0x9
	scratch_load_b128 v[4:7], off, off offset:480
	scratch_load_b128 v[8:11], off, off offset:496
	;; [unrolled: 1-line block ×10, first 2 shown]
	ds_load_b128 v[158:161], v2 offset:1376
	ds_load_b128 v[166:169], v2 offset:1392
	s_clause 0x2
	scratch_load_b128 v[162:165], off, off offset:640
	scratch_load_b128 v[170:173], off, off offset:464
	;; [unrolled: 1-line block ×3, first 2 shown]
	s_mov_b32 s2, exec_lo
	s_wait_loadcnt_dscnt 0xc01
	v_mul_f64_e32 v[178:179], v[160:161], v[6:7]
	v_mul_f64_e32 v[182:183], v[158:159], v[6:7]
	s_wait_loadcnt_dscnt 0xb00
	v_mul_f64_e32 v[184:185], v[166:167], v[10:11]
	v_mul_f64_e32 v[10:11], v[168:169], v[10:11]
	s_delay_alu instid0(VALU_DEP_4) | instskip(NEXT) | instid1(VALU_DEP_4)
	v_fma_f64 v[186:187], v[158:159], v[4:5], -v[178:179]
	v_fmac_f64_e32 v[182:183], v[160:161], v[4:5]
	ds_load_b128 v[4:7], v2 offset:1408
	ds_load_b128 v[158:161], v2 offset:1424
	scratch_load_b128 v[178:181], off, off offset:672
	v_fmac_f64_e32 v[184:185], v[168:169], v[8:9]
	v_fma_f64 v[166:167], v[166:167], v[8:9], -v[10:11]
	scratch_load_b128 v[8:11], off, off offset:688
	s_wait_loadcnt_dscnt 0xc01
	v_mul_f64_e32 v[188:189], v[4:5], v[128:129]
	v_mul_f64_e32 v[128:129], v[6:7], v[128:129]
	v_add_f64_e32 v[168:169], 0, v[186:187]
	v_add_f64_e32 v[182:183], 0, v[182:183]
	s_wait_loadcnt_dscnt 0xb00
	v_mul_f64_e32 v[186:187], v[158:159], v[132:133]
	v_mul_f64_e32 v[132:133], v[160:161], v[132:133]
	v_fmac_f64_e32 v[188:189], v[6:7], v[126:127]
	v_fma_f64 v[190:191], v[4:5], v[126:127], -v[128:129]
	ds_load_b128 v[4:7], v2 offset:1440
	ds_load_b128 v[126:129], v2 offset:1456
	v_add_f64_e32 v[192:193], v[168:169], v[166:167]
	v_add_f64_e32 v[182:183], v[182:183], v[184:185]
	scratch_load_b128 v[166:169], off, off offset:704
	v_fmac_f64_e32 v[186:187], v[160:161], v[130:131]
	v_fma_f64 v[158:159], v[158:159], v[130:131], -v[132:133]
	scratch_load_b128 v[130:133], off, off offset:720
	s_wait_loadcnt_dscnt 0xc01
	v_mul_f64_e32 v[184:185], v[4:5], v[136:137]
	v_mul_f64_e32 v[136:137], v[6:7], v[136:137]
	v_add_f64_e32 v[160:161], v[192:193], v[190:191]
	v_add_f64_e32 v[182:183], v[182:183], v[188:189]
	s_wait_loadcnt_dscnt 0xb00
	v_mul_f64_e32 v[188:189], v[126:127], v[140:141]
	v_mul_f64_e32 v[140:141], v[128:129], v[140:141]
	v_fmac_f64_e32 v[184:185], v[6:7], v[134:135]
	v_fma_f64 v[190:191], v[4:5], v[134:135], -v[136:137]
	ds_load_b128 v[4:7], v2 offset:1472
	ds_load_b128 v[134:137], v2 offset:1488
	v_add_f64_e32 v[192:193], v[160:161], v[158:159]
	v_add_f64_e32 v[182:183], v[182:183], v[186:187]
	scratch_load_b128 v[158:161], off, off offset:736
	s_wait_loadcnt_dscnt 0xb01
	v_mul_f64_e32 v[186:187], v[4:5], v[144:145]
	v_mul_f64_e32 v[144:145], v[6:7], v[144:145]
	v_fmac_f64_e32 v[188:189], v[128:129], v[138:139]
	v_fma_f64 v[138:139], v[126:127], v[138:139], -v[140:141]
	scratch_load_b128 v[126:129], off, off offset:752
	v_add_f64_e32 v[140:141], v[192:193], v[190:191]
	v_add_f64_e32 v[182:183], v[182:183], v[184:185]
	s_wait_loadcnt_dscnt 0xb00
	v_mul_f64_e32 v[184:185], v[134:135], v[148:149]
	v_mul_f64_e32 v[148:149], v[136:137], v[148:149]
	v_fmac_f64_e32 v[186:187], v[6:7], v[142:143]
	v_fma_f64 v[190:191], v[4:5], v[142:143], -v[144:145]
	v_add_f64_e32 v[192:193], v[140:141], v[138:139]
	v_add_f64_e32 v[182:183], v[182:183], v[188:189]
	ds_load_b128 v[4:7], v2 offset:1504
	ds_load_b128 v[138:141], v2 offset:1520
	scratch_load_b128 v[142:145], off, off offset:768
	v_fmac_f64_e32 v[184:185], v[136:137], v[146:147]
	v_fma_f64 v[146:147], v[134:135], v[146:147], -v[148:149]
	scratch_load_b128 v[134:137], off, off offset:784
	s_wait_loadcnt_dscnt 0xc01
	v_mul_f64_e32 v[188:189], v[4:5], v[152:153]
	v_mul_f64_e32 v[152:153], v[6:7], v[152:153]
	v_add_f64_e32 v[148:149], v[192:193], v[190:191]
	v_add_f64_e32 v[182:183], v[182:183], v[186:187]
	s_wait_loadcnt_dscnt 0xb00
	v_mul_f64_e32 v[186:187], v[138:139], v[156:157]
	v_mul_f64_e32 v[156:157], v[140:141], v[156:157]
	v_fmac_f64_e32 v[188:189], v[6:7], v[150:151]
	v_fma_f64 v[190:191], v[4:5], v[150:151], -v[152:153]
	v_add_f64_e32 v[192:193], v[148:149], v[146:147]
	v_add_f64_e32 v[182:183], v[182:183], v[184:185]
	ds_load_b128 v[4:7], v2 offset:1536
	ds_load_b128 v[146:149], v2 offset:1552
	scratch_load_b128 v[150:153], off, off offset:800
	v_fmac_f64_e32 v[186:187], v[140:141], v[154:155]
	v_fma_f64 v[154:155], v[138:139], v[154:155], -v[156:157]
	scratch_load_b128 v[138:141], off, off offset:816
	s_wait_loadcnt_dscnt 0xc01
	v_mul_f64_e32 v[184:185], v[4:5], v[164:165]
	v_mul_f64_e32 v[164:165], v[6:7], v[164:165]
	v_add_f64_e32 v[156:157], v[192:193], v[190:191]
	v_add_f64_e32 v[182:183], v[182:183], v[188:189]
	s_wait_loadcnt_dscnt 0xa00
	v_mul_f64_e32 v[188:189], v[146:147], v[176:177]
	v_mul_f64_e32 v[176:177], v[148:149], v[176:177]
	v_fmac_f64_e32 v[184:185], v[6:7], v[162:163]
	v_fma_f64 v[190:191], v[4:5], v[162:163], -v[164:165]
	v_add_f64_e32 v[192:193], v[156:157], v[154:155]
	v_add_f64_e32 v[182:183], v[182:183], v[186:187]
	ds_load_b128 v[4:7], v2 offset:1568
	ds_load_b128 v[154:157], v2 offset:1584
	scratch_load_b128 v[162:165], off, off offset:832
	v_fmac_f64_e32 v[188:189], v[148:149], v[174:175]
	v_fma_f64 v[174:175], v[146:147], v[174:175], -v[176:177]
	scratch_load_b128 v[146:149], off, off offset:848
	s_wait_loadcnt_dscnt 0xb01
	v_mul_f64_e32 v[186:187], v[4:5], v[180:181]
	v_mul_f64_e32 v[180:181], v[6:7], v[180:181]
	v_add_f64_e32 v[176:177], v[192:193], v[190:191]
	v_add_f64_e32 v[182:183], v[182:183], v[184:185]
	s_wait_loadcnt_dscnt 0xa00
	v_mul_f64_e32 v[184:185], v[154:155], v[10:11]
	v_mul_f64_e32 v[10:11], v[156:157], v[10:11]
	v_fmac_f64_e32 v[186:187], v[6:7], v[178:179]
	v_fma_f64 v[190:191], v[4:5], v[178:179], -v[180:181]
	v_add_f64_e32 v[192:193], v[176:177], v[174:175]
	v_add_f64_e32 v[182:183], v[182:183], v[188:189]
	ds_load_b128 v[4:7], v2 offset:1600
	ds_load_b128 v[174:177], v2 offset:1616
	scratch_load_b128 v[178:181], off, off offset:864
	v_fmac_f64_e32 v[184:185], v[156:157], v[8:9]
	v_fma_f64 v[154:155], v[154:155], v[8:9], -v[10:11]
	scratch_load_b128 v[8:11], off, off offset:880
	s_wait_loadcnt_dscnt 0xb01
	v_mul_f64_e32 v[188:189], v[4:5], v[168:169]
	v_mul_f64_e32 v[168:169], v[6:7], v[168:169]
	v_add_f64_e32 v[156:157], v[192:193], v[190:191]
	v_add_f64_e32 v[182:183], v[182:183], v[186:187]
	s_wait_loadcnt_dscnt 0xa00
	v_mul_f64_e32 v[186:187], v[174:175], v[132:133]
	v_mul_f64_e32 v[132:133], v[176:177], v[132:133]
	v_fmac_f64_e32 v[188:189], v[6:7], v[166:167]
	v_fma_f64 v[166:167], v[4:5], v[166:167], -v[168:169]
	v_add_f64_e32 v[168:169], v[156:157], v[154:155]
	v_add_f64_e32 v[182:183], v[182:183], v[184:185]
	ds_load_b128 v[4:7], v2 offset:1632
	ds_load_b128 v[154:157], v2 offset:1648
	v_fmac_f64_e32 v[186:187], v[176:177], v[130:131]
	v_fma_f64 v[130:131], v[174:175], v[130:131], -v[132:133]
	s_wait_loadcnt_dscnt 0x901
	v_mul_f64_e32 v[184:185], v[4:5], v[160:161]
	v_mul_f64_e32 v[160:161], v[6:7], v[160:161]
	s_wait_loadcnt_dscnt 0x800
	v_mul_f64_e32 v[174:175], v[156:157], v[128:129]
	v_add_f64_e32 v[132:133], v[168:169], v[166:167]
	v_add_f64_e32 v[166:167], v[182:183], v[188:189]
	v_mul_f64_e32 v[168:169], v[154:155], v[128:129]
	v_fmac_f64_e32 v[184:185], v[6:7], v[158:159]
	v_fma_f64 v[158:159], v[4:5], v[158:159], -v[160:161]
	v_add_f64_e32 v[132:133], v[132:133], v[130:131]
	v_add_f64_e32 v[160:161], v[166:167], v[186:187]
	ds_load_b128 v[4:7], v2 offset:1664
	ds_load_b128 v[128:131], v2 offset:1680
	v_fmac_f64_e32 v[168:169], v[156:157], v[126:127]
	v_fma_f64 v[126:127], v[154:155], v[126:127], -v[174:175]
	s_wait_loadcnt_dscnt 0x701
	v_mul_f64_e32 v[166:167], v[4:5], v[144:145]
	v_mul_f64_e32 v[144:145], v[6:7], v[144:145]
	s_wait_loadcnt_dscnt 0x600
	v_mul_f64_e32 v[156:157], v[128:129], v[136:137]
	v_mul_f64_e32 v[136:137], v[130:131], v[136:137]
	v_add_f64_e32 v[132:133], v[132:133], v[158:159]
	v_add_f64_e32 v[154:155], v[160:161], v[184:185]
	v_fmac_f64_e32 v[166:167], v[6:7], v[142:143]
	v_fma_f64 v[158:159], v[4:5], v[142:143], -v[144:145]
	ds_load_b128 v[4:7], v2 offset:1696
	ds_load_b128 v[142:145], v2 offset:1712
	v_fmac_f64_e32 v[156:157], v[130:131], v[134:135]
	v_fma_f64 v[128:129], v[128:129], v[134:135], -v[136:137]
	v_add_f64_e32 v[126:127], v[132:133], v[126:127]
	v_add_f64_e32 v[132:133], v[154:155], v[168:169]
	s_wait_loadcnt_dscnt 0x501
	v_mul_f64_e32 v[154:155], v[4:5], v[152:153]
	v_mul_f64_e32 v[152:153], v[6:7], v[152:153]
	s_wait_loadcnt_dscnt 0x400
	v_mul_f64_e32 v[134:135], v[144:145], v[140:141]
	v_add_f64_e32 v[126:127], v[126:127], v[158:159]
	v_add_f64_e32 v[130:131], v[132:133], v[166:167]
	v_mul_f64_e32 v[132:133], v[142:143], v[140:141]
	v_fmac_f64_e32 v[154:155], v[6:7], v[150:151]
	v_fma_f64 v[136:137], v[4:5], v[150:151], -v[152:153]
	v_fma_f64 v[134:135], v[142:143], v[138:139], -v[134:135]
	v_add_f64_e32 v[140:141], v[126:127], v[128:129]
	v_add_f64_e32 v[130:131], v[130:131], v[156:157]
	ds_load_b128 v[4:7], v2 offset:1728
	ds_load_b128 v[126:129], v2 offset:1744
	v_fmac_f64_e32 v[132:133], v[144:145], v[138:139]
	s_wait_loadcnt_dscnt 0x301
	v_mul_f64_e32 v[150:151], v[4:5], v[164:165]
	v_mul_f64_e32 v[152:153], v[6:7], v[164:165]
	s_wait_loadcnt_dscnt 0x200
	v_mul_f64_e32 v[138:139], v[126:127], v[148:149]
	v_add_f64_e32 v[136:137], v[140:141], v[136:137]
	v_add_f64_e32 v[130:131], v[130:131], v[154:155]
	v_mul_f64_e32 v[140:141], v[128:129], v[148:149]
	v_fmac_f64_e32 v[150:151], v[6:7], v[162:163]
	v_fma_f64 v[142:143], v[4:5], v[162:163], -v[152:153]
	v_fmac_f64_e32 v[138:139], v[128:129], v[146:147]
	v_add_f64_e32 v[134:135], v[136:137], v[134:135]
	v_add_f64_e32 v[136:137], v[130:131], v[132:133]
	ds_load_b128 v[4:7], v2 offset:1760
	ds_load_b128 v[130:133], v2 offset:1776
	v_fma_f64 v[126:127], v[126:127], v[146:147], -v[140:141]
	s_wait_loadcnt_dscnt 0x101
	v_mul_f64_e32 v[2:3], v[4:5], v[180:181]
	v_mul_f64_e32 v[144:145], v[6:7], v[180:181]
	v_add_f64_e32 v[128:129], v[134:135], v[142:143]
	v_add_f64_e32 v[134:135], v[136:137], v[150:151]
	s_wait_loadcnt_dscnt 0x0
	v_mul_f64_e32 v[136:137], v[130:131], v[10:11]
	v_mul_f64_e32 v[10:11], v[132:133], v[10:11]
	v_fmac_f64_e32 v[2:3], v[6:7], v[178:179]
	v_fma_f64 v[4:5], v[4:5], v[178:179], -v[144:145]
	v_add_f64_e32 v[6:7], v[128:129], v[126:127]
	v_add_f64_e32 v[126:127], v[134:135], v[138:139]
	v_fmac_f64_e32 v[136:137], v[132:133], v[8:9]
	v_fma_f64 v[8:9], v[130:131], v[8:9], -v[10:11]
	s_delay_alu instid0(VALU_DEP_4) | instskip(NEXT) | instid1(VALU_DEP_4)
	v_add_f64_e32 v[4:5], v[6:7], v[4:5]
	v_add_f64_e32 v[2:3], v[126:127], v[2:3]
	s_delay_alu instid0(VALU_DEP_2) | instskip(NEXT) | instid1(VALU_DEP_2)
	v_add_f64_e32 v[4:5], v[4:5], v[8:9]
	v_add_f64_e32 v[6:7], v[2:3], v[136:137]
	s_delay_alu instid0(VALU_DEP_2) | instskip(NEXT) | instid1(VALU_DEP_2)
	v_add_f64_e64 v[2:3], v[170:171], -v[4:5]
	v_add_f64_e64 v[4:5], v[172:173], -v[6:7]
	scratch_store_b128 off, v[2:5], off offset:464
	s_wait_xcnt 0x0
	v_cmpx_lt_u32_e32 28, v1
	s_cbranch_execz .LBB119_293
; %bb.292:
	scratch_load_b128 v[2:5], off, s44
	v_mov_b32_e32 v6, 0
	s_delay_alu instid0(VALU_DEP_1)
	v_dual_mov_b32 v7, v6 :: v_dual_mov_b32 v8, v6
	v_mov_b32_e32 v9, v6
	scratch_store_b128 off, v[6:9], off offset:448
	s_wait_loadcnt 0x0
	ds_store_b128 v12, v[2:5]
.LBB119_293:
	s_wait_xcnt 0x0
	s_or_b32 exec_lo, exec_lo, s2
	s_wait_storecnt_dscnt 0x0
	s_barrier_signal -1
	s_barrier_wait -1
	s_clause 0x9
	scratch_load_b128 v[4:7], off, off offset:464
	scratch_load_b128 v[8:11], off, off offset:480
	;; [unrolled: 1-line block ×10, first 2 shown]
	v_mov_b32_e32 v2, 0
	s_mov_b32 s2, exec_lo
	ds_load_b128 v[158:161], v2 offset:1360
	s_clause 0x2
	scratch_load_b128 v[162:165], off, off offset:624
	scratch_load_b128 v[166:169], off, off offset:448
	scratch_load_b128 v[174:177], off, off offset:640
	s_wait_loadcnt_dscnt 0xc00
	v_mul_f64_e32 v[178:179], v[160:161], v[6:7]
	v_mul_f64_e32 v[182:183], v[158:159], v[6:7]
	ds_load_b128 v[170:173], v2 offset:1376
	v_fma_f64 v[186:187], v[158:159], v[4:5], -v[178:179]
	v_fmac_f64_e32 v[182:183], v[160:161], v[4:5]
	ds_load_b128 v[4:7], v2 offset:1392
	s_wait_loadcnt_dscnt 0xb01
	v_mul_f64_e32 v[184:185], v[170:171], v[10:11]
	v_mul_f64_e32 v[10:11], v[172:173], v[10:11]
	scratch_load_b128 v[158:161], off, off offset:656
	ds_load_b128 v[178:181], v2 offset:1408
	s_wait_loadcnt_dscnt 0xb01
	v_mul_f64_e32 v[188:189], v[4:5], v[128:129]
	v_mul_f64_e32 v[128:129], v[6:7], v[128:129]
	v_add_f64_e32 v[182:183], 0, v[182:183]
	v_fmac_f64_e32 v[184:185], v[172:173], v[8:9]
	v_fma_f64 v[170:171], v[170:171], v[8:9], -v[10:11]
	v_add_f64_e32 v[172:173], 0, v[186:187]
	scratch_load_b128 v[8:11], off, off offset:672
	v_fmac_f64_e32 v[188:189], v[6:7], v[126:127]
	v_fma_f64 v[190:191], v[4:5], v[126:127], -v[128:129]
	ds_load_b128 v[4:7], v2 offset:1424
	s_wait_loadcnt_dscnt 0xb01
	v_mul_f64_e32 v[186:187], v[178:179], v[132:133]
	v_mul_f64_e32 v[132:133], v[180:181], v[132:133]
	scratch_load_b128 v[126:129], off, off offset:688
	v_add_f64_e32 v[182:183], v[182:183], v[184:185]
	v_add_f64_e32 v[192:193], v[172:173], v[170:171]
	ds_load_b128 v[170:173], v2 offset:1440
	s_wait_loadcnt_dscnt 0xb01
	v_mul_f64_e32 v[184:185], v[4:5], v[136:137]
	v_mul_f64_e32 v[136:137], v[6:7], v[136:137]
	v_fmac_f64_e32 v[186:187], v[180:181], v[130:131]
	v_fma_f64 v[178:179], v[178:179], v[130:131], -v[132:133]
	scratch_load_b128 v[130:133], off, off offset:704
	v_add_f64_e32 v[182:183], v[182:183], v[188:189]
	v_add_f64_e32 v[180:181], v[192:193], v[190:191]
	v_fmac_f64_e32 v[184:185], v[6:7], v[134:135]
	v_fma_f64 v[190:191], v[4:5], v[134:135], -v[136:137]
	ds_load_b128 v[4:7], v2 offset:1456
	s_wait_loadcnt_dscnt 0xb01
	v_mul_f64_e32 v[188:189], v[170:171], v[140:141]
	v_mul_f64_e32 v[140:141], v[172:173], v[140:141]
	scratch_load_b128 v[134:137], off, off offset:720
	v_add_f64_e32 v[182:183], v[182:183], v[186:187]
	s_wait_loadcnt_dscnt 0xb00
	v_mul_f64_e32 v[186:187], v[4:5], v[144:145]
	v_add_f64_e32 v[192:193], v[180:181], v[178:179]
	v_mul_f64_e32 v[144:145], v[6:7], v[144:145]
	ds_load_b128 v[178:181], v2 offset:1472
	v_fmac_f64_e32 v[188:189], v[172:173], v[138:139]
	v_fma_f64 v[170:171], v[170:171], v[138:139], -v[140:141]
	scratch_load_b128 v[138:141], off, off offset:736
	v_add_f64_e32 v[182:183], v[182:183], v[184:185]
	v_fmac_f64_e32 v[186:187], v[6:7], v[142:143]
	v_add_f64_e32 v[172:173], v[192:193], v[190:191]
	v_fma_f64 v[190:191], v[4:5], v[142:143], -v[144:145]
	ds_load_b128 v[4:7], v2 offset:1488
	s_wait_loadcnt_dscnt 0xb01
	v_mul_f64_e32 v[184:185], v[178:179], v[148:149]
	v_mul_f64_e32 v[148:149], v[180:181], v[148:149]
	scratch_load_b128 v[142:145], off, off offset:752
	v_add_f64_e32 v[182:183], v[182:183], v[188:189]
	s_wait_loadcnt_dscnt 0xb00
	v_mul_f64_e32 v[188:189], v[4:5], v[152:153]
	v_add_f64_e32 v[192:193], v[172:173], v[170:171]
	v_mul_f64_e32 v[152:153], v[6:7], v[152:153]
	ds_load_b128 v[170:173], v2 offset:1504
	v_fmac_f64_e32 v[184:185], v[180:181], v[146:147]
	v_fma_f64 v[178:179], v[178:179], v[146:147], -v[148:149]
	scratch_load_b128 v[146:149], off, off offset:768
	v_add_f64_e32 v[182:183], v[182:183], v[186:187]
	v_fmac_f64_e32 v[188:189], v[6:7], v[150:151]
	v_add_f64_e32 v[180:181], v[192:193], v[190:191]
	;; [unrolled: 18-line block ×3, first 2 shown]
	v_fma_f64 v[190:191], v[4:5], v[162:163], -v[164:165]
	ds_load_b128 v[4:7], v2 offset:1552
	s_wait_loadcnt_dscnt 0xa01
	v_mul_f64_e32 v[188:189], v[178:179], v[176:177]
	v_mul_f64_e32 v[176:177], v[180:181], v[176:177]
	scratch_load_b128 v[162:165], off, off offset:816
	v_add_f64_e32 v[182:183], v[182:183], v[186:187]
	v_add_f64_e32 v[192:193], v[172:173], v[170:171]
	s_wait_loadcnt_dscnt 0xa00
	v_mul_f64_e32 v[186:187], v[4:5], v[160:161]
	v_mul_f64_e32 v[160:161], v[6:7], v[160:161]
	v_fmac_f64_e32 v[188:189], v[180:181], v[174:175]
	v_fma_f64 v[178:179], v[178:179], v[174:175], -v[176:177]
	ds_load_b128 v[170:173], v2 offset:1568
	scratch_load_b128 v[174:177], off, off offset:832
	v_add_f64_e32 v[182:183], v[182:183], v[184:185]
	v_add_f64_e32 v[180:181], v[192:193], v[190:191]
	v_fmac_f64_e32 v[186:187], v[6:7], v[158:159]
	v_fma_f64 v[190:191], v[4:5], v[158:159], -v[160:161]
	ds_load_b128 v[4:7], v2 offset:1584
	s_wait_loadcnt_dscnt 0xa01
	v_mul_f64_e32 v[184:185], v[170:171], v[10:11]
	v_mul_f64_e32 v[10:11], v[172:173], v[10:11]
	scratch_load_b128 v[158:161], off, off offset:848
	v_add_f64_e32 v[182:183], v[182:183], v[188:189]
	s_wait_loadcnt_dscnt 0xa00
	v_mul_f64_e32 v[188:189], v[4:5], v[128:129]
	v_add_f64_e32 v[192:193], v[180:181], v[178:179]
	v_mul_f64_e32 v[128:129], v[6:7], v[128:129]
	ds_load_b128 v[178:181], v2 offset:1600
	v_fmac_f64_e32 v[184:185], v[172:173], v[8:9]
	v_fma_f64 v[170:171], v[170:171], v[8:9], -v[10:11]
	scratch_load_b128 v[8:11], off, off offset:864
	v_add_f64_e32 v[182:183], v[182:183], v[186:187]
	v_fmac_f64_e32 v[188:189], v[6:7], v[126:127]
	v_add_f64_e32 v[172:173], v[192:193], v[190:191]
	v_fma_f64 v[190:191], v[4:5], v[126:127], -v[128:129]
	ds_load_b128 v[4:7], v2 offset:1616
	s_wait_loadcnt_dscnt 0xa01
	v_mul_f64_e32 v[186:187], v[178:179], v[132:133]
	v_mul_f64_e32 v[132:133], v[180:181], v[132:133]
	scratch_load_b128 v[126:129], off, off offset:880
	v_add_f64_e32 v[182:183], v[182:183], v[184:185]
	s_wait_loadcnt_dscnt 0xa00
	v_mul_f64_e32 v[184:185], v[4:5], v[136:137]
	v_add_f64_e32 v[192:193], v[172:173], v[170:171]
	v_mul_f64_e32 v[136:137], v[6:7], v[136:137]
	ds_load_b128 v[170:173], v2 offset:1632
	v_fmac_f64_e32 v[186:187], v[180:181], v[130:131]
	v_fma_f64 v[130:131], v[178:179], v[130:131], -v[132:133]
	s_wait_loadcnt_dscnt 0x900
	v_mul_f64_e32 v[180:181], v[170:171], v[140:141]
	v_mul_f64_e32 v[140:141], v[172:173], v[140:141]
	v_add_f64_e32 v[178:179], v[182:183], v[188:189]
	v_fmac_f64_e32 v[184:185], v[6:7], v[134:135]
	v_add_f64_e32 v[132:133], v[192:193], v[190:191]
	v_fma_f64 v[134:135], v[4:5], v[134:135], -v[136:137]
	v_fmac_f64_e32 v[180:181], v[172:173], v[138:139]
	v_fma_f64 v[138:139], v[170:171], v[138:139], -v[140:141]
	v_add_f64_e32 v[178:179], v[178:179], v[186:187]
	v_add_f64_e32 v[136:137], v[132:133], v[130:131]
	ds_load_b128 v[4:7], v2 offset:1648
	ds_load_b128 v[130:133], v2 offset:1664
	s_wait_loadcnt_dscnt 0x801
	v_mul_f64_e32 v[182:183], v[4:5], v[144:145]
	v_mul_f64_e32 v[144:145], v[6:7], v[144:145]
	s_wait_loadcnt_dscnt 0x700
	v_mul_f64_e32 v[140:141], v[130:131], v[148:149]
	v_mul_f64_e32 v[148:149], v[132:133], v[148:149]
	v_add_f64_e32 v[134:135], v[136:137], v[134:135]
	v_add_f64_e32 v[136:137], v[178:179], v[184:185]
	v_fmac_f64_e32 v[182:183], v[6:7], v[142:143]
	v_fma_f64 v[142:143], v[4:5], v[142:143], -v[144:145]
	v_fmac_f64_e32 v[140:141], v[132:133], v[146:147]
	v_fma_f64 v[130:131], v[130:131], v[146:147], -v[148:149]
	v_add_f64_e32 v[138:139], v[134:135], v[138:139]
	v_add_f64_e32 v[144:145], v[136:137], v[180:181]
	ds_load_b128 v[4:7], v2 offset:1680
	ds_load_b128 v[134:137], v2 offset:1696
	s_wait_loadcnt_dscnt 0x601
	v_mul_f64_e32 v[170:171], v[4:5], v[152:153]
	v_mul_f64_e32 v[152:153], v[6:7], v[152:153]
	v_add_f64_e32 v[132:133], v[138:139], v[142:143]
	v_add_f64_e32 v[138:139], v[144:145], v[182:183]
	s_wait_loadcnt_dscnt 0x500
	v_mul_f64_e32 v[142:143], v[134:135], v[156:157]
	v_mul_f64_e32 v[144:145], v[136:137], v[156:157]
	v_fmac_f64_e32 v[170:171], v[6:7], v[150:151]
	v_fma_f64 v[146:147], v[4:5], v[150:151], -v[152:153]
	v_add_f64_e32 v[148:149], v[132:133], v[130:131]
	v_add_f64_e32 v[138:139], v[138:139], v[140:141]
	ds_load_b128 v[4:7], v2 offset:1712
	ds_load_b128 v[130:133], v2 offset:1728
	v_fmac_f64_e32 v[142:143], v[136:137], v[154:155]
	v_fma_f64 v[134:135], v[134:135], v[154:155], -v[144:145]
	s_wait_loadcnt_dscnt 0x401
	v_mul_f64_e32 v[140:141], v[4:5], v[164:165]
	v_mul_f64_e32 v[150:151], v[6:7], v[164:165]
	s_wait_loadcnt_dscnt 0x300
	v_mul_f64_e32 v[144:145], v[130:131], v[176:177]
	v_add_f64_e32 v[136:137], v[148:149], v[146:147]
	v_add_f64_e32 v[138:139], v[138:139], v[170:171]
	v_mul_f64_e32 v[146:147], v[132:133], v[176:177]
	v_fmac_f64_e32 v[140:141], v[6:7], v[162:163]
	v_fma_f64 v[148:149], v[4:5], v[162:163], -v[150:151]
	v_fmac_f64_e32 v[144:145], v[132:133], v[174:175]
	v_add_f64_e32 v[150:151], v[136:137], v[134:135]
	v_add_f64_e32 v[138:139], v[138:139], v[142:143]
	ds_load_b128 v[4:7], v2 offset:1744
	ds_load_b128 v[134:137], v2 offset:1760
	v_fma_f64 v[130:131], v[130:131], v[174:175], -v[146:147]
	s_wait_loadcnt_dscnt 0x201
	v_mul_f64_e32 v[142:143], v[4:5], v[160:161]
	v_mul_f64_e32 v[152:153], v[6:7], v[160:161]
	v_add_f64_e32 v[132:133], v[150:151], v[148:149]
	v_add_f64_e32 v[138:139], v[138:139], v[140:141]
	s_wait_loadcnt_dscnt 0x100
	v_mul_f64_e32 v[140:141], v[134:135], v[10:11]
	v_mul_f64_e32 v[10:11], v[136:137], v[10:11]
	v_fmac_f64_e32 v[142:143], v[6:7], v[158:159]
	v_fma_f64 v[146:147], v[4:5], v[158:159], -v[152:153]
	ds_load_b128 v[4:7], v2 offset:1776
	v_add_f64_e32 v[130:131], v[132:133], v[130:131]
	v_add_f64_e32 v[132:133], v[138:139], v[144:145]
	v_fmac_f64_e32 v[140:141], v[136:137], v[8:9]
	v_fma_f64 v[8:9], v[134:135], v[8:9], -v[10:11]
	s_wait_loadcnt_dscnt 0x0
	v_mul_f64_e32 v[138:139], v[4:5], v[128:129]
	v_mul_f64_e32 v[128:129], v[6:7], v[128:129]
	v_add_f64_e32 v[10:11], v[130:131], v[146:147]
	v_add_f64_e32 v[130:131], v[132:133], v[142:143]
	s_delay_alu instid0(VALU_DEP_4) | instskip(NEXT) | instid1(VALU_DEP_4)
	v_fmac_f64_e32 v[138:139], v[6:7], v[126:127]
	v_fma_f64 v[4:5], v[4:5], v[126:127], -v[128:129]
	s_delay_alu instid0(VALU_DEP_4) | instskip(NEXT) | instid1(VALU_DEP_4)
	v_add_f64_e32 v[6:7], v[10:11], v[8:9]
	v_add_f64_e32 v[8:9], v[130:131], v[140:141]
	s_delay_alu instid0(VALU_DEP_2) | instskip(NEXT) | instid1(VALU_DEP_2)
	v_add_f64_e32 v[4:5], v[6:7], v[4:5]
	v_add_f64_e32 v[6:7], v[8:9], v[138:139]
	s_delay_alu instid0(VALU_DEP_2) | instskip(NEXT) | instid1(VALU_DEP_2)
	v_add_f64_e64 v[4:5], v[166:167], -v[4:5]
	v_add_f64_e64 v[6:7], v[168:169], -v[6:7]
	scratch_store_b128 off, v[4:7], off offset:448
	s_wait_xcnt 0x0
	v_cmpx_lt_u32_e32 27, v1
	s_cbranch_execz .LBB119_295
; %bb.294:
	scratch_load_b128 v[6:9], off, s45
	v_dual_mov_b32 v3, v2 :: v_dual_mov_b32 v4, v2
	v_mov_b32_e32 v5, v2
	scratch_store_b128 off, v[2:5], off offset:432
	s_wait_loadcnt 0x0
	ds_store_b128 v12, v[6:9]
.LBB119_295:
	s_wait_xcnt 0x0
	s_or_b32 exec_lo, exec_lo, s2
	s_wait_storecnt_dscnt 0x0
	s_barrier_signal -1
	s_barrier_wait -1
	s_clause 0x9
	scratch_load_b128 v[4:7], off, off offset:448
	scratch_load_b128 v[8:11], off, off offset:464
	;; [unrolled: 1-line block ×10, first 2 shown]
	ds_load_b128 v[158:161], v2 offset:1344
	ds_load_b128 v[166:169], v2 offset:1360
	s_clause 0x2
	scratch_load_b128 v[162:165], off, off offset:608
	scratch_load_b128 v[170:173], off, off offset:432
	scratch_load_b128 v[174:177], off, off offset:624
	s_mov_b32 s2, exec_lo
	s_wait_loadcnt_dscnt 0xc01
	v_mul_f64_e32 v[178:179], v[160:161], v[6:7]
	v_mul_f64_e32 v[182:183], v[158:159], v[6:7]
	s_wait_loadcnt_dscnt 0xb00
	v_mul_f64_e32 v[184:185], v[166:167], v[10:11]
	v_mul_f64_e32 v[10:11], v[168:169], v[10:11]
	s_delay_alu instid0(VALU_DEP_4) | instskip(NEXT) | instid1(VALU_DEP_4)
	v_fma_f64 v[186:187], v[158:159], v[4:5], -v[178:179]
	v_fmac_f64_e32 v[182:183], v[160:161], v[4:5]
	ds_load_b128 v[4:7], v2 offset:1376
	ds_load_b128 v[158:161], v2 offset:1392
	scratch_load_b128 v[178:181], off, off offset:640
	v_fmac_f64_e32 v[184:185], v[168:169], v[8:9]
	v_fma_f64 v[166:167], v[166:167], v[8:9], -v[10:11]
	scratch_load_b128 v[8:11], off, off offset:656
	s_wait_loadcnt_dscnt 0xc01
	v_mul_f64_e32 v[188:189], v[4:5], v[128:129]
	v_mul_f64_e32 v[128:129], v[6:7], v[128:129]
	v_add_f64_e32 v[168:169], 0, v[186:187]
	v_add_f64_e32 v[182:183], 0, v[182:183]
	s_wait_loadcnt_dscnt 0xb00
	v_mul_f64_e32 v[186:187], v[158:159], v[132:133]
	v_mul_f64_e32 v[132:133], v[160:161], v[132:133]
	v_fmac_f64_e32 v[188:189], v[6:7], v[126:127]
	v_fma_f64 v[190:191], v[4:5], v[126:127], -v[128:129]
	ds_load_b128 v[4:7], v2 offset:1408
	ds_load_b128 v[126:129], v2 offset:1424
	v_add_f64_e32 v[192:193], v[168:169], v[166:167]
	v_add_f64_e32 v[182:183], v[182:183], v[184:185]
	scratch_load_b128 v[166:169], off, off offset:672
	v_fmac_f64_e32 v[186:187], v[160:161], v[130:131]
	v_fma_f64 v[158:159], v[158:159], v[130:131], -v[132:133]
	scratch_load_b128 v[130:133], off, off offset:688
	s_wait_loadcnt_dscnt 0xc01
	v_mul_f64_e32 v[184:185], v[4:5], v[136:137]
	v_mul_f64_e32 v[136:137], v[6:7], v[136:137]
	v_add_f64_e32 v[160:161], v[192:193], v[190:191]
	v_add_f64_e32 v[182:183], v[182:183], v[188:189]
	s_wait_loadcnt_dscnt 0xb00
	v_mul_f64_e32 v[188:189], v[126:127], v[140:141]
	v_mul_f64_e32 v[140:141], v[128:129], v[140:141]
	v_fmac_f64_e32 v[184:185], v[6:7], v[134:135]
	v_fma_f64 v[190:191], v[4:5], v[134:135], -v[136:137]
	ds_load_b128 v[4:7], v2 offset:1440
	ds_load_b128 v[134:137], v2 offset:1456
	v_add_f64_e32 v[192:193], v[160:161], v[158:159]
	v_add_f64_e32 v[182:183], v[182:183], v[186:187]
	scratch_load_b128 v[158:161], off, off offset:704
	s_wait_loadcnt_dscnt 0xb01
	v_mul_f64_e32 v[186:187], v[4:5], v[144:145]
	v_mul_f64_e32 v[144:145], v[6:7], v[144:145]
	v_fmac_f64_e32 v[188:189], v[128:129], v[138:139]
	v_fma_f64 v[138:139], v[126:127], v[138:139], -v[140:141]
	scratch_load_b128 v[126:129], off, off offset:720
	v_add_f64_e32 v[140:141], v[192:193], v[190:191]
	v_add_f64_e32 v[182:183], v[182:183], v[184:185]
	s_wait_loadcnt_dscnt 0xb00
	v_mul_f64_e32 v[184:185], v[134:135], v[148:149]
	v_mul_f64_e32 v[148:149], v[136:137], v[148:149]
	v_fmac_f64_e32 v[186:187], v[6:7], v[142:143]
	v_fma_f64 v[190:191], v[4:5], v[142:143], -v[144:145]
	v_add_f64_e32 v[192:193], v[140:141], v[138:139]
	v_add_f64_e32 v[182:183], v[182:183], v[188:189]
	ds_load_b128 v[4:7], v2 offset:1472
	ds_load_b128 v[138:141], v2 offset:1488
	scratch_load_b128 v[142:145], off, off offset:736
	v_fmac_f64_e32 v[184:185], v[136:137], v[146:147]
	v_fma_f64 v[146:147], v[134:135], v[146:147], -v[148:149]
	scratch_load_b128 v[134:137], off, off offset:752
	s_wait_loadcnt_dscnt 0xc01
	v_mul_f64_e32 v[188:189], v[4:5], v[152:153]
	v_mul_f64_e32 v[152:153], v[6:7], v[152:153]
	v_add_f64_e32 v[148:149], v[192:193], v[190:191]
	v_add_f64_e32 v[182:183], v[182:183], v[186:187]
	s_wait_loadcnt_dscnt 0xb00
	v_mul_f64_e32 v[186:187], v[138:139], v[156:157]
	v_mul_f64_e32 v[156:157], v[140:141], v[156:157]
	v_fmac_f64_e32 v[188:189], v[6:7], v[150:151]
	v_fma_f64 v[190:191], v[4:5], v[150:151], -v[152:153]
	v_add_f64_e32 v[192:193], v[148:149], v[146:147]
	v_add_f64_e32 v[182:183], v[182:183], v[184:185]
	ds_load_b128 v[4:7], v2 offset:1504
	ds_load_b128 v[146:149], v2 offset:1520
	scratch_load_b128 v[150:153], off, off offset:768
	v_fmac_f64_e32 v[186:187], v[140:141], v[154:155]
	v_fma_f64 v[154:155], v[138:139], v[154:155], -v[156:157]
	scratch_load_b128 v[138:141], off, off offset:784
	s_wait_loadcnt_dscnt 0xc01
	v_mul_f64_e32 v[184:185], v[4:5], v[164:165]
	v_mul_f64_e32 v[164:165], v[6:7], v[164:165]
	;; [unrolled: 18-line block ×5, first 2 shown]
	v_add_f64_e32 v[176:177], v[192:193], v[190:191]
	v_add_f64_e32 v[182:183], v[182:183], v[188:189]
	s_wait_loadcnt_dscnt 0xa00
	v_mul_f64_e32 v[188:189], v[154:155], v[128:129]
	v_mul_f64_e32 v[128:129], v[156:157], v[128:129]
	v_fmac_f64_e32 v[184:185], v[6:7], v[158:159]
	v_fma_f64 v[190:191], v[4:5], v[158:159], -v[160:161]
	ds_load_b128 v[4:7], v2 offset:1632
	ds_load_b128 v[158:161], v2 offset:1648
	v_add_f64_e32 v[174:175], v[176:177], v[174:175]
	v_add_f64_e32 v[176:177], v[182:183], v[186:187]
	v_fmac_f64_e32 v[188:189], v[156:157], v[126:127]
	v_fma_f64 v[126:127], v[154:155], v[126:127], -v[128:129]
	s_wait_loadcnt_dscnt 0x901
	v_mul_f64_e32 v[182:183], v[4:5], v[144:145]
	v_mul_f64_e32 v[144:145], v[6:7], v[144:145]
	s_wait_loadcnt_dscnt 0x800
	v_mul_f64_e32 v[156:157], v[158:159], v[136:137]
	v_mul_f64_e32 v[136:137], v[160:161], v[136:137]
	v_add_f64_e32 v[128:129], v[174:175], v[190:191]
	v_add_f64_e32 v[154:155], v[176:177], v[184:185]
	v_fmac_f64_e32 v[182:183], v[6:7], v[142:143]
	v_fma_f64 v[142:143], v[4:5], v[142:143], -v[144:145]
	v_fmac_f64_e32 v[156:157], v[160:161], v[134:135]
	v_fma_f64 v[134:135], v[158:159], v[134:135], -v[136:137]
	v_add_f64_e32 v[144:145], v[128:129], v[126:127]
	v_add_f64_e32 v[154:155], v[154:155], v[188:189]
	ds_load_b128 v[4:7], v2 offset:1664
	ds_load_b128 v[126:129], v2 offset:1680
	s_wait_loadcnt_dscnt 0x701
	v_mul_f64_e32 v[174:175], v[4:5], v[152:153]
	v_mul_f64_e32 v[152:153], v[6:7], v[152:153]
	v_add_f64_e32 v[136:137], v[144:145], v[142:143]
	v_add_f64_e32 v[142:143], v[154:155], v[182:183]
	s_wait_loadcnt_dscnt 0x600
	v_mul_f64_e32 v[144:145], v[126:127], v[140:141]
	v_mul_f64_e32 v[140:141], v[128:129], v[140:141]
	v_fmac_f64_e32 v[174:175], v[6:7], v[150:151]
	v_fma_f64 v[150:151], v[4:5], v[150:151], -v[152:153]
	v_add_f64_e32 v[152:153], v[136:137], v[134:135]
	v_add_f64_e32 v[142:143], v[142:143], v[156:157]
	ds_load_b128 v[4:7], v2 offset:1696
	ds_load_b128 v[134:137], v2 offset:1712
	v_fmac_f64_e32 v[144:145], v[128:129], v[138:139]
	v_fma_f64 v[126:127], v[126:127], v[138:139], -v[140:141]
	s_wait_loadcnt_dscnt 0x501
	v_mul_f64_e32 v[154:155], v[4:5], v[164:165]
	v_mul_f64_e32 v[156:157], v[6:7], v[164:165]
	s_wait_loadcnt_dscnt 0x400
	v_mul_f64_e32 v[140:141], v[134:135], v[148:149]
	v_add_f64_e32 v[128:129], v[152:153], v[150:151]
	v_add_f64_e32 v[138:139], v[142:143], v[174:175]
	v_mul_f64_e32 v[142:143], v[136:137], v[148:149]
	v_fmac_f64_e32 v[154:155], v[6:7], v[162:163]
	v_fma_f64 v[148:149], v[4:5], v[162:163], -v[156:157]
	v_fmac_f64_e32 v[140:141], v[136:137], v[146:147]
	v_add_f64_e32 v[150:151], v[128:129], v[126:127]
	v_add_f64_e32 v[138:139], v[138:139], v[144:145]
	ds_load_b128 v[4:7], v2 offset:1728
	ds_load_b128 v[126:129], v2 offset:1744
	v_fma_f64 v[134:135], v[134:135], v[146:147], -v[142:143]
	s_wait_loadcnt_dscnt 0x301
	v_mul_f64_e32 v[144:145], v[4:5], v[180:181]
	v_mul_f64_e32 v[152:153], v[6:7], v[180:181]
	s_wait_loadcnt_dscnt 0x200
	v_mul_f64_e32 v[142:143], v[126:127], v[10:11]
	v_mul_f64_e32 v[10:11], v[128:129], v[10:11]
	v_add_f64_e32 v[136:137], v[150:151], v[148:149]
	v_add_f64_e32 v[138:139], v[138:139], v[154:155]
	v_fmac_f64_e32 v[144:145], v[6:7], v[178:179]
	v_fma_f64 v[146:147], v[4:5], v[178:179], -v[152:153]
	v_fmac_f64_e32 v[142:143], v[128:129], v[8:9]
	v_fma_f64 v[8:9], v[126:127], v[8:9], -v[10:11]
	v_add_f64_e32 v[148:149], v[136:137], v[134:135]
	v_add_f64_e32 v[138:139], v[138:139], v[140:141]
	ds_load_b128 v[4:7], v2 offset:1760
	ds_load_b128 v[134:137], v2 offset:1776
	s_wait_loadcnt_dscnt 0x101
	v_mul_f64_e32 v[2:3], v[4:5], v[168:169]
	v_mul_f64_e32 v[140:141], v[6:7], v[168:169]
	s_wait_loadcnt_dscnt 0x0
	v_mul_f64_e32 v[128:129], v[134:135], v[132:133]
	v_mul_f64_e32 v[132:133], v[136:137], v[132:133]
	v_add_f64_e32 v[10:11], v[148:149], v[146:147]
	v_add_f64_e32 v[126:127], v[138:139], v[144:145]
	v_fmac_f64_e32 v[2:3], v[6:7], v[166:167]
	v_fma_f64 v[4:5], v[4:5], v[166:167], -v[140:141]
	v_fmac_f64_e32 v[128:129], v[136:137], v[130:131]
	v_add_f64_e32 v[6:7], v[10:11], v[8:9]
	v_add_f64_e32 v[8:9], v[126:127], v[142:143]
	v_fma_f64 v[10:11], v[134:135], v[130:131], -v[132:133]
	s_delay_alu instid0(VALU_DEP_3) | instskip(NEXT) | instid1(VALU_DEP_3)
	v_add_f64_e32 v[4:5], v[6:7], v[4:5]
	v_add_f64_e32 v[2:3], v[8:9], v[2:3]
	s_delay_alu instid0(VALU_DEP_2) | instskip(NEXT) | instid1(VALU_DEP_2)
	v_add_f64_e32 v[4:5], v[4:5], v[10:11]
	v_add_f64_e32 v[6:7], v[2:3], v[128:129]
	s_delay_alu instid0(VALU_DEP_2) | instskip(NEXT) | instid1(VALU_DEP_2)
	v_add_f64_e64 v[2:3], v[170:171], -v[4:5]
	v_add_f64_e64 v[4:5], v[172:173], -v[6:7]
	scratch_store_b128 off, v[2:5], off offset:432
	s_wait_xcnt 0x0
	v_cmpx_lt_u32_e32 26, v1
	s_cbranch_execz .LBB119_297
; %bb.296:
	scratch_load_b128 v[2:5], off, s46
	v_mov_b32_e32 v6, 0
	s_delay_alu instid0(VALU_DEP_1)
	v_dual_mov_b32 v7, v6 :: v_dual_mov_b32 v8, v6
	v_mov_b32_e32 v9, v6
	scratch_store_b128 off, v[6:9], off offset:416
	s_wait_loadcnt 0x0
	ds_store_b128 v12, v[2:5]
.LBB119_297:
	s_wait_xcnt 0x0
	s_or_b32 exec_lo, exec_lo, s2
	s_wait_storecnt_dscnt 0x0
	s_barrier_signal -1
	s_barrier_wait -1
	s_clause 0x9
	scratch_load_b128 v[4:7], off, off offset:432
	scratch_load_b128 v[8:11], off, off offset:448
	;; [unrolled: 1-line block ×10, first 2 shown]
	v_mov_b32_e32 v2, 0
	s_mov_b32 s2, exec_lo
	ds_load_b128 v[158:161], v2 offset:1328
	s_clause 0x2
	scratch_load_b128 v[162:165], off, off offset:592
	scratch_load_b128 v[166:169], off, off offset:416
	;; [unrolled: 1-line block ×3, first 2 shown]
	s_wait_loadcnt_dscnt 0xc00
	v_mul_f64_e32 v[178:179], v[160:161], v[6:7]
	v_mul_f64_e32 v[182:183], v[158:159], v[6:7]
	ds_load_b128 v[170:173], v2 offset:1344
	v_fma_f64 v[186:187], v[158:159], v[4:5], -v[178:179]
	v_fmac_f64_e32 v[182:183], v[160:161], v[4:5]
	ds_load_b128 v[4:7], v2 offset:1360
	s_wait_loadcnt_dscnt 0xb01
	v_mul_f64_e32 v[184:185], v[170:171], v[10:11]
	v_mul_f64_e32 v[10:11], v[172:173], v[10:11]
	scratch_load_b128 v[158:161], off, off offset:624
	ds_load_b128 v[178:181], v2 offset:1376
	s_wait_loadcnt_dscnt 0xb01
	v_mul_f64_e32 v[188:189], v[4:5], v[128:129]
	v_mul_f64_e32 v[128:129], v[6:7], v[128:129]
	v_add_f64_e32 v[182:183], 0, v[182:183]
	v_fmac_f64_e32 v[184:185], v[172:173], v[8:9]
	v_fma_f64 v[170:171], v[170:171], v[8:9], -v[10:11]
	v_add_f64_e32 v[172:173], 0, v[186:187]
	scratch_load_b128 v[8:11], off, off offset:640
	v_fmac_f64_e32 v[188:189], v[6:7], v[126:127]
	v_fma_f64 v[190:191], v[4:5], v[126:127], -v[128:129]
	ds_load_b128 v[4:7], v2 offset:1392
	s_wait_loadcnt_dscnt 0xb01
	v_mul_f64_e32 v[186:187], v[178:179], v[132:133]
	v_mul_f64_e32 v[132:133], v[180:181], v[132:133]
	scratch_load_b128 v[126:129], off, off offset:656
	v_add_f64_e32 v[182:183], v[182:183], v[184:185]
	v_add_f64_e32 v[192:193], v[172:173], v[170:171]
	ds_load_b128 v[170:173], v2 offset:1408
	s_wait_loadcnt_dscnt 0xb01
	v_mul_f64_e32 v[184:185], v[4:5], v[136:137]
	v_mul_f64_e32 v[136:137], v[6:7], v[136:137]
	v_fmac_f64_e32 v[186:187], v[180:181], v[130:131]
	v_fma_f64 v[178:179], v[178:179], v[130:131], -v[132:133]
	scratch_load_b128 v[130:133], off, off offset:672
	v_add_f64_e32 v[182:183], v[182:183], v[188:189]
	v_add_f64_e32 v[180:181], v[192:193], v[190:191]
	v_fmac_f64_e32 v[184:185], v[6:7], v[134:135]
	v_fma_f64 v[190:191], v[4:5], v[134:135], -v[136:137]
	ds_load_b128 v[4:7], v2 offset:1424
	s_wait_loadcnt_dscnt 0xb01
	v_mul_f64_e32 v[188:189], v[170:171], v[140:141]
	v_mul_f64_e32 v[140:141], v[172:173], v[140:141]
	scratch_load_b128 v[134:137], off, off offset:688
	v_add_f64_e32 v[182:183], v[182:183], v[186:187]
	s_wait_loadcnt_dscnt 0xb00
	v_mul_f64_e32 v[186:187], v[4:5], v[144:145]
	v_add_f64_e32 v[192:193], v[180:181], v[178:179]
	v_mul_f64_e32 v[144:145], v[6:7], v[144:145]
	ds_load_b128 v[178:181], v2 offset:1440
	v_fmac_f64_e32 v[188:189], v[172:173], v[138:139]
	v_fma_f64 v[170:171], v[170:171], v[138:139], -v[140:141]
	scratch_load_b128 v[138:141], off, off offset:704
	v_add_f64_e32 v[182:183], v[182:183], v[184:185]
	v_fmac_f64_e32 v[186:187], v[6:7], v[142:143]
	v_add_f64_e32 v[172:173], v[192:193], v[190:191]
	v_fma_f64 v[190:191], v[4:5], v[142:143], -v[144:145]
	ds_load_b128 v[4:7], v2 offset:1456
	s_wait_loadcnt_dscnt 0xb01
	v_mul_f64_e32 v[184:185], v[178:179], v[148:149]
	v_mul_f64_e32 v[148:149], v[180:181], v[148:149]
	scratch_load_b128 v[142:145], off, off offset:720
	v_add_f64_e32 v[182:183], v[182:183], v[188:189]
	s_wait_loadcnt_dscnt 0xb00
	v_mul_f64_e32 v[188:189], v[4:5], v[152:153]
	v_add_f64_e32 v[192:193], v[172:173], v[170:171]
	v_mul_f64_e32 v[152:153], v[6:7], v[152:153]
	ds_load_b128 v[170:173], v2 offset:1472
	v_fmac_f64_e32 v[184:185], v[180:181], v[146:147]
	v_fma_f64 v[178:179], v[178:179], v[146:147], -v[148:149]
	scratch_load_b128 v[146:149], off, off offset:736
	v_add_f64_e32 v[182:183], v[182:183], v[186:187]
	v_fmac_f64_e32 v[188:189], v[6:7], v[150:151]
	v_add_f64_e32 v[180:181], v[192:193], v[190:191]
	v_fma_f64 v[190:191], v[4:5], v[150:151], -v[152:153]
	ds_load_b128 v[4:7], v2 offset:1488
	s_wait_loadcnt_dscnt 0xb01
	v_mul_f64_e32 v[186:187], v[170:171], v[156:157]
	v_mul_f64_e32 v[156:157], v[172:173], v[156:157]
	scratch_load_b128 v[150:153], off, off offset:752
	v_add_f64_e32 v[182:183], v[182:183], v[184:185]
	s_wait_loadcnt_dscnt 0xb00
	v_mul_f64_e32 v[184:185], v[4:5], v[164:165]
	v_add_f64_e32 v[192:193], v[180:181], v[178:179]
	v_mul_f64_e32 v[164:165], v[6:7], v[164:165]
	ds_load_b128 v[178:181], v2 offset:1504
	v_fmac_f64_e32 v[186:187], v[172:173], v[154:155]
	v_fma_f64 v[170:171], v[170:171], v[154:155], -v[156:157]
	scratch_load_b128 v[154:157], off, off offset:768
	v_add_f64_e32 v[182:183], v[182:183], v[188:189]
	v_fmac_f64_e32 v[184:185], v[6:7], v[162:163]
	v_add_f64_e32 v[172:173], v[192:193], v[190:191]
	v_fma_f64 v[190:191], v[4:5], v[162:163], -v[164:165]
	ds_load_b128 v[4:7], v2 offset:1520
	s_wait_loadcnt_dscnt 0xa01
	v_mul_f64_e32 v[188:189], v[178:179], v[176:177]
	v_mul_f64_e32 v[176:177], v[180:181], v[176:177]
	scratch_load_b128 v[162:165], off, off offset:784
	v_add_f64_e32 v[182:183], v[182:183], v[186:187]
	v_add_f64_e32 v[192:193], v[172:173], v[170:171]
	s_wait_loadcnt_dscnt 0xa00
	v_mul_f64_e32 v[186:187], v[4:5], v[160:161]
	v_mul_f64_e32 v[160:161], v[6:7], v[160:161]
	v_fmac_f64_e32 v[188:189], v[180:181], v[174:175]
	v_fma_f64 v[178:179], v[178:179], v[174:175], -v[176:177]
	ds_load_b128 v[170:173], v2 offset:1536
	scratch_load_b128 v[174:177], off, off offset:800
	v_add_f64_e32 v[182:183], v[182:183], v[184:185]
	v_add_f64_e32 v[180:181], v[192:193], v[190:191]
	v_fmac_f64_e32 v[186:187], v[6:7], v[158:159]
	v_fma_f64 v[190:191], v[4:5], v[158:159], -v[160:161]
	ds_load_b128 v[4:7], v2 offset:1552
	s_wait_loadcnt_dscnt 0xa01
	v_mul_f64_e32 v[184:185], v[170:171], v[10:11]
	v_mul_f64_e32 v[10:11], v[172:173], v[10:11]
	scratch_load_b128 v[158:161], off, off offset:816
	v_add_f64_e32 v[182:183], v[182:183], v[188:189]
	s_wait_loadcnt_dscnt 0xa00
	v_mul_f64_e32 v[188:189], v[4:5], v[128:129]
	v_add_f64_e32 v[192:193], v[180:181], v[178:179]
	v_mul_f64_e32 v[128:129], v[6:7], v[128:129]
	ds_load_b128 v[178:181], v2 offset:1568
	v_fmac_f64_e32 v[184:185], v[172:173], v[8:9]
	v_fma_f64 v[170:171], v[170:171], v[8:9], -v[10:11]
	scratch_load_b128 v[8:11], off, off offset:832
	v_add_f64_e32 v[182:183], v[182:183], v[186:187]
	v_fmac_f64_e32 v[188:189], v[6:7], v[126:127]
	v_add_f64_e32 v[172:173], v[192:193], v[190:191]
	v_fma_f64 v[190:191], v[4:5], v[126:127], -v[128:129]
	ds_load_b128 v[4:7], v2 offset:1584
	s_wait_loadcnt_dscnt 0xa01
	v_mul_f64_e32 v[186:187], v[178:179], v[132:133]
	v_mul_f64_e32 v[132:133], v[180:181], v[132:133]
	scratch_load_b128 v[126:129], off, off offset:848
	v_add_f64_e32 v[182:183], v[182:183], v[184:185]
	s_wait_loadcnt_dscnt 0xa00
	v_mul_f64_e32 v[184:185], v[4:5], v[136:137]
	v_add_f64_e32 v[192:193], v[172:173], v[170:171]
	v_mul_f64_e32 v[136:137], v[6:7], v[136:137]
	ds_load_b128 v[170:173], v2 offset:1600
	v_fmac_f64_e32 v[186:187], v[180:181], v[130:131]
	v_fma_f64 v[178:179], v[178:179], v[130:131], -v[132:133]
	scratch_load_b128 v[130:133], off, off offset:864
	v_add_f64_e32 v[182:183], v[182:183], v[188:189]
	v_fmac_f64_e32 v[184:185], v[6:7], v[134:135]
	v_add_f64_e32 v[180:181], v[192:193], v[190:191]
	v_fma_f64 v[190:191], v[4:5], v[134:135], -v[136:137]
	ds_load_b128 v[4:7], v2 offset:1616
	s_wait_loadcnt_dscnt 0xa01
	v_mul_f64_e32 v[188:189], v[170:171], v[140:141]
	v_mul_f64_e32 v[140:141], v[172:173], v[140:141]
	scratch_load_b128 v[134:137], off, off offset:880
	v_add_f64_e32 v[182:183], v[182:183], v[186:187]
	s_wait_loadcnt_dscnt 0xa00
	v_mul_f64_e32 v[186:187], v[4:5], v[144:145]
	v_add_f64_e32 v[192:193], v[180:181], v[178:179]
	v_mul_f64_e32 v[144:145], v[6:7], v[144:145]
	ds_load_b128 v[178:181], v2 offset:1632
	v_fmac_f64_e32 v[188:189], v[172:173], v[138:139]
	v_fma_f64 v[138:139], v[170:171], v[138:139], -v[140:141]
	s_wait_loadcnt_dscnt 0x900
	v_mul_f64_e32 v[172:173], v[178:179], v[148:149]
	v_mul_f64_e32 v[148:149], v[180:181], v[148:149]
	v_add_f64_e32 v[170:171], v[182:183], v[184:185]
	v_fmac_f64_e32 v[186:187], v[6:7], v[142:143]
	v_add_f64_e32 v[140:141], v[192:193], v[190:191]
	v_fma_f64 v[142:143], v[4:5], v[142:143], -v[144:145]
	v_fmac_f64_e32 v[172:173], v[180:181], v[146:147]
	v_fma_f64 v[146:147], v[178:179], v[146:147], -v[148:149]
	v_add_f64_e32 v[170:171], v[170:171], v[188:189]
	v_add_f64_e32 v[144:145], v[140:141], v[138:139]
	ds_load_b128 v[4:7], v2 offset:1648
	ds_load_b128 v[138:141], v2 offset:1664
	s_wait_loadcnt_dscnt 0x801
	v_mul_f64_e32 v[182:183], v[4:5], v[152:153]
	v_mul_f64_e32 v[152:153], v[6:7], v[152:153]
	s_wait_loadcnt_dscnt 0x700
	v_mul_f64_e32 v[148:149], v[138:139], v[156:157]
	v_mul_f64_e32 v[156:157], v[140:141], v[156:157]
	v_add_f64_e32 v[142:143], v[144:145], v[142:143]
	v_add_f64_e32 v[144:145], v[170:171], v[186:187]
	v_fmac_f64_e32 v[182:183], v[6:7], v[150:151]
	v_fma_f64 v[150:151], v[4:5], v[150:151], -v[152:153]
	v_fmac_f64_e32 v[148:149], v[140:141], v[154:155]
	v_fma_f64 v[138:139], v[138:139], v[154:155], -v[156:157]
	v_add_f64_e32 v[146:147], v[142:143], v[146:147]
	v_add_f64_e32 v[152:153], v[144:145], v[172:173]
	ds_load_b128 v[4:7], v2 offset:1680
	ds_load_b128 v[142:145], v2 offset:1696
	s_wait_loadcnt_dscnt 0x601
	v_mul_f64_e32 v[170:171], v[4:5], v[164:165]
	v_mul_f64_e32 v[164:165], v[6:7], v[164:165]
	v_add_f64_e32 v[140:141], v[146:147], v[150:151]
	v_add_f64_e32 v[146:147], v[152:153], v[182:183]
	s_wait_loadcnt_dscnt 0x500
	v_mul_f64_e32 v[150:151], v[142:143], v[176:177]
	v_mul_f64_e32 v[152:153], v[144:145], v[176:177]
	v_fmac_f64_e32 v[170:171], v[6:7], v[162:163]
	v_fma_f64 v[154:155], v[4:5], v[162:163], -v[164:165]
	v_add_f64_e32 v[156:157], v[140:141], v[138:139]
	v_add_f64_e32 v[146:147], v[146:147], v[148:149]
	ds_load_b128 v[4:7], v2 offset:1712
	ds_load_b128 v[138:141], v2 offset:1728
	v_fmac_f64_e32 v[150:151], v[144:145], v[174:175]
	v_fma_f64 v[142:143], v[142:143], v[174:175], -v[152:153]
	s_wait_loadcnt_dscnt 0x401
	v_mul_f64_e32 v[148:149], v[4:5], v[160:161]
	v_mul_f64_e32 v[160:161], v[6:7], v[160:161]
	s_wait_loadcnt_dscnt 0x300
	v_mul_f64_e32 v[152:153], v[138:139], v[10:11]
	v_mul_f64_e32 v[10:11], v[140:141], v[10:11]
	v_add_f64_e32 v[144:145], v[156:157], v[154:155]
	v_add_f64_e32 v[146:147], v[146:147], v[170:171]
	v_fmac_f64_e32 v[148:149], v[6:7], v[158:159]
	v_fma_f64 v[154:155], v[4:5], v[158:159], -v[160:161]
	v_fmac_f64_e32 v[152:153], v[140:141], v[8:9]
	v_fma_f64 v[8:9], v[138:139], v[8:9], -v[10:11]
	v_add_f64_e32 v[156:157], v[144:145], v[142:143]
	v_add_f64_e32 v[146:147], v[146:147], v[150:151]
	ds_load_b128 v[4:7], v2 offset:1744
	ds_load_b128 v[142:145], v2 offset:1760
	s_wait_loadcnt_dscnt 0x201
	v_mul_f64_e32 v[150:151], v[4:5], v[128:129]
	v_mul_f64_e32 v[128:129], v[6:7], v[128:129]
	s_wait_loadcnt_dscnt 0x100
	v_mul_f64_e32 v[140:141], v[142:143], v[132:133]
	v_mul_f64_e32 v[132:133], v[144:145], v[132:133]
	v_add_f64_e32 v[10:11], v[156:157], v[154:155]
	v_add_f64_e32 v[138:139], v[146:147], v[148:149]
	v_fmac_f64_e32 v[150:151], v[6:7], v[126:127]
	v_fma_f64 v[126:127], v[4:5], v[126:127], -v[128:129]
	ds_load_b128 v[4:7], v2 offset:1776
	v_fmac_f64_e32 v[140:141], v[144:145], v[130:131]
	v_fma_f64 v[130:131], v[142:143], v[130:131], -v[132:133]
	v_add_f64_e32 v[8:9], v[10:11], v[8:9]
	v_add_f64_e32 v[10:11], v[138:139], v[152:153]
	s_wait_loadcnt_dscnt 0x0
	v_mul_f64_e32 v[128:129], v[4:5], v[136:137]
	v_mul_f64_e32 v[136:137], v[6:7], v[136:137]
	s_delay_alu instid0(VALU_DEP_4) | instskip(NEXT) | instid1(VALU_DEP_4)
	v_add_f64_e32 v[8:9], v[8:9], v[126:127]
	v_add_f64_e32 v[10:11], v[10:11], v[150:151]
	s_delay_alu instid0(VALU_DEP_4) | instskip(NEXT) | instid1(VALU_DEP_4)
	v_fmac_f64_e32 v[128:129], v[6:7], v[134:135]
	v_fma_f64 v[4:5], v[4:5], v[134:135], -v[136:137]
	s_delay_alu instid0(VALU_DEP_4) | instskip(NEXT) | instid1(VALU_DEP_4)
	v_add_f64_e32 v[6:7], v[8:9], v[130:131]
	v_add_f64_e32 v[8:9], v[10:11], v[140:141]
	s_delay_alu instid0(VALU_DEP_2) | instskip(NEXT) | instid1(VALU_DEP_2)
	v_add_f64_e32 v[4:5], v[6:7], v[4:5]
	v_add_f64_e32 v[6:7], v[8:9], v[128:129]
	s_delay_alu instid0(VALU_DEP_2) | instskip(NEXT) | instid1(VALU_DEP_2)
	v_add_f64_e64 v[4:5], v[166:167], -v[4:5]
	v_add_f64_e64 v[6:7], v[168:169], -v[6:7]
	scratch_store_b128 off, v[4:7], off offset:416
	s_wait_xcnt 0x0
	v_cmpx_lt_u32_e32 25, v1
	s_cbranch_execz .LBB119_299
; %bb.298:
	scratch_load_b128 v[6:9], off, s47
	v_dual_mov_b32 v3, v2 :: v_dual_mov_b32 v4, v2
	v_mov_b32_e32 v5, v2
	scratch_store_b128 off, v[2:5], off offset:400
	s_wait_loadcnt 0x0
	ds_store_b128 v12, v[6:9]
.LBB119_299:
	s_wait_xcnt 0x0
	s_or_b32 exec_lo, exec_lo, s2
	s_wait_storecnt_dscnt 0x0
	s_barrier_signal -1
	s_barrier_wait -1
	s_clause 0x9
	scratch_load_b128 v[4:7], off, off offset:416
	scratch_load_b128 v[8:11], off, off offset:432
	;; [unrolled: 1-line block ×10, first 2 shown]
	ds_load_b128 v[158:161], v2 offset:1312
	ds_load_b128 v[166:169], v2 offset:1328
	s_clause 0x2
	scratch_load_b128 v[162:165], off, off offset:576
	scratch_load_b128 v[170:173], off, off offset:400
	;; [unrolled: 1-line block ×3, first 2 shown]
	s_mov_b32 s2, exec_lo
	s_wait_loadcnt_dscnt 0xc01
	v_mul_f64_e32 v[178:179], v[160:161], v[6:7]
	v_mul_f64_e32 v[182:183], v[158:159], v[6:7]
	s_wait_loadcnt_dscnt 0xb00
	v_mul_f64_e32 v[184:185], v[166:167], v[10:11]
	v_mul_f64_e32 v[10:11], v[168:169], v[10:11]
	s_delay_alu instid0(VALU_DEP_4) | instskip(NEXT) | instid1(VALU_DEP_4)
	v_fma_f64 v[186:187], v[158:159], v[4:5], -v[178:179]
	v_fmac_f64_e32 v[182:183], v[160:161], v[4:5]
	ds_load_b128 v[4:7], v2 offset:1344
	ds_load_b128 v[158:161], v2 offset:1360
	scratch_load_b128 v[178:181], off, off offset:608
	v_fmac_f64_e32 v[184:185], v[168:169], v[8:9]
	v_fma_f64 v[166:167], v[166:167], v[8:9], -v[10:11]
	scratch_load_b128 v[8:11], off, off offset:624
	s_wait_loadcnt_dscnt 0xc01
	v_mul_f64_e32 v[188:189], v[4:5], v[128:129]
	v_mul_f64_e32 v[128:129], v[6:7], v[128:129]
	v_add_f64_e32 v[168:169], 0, v[186:187]
	v_add_f64_e32 v[182:183], 0, v[182:183]
	s_wait_loadcnt_dscnt 0xb00
	v_mul_f64_e32 v[186:187], v[158:159], v[132:133]
	v_mul_f64_e32 v[132:133], v[160:161], v[132:133]
	v_fmac_f64_e32 v[188:189], v[6:7], v[126:127]
	v_fma_f64 v[190:191], v[4:5], v[126:127], -v[128:129]
	ds_load_b128 v[4:7], v2 offset:1376
	ds_load_b128 v[126:129], v2 offset:1392
	v_add_f64_e32 v[192:193], v[168:169], v[166:167]
	v_add_f64_e32 v[182:183], v[182:183], v[184:185]
	scratch_load_b128 v[166:169], off, off offset:640
	v_fmac_f64_e32 v[186:187], v[160:161], v[130:131]
	v_fma_f64 v[158:159], v[158:159], v[130:131], -v[132:133]
	scratch_load_b128 v[130:133], off, off offset:656
	s_wait_loadcnt_dscnt 0xc01
	v_mul_f64_e32 v[184:185], v[4:5], v[136:137]
	v_mul_f64_e32 v[136:137], v[6:7], v[136:137]
	v_add_f64_e32 v[160:161], v[192:193], v[190:191]
	v_add_f64_e32 v[182:183], v[182:183], v[188:189]
	s_wait_loadcnt_dscnt 0xb00
	v_mul_f64_e32 v[188:189], v[126:127], v[140:141]
	v_mul_f64_e32 v[140:141], v[128:129], v[140:141]
	v_fmac_f64_e32 v[184:185], v[6:7], v[134:135]
	v_fma_f64 v[190:191], v[4:5], v[134:135], -v[136:137]
	ds_load_b128 v[4:7], v2 offset:1408
	ds_load_b128 v[134:137], v2 offset:1424
	v_add_f64_e32 v[192:193], v[160:161], v[158:159]
	v_add_f64_e32 v[182:183], v[182:183], v[186:187]
	scratch_load_b128 v[158:161], off, off offset:672
	s_wait_loadcnt_dscnt 0xb01
	v_mul_f64_e32 v[186:187], v[4:5], v[144:145]
	v_mul_f64_e32 v[144:145], v[6:7], v[144:145]
	v_fmac_f64_e32 v[188:189], v[128:129], v[138:139]
	v_fma_f64 v[138:139], v[126:127], v[138:139], -v[140:141]
	scratch_load_b128 v[126:129], off, off offset:688
	v_add_f64_e32 v[140:141], v[192:193], v[190:191]
	v_add_f64_e32 v[182:183], v[182:183], v[184:185]
	s_wait_loadcnt_dscnt 0xb00
	v_mul_f64_e32 v[184:185], v[134:135], v[148:149]
	v_mul_f64_e32 v[148:149], v[136:137], v[148:149]
	v_fmac_f64_e32 v[186:187], v[6:7], v[142:143]
	v_fma_f64 v[190:191], v[4:5], v[142:143], -v[144:145]
	v_add_f64_e32 v[192:193], v[140:141], v[138:139]
	v_add_f64_e32 v[182:183], v[182:183], v[188:189]
	ds_load_b128 v[4:7], v2 offset:1440
	ds_load_b128 v[138:141], v2 offset:1456
	scratch_load_b128 v[142:145], off, off offset:704
	v_fmac_f64_e32 v[184:185], v[136:137], v[146:147]
	v_fma_f64 v[146:147], v[134:135], v[146:147], -v[148:149]
	scratch_load_b128 v[134:137], off, off offset:720
	s_wait_loadcnt_dscnt 0xc01
	v_mul_f64_e32 v[188:189], v[4:5], v[152:153]
	v_mul_f64_e32 v[152:153], v[6:7], v[152:153]
	v_add_f64_e32 v[148:149], v[192:193], v[190:191]
	v_add_f64_e32 v[182:183], v[182:183], v[186:187]
	s_wait_loadcnt_dscnt 0xb00
	v_mul_f64_e32 v[186:187], v[138:139], v[156:157]
	v_mul_f64_e32 v[156:157], v[140:141], v[156:157]
	v_fmac_f64_e32 v[188:189], v[6:7], v[150:151]
	v_fma_f64 v[190:191], v[4:5], v[150:151], -v[152:153]
	v_add_f64_e32 v[192:193], v[148:149], v[146:147]
	v_add_f64_e32 v[182:183], v[182:183], v[184:185]
	ds_load_b128 v[4:7], v2 offset:1472
	ds_load_b128 v[146:149], v2 offset:1488
	scratch_load_b128 v[150:153], off, off offset:736
	v_fmac_f64_e32 v[186:187], v[140:141], v[154:155]
	v_fma_f64 v[154:155], v[138:139], v[154:155], -v[156:157]
	scratch_load_b128 v[138:141], off, off offset:752
	s_wait_loadcnt_dscnt 0xc01
	v_mul_f64_e32 v[184:185], v[4:5], v[164:165]
	v_mul_f64_e32 v[164:165], v[6:7], v[164:165]
	;; [unrolled: 18-line block ×5, first 2 shown]
	v_add_f64_e32 v[176:177], v[192:193], v[190:191]
	v_add_f64_e32 v[182:183], v[182:183], v[188:189]
	s_wait_loadcnt_dscnt 0xa00
	v_mul_f64_e32 v[188:189], v[154:155], v[128:129]
	v_mul_f64_e32 v[128:129], v[156:157], v[128:129]
	v_fmac_f64_e32 v[184:185], v[6:7], v[158:159]
	v_fma_f64 v[190:191], v[4:5], v[158:159], -v[160:161]
	ds_load_b128 v[4:7], v2 offset:1600
	ds_load_b128 v[158:161], v2 offset:1616
	v_add_f64_e32 v[192:193], v[176:177], v[174:175]
	v_add_f64_e32 v[182:183], v[182:183], v[186:187]
	scratch_load_b128 v[174:177], off, off offset:864
	v_fmac_f64_e32 v[188:189], v[156:157], v[126:127]
	v_fma_f64 v[154:155], v[154:155], v[126:127], -v[128:129]
	scratch_load_b128 v[126:129], off, off offset:880
	s_wait_loadcnt_dscnt 0xb01
	v_mul_f64_e32 v[186:187], v[4:5], v[144:145]
	v_mul_f64_e32 v[144:145], v[6:7], v[144:145]
	v_add_f64_e32 v[156:157], v[192:193], v[190:191]
	v_add_f64_e32 v[182:183], v[182:183], v[184:185]
	s_wait_loadcnt_dscnt 0xa00
	v_mul_f64_e32 v[184:185], v[158:159], v[136:137]
	v_mul_f64_e32 v[136:137], v[160:161], v[136:137]
	v_fmac_f64_e32 v[186:187], v[6:7], v[142:143]
	v_fma_f64 v[190:191], v[4:5], v[142:143], -v[144:145]
	ds_load_b128 v[4:7], v2 offset:1632
	ds_load_b128 v[142:145], v2 offset:1648
	v_add_f64_e32 v[154:155], v[156:157], v[154:155]
	v_add_f64_e32 v[156:157], v[182:183], v[188:189]
	v_fmac_f64_e32 v[184:185], v[160:161], v[134:135]
	s_wait_loadcnt_dscnt 0x901
	v_mul_f64_e32 v[182:183], v[4:5], v[152:153]
	v_mul_f64_e32 v[152:153], v[6:7], v[152:153]
	v_fma_f64 v[134:135], v[158:159], v[134:135], -v[136:137]
	v_add_f64_e32 v[136:137], v[154:155], v[190:191]
	v_add_f64_e32 v[154:155], v[156:157], v[186:187]
	s_wait_loadcnt_dscnt 0x800
	v_mul_f64_e32 v[156:157], v[142:143], v[140:141]
	v_mul_f64_e32 v[140:141], v[144:145], v[140:141]
	v_fmac_f64_e32 v[182:183], v[6:7], v[150:151]
	v_fma_f64 v[150:151], v[4:5], v[150:151], -v[152:153]
	v_add_f64_e32 v[152:153], v[136:137], v[134:135]
	v_add_f64_e32 v[154:155], v[154:155], v[184:185]
	ds_load_b128 v[4:7], v2 offset:1664
	ds_load_b128 v[134:137], v2 offset:1680
	v_fmac_f64_e32 v[156:157], v[144:145], v[138:139]
	v_fma_f64 v[138:139], v[142:143], v[138:139], -v[140:141]
	s_wait_loadcnt_dscnt 0x701
	v_mul_f64_e32 v[158:159], v[4:5], v[164:165]
	v_mul_f64_e32 v[160:161], v[6:7], v[164:165]
	s_wait_loadcnt_dscnt 0x600
	v_mul_f64_e32 v[144:145], v[134:135], v[148:149]
	v_mul_f64_e32 v[148:149], v[136:137], v[148:149]
	v_add_f64_e32 v[140:141], v[152:153], v[150:151]
	v_add_f64_e32 v[142:143], v[154:155], v[182:183]
	v_fmac_f64_e32 v[158:159], v[6:7], v[162:163]
	v_fma_f64 v[150:151], v[4:5], v[162:163], -v[160:161]
	v_fmac_f64_e32 v[144:145], v[136:137], v[146:147]
	v_fma_f64 v[134:135], v[134:135], v[146:147], -v[148:149]
	v_add_f64_e32 v[152:153], v[140:141], v[138:139]
	v_add_f64_e32 v[142:143], v[142:143], v[156:157]
	ds_load_b128 v[4:7], v2 offset:1696
	ds_load_b128 v[138:141], v2 offset:1712
	s_wait_loadcnt_dscnt 0x501
	v_mul_f64_e32 v[154:155], v[4:5], v[180:181]
	v_mul_f64_e32 v[156:157], v[6:7], v[180:181]
	s_wait_loadcnt_dscnt 0x400
	v_mul_f64_e32 v[146:147], v[138:139], v[10:11]
	v_mul_f64_e32 v[10:11], v[140:141], v[10:11]
	v_add_f64_e32 v[136:137], v[152:153], v[150:151]
	v_add_f64_e32 v[142:143], v[142:143], v[158:159]
	v_fmac_f64_e32 v[154:155], v[6:7], v[178:179]
	v_fma_f64 v[148:149], v[4:5], v[178:179], -v[156:157]
	v_fmac_f64_e32 v[146:147], v[140:141], v[8:9]
	v_fma_f64 v[8:9], v[138:139], v[8:9], -v[10:11]
	v_add_f64_e32 v[150:151], v[136:137], v[134:135]
	v_add_f64_e32 v[142:143], v[142:143], v[144:145]
	ds_load_b128 v[4:7], v2 offset:1728
	ds_load_b128 v[134:137], v2 offset:1744
	;; [unrolled: 16-line block ×3, first 2 shown]
	s_wait_loadcnt_dscnt 0x101
	v_mul_f64_e32 v[2:3], v[4:5], v[176:177]
	v_mul_f64_e32 v[146:147], v[6:7], v[176:177]
	s_wait_loadcnt_dscnt 0x0
	v_mul_f64_e32 v[136:137], v[8:9], v[128:129]
	v_mul_f64_e32 v[128:129], v[10:11], v[128:129]
	v_add_f64_e32 v[132:133], v[148:149], v[142:143]
	v_add_f64_e32 v[134:135], v[138:139], v[144:145]
	v_fmac_f64_e32 v[2:3], v[6:7], v[174:175]
	v_fma_f64 v[4:5], v[4:5], v[174:175], -v[146:147]
	v_fmac_f64_e32 v[136:137], v[10:11], v[126:127]
	v_fma_f64 v[8:9], v[8:9], v[126:127], -v[128:129]
	v_add_f64_e32 v[6:7], v[132:133], v[130:131]
	v_add_f64_e32 v[130:131], v[134:135], v[140:141]
	s_delay_alu instid0(VALU_DEP_2) | instskip(NEXT) | instid1(VALU_DEP_2)
	v_add_f64_e32 v[4:5], v[6:7], v[4:5]
	v_add_f64_e32 v[2:3], v[130:131], v[2:3]
	s_delay_alu instid0(VALU_DEP_2) | instskip(NEXT) | instid1(VALU_DEP_2)
	;; [unrolled: 3-line block ×3, first 2 shown]
	v_add_f64_e64 v[2:3], v[170:171], -v[4:5]
	v_add_f64_e64 v[4:5], v[172:173], -v[6:7]
	scratch_store_b128 off, v[2:5], off offset:400
	s_wait_xcnt 0x0
	v_cmpx_lt_u32_e32 24, v1
	s_cbranch_execz .LBB119_301
; %bb.300:
	scratch_load_b128 v[2:5], off, s48
	v_mov_b32_e32 v6, 0
	s_delay_alu instid0(VALU_DEP_1)
	v_dual_mov_b32 v7, v6 :: v_dual_mov_b32 v8, v6
	v_mov_b32_e32 v9, v6
	scratch_store_b128 off, v[6:9], off offset:384
	s_wait_loadcnt 0x0
	ds_store_b128 v12, v[2:5]
.LBB119_301:
	s_wait_xcnt 0x0
	s_or_b32 exec_lo, exec_lo, s2
	s_wait_storecnt_dscnt 0x0
	s_barrier_signal -1
	s_barrier_wait -1
	s_clause 0x9
	scratch_load_b128 v[4:7], off, off offset:400
	scratch_load_b128 v[8:11], off, off offset:416
	;; [unrolled: 1-line block ×10, first 2 shown]
	v_mov_b32_e32 v2, 0
	s_mov_b32 s2, exec_lo
	ds_load_b128 v[158:161], v2 offset:1296
	s_clause 0x2
	scratch_load_b128 v[162:165], off, off offset:560
	scratch_load_b128 v[166:169], off, off offset:384
	;; [unrolled: 1-line block ×3, first 2 shown]
	s_wait_loadcnt_dscnt 0xc00
	v_mul_f64_e32 v[178:179], v[160:161], v[6:7]
	v_mul_f64_e32 v[182:183], v[158:159], v[6:7]
	ds_load_b128 v[170:173], v2 offset:1312
	v_fma_f64 v[186:187], v[158:159], v[4:5], -v[178:179]
	v_fmac_f64_e32 v[182:183], v[160:161], v[4:5]
	ds_load_b128 v[4:7], v2 offset:1328
	s_wait_loadcnt_dscnt 0xb01
	v_mul_f64_e32 v[184:185], v[170:171], v[10:11]
	v_mul_f64_e32 v[10:11], v[172:173], v[10:11]
	scratch_load_b128 v[158:161], off, off offset:592
	ds_load_b128 v[178:181], v2 offset:1344
	s_wait_loadcnt_dscnt 0xb01
	v_mul_f64_e32 v[188:189], v[4:5], v[128:129]
	v_mul_f64_e32 v[128:129], v[6:7], v[128:129]
	v_add_f64_e32 v[182:183], 0, v[182:183]
	v_fmac_f64_e32 v[184:185], v[172:173], v[8:9]
	v_fma_f64 v[170:171], v[170:171], v[8:9], -v[10:11]
	v_add_f64_e32 v[172:173], 0, v[186:187]
	scratch_load_b128 v[8:11], off, off offset:608
	v_fmac_f64_e32 v[188:189], v[6:7], v[126:127]
	v_fma_f64 v[190:191], v[4:5], v[126:127], -v[128:129]
	ds_load_b128 v[4:7], v2 offset:1360
	s_wait_loadcnt_dscnt 0xb01
	v_mul_f64_e32 v[186:187], v[178:179], v[132:133]
	v_mul_f64_e32 v[132:133], v[180:181], v[132:133]
	scratch_load_b128 v[126:129], off, off offset:624
	v_add_f64_e32 v[182:183], v[182:183], v[184:185]
	v_add_f64_e32 v[192:193], v[172:173], v[170:171]
	ds_load_b128 v[170:173], v2 offset:1376
	s_wait_loadcnt_dscnt 0xb01
	v_mul_f64_e32 v[184:185], v[4:5], v[136:137]
	v_mul_f64_e32 v[136:137], v[6:7], v[136:137]
	v_fmac_f64_e32 v[186:187], v[180:181], v[130:131]
	v_fma_f64 v[178:179], v[178:179], v[130:131], -v[132:133]
	scratch_load_b128 v[130:133], off, off offset:640
	v_add_f64_e32 v[182:183], v[182:183], v[188:189]
	v_add_f64_e32 v[180:181], v[192:193], v[190:191]
	v_fmac_f64_e32 v[184:185], v[6:7], v[134:135]
	v_fma_f64 v[190:191], v[4:5], v[134:135], -v[136:137]
	ds_load_b128 v[4:7], v2 offset:1392
	s_wait_loadcnt_dscnt 0xb01
	v_mul_f64_e32 v[188:189], v[170:171], v[140:141]
	v_mul_f64_e32 v[140:141], v[172:173], v[140:141]
	scratch_load_b128 v[134:137], off, off offset:656
	v_add_f64_e32 v[182:183], v[182:183], v[186:187]
	s_wait_loadcnt_dscnt 0xb00
	v_mul_f64_e32 v[186:187], v[4:5], v[144:145]
	v_add_f64_e32 v[192:193], v[180:181], v[178:179]
	v_mul_f64_e32 v[144:145], v[6:7], v[144:145]
	ds_load_b128 v[178:181], v2 offset:1408
	v_fmac_f64_e32 v[188:189], v[172:173], v[138:139]
	v_fma_f64 v[170:171], v[170:171], v[138:139], -v[140:141]
	scratch_load_b128 v[138:141], off, off offset:672
	v_add_f64_e32 v[182:183], v[182:183], v[184:185]
	v_fmac_f64_e32 v[186:187], v[6:7], v[142:143]
	v_add_f64_e32 v[172:173], v[192:193], v[190:191]
	v_fma_f64 v[190:191], v[4:5], v[142:143], -v[144:145]
	ds_load_b128 v[4:7], v2 offset:1424
	s_wait_loadcnt_dscnt 0xb01
	v_mul_f64_e32 v[184:185], v[178:179], v[148:149]
	v_mul_f64_e32 v[148:149], v[180:181], v[148:149]
	scratch_load_b128 v[142:145], off, off offset:688
	v_add_f64_e32 v[182:183], v[182:183], v[188:189]
	s_wait_loadcnt_dscnt 0xb00
	v_mul_f64_e32 v[188:189], v[4:5], v[152:153]
	v_add_f64_e32 v[192:193], v[172:173], v[170:171]
	v_mul_f64_e32 v[152:153], v[6:7], v[152:153]
	ds_load_b128 v[170:173], v2 offset:1440
	v_fmac_f64_e32 v[184:185], v[180:181], v[146:147]
	v_fma_f64 v[178:179], v[178:179], v[146:147], -v[148:149]
	scratch_load_b128 v[146:149], off, off offset:704
	v_add_f64_e32 v[182:183], v[182:183], v[186:187]
	v_fmac_f64_e32 v[188:189], v[6:7], v[150:151]
	v_add_f64_e32 v[180:181], v[192:193], v[190:191]
	;; [unrolled: 18-line block ×3, first 2 shown]
	v_fma_f64 v[190:191], v[4:5], v[162:163], -v[164:165]
	ds_load_b128 v[4:7], v2 offset:1488
	s_wait_loadcnt_dscnt 0xa01
	v_mul_f64_e32 v[188:189], v[178:179], v[176:177]
	v_mul_f64_e32 v[176:177], v[180:181], v[176:177]
	scratch_load_b128 v[162:165], off, off offset:752
	v_add_f64_e32 v[182:183], v[182:183], v[186:187]
	v_add_f64_e32 v[192:193], v[172:173], v[170:171]
	s_wait_loadcnt_dscnt 0xa00
	v_mul_f64_e32 v[186:187], v[4:5], v[160:161]
	v_mul_f64_e32 v[160:161], v[6:7], v[160:161]
	v_fmac_f64_e32 v[188:189], v[180:181], v[174:175]
	v_fma_f64 v[178:179], v[178:179], v[174:175], -v[176:177]
	ds_load_b128 v[170:173], v2 offset:1504
	scratch_load_b128 v[174:177], off, off offset:768
	v_add_f64_e32 v[182:183], v[182:183], v[184:185]
	v_add_f64_e32 v[180:181], v[192:193], v[190:191]
	v_fmac_f64_e32 v[186:187], v[6:7], v[158:159]
	v_fma_f64 v[190:191], v[4:5], v[158:159], -v[160:161]
	ds_load_b128 v[4:7], v2 offset:1520
	s_wait_loadcnt_dscnt 0xa01
	v_mul_f64_e32 v[184:185], v[170:171], v[10:11]
	v_mul_f64_e32 v[10:11], v[172:173], v[10:11]
	scratch_load_b128 v[158:161], off, off offset:784
	v_add_f64_e32 v[182:183], v[182:183], v[188:189]
	s_wait_loadcnt_dscnt 0xa00
	v_mul_f64_e32 v[188:189], v[4:5], v[128:129]
	v_add_f64_e32 v[192:193], v[180:181], v[178:179]
	v_mul_f64_e32 v[128:129], v[6:7], v[128:129]
	ds_load_b128 v[178:181], v2 offset:1536
	v_fmac_f64_e32 v[184:185], v[172:173], v[8:9]
	v_fma_f64 v[170:171], v[170:171], v[8:9], -v[10:11]
	scratch_load_b128 v[8:11], off, off offset:800
	v_add_f64_e32 v[182:183], v[182:183], v[186:187]
	v_fmac_f64_e32 v[188:189], v[6:7], v[126:127]
	v_add_f64_e32 v[172:173], v[192:193], v[190:191]
	v_fma_f64 v[190:191], v[4:5], v[126:127], -v[128:129]
	ds_load_b128 v[4:7], v2 offset:1552
	s_wait_loadcnt_dscnt 0xa01
	v_mul_f64_e32 v[186:187], v[178:179], v[132:133]
	v_mul_f64_e32 v[132:133], v[180:181], v[132:133]
	scratch_load_b128 v[126:129], off, off offset:816
	v_add_f64_e32 v[182:183], v[182:183], v[184:185]
	s_wait_loadcnt_dscnt 0xa00
	v_mul_f64_e32 v[184:185], v[4:5], v[136:137]
	v_add_f64_e32 v[192:193], v[172:173], v[170:171]
	v_mul_f64_e32 v[136:137], v[6:7], v[136:137]
	ds_load_b128 v[170:173], v2 offset:1568
	v_fmac_f64_e32 v[186:187], v[180:181], v[130:131]
	v_fma_f64 v[178:179], v[178:179], v[130:131], -v[132:133]
	scratch_load_b128 v[130:133], off, off offset:832
	v_add_f64_e32 v[182:183], v[182:183], v[188:189]
	v_fmac_f64_e32 v[184:185], v[6:7], v[134:135]
	v_add_f64_e32 v[180:181], v[192:193], v[190:191]
	;; [unrolled: 18-line block ×3, first 2 shown]
	v_fma_f64 v[190:191], v[4:5], v[142:143], -v[144:145]
	ds_load_b128 v[4:7], v2 offset:1616
	s_wait_loadcnt_dscnt 0xa01
	v_mul_f64_e32 v[184:185], v[178:179], v[148:149]
	v_mul_f64_e32 v[148:149], v[180:181], v[148:149]
	scratch_load_b128 v[142:145], off, off offset:880
	v_add_f64_e32 v[182:183], v[182:183], v[188:189]
	s_wait_loadcnt_dscnt 0xa00
	v_mul_f64_e32 v[188:189], v[4:5], v[152:153]
	v_add_f64_e32 v[192:193], v[172:173], v[170:171]
	v_mul_f64_e32 v[152:153], v[6:7], v[152:153]
	ds_load_b128 v[170:173], v2 offset:1632
	v_fmac_f64_e32 v[184:185], v[180:181], v[146:147]
	v_fma_f64 v[146:147], v[178:179], v[146:147], -v[148:149]
	s_wait_loadcnt_dscnt 0x900
	v_mul_f64_e32 v[180:181], v[170:171], v[156:157]
	v_mul_f64_e32 v[156:157], v[172:173], v[156:157]
	v_add_f64_e32 v[178:179], v[182:183], v[186:187]
	v_fmac_f64_e32 v[188:189], v[6:7], v[150:151]
	v_add_f64_e32 v[148:149], v[192:193], v[190:191]
	v_fma_f64 v[150:151], v[4:5], v[150:151], -v[152:153]
	v_fmac_f64_e32 v[180:181], v[172:173], v[154:155]
	v_fma_f64 v[154:155], v[170:171], v[154:155], -v[156:157]
	v_add_f64_e32 v[178:179], v[178:179], v[184:185]
	v_add_f64_e32 v[152:153], v[148:149], v[146:147]
	ds_load_b128 v[4:7], v2 offset:1648
	ds_load_b128 v[146:149], v2 offset:1664
	s_wait_loadcnt_dscnt 0x801
	v_mul_f64_e32 v[182:183], v[4:5], v[164:165]
	v_mul_f64_e32 v[164:165], v[6:7], v[164:165]
	s_wait_loadcnt_dscnt 0x700
	v_mul_f64_e32 v[156:157], v[146:147], v[176:177]
	v_mul_f64_e32 v[170:171], v[148:149], v[176:177]
	v_add_f64_e32 v[150:151], v[152:153], v[150:151]
	v_add_f64_e32 v[152:153], v[178:179], v[188:189]
	v_fmac_f64_e32 v[182:183], v[6:7], v[162:163]
	v_fma_f64 v[162:163], v[4:5], v[162:163], -v[164:165]
	v_fmac_f64_e32 v[156:157], v[148:149], v[174:175]
	v_fma_f64 v[146:147], v[146:147], v[174:175], -v[170:171]
	v_add_f64_e32 v[154:155], v[150:151], v[154:155]
	v_add_f64_e32 v[164:165], v[152:153], v[180:181]
	ds_load_b128 v[4:7], v2 offset:1680
	ds_load_b128 v[150:153], v2 offset:1696
	s_wait_loadcnt_dscnt 0x601
	v_mul_f64_e32 v[172:173], v[4:5], v[160:161]
	v_mul_f64_e32 v[160:161], v[6:7], v[160:161]
	v_add_f64_e32 v[148:149], v[154:155], v[162:163]
	v_add_f64_e32 v[154:155], v[164:165], v[182:183]
	s_wait_loadcnt_dscnt 0x500
	v_mul_f64_e32 v[162:163], v[150:151], v[10:11]
	v_mul_f64_e32 v[10:11], v[152:153], v[10:11]
	v_fmac_f64_e32 v[172:173], v[6:7], v[158:159]
	v_fma_f64 v[158:159], v[4:5], v[158:159], -v[160:161]
	v_add_f64_e32 v[160:161], v[148:149], v[146:147]
	v_add_f64_e32 v[154:155], v[154:155], v[156:157]
	ds_load_b128 v[4:7], v2 offset:1712
	ds_load_b128 v[146:149], v2 offset:1728
	v_fmac_f64_e32 v[162:163], v[152:153], v[8:9]
	v_fma_f64 v[8:9], v[150:151], v[8:9], -v[10:11]
	s_wait_loadcnt_dscnt 0x401
	v_mul_f64_e32 v[156:157], v[4:5], v[128:129]
	v_mul_f64_e32 v[128:129], v[6:7], v[128:129]
	s_wait_loadcnt_dscnt 0x300
	v_mul_f64_e32 v[152:153], v[146:147], v[132:133]
	v_mul_f64_e32 v[132:133], v[148:149], v[132:133]
	v_add_f64_e32 v[10:11], v[160:161], v[158:159]
	v_add_f64_e32 v[150:151], v[154:155], v[172:173]
	v_fmac_f64_e32 v[156:157], v[6:7], v[126:127]
	v_fma_f64 v[126:127], v[4:5], v[126:127], -v[128:129]
	v_fmac_f64_e32 v[152:153], v[148:149], v[130:131]
	v_fma_f64 v[130:131], v[146:147], v[130:131], -v[132:133]
	v_add_f64_e32 v[128:129], v[10:11], v[8:9]
	v_add_f64_e32 v[150:151], v[150:151], v[162:163]
	ds_load_b128 v[4:7], v2 offset:1744
	ds_load_b128 v[8:11], v2 offset:1760
	s_wait_loadcnt_dscnt 0x201
	v_mul_f64_e32 v[154:155], v[4:5], v[136:137]
	v_mul_f64_e32 v[136:137], v[6:7], v[136:137]
	s_wait_loadcnt_dscnt 0x100
	v_mul_f64_e32 v[132:133], v[8:9], v[140:141]
	v_mul_f64_e32 v[140:141], v[10:11], v[140:141]
	v_add_f64_e32 v[126:127], v[128:129], v[126:127]
	v_add_f64_e32 v[128:129], v[150:151], v[156:157]
	v_fmac_f64_e32 v[154:155], v[6:7], v[134:135]
	v_fma_f64 v[134:135], v[4:5], v[134:135], -v[136:137]
	ds_load_b128 v[4:7], v2 offset:1776
	v_fmac_f64_e32 v[132:133], v[10:11], v[138:139]
	v_fma_f64 v[8:9], v[8:9], v[138:139], -v[140:141]
	v_add_f64_e32 v[126:127], v[126:127], v[130:131]
	v_add_f64_e32 v[128:129], v[128:129], v[152:153]
	s_wait_loadcnt_dscnt 0x0
	v_mul_f64_e32 v[130:131], v[4:5], v[144:145]
	v_mul_f64_e32 v[136:137], v[6:7], v[144:145]
	s_delay_alu instid0(VALU_DEP_4) | instskip(NEXT) | instid1(VALU_DEP_4)
	v_add_f64_e32 v[10:11], v[126:127], v[134:135]
	v_add_f64_e32 v[126:127], v[128:129], v[154:155]
	s_delay_alu instid0(VALU_DEP_4) | instskip(NEXT) | instid1(VALU_DEP_4)
	v_fmac_f64_e32 v[130:131], v[6:7], v[142:143]
	v_fma_f64 v[4:5], v[4:5], v[142:143], -v[136:137]
	s_delay_alu instid0(VALU_DEP_4) | instskip(NEXT) | instid1(VALU_DEP_4)
	v_add_f64_e32 v[6:7], v[10:11], v[8:9]
	v_add_f64_e32 v[8:9], v[126:127], v[132:133]
	s_delay_alu instid0(VALU_DEP_2) | instskip(NEXT) | instid1(VALU_DEP_2)
	v_add_f64_e32 v[4:5], v[6:7], v[4:5]
	v_add_f64_e32 v[6:7], v[8:9], v[130:131]
	s_delay_alu instid0(VALU_DEP_2) | instskip(NEXT) | instid1(VALU_DEP_2)
	v_add_f64_e64 v[4:5], v[166:167], -v[4:5]
	v_add_f64_e64 v[6:7], v[168:169], -v[6:7]
	scratch_store_b128 off, v[4:7], off offset:384
	s_wait_xcnt 0x0
	v_cmpx_lt_u32_e32 23, v1
	s_cbranch_execz .LBB119_303
; %bb.302:
	scratch_load_b128 v[6:9], off, s49
	v_dual_mov_b32 v3, v2 :: v_dual_mov_b32 v4, v2
	v_mov_b32_e32 v5, v2
	scratch_store_b128 off, v[2:5], off offset:368
	s_wait_loadcnt 0x0
	ds_store_b128 v12, v[6:9]
.LBB119_303:
	s_wait_xcnt 0x0
	s_or_b32 exec_lo, exec_lo, s2
	s_wait_storecnt_dscnt 0x0
	s_barrier_signal -1
	s_barrier_wait -1
	s_clause 0x9
	scratch_load_b128 v[4:7], off, off offset:384
	scratch_load_b128 v[8:11], off, off offset:400
	;; [unrolled: 1-line block ×10, first 2 shown]
	ds_load_b128 v[158:161], v2 offset:1280
	ds_load_b128 v[166:169], v2 offset:1296
	s_clause 0x2
	scratch_load_b128 v[162:165], off, off offset:544
	scratch_load_b128 v[170:173], off, off offset:368
	;; [unrolled: 1-line block ×3, first 2 shown]
	s_mov_b32 s2, exec_lo
	s_wait_loadcnt_dscnt 0xc01
	v_mul_f64_e32 v[178:179], v[160:161], v[6:7]
	v_mul_f64_e32 v[182:183], v[158:159], v[6:7]
	s_wait_loadcnt_dscnt 0xb00
	v_mul_f64_e32 v[184:185], v[166:167], v[10:11]
	v_mul_f64_e32 v[10:11], v[168:169], v[10:11]
	s_delay_alu instid0(VALU_DEP_4) | instskip(NEXT) | instid1(VALU_DEP_4)
	v_fma_f64 v[186:187], v[158:159], v[4:5], -v[178:179]
	v_fmac_f64_e32 v[182:183], v[160:161], v[4:5]
	ds_load_b128 v[4:7], v2 offset:1312
	ds_load_b128 v[158:161], v2 offset:1328
	scratch_load_b128 v[178:181], off, off offset:576
	v_fmac_f64_e32 v[184:185], v[168:169], v[8:9]
	v_fma_f64 v[166:167], v[166:167], v[8:9], -v[10:11]
	scratch_load_b128 v[8:11], off, off offset:592
	s_wait_loadcnt_dscnt 0xc01
	v_mul_f64_e32 v[188:189], v[4:5], v[128:129]
	v_mul_f64_e32 v[128:129], v[6:7], v[128:129]
	v_add_f64_e32 v[168:169], 0, v[186:187]
	v_add_f64_e32 v[182:183], 0, v[182:183]
	s_wait_loadcnt_dscnt 0xb00
	v_mul_f64_e32 v[186:187], v[158:159], v[132:133]
	v_mul_f64_e32 v[132:133], v[160:161], v[132:133]
	v_fmac_f64_e32 v[188:189], v[6:7], v[126:127]
	v_fma_f64 v[190:191], v[4:5], v[126:127], -v[128:129]
	ds_load_b128 v[4:7], v2 offset:1344
	ds_load_b128 v[126:129], v2 offset:1360
	v_add_f64_e32 v[192:193], v[168:169], v[166:167]
	v_add_f64_e32 v[182:183], v[182:183], v[184:185]
	scratch_load_b128 v[166:169], off, off offset:608
	v_fmac_f64_e32 v[186:187], v[160:161], v[130:131]
	v_fma_f64 v[158:159], v[158:159], v[130:131], -v[132:133]
	scratch_load_b128 v[130:133], off, off offset:624
	s_wait_loadcnt_dscnt 0xc01
	v_mul_f64_e32 v[184:185], v[4:5], v[136:137]
	v_mul_f64_e32 v[136:137], v[6:7], v[136:137]
	v_add_f64_e32 v[160:161], v[192:193], v[190:191]
	v_add_f64_e32 v[182:183], v[182:183], v[188:189]
	s_wait_loadcnt_dscnt 0xb00
	v_mul_f64_e32 v[188:189], v[126:127], v[140:141]
	v_mul_f64_e32 v[140:141], v[128:129], v[140:141]
	v_fmac_f64_e32 v[184:185], v[6:7], v[134:135]
	v_fma_f64 v[190:191], v[4:5], v[134:135], -v[136:137]
	ds_load_b128 v[4:7], v2 offset:1376
	ds_load_b128 v[134:137], v2 offset:1392
	v_add_f64_e32 v[192:193], v[160:161], v[158:159]
	v_add_f64_e32 v[182:183], v[182:183], v[186:187]
	scratch_load_b128 v[158:161], off, off offset:640
	s_wait_loadcnt_dscnt 0xb01
	v_mul_f64_e32 v[186:187], v[4:5], v[144:145]
	v_mul_f64_e32 v[144:145], v[6:7], v[144:145]
	v_fmac_f64_e32 v[188:189], v[128:129], v[138:139]
	v_fma_f64 v[138:139], v[126:127], v[138:139], -v[140:141]
	scratch_load_b128 v[126:129], off, off offset:656
	v_add_f64_e32 v[140:141], v[192:193], v[190:191]
	v_add_f64_e32 v[182:183], v[182:183], v[184:185]
	s_wait_loadcnt_dscnt 0xb00
	v_mul_f64_e32 v[184:185], v[134:135], v[148:149]
	v_mul_f64_e32 v[148:149], v[136:137], v[148:149]
	v_fmac_f64_e32 v[186:187], v[6:7], v[142:143]
	v_fma_f64 v[190:191], v[4:5], v[142:143], -v[144:145]
	v_add_f64_e32 v[192:193], v[140:141], v[138:139]
	v_add_f64_e32 v[182:183], v[182:183], v[188:189]
	ds_load_b128 v[4:7], v2 offset:1408
	ds_load_b128 v[138:141], v2 offset:1424
	scratch_load_b128 v[142:145], off, off offset:672
	v_fmac_f64_e32 v[184:185], v[136:137], v[146:147]
	v_fma_f64 v[146:147], v[134:135], v[146:147], -v[148:149]
	scratch_load_b128 v[134:137], off, off offset:688
	s_wait_loadcnt_dscnt 0xc01
	v_mul_f64_e32 v[188:189], v[4:5], v[152:153]
	v_mul_f64_e32 v[152:153], v[6:7], v[152:153]
	v_add_f64_e32 v[148:149], v[192:193], v[190:191]
	v_add_f64_e32 v[182:183], v[182:183], v[186:187]
	s_wait_loadcnt_dscnt 0xb00
	v_mul_f64_e32 v[186:187], v[138:139], v[156:157]
	v_mul_f64_e32 v[156:157], v[140:141], v[156:157]
	v_fmac_f64_e32 v[188:189], v[6:7], v[150:151]
	v_fma_f64 v[190:191], v[4:5], v[150:151], -v[152:153]
	v_add_f64_e32 v[192:193], v[148:149], v[146:147]
	v_add_f64_e32 v[182:183], v[182:183], v[184:185]
	ds_load_b128 v[4:7], v2 offset:1440
	ds_load_b128 v[146:149], v2 offset:1456
	scratch_load_b128 v[150:153], off, off offset:704
	v_fmac_f64_e32 v[186:187], v[140:141], v[154:155]
	v_fma_f64 v[154:155], v[138:139], v[154:155], -v[156:157]
	scratch_load_b128 v[138:141], off, off offset:720
	s_wait_loadcnt_dscnt 0xc01
	v_mul_f64_e32 v[184:185], v[4:5], v[164:165]
	v_mul_f64_e32 v[164:165], v[6:7], v[164:165]
	;; [unrolled: 18-line block ×5, first 2 shown]
	v_add_f64_e32 v[176:177], v[192:193], v[190:191]
	v_add_f64_e32 v[182:183], v[182:183], v[188:189]
	s_wait_loadcnt_dscnt 0xa00
	v_mul_f64_e32 v[188:189], v[154:155], v[128:129]
	v_mul_f64_e32 v[128:129], v[156:157], v[128:129]
	v_fmac_f64_e32 v[184:185], v[6:7], v[158:159]
	v_fma_f64 v[190:191], v[4:5], v[158:159], -v[160:161]
	ds_load_b128 v[4:7], v2 offset:1568
	ds_load_b128 v[158:161], v2 offset:1584
	v_add_f64_e32 v[192:193], v[176:177], v[174:175]
	v_add_f64_e32 v[182:183], v[182:183], v[186:187]
	scratch_load_b128 v[174:177], off, off offset:832
	v_fmac_f64_e32 v[188:189], v[156:157], v[126:127]
	v_fma_f64 v[154:155], v[154:155], v[126:127], -v[128:129]
	scratch_load_b128 v[126:129], off, off offset:848
	s_wait_loadcnt_dscnt 0xb01
	v_mul_f64_e32 v[186:187], v[4:5], v[144:145]
	v_mul_f64_e32 v[144:145], v[6:7], v[144:145]
	v_add_f64_e32 v[156:157], v[192:193], v[190:191]
	v_add_f64_e32 v[182:183], v[182:183], v[184:185]
	s_wait_loadcnt_dscnt 0xa00
	v_mul_f64_e32 v[184:185], v[158:159], v[136:137]
	v_mul_f64_e32 v[136:137], v[160:161], v[136:137]
	v_fmac_f64_e32 v[186:187], v[6:7], v[142:143]
	v_fma_f64 v[190:191], v[4:5], v[142:143], -v[144:145]
	ds_load_b128 v[4:7], v2 offset:1600
	ds_load_b128 v[142:145], v2 offset:1616
	v_add_f64_e32 v[192:193], v[156:157], v[154:155]
	v_add_f64_e32 v[182:183], v[182:183], v[188:189]
	scratch_load_b128 v[154:157], off, off offset:864
	s_wait_loadcnt_dscnt 0xa01
	v_mul_f64_e32 v[188:189], v[4:5], v[152:153]
	v_mul_f64_e32 v[152:153], v[6:7], v[152:153]
	v_fmac_f64_e32 v[184:185], v[160:161], v[134:135]
	v_fma_f64 v[158:159], v[158:159], v[134:135], -v[136:137]
	scratch_load_b128 v[134:137], off, off offset:880
	v_add_f64_e32 v[160:161], v[192:193], v[190:191]
	v_add_f64_e32 v[182:183], v[182:183], v[186:187]
	s_wait_loadcnt_dscnt 0xa00
	v_mul_f64_e32 v[186:187], v[142:143], v[140:141]
	v_mul_f64_e32 v[140:141], v[144:145], v[140:141]
	v_fmac_f64_e32 v[188:189], v[6:7], v[150:151]
	v_fma_f64 v[190:191], v[4:5], v[150:151], -v[152:153]
	ds_load_b128 v[4:7], v2 offset:1632
	ds_load_b128 v[150:153], v2 offset:1648
	v_add_f64_e32 v[158:159], v[160:161], v[158:159]
	v_add_f64_e32 v[160:161], v[182:183], v[184:185]
	v_fmac_f64_e32 v[186:187], v[144:145], v[138:139]
	s_wait_loadcnt_dscnt 0x901
	v_mul_f64_e32 v[182:183], v[4:5], v[164:165]
	v_mul_f64_e32 v[164:165], v[6:7], v[164:165]
	v_fma_f64 v[138:139], v[142:143], v[138:139], -v[140:141]
	s_wait_loadcnt_dscnt 0x800
	v_mul_f64_e32 v[144:145], v[150:151], v[148:149]
	v_mul_f64_e32 v[148:149], v[152:153], v[148:149]
	v_add_f64_e32 v[140:141], v[158:159], v[190:191]
	v_add_f64_e32 v[142:143], v[160:161], v[188:189]
	v_fmac_f64_e32 v[182:183], v[6:7], v[162:163]
	v_fma_f64 v[158:159], v[4:5], v[162:163], -v[164:165]
	v_fmac_f64_e32 v[144:145], v[152:153], v[146:147]
	v_fma_f64 v[146:147], v[150:151], v[146:147], -v[148:149]
	v_add_f64_e32 v[160:161], v[140:141], v[138:139]
	v_add_f64_e32 v[142:143], v[142:143], v[186:187]
	ds_load_b128 v[4:7], v2 offset:1664
	ds_load_b128 v[138:141], v2 offset:1680
	s_wait_loadcnt_dscnt 0x701
	v_mul_f64_e32 v[162:163], v[4:5], v[180:181]
	v_mul_f64_e32 v[164:165], v[6:7], v[180:181]
	s_wait_loadcnt_dscnt 0x600
	v_mul_f64_e32 v[150:151], v[138:139], v[10:11]
	v_mul_f64_e32 v[10:11], v[140:141], v[10:11]
	v_add_f64_e32 v[148:149], v[160:161], v[158:159]
	v_add_f64_e32 v[142:143], v[142:143], v[182:183]
	v_fmac_f64_e32 v[162:163], v[6:7], v[178:179]
	v_fma_f64 v[152:153], v[4:5], v[178:179], -v[164:165]
	v_fmac_f64_e32 v[150:151], v[140:141], v[8:9]
	v_fma_f64 v[8:9], v[138:139], v[8:9], -v[10:11]
	v_add_f64_e32 v[146:147], v[148:149], v[146:147]
	v_add_f64_e32 v[148:149], v[142:143], v[144:145]
	ds_load_b128 v[4:7], v2 offset:1696
	ds_load_b128 v[142:145], v2 offset:1712
	s_wait_loadcnt_dscnt 0x501
	v_mul_f64_e32 v[158:159], v[4:5], v[168:169]
	v_mul_f64_e32 v[160:161], v[6:7], v[168:169]
	;; [unrolled: 16-line block ×4, first 2 shown]
	v_add_f64_e32 v[10:11], v[132:133], v[146:147]
	v_add_f64_e32 v[126:127], v[138:139], v[150:151]
	s_wait_loadcnt_dscnt 0x0
	v_mul_f64_e32 v[132:133], v[128:129], v[136:137]
	v_mul_f64_e32 v[136:137], v[130:131], v[136:137]
	v_fmac_f64_e32 v[2:3], v[6:7], v[154:155]
	v_fma_f64 v[4:5], v[4:5], v[154:155], -v[140:141]
	v_add_f64_e32 v[6:7], v[10:11], v[8:9]
	v_add_f64_e32 v[8:9], v[126:127], v[142:143]
	v_fmac_f64_e32 v[132:133], v[130:131], v[134:135]
	v_fma_f64 v[10:11], v[128:129], v[134:135], -v[136:137]
	s_delay_alu instid0(VALU_DEP_4) | instskip(NEXT) | instid1(VALU_DEP_4)
	v_add_f64_e32 v[4:5], v[6:7], v[4:5]
	v_add_f64_e32 v[2:3], v[8:9], v[2:3]
	s_delay_alu instid0(VALU_DEP_2) | instskip(NEXT) | instid1(VALU_DEP_2)
	v_add_f64_e32 v[4:5], v[4:5], v[10:11]
	v_add_f64_e32 v[6:7], v[2:3], v[132:133]
	s_delay_alu instid0(VALU_DEP_2) | instskip(NEXT) | instid1(VALU_DEP_2)
	v_add_f64_e64 v[2:3], v[170:171], -v[4:5]
	v_add_f64_e64 v[4:5], v[172:173], -v[6:7]
	scratch_store_b128 off, v[2:5], off offset:368
	s_wait_xcnt 0x0
	v_cmpx_lt_u32_e32 22, v1
	s_cbranch_execz .LBB119_305
; %bb.304:
	scratch_load_b128 v[2:5], off, s50
	v_mov_b32_e32 v6, 0
	s_delay_alu instid0(VALU_DEP_1)
	v_dual_mov_b32 v7, v6 :: v_dual_mov_b32 v8, v6
	v_mov_b32_e32 v9, v6
	scratch_store_b128 off, v[6:9], off offset:352
	s_wait_loadcnt 0x0
	ds_store_b128 v12, v[2:5]
.LBB119_305:
	s_wait_xcnt 0x0
	s_or_b32 exec_lo, exec_lo, s2
	s_wait_storecnt_dscnt 0x0
	s_barrier_signal -1
	s_barrier_wait -1
	s_clause 0x9
	scratch_load_b128 v[4:7], off, off offset:368
	scratch_load_b128 v[8:11], off, off offset:384
	;; [unrolled: 1-line block ×10, first 2 shown]
	v_mov_b32_e32 v2, 0
	s_mov_b32 s2, exec_lo
	ds_load_b128 v[158:161], v2 offset:1264
	s_clause 0x2
	scratch_load_b128 v[162:165], off, off offset:528
	scratch_load_b128 v[166:169], off, off offset:352
	;; [unrolled: 1-line block ×3, first 2 shown]
	s_wait_loadcnt_dscnt 0xc00
	v_mul_f64_e32 v[178:179], v[160:161], v[6:7]
	v_mul_f64_e32 v[182:183], v[158:159], v[6:7]
	ds_load_b128 v[170:173], v2 offset:1280
	v_fma_f64 v[186:187], v[158:159], v[4:5], -v[178:179]
	v_fmac_f64_e32 v[182:183], v[160:161], v[4:5]
	ds_load_b128 v[4:7], v2 offset:1296
	s_wait_loadcnt_dscnt 0xb01
	v_mul_f64_e32 v[184:185], v[170:171], v[10:11]
	v_mul_f64_e32 v[10:11], v[172:173], v[10:11]
	scratch_load_b128 v[158:161], off, off offset:560
	ds_load_b128 v[178:181], v2 offset:1312
	s_wait_loadcnt_dscnt 0xb01
	v_mul_f64_e32 v[188:189], v[4:5], v[128:129]
	v_mul_f64_e32 v[128:129], v[6:7], v[128:129]
	v_add_f64_e32 v[182:183], 0, v[182:183]
	v_fmac_f64_e32 v[184:185], v[172:173], v[8:9]
	v_fma_f64 v[170:171], v[170:171], v[8:9], -v[10:11]
	v_add_f64_e32 v[172:173], 0, v[186:187]
	scratch_load_b128 v[8:11], off, off offset:576
	v_fmac_f64_e32 v[188:189], v[6:7], v[126:127]
	v_fma_f64 v[190:191], v[4:5], v[126:127], -v[128:129]
	ds_load_b128 v[4:7], v2 offset:1328
	s_wait_loadcnt_dscnt 0xb01
	v_mul_f64_e32 v[186:187], v[178:179], v[132:133]
	v_mul_f64_e32 v[132:133], v[180:181], v[132:133]
	scratch_load_b128 v[126:129], off, off offset:592
	v_add_f64_e32 v[182:183], v[182:183], v[184:185]
	v_add_f64_e32 v[192:193], v[172:173], v[170:171]
	ds_load_b128 v[170:173], v2 offset:1344
	s_wait_loadcnt_dscnt 0xb01
	v_mul_f64_e32 v[184:185], v[4:5], v[136:137]
	v_mul_f64_e32 v[136:137], v[6:7], v[136:137]
	v_fmac_f64_e32 v[186:187], v[180:181], v[130:131]
	v_fma_f64 v[178:179], v[178:179], v[130:131], -v[132:133]
	scratch_load_b128 v[130:133], off, off offset:608
	v_add_f64_e32 v[182:183], v[182:183], v[188:189]
	v_add_f64_e32 v[180:181], v[192:193], v[190:191]
	v_fmac_f64_e32 v[184:185], v[6:7], v[134:135]
	v_fma_f64 v[190:191], v[4:5], v[134:135], -v[136:137]
	ds_load_b128 v[4:7], v2 offset:1360
	s_wait_loadcnt_dscnt 0xb01
	v_mul_f64_e32 v[188:189], v[170:171], v[140:141]
	v_mul_f64_e32 v[140:141], v[172:173], v[140:141]
	scratch_load_b128 v[134:137], off, off offset:624
	v_add_f64_e32 v[182:183], v[182:183], v[186:187]
	s_wait_loadcnt_dscnt 0xb00
	v_mul_f64_e32 v[186:187], v[4:5], v[144:145]
	v_add_f64_e32 v[192:193], v[180:181], v[178:179]
	v_mul_f64_e32 v[144:145], v[6:7], v[144:145]
	ds_load_b128 v[178:181], v2 offset:1376
	v_fmac_f64_e32 v[188:189], v[172:173], v[138:139]
	v_fma_f64 v[170:171], v[170:171], v[138:139], -v[140:141]
	scratch_load_b128 v[138:141], off, off offset:640
	v_add_f64_e32 v[182:183], v[182:183], v[184:185]
	v_fmac_f64_e32 v[186:187], v[6:7], v[142:143]
	v_add_f64_e32 v[172:173], v[192:193], v[190:191]
	v_fma_f64 v[190:191], v[4:5], v[142:143], -v[144:145]
	ds_load_b128 v[4:7], v2 offset:1392
	s_wait_loadcnt_dscnt 0xb01
	v_mul_f64_e32 v[184:185], v[178:179], v[148:149]
	v_mul_f64_e32 v[148:149], v[180:181], v[148:149]
	scratch_load_b128 v[142:145], off, off offset:656
	v_add_f64_e32 v[182:183], v[182:183], v[188:189]
	s_wait_loadcnt_dscnt 0xb00
	v_mul_f64_e32 v[188:189], v[4:5], v[152:153]
	v_add_f64_e32 v[192:193], v[172:173], v[170:171]
	v_mul_f64_e32 v[152:153], v[6:7], v[152:153]
	ds_load_b128 v[170:173], v2 offset:1408
	v_fmac_f64_e32 v[184:185], v[180:181], v[146:147]
	v_fma_f64 v[178:179], v[178:179], v[146:147], -v[148:149]
	scratch_load_b128 v[146:149], off, off offset:672
	v_add_f64_e32 v[182:183], v[182:183], v[186:187]
	v_fmac_f64_e32 v[188:189], v[6:7], v[150:151]
	v_add_f64_e32 v[180:181], v[192:193], v[190:191]
	;; [unrolled: 18-line block ×3, first 2 shown]
	v_fma_f64 v[190:191], v[4:5], v[162:163], -v[164:165]
	ds_load_b128 v[4:7], v2 offset:1456
	s_wait_loadcnt_dscnt 0xa01
	v_mul_f64_e32 v[188:189], v[178:179], v[176:177]
	v_mul_f64_e32 v[176:177], v[180:181], v[176:177]
	scratch_load_b128 v[162:165], off, off offset:720
	v_add_f64_e32 v[182:183], v[182:183], v[186:187]
	v_add_f64_e32 v[192:193], v[172:173], v[170:171]
	s_wait_loadcnt_dscnt 0xa00
	v_mul_f64_e32 v[186:187], v[4:5], v[160:161]
	v_mul_f64_e32 v[160:161], v[6:7], v[160:161]
	v_fmac_f64_e32 v[188:189], v[180:181], v[174:175]
	v_fma_f64 v[178:179], v[178:179], v[174:175], -v[176:177]
	ds_load_b128 v[170:173], v2 offset:1472
	scratch_load_b128 v[174:177], off, off offset:736
	v_add_f64_e32 v[182:183], v[182:183], v[184:185]
	v_add_f64_e32 v[180:181], v[192:193], v[190:191]
	v_fmac_f64_e32 v[186:187], v[6:7], v[158:159]
	v_fma_f64 v[190:191], v[4:5], v[158:159], -v[160:161]
	ds_load_b128 v[4:7], v2 offset:1488
	s_wait_loadcnt_dscnt 0xa01
	v_mul_f64_e32 v[184:185], v[170:171], v[10:11]
	v_mul_f64_e32 v[10:11], v[172:173], v[10:11]
	scratch_load_b128 v[158:161], off, off offset:752
	v_add_f64_e32 v[182:183], v[182:183], v[188:189]
	s_wait_loadcnt_dscnt 0xa00
	v_mul_f64_e32 v[188:189], v[4:5], v[128:129]
	v_add_f64_e32 v[192:193], v[180:181], v[178:179]
	v_mul_f64_e32 v[128:129], v[6:7], v[128:129]
	ds_load_b128 v[178:181], v2 offset:1504
	v_fmac_f64_e32 v[184:185], v[172:173], v[8:9]
	v_fma_f64 v[170:171], v[170:171], v[8:9], -v[10:11]
	scratch_load_b128 v[8:11], off, off offset:768
	v_add_f64_e32 v[182:183], v[182:183], v[186:187]
	v_fmac_f64_e32 v[188:189], v[6:7], v[126:127]
	v_add_f64_e32 v[172:173], v[192:193], v[190:191]
	v_fma_f64 v[190:191], v[4:5], v[126:127], -v[128:129]
	ds_load_b128 v[4:7], v2 offset:1520
	s_wait_loadcnt_dscnt 0xa01
	v_mul_f64_e32 v[186:187], v[178:179], v[132:133]
	v_mul_f64_e32 v[132:133], v[180:181], v[132:133]
	scratch_load_b128 v[126:129], off, off offset:784
	v_add_f64_e32 v[182:183], v[182:183], v[184:185]
	s_wait_loadcnt_dscnt 0xa00
	v_mul_f64_e32 v[184:185], v[4:5], v[136:137]
	v_add_f64_e32 v[192:193], v[172:173], v[170:171]
	v_mul_f64_e32 v[136:137], v[6:7], v[136:137]
	ds_load_b128 v[170:173], v2 offset:1536
	v_fmac_f64_e32 v[186:187], v[180:181], v[130:131]
	v_fma_f64 v[178:179], v[178:179], v[130:131], -v[132:133]
	scratch_load_b128 v[130:133], off, off offset:800
	v_add_f64_e32 v[182:183], v[182:183], v[188:189]
	v_fmac_f64_e32 v[184:185], v[6:7], v[134:135]
	v_add_f64_e32 v[180:181], v[192:193], v[190:191]
	;; [unrolled: 18-line block ×4, first 2 shown]
	v_fma_f64 v[190:191], v[4:5], v[150:151], -v[152:153]
	ds_load_b128 v[4:7], v2 offset:1616
	s_wait_loadcnt_dscnt 0xa01
	v_mul_f64_e32 v[186:187], v[170:171], v[156:157]
	v_mul_f64_e32 v[156:157], v[172:173], v[156:157]
	scratch_load_b128 v[150:153], off, off offset:880
	v_add_f64_e32 v[182:183], v[182:183], v[184:185]
	s_wait_loadcnt_dscnt 0xa00
	v_mul_f64_e32 v[184:185], v[4:5], v[164:165]
	v_add_f64_e32 v[192:193], v[180:181], v[178:179]
	v_mul_f64_e32 v[164:165], v[6:7], v[164:165]
	ds_load_b128 v[178:181], v2 offset:1632
	v_fmac_f64_e32 v[186:187], v[172:173], v[154:155]
	v_fma_f64 v[154:155], v[170:171], v[154:155], -v[156:157]
	s_wait_loadcnt_dscnt 0x900
	v_mul_f64_e32 v[172:173], v[178:179], v[176:177]
	v_mul_f64_e32 v[176:177], v[180:181], v[176:177]
	v_add_f64_e32 v[170:171], v[182:183], v[188:189]
	v_fmac_f64_e32 v[184:185], v[6:7], v[162:163]
	v_add_f64_e32 v[156:157], v[192:193], v[190:191]
	v_fma_f64 v[162:163], v[4:5], v[162:163], -v[164:165]
	v_fmac_f64_e32 v[172:173], v[180:181], v[174:175]
	v_fma_f64 v[174:175], v[178:179], v[174:175], -v[176:177]
	v_add_f64_e32 v[170:171], v[170:171], v[186:187]
	v_add_f64_e32 v[164:165], v[156:157], v[154:155]
	ds_load_b128 v[4:7], v2 offset:1648
	ds_load_b128 v[154:157], v2 offset:1664
	s_wait_loadcnt_dscnt 0x801
	v_mul_f64_e32 v[182:183], v[4:5], v[160:161]
	v_mul_f64_e32 v[160:161], v[6:7], v[160:161]
	v_add_f64_e32 v[162:163], v[164:165], v[162:163]
	v_add_f64_e32 v[164:165], v[170:171], v[184:185]
	s_wait_loadcnt_dscnt 0x700
	v_mul_f64_e32 v[170:171], v[154:155], v[10:11]
	v_mul_f64_e32 v[10:11], v[156:157], v[10:11]
	v_fmac_f64_e32 v[182:183], v[6:7], v[158:159]
	v_fma_f64 v[176:177], v[4:5], v[158:159], -v[160:161]
	ds_load_b128 v[4:7], v2 offset:1680
	ds_load_b128 v[158:161], v2 offset:1696
	v_add_f64_e32 v[162:163], v[162:163], v[174:175]
	v_add_f64_e32 v[164:165], v[164:165], v[172:173]
	v_fmac_f64_e32 v[170:171], v[156:157], v[8:9]
	v_fma_f64 v[8:9], v[154:155], v[8:9], -v[10:11]
	s_wait_loadcnt_dscnt 0x601
	v_mul_f64_e32 v[172:173], v[4:5], v[128:129]
	v_mul_f64_e32 v[128:129], v[6:7], v[128:129]
	s_wait_loadcnt_dscnt 0x500
	v_mul_f64_e32 v[156:157], v[158:159], v[132:133]
	v_mul_f64_e32 v[132:133], v[160:161], v[132:133]
	v_add_f64_e32 v[10:11], v[162:163], v[176:177]
	v_add_f64_e32 v[154:155], v[164:165], v[182:183]
	v_fmac_f64_e32 v[172:173], v[6:7], v[126:127]
	v_fma_f64 v[126:127], v[4:5], v[126:127], -v[128:129]
	v_fmac_f64_e32 v[156:157], v[160:161], v[130:131]
	v_fma_f64 v[130:131], v[158:159], v[130:131], -v[132:133]
	v_add_f64_e32 v[128:129], v[10:11], v[8:9]
	v_add_f64_e32 v[154:155], v[154:155], v[170:171]
	ds_load_b128 v[4:7], v2 offset:1712
	ds_load_b128 v[8:11], v2 offset:1728
	s_wait_loadcnt_dscnt 0x401
	v_mul_f64_e32 v[162:163], v[4:5], v[136:137]
	v_mul_f64_e32 v[136:137], v[6:7], v[136:137]
	s_wait_loadcnt_dscnt 0x300
	v_mul_f64_e32 v[132:133], v[8:9], v[140:141]
	v_mul_f64_e32 v[140:141], v[10:11], v[140:141]
	v_add_f64_e32 v[126:127], v[128:129], v[126:127]
	v_add_f64_e32 v[128:129], v[154:155], v[172:173]
	v_fmac_f64_e32 v[162:163], v[6:7], v[134:135]
	v_fma_f64 v[134:135], v[4:5], v[134:135], -v[136:137]
	v_fmac_f64_e32 v[132:133], v[10:11], v[138:139]
	v_fma_f64 v[8:9], v[8:9], v[138:139], -v[140:141]
	v_add_f64_e32 v[130:131], v[126:127], v[130:131]
	v_add_f64_e32 v[136:137], v[128:129], v[156:157]
	ds_load_b128 v[4:7], v2 offset:1744
	ds_load_b128 v[126:129], v2 offset:1760
	s_wait_loadcnt_dscnt 0x201
	v_mul_f64_e32 v[154:155], v[4:5], v[144:145]
	v_mul_f64_e32 v[144:145], v[6:7], v[144:145]
	v_add_f64_e32 v[10:11], v[130:131], v[134:135]
	v_add_f64_e32 v[130:131], v[136:137], v[162:163]
	s_wait_loadcnt_dscnt 0x100
	v_mul_f64_e32 v[134:135], v[126:127], v[148:149]
	v_mul_f64_e32 v[136:137], v[128:129], v[148:149]
	v_fmac_f64_e32 v[154:155], v[6:7], v[142:143]
	v_fma_f64 v[138:139], v[4:5], v[142:143], -v[144:145]
	ds_load_b128 v[4:7], v2 offset:1776
	v_add_f64_e32 v[8:9], v[10:11], v[8:9]
	v_add_f64_e32 v[10:11], v[130:131], v[132:133]
	v_fmac_f64_e32 v[134:135], v[128:129], v[146:147]
	v_fma_f64 v[126:127], v[126:127], v[146:147], -v[136:137]
	s_wait_loadcnt_dscnt 0x0
	v_mul_f64_e32 v[130:131], v[4:5], v[152:153]
	v_mul_f64_e32 v[132:133], v[6:7], v[152:153]
	v_add_f64_e32 v[8:9], v[8:9], v[138:139]
	v_add_f64_e32 v[10:11], v[10:11], v[154:155]
	s_delay_alu instid0(VALU_DEP_4) | instskip(NEXT) | instid1(VALU_DEP_4)
	v_fmac_f64_e32 v[130:131], v[6:7], v[150:151]
	v_fma_f64 v[4:5], v[4:5], v[150:151], -v[132:133]
	s_delay_alu instid0(VALU_DEP_4) | instskip(NEXT) | instid1(VALU_DEP_4)
	v_add_f64_e32 v[6:7], v[8:9], v[126:127]
	v_add_f64_e32 v[8:9], v[10:11], v[134:135]
	s_delay_alu instid0(VALU_DEP_2) | instskip(NEXT) | instid1(VALU_DEP_2)
	v_add_f64_e32 v[4:5], v[6:7], v[4:5]
	v_add_f64_e32 v[6:7], v[8:9], v[130:131]
	s_delay_alu instid0(VALU_DEP_2) | instskip(NEXT) | instid1(VALU_DEP_2)
	v_add_f64_e64 v[4:5], v[166:167], -v[4:5]
	v_add_f64_e64 v[6:7], v[168:169], -v[6:7]
	scratch_store_b128 off, v[4:7], off offset:352
	s_wait_xcnt 0x0
	v_cmpx_lt_u32_e32 21, v1
	s_cbranch_execz .LBB119_307
; %bb.306:
	scratch_load_b128 v[6:9], off, s51
	v_dual_mov_b32 v3, v2 :: v_dual_mov_b32 v4, v2
	v_mov_b32_e32 v5, v2
	scratch_store_b128 off, v[2:5], off offset:336
	s_wait_loadcnt 0x0
	ds_store_b128 v12, v[6:9]
.LBB119_307:
	s_wait_xcnt 0x0
	s_or_b32 exec_lo, exec_lo, s2
	s_wait_storecnt_dscnt 0x0
	s_barrier_signal -1
	s_barrier_wait -1
	s_clause 0x9
	scratch_load_b128 v[4:7], off, off offset:352
	scratch_load_b128 v[8:11], off, off offset:368
	;; [unrolled: 1-line block ×10, first 2 shown]
	ds_load_b128 v[158:161], v2 offset:1248
	ds_load_b128 v[166:169], v2 offset:1264
	s_clause 0x2
	scratch_load_b128 v[162:165], off, off offset:512
	scratch_load_b128 v[170:173], off, off offset:336
	;; [unrolled: 1-line block ×3, first 2 shown]
	s_mov_b32 s2, exec_lo
	s_wait_loadcnt_dscnt 0xc01
	v_mul_f64_e32 v[178:179], v[160:161], v[6:7]
	v_mul_f64_e32 v[182:183], v[158:159], v[6:7]
	s_wait_loadcnt_dscnt 0xb00
	v_mul_f64_e32 v[184:185], v[166:167], v[10:11]
	v_mul_f64_e32 v[10:11], v[168:169], v[10:11]
	s_delay_alu instid0(VALU_DEP_4) | instskip(NEXT) | instid1(VALU_DEP_4)
	v_fma_f64 v[186:187], v[158:159], v[4:5], -v[178:179]
	v_fmac_f64_e32 v[182:183], v[160:161], v[4:5]
	ds_load_b128 v[4:7], v2 offset:1280
	ds_load_b128 v[158:161], v2 offset:1296
	scratch_load_b128 v[178:181], off, off offset:544
	v_fmac_f64_e32 v[184:185], v[168:169], v[8:9]
	v_fma_f64 v[166:167], v[166:167], v[8:9], -v[10:11]
	scratch_load_b128 v[8:11], off, off offset:560
	s_wait_loadcnt_dscnt 0xc01
	v_mul_f64_e32 v[188:189], v[4:5], v[128:129]
	v_mul_f64_e32 v[128:129], v[6:7], v[128:129]
	v_add_f64_e32 v[168:169], 0, v[186:187]
	v_add_f64_e32 v[182:183], 0, v[182:183]
	s_wait_loadcnt_dscnt 0xb00
	v_mul_f64_e32 v[186:187], v[158:159], v[132:133]
	v_mul_f64_e32 v[132:133], v[160:161], v[132:133]
	v_fmac_f64_e32 v[188:189], v[6:7], v[126:127]
	v_fma_f64 v[190:191], v[4:5], v[126:127], -v[128:129]
	ds_load_b128 v[4:7], v2 offset:1312
	ds_load_b128 v[126:129], v2 offset:1328
	v_add_f64_e32 v[192:193], v[168:169], v[166:167]
	v_add_f64_e32 v[182:183], v[182:183], v[184:185]
	scratch_load_b128 v[166:169], off, off offset:576
	v_fmac_f64_e32 v[186:187], v[160:161], v[130:131]
	v_fma_f64 v[158:159], v[158:159], v[130:131], -v[132:133]
	scratch_load_b128 v[130:133], off, off offset:592
	s_wait_loadcnt_dscnt 0xc01
	v_mul_f64_e32 v[184:185], v[4:5], v[136:137]
	v_mul_f64_e32 v[136:137], v[6:7], v[136:137]
	v_add_f64_e32 v[160:161], v[192:193], v[190:191]
	v_add_f64_e32 v[182:183], v[182:183], v[188:189]
	s_wait_loadcnt_dscnt 0xb00
	v_mul_f64_e32 v[188:189], v[126:127], v[140:141]
	v_mul_f64_e32 v[140:141], v[128:129], v[140:141]
	v_fmac_f64_e32 v[184:185], v[6:7], v[134:135]
	v_fma_f64 v[190:191], v[4:5], v[134:135], -v[136:137]
	ds_load_b128 v[4:7], v2 offset:1344
	ds_load_b128 v[134:137], v2 offset:1360
	v_add_f64_e32 v[192:193], v[160:161], v[158:159]
	v_add_f64_e32 v[182:183], v[182:183], v[186:187]
	scratch_load_b128 v[158:161], off, off offset:608
	s_wait_loadcnt_dscnt 0xb01
	v_mul_f64_e32 v[186:187], v[4:5], v[144:145]
	v_mul_f64_e32 v[144:145], v[6:7], v[144:145]
	v_fmac_f64_e32 v[188:189], v[128:129], v[138:139]
	v_fma_f64 v[138:139], v[126:127], v[138:139], -v[140:141]
	scratch_load_b128 v[126:129], off, off offset:624
	v_add_f64_e32 v[140:141], v[192:193], v[190:191]
	v_add_f64_e32 v[182:183], v[182:183], v[184:185]
	s_wait_loadcnt_dscnt 0xb00
	v_mul_f64_e32 v[184:185], v[134:135], v[148:149]
	v_mul_f64_e32 v[148:149], v[136:137], v[148:149]
	v_fmac_f64_e32 v[186:187], v[6:7], v[142:143]
	v_fma_f64 v[190:191], v[4:5], v[142:143], -v[144:145]
	v_add_f64_e32 v[192:193], v[140:141], v[138:139]
	v_add_f64_e32 v[182:183], v[182:183], v[188:189]
	ds_load_b128 v[4:7], v2 offset:1376
	ds_load_b128 v[138:141], v2 offset:1392
	scratch_load_b128 v[142:145], off, off offset:640
	v_fmac_f64_e32 v[184:185], v[136:137], v[146:147]
	v_fma_f64 v[146:147], v[134:135], v[146:147], -v[148:149]
	scratch_load_b128 v[134:137], off, off offset:656
	s_wait_loadcnt_dscnt 0xc01
	v_mul_f64_e32 v[188:189], v[4:5], v[152:153]
	v_mul_f64_e32 v[152:153], v[6:7], v[152:153]
	v_add_f64_e32 v[148:149], v[192:193], v[190:191]
	v_add_f64_e32 v[182:183], v[182:183], v[186:187]
	s_wait_loadcnt_dscnt 0xb00
	v_mul_f64_e32 v[186:187], v[138:139], v[156:157]
	v_mul_f64_e32 v[156:157], v[140:141], v[156:157]
	v_fmac_f64_e32 v[188:189], v[6:7], v[150:151]
	v_fma_f64 v[190:191], v[4:5], v[150:151], -v[152:153]
	v_add_f64_e32 v[192:193], v[148:149], v[146:147]
	v_add_f64_e32 v[182:183], v[182:183], v[184:185]
	ds_load_b128 v[4:7], v2 offset:1408
	ds_load_b128 v[146:149], v2 offset:1424
	scratch_load_b128 v[150:153], off, off offset:672
	v_fmac_f64_e32 v[186:187], v[140:141], v[154:155]
	v_fma_f64 v[154:155], v[138:139], v[154:155], -v[156:157]
	scratch_load_b128 v[138:141], off, off offset:688
	s_wait_loadcnt_dscnt 0xc01
	v_mul_f64_e32 v[184:185], v[4:5], v[164:165]
	v_mul_f64_e32 v[164:165], v[6:7], v[164:165]
	;; [unrolled: 18-line block ×5, first 2 shown]
	v_add_f64_e32 v[176:177], v[192:193], v[190:191]
	v_add_f64_e32 v[182:183], v[182:183], v[188:189]
	s_wait_loadcnt_dscnt 0xa00
	v_mul_f64_e32 v[188:189], v[154:155], v[128:129]
	v_mul_f64_e32 v[128:129], v[156:157], v[128:129]
	v_fmac_f64_e32 v[184:185], v[6:7], v[158:159]
	v_fma_f64 v[190:191], v[4:5], v[158:159], -v[160:161]
	ds_load_b128 v[4:7], v2 offset:1536
	ds_load_b128 v[158:161], v2 offset:1552
	v_add_f64_e32 v[192:193], v[176:177], v[174:175]
	v_add_f64_e32 v[182:183], v[182:183], v[186:187]
	scratch_load_b128 v[174:177], off, off offset:800
	v_fmac_f64_e32 v[188:189], v[156:157], v[126:127]
	v_fma_f64 v[154:155], v[154:155], v[126:127], -v[128:129]
	scratch_load_b128 v[126:129], off, off offset:816
	s_wait_loadcnt_dscnt 0xb01
	v_mul_f64_e32 v[186:187], v[4:5], v[144:145]
	v_mul_f64_e32 v[144:145], v[6:7], v[144:145]
	v_add_f64_e32 v[156:157], v[192:193], v[190:191]
	v_add_f64_e32 v[182:183], v[182:183], v[184:185]
	s_wait_loadcnt_dscnt 0xa00
	v_mul_f64_e32 v[184:185], v[158:159], v[136:137]
	v_mul_f64_e32 v[136:137], v[160:161], v[136:137]
	v_fmac_f64_e32 v[186:187], v[6:7], v[142:143]
	v_fma_f64 v[190:191], v[4:5], v[142:143], -v[144:145]
	ds_load_b128 v[4:7], v2 offset:1568
	ds_load_b128 v[142:145], v2 offset:1584
	v_add_f64_e32 v[192:193], v[156:157], v[154:155]
	v_add_f64_e32 v[182:183], v[182:183], v[188:189]
	scratch_load_b128 v[154:157], off, off offset:832
	s_wait_loadcnt_dscnt 0xa01
	v_mul_f64_e32 v[188:189], v[4:5], v[152:153]
	v_mul_f64_e32 v[152:153], v[6:7], v[152:153]
	v_fmac_f64_e32 v[184:185], v[160:161], v[134:135]
	v_fma_f64 v[158:159], v[158:159], v[134:135], -v[136:137]
	scratch_load_b128 v[134:137], off, off offset:848
	v_add_f64_e32 v[160:161], v[192:193], v[190:191]
	v_add_f64_e32 v[182:183], v[182:183], v[186:187]
	s_wait_loadcnt_dscnt 0xa00
	v_mul_f64_e32 v[186:187], v[142:143], v[140:141]
	v_mul_f64_e32 v[140:141], v[144:145], v[140:141]
	v_fmac_f64_e32 v[188:189], v[6:7], v[150:151]
	v_fma_f64 v[190:191], v[4:5], v[150:151], -v[152:153]
	ds_load_b128 v[4:7], v2 offset:1600
	ds_load_b128 v[150:153], v2 offset:1616
	v_add_f64_e32 v[192:193], v[160:161], v[158:159]
	v_add_f64_e32 v[182:183], v[182:183], v[184:185]
	scratch_load_b128 v[158:161], off, off offset:864
	s_wait_loadcnt_dscnt 0xa01
	v_mul_f64_e32 v[184:185], v[4:5], v[164:165]
	v_mul_f64_e32 v[164:165], v[6:7], v[164:165]
	v_fmac_f64_e32 v[186:187], v[144:145], v[138:139]
	v_fma_f64 v[142:143], v[142:143], v[138:139], -v[140:141]
	scratch_load_b128 v[138:141], off, off offset:880
	v_add_f64_e32 v[144:145], v[192:193], v[190:191]
	v_add_f64_e32 v[182:183], v[182:183], v[188:189]
	s_wait_loadcnt_dscnt 0xa00
	v_mul_f64_e32 v[188:189], v[150:151], v[148:149]
	v_mul_f64_e32 v[148:149], v[152:153], v[148:149]
	v_fmac_f64_e32 v[184:185], v[6:7], v[162:163]
	v_fma_f64 v[162:163], v[4:5], v[162:163], -v[164:165]
	v_add_f64_e32 v[164:165], v[144:145], v[142:143]
	v_add_f64_e32 v[182:183], v[182:183], v[186:187]
	ds_load_b128 v[4:7], v2 offset:1632
	ds_load_b128 v[142:145], v2 offset:1648
	v_fmac_f64_e32 v[188:189], v[152:153], v[146:147]
	v_fma_f64 v[146:147], v[150:151], v[146:147], -v[148:149]
	s_wait_loadcnt_dscnt 0x901
	v_mul_f64_e32 v[186:187], v[4:5], v[180:181]
	v_mul_f64_e32 v[180:181], v[6:7], v[180:181]
	s_wait_loadcnt_dscnt 0x800
	v_mul_f64_e32 v[152:153], v[142:143], v[10:11]
	v_mul_f64_e32 v[10:11], v[144:145], v[10:11]
	v_add_f64_e32 v[148:149], v[164:165], v[162:163]
	v_add_f64_e32 v[150:151], v[182:183], v[184:185]
	v_fmac_f64_e32 v[186:187], v[6:7], v[178:179]
	v_fma_f64 v[162:163], v[4:5], v[178:179], -v[180:181]
	v_fmac_f64_e32 v[152:153], v[144:145], v[8:9]
	v_fma_f64 v[8:9], v[142:143], v[8:9], -v[10:11]
	v_add_f64_e32 v[164:165], v[148:149], v[146:147]
	v_add_f64_e32 v[150:151], v[150:151], v[188:189]
	ds_load_b128 v[4:7], v2 offset:1664
	ds_load_b128 v[146:149], v2 offset:1680
	s_wait_loadcnt_dscnt 0x701
	v_mul_f64_e32 v[178:179], v[4:5], v[168:169]
	v_mul_f64_e32 v[168:169], v[6:7], v[168:169]
	s_wait_loadcnt_dscnt 0x600
	v_mul_f64_e32 v[144:145], v[146:147], v[132:133]
	v_mul_f64_e32 v[132:133], v[148:149], v[132:133]
	v_add_f64_e32 v[10:11], v[164:165], v[162:163]
	v_add_f64_e32 v[142:143], v[150:151], v[186:187]
	v_fmac_f64_e32 v[178:179], v[6:7], v[166:167]
	v_fma_f64 v[150:151], v[4:5], v[166:167], -v[168:169]
	v_fmac_f64_e32 v[144:145], v[148:149], v[130:131]
	v_fma_f64 v[130:131], v[146:147], v[130:131], -v[132:133]
	v_add_f64_e32 v[162:163], v[10:11], v[8:9]
	v_add_f64_e32 v[142:143], v[142:143], v[152:153]
	ds_load_b128 v[4:7], v2 offset:1696
	ds_load_b128 v[8:11], v2 offset:1712
	;; [unrolled: 16-line block ×3, first 2 shown]
	s_wait_loadcnt_dscnt 0x301
	v_mul_f64_e32 v[144:145], v[4:5], v[156:157]
	v_mul_f64_e32 v[156:157], v[6:7], v[156:157]
	v_add_f64_e32 v[10:11], v[132:133], v[150:151]
	v_add_f64_e32 v[126:127], v[142:143], v[152:153]
	s_wait_loadcnt_dscnt 0x200
	v_mul_f64_e32 v[132:133], v[128:129], v[136:137]
	v_mul_f64_e32 v[136:137], v[130:131], v[136:137]
	v_fmac_f64_e32 v[144:145], v[6:7], v[154:155]
	v_fma_f64 v[142:143], v[4:5], v[154:155], -v[156:157]
	v_add_f64_e32 v[148:149], v[10:11], v[8:9]
	v_add_f64_e32 v[126:127], v[126:127], v[146:147]
	ds_load_b128 v[4:7], v2 offset:1760
	ds_load_b128 v[8:11], v2 offset:1776
	v_fmac_f64_e32 v[132:133], v[130:131], v[134:135]
	v_fma_f64 v[128:129], v[128:129], v[134:135], -v[136:137]
	s_wait_loadcnt_dscnt 0x101
	v_mul_f64_e32 v[2:3], v[4:5], v[160:161]
	v_mul_f64_e32 v[146:147], v[6:7], v[160:161]
	s_wait_loadcnt_dscnt 0x0
	v_mul_f64_e32 v[134:135], v[8:9], v[140:141]
	v_mul_f64_e32 v[136:137], v[10:11], v[140:141]
	v_add_f64_e32 v[130:131], v[148:149], v[142:143]
	v_add_f64_e32 v[126:127], v[126:127], v[144:145]
	v_fmac_f64_e32 v[2:3], v[6:7], v[158:159]
	v_fma_f64 v[4:5], v[4:5], v[158:159], -v[146:147]
	v_fmac_f64_e32 v[134:135], v[10:11], v[138:139]
	v_fma_f64 v[8:9], v[8:9], v[138:139], -v[136:137]
	v_add_f64_e32 v[6:7], v[130:131], v[128:129]
	v_add_f64_e32 v[126:127], v[126:127], v[132:133]
	s_delay_alu instid0(VALU_DEP_2) | instskip(NEXT) | instid1(VALU_DEP_2)
	v_add_f64_e32 v[4:5], v[6:7], v[4:5]
	v_add_f64_e32 v[2:3], v[126:127], v[2:3]
	s_delay_alu instid0(VALU_DEP_2) | instskip(NEXT) | instid1(VALU_DEP_2)
	;; [unrolled: 3-line block ×3, first 2 shown]
	v_add_f64_e64 v[2:3], v[170:171], -v[4:5]
	v_add_f64_e64 v[4:5], v[172:173], -v[6:7]
	scratch_store_b128 off, v[2:5], off offset:336
	s_wait_xcnt 0x0
	v_cmpx_lt_u32_e32 20, v1
	s_cbranch_execz .LBB119_309
; %bb.308:
	scratch_load_b128 v[2:5], off, s52
	v_mov_b32_e32 v6, 0
	s_delay_alu instid0(VALU_DEP_1)
	v_dual_mov_b32 v7, v6 :: v_dual_mov_b32 v8, v6
	v_mov_b32_e32 v9, v6
	scratch_store_b128 off, v[6:9], off offset:320
	s_wait_loadcnt 0x0
	ds_store_b128 v12, v[2:5]
.LBB119_309:
	s_wait_xcnt 0x0
	s_or_b32 exec_lo, exec_lo, s2
	s_wait_storecnt_dscnt 0x0
	s_barrier_signal -1
	s_barrier_wait -1
	s_clause 0x9
	scratch_load_b128 v[4:7], off, off offset:336
	scratch_load_b128 v[8:11], off, off offset:352
	;; [unrolled: 1-line block ×10, first 2 shown]
	v_mov_b32_e32 v2, 0
	s_mov_b32 s2, exec_lo
	ds_load_b128 v[158:161], v2 offset:1232
	s_clause 0x2
	scratch_load_b128 v[162:165], off, off offset:496
	scratch_load_b128 v[166:169], off, off offset:320
	;; [unrolled: 1-line block ×3, first 2 shown]
	s_wait_loadcnt_dscnt 0xc00
	v_mul_f64_e32 v[178:179], v[160:161], v[6:7]
	v_mul_f64_e32 v[182:183], v[158:159], v[6:7]
	ds_load_b128 v[170:173], v2 offset:1248
	v_fma_f64 v[186:187], v[158:159], v[4:5], -v[178:179]
	v_fmac_f64_e32 v[182:183], v[160:161], v[4:5]
	ds_load_b128 v[4:7], v2 offset:1264
	s_wait_loadcnt_dscnt 0xb01
	v_mul_f64_e32 v[184:185], v[170:171], v[10:11]
	v_mul_f64_e32 v[10:11], v[172:173], v[10:11]
	scratch_load_b128 v[158:161], off, off offset:528
	ds_load_b128 v[178:181], v2 offset:1280
	s_wait_loadcnt_dscnt 0xb01
	v_mul_f64_e32 v[188:189], v[4:5], v[128:129]
	v_mul_f64_e32 v[128:129], v[6:7], v[128:129]
	v_add_f64_e32 v[182:183], 0, v[182:183]
	v_fmac_f64_e32 v[184:185], v[172:173], v[8:9]
	v_fma_f64 v[170:171], v[170:171], v[8:9], -v[10:11]
	v_add_f64_e32 v[172:173], 0, v[186:187]
	scratch_load_b128 v[8:11], off, off offset:544
	v_fmac_f64_e32 v[188:189], v[6:7], v[126:127]
	v_fma_f64 v[190:191], v[4:5], v[126:127], -v[128:129]
	ds_load_b128 v[4:7], v2 offset:1296
	s_wait_loadcnt_dscnt 0xb01
	v_mul_f64_e32 v[186:187], v[178:179], v[132:133]
	v_mul_f64_e32 v[132:133], v[180:181], v[132:133]
	scratch_load_b128 v[126:129], off, off offset:560
	v_add_f64_e32 v[182:183], v[182:183], v[184:185]
	v_add_f64_e32 v[192:193], v[172:173], v[170:171]
	ds_load_b128 v[170:173], v2 offset:1312
	s_wait_loadcnt_dscnt 0xb01
	v_mul_f64_e32 v[184:185], v[4:5], v[136:137]
	v_mul_f64_e32 v[136:137], v[6:7], v[136:137]
	v_fmac_f64_e32 v[186:187], v[180:181], v[130:131]
	v_fma_f64 v[178:179], v[178:179], v[130:131], -v[132:133]
	scratch_load_b128 v[130:133], off, off offset:576
	v_add_f64_e32 v[182:183], v[182:183], v[188:189]
	v_add_f64_e32 v[180:181], v[192:193], v[190:191]
	v_fmac_f64_e32 v[184:185], v[6:7], v[134:135]
	v_fma_f64 v[190:191], v[4:5], v[134:135], -v[136:137]
	ds_load_b128 v[4:7], v2 offset:1328
	s_wait_loadcnt_dscnt 0xb01
	v_mul_f64_e32 v[188:189], v[170:171], v[140:141]
	v_mul_f64_e32 v[140:141], v[172:173], v[140:141]
	scratch_load_b128 v[134:137], off, off offset:592
	v_add_f64_e32 v[182:183], v[182:183], v[186:187]
	s_wait_loadcnt_dscnt 0xb00
	v_mul_f64_e32 v[186:187], v[4:5], v[144:145]
	v_add_f64_e32 v[192:193], v[180:181], v[178:179]
	v_mul_f64_e32 v[144:145], v[6:7], v[144:145]
	ds_load_b128 v[178:181], v2 offset:1344
	v_fmac_f64_e32 v[188:189], v[172:173], v[138:139]
	v_fma_f64 v[170:171], v[170:171], v[138:139], -v[140:141]
	scratch_load_b128 v[138:141], off, off offset:608
	v_add_f64_e32 v[182:183], v[182:183], v[184:185]
	v_fmac_f64_e32 v[186:187], v[6:7], v[142:143]
	v_add_f64_e32 v[172:173], v[192:193], v[190:191]
	v_fma_f64 v[190:191], v[4:5], v[142:143], -v[144:145]
	ds_load_b128 v[4:7], v2 offset:1360
	s_wait_loadcnt_dscnt 0xb01
	v_mul_f64_e32 v[184:185], v[178:179], v[148:149]
	v_mul_f64_e32 v[148:149], v[180:181], v[148:149]
	scratch_load_b128 v[142:145], off, off offset:624
	v_add_f64_e32 v[182:183], v[182:183], v[188:189]
	s_wait_loadcnt_dscnt 0xb00
	v_mul_f64_e32 v[188:189], v[4:5], v[152:153]
	v_add_f64_e32 v[192:193], v[172:173], v[170:171]
	v_mul_f64_e32 v[152:153], v[6:7], v[152:153]
	ds_load_b128 v[170:173], v2 offset:1376
	v_fmac_f64_e32 v[184:185], v[180:181], v[146:147]
	v_fma_f64 v[178:179], v[178:179], v[146:147], -v[148:149]
	scratch_load_b128 v[146:149], off, off offset:640
	v_add_f64_e32 v[182:183], v[182:183], v[186:187]
	v_fmac_f64_e32 v[188:189], v[6:7], v[150:151]
	v_add_f64_e32 v[180:181], v[192:193], v[190:191]
	;; [unrolled: 18-line block ×3, first 2 shown]
	v_fma_f64 v[190:191], v[4:5], v[162:163], -v[164:165]
	ds_load_b128 v[4:7], v2 offset:1424
	s_wait_loadcnt_dscnt 0xa01
	v_mul_f64_e32 v[188:189], v[178:179], v[176:177]
	v_mul_f64_e32 v[176:177], v[180:181], v[176:177]
	scratch_load_b128 v[162:165], off, off offset:688
	v_add_f64_e32 v[182:183], v[182:183], v[186:187]
	v_add_f64_e32 v[192:193], v[172:173], v[170:171]
	s_wait_loadcnt_dscnt 0xa00
	v_mul_f64_e32 v[186:187], v[4:5], v[160:161]
	v_mul_f64_e32 v[160:161], v[6:7], v[160:161]
	v_fmac_f64_e32 v[188:189], v[180:181], v[174:175]
	v_fma_f64 v[178:179], v[178:179], v[174:175], -v[176:177]
	ds_load_b128 v[170:173], v2 offset:1440
	scratch_load_b128 v[174:177], off, off offset:704
	v_add_f64_e32 v[182:183], v[182:183], v[184:185]
	v_add_f64_e32 v[180:181], v[192:193], v[190:191]
	v_fmac_f64_e32 v[186:187], v[6:7], v[158:159]
	v_fma_f64 v[190:191], v[4:5], v[158:159], -v[160:161]
	ds_load_b128 v[4:7], v2 offset:1456
	s_wait_loadcnt_dscnt 0xa01
	v_mul_f64_e32 v[184:185], v[170:171], v[10:11]
	v_mul_f64_e32 v[10:11], v[172:173], v[10:11]
	scratch_load_b128 v[158:161], off, off offset:720
	v_add_f64_e32 v[182:183], v[182:183], v[188:189]
	s_wait_loadcnt_dscnt 0xa00
	v_mul_f64_e32 v[188:189], v[4:5], v[128:129]
	v_add_f64_e32 v[192:193], v[180:181], v[178:179]
	v_mul_f64_e32 v[128:129], v[6:7], v[128:129]
	ds_load_b128 v[178:181], v2 offset:1472
	v_fmac_f64_e32 v[184:185], v[172:173], v[8:9]
	v_fma_f64 v[170:171], v[170:171], v[8:9], -v[10:11]
	scratch_load_b128 v[8:11], off, off offset:736
	v_add_f64_e32 v[182:183], v[182:183], v[186:187]
	v_fmac_f64_e32 v[188:189], v[6:7], v[126:127]
	v_add_f64_e32 v[172:173], v[192:193], v[190:191]
	v_fma_f64 v[190:191], v[4:5], v[126:127], -v[128:129]
	ds_load_b128 v[4:7], v2 offset:1488
	s_wait_loadcnt_dscnt 0xa01
	v_mul_f64_e32 v[186:187], v[178:179], v[132:133]
	v_mul_f64_e32 v[132:133], v[180:181], v[132:133]
	scratch_load_b128 v[126:129], off, off offset:752
	v_add_f64_e32 v[182:183], v[182:183], v[184:185]
	s_wait_loadcnt_dscnt 0xa00
	v_mul_f64_e32 v[184:185], v[4:5], v[136:137]
	v_add_f64_e32 v[192:193], v[172:173], v[170:171]
	v_mul_f64_e32 v[136:137], v[6:7], v[136:137]
	ds_load_b128 v[170:173], v2 offset:1504
	v_fmac_f64_e32 v[186:187], v[180:181], v[130:131]
	v_fma_f64 v[178:179], v[178:179], v[130:131], -v[132:133]
	scratch_load_b128 v[130:133], off, off offset:768
	v_add_f64_e32 v[182:183], v[182:183], v[188:189]
	v_fmac_f64_e32 v[184:185], v[6:7], v[134:135]
	v_add_f64_e32 v[180:181], v[192:193], v[190:191]
	v_fma_f64 v[190:191], v[4:5], v[134:135], -v[136:137]
	ds_load_b128 v[4:7], v2 offset:1520
	s_wait_loadcnt_dscnt 0xa01
	v_mul_f64_e32 v[188:189], v[170:171], v[140:141]
	v_mul_f64_e32 v[140:141], v[172:173], v[140:141]
	scratch_load_b128 v[134:137], off, off offset:784
	v_add_f64_e32 v[182:183], v[182:183], v[186:187]
	s_wait_loadcnt_dscnt 0xa00
	v_mul_f64_e32 v[186:187], v[4:5], v[144:145]
	v_add_f64_e32 v[192:193], v[180:181], v[178:179]
	v_mul_f64_e32 v[144:145], v[6:7], v[144:145]
	ds_load_b128 v[178:181], v2 offset:1536
	v_fmac_f64_e32 v[188:189], v[172:173], v[138:139]
	v_fma_f64 v[170:171], v[170:171], v[138:139], -v[140:141]
	scratch_load_b128 v[138:141], off, off offset:800
	v_add_f64_e32 v[182:183], v[182:183], v[184:185]
	v_fmac_f64_e32 v[186:187], v[6:7], v[142:143]
	v_add_f64_e32 v[172:173], v[192:193], v[190:191]
	v_fma_f64 v[190:191], v[4:5], v[142:143], -v[144:145]
	ds_load_b128 v[4:7], v2 offset:1552
	s_wait_loadcnt_dscnt 0xa01
	v_mul_f64_e32 v[184:185], v[178:179], v[148:149]
	v_mul_f64_e32 v[148:149], v[180:181], v[148:149]
	scratch_load_b128 v[142:145], off, off offset:816
	v_add_f64_e32 v[182:183], v[182:183], v[188:189]
	s_wait_loadcnt_dscnt 0xa00
	v_mul_f64_e32 v[188:189], v[4:5], v[152:153]
	v_add_f64_e32 v[192:193], v[172:173], v[170:171]
	v_mul_f64_e32 v[152:153], v[6:7], v[152:153]
	ds_load_b128 v[170:173], v2 offset:1568
	v_fmac_f64_e32 v[184:185], v[180:181], v[146:147]
	v_fma_f64 v[178:179], v[178:179], v[146:147], -v[148:149]
	scratch_load_b128 v[146:149], off, off offset:832
	v_add_f64_e32 v[182:183], v[182:183], v[186:187]
	v_fmac_f64_e32 v[188:189], v[6:7], v[150:151]
	v_add_f64_e32 v[180:181], v[192:193], v[190:191]
	v_fma_f64 v[190:191], v[4:5], v[150:151], -v[152:153]
	ds_load_b128 v[4:7], v2 offset:1584
	s_wait_loadcnt_dscnt 0xa01
	v_mul_f64_e32 v[186:187], v[170:171], v[156:157]
	v_mul_f64_e32 v[156:157], v[172:173], v[156:157]
	scratch_load_b128 v[150:153], off, off offset:848
	v_add_f64_e32 v[182:183], v[182:183], v[184:185]
	s_wait_loadcnt_dscnt 0xa00
	v_mul_f64_e32 v[184:185], v[4:5], v[164:165]
	v_add_f64_e32 v[192:193], v[180:181], v[178:179]
	v_mul_f64_e32 v[164:165], v[6:7], v[164:165]
	ds_load_b128 v[178:181], v2 offset:1600
	v_fmac_f64_e32 v[186:187], v[172:173], v[154:155]
	v_fma_f64 v[170:171], v[170:171], v[154:155], -v[156:157]
	scratch_load_b128 v[154:157], off, off offset:864
	v_add_f64_e32 v[182:183], v[182:183], v[188:189]
	v_fmac_f64_e32 v[184:185], v[6:7], v[162:163]
	v_add_f64_e32 v[172:173], v[192:193], v[190:191]
	v_fma_f64 v[190:191], v[4:5], v[162:163], -v[164:165]
	ds_load_b128 v[4:7], v2 offset:1616
	s_wait_loadcnt_dscnt 0xa01
	v_mul_f64_e32 v[188:189], v[178:179], v[176:177]
	v_mul_f64_e32 v[176:177], v[180:181], v[176:177]
	scratch_load_b128 v[162:165], off, off offset:880
	v_add_f64_e32 v[182:183], v[182:183], v[186:187]
	s_wait_loadcnt_dscnt 0xa00
	v_mul_f64_e32 v[186:187], v[4:5], v[160:161]
	v_add_f64_e32 v[192:193], v[172:173], v[170:171]
	v_mul_f64_e32 v[160:161], v[6:7], v[160:161]
	ds_load_b128 v[170:173], v2 offset:1632
	v_fmac_f64_e32 v[188:189], v[180:181], v[174:175]
	v_fma_f64 v[174:175], v[178:179], v[174:175], -v[176:177]
	s_wait_loadcnt_dscnt 0x900
	v_mul_f64_e32 v[180:181], v[170:171], v[10:11]
	v_mul_f64_e32 v[10:11], v[172:173], v[10:11]
	v_add_f64_e32 v[178:179], v[182:183], v[184:185]
	v_fmac_f64_e32 v[186:187], v[6:7], v[158:159]
	v_add_f64_e32 v[176:177], v[192:193], v[190:191]
	v_fma_f64 v[182:183], v[4:5], v[158:159], -v[160:161]
	ds_load_b128 v[4:7], v2 offset:1648
	ds_load_b128 v[158:161], v2 offset:1664
	v_fmac_f64_e32 v[180:181], v[172:173], v[8:9]
	v_fma_f64 v[8:9], v[170:171], v[8:9], -v[10:11]
	v_add_f64_e32 v[174:175], v[176:177], v[174:175]
	v_add_f64_e32 v[176:177], v[178:179], v[188:189]
	s_wait_loadcnt_dscnt 0x801
	v_mul_f64_e32 v[178:179], v[4:5], v[128:129]
	v_mul_f64_e32 v[128:129], v[6:7], v[128:129]
	s_wait_loadcnt_dscnt 0x700
	v_mul_f64_e32 v[172:173], v[158:159], v[132:133]
	v_mul_f64_e32 v[132:133], v[160:161], v[132:133]
	v_add_f64_e32 v[10:11], v[174:175], v[182:183]
	v_add_f64_e32 v[170:171], v[176:177], v[186:187]
	v_fmac_f64_e32 v[178:179], v[6:7], v[126:127]
	v_fma_f64 v[126:127], v[4:5], v[126:127], -v[128:129]
	v_fmac_f64_e32 v[172:173], v[160:161], v[130:131]
	v_fma_f64 v[130:131], v[158:159], v[130:131], -v[132:133]
	v_add_f64_e32 v[128:129], v[10:11], v[8:9]
	v_add_f64_e32 v[170:171], v[170:171], v[180:181]
	ds_load_b128 v[4:7], v2 offset:1680
	ds_load_b128 v[8:11], v2 offset:1696
	s_wait_loadcnt_dscnt 0x601
	v_mul_f64_e32 v[174:175], v[4:5], v[136:137]
	v_mul_f64_e32 v[136:137], v[6:7], v[136:137]
	s_wait_loadcnt_dscnt 0x500
	v_mul_f64_e32 v[132:133], v[8:9], v[140:141]
	v_mul_f64_e32 v[140:141], v[10:11], v[140:141]
	v_add_f64_e32 v[126:127], v[128:129], v[126:127]
	v_add_f64_e32 v[128:129], v[170:171], v[178:179]
	v_fmac_f64_e32 v[174:175], v[6:7], v[134:135]
	v_fma_f64 v[134:135], v[4:5], v[134:135], -v[136:137]
	v_fmac_f64_e32 v[132:133], v[10:11], v[138:139]
	v_fma_f64 v[8:9], v[8:9], v[138:139], -v[140:141]
	v_add_f64_e32 v[130:131], v[126:127], v[130:131]
	v_add_f64_e32 v[136:137], v[128:129], v[172:173]
	ds_load_b128 v[4:7], v2 offset:1712
	ds_load_b128 v[126:129], v2 offset:1728
	s_wait_loadcnt_dscnt 0x401
	v_mul_f64_e32 v[158:159], v[4:5], v[144:145]
	v_mul_f64_e32 v[144:145], v[6:7], v[144:145]
	v_add_f64_e32 v[10:11], v[130:131], v[134:135]
	v_add_f64_e32 v[130:131], v[136:137], v[174:175]
	s_wait_loadcnt_dscnt 0x300
	v_mul_f64_e32 v[134:135], v[126:127], v[148:149]
	v_mul_f64_e32 v[136:137], v[128:129], v[148:149]
	v_fmac_f64_e32 v[158:159], v[6:7], v[142:143]
	v_fma_f64 v[138:139], v[4:5], v[142:143], -v[144:145]
	v_add_f64_e32 v[140:141], v[10:11], v[8:9]
	v_add_f64_e32 v[130:131], v[130:131], v[132:133]
	ds_load_b128 v[4:7], v2 offset:1744
	ds_load_b128 v[8:11], v2 offset:1760
	v_fmac_f64_e32 v[134:135], v[128:129], v[146:147]
	v_fma_f64 v[126:127], v[126:127], v[146:147], -v[136:137]
	s_wait_loadcnt_dscnt 0x201
	v_mul_f64_e32 v[132:133], v[4:5], v[152:153]
	v_mul_f64_e32 v[142:143], v[6:7], v[152:153]
	s_wait_loadcnt_dscnt 0x100
	v_mul_f64_e32 v[136:137], v[8:9], v[156:157]
	v_add_f64_e32 v[128:129], v[140:141], v[138:139]
	v_add_f64_e32 v[130:131], v[130:131], v[158:159]
	v_mul_f64_e32 v[138:139], v[10:11], v[156:157]
	v_fmac_f64_e32 v[132:133], v[6:7], v[150:151]
	v_fma_f64 v[140:141], v[4:5], v[150:151], -v[142:143]
	ds_load_b128 v[4:7], v2 offset:1776
	v_fmac_f64_e32 v[136:137], v[10:11], v[154:155]
	v_add_f64_e32 v[126:127], v[128:129], v[126:127]
	v_add_f64_e32 v[128:129], v[130:131], v[134:135]
	v_fma_f64 v[8:9], v[8:9], v[154:155], -v[138:139]
	s_wait_loadcnt_dscnt 0x0
	v_mul_f64_e32 v[130:131], v[4:5], v[164:165]
	v_mul_f64_e32 v[134:135], v[6:7], v[164:165]
	v_add_f64_e32 v[10:11], v[126:127], v[140:141]
	v_add_f64_e32 v[126:127], v[128:129], v[132:133]
	s_delay_alu instid0(VALU_DEP_4) | instskip(NEXT) | instid1(VALU_DEP_4)
	v_fmac_f64_e32 v[130:131], v[6:7], v[162:163]
	v_fma_f64 v[4:5], v[4:5], v[162:163], -v[134:135]
	s_delay_alu instid0(VALU_DEP_4) | instskip(NEXT) | instid1(VALU_DEP_4)
	v_add_f64_e32 v[6:7], v[10:11], v[8:9]
	v_add_f64_e32 v[8:9], v[126:127], v[136:137]
	s_delay_alu instid0(VALU_DEP_2) | instskip(NEXT) | instid1(VALU_DEP_2)
	v_add_f64_e32 v[4:5], v[6:7], v[4:5]
	v_add_f64_e32 v[6:7], v[8:9], v[130:131]
	s_delay_alu instid0(VALU_DEP_2) | instskip(NEXT) | instid1(VALU_DEP_2)
	v_add_f64_e64 v[4:5], v[166:167], -v[4:5]
	v_add_f64_e64 v[6:7], v[168:169], -v[6:7]
	scratch_store_b128 off, v[4:7], off offset:320
	s_wait_xcnt 0x0
	v_cmpx_lt_u32_e32 19, v1
	s_cbranch_execz .LBB119_311
; %bb.310:
	scratch_load_b128 v[6:9], off, s53
	v_dual_mov_b32 v3, v2 :: v_dual_mov_b32 v4, v2
	v_mov_b32_e32 v5, v2
	scratch_store_b128 off, v[2:5], off offset:304
	s_wait_loadcnt 0x0
	ds_store_b128 v12, v[6:9]
.LBB119_311:
	s_wait_xcnt 0x0
	s_or_b32 exec_lo, exec_lo, s2
	s_wait_storecnt_dscnt 0x0
	s_barrier_signal -1
	s_barrier_wait -1
	s_clause 0x9
	scratch_load_b128 v[4:7], off, off offset:320
	scratch_load_b128 v[8:11], off, off offset:336
	;; [unrolled: 1-line block ×10, first 2 shown]
	ds_load_b128 v[158:161], v2 offset:1216
	ds_load_b128 v[166:169], v2 offset:1232
	s_clause 0x2
	scratch_load_b128 v[162:165], off, off offset:480
	scratch_load_b128 v[170:173], off, off offset:304
	;; [unrolled: 1-line block ×3, first 2 shown]
	s_mov_b32 s2, exec_lo
	s_wait_loadcnt_dscnt 0xc01
	v_mul_f64_e32 v[178:179], v[160:161], v[6:7]
	v_mul_f64_e32 v[182:183], v[158:159], v[6:7]
	s_wait_loadcnt_dscnt 0xb00
	v_mul_f64_e32 v[184:185], v[166:167], v[10:11]
	v_mul_f64_e32 v[10:11], v[168:169], v[10:11]
	s_delay_alu instid0(VALU_DEP_4) | instskip(NEXT) | instid1(VALU_DEP_4)
	v_fma_f64 v[186:187], v[158:159], v[4:5], -v[178:179]
	v_fmac_f64_e32 v[182:183], v[160:161], v[4:5]
	ds_load_b128 v[4:7], v2 offset:1248
	ds_load_b128 v[158:161], v2 offset:1264
	scratch_load_b128 v[178:181], off, off offset:512
	v_fmac_f64_e32 v[184:185], v[168:169], v[8:9]
	v_fma_f64 v[166:167], v[166:167], v[8:9], -v[10:11]
	scratch_load_b128 v[8:11], off, off offset:528
	s_wait_loadcnt_dscnt 0xc01
	v_mul_f64_e32 v[188:189], v[4:5], v[128:129]
	v_mul_f64_e32 v[128:129], v[6:7], v[128:129]
	v_add_f64_e32 v[168:169], 0, v[186:187]
	v_add_f64_e32 v[182:183], 0, v[182:183]
	s_wait_loadcnt_dscnt 0xb00
	v_mul_f64_e32 v[186:187], v[158:159], v[132:133]
	v_mul_f64_e32 v[132:133], v[160:161], v[132:133]
	v_fmac_f64_e32 v[188:189], v[6:7], v[126:127]
	v_fma_f64 v[190:191], v[4:5], v[126:127], -v[128:129]
	ds_load_b128 v[4:7], v2 offset:1280
	ds_load_b128 v[126:129], v2 offset:1296
	v_add_f64_e32 v[192:193], v[168:169], v[166:167]
	v_add_f64_e32 v[182:183], v[182:183], v[184:185]
	scratch_load_b128 v[166:169], off, off offset:544
	v_fmac_f64_e32 v[186:187], v[160:161], v[130:131]
	v_fma_f64 v[158:159], v[158:159], v[130:131], -v[132:133]
	scratch_load_b128 v[130:133], off, off offset:560
	s_wait_loadcnt_dscnt 0xc01
	v_mul_f64_e32 v[184:185], v[4:5], v[136:137]
	v_mul_f64_e32 v[136:137], v[6:7], v[136:137]
	v_add_f64_e32 v[160:161], v[192:193], v[190:191]
	v_add_f64_e32 v[182:183], v[182:183], v[188:189]
	s_wait_loadcnt_dscnt 0xb00
	v_mul_f64_e32 v[188:189], v[126:127], v[140:141]
	v_mul_f64_e32 v[140:141], v[128:129], v[140:141]
	v_fmac_f64_e32 v[184:185], v[6:7], v[134:135]
	v_fma_f64 v[190:191], v[4:5], v[134:135], -v[136:137]
	ds_load_b128 v[4:7], v2 offset:1312
	ds_load_b128 v[134:137], v2 offset:1328
	v_add_f64_e32 v[192:193], v[160:161], v[158:159]
	v_add_f64_e32 v[182:183], v[182:183], v[186:187]
	scratch_load_b128 v[158:161], off, off offset:576
	s_wait_loadcnt_dscnt 0xb01
	v_mul_f64_e32 v[186:187], v[4:5], v[144:145]
	v_mul_f64_e32 v[144:145], v[6:7], v[144:145]
	v_fmac_f64_e32 v[188:189], v[128:129], v[138:139]
	v_fma_f64 v[138:139], v[126:127], v[138:139], -v[140:141]
	scratch_load_b128 v[126:129], off, off offset:592
	v_add_f64_e32 v[140:141], v[192:193], v[190:191]
	v_add_f64_e32 v[182:183], v[182:183], v[184:185]
	s_wait_loadcnt_dscnt 0xb00
	v_mul_f64_e32 v[184:185], v[134:135], v[148:149]
	v_mul_f64_e32 v[148:149], v[136:137], v[148:149]
	v_fmac_f64_e32 v[186:187], v[6:7], v[142:143]
	v_fma_f64 v[190:191], v[4:5], v[142:143], -v[144:145]
	v_add_f64_e32 v[192:193], v[140:141], v[138:139]
	v_add_f64_e32 v[182:183], v[182:183], v[188:189]
	ds_load_b128 v[4:7], v2 offset:1344
	ds_load_b128 v[138:141], v2 offset:1360
	scratch_load_b128 v[142:145], off, off offset:608
	v_fmac_f64_e32 v[184:185], v[136:137], v[146:147]
	v_fma_f64 v[146:147], v[134:135], v[146:147], -v[148:149]
	scratch_load_b128 v[134:137], off, off offset:624
	s_wait_loadcnt_dscnt 0xc01
	v_mul_f64_e32 v[188:189], v[4:5], v[152:153]
	v_mul_f64_e32 v[152:153], v[6:7], v[152:153]
	v_add_f64_e32 v[148:149], v[192:193], v[190:191]
	v_add_f64_e32 v[182:183], v[182:183], v[186:187]
	s_wait_loadcnt_dscnt 0xb00
	v_mul_f64_e32 v[186:187], v[138:139], v[156:157]
	v_mul_f64_e32 v[156:157], v[140:141], v[156:157]
	v_fmac_f64_e32 v[188:189], v[6:7], v[150:151]
	v_fma_f64 v[190:191], v[4:5], v[150:151], -v[152:153]
	v_add_f64_e32 v[192:193], v[148:149], v[146:147]
	v_add_f64_e32 v[182:183], v[182:183], v[184:185]
	ds_load_b128 v[4:7], v2 offset:1376
	ds_load_b128 v[146:149], v2 offset:1392
	scratch_load_b128 v[150:153], off, off offset:640
	v_fmac_f64_e32 v[186:187], v[140:141], v[154:155]
	v_fma_f64 v[154:155], v[138:139], v[154:155], -v[156:157]
	scratch_load_b128 v[138:141], off, off offset:656
	s_wait_loadcnt_dscnt 0xc01
	v_mul_f64_e32 v[184:185], v[4:5], v[164:165]
	v_mul_f64_e32 v[164:165], v[6:7], v[164:165]
	;; [unrolled: 18-line block ×5, first 2 shown]
	v_add_f64_e32 v[176:177], v[192:193], v[190:191]
	v_add_f64_e32 v[182:183], v[182:183], v[188:189]
	s_wait_loadcnt_dscnt 0xa00
	v_mul_f64_e32 v[188:189], v[154:155], v[128:129]
	v_mul_f64_e32 v[128:129], v[156:157], v[128:129]
	v_fmac_f64_e32 v[184:185], v[6:7], v[158:159]
	v_fma_f64 v[190:191], v[4:5], v[158:159], -v[160:161]
	ds_load_b128 v[4:7], v2 offset:1504
	ds_load_b128 v[158:161], v2 offset:1520
	v_add_f64_e32 v[192:193], v[176:177], v[174:175]
	v_add_f64_e32 v[182:183], v[182:183], v[186:187]
	scratch_load_b128 v[174:177], off, off offset:768
	v_fmac_f64_e32 v[188:189], v[156:157], v[126:127]
	v_fma_f64 v[154:155], v[154:155], v[126:127], -v[128:129]
	scratch_load_b128 v[126:129], off, off offset:784
	s_wait_loadcnt_dscnt 0xb01
	v_mul_f64_e32 v[186:187], v[4:5], v[144:145]
	v_mul_f64_e32 v[144:145], v[6:7], v[144:145]
	v_add_f64_e32 v[156:157], v[192:193], v[190:191]
	v_add_f64_e32 v[182:183], v[182:183], v[184:185]
	s_wait_loadcnt_dscnt 0xa00
	v_mul_f64_e32 v[184:185], v[158:159], v[136:137]
	v_mul_f64_e32 v[136:137], v[160:161], v[136:137]
	v_fmac_f64_e32 v[186:187], v[6:7], v[142:143]
	v_fma_f64 v[190:191], v[4:5], v[142:143], -v[144:145]
	ds_load_b128 v[4:7], v2 offset:1536
	ds_load_b128 v[142:145], v2 offset:1552
	v_add_f64_e32 v[192:193], v[156:157], v[154:155]
	v_add_f64_e32 v[182:183], v[182:183], v[188:189]
	scratch_load_b128 v[154:157], off, off offset:800
	s_wait_loadcnt_dscnt 0xa01
	v_mul_f64_e32 v[188:189], v[4:5], v[152:153]
	v_mul_f64_e32 v[152:153], v[6:7], v[152:153]
	v_fmac_f64_e32 v[184:185], v[160:161], v[134:135]
	v_fma_f64 v[158:159], v[158:159], v[134:135], -v[136:137]
	scratch_load_b128 v[134:137], off, off offset:816
	v_add_f64_e32 v[160:161], v[192:193], v[190:191]
	v_add_f64_e32 v[182:183], v[182:183], v[186:187]
	s_wait_loadcnt_dscnt 0xa00
	v_mul_f64_e32 v[186:187], v[142:143], v[140:141]
	v_mul_f64_e32 v[140:141], v[144:145], v[140:141]
	v_fmac_f64_e32 v[188:189], v[6:7], v[150:151]
	v_fma_f64 v[190:191], v[4:5], v[150:151], -v[152:153]
	ds_load_b128 v[4:7], v2 offset:1568
	ds_load_b128 v[150:153], v2 offset:1584
	v_add_f64_e32 v[192:193], v[160:161], v[158:159]
	v_add_f64_e32 v[182:183], v[182:183], v[184:185]
	scratch_load_b128 v[158:161], off, off offset:832
	s_wait_loadcnt_dscnt 0xa01
	v_mul_f64_e32 v[184:185], v[4:5], v[164:165]
	v_mul_f64_e32 v[164:165], v[6:7], v[164:165]
	v_fmac_f64_e32 v[186:187], v[144:145], v[138:139]
	v_fma_f64 v[142:143], v[142:143], v[138:139], -v[140:141]
	scratch_load_b128 v[138:141], off, off offset:848
	v_add_f64_e32 v[144:145], v[192:193], v[190:191]
	v_add_f64_e32 v[182:183], v[182:183], v[188:189]
	s_wait_loadcnt_dscnt 0xa00
	v_mul_f64_e32 v[188:189], v[150:151], v[148:149]
	v_mul_f64_e32 v[148:149], v[152:153], v[148:149]
	v_fmac_f64_e32 v[184:185], v[6:7], v[162:163]
	v_fma_f64 v[190:191], v[4:5], v[162:163], -v[164:165]
	v_add_f64_e32 v[192:193], v[144:145], v[142:143]
	v_add_f64_e32 v[182:183], v[182:183], v[186:187]
	ds_load_b128 v[4:7], v2 offset:1600
	ds_load_b128 v[142:145], v2 offset:1616
	scratch_load_b128 v[162:165], off, off offset:864
	v_fmac_f64_e32 v[188:189], v[152:153], v[146:147]
	v_fma_f64 v[150:151], v[150:151], v[146:147], -v[148:149]
	scratch_load_b128 v[146:149], off, off offset:880
	s_wait_loadcnt_dscnt 0xb01
	v_mul_f64_e32 v[186:187], v[4:5], v[180:181]
	v_mul_f64_e32 v[180:181], v[6:7], v[180:181]
	v_add_f64_e32 v[152:153], v[192:193], v[190:191]
	v_add_f64_e32 v[182:183], v[182:183], v[184:185]
	s_wait_loadcnt_dscnt 0xa00
	v_mul_f64_e32 v[184:185], v[142:143], v[10:11]
	v_mul_f64_e32 v[10:11], v[144:145], v[10:11]
	v_fmac_f64_e32 v[186:187], v[6:7], v[178:179]
	v_fma_f64 v[178:179], v[4:5], v[178:179], -v[180:181]
	v_add_f64_e32 v[180:181], v[152:153], v[150:151]
	v_add_f64_e32 v[182:183], v[182:183], v[188:189]
	ds_load_b128 v[4:7], v2 offset:1632
	ds_load_b128 v[150:153], v2 offset:1648
	v_fmac_f64_e32 v[184:185], v[144:145], v[8:9]
	v_fma_f64 v[8:9], v[142:143], v[8:9], -v[10:11]
	s_wait_loadcnt_dscnt 0x901
	v_mul_f64_e32 v[188:189], v[4:5], v[168:169]
	v_mul_f64_e32 v[168:169], v[6:7], v[168:169]
	s_wait_loadcnt_dscnt 0x800
	v_mul_f64_e32 v[144:145], v[150:151], v[132:133]
	v_mul_f64_e32 v[132:133], v[152:153], v[132:133]
	v_add_f64_e32 v[10:11], v[180:181], v[178:179]
	v_add_f64_e32 v[142:143], v[182:183], v[186:187]
	v_fmac_f64_e32 v[188:189], v[6:7], v[166:167]
	v_fma_f64 v[166:167], v[4:5], v[166:167], -v[168:169]
	v_fmac_f64_e32 v[144:145], v[152:153], v[130:131]
	v_fma_f64 v[130:131], v[150:151], v[130:131], -v[132:133]
	v_add_f64_e32 v[168:169], v[10:11], v[8:9]
	v_add_f64_e32 v[142:143], v[142:143], v[184:185]
	ds_load_b128 v[4:7], v2 offset:1664
	ds_load_b128 v[8:11], v2 offset:1680
	s_wait_loadcnt_dscnt 0x701
	v_mul_f64_e32 v[178:179], v[4:5], v[176:177]
	v_mul_f64_e32 v[176:177], v[6:7], v[176:177]
	s_wait_loadcnt_dscnt 0x600
	v_mul_f64_e32 v[150:151], v[8:9], v[128:129]
	v_mul_f64_e32 v[152:153], v[10:11], v[128:129]
	v_add_f64_e32 v[132:133], v[168:169], v[166:167]
	v_add_f64_e32 v[142:143], v[142:143], v[188:189]
	v_fmac_f64_e32 v[178:179], v[6:7], v[174:175]
	v_fma_f64 v[166:167], v[4:5], v[174:175], -v[176:177]
	v_fmac_f64_e32 v[150:151], v[10:11], v[126:127]
	v_fma_f64 v[8:9], v[8:9], v[126:127], -v[152:153]
	v_add_f64_e32 v[132:133], v[132:133], v[130:131]
	v_add_f64_e32 v[142:143], v[142:143], v[144:145]
	ds_load_b128 v[4:7], v2 offset:1696
	ds_load_b128 v[128:131], v2 offset:1712
	s_wait_loadcnt_dscnt 0x501
	v_mul_f64_e32 v[144:145], v[4:5], v[156:157]
	v_mul_f64_e32 v[156:157], v[6:7], v[156:157]
	v_add_f64_e32 v[10:11], v[132:133], v[166:167]
	v_add_f64_e32 v[126:127], v[142:143], v[178:179]
	s_wait_loadcnt_dscnt 0x400
	v_mul_f64_e32 v[132:133], v[128:129], v[136:137]
	v_mul_f64_e32 v[136:137], v[130:131], v[136:137]
	v_fmac_f64_e32 v[144:145], v[6:7], v[154:155]
	v_fma_f64 v[142:143], v[4:5], v[154:155], -v[156:157]
	v_add_f64_e32 v[152:153], v[10:11], v[8:9]
	v_add_f64_e32 v[126:127], v[126:127], v[150:151]
	ds_load_b128 v[4:7], v2 offset:1728
	ds_load_b128 v[8:11], v2 offset:1744
	v_fmac_f64_e32 v[132:133], v[130:131], v[134:135]
	v_fma_f64 v[128:129], v[128:129], v[134:135], -v[136:137]
	s_wait_loadcnt_dscnt 0x301
	v_mul_f64_e32 v[150:151], v[4:5], v[160:161]
	v_mul_f64_e32 v[154:155], v[6:7], v[160:161]
	s_wait_loadcnt_dscnt 0x200
	v_mul_f64_e32 v[134:135], v[8:9], v[140:141]
	v_mul_f64_e32 v[136:137], v[10:11], v[140:141]
	v_add_f64_e32 v[130:131], v[152:153], v[142:143]
	v_add_f64_e32 v[126:127], v[126:127], v[144:145]
	v_fmac_f64_e32 v[150:151], v[6:7], v[158:159]
	v_fma_f64 v[140:141], v[4:5], v[158:159], -v[154:155]
	v_fmac_f64_e32 v[134:135], v[10:11], v[138:139]
	v_fma_f64 v[8:9], v[8:9], v[138:139], -v[136:137]
	v_add_f64_e32 v[130:131], v[130:131], v[128:129]
	v_add_f64_e32 v[132:133], v[126:127], v[132:133]
	ds_load_b128 v[4:7], v2 offset:1760
	ds_load_b128 v[126:129], v2 offset:1776
	s_wait_loadcnt_dscnt 0x101
	v_mul_f64_e32 v[2:3], v[4:5], v[164:165]
	v_mul_f64_e32 v[142:143], v[6:7], v[164:165]
	s_wait_loadcnt_dscnt 0x0
	v_mul_f64_e32 v[136:137], v[128:129], v[148:149]
	v_add_f64_e32 v[10:11], v[130:131], v[140:141]
	v_add_f64_e32 v[130:131], v[132:133], v[150:151]
	v_mul_f64_e32 v[132:133], v[126:127], v[148:149]
	v_fmac_f64_e32 v[2:3], v[6:7], v[162:163]
	v_fma_f64 v[4:5], v[4:5], v[162:163], -v[142:143]
	v_add_f64_e32 v[6:7], v[10:11], v[8:9]
	v_add_f64_e32 v[8:9], v[130:131], v[134:135]
	v_fmac_f64_e32 v[132:133], v[128:129], v[146:147]
	v_fma_f64 v[10:11], v[126:127], v[146:147], -v[136:137]
	s_delay_alu instid0(VALU_DEP_4) | instskip(NEXT) | instid1(VALU_DEP_4)
	v_add_f64_e32 v[4:5], v[6:7], v[4:5]
	v_add_f64_e32 v[2:3], v[8:9], v[2:3]
	s_delay_alu instid0(VALU_DEP_2) | instskip(NEXT) | instid1(VALU_DEP_2)
	v_add_f64_e32 v[4:5], v[4:5], v[10:11]
	v_add_f64_e32 v[6:7], v[2:3], v[132:133]
	s_delay_alu instid0(VALU_DEP_2) | instskip(NEXT) | instid1(VALU_DEP_2)
	v_add_f64_e64 v[2:3], v[170:171], -v[4:5]
	v_add_f64_e64 v[4:5], v[172:173], -v[6:7]
	scratch_store_b128 off, v[2:5], off offset:304
	s_wait_xcnt 0x0
	v_cmpx_lt_u32_e32 18, v1
	s_cbranch_execz .LBB119_313
; %bb.312:
	scratch_load_b128 v[2:5], off, s54
	v_mov_b32_e32 v6, 0
	s_delay_alu instid0(VALU_DEP_1)
	v_dual_mov_b32 v7, v6 :: v_dual_mov_b32 v8, v6
	v_mov_b32_e32 v9, v6
	scratch_store_b128 off, v[6:9], off offset:288
	s_wait_loadcnt 0x0
	ds_store_b128 v12, v[2:5]
.LBB119_313:
	s_wait_xcnt 0x0
	s_or_b32 exec_lo, exec_lo, s2
	s_wait_storecnt_dscnt 0x0
	s_barrier_signal -1
	s_barrier_wait -1
	s_clause 0x9
	scratch_load_b128 v[4:7], off, off offset:304
	scratch_load_b128 v[8:11], off, off offset:320
	;; [unrolled: 1-line block ×10, first 2 shown]
	v_mov_b32_e32 v2, 0
	s_mov_b32 s2, exec_lo
	ds_load_b128 v[158:161], v2 offset:1200
	s_clause 0x2
	scratch_load_b128 v[162:165], off, off offset:464
	scratch_load_b128 v[166:169], off, off offset:288
	;; [unrolled: 1-line block ×3, first 2 shown]
	s_wait_loadcnt_dscnt 0xc00
	v_mul_f64_e32 v[178:179], v[160:161], v[6:7]
	v_mul_f64_e32 v[182:183], v[158:159], v[6:7]
	ds_load_b128 v[170:173], v2 offset:1216
	v_fma_f64 v[186:187], v[158:159], v[4:5], -v[178:179]
	v_fmac_f64_e32 v[182:183], v[160:161], v[4:5]
	ds_load_b128 v[4:7], v2 offset:1232
	s_wait_loadcnt_dscnt 0xb01
	v_mul_f64_e32 v[184:185], v[170:171], v[10:11]
	v_mul_f64_e32 v[10:11], v[172:173], v[10:11]
	scratch_load_b128 v[158:161], off, off offset:496
	ds_load_b128 v[178:181], v2 offset:1248
	s_wait_loadcnt_dscnt 0xb01
	v_mul_f64_e32 v[188:189], v[4:5], v[128:129]
	v_mul_f64_e32 v[128:129], v[6:7], v[128:129]
	v_add_f64_e32 v[182:183], 0, v[182:183]
	v_fmac_f64_e32 v[184:185], v[172:173], v[8:9]
	v_fma_f64 v[170:171], v[170:171], v[8:9], -v[10:11]
	v_add_f64_e32 v[172:173], 0, v[186:187]
	scratch_load_b128 v[8:11], off, off offset:512
	v_fmac_f64_e32 v[188:189], v[6:7], v[126:127]
	v_fma_f64 v[190:191], v[4:5], v[126:127], -v[128:129]
	ds_load_b128 v[4:7], v2 offset:1264
	s_wait_loadcnt_dscnt 0xb01
	v_mul_f64_e32 v[186:187], v[178:179], v[132:133]
	v_mul_f64_e32 v[132:133], v[180:181], v[132:133]
	scratch_load_b128 v[126:129], off, off offset:528
	v_add_f64_e32 v[182:183], v[182:183], v[184:185]
	v_add_f64_e32 v[192:193], v[172:173], v[170:171]
	ds_load_b128 v[170:173], v2 offset:1280
	s_wait_loadcnt_dscnt 0xb01
	v_mul_f64_e32 v[184:185], v[4:5], v[136:137]
	v_mul_f64_e32 v[136:137], v[6:7], v[136:137]
	v_fmac_f64_e32 v[186:187], v[180:181], v[130:131]
	v_fma_f64 v[178:179], v[178:179], v[130:131], -v[132:133]
	scratch_load_b128 v[130:133], off, off offset:544
	v_add_f64_e32 v[182:183], v[182:183], v[188:189]
	v_add_f64_e32 v[180:181], v[192:193], v[190:191]
	v_fmac_f64_e32 v[184:185], v[6:7], v[134:135]
	v_fma_f64 v[190:191], v[4:5], v[134:135], -v[136:137]
	ds_load_b128 v[4:7], v2 offset:1296
	s_wait_loadcnt_dscnt 0xb01
	v_mul_f64_e32 v[188:189], v[170:171], v[140:141]
	v_mul_f64_e32 v[140:141], v[172:173], v[140:141]
	scratch_load_b128 v[134:137], off, off offset:560
	v_add_f64_e32 v[182:183], v[182:183], v[186:187]
	s_wait_loadcnt_dscnt 0xb00
	v_mul_f64_e32 v[186:187], v[4:5], v[144:145]
	v_add_f64_e32 v[192:193], v[180:181], v[178:179]
	v_mul_f64_e32 v[144:145], v[6:7], v[144:145]
	ds_load_b128 v[178:181], v2 offset:1312
	v_fmac_f64_e32 v[188:189], v[172:173], v[138:139]
	v_fma_f64 v[170:171], v[170:171], v[138:139], -v[140:141]
	scratch_load_b128 v[138:141], off, off offset:576
	v_add_f64_e32 v[182:183], v[182:183], v[184:185]
	v_fmac_f64_e32 v[186:187], v[6:7], v[142:143]
	v_add_f64_e32 v[172:173], v[192:193], v[190:191]
	v_fma_f64 v[190:191], v[4:5], v[142:143], -v[144:145]
	ds_load_b128 v[4:7], v2 offset:1328
	s_wait_loadcnt_dscnt 0xb01
	v_mul_f64_e32 v[184:185], v[178:179], v[148:149]
	v_mul_f64_e32 v[148:149], v[180:181], v[148:149]
	scratch_load_b128 v[142:145], off, off offset:592
	v_add_f64_e32 v[182:183], v[182:183], v[188:189]
	s_wait_loadcnt_dscnt 0xb00
	v_mul_f64_e32 v[188:189], v[4:5], v[152:153]
	v_add_f64_e32 v[192:193], v[172:173], v[170:171]
	v_mul_f64_e32 v[152:153], v[6:7], v[152:153]
	ds_load_b128 v[170:173], v2 offset:1344
	v_fmac_f64_e32 v[184:185], v[180:181], v[146:147]
	v_fma_f64 v[178:179], v[178:179], v[146:147], -v[148:149]
	scratch_load_b128 v[146:149], off, off offset:608
	v_add_f64_e32 v[182:183], v[182:183], v[186:187]
	v_fmac_f64_e32 v[188:189], v[6:7], v[150:151]
	v_add_f64_e32 v[180:181], v[192:193], v[190:191]
	;; [unrolled: 18-line block ×3, first 2 shown]
	v_fma_f64 v[190:191], v[4:5], v[162:163], -v[164:165]
	ds_load_b128 v[4:7], v2 offset:1392
	s_wait_loadcnt_dscnt 0xa01
	v_mul_f64_e32 v[188:189], v[178:179], v[176:177]
	v_mul_f64_e32 v[176:177], v[180:181], v[176:177]
	scratch_load_b128 v[162:165], off, off offset:656
	v_add_f64_e32 v[182:183], v[182:183], v[186:187]
	v_add_f64_e32 v[192:193], v[172:173], v[170:171]
	s_wait_loadcnt_dscnt 0xa00
	v_mul_f64_e32 v[186:187], v[4:5], v[160:161]
	v_mul_f64_e32 v[160:161], v[6:7], v[160:161]
	v_fmac_f64_e32 v[188:189], v[180:181], v[174:175]
	v_fma_f64 v[178:179], v[178:179], v[174:175], -v[176:177]
	ds_load_b128 v[170:173], v2 offset:1408
	scratch_load_b128 v[174:177], off, off offset:672
	v_add_f64_e32 v[182:183], v[182:183], v[184:185]
	v_add_f64_e32 v[180:181], v[192:193], v[190:191]
	v_fmac_f64_e32 v[186:187], v[6:7], v[158:159]
	v_fma_f64 v[190:191], v[4:5], v[158:159], -v[160:161]
	ds_load_b128 v[4:7], v2 offset:1424
	s_wait_loadcnt_dscnt 0xa01
	v_mul_f64_e32 v[184:185], v[170:171], v[10:11]
	v_mul_f64_e32 v[10:11], v[172:173], v[10:11]
	scratch_load_b128 v[158:161], off, off offset:688
	v_add_f64_e32 v[182:183], v[182:183], v[188:189]
	s_wait_loadcnt_dscnt 0xa00
	v_mul_f64_e32 v[188:189], v[4:5], v[128:129]
	v_add_f64_e32 v[192:193], v[180:181], v[178:179]
	v_mul_f64_e32 v[128:129], v[6:7], v[128:129]
	ds_load_b128 v[178:181], v2 offset:1440
	v_fmac_f64_e32 v[184:185], v[172:173], v[8:9]
	v_fma_f64 v[170:171], v[170:171], v[8:9], -v[10:11]
	scratch_load_b128 v[8:11], off, off offset:704
	v_add_f64_e32 v[182:183], v[182:183], v[186:187]
	v_fmac_f64_e32 v[188:189], v[6:7], v[126:127]
	v_add_f64_e32 v[172:173], v[192:193], v[190:191]
	v_fma_f64 v[190:191], v[4:5], v[126:127], -v[128:129]
	ds_load_b128 v[4:7], v2 offset:1456
	s_wait_loadcnt_dscnt 0xa01
	v_mul_f64_e32 v[186:187], v[178:179], v[132:133]
	v_mul_f64_e32 v[132:133], v[180:181], v[132:133]
	scratch_load_b128 v[126:129], off, off offset:720
	v_add_f64_e32 v[182:183], v[182:183], v[184:185]
	s_wait_loadcnt_dscnt 0xa00
	v_mul_f64_e32 v[184:185], v[4:5], v[136:137]
	v_add_f64_e32 v[192:193], v[172:173], v[170:171]
	v_mul_f64_e32 v[136:137], v[6:7], v[136:137]
	ds_load_b128 v[170:173], v2 offset:1472
	v_fmac_f64_e32 v[186:187], v[180:181], v[130:131]
	v_fma_f64 v[178:179], v[178:179], v[130:131], -v[132:133]
	scratch_load_b128 v[130:133], off, off offset:736
	v_add_f64_e32 v[182:183], v[182:183], v[188:189]
	v_fmac_f64_e32 v[184:185], v[6:7], v[134:135]
	v_add_f64_e32 v[180:181], v[192:193], v[190:191]
	v_fma_f64 v[190:191], v[4:5], v[134:135], -v[136:137]
	ds_load_b128 v[4:7], v2 offset:1488
	s_wait_loadcnt_dscnt 0xa01
	v_mul_f64_e32 v[188:189], v[170:171], v[140:141]
	v_mul_f64_e32 v[140:141], v[172:173], v[140:141]
	scratch_load_b128 v[134:137], off, off offset:752
	v_add_f64_e32 v[182:183], v[182:183], v[186:187]
	s_wait_loadcnt_dscnt 0xa00
	v_mul_f64_e32 v[186:187], v[4:5], v[144:145]
	v_add_f64_e32 v[192:193], v[180:181], v[178:179]
	v_mul_f64_e32 v[144:145], v[6:7], v[144:145]
	ds_load_b128 v[178:181], v2 offset:1504
	v_fmac_f64_e32 v[188:189], v[172:173], v[138:139]
	v_fma_f64 v[170:171], v[170:171], v[138:139], -v[140:141]
	scratch_load_b128 v[138:141], off, off offset:768
	v_add_f64_e32 v[182:183], v[182:183], v[184:185]
	v_fmac_f64_e32 v[186:187], v[6:7], v[142:143]
	v_add_f64_e32 v[172:173], v[192:193], v[190:191]
	v_fma_f64 v[190:191], v[4:5], v[142:143], -v[144:145]
	ds_load_b128 v[4:7], v2 offset:1520
	s_wait_loadcnt_dscnt 0xa01
	v_mul_f64_e32 v[184:185], v[178:179], v[148:149]
	v_mul_f64_e32 v[148:149], v[180:181], v[148:149]
	scratch_load_b128 v[142:145], off, off offset:784
	v_add_f64_e32 v[182:183], v[182:183], v[188:189]
	s_wait_loadcnt_dscnt 0xa00
	v_mul_f64_e32 v[188:189], v[4:5], v[152:153]
	v_add_f64_e32 v[192:193], v[172:173], v[170:171]
	v_mul_f64_e32 v[152:153], v[6:7], v[152:153]
	ds_load_b128 v[170:173], v2 offset:1536
	v_fmac_f64_e32 v[184:185], v[180:181], v[146:147]
	v_fma_f64 v[178:179], v[178:179], v[146:147], -v[148:149]
	scratch_load_b128 v[146:149], off, off offset:800
	v_add_f64_e32 v[182:183], v[182:183], v[186:187]
	v_fmac_f64_e32 v[188:189], v[6:7], v[150:151]
	v_add_f64_e32 v[180:181], v[192:193], v[190:191]
	v_fma_f64 v[190:191], v[4:5], v[150:151], -v[152:153]
	ds_load_b128 v[4:7], v2 offset:1552
	s_wait_loadcnt_dscnt 0xa01
	v_mul_f64_e32 v[186:187], v[170:171], v[156:157]
	v_mul_f64_e32 v[156:157], v[172:173], v[156:157]
	scratch_load_b128 v[150:153], off, off offset:816
	v_add_f64_e32 v[182:183], v[182:183], v[184:185]
	s_wait_loadcnt_dscnt 0xa00
	v_mul_f64_e32 v[184:185], v[4:5], v[164:165]
	v_add_f64_e32 v[192:193], v[180:181], v[178:179]
	v_mul_f64_e32 v[164:165], v[6:7], v[164:165]
	ds_load_b128 v[178:181], v2 offset:1568
	v_fmac_f64_e32 v[186:187], v[172:173], v[154:155]
	v_fma_f64 v[170:171], v[170:171], v[154:155], -v[156:157]
	scratch_load_b128 v[154:157], off, off offset:832
	v_add_f64_e32 v[182:183], v[182:183], v[188:189]
	v_fmac_f64_e32 v[184:185], v[6:7], v[162:163]
	v_add_f64_e32 v[172:173], v[192:193], v[190:191]
	v_fma_f64 v[190:191], v[4:5], v[162:163], -v[164:165]
	ds_load_b128 v[4:7], v2 offset:1584
	s_wait_loadcnt_dscnt 0xa01
	v_mul_f64_e32 v[188:189], v[178:179], v[176:177]
	v_mul_f64_e32 v[176:177], v[180:181], v[176:177]
	scratch_load_b128 v[162:165], off, off offset:848
	v_add_f64_e32 v[182:183], v[182:183], v[186:187]
	s_wait_loadcnt_dscnt 0xa00
	v_mul_f64_e32 v[186:187], v[4:5], v[160:161]
	v_add_f64_e32 v[192:193], v[172:173], v[170:171]
	v_mul_f64_e32 v[160:161], v[6:7], v[160:161]
	ds_load_b128 v[170:173], v2 offset:1600
	v_fmac_f64_e32 v[188:189], v[180:181], v[174:175]
	v_fma_f64 v[178:179], v[178:179], v[174:175], -v[176:177]
	scratch_load_b128 v[174:177], off, off offset:864
	v_add_f64_e32 v[182:183], v[182:183], v[184:185]
	v_fmac_f64_e32 v[186:187], v[6:7], v[158:159]
	v_add_f64_e32 v[180:181], v[192:193], v[190:191]
	v_fma_f64 v[190:191], v[4:5], v[158:159], -v[160:161]
	ds_load_b128 v[4:7], v2 offset:1616
	s_wait_loadcnt_dscnt 0xa01
	v_mul_f64_e32 v[184:185], v[170:171], v[10:11]
	v_mul_f64_e32 v[10:11], v[172:173], v[10:11]
	scratch_load_b128 v[158:161], off, off offset:880
	v_add_f64_e32 v[182:183], v[182:183], v[188:189]
	s_wait_loadcnt_dscnt 0xa00
	v_mul_f64_e32 v[188:189], v[4:5], v[128:129]
	v_add_f64_e32 v[192:193], v[180:181], v[178:179]
	v_mul_f64_e32 v[128:129], v[6:7], v[128:129]
	ds_load_b128 v[178:181], v2 offset:1632
	v_fmac_f64_e32 v[184:185], v[172:173], v[8:9]
	v_fma_f64 v[8:9], v[170:171], v[8:9], -v[10:11]
	s_wait_loadcnt_dscnt 0x900
	v_mul_f64_e32 v[172:173], v[178:179], v[132:133]
	v_mul_f64_e32 v[132:133], v[180:181], v[132:133]
	v_add_f64_e32 v[170:171], v[182:183], v[186:187]
	v_fmac_f64_e32 v[188:189], v[6:7], v[126:127]
	v_add_f64_e32 v[10:11], v[192:193], v[190:191]
	v_fma_f64 v[126:127], v[4:5], v[126:127], -v[128:129]
	v_fmac_f64_e32 v[172:173], v[180:181], v[130:131]
	v_fma_f64 v[130:131], v[178:179], v[130:131], -v[132:133]
	v_add_f64_e32 v[170:171], v[170:171], v[184:185]
	v_add_f64_e32 v[128:129], v[10:11], v[8:9]
	ds_load_b128 v[4:7], v2 offset:1648
	ds_load_b128 v[8:11], v2 offset:1664
	s_wait_loadcnt_dscnt 0x801
	v_mul_f64_e32 v[182:183], v[4:5], v[136:137]
	v_mul_f64_e32 v[136:137], v[6:7], v[136:137]
	s_wait_loadcnt_dscnt 0x700
	v_mul_f64_e32 v[132:133], v[8:9], v[140:141]
	v_mul_f64_e32 v[140:141], v[10:11], v[140:141]
	v_add_f64_e32 v[126:127], v[128:129], v[126:127]
	v_add_f64_e32 v[128:129], v[170:171], v[188:189]
	v_fmac_f64_e32 v[182:183], v[6:7], v[134:135]
	v_fma_f64 v[134:135], v[4:5], v[134:135], -v[136:137]
	v_fmac_f64_e32 v[132:133], v[10:11], v[138:139]
	v_fma_f64 v[8:9], v[8:9], v[138:139], -v[140:141]
	v_add_f64_e32 v[130:131], v[126:127], v[130:131]
	v_add_f64_e32 v[136:137], v[128:129], v[172:173]
	ds_load_b128 v[4:7], v2 offset:1680
	ds_load_b128 v[126:129], v2 offset:1696
	s_wait_loadcnt_dscnt 0x601
	v_mul_f64_e32 v[170:171], v[4:5], v[144:145]
	v_mul_f64_e32 v[144:145], v[6:7], v[144:145]
	v_add_f64_e32 v[10:11], v[130:131], v[134:135]
	v_add_f64_e32 v[130:131], v[136:137], v[182:183]
	s_wait_loadcnt_dscnt 0x500
	v_mul_f64_e32 v[134:135], v[126:127], v[148:149]
	v_mul_f64_e32 v[136:137], v[128:129], v[148:149]
	v_fmac_f64_e32 v[170:171], v[6:7], v[142:143]
	v_fma_f64 v[138:139], v[4:5], v[142:143], -v[144:145]
	v_add_f64_e32 v[140:141], v[10:11], v[8:9]
	v_add_f64_e32 v[130:131], v[130:131], v[132:133]
	ds_load_b128 v[4:7], v2 offset:1712
	ds_load_b128 v[8:11], v2 offset:1728
	v_fmac_f64_e32 v[134:135], v[128:129], v[146:147]
	v_fma_f64 v[126:127], v[126:127], v[146:147], -v[136:137]
	s_wait_loadcnt_dscnt 0x401
	v_mul_f64_e32 v[132:133], v[4:5], v[152:153]
	v_mul_f64_e32 v[142:143], v[6:7], v[152:153]
	s_wait_loadcnt_dscnt 0x300
	v_mul_f64_e32 v[136:137], v[8:9], v[156:157]
	v_add_f64_e32 v[128:129], v[140:141], v[138:139]
	v_add_f64_e32 v[130:131], v[130:131], v[170:171]
	v_mul_f64_e32 v[138:139], v[10:11], v[156:157]
	v_fmac_f64_e32 v[132:133], v[6:7], v[150:151]
	v_fma_f64 v[140:141], v[4:5], v[150:151], -v[142:143]
	v_fmac_f64_e32 v[136:137], v[10:11], v[154:155]
	v_add_f64_e32 v[142:143], v[128:129], v[126:127]
	v_add_f64_e32 v[130:131], v[130:131], v[134:135]
	ds_load_b128 v[4:7], v2 offset:1744
	ds_load_b128 v[126:129], v2 offset:1760
	v_fma_f64 v[8:9], v[8:9], v[154:155], -v[138:139]
	s_wait_loadcnt_dscnt 0x201
	v_mul_f64_e32 v[134:135], v[4:5], v[164:165]
	v_mul_f64_e32 v[144:145], v[6:7], v[164:165]
	s_wait_loadcnt_dscnt 0x100
	v_mul_f64_e32 v[138:139], v[128:129], v[176:177]
	v_add_f64_e32 v[10:11], v[142:143], v[140:141]
	v_add_f64_e32 v[130:131], v[130:131], v[132:133]
	v_mul_f64_e32 v[132:133], v[126:127], v[176:177]
	v_fmac_f64_e32 v[134:135], v[6:7], v[162:163]
	v_fma_f64 v[140:141], v[4:5], v[162:163], -v[144:145]
	ds_load_b128 v[4:7], v2 offset:1776
	v_fma_f64 v[126:127], v[126:127], v[174:175], -v[138:139]
	v_add_f64_e32 v[8:9], v[10:11], v[8:9]
	v_add_f64_e32 v[10:11], v[130:131], v[136:137]
	v_fmac_f64_e32 v[132:133], v[128:129], v[174:175]
	s_wait_loadcnt_dscnt 0x0
	v_mul_f64_e32 v[130:131], v[4:5], v[160:161]
	v_mul_f64_e32 v[136:137], v[6:7], v[160:161]
	v_add_f64_e32 v[8:9], v[8:9], v[140:141]
	v_add_f64_e32 v[10:11], v[10:11], v[134:135]
	s_delay_alu instid0(VALU_DEP_4) | instskip(NEXT) | instid1(VALU_DEP_4)
	v_fmac_f64_e32 v[130:131], v[6:7], v[158:159]
	v_fma_f64 v[4:5], v[4:5], v[158:159], -v[136:137]
	s_delay_alu instid0(VALU_DEP_4) | instskip(NEXT) | instid1(VALU_DEP_4)
	v_add_f64_e32 v[6:7], v[8:9], v[126:127]
	v_add_f64_e32 v[8:9], v[10:11], v[132:133]
	s_delay_alu instid0(VALU_DEP_2) | instskip(NEXT) | instid1(VALU_DEP_2)
	v_add_f64_e32 v[4:5], v[6:7], v[4:5]
	v_add_f64_e32 v[6:7], v[8:9], v[130:131]
	s_delay_alu instid0(VALU_DEP_2) | instskip(NEXT) | instid1(VALU_DEP_2)
	v_add_f64_e64 v[4:5], v[166:167], -v[4:5]
	v_add_f64_e64 v[6:7], v[168:169], -v[6:7]
	scratch_store_b128 off, v[4:7], off offset:288
	s_wait_xcnt 0x0
	v_cmpx_lt_u32_e32 17, v1
	s_cbranch_execz .LBB119_315
; %bb.314:
	scratch_load_b128 v[6:9], off, s55
	v_dual_mov_b32 v3, v2 :: v_dual_mov_b32 v4, v2
	v_mov_b32_e32 v5, v2
	scratch_store_b128 off, v[2:5], off offset:272
	s_wait_loadcnt 0x0
	ds_store_b128 v12, v[6:9]
.LBB119_315:
	s_wait_xcnt 0x0
	s_or_b32 exec_lo, exec_lo, s2
	s_wait_storecnt_dscnt 0x0
	s_barrier_signal -1
	s_barrier_wait -1
	s_clause 0x9
	scratch_load_b128 v[4:7], off, off offset:288
	scratch_load_b128 v[8:11], off, off offset:304
	;; [unrolled: 1-line block ×10, first 2 shown]
	ds_load_b128 v[158:161], v2 offset:1184
	ds_load_b128 v[166:169], v2 offset:1200
	s_clause 0x2
	scratch_load_b128 v[162:165], off, off offset:448
	scratch_load_b128 v[170:173], off, off offset:272
	;; [unrolled: 1-line block ×3, first 2 shown]
	s_mov_b32 s2, exec_lo
	s_wait_loadcnt_dscnt 0xc01
	v_mul_f64_e32 v[178:179], v[160:161], v[6:7]
	v_mul_f64_e32 v[182:183], v[158:159], v[6:7]
	s_wait_loadcnt_dscnt 0xb00
	v_mul_f64_e32 v[184:185], v[166:167], v[10:11]
	v_mul_f64_e32 v[10:11], v[168:169], v[10:11]
	s_delay_alu instid0(VALU_DEP_4) | instskip(NEXT) | instid1(VALU_DEP_4)
	v_fma_f64 v[186:187], v[158:159], v[4:5], -v[178:179]
	v_fmac_f64_e32 v[182:183], v[160:161], v[4:5]
	ds_load_b128 v[4:7], v2 offset:1216
	ds_load_b128 v[158:161], v2 offset:1232
	scratch_load_b128 v[178:181], off, off offset:480
	v_fmac_f64_e32 v[184:185], v[168:169], v[8:9]
	v_fma_f64 v[166:167], v[166:167], v[8:9], -v[10:11]
	scratch_load_b128 v[8:11], off, off offset:496
	s_wait_loadcnt_dscnt 0xc01
	v_mul_f64_e32 v[188:189], v[4:5], v[128:129]
	v_mul_f64_e32 v[128:129], v[6:7], v[128:129]
	v_add_f64_e32 v[168:169], 0, v[186:187]
	v_add_f64_e32 v[182:183], 0, v[182:183]
	s_wait_loadcnt_dscnt 0xb00
	v_mul_f64_e32 v[186:187], v[158:159], v[132:133]
	v_mul_f64_e32 v[132:133], v[160:161], v[132:133]
	v_fmac_f64_e32 v[188:189], v[6:7], v[126:127]
	v_fma_f64 v[190:191], v[4:5], v[126:127], -v[128:129]
	ds_load_b128 v[4:7], v2 offset:1248
	ds_load_b128 v[126:129], v2 offset:1264
	v_add_f64_e32 v[192:193], v[168:169], v[166:167]
	v_add_f64_e32 v[182:183], v[182:183], v[184:185]
	scratch_load_b128 v[166:169], off, off offset:512
	v_fmac_f64_e32 v[186:187], v[160:161], v[130:131]
	v_fma_f64 v[158:159], v[158:159], v[130:131], -v[132:133]
	scratch_load_b128 v[130:133], off, off offset:528
	s_wait_loadcnt_dscnt 0xc01
	v_mul_f64_e32 v[184:185], v[4:5], v[136:137]
	v_mul_f64_e32 v[136:137], v[6:7], v[136:137]
	v_add_f64_e32 v[160:161], v[192:193], v[190:191]
	v_add_f64_e32 v[182:183], v[182:183], v[188:189]
	s_wait_loadcnt_dscnt 0xb00
	v_mul_f64_e32 v[188:189], v[126:127], v[140:141]
	v_mul_f64_e32 v[140:141], v[128:129], v[140:141]
	v_fmac_f64_e32 v[184:185], v[6:7], v[134:135]
	v_fma_f64 v[190:191], v[4:5], v[134:135], -v[136:137]
	ds_load_b128 v[4:7], v2 offset:1280
	ds_load_b128 v[134:137], v2 offset:1296
	v_add_f64_e32 v[192:193], v[160:161], v[158:159]
	v_add_f64_e32 v[182:183], v[182:183], v[186:187]
	scratch_load_b128 v[158:161], off, off offset:544
	s_wait_loadcnt_dscnt 0xb01
	v_mul_f64_e32 v[186:187], v[4:5], v[144:145]
	v_mul_f64_e32 v[144:145], v[6:7], v[144:145]
	v_fmac_f64_e32 v[188:189], v[128:129], v[138:139]
	v_fma_f64 v[138:139], v[126:127], v[138:139], -v[140:141]
	scratch_load_b128 v[126:129], off, off offset:560
	v_add_f64_e32 v[140:141], v[192:193], v[190:191]
	v_add_f64_e32 v[182:183], v[182:183], v[184:185]
	s_wait_loadcnt_dscnt 0xb00
	v_mul_f64_e32 v[184:185], v[134:135], v[148:149]
	v_mul_f64_e32 v[148:149], v[136:137], v[148:149]
	v_fmac_f64_e32 v[186:187], v[6:7], v[142:143]
	v_fma_f64 v[190:191], v[4:5], v[142:143], -v[144:145]
	v_add_f64_e32 v[192:193], v[140:141], v[138:139]
	v_add_f64_e32 v[182:183], v[182:183], v[188:189]
	ds_load_b128 v[4:7], v2 offset:1312
	ds_load_b128 v[138:141], v2 offset:1328
	scratch_load_b128 v[142:145], off, off offset:576
	v_fmac_f64_e32 v[184:185], v[136:137], v[146:147]
	v_fma_f64 v[146:147], v[134:135], v[146:147], -v[148:149]
	scratch_load_b128 v[134:137], off, off offset:592
	s_wait_loadcnt_dscnt 0xc01
	v_mul_f64_e32 v[188:189], v[4:5], v[152:153]
	v_mul_f64_e32 v[152:153], v[6:7], v[152:153]
	v_add_f64_e32 v[148:149], v[192:193], v[190:191]
	v_add_f64_e32 v[182:183], v[182:183], v[186:187]
	s_wait_loadcnt_dscnt 0xb00
	v_mul_f64_e32 v[186:187], v[138:139], v[156:157]
	v_mul_f64_e32 v[156:157], v[140:141], v[156:157]
	v_fmac_f64_e32 v[188:189], v[6:7], v[150:151]
	v_fma_f64 v[190:191], v[4:5], v[150:151], -v[152:153]
	v_add_f64_e32 v[192:193], v[148:149], v[146:147]
	v_add_f64_e32 v[182:183], v[182:183], v[184:185]
	ds_load_b128 v[4:7], v2 offset:1344
	ds_load_b128 v[146:149], v2 offset:1360
	scratch_load_b128 v[150:153], off, off offset:608
	v_fmac_f64_e32 v[186:187], v[140:141], v[154:155]
	v_fma_f64 v[154:155], v[138:139], v[154:155], -v[156:157]
	scratch_load_b128 v[138:141], off, off offset:624
	s_wait_loadcnt_dscnt 0xc01
	v_mul_f64_e32 v[184:185], v[4:5], v[164:165]
	v_mul_f64_e32 v[164:165], v[6:7], v[164:165]
	;; [unrolled: 18-line block ×5, first 2 shown]
	v_add_f64_e32 v[176:177], v[192:193], v[190:191]
	v_add_f64_e32 v[182:183], v[182:183], v[188:189]
	s_wait_loadcnt_dscnt 0xa00
	v_mul_f64_e32 v[188:189], v[154:155], v[128:129]
	v_mul_f64_e32 v[128:129], v[156:157], v[128:129]
	v_fmac_f64_e32 v[184:185], v[6:7], v[158:159]
	v_fma_f64 v[190:191], v[4:5], v[158:159], -v[160:161]
	ds_load_b128 v[4:7], v2 offset:1472
	ds_load_b128 v[158:161], v2 offset:1488
	v_add_f64_e32 v[192:193], v[176:177], v[174:175]
	v_add_f64_e32 v[182:183], v[182:183], v[186:187]
	scratch_load_b128 v[174:177], off, off offset:736
	v_fmac_f64_e32 v[188:189], v[156:157], v[126:127]
	v_fma_f64 v[154:155], v[154:155], v[126:127], -v[128:129]
	scratch_load_b128 v[126:129], off, off offset:752
	s_wait_loadcnt_dscnt 0xb01
	v_mul_f64_e32 v[186:187], v[4:5], v[144:145]
	v_mul_f64_e32 v[144:145], v[6:7], v[144:145]
	v_add_f64_e32 v[156:157], v[192:193], v[190:191]
	v_add_f64_e32 v[182:183], v[182:183], v[184:185]
	s_wait_loadcnt_dscnt 0xa00
	v_mul_f64_e32 v[184:185], v[158:159], v[136:137]
	v_mul_f64_e32 v[136:137], v[160:161], v[136:137]
	v_fmac_f64_e32 v[186:187], v[6:7], v[142:143]
	v_fma_f64 v[190:191], v[4:5], v[142:143], -v[144:145]
	ds_load_b128 v[4:7], v2 offset:1504
	ds_load_b128 v[142:145], v2 offset:1520
	v_add_f64_e32 v[192:193], v[156:157], v[154:155]
	v_add_f64_e32 v[182:183], v[182:183], v[188:189]
	scratch_load_b128 v[154:157], off, off offset:768
	s_wait_loadcnt_dscnt 0xa01
	v_mul_f64_e32 v[188:189], v[4:5], v[152:153]
	v_mul_f64_e32 v[152:153], v[6:7], v[152:153]
	v_fmac_f64_e32 v[184:185], v[160:161], v[134:135]
	v_fma_f64 v[158:159], v[158:159], v[134:135], -v[136:137]
	scratch_load_b128 v[134:137], off, off offset:784
	v_add_f64_e32 v[160:161], v[192:193], v[190:191]
	v_add_f64_e32 v[182:183], v[182:183], v[186:187]
	s_wait_loadcnt_dscnt 0xa00
	v_mul_f64_e32 v[186:187], v[142:143], v[140:141]
	v_mul_f64_e32 v[140:141], v[144:145], v[140:141]
	v_fmac_f64_e32 v[188:189], v[6:7], v[150:151]
	v_fma_f64 v[190:191], v[4:5], v[150:151], -v[152:153]
	ds_load_b128 v[4:7], v2 offset:1536
	ds_load_b128 v[150:153], v2 offset:1552
	v_add_f64_e32 v[192:193], v[160:161], v[158:159]
	v_add_f64_e32 v[182:183], v[182:183], v[184:185]
	scratch_load_b128 v[158:161], off, off offset:800
	s_wait_loadcnt_dscnt 0xa01
	v_mul_f64_e32 v[184:185], v[4:5], v[164:165]
	v_mul_f64_e32 v[164:165], v[6:7], v[164:165]
	v_fmac_f64_e32 v[186:187], v[144:145], v[138:139]
	v_fma_f64 v[142:143], v[142:143], v[138:139], -v[140:141]
	scratch_load_b128 v[138:141], off, off offset:816
	v_add_f64_e32 v[144:145], v[192:193], v[190:191]
	v_add_f64_e32 v[182:183], v[182:183], v[188:189]
	s_wait_loadcnt_dscnt 0xa00
	v_mul_f64_e32 v[188:189], v[150:151], v[148:149]
	v_mul_f64_e32 v[148:149], v[152:153], v[148:149]
	v_fmac_f64_e32 v[184:185], v[6:7], v[162:163]
	v_fma_f64 v[190:191], v[4:5], v[162:163], -v[164:165]
	v_add_f64_e32 v[192:193], v[144:145], v[142:143]
	v_add_f64_e32 v[182:183], v[182:183], v[186:187]
	ds_load_b128 v[4:7], v2 offset:1568
	ds_load_b128 v[142:145], v2 offset:1584
	scratch_load_b128 v[162:165], off, off offset:832
	v_fmac_f64_e32 v[188:189], v[152:153], v[146:147]
	v_fma_f64 v[150:151], v[150:151], v[146:147], -v[148:149]
	scratch_load_b128 v[146:149], off, off offset:848
	s_wait_loadcnt_dscnt 0xb01
	v_mul_f64_e32 v[186:187], v[4:5], v[180:181]
	v_mul_f64_e32 v[180:181], v[6:7], v[180:181]
	v_add_f64_e32 v[152:153], v[192:193], v[190:191]
	v_add_f64_e32 v[182:183], v[182:183], v[184:185]
	s_wait_loadcnt_dscnt 0xa00
	v_mul_f64_e32 v[184:185], v[142:143], v[10:11]
	v_mul_f64_e32 v[10:11], v[144:145], v[10:11]
	v_fmac_f64_e32 v[186:187], v[6:7], v[178:179]
	v_fma_f64 v[190:191], v[4:5], v[178:179], -v[180:181]
	v_add_f64_e32 v[192:193], v[152:153], v[150:151]
	v_add_f64_e32 v[182:183], v[182:183], v[188:189]
	ds_load_b128 v[4:7], v2 offset:1600
	ds_load_b128 v[150:153], v2 offset:1616
	scratch_load_b128 v[178:181], off, off offset:864
	v_fmac_f64_e32 v[184:185], v[144:145], v[8:9]
	v_fma_f64 v[142:143], v[142:143], v[8:9], -v[10:11]
	scratch_load_b128 v[8:11], off, off offset:880
	s_wait_loadcnt_dscnt 0xb01
	v_mul_f64_e32 v[188:189], v[4:5], v[168:169]
	v_mul_f64_e32 v[168:169], v[6:7], v[168:169]
	v_add_f64_e32 v[144:145], v[192:193], v[190:191]
	v_add_f64_e32 v[182:183], v[182:183], v[186:187]
	s_wait_loadcnt_dscnt 0xa00
	v_mul_f64_e32 v[186:187], v[150:151], v[132:133]
	v_mul_f64_e32 v[132:133], v[152:153], v[132:133]
	v_fmac_f64_e32 v[188:189], v[6:7], v[166:167]
	v_fma_f64 v[166:167], v[4:5], v[166:167], -v[168:169]
	v_add_f64_e32 v[168:169], v[144:145], v[142:143]
	v_add_f64_e32 v[182:183], v[182:183], v[184:185]
	ds_load_b128 v[4:7], v2 offset:1632
	ds_load_b128 v[142:145], v2 offset:1648
	v_fmac_f64_e32 v[186:187], v[152:153], v[130:131]
	v_fma_f64 v[130:131], v[150:151], v[130:131], -v[132:133]
	s_wait_loadcnt_dscnt 0x901
	v_mul_f64_e32 v[184:185], v[4:5], v[176:177]
	v_mul_f64_e32 v[176:177], v[6:7], v[176:177]
	s_wait_loadcnt_dscnt 0x800
	v_mul_f64_e32 v[152:153], v[142:143], v[128:129]
	v_add_f64_e32 v[132:133], v[168:169], v[166:167]
	v_add_f64_e32 v[150:151], v[182:183], v[188:189]
	v_mul_f64_e32 v[166:167], v[144:145], v[128:129]
	v_fmac_f64_e32 v[184:185], v[6:7], v[174:175]
	v_fma_f64 v[168:169], v[4:5], v[174:175], -v[176:177]
	v_fmac_f64_e32 v[152:153], v[144:145], v[126:127]
	v_add_f64_e32 v[132:133], v[132:133], v[130:131]
	v_add_f64_e32 v[150:151], v[150:151], v[186:187]
	ds_load_b128 v[4:7], v2 offset:1664
	ds_load_b128 v[128:131], v2 offset:1680
	v_fma_f64 v[126:127], v[142:143], v[126:127], -v[166:167]
	s_wait_loadcnt_dscnt 0x701
	v_mul_f64_e32 v[174:175], v[4:5], v[156:157]
	v_mul_f64_e32 v[156:157], v[6:7], v[156:157]
	v_add_f64_e32 v[132:133], v[132:133], v[168:169]
	v_add_f64_e32 v[142:143], v[150:151], v[184:185]
	s_wait_loadcnt_dscnt 0x600
	v_mul_f64_e32 v[150:151], v[128:129], v[136:137]
	v_mul_f64_e32 v[136:137], v[130:131], v[136:137]
	v_fmac_f64_e32 v[174:175], v[6:7], v[154:155]
	v_fma_f64 v[154:155], v[4:5], v[154:155], -v[156:157]
	v_add_f64_e32 v[126:127], v[132:133], v[126:127]
	v_add_f64_e32 v[132:133], v[142:143], v[152:153]
	ds_load_b128 v[4:7], v2 offset:1696
	ds_load_b128 v[142:145], v2 offset:1712
	v_fmac_f64_e32 v[150:151], v[130:131], v[134:135]
	v_fma_f64 v[128:129], v[128:129], v[134:135], -v[136:137]
	s_wait_loadcnt_dscnt 0x501
	v_mul_f64_e32 v[152:153], v[4:5], v[160:161]
	v_mul_f64_e32 v[156:157], v[6:7], v[160:161]
	s_wait_loadcnt_dscnt 0x400
	v_mul_f64_e32 v[134:135], v[144:145], v[140:141]
	v_add_f64_e32 v[126:127], v[126:127], v[154:155]
	v_add_f64_e32 v[130:131], v[132:133], v[174:175]
	v_mul_f64_e32 v[132:133], v[142:143], v[140:141]
	v_fmac_f64_e32 v[152:153], v[6:7], v[158:159]
	v_fma_f64 v[136:137], v[4:5], v[158:159], -v[156:157]
	v_fma_f64 v[134:135], v[142:143], v[138:139], -v[134:135]
	v_add_f64_e32 v[140:141], v[126:127], v[128:129]
	v_add_f64_e32 v[130:131], v[130:131], v[150:151]
	ds_load_b128 v[4:7], v2 offset:1728
	ds_load_b128 v[126:129], v2 offset:1744
	v_fmac_f64_e32 v[132:133], v[144:145], v[138:139]
	s_wait_loadcnt_dscnt 0x301
	v_mul_f64_e32 v[150:151], v[4:5], v[164:165]
	v_mul_f64_e32 v[154:155], v[6:7], v[164:165]
	s_wait_loadcnt_dscnt 0x200
	v_mul_f64_e32 v[138:139], v[126:127], v[148:149]
	v_add_f64_e32 v[136:137], v[140:141], v[136:137]
	v_add_f64_e32 v[130:131], v[130:131], v[152:153]
	v_mul_f64_e32 v[140:141], v[128:129], v[148:149]
	v_fmac_f64_e32 v[150:151], v[6:7], v[162:163]
	v_fma_f64 v[142:143], v[4:5], v[162:163], -v[154:155]
	v_fmac_f64_e32 v[138:139], v[128:129], v[146:147]
	v_add_f64_e32 v[134:135], v[136:137], v[134:135]
	v_add_f64_e32 v[136:137], v[130:131], v[132:133]
	ds_load_b128 v[4:7], v2 offset:1760
	ds_load_b128 v[130:133], v2 offset:1776
	v_fma_f64 v[126:127], v[126:127], v[146:147], -v[140:141]
	s_wait_loadcnt_dscnt 0x101
	v_mul_f64_e32 v[2:3], v[4:5], v[180:181]
	v_mul_f64_e32 v[144:145], v[6:7], v[180:181]
	v_add_f64_e32 v[128:129], v[134:135], v[142:143]
	v_add_f64_e32 v[134:135], v[136:137], v[150:151]
	s_wait_loadcnt_dscnt 0x0
	v_mul_f64_e32 v[136:137], v[130:131], v[10:11]
	v_mul_f64_e32 v[10:11], v[132:133], v[10:11]
	v_fmac_f64_e32 v[2:3], v[6:7], v[178:179]
	v_fma_f64 v[4:5], v[4:5], v[178:179], -v[144:145]
	v_add_f64_e32 v[6:7], v[128:129], v[126:127]
	v_add_f64_e32 v[126:127], v[134:135], v[138:139]
	v_fmac_f64_e32 v[136:137], v[132:133], v[8:9]
	v_fma_f64 v[8:9], v[130:131], v[8:9], -v[10:11]
	s_delay_alu instid0(VALU_DEP_4) | instskip(NEXT) | instid1(VALU_DEP_4)
	v_add_f64_e32 v[4:5], v[6:7], v[4:5]
	v_add_f64_e32 v[2:3], v[126:127], v[2:3]
	s_delay_alu instid0(VALU_DEP_2) | instskip(NEXT) | instid1(VALU_DEP_2)
	v_add_f64_e32 v[4:5], v[4:5], v[8:9]
	v_add_f64_e32 v[6:7], v[2:3], v[136:137]
	s_delay_alu instid0(VALU_DEP_2) | instskip(NEXT) | instid1(VALU_DEP_2)
	v_add_f64_e64 v[2:3], v[170:171], -v[4:5]
	v_add_f64_e64 v[4:5], v[172:173], -v[6:7]
	scratch_store_b128 off, v[2:5], off offset:272
	s_wait_xcnt 0x0
	v_cmpx_lt_u32_e32 16, v1
	s_cbranch_execz .LBB119_317
; %bb.316:
	scratch_load_b128 v[2:5], off, s56
	v_mov_b32_e32 v6, 0
	s_delay_alu instid0(VALU_DEP_1)
	v_dual_mov_b32 v7, v6 :: v_dual_mov_b32 v8, v6
	v_mov_b32_e32 v9, v6
	scratch_store_b128 off, v[6:9], off offset:256
	s_wait_loadcnt 0x0
	ds_store_b128 v12, v[2:5]
.LBB119_317:
	s_wait_xcnt 0x0
	s_or_b32 exec_lo, exec_lo, s2
	s_wait_storecnt_dscnt 0x0
	s_barrier_signal -1
	s_barrier_wait -1
	s_clause 0x9
	scratch_load_b128 v[4:7], off, off offset:272
	scratch_load_b128 v[8:11], off, off offset:288
	scratch_load_b128 v[126:129], off, off offset:304
	scratch_load_b128 v[130:133], off, off offset:320
	scratch_load_b128 v[134:137], off, off offset:336
	scratch_load_b128 v[138:141], off, off offset:352
	scratch_load_b128 v[142:145], off, off offset:368
	scratch_load_b128 v[146:149], off, off offset:384
	scratch_load_b128 v[150:153], off, off offset:400
	scratch_load_b128 v[154:157], off, off offset:416
	v_mov_b32_e32 v2, 0
	s_mov_b32 s2, exec_lo
	ds_load_b128 v[158:161], v2 offset:1168
	s_clause 0x2
	scratch_load_b128 v[162:165], off, off offset:432
	scratch_load_b128 v[166:169], off, off offset:256
	;; [unrolled: 1-line block ×3, first 2 shown]
	s_wait_loadcnt_dscnt 0xc00
	v_mul_f64_e32 v[178:179], v[160:161], v[6:7]
	v_mul_f64_e32 v[182:183], v[158:159], v[6:7]
	ds_load_b128 v[170:173], v2 offset:1184
	v_fma_f64 v[186:187], v[158:159], v[4:5], -v[178:179]
	v_fmac_f64_e32 v[182:183], v[160:161], v[4:5]
	ds_load_b128 v[4:7], v2 offset:1200
	s_wait_loadcnt_dscnt 0xb01
	v_mul_f64_e32 v[184:185], v[170:171], v[10:11]
	v_mul_f64_e32 v[10:11], v[172:173], v[10:11]
	scratch_load_b128 v[158:161], off, off offset:464
	ds_load_b128 v[178:181], v2 offset:1216
	s_wait_loadcnt_dscnt 0xb01
	v_mul_f64_e32 v[188:189], v[4:5], v[128:129]
	v_mul_f64_e32 v[128:129], v[6:7], v[128:129]
	v_add_f64_e32 v[182:183], 0, v[182:183]
	v_fmac_f64_e32 v[184:185], v[172:173], v[8:9]
	v_fma_f64 v[170:171], v[170:171], v[8:9], -v[10:11]
	v_add_f64_e32 v[172:173], 0, v[186:187]
	scratch_load_b128 v[8:11], off, off offset:480
	v_fmac_f64_e32 v[188:189], v[6:7], v[126:127]
	v_fma_f64 v[190:191], v[4:5], v[126:127], -v[128:129]
	ds_load_b128 v[4:7], v2 offset:1232
	s_wait_loadcnt_dscnt 0xb01
	v_mul_f64_e32 v[186:187], v[178:179], v[132:133]
	v_mul_f64_e32 v[132:133], v[180:181], v[132:133]
	scratch_load_b128 v[126:129], off, off offset:496
	v_add_f64_e32 v[182:183], v[182:183], v[184:185]
	v_add_f64_e32 v[192:193], v[172:173], v[170:171]
	ds_load_b128 v[170:173], v2 offset:1248
	s_wait_loadcnt_dscnt 0xb01
	v_mul_f64_e32 v[184:185], v[4:5], v[136:137]
	v_mul_f64_e32 v[136:137], v[6:7], v[136:137]
	v_fmac_f64_e32 v[186:187], v[180:181], v[130:131]
	v_fma_f64 v[178:179], v[178:179], v[130:131], -v[132:133]
	scratch_load_b128 v[130:133], off, off offset:512
	v_add_f64_e32 v[182:183], v[182:183], v[188:189]
	v_add_f64_e32 v[180:181], v[192:193], v[190:191]
	v_fmac_f64_e32 v[184:185], v[6:7], v[134:135]
	v_fma_f64 v[190:191], v[4:5], v[134:135], -v[136:137]
	ds_load_b128 v[4:7], v2 offset:1264
	s_wait_loadcnt_dscnt 0xb01
	v_mul_f64_e32 v[188:189], v[170:171], v[140:141]
	v_mul_f64_e32 v[140:141], v[172:173], v[140:141]
	scratch_load_b128 v[134:137], off, off offset:528
	v_add_f64_e32 v[182:183], v[182:183], v[186:187]
	s_wait_loadcnt_dscnt 0xb00
	v_mul_f64_e32 v[186:187], v[4:5], v[144:145]
	v_add_f64_e32 v[192:193], v[180:181], v[178:179]
	v_mul_f64_e32 v[144:145], v[6:7], v[144:145]
	ds_load_b128 v[178:181], v2 offset:1280
	v_fmac_f64_e32 v[188:189], v[172:173], v[138:139]
	v_fma_f64 v[170:171], v[170:171], v[138:139], -v[140:141]
	scratch_load_b128 v[138:141], off, off offset:544
	v_add_f64_e32 v[182:183], v[182:183], v[184:185]
	v_fmac_f64_e32 v[186:187], v[6:7], v[142:143]
	v_add_f64_e32 v[172:173], v[192:193], v[190:191]
	v_fma_f64 v[190:191], v[4:5], v[142:143], -v[144:145]
	ds_load_b128 v[4:7], v2 offset:1296
	s_wait_loadcnt_dscnt 0xb01
	v_mul_f64_e32 v[184:185], v[178:179], v[148:149]
	v_mul_f64_e32 v[148:149], v[180:181], v[148:149]
	scratch_load_b128 v[142:145], off, off offset:560
	v_add_f64_e32 v[182:183], v[182:183], v[188:189]
	s_wait_loadcnt_dscnt 0xb00
	v_mul_f64_e32 v[188:189], v[4:5], v[152:153]
	v_add_f64_e32 v[192:193], v[172:173], v[170:171]
	v_mul_f64_e32 v[152:153], v[6:7], v[152:153]
	ds_load_b128 v[170:173], v2 offset:1312
	v_fmac_f64_e32 v[184:185], v[180:181], v[146:147]
	v_fma_f64 v[178:179], v[178:179], v[146:147], -v[148:149]
	scratch_load_b128 v[146:149], off, off offset:576
	v_add_f64_e32 v[182:183], v[182:183], v[186:187]
	v_fmac_f64_e32 v[188:189], v[6:7], v[150:151]
	v_add_f64_e32 v[180:181], v[192:193], v[190:191]
	;; [unrolled: 18-line block ×3, first 2 shown]
	v_fma_f64 v[190:191], v[4:5], v[162:163], -v[164:165]
	ds_load_b128 v[4:7], v2 offset:1360
	s_wait_loadcnt_dscnt 0xa01
	v_mul_f64_e32 v[188:189], v[178:179], v[176:177]
	v_mul_f64_e32 v[176:177], v[180:181], v[176:177]
	scratch_load_b128 v[162:165], off, off offset:624
	v_add_f64_e32 v[182:183], v[182:183], v[186:187]
	v_add_f64_e32 v[192:193], v[172:173], v[170:171]
	s_wait_loadcnt_dscnt 0xa00
	v_mul_f64_e32 v[186:187], v[4:5], v[160:161]
	v_mul_f64_e32 v[160:161], v[6:7], v[160:161]
	v_fmac_f64_e32 v[188:189], v[180:181], v[174:175]
	v_fma_f64 v[178:179], v[178:179], v[174:175], -v[176:177]
	ds_load_b128 v[170:173], v2 offset:1376
	scratch_load_b128 v[174:177], off, off offset:640
	v_add_f64_e32 v[182:183], v[182:183], v[184:185]
	v_add_f64_e32 v[180:181], v[192:193], v[190:191]
	v_fmac_f64_e32 v[186:187], v[6:7], v[158:159]
	v_fma_f64 v[190:191], v[4:5], v[158:159], -v[160:161]
	ds_load_b128 v[4:7], v2 offset:1392
	s_wait_loadcnt_dscnt 0xa01
	v_mul_f64_e32 v[184:185], v[170:171], v[10:11]
	v_mul_f64_e32 v[10:11], v[172:173], v[10:11]
	scratch_load_b128 v[158:161], off, off offset:656
	v_add_f64_e32 v[182:183], v[182:183], v[188:189]
	s_wait_loadcnt_dscnt 0xa00
	v_mul_f64_e32 v[188:189], v[4:5], v[128:129]
	v_add_f64_e32 v[192:193], v[180:181], v[178:179]
	v_mul_f64_e32 v[128:129], v[6:7], v[128:129]
	ds_load_b128 v[178:181], v2 offset:1408
	v_fmac_f64_e32 v[184:185], v[172:173], v[8:9]
	v_fma_f64 v[170:171], v[170:171], v[8:9], -v[10:11]
	scratch_load_b128 v[8:11], off, off offset:672
	v_add_f64_e32 v[182:183], v[182:183], v[186:187]
	v_fmac_f64_e32 v[188:189], v[6:7], v[126:127]
	v_add_f64_e32 v[172:173], v[192:193], v[190:191]
	v_fma_f64 v[190:191], v[4:5], v[126:127], -v[128:129]
	ds_load_b128 v[4:7], v2 offset:1424
	s_wait_loadcnt_dscnt 0xa01
	v_mul_f64_e32 v[186:187], v[178:179], v[132:133]
	v_mul_f64_e32 v[132:133], v[180:181], v[132:133]
	scratch_load_b128 v[126:129], off, off offset:688
	v_add_f64_e32 v[182:183], v[182:183], v[184:185]
	s_wait_loadcnt_dscnt 0xa00
	v_mul_f64_e32 v[184:185], v[4:5], v[136:137]
	v_add_f64_e32 v[192:193], v[172:173], v[170:171]
	v_mul_f64_e32 v[136:137], v[6:7], v[136:137]
	ds_load_b128 v[170:173], v2 offset:1440
	v_fmac_f64_e32 v[186:187], v[180:181], v[130:131]
	v_fma_f64 v[178:179], v[178:179], v[130:131], -v[132:133]
	scratch_load_b128 v[130:133], off, off offset:704
	v_add_f64_e32 v[182:183], v[182:183], v[188:189]
	v_fmac_f64_e32 v[184:185], v[6:7], v[134:135]
	v_add_f64_e32 v[180:181], v[192:193], v[190:191]
	;; [unrolled: 18-line block ×7, first 2 shown]
	v_fma_f64 v[190:191], v[4:5], v[126:127], -v[128:129]
	ds_load_b128 v[4:7], v2 offset:1616
	s_wait_loadcnt_dscnt 0xa01
	v_mul_f64_e32 v[186:187], v[178:179], v[132:133]
	v_mul_f64_e32 v[132:133], v[180:181], v[132:133]
	scratch_load_b128 v[126:129], off, off offset:880
	v_add_f64_e32 v[182:183], v[182:183], v[184:185]
	s_wait_loadcnt_dscnt 0xa00
	v_mul_f64_e32 v[184:185], v[4:5], v[136:137]
	v_add_f64_e32 v[192:193], v[172:173], v[170:171]
	v_mul_f64_e32 v[136:137], v[6:7], v[136:137]
	ds_load_b128 v[170:173], v2 offset:1632
	v_fmac_f64_e32 v[186:187], v[180:181], v[130:131]
	v_fma_f64 v[130:131], v[178:179], v[130:131], -v[132:133]
	s_wait_loadcnt_dscnt 0x900
	v_mul_f64_e32 v[180:181], v[170:171], v[140:141]
	v_mul_f64_e32 v[140:141], v[172:173], v[140:141]
	v_add_f64_e32 v[178:179], v[182:183], v[188:189]
	v_fmac_f64_e32 v[184:185], v[6:7], v[134:135]
	v_add_f64_e32 v[132:133], v[192:193], v[190:191]
	v_fma_f64 v[134:135], v[4:5], v[134:135], -v[136:137]
	v_fmac_f64_e32 v[180:181], v[172:173], v[138:139]
	v_fma_f64 v[138:139], v[170:171], v[138:139], -v[140:141]
	v_add_f64_e32 v[178:179], v[178:179], v[186:187]
	v_add_f64_e32 v[136:137], v[132:133], v[130:131]
	ds_load_b128 v[4:7], v2 offset:1648
	ds_load_b128 v[130:133], v2 offset:1664
	s_wait_loadcnt_dscnt 0x801
	v_mul_f64_e32 v[182:183], v[4:5], v[144:145]
	v_mul_f64_e32 v[144:145], v[6:7], v[144:145]
	s_wait_loadcnt_dscnt 0x700
	v_mul_f64_e32 v[140:141], v[130:131], v[148:149]
	v_mul_f64_e32 v[148:149], v[132:133], v[148:149]
	v_add_f64_e32 v[134:135], v[136:137], v[134:135]
	v_add_f64_e32 v[136:137], v[178:179], v[184:185]
	v_fmac_f64_e32 v[182:183], v[6:7], v[142:143]
	v_fma_f64 v[142:143], v[4:5], v[142:143], -v[144:145]
	v_fmac_f64_e32 v[140:141], v[132:133], v[146:147]
	v_fma_f64 v[130:131], v[130:131], v[146:147], -v[148:149]
	v_add_f64_e32 v[138:139], v[134:135], v[138:139]
	v_add_f64_e32 v[144:145], v[136:137], v[180:181]
	ds_load_b128 v[4:7], v2 offset:1680
	ds_load_b128 v[134:137], v2 offset:1696
	s_wait_loadcnt_dscnt 0x601
	v_mul_f64_e32 v[170:171], v[4:5], v[152:153]
	v_mul_f64_e32 v[152:153], v[6:7], v[152:153]
	v_add_f64_e32 v[132:133], v[138:139], v[142:143]
	v_add_f64_e32 v[138:139], v[144:145], v[182:183]
	s_wait_loadcnt_dscnt 0x500
	v_mul_f64_e32 v[142:143], v[134:135], v[156:157]
	v_mul_f64_e32 v[144:145], v[136:137], v[156:157]
	v_fmac_f64_e32 v[170:171], v[6:7], v[150:151]
	v_fma_f64 v[146:147], v[4:5], v[150:151], -v[152:153]
	v_add_f64_e32 v[148:149], v[132:133], v[130:131]
	v_add_f64_e32 v[138:139], v[138:139], v[140:141]
	ds_load_b128 v[4:7], v2 offset:1712
	ds_load_b128 v[130:133], v2 offset:1728
	v_fmac_f64_e32 v[142:143], v[136:137], v[154:155]
	v_fma_f64 v[134:135], v[134:135], v[154:155], -v[144:145]
	s_wait_loadcnt_dscnt 0x401
	v_mul_f64_e32 v[140:141], v[4:5], v[164:165]
	v_mul_f64_e32 v[150:151], v[6:7], v[164:165]
	s_wait_loadcnt_dscnt 0x300
	v_mul_f64_e32 v[144:145], v[130:131], v[176:177]
	v_add_f64_e32 v[136:137], v[148:149], v[146:147]
	v_add_f64_e32 v[138:139], v[138:139], v[170:171]
	v_mul_f64_e32 v[146:147], v[132:133], v[176:177]
	v_fmac_f64_e32 v[140:141], v[6:7], v[162:163]
	v_fma_f64 v[148:149], v[4:5], v[162:163], -v[150:151]
	v_fmac_f64_e32 v[144:145], v[132:133], v[174:175]
	v_add_f64_e32 v[150:151], v[136:137], v[134:135]
	v_add_f64_e32 v[138:139], v[138:139], v[142:143]
	ds_load_b128 v[4:7], v2 offset:1744
	ds_load_b128 v[134:137], v2 offset:1760
	v_fma_f64 v[130:131], v[130:131], v[174:175], -v[146:147]
	s_wait_loadcnt_dscnt 0x201
	v_mul_f64_e32 v[142:143], v[4:5], v[160:161]
	v_mul_f64_e32 v[152:153], v[6:7], v[160:161]
	v_add_f64_e32 v[132:133], v[150:151], v[148:149]
	v_add_f64_e32 v[138:139], v[138:139], v[140:141]
	s_wait_loadcnt_dscnt 0x100
	v_mul_f64_e32 v[140:141], v[134:135], v[10:11]
	v_mul_f64_e32 v[10:11], v[136:137], v[10:11]
	v_fmac_f64_e32 v[142:143], v[6:7], v[158:159]
	v_fma_f64 v[146:147], v[4:5], v[158:159], -v[152:153]
	ds_load_b128 v[4:7], v2 offset:1776
	v_add_f64_e32 v[130:131], v[132:133], v[130:131]
	v_add_f64_e32 v[132:133], v[138:139], v[144:145]
	v_fmac_f64_e32 v[140:141], v[136:137], v[8:9]
	v_fma_f64 v[8:9], v[134:135], v[8:9], -v[10:11]
	s_wait_loadcnt_dscnt 0x0
	v_mul_f64_e32 v[138:139], v[4:5], v[128:129]
	v_mul_f64_e32 v[128:129], v[6:7], v[128:129]
	v_add_f64_e32 v[10:11], v[130:131], v[146:147]
	v_add_f64_e32 v[130:131], v[132:133], v[142:143]
	s_delay_alu instid0(VALU_DEP_4) | instskip(NEXT) | instid1(VALU_DEP_4)
	v_fmac_f64_e32 v[138:139], v[6:7], v[126:127]
	v_fma_f64 v[4:5], v[4:5], v[126:127], -v[128:129]
	s_delay_alu instid0(VALU_DEP_4) | instskip(NEXT) | instid1(VALU_DEP_4)
	v_add_f64_e32 v[6:7], v[10:11], v[8:9]
	v_add_f64_e32 v[8:9], v[130:131], v[140:141]
	s_delay_alu instid0(VALU_DEP_2) | instskip(NEXT) | instid1(VALU_DEP_2)
	v_add_f64_e32 v[4:5], v[6:7], v[4:5]
	v_add_f64_e32 v[6:7], v[8:9], v[138:139]
	s_delay_alu instid0(VALU_DEP_2) | instskip(NEXT) | instid1(VALU_DEP_2)
	v_add_f64_e64 v[4:5], v[166:167], -v[4:5]
	v_add_f64_e64 v[6:7], v[168:169], -v[6:7]
	scratch_store_b128 off, v[4:7], off offset:256
	s_wait_xcnt 0x0
	v_cmpx_lt_u32_e32 15, v1
	s_cbranch_execz .LBB119_319
; %bb.318:
	scratch_load_b128 v[6:9], off, s57
	v_dual_mov_b32 v3, v2 :: v_dual_mov_b32 v4, v2
	v_mov_b32_e32 v5, v2
	scratch_store_b128 off, v[2:5], off offset:240
	s_wait_loadcnt 0x0
	ds_store_b128 v12, v[6:9]
.LBB119_319:
	s_wait_xcnt 0x0
	s_or_b32 exec_lo, exec_lo, s2
	s_wait_storecnt_dscnt 0x0
	s_barrier_signal -1
	s_barrier_wait -1
	s_clause 0x9
	scratch_load_b128 v[4:7], off, off offset:256
	scratch_load_b128 v[8:11], off, off offset:272
	;; [unrolled: 1-line block ×10, first 2 shown]
	ds_load_b128 v[158:161], v2 offset:1152
	ds_load_b128 v[166:169], v2 offset:1168
	s_clause 0x2
	scratch_load_b128 v[162:165], off, off offset:416
	scratch_load_b128 v[170:173], off, off offset:240
	scratch_load_b128 v[174:177], off, off offset:432
	s_mov_b32 s2, exec_lo
	s_wait_loadcnt_dscnt 0xc01
	v_mul_f64_e32 v[178:179], v[160:161], v[6:7]
	v_mul_f64_e32 v[182:183], v[158:159], v[6:7]
	s_wait_loadcnt_dscnt 0xb00
	v_mul_f64_e32 v[184:185], v[166:167], v[10:11]
	v_mul_f64_e32 v[10:11], v[168:169], v[10:11]
	s_delay_alu instid0(VALU_DEP_4) | instskip(NEXT) | instid1(VALU_DEP_4)
	v_fma_f64 v[186:187], v[158:159], v[4:5], -v[178:179]
	v_fmac_f64_e32 v[182:183], v[160:161], v[4:5]
	ds_load_b128 v[4:7], v2 offset:1184
	ds_load_b128 v[158:161], v2 offset:1200
	scratch_load_b128 v[178:181], off, off offset:448
	v_fmac_f64_e32 v[184:185], v[168:169], v[8:9]
	v_fma_f64 v[166:167], v[166:167], v[8:9], -v[10:11]
	scratch_load_b128 v[8:11], off, off offset:464
	s_wait_loadcnt_dscnt 0xc01
	v_mul_f64_e32 v[188:189], v[4:5], v[128:129]
	v_mul_f64_e32 v[128:129], v[6:7], v[128:129]
	v_add_f64_e32 v[168:169], 0, v[186:187]
	v_add_f64_e32 v[182:183], 0, v[182:183]
	s_wait_loadcnt_dscnt 0xb00
	v_mul_f64_e32 v[186:187], v[158:159], v[132:133]
	v_mul_f64_e32 v[132:133], v[160:161], v[132:133]
	v_fmac_f64_e32 v[188:189], v[6:7], v[126:127]
	v_fma_f64 v[190:191], v[4:5], v[126:127], -v[128:129]
	ds_load_b128 v[4:7], v2 offset:1216
	ds_load_b128 v[126:129], v2 offset:1232
	v_add_f64_e32 v[192:193], v[168:169], v[166:167]
	v_add_f64_e32 v[182:183], v[182:183], v[184:185]
	scratch_load_b128 v[166:169], off, off offset:480
	v_fmac_f64_e32 v[186:187], v[160:161], v[130:131]
	v_fma_f64 v[158:159], v[158:159], v[130:131], -v[132:133]
	scratch_load_b128 v[130:133], off, off offset:496
	s_wait_loadcnt_dscnt 0xc01
	v_mul_f64_e32 v[184:185], v[4:5], v[136:137]
	v_mul_f64_e32 v[136:137], v[6:7], v[136:137]
	v_add_f64_e32 v[160:161], v[192:193], v[190:191]
	v_add_f64_e32 v[182:183], v[182:183], v[188:189]
	s_wait_loadcnt_dscnt 0xb00
	v_mul_f64_e32 v[188:189], v[126:127], v[140:141]
	v_mul_f64_e32 v[140:141], v[128:129], v[140:141]
	v_fmac_f64_e32 v[184:185], v[6:7], v[134:135]
	v_fma_f64 v[190:191], v[4:5], v[134:135], -v[136:137]
	ds_load_b128 v[4:7], v2 offset:1248
	ds_load_b128 v[134:137], v2 offset:1264
	v_add_f64_e32 v[192:193], v[160:161], v[158:159]
	v_add_f64_e32 v[182:183], v[182:183], v[186:187]
	scratch_load_b128 v[158:161], off, off offset:512
	s_wait_loadcnt_dscnt 0xb01
	v_mul_f64_e32 v[186:187], v[4:5], v[144:145]
	v_mul_f64_e32 v[144:145], v[6:7], v[144:145]
	v_fmac_f64_e32 v[188:189], v[128:129], v[138:139]
	v_fma_f64 v[138:139], v[126:127], v[138:139], -v[140:141]
	scratch_load_b128 v[126:129], off, off offset:528
	v_add_f64_e32 v[140:141], v[192:193], v[190:191]
	v_add_f64_e32 v[182:183], v[182:183], v[184:185]
	s_wait_loadcnt_dscnt 0xb00
	v_mul_f64_e32 v[184:185], v[134:135], v[148:149]
	v_mul_f64_e32 v[148:149], v[136:137], v[148:149]
	v_fmac_f64_e32 v[186:187], v[6:7], v[142:143]
	v_fma_f64 v[190:191], v[4:5], v[142:143], -v[144:145]
	v_add_f64_e32 v[192:193], v[140:141], v[138:139]
	v_add_f64_e32 v[182:183], v[182:183], v[188:189]
	ds_load_b128 v[4:7], v2 offset:1280
	ds_load_b128 v[138:141], v2 offset:1296
	scratch_load_b128 v[142:145], off, off offset:544
	v_fmac_f64_e32 v[184:185], v[136:137], v[146:147]
	v_fma_f64 v[146:147], v[134:135], v[146:147], -v[148:149]
	scratch_load_b128 v[134:137], off, off offset:560
	s_wait_loadcnt_dscnt 0xc01
	v_mul_f64_e32 v[188:189], v[4:5], v[152:153]
	v_mul_f64_e32 v[152:153], v[6:7], v[152:153]
	v_add_f64_e32 v[148:149], v[192:193], v[190:191]
	v_add_f64_e32 v[182:183], v[182:183], v[186:187]
	s_wait_loadcnt_dscnt 0xb00
	v_mul_f64_e32 v[186:187], v[138:139], v[156:157]
	v_mul_f64_e32 v[156:157], v[140:141], v[156:157]
	v_fmac_f64_e32 v[188:189], v[6:7], v[150:151]
	v_fma_f64 v[190:191], v[4:5], v[150:151], -v[152:153]
	v_add_f64_e32 v[192:193], v[148:149], v[146:147]
	v_add_f64_e32 v[182:183], v[182:183], v[184:185]
	ds_load_b128 v[4:7], v2 offset:1312
	ds_load_b128 v[146:149], v2 offset:1328
	scratch_load_b128 v[150:153], off, off offset:576
	v_fmac_f64_e32 v[186:187], v[140:141], v[154:155]
	v_fma_f64 v[154:155], v[138:139], v[154:155], -v[156:157]
	scratch_load_b128 v[138:141], off, off offset:592
	s_wait_loadcnt_dscnt 0xc01
	v_mul_f64_e32 v[184:185], v[4:5], v[164:165]
	v_mul_f64_e32 v[164:165], v[6:7], v[164:165]
	v_add_f64_e32 v[156:157], v[192:193], v[190:191]
	v_add_f64_e32 v[182:183], v[182:183], v[188:189]
	s_wait_loadcnt_dscnt 0xa00
	v_mul_f64_e32 v[188:189], v[146:147], v[176:177]
	v_mul_f64_e32 v[176:177], v[148:149], v[176:177]
	v_fmac_f64_e32 v[184:185], v[6:7], v[162:163]
	v_fma_f64 v[190:191], v[4:5], v[162:163], -v[164:165]
	v_add_f64_e32 v[192:193], v[156:157], v[154:155]
	v_add_f64_e32 v[182:183], v[182:183], v[186:187]
	ds_load_b128 v[4:7], v2 offset:1344
	ds_load_b128 v[154:157], v2 offset:1360
	scratch_load_b128 v[162:165], off, off offset:608
	v_fmac_f64_e32 v[188:189], v[148:149], v[174:175]
	v_fma_f64 v[174:175], v[146:147], v[174:175], -v[176:177]
	scratch_load_b128 v[146:149], off, off offset:624
	s_wait_loadcnt_dscnt 0xb01
	v_mul_f64_e32 v[186:187], v[4:5], v[180:181]
	v_mul_f64_e32 v[180:181], v[6:7], v[180:181]
	v_add_f64_e32 v[176:177], v[192:193], v[190:191]
	v_add_f64_e32 v[182:183], v[182:183], v[184:185]
	s_wait_loadcnt_dscnt 0xa00
	v_mul_f64_e32 v[184:185], v[154:155], v[10:11]
	v_mul_f64_e32 v[10:11], v[156:157], v[10:11]
	v_fmac_f64_e32 v[186:187], v[6:7], v[178:179]
	v_fma_f64 v[190:191], v[4:5], v[178:179], -v[180:181]
	v_add_f64_e32 v[192:193], v[176:177], v[174:175]
	v_add_f64_e32 v[182:183], v[182:183], v[188:189]
	ds_load_b128 v[4:7], v2 offset:1376
	ds_load_b128 v[174:177], v2 offset:1392
	scratch_load_b128 v[178:181], off, off offset:640
	v_fmac_f64_e32 v[184:185], v[156:157], v[8:9]
	v_fma_f64 v[154:155], v[154:155], v[8:9], -v[10:11]
	scratch_load_b128 v[8:11], off, off offset:656
	s_wait_loadcnt_dscnt 0xb01
	v_mul_f64_e32 v[188:189], v[4:5], v[168:169]
	v_mul_f64_e32 v[168:169], v[6:7], v[168:169]
	v_add_f64_e32 v[156:157], v[192:193], v[190:191]
	v_add_f64_e32 v[182:183], v[182:183], v[186:187]
	s_wait_loadcnt_dscnt 0xa00
	v_mul_f64_e32 v[186:187], v[174:175], v[132:133]
	v_mul_f64_e32 v[132:133], v[176:177], v[132:133]
	v_fmac_f64_e32 v[188:189], v[6:7], v[166:167]
	v_fma_f64 v[190:191], v[4:5], v[166:167], -v[168:169]
	v_add_f64_e32 v[192:193], v[156:157], v[154:155]
	v_add_f64_e32 v[182:183], v[182:183], v[184:185]
	ds_load_b128 v[4:7], v2 offset:1408
	ds_load_b128 v[154:157], v2 offset:1424
	scratch_load_b128 v[166:169], off, off offset:672
	v_fmac_f64_e32 v[186:187], v[176:177], v[130:131]
	v_fma_f64 v[174:175], v[174:175], v[130:131], -v[132:133]
	scratch_load_b128 v[130:133], off, off offset:688
	s_wait_loadcnt_dscnt 0xb01
	v_mul_f64_e32 v[184:185], v[4:5], v[160:161]
	v_mul_f64_e32 v[160:161], v[6:7], v[160:161]
	v_add_f64_e32 v[176:177], v[192:193], v[190:191]
	v_add_f64_e32 v[182:183], v[182:183], v[188:189]
	s_wait_loadcnt_dscnt 0xa00
	v_mul_f64_e32 v[188:189], v[154:155], v[128:129]
	v_mul_f64_e32 v[128:129], v[156:157], v[128:129]
	v_fmac_f64_e32 v[184:185], v[6:7], v[158:159]
	v_fma_f64 v[190:191], v[4:5], v[158:159], -v[160:161]
	ds_load_b128 v[4:7], v2 offset:1440
	ds_load_b128 v[158:161], v2 offset:1456
	v_add_f64_e32 v[192:193], v[176:177], v[174:175]
	v_add_f64_e32 v[182:183], v[182:183], v[186:187]
	scratch_load_b128 v[174:177], off, off offset:704
	v_fmac_f64_e32 v[188:189], v[156:157], v[126:127]
	v_fma_f64 v[154:155], v[154:155], v[126:127], -v[128:129]
	scratch_load_b128 v[126:129], off, off offset:720
	s_wait_loadcnt_dscnt 0xb01
	v_mul_f64_e32 v[186:187], v[4:5], v[144:145]
	v_mul_f64_e32 v[144:145], v[6:7], v[144:145]
	v_add_f64_e32 v[156:157], v[192:193], v[190:191]
	v_add_f64_e32 v[182:183], v[182:183], v[184:185]
	s_wait_loadcnt_dscnt 0xa00
	v_mul_f64_e32 v[184:185], v[158:159], v[136:137]
	v_mul_f64_e32 v[136:137], v[160:161], v[136:137]
	v_fmac_f64_e32 v[186:187], v[6:7], v[142:143]
	v_fma_f64 v[190:191], v[4:5], v[142:143], -v[144:145]
	ds_load_b128 v[4:7], v2 offset:1472
	ds_load_b128 v[142:145], v2 offset:1488
	v_add_f64_e32 v[192:193], v[156:157], v[154:155]
	v_add_f64_e32 v[182:183], v[182:183], v[188:189]
	scratch_load_b128 v[154:157], off, off offset:736
	s_wait_loadcnt_dscnt 0xa01
	v_mul_f64_e32 v[188:189], v[4:5], v[152:153]
	v_mul_f64_e32 v[152:153], v[6:7], v[152:153]
	v_fmac_f64_e32 v[184:185], v[160:161], v[134:135]
	v_fma_f64 v[158:159], v[158:159], v[134:135], -v[136:137]
	scratch_load_b128 v[134:137], off, off offset:752
	v_add_f64_e32 v[160:161], v[192:193], v[190:191]
	v_add_f64_e32 v[182:183], v[182:183], v[186:187]
	s_wait_loadcnt_dscnt 0xa00
	v_mul_f64_e32 v[186:187], v[142:143], v[140:141]
	v_mul_f64_e32 v[140:141], v[144:145], v[140:141]
	v_fmac_f64_e32 v[188:189], v[6:7], v[150:151]
	v_fma_f64 v[190:191], v[4:5], v[150:151], -v[152:153]
	ds_load_b128 v[4:7], v2 offset:1504
	ds_load_b128 v[150:153], v2 offset:1520
	v_add_f64_e32 v[192:193], v[160:161], v[158:159]
	v_add_f64_e32 v[182:183], v[182:183], v[184:185]
	scratch_load_b128 v[158:161], off, off offset:768
	s_wait_loadcnt_dscnt 0xa01
	v_mul_f64_e32 v[184:185], v[4:5], v[164:165]
	v_mul_f64_e32 v[164:165], v[6:7], v[164:165]
	v_fmac_f64_e32 v[186:187], v[144:145], v[138:139]
	v_fma_f64 v[142:143], v[142:143], v[138:139], -v[140:141]
	scratch_load_b128 v[138:141], off, off offset:784
	v_add_f64_e32 v[144:145], v[192:193], v[190:191]
	v_add_f64_e32 v[182:183], v[182:183], v[188:189]
	s_wait_loadcnt_dscnt 0xa00
	v_mul_f64_e32 v[188:189], v[150:151], v[148:149]
	v_mul_f64_e32 v[148:149], v[152:153], v[148:149]
	v_fmac_f64_e32 v[184:185], v[6:7], v[162:163]
	v_fma_f64 v[190:191], v[4:5], v[162:163], -v[164:165]
	v_add_f64_e32 v[192:193], v[144:145], v[142:143]
	v_add_f64_e32 v[182:183], v[182:183], v[186:187]
	ds_load_b128 v[4:7], v2 offset:1536
	ds_load_b128 v[142:145], v2 offset:1552
	scratch_load_b128 v[162:165], off, off offset:800
	v_fmac_f64_e32 v[188:189], v[152:153], v[146:147]
	v_fma_f64 v[150:151], v[150:151], v[146:147], -v[148:149]
	scratch_load_b128 v[146:149], off, off offset:816
	s_wait_loadcnt_dscnt 0xb01
	v_mul_f64_e32 v[186:187], v[4:5], v[180:181]
	v_mul_f64_e32 v[180:181], v[6:7], v[180:181]
	v_add_f64_e32 v[152:153], v[192:193], v[190:191]
	v_add_f64_e32 v[182:183], v[182:183], v[184:185]
	s_wait_loadcnt_dscnt 0xa00
	v_mul_f64_e32 v[184:185], v[142:143], v[10:11]
	v_mul_f64_e32 v[10:11], v[144:145], v[10:11]
	v_fmac_f64_e32 v[186:187], v[6:7], v[178:179]
	v_fma_f64 v[190:191], v[4:5], v[178:179], -v[180:181]
	v_add_f64_e32 v[192:193], v[152:153], v[150:151]
	v_add_f64_e32 v[182:183], v[182:183], v[188:189]
	ds_load_b128 v[4:7], v2 offset:1568
	ds_load_b128 v[150:153], v2 offset:1584
	scratch_load_b128 v[178:181], off, off offset:832
	v_fmac_f64_e32 v[184:185], v[144:145], v[8:9]
	v_fma_f64 v[142:143], v[142:143], v[8:9], -v[10:11]
	scratch_load_b128 v[8:11], off, off offset:848
	s_wait_loadcnt_dscnt 0xb01
	v_mul_f64_e32 v[188:189], v[4:5], v[168:169]
	v_mul_f64_e32 v[168:169], v[6:7], v[168:169]
	;; [unrolled: 18-line block ×3, first 2 shown]
	v_add_f64_e32 v[152:153], v[192:193], v[190:191]
	v_add_f64_e32 v[182:183], v[182:183], v[188:189]
	s_wait_loadcnt_dscnt 0xa00
	v_mul_f64_e32 v[188:189], v[142:143], v[128:129]
	v_mul_f64_e32 v[128:129], v[144:145], v[128:129]
	v_fmac_f64_e32 v[184:185], v[6:7], v[174:175]
	v_fma_f64 v[174:175], v[4:5], v[174:175], -v[176:177]
	v_add_f64_e32 v[176:177], v[152:153], v[150:151]
	v_add_f64_e32 v[182:183], v[182:183], v[186:187]
	ds_load_b128 v[4:7], v2 offset:1632
	ds_load_b128 v[150:153], v2 offset:1648
	v_fmac_f64_e32 v[188:189], v[144:145], v[126:127]
	v_fma_f64 v[126:127], v[142:143], v[126:127], -v[128:129]
	s_wait_loadcnt_dscnt 0x901
	v_mul_f64_e32 v[186:187], v[4:5], v[156:157]
	v_mul_f64_e32 v[156:157], v[6:7], v[156:157]
	s_wait_loadcnt_dscnt 0x800
	v_mul_f64_e32 v[144:145], v[150:151], v[136:137]
	v_mul_f64_e32 v[136:137], v[152:153], v[136:137]
	v_add_f64_e32 v[128:129], v[176:177], v[174:175]
	v_add_f64_e32 v[142:143], v[182:183], v[184:185]
	v_fmac_f64_e32 v[186:187], v[6:7], v[154:155]
	v_fma_f64 v[154:155], v[4:5], v[154:155], -v[156:157]
	v_fmac_f64_e32 v[144:145], v[152:153], v[134:135]
	v_fma_f64 v[134:135], v[150:151], v[134:135], -v[136:137]
	v_add_f64_e32 v[156:157], v[128:129], v[126:127]
	v_add_f64_e32 v[142:143], v[142:143], v[188:189]
	ds_load_b128 v[4:7], v2 offset:1664
	ds_load_b128 v[126:129], v2 offset:1680
	s_wait_loadcnt_dscnt 0x701
	v_mul_f64_e32 v[174:175], v[4:5], v[160:161]
	v_mul_f64_e32 v[160:161], v[6:7], v[160:161]
	s_wait_loadcnt_dscnt 0x600
	v_mul_f64_e32 v[150:151], v[126:127], v[140:141]
	v_mul_f64_e32 v[140:141], v[128:129], v[140:141]
	v_add_f64_e32 v[136:137], v[156:157], v[154:155]
	v_add_f64_e32 v[142:143], v[142:143], v[186:187]
	v_fmac_f64_e32 v[174:175], v[6:7], v[158:159]
	v_fma_f64 v[152:153], v[4:5], v[158:159], -v[160:161]
	v_fmac_f64_e32 v[150:151], v[128:129], v[138:139]
	v_fma_f64 v[126:127], v[126:127], v[138:139], -v[140:141]
	v_add_f64_e32 v[154:155], v[136:137], v[134:135]
	v_add_f64_e32 v[142:143], v[142:143], v[144:145]
	ds_load_b128 v[4:7], v2 offset:1696
	ds_load_b128 v[134:137], v2 offset:1712
	s_wait_loadcnt_dscnt 0x501
	v_mul_f64_e32 v[144:145], v[4:5], v[164:165]
	v_mul_f64_e32 v[156:157], v[6:7], v[164:165]
	s_wait_loadcnt_dscnt 0x400
	v_mul_f64_e32 v[140:141], v[134:135], v[148:149]
	v_add_f64_e32 v[128:129], v[154:155], v[152:153]
	v_add_f64_e32 v[138:139], v[142:143], v[174:175]
	v_mul_f64_e32 v[142:143], v[136:137], v[148:149]
	v_fmac_f64_e32 v[144:145], v[6:7], v[162:163]
	v_fma_f64 v[148:149], v[4:5], v[162:163], -v[156:157]
	v_fmac_f64_e32 v[140:141], v[136:137], v[146:147]
	v_add_f64_e32 v[152:153], v[128:129], v[126:127]
	v_add_f64_e32 v[138:139], v[138:139], v[150:151]
	ds_load_b128 v[4:7], v2 offset:1728
	ds_load_b128 v[126:129], v2 offset:1744
	v_fma_f64 v[134:135], v[134:135], v[146:147], -v[142:143]
	s_wait_loadcnt_dscnt 0x301
	v_mul_f64_e32 v[150:151], v[4:5], v[180:181]
	v_mul_f64_e32 v[154:155], v[6:7], v[180:181]
	s_wait_loadcnt_dscnt 0x200
	v_mul_f64_e32 v[142:143], v[126:127], v[10:11]
	v_mul_f64_e32 v[10:11], v[128:129], v[10:11]
	v_add_f64_e32 v[136:137], v[152:153], v[148:149]
	v_add_f64_e32 v[138:139], v[138:139], v[144:145]
	v_fmac_f64_e32 v[150:151], v[6:7], v[178:179]
	v_fma_f64 v[144:145], v[4:5], v[178:179], -v[154:155]
	v_fmac_f64_e32 v[142:143], v[128:129], v[8:9]
	v_fma_f64 v[8:9], v[126:127], v[8:9], -v[10:11]
	v_add_f64_e32 v[146:147], v[136:137], v[134:135]
	v_add_f64_e32 v[138:139], v[138:139], v[140:141]
	ds_load_b128 v[4:7], v2 offset:1760
	ds_load_b128 v[134:137], v2 offset:1776
	s_wait_loadcnt_dscnt 0x101
	v_mul_f64_e32 v[2:3], v[4:5], v[168:169]
	v_mul_f64_e32 v[140:141], v[6:7], v[168:169]
	s_wait_loadcnt_dscnt 0x0
	v_mul_f64_e32 v[128:129], v[134:135], v[132:133]
	v_mul_f64_e32 v[132:133], v[136:137], v[132:133]
	v_add_f64_e32 v[10:11], v[146:147], v[144:145]
	v_add_f64_e32 v[126:127], v[138:139], v[150:151]
	v_fmac_f64_e32 v[2:3], v[6:7], v[166:167]
	v_fma_f64 v[4:5], v[4:5], v[166:167], -v[140:141]
	v_fmac_f64_e32 v[128:129], v[136:137], v[130:131]
	v_add_f64_e32 v[6:7], v[10:11], v[8:9]
	v_add_f64_e32 v[8:9], v[126:127], v[142:143]
	v_fma_f64 v[10:11], v[134:135], v[130:131], -v[132:133]
	s_delay_alu instid0(VALU_DEP_3) | instskip(NEXT) | instid1(VALU_DEP_3)
	v_add_f64_e32 v[4:5], v[6:7], v[4:5]
	v_add_f64_e32 v[2:3], v[8:9], v[2:3]
	s_delay_alu instid0(VALU_DEP_2) | instskip(NEXT) | instid1(VALU_DEP_2)
	v_add_f64_e32 v[4:5], v[4:5], v[10:11]
	v_add_f64_e32 v[6:7], v[2:3], v[128:129]
	s_delay_alu instid0(VALU_DEP_2) | instskip(NEXT) | instid1(VALU_DEP_2)
	v_add_f64_e64 v[2:3], v[170:171], -v[4:5]
	v_add_f64_e64 v[4:5], v[172:173], -v[6:7]
	scratch_store_b128 off, v[2:5], off offset:240
	s_wait_xcnt 0x0
	v_cmpx_lt_u32_e32 14, v1
	s_cbranch_execz .LBB119_321
; %bb.320:
	scratch_load_b128 v[2:5], off, s58
	v_mov_b32_e32 v6, 0
	s_delay_alu instid0(VALU_DEP_1)
	v_dual_mov_b32 v7, v6 :: v_dual_mov_b32 v8, v6
	v_mov_b32_e32 v9, v6
	scratch_store_b128 off, v[6:9], off offset:224
	s_wait_loadcnt 0x0
	ds_store_b128 v12, v[2:5]
.LBB119_321:
	s_wait_xcnt 0x0
	s_or_b32 exec_lo, exec_lo, s2
	s_wait_storecnt_dscnt 0x0
	s_barrier_signal -1
	s_barrier_wait -1
	s_clause 0x9
	scratch_load_b128 v[4:7], off, off offset:240
	scratch_load_b128 v[8:11], off, off offset:256
	;; [unrolled: 1-line block ×10, first 2 shown]
	v_mov_b32_e32 v2, 0
	s_mov_b32 s2, exec_lo
	ds_load_b128 v[158:161], v2 offset:1136
	s_clause 0x2
	scratch_load_b128 v[162:165], off, off offset:400
	scratch_load_b128 v[166:169], off, off offset:224
	;; [unrolled: 1-line block ×3, first 2 shown]
	s_wait_loadcnt_dscnt 0xc00
	v_mul_f64_e32 v[178:179], v[160:161], v[6:7]
	v_mul_f64_e32 v[182:183], v[158:159], v[6:7]
	ds_load_b128 v[170:173], v2 offset:1152
	v_fma_f64 v[186:187], v[158:159], v[4:5], -v[178:179]
	v_fmac_f64_e32 v[182:183], v[160:161], v[4:5]
	ds_load_b128 v[4:7], v2 offset:1168
	s_wait_loadcnt_dscnt 0xb01
	v_mul_f64_e32 v[184:185], v[170:171], v[10:11]
	v_mul_f64_e32 v[10:11], v[172:173], v[10:11]
	scratch_load_b128 v[158:161], off, off offset:432
	ds_load_b128 v[178:181], v2 offset:1184
	s_wait_loadcnt_dscnt 0xb01
	v_mul_f64_e32 v[188:189], v[4:5], v[128:129]
	v_mul_f64_e32 v[128:129], v[6:7], v[128:129]
	v_add_f64_e32 v[182:183], 0, v[182:183]
	v_fmac_f64_e32 v[184:185], v[172:173], v[8:9]
	v_fma_f64 v[170:171], v[170:171], v[8:9], -v[10:11]
	v_add_f64_e32 v[172:173], 0, v[186:187]
	scratch_load_b128 v[8:11], off, off offset:448
	v_fmac_f64_e32 v[188:189], v[6:7], v[126:127]
	v_fma_f64 v[190:191], v[4:5], v[126:127], -v[128:129]
	ds_load_b128 v[4:7], v2 offset:1200
	s_wait_loadcnt_dscnt 0xb01
	v_mul_f64_e32 v[186:187], v[178:179], v[132:133]
	v_mul_f64_e32 v[132:133], v[180:181], v[132:133]
	scratch_load_b128 v[126:129], off, off offset:464
	v_add_f64_e32 v[182:183], v[182:183], v[184:185]
	v_add_f64_e32 v[192:193], v[172:173], v[170:171]
	ds_load_b128 v[170:173], v2 offset:1216
	s_wait_loadcnt_dscnt 0xb01
	v_mul_f64_e32 v[184:185], v[4:5], v[136:137]
	v_mul_f64_e32 v[136:137], v[6:7], v[136:137]
	v_fmac_f64_e32 v[186:187], v[180:181], v[130:131]
	v_fma_f64 v[178:179], v[178:179], v[130:131], -v[132:133]
	scratch_load_b128 v[130:133], off, off offset:480
	v_add_f64_e32 v[182:183], v[182:183], v[188:189]
	v_add_f64_e32 v[180:181], v[192:193], v[190:191]
	v_fmac_f64_e32 v[184:185], v[6:7], v[134:135]
	v_fma_f64 v[190:191], v[4:5], v[134:135], -v[136:137]
	ds_load_b128 v[4:7], v2 offset:1232
	s_wait_loadcnt_dscnt 0xb01
	v_mul_f64_e32 v[188:189], v[170:171], v[140:141]
	v_mul_f64_e32 v[140:141], v[172:173], v[140:141]
	scratch_load_b128 v[134:137], off, off offset:496
	v_add_f64_e32 v[182:183], v[182:183], v[186:187]
	s_wait_loadcnt_dscnt 0xb00
	v_mul_f64_e32 v[186:187], v[4:5], v[144:145]
	v_add_f64_e32 v[192:193], v[180:181], v[178:179]
	v_mul_f64_e32 v[144:145], v[6:7], v[144:145]
	ds_load_b128 v[178:181], v2 offset:1248
	v_fmac_f64_e32 v[188:189], v[172:173], v[138:139]
	v_fma_f64 v[170:171], v[170:171], v[138:139], -v[140:141]
	scratch_load_b128 v[138:141], off, off offset:512
	v_add_f64_e32 v[182:183], v[182:183], v[184:185]
	v_fmac_f64_e32 v[186:187], v[6:7], v[142:143]
	v_add_f64_e32 v[172:173], v[192:193], v[190:191]
	v_fma_f64 v[190:191], v[4:5], v[142:143], -v[144:145]
	ds_load_b128 v[4:7], v2 offset:1264
	s_wait_loadcnt_dscnt 0xb01
	v_mul_f64_e32 v[184:185], v[178:179], v[148:149]
	v_mul_f64_e32 v[148:149], v[180:181], v[148:149]
	scratch_load_b128 v[142:145], off, off offset:528
	v_add_f64_e32 v[182:183], v[182:183], v[188:189]
	s_wait_loadcnt_dscnt 0xb00
	v_mul_f64_e32 v[188:189], v[4:5], v[152:153]
	v_add_f64_e32 v[192:193], v[172:173], v[170:171]
	v_mul_f64_e32 v[152:153], v[6:7], v[152:153]
	ds_load_b128 v[170:173], v2 offset:1280
	v_fmac_f64_e32 v[184:185], v[180:181], v[146:147]
	v_fma_f64 v[178:179], v[178:179], v[146:147], -v[148:149]
	scratch_load_b128 v[146:149], off, off offset:544
	v_add_f64_e32 v[182:183], v[182:183], v[186:187]
	v_fmac_f64_e32 v[188:189], v[6:7], v[150:151]
	v_add_f64_e32 v[180:181], v[192:193], v[190:191]
	;; [unrolled: 18-line block ×3, first 2 shown]
	v_fma_f64 v[190:191], v[4:5], v[162:163], -v[164:165]
	ds_load_b128 v[4:7], v2 offset:1328
	s_wait_loadcnt_dscnt 0xa01
	v_mul_f64_e32 v[188:189], v[178:179], v[176:177]
	v_mul_f64_e32 v[176:177], v[180:181], v[176:177]
	scratch_load_b128 v[162:165], off, off offset:592
	v_add_f64_e32 v[182:183], v[182:183], v[186:187]
	v_add_f64_e32 v[192:193], v[172:173], v[170:171]
	s_wait_loadcnt_dscnt 0xa00
	v_mul_f64_e32 v[186:187], v[4:5], v[160:161]
	v_mul_f64_e32 v[160:161], v[6:7], v[160:161]
	v_fmac_f64_e32 v[188:189], v[180:181], v[174:175]
	v_fma_f64 v[178:179], v[178:179], v[174:175], -v[176:177]
	ds_load_b128 v[170:173], v2 offset:1344
	scratch_load_b128 v[174:177], off, off offset:608
	v_add_f64_e32 v[182:183], v[182:183], v[184:185]
	v_add_f64_e32 v[180:181], v[192:193], v[190:191]
	v_fmac_f64_e32 v[186:187], v[6:7], v[158:159]
	v_fma_f64 v[190:191], v[4:5], v[158:159], -v[160:161]
	ds_load_b128 v[4:7], v2 offset:1360
	s_wait_loadcnt_dscnt 0xa01
	v_mul_f64_e32 v[184:185], v[170:171], v[10:11]
	v_mul_f64_e32 v[10:11], v[172:173], v[10:11]
	scratch_load_b128 v[158:161], off, off offset:624
	v_add_f64_e32 v[182:183], v[182:183], v[188:189]
	s_wait_loadcnt_dscnt 0xa00
	v_mul_f64_e32 v[188:189], v[4:5], v[128:129]
	v_add_f64_e32 v[192:193], v[180:181], v[178:179]
	v_mul_f64_e32 v[128:129], v[6:7], v[128:129]
	ds_load_b128 v[178:181], v2 offset:1376
	v_fmac_f64_e32 v[184:185], v[172:173], v[8:9]
	v_fma_f64 v[170:171], v[170:171], v[8:9], -v[10:11]
	scratch_load_b128 v[8:11], off, off offset:640
	v_add_f64_e32 v[182:183], v[182:183], v[186:187]
	v_fmac_f64_e32 v[188:189], v[6:7], v[126:127]
	v_add_f64_e32 v[172:173], v[192:193], v[190:191]
	v_fma_f64 v[190:191], v[4:5], v[126:127], -v[128:129]
	ds_load_b128 v[4:7], v2 offset:1392
	s_wait_loadcnt_dscnt 0xa01
	v_mul_f64_e32 v[186:187], v[178:179], v[132:133]
	v_mul_f64_e32 v[132:133], v[180:181], v[132:133]
	scratch_load_b128 v[126:129], off, off offset:656
	v_add_f64_e32 v[182:183], v[182:183], v[184:185]
	s_wait_loadcnt_dscnt 0xa00
	v_mul_f64_e32 v[184:185], v[4:5], v[136:137]
	v_add_f64_e32 v[192:193], v[172:173], v[170:171]
	v_mul_f64_e32 v[136:137], v[6:7], v[136:137]
	ds_load_b128 v[170:173], v2 offset:1408
	v_fmac_f64_e32 v[186:187], v[180:181], v[130:131]
	v_fma_f64 v[178:179], v[178:179], v[130:131], -v[132:133]
	scratch_load_b128 v[130:133], off, off offset:672
	v_add_f64_e32 v[182:183], v[182:183], v[188:189]
	v_fmac_f64_e32 v[184:185], v[6:7], v[134:135]
	v_add_f64_e32 v[180:181], v[192:193], v[190:191]
	;; [unrolled: 18-line block ×8, first 2 shown]
	v_fma_f64 v[190:191], v[4:5], v[134:135], -v[136:137]
	ds_load_b128 v[4:7], v2 offset:1616
	s_wait_loadcnt_dscnt 0xa01
	v_mul_f64_e32 v[188:189], v[170:171], v[140:141]
	v_mul_f64_e32 v[140:141], v[172:173], v[140:141]
	scratch_load_b128 v[134:137], off, off offset:880
	v_add_f64_e32 v[182:183], v[182:183], v[186:187]
	s_wait_loadcnt_dscnt 0xa00
	v_mul_f64_e32 v[186:187], v[4:5], v[144:145]
	v_add_f64_e32 v[192:193], v[180:181], v[178:179]
	v_mul_f64_e32 v[144:145], v[6:7], v[144:145]
	ds_load_b128 v[178:181], v2 offset:1632
	v_fmac_f64_e32 v[188:189], v[172:173], v[138:139]
	v_fma_f64 v[138:139], v[170:171], v[138:139], -v[140:141]
	s_wait_loadcnt_dscnt 0x900
	v_mul_f64_e32 v[172:173], v[178:179], v[148:149]
	v_mul_f64_e32 v[148:149], v[180:181], v[148:149]
	v_add_f64_e32 v[170:171], v[182:183], v[184:185]
	v_fmac_f64_e32 v[186:187], v[6:7], v[142:143]
	v_add_f64_e32 v[140:141], v[192:193], v[190:191]
	v_fma_f64 v[142:143], v[4:5], v[142:143], -v[144:145]
	v_fmac_f64_e32 v[172:173], v[180:181], v[146:147]
	v_fma_f64 v[146:147], v[178:179], v[146:147], -v[148:149]
	v_add_f64_e32 v[170:171], v[170:171], v[188:189]
	v_add_f64_e32 v[144:145], v[140:141], v[138:139]
	ds_load_b128 v[4:7], v2 offset:1648
	ds_load_b128 v[138:141], v2 offset:1664
	s_wait_loadcnt_dscnt 0x801
	v_mul_f64_e32 v[182:183], v[4:5], v[152:153]
	v_mul_f64_e32 v[152:153], v[6:7], v[152:153]
	s_wait_loadcnt_dscnt 0x700
	v_mul_f64_e32 v[148:149], v[138:139], v[156:157]
	v_mul_f64_e32 v[156:157], v[140:141], v[156:157]
	v_add_f64_e32 v[142:143], v[144:145], v[142:143]
	v_add_f64_e32 v[144:145], v[170:171], v[186:187]
	v_fmac_f64_e32 v[182:183], v[6:7], v[150:151]
	v_fma_f64 v[150:151], v[4:5], v[150:151], -v[152:153]
	v_fmac_f64_e32 v[148:149], v[140:141], v[154:155]
	v_fma_f64 v[138:139], v[138:139], v[154:155], -v[156:157]
	v_add_f64_e32 v[146:147], v[142:143], v[146:147]
	v_add_f64_e32 v[152:153], v[144:145], v[172:173]
	ds_load_b128 v[4:7], v2 offset:1680
	ds_load_b128 v[142:145], v2 offset:1696
	s_wait_loadcnt_dscnt 0x601
	v_mul_f64_e32 v[170:171], v[4:5], v[164:165]
	v_mul_f64_e32 v[164:165], v[6:7], v[164:165]
	v_add_f64_e32 v[140:141], v[146:147], v[150:151]
	v_add_f64_e32 v[146:147], v[152:153], v[182:183]
	s_wait_loadcnt_dscnt 0x500
	v_mul_f64_e32 v[150:151], v[142:143], v[176:177]
	v_mul_f64_e32 v[152:153], v[144:145], v[176:177]
	v_fmac_f64_e32 v[170:171], v[6:7], v[162:163]
	v_fma_f64 v[154:155], v[4:5], v[162:163], -v[164:165]
	v_add_f64_e32 v[156:157], v[140:141], v[138:139]
	v_add_f64_e32 v[146:147], v[146:147], v[148:149]
	ds_load_b128 v[4:7], v2 offset:1712
	ds_load_b128 v[138:141], v2 offset:1728
	v_fmac_f64_e32 v[150:151], v[144:145], v[174:175]
	v_fma_f64 v[142:143], v[142:143], v[174:175], -v[152:153]
	s_wait_loadcnt_dscnt 0x401
	v_mul_f64_e32 v[148:149], v[4:5], v[160:161]
	v_mul_f64_e32 v[160:161], v[6:7], v[160:161]
	s_wait_loadcnt_dscnt 0x300
	v_mul_f64_e32 v[152:153], v[138:139], v[10:11]
	v_mul_f64_e32 v[10:11], v[140:141], v[10:11]
	v_add_f64_e32 v[144:145], v[156:157], v[154:155]
	v_add_f64_e32 v[146:147], v[146:147], v[170:171]
	v_fmac_f64_e32 v[148:149], v[6:7], v[158:159]
	v_fma_f64 v[154:155], v[4:5], v[158:159], -v[160:161]
	v_fmac_f64_e32 v[152:153], v[140:141], v[8:9]
	v_fma_f64 v[8:9], v[138:139], v[8:9], -v[10:11]
	v_add_f64_e32 v[156:157], v[144:145], v[142:143]
	v_add_f64_e32 v[146:147], v[146:147], v[150:151]
	ds_load_b128 v[4:7], v2 offset:1744
	ds_load_b128 v[142:145], v2 offset:1760
	s_wait_loadcnt_dscnt 0x201
	v_mul_f64_e32 v[150:151], v[4:5], v[128:129]
	v_mul_f64_e32 v[128:129], v[6:7], v[128:129]
	s_wait_loadcnt_dscnt 0x100
	v_mul_f64_e32 v[140:141], v[142:143], v[132:133]
	v_mul_f64_e32 v[132:133], v[144:145], v[132:133]
	v_add_f64_e32 v[10:11], v[156:157], v[154:155]
	v_add_f64_e32 v[138:139], v[146:147], v[148:149]
	v_fmac_f64_e32 v[150:151], v[6:7], v[126:127]
	v_fma_f64 v[126:127], v[4:5], v[126:127], -v[128:129]
	ds_load_b128 v[4:7], v2 offset:1776
	v_fmac_f64_e32 v[140:141], v[144:145], v[130:131]
	v_fma_f64 v[130:131], v[142:143], v[130:131], -v[132:133]
	v_add_f64_e32 v[8:9], v[10:11], v[8:9]
	v_add_f64_e32 v[10:11], v[138:139], v[152:153]
	s_wait_loadcnt_dscnt 0x0
	v_mul_f64_e32 v[128:129], v[4:5], v[136:137]
	v_mul_f64_e32 v[136:137], v[6:7], v[136:137]
	s_delay_alu instid0(VALU_DEP_4) | instskip(NEXT) | instid1(VALU_DEP_4)
	v_add_f64_e32 v[8:9], v[8:9], v[126:127]
	v_add_f64_e32 v[10:11], v[10:11], v[150:151]
	s_delay_alu instid0(VALU_DEP_4) | instskip(NEXT) | instid1(VALU_DEP_4)
	v_fmac_f64_e32 v[128:129], v[6:7], v[134:135]
	v_fma_f64 v[4:5], v[4:5], v[134:135], -v[136:137]
	s_delay_alu instid0(VALU_DEP_4) | instskip(NEXT) | instid1(VALU_DEP_4)
	v_add_f64_e32 v[6:7], v[8:9], v[130:131]
	v_add_f64_e32 v[8:9], v[10:11], v[140:141]
	s_delay_alu instid0(VALU_DEP_2) | instskip(NEXT) | instid1(VALU_DEP_2)
	v_add_f64_e32 v[4:5], v[6:7], v[4:5]
	v_add_f64_e32 v[6:7], v[8:9], v[128:129]
	s_delay_alu instid0(VALU_DEP_2) | instskip(NEXT) | instid1(VALU_DEP_2)
	v_add_f64_e64 v[4:5], v[166:167], -v[4:5]
	v_add_f64_e64 v[6:7], v[168:169], -v[6:7]
	scratch_store_b128 off, v[4:7], off offset:224
	s_wait_xcnt 0x0
	v_cmpx_lt_u32_e32 13, v1
	s_cbranch_execz .LBB119_323
; %bb.322:
	scratch_load_b128 v[6:9], off, s59
	v_dual_mov_b32 v3, v2 :: v_dual_mov_b32 v4, v2
	v_mov_b32_e32 v5, v2
	scratch_store_b128 off, v[2:5], off offset:208
	s_wait_loadcnt 0x0
	ds_store_b128 v12, v[6:9]
.LBB119_323:
	s_wait_xcnt 0x0
	s_or_b32 exec_lo, exec_lo, s2
	s_wait_storecnt_dscnt 0x0
	s_barrier_signal -1
	s_barrier_wait -1
	s_clause 0x9
	scratch_load_b128 v[4:7], off, off offset:224
	scratch_load_b128 v[8:11], off, off offset:240
	;; [unrolled: 1-line block ×10, first 2 shown]
	ds_load_b128 v[158:161], v2 offset:1120
	ds_load_b128 v[166:169], v2 offset:1136
	s_clause 0x2
	scratch_load_b128 v[162:165], off, off offset:384
	scratch_load_b128 v[170:173], off, off offset:208
	;; [unrolled: 1-line block ×3, first 2 shown]
	s_mov_b32 s2, exec_lo
	s_wait_loadcnt_dscnt 0xc01
	v_mul_f64_e32 v[178:179], v[160:161], v[6:7]
	v_mul_f64_e32 v[182:183], v[158:159], v[6:7]
	s_wait_loadcnt_dscnt 0xb00
	v_mul_f64_e32 v[184:185], v[166:167], v[10:11]
	v_mul_f64_e32 v[10:11], v[168:169], v[10:11]
	s_delay_alu instid0(VALU_DEP_4) | instskip(NEXT) | instid1(VALU_DEP_4)
	v_fma_f64 v[186:187], v[158:159], v[4:5], -v[178:179]
	v_fmac_f64_e32 v[182:183], v[160:161], v[4:5]
	ds_load_b128 v[4:7], v2 offset:1152
	ds_load_b128 v[158:161], v2 offset:1168
	scratch_load_b128 v[178:181], off, off offset:416
	v_fmac_f64_e32 v[184:185], v[168:169], v[8:9]
	v_fma_f64 v[166:167], v[166:167], v[8:9], -v[10:11]
	scratch_load_b128 v[8:11], off, off offset:432
	s_wait_loadcnt_dscnt 0xc01
	v_mul_f64_e32 v[188:189], v[4:5], v[128:129]
	v_mul_f64_e32 v[128:129], v[6:7], v[128:129]
	v_add_f64_e32 v[168:169], 0, v[186:187]
	v_add_f64_e32 v[182:183], 0, v[182:183]
	s_wait_loadcnt_dscnt 0xb00
	v_mul_f64_e32 v[186:187], v[158:159], v[132:133]
	v_mul_f64_e32 v[132:133], v[160:161], v[132:133]
	v_fmac_f64_e32 v[188:189], v[6:7], v[126:127]
	v_fma_f64 v[190:191], v[4:5], v[126:127], -v[128:129]
	ds_load_b128 v[4:7], v2 offset:1184
	ds_load_b128 v[126:129], v2 offset:1200
	v_add_f64_e32 v[192:193], v[168:169], v[166:167]
	v_add_f64_e32 v[182:183], v[182:183], v[184:185]
	scratch_load_b128 v[166:169], off, off offset:448
	v_fmac_f64_e32 v[186:187], v[160:161], v[130:131]
	v_fma_f64 v[158:159], v[158:159], v[130:131], -v[132:133]
	scratch_load_b128 v[130:133], off, off offset:464
	s_wait_loadcnt_dscnt 0xc01
	v_mul_f64_e32 v[184:185], v[4:5], v[136:137]
	v_mul_f64_e32 v[136:137], v[6:7], v[136:137]
	v_add_f64_e32 v[160:161], v[192:193], v[190:191]
	v_add_f64_e32 v[182:183], v[182:183], v[188:189]
	s_wait_loadcnt_dscnt 0xb00
	v_mul_f64_e32 v[188:189], v[126:127], v[140:141]
	v_mul_f64_e32 v[140:141], v[128:129], v[140:141]
	v_fmac_f64_e32 v[184:185], v[6:7], v[134:135]
	v_fma_f64 v[190:191], v[4:5], v[134:135], -v[136:137]
	ds_load_b128 v[4:7], v2 offset:1216
	ds_load_b128 v[134:137], v2 offset:1232
	v_add_f64_e32 v[192:193], v[160:161], v[158:159]
	v_add_f64_e32 v[182:183], v[182:183], v[186:187]
	scratch_load_b128 v[158:161], off, off offset:480
	s_wait_loadcnt_dscnt 0xb01
	v_mul_f64_e32 v[186:187], v[4:5], v[144:145]
	v_mul_f64_e32 v[144:145], v[6:7], v[144:145]
	v_fmac_f64_e32 v[188:189], v[128:129], v[138:139]
	v_fma_f64 v[138:139], v[126:127], v[138:139], -v[140:141]
	scratch_load_b128 v[126:129], off, off offset:496
	v_add_f64_e32 v[140:141], v[192:193], v[190:191]
	v_add_f64_e32 v[182:183], v[182:183], v[184:185]
	s_wait_loadcnt_dscnt 0xb00
	v_mul_f64_e32 v[184:185], v[134:135], v[148:149]
	v_mul_f64_e32 v[148:149], v[136:137], v[148:149]
	v_fmac_f64_e32 v[186:187], v[6:7], v[142:143]
	v_fma_f64 v[190:191], v[4:5], v[142:143], -v[144:145]
	v_add_f64_e32 v[192:193], v[140:141], v[138:139]
	v_add_f64_e32 v[182:183], v[182:183], v[188:189]
	ds_load_b128 v[4:7], v2 offset:1248
	ds_load_b128 v[138:141], v2 offset:1264
	scratch_load_b128 v[142:145], off, off offset:512
	v_fmac_f64_e32 v[184:185], v[136:137], v[146:147]
	v_fma_f64 v[146:147], v[134:135], v[146:147], -v[148:149]
	scratch_load_b128 v[134:137], off, off offset:528
	s_wait_loadcnt_dscnt 0xc01
	v_mul_f64_e32 v[188:189], v[4:5], v[152:153]
	v_mul_f64_e32 v[152:153], v[6:7], v[152:153]
	v_add_f64_e32 v[148:149], v[192:193], v[190:191]
	v_add_f64_e32 v[182:183], v[182:183], v[186:187]
	s_wait_loadcnt_dscnt 0xb00
	v_mul_f64_e32 v[186:187], v[138:139], v[156:157]
	v_mul_f64_e32 v[156:157], v[140:141], v[156:157]
	v_fmac_f64_e32 v[188:189], v[6:7], v[150:151]
	v_fma_f64 v[190:191], v[4:5], v[150:151], -v[152:153]
	v_add_f64_e32 v[192:193], v[148:149], v[146:147]
	v_add_f64_e32 v[182:183], v[182:183], v[184:185]
	ds_load_b128 v[4:7], v2 offset:1280
	ds_load_b128 v[146:149], v2 offset:1296
	scratch_load_b128 v[150:153], off, off offset:544
	v_fmac_f64_e32 v[186:187], v[140:141], v[154:155]
	v_fma_f64 v[154:155], v[138:139], v[154:155], -v[156:157]
	scratch_load_b128 v[138:141], off, off offset:560
	s_wait_loadcnt_dscnt 0xc01
	v_mul_f64_e32 v[184:185], v[4:5], v[164:165]
	v_mul_f64_e32 v[164:165], v[6:7], v[164:165]
	;; [unrolled: 18-line block ×5, first 2 shown]
	v_add_f64_e32 v[176:177], v[192:193], v[190:191]
	v_add_f64_e32 v[182:183], v[182:183], v[188:189]
	s_wait_loadcnt_dscnt 0xa00
	v_mul_f64_e32 v[188:189], v[154:155], v[128:129]
	v_mul_f64_e32 v[128:129], v[156:157], v[128:129]
	v_fmac_f64_e32 v[184:185], v[6:7], v[158:159]
	v_fma_f64 v[190:191], v[4:5], v[158:159], -v[160:161]
	ds_load_b128 v[4:7], v2 offset:1408
	ds_load_b128 v[158:161], v2 offset:1424
	v_add_f64_e32 v[192:193], v[176:177], v[174:175]
	v_add_f64_e32 v[182:183], v[182:183], v[186:187]
	scratch_load_b128 v[174:177], off, off offset:672
	v_fmac_f64_e32 v[188:189], v[156:157], v[126:127]
	v_fma_f64 v[154:155], v[154:155], v[126:127], -v[128:129]
	scratch_load_b128 v[126:129], off, off offset:688
	s_wait_loadcnt_dscnt 0xb01
	v_mul_f64_e32 v[186:187], v[4:5], v[144:145]
	v_mul_f64_e32 v[144:145], v[6:7], v[144:145]
	v_add_f64_e32 v[156:157], v[192:193], v[190:191]
	v_add_f64_e32 v[182:183], v[182:183], v[184:185]
	s_wait_loadcnt_dscnt 0xa00
	v_mul_f64_e32 v[184:185], v[158:159], v[136:137]
	v_mul_f64_e32 v[136:137], v[160:161], v[136:137]
	v_fmac_f64_e32 v[186:187], v[6:7], v[142:143]
	v_fma_f64 v[190:191], v[4:5], v[142:143], -v[144:145]
	ds_load_b128 v[4:7], v2 offset:1440
	ds_load_b128 v[142:145], v2 offset:1456
	v_add_f64_e32 v[192:193], v[156:157], v[154:155]
	v_add_f64_e32 v[182:183], v[182:183], v[188:189]
	scratch_load_b128 v[154:157], off, off offset:704
	s_wait_loadcnt_dscnt 0xa01
	v_mul_f64_e32 v[188:189], v[4:5], v[152:153]
	v_mul_f64_e32 v[152:153], v[6:7], v[152:153]
	v_fmac_f64_e32 v[184:185], v[160:161], v[134:135]
	v_fma_f64 v[158:159], v[158:159], v[134:135], -v[136:137]
	scratch_load_b128 v[134:137], off, off offset:720
	v_add_f64_e32 v[160:161], v[192:193], v[190:191]
	v_add_f64_e32 v[182:183], v[182:183], v[186:187]
	s_wait_loadcnt_dscnt 0xa00
	v_mul_f64_e32 v[186:187], v[142:143], v[140:141]
	v_mul_f64_e32 v[140:141], v[144:145], v[140:141]
	v_fmac_f64_e32 v[188:189], v[6:7], v[150:151]
	v_fma_f64 v[190:191], v[4:5], v[150:151], -v[152:153]
	ds_load_b128 v[4:7], v2 offset:1472
	ds_load_b128 v[150:153], v2 offset:1488
	v_add_f64_e32 v[192:193], v[160:161], v[158:159]
	v_add_f64_e32 v[182:183], v[182:183], v[184:185]
	scratch_load_b128 v[158:161], off, off offset:736
	s_wait_loadcnt_dscnt 0xa01
	v_mul_f64_e32 v[184:185], v[4:5], v[164:165]
	v_mul_f64_e32 v[164:165], v[6:7], v[164:165]
	v_fmac_f64_e32 v[186:187], v[144:145], v[138:139]
	v_fma_f64 v[142:143], v[142:143], v[138:139], -v[140:141]
	scratch_load_b128 v[138:141], off, off offset:752
	v_add_f64_e32 v[144:145], v[192:193], v[190:191]
	v_add_f64_e32 v[182:183], v[182:183], v[188:189]
	s_wait_loadcnt_dscnt 0xa00
	v_mul_f64_e32 v[188:189], v[150:151], v[148:149]
	v_mul_f64_e32 v[148:149], v[152:153], v[148:149]
	v_fmac_f64_e32 v[184:185], v[6:7], v[162:163]
	v_fma_f64 v[190:191], v[4:5], v[162:163], -v[164:165]
	v_add_f64_e32 v[192:193], v[144:145], v[142:143]
	v_add_f64_e32 v[182:183], v[182:183], v[186:187]
	ds_load_b128 v[4:7], v2 offset:1504
	ds_load_b128 v[142:145], v2 offset:1520
	scratch_load_b128 v[162:165], off, off offset:768
	v_fmac_f64_e32 v[188:189], v[152:153], v[146:147]
	v_fma_f64 v[150:151], v[150:151], v[146:147], -v[148:149]
	scratch_load_b128 v[146:149], off, off offset:784
	s_wait_loadcnt_dscnt 0xb01
	v_mul_f64_e32 v[186:187], v[4:5], v[180:181]
	v_mul_f64_e32 v[180:181], v[6:7], v[180:181]
	v_add_f64_e32 v[152:153], v[192:193], v[190:191]
	v_add_f64_e32 v[182:183], v[182:183], v[184:185]
	s_wait_loadcnt_dscnt 0xa00
	v_mul_f64_e32 v[184:185], v[142:143], v[10:11]
	v_mul_f64_e32 v[10:11], v[144:145], v[10:11]
	v_fmac_f64_e32 v[186:187], v[6:7], v[178:179]
	v_fma_f64 v[190:191], v[4:5], v[178:179], -v[180:181]
	v_add_f64_e32 v[192:193], v[152:153], v[150:151]
	v_add_f64_e32 v[182:183], v[182:183], v[188:189]
	ds_load_b128 v[4:7], v2 offset:1536
	ds_load_b128 v[150:153], v2 offset:1552
	scratch_load_b128 v[178:181], off, off offset:800
	v_fmac_f64_e32 v[184:185], v[144:145], v[8:9]
	v_fma_f64 v[142:143], v[142:143], v[8:9], -v[10:11]
	scratch_load_b128 v[8:11], off, off offset:816
	s_wait_loadcnt_dscnt 0xb01
	v_mul_f64_e32 v[188:189], v[4:5], v[168:169]
	v_mul_f64_e32 v[168:169], v[6:7], v[168:169]
	;; [unrolled: 18-line block ×4, first 2 shown]
	v_add_f64_e32 v[144:145], v[192:193], v[190:191]
	v_add_f64_e32 v[182:183], v[182:183], v[184:185]
	s_wait_loadcnt_dscnt 0xa00
	v_mul_f64_e32 v[184:185], v[150:151], v[136:137]
	v_mul_f64_e32 v[136:137], v[152:153], v[136:137]
	v_fmac_f64_e32 v[186:187], v[6:7], v[154:155]
	v_fma_f64 v[154:155], v[4:5], v[154:155], -v[156:157]
	v_add_f64_e32 v[156:157], v[144:145], v[142:143]
	v_add_f64_e32 v[182:183], v[182:183], v[188:189]
	ds_load_b128 v[4:7], v2 offset:1632
	ds_load_b128 v[142:145], v2 offset:1648
	v_fmac_f64_e32 v[184:185], v[152:153], v[134:135]
	v_fma_f64 v[134:135], v[150:151], v[134:135], -v[136:137]
	s_wait_loadcnt_dscnt 0x901
	v_mul_f64_e32 v[188:189], v[4:5], v[160:161]
	v_mul_f64_e32 v[160:161], v[6:7], v[160:161]
	s_wait_loadcnt_dscnt 0x800
	v_mul_f64_e32 v[152:153], v[142:143], v[140:141]
	v_mul_f64_e32 v[140:141], v[144:145], v[140:141]
	v_add_f64_e32 v[136:137], v[156:157], v[154:155]
	v_add_f64_e32 v[150:151], v[182:183], v[186:187]
	v_fmac_f64_e32 v[188:189], v[6:7], v[158:159]
	v_fma_f64 v[154:155], v[4:5], v[158:159], -v[160:161]
	v_fmac_f64_e32 v[152:153], v[144:145], v[138:139]
	v_fma_f64 v[138:139], v[142:143], v[138:139], -v[140:141]
	v_add_f64_e32 v[156:157], v[136:137], v[134:135]
	v_add_f64_e32 v[150:151], v[150:151], v[184:185]
	ds_load_b128 v[4:7], v2 offset:1664
	ds_load_b128 v[134:137], v2 offset:1680
	s_wait_loadcnt_dscnt 0x701
	v_mul_f64_e32 v[158:159], v[4:5], v[164:165]
	v_mul_f64_e32 v[160:161], v[6:7], v[164:165]
	s_wait_loadcnt_dscnt 0x600
	v_mul_f64_e32 v[144:145], v[134:135], v[148:149]
	v_mul_f64_e32 v[148:149], v[136:137], v[148:149]
	v_add_f64_e32 v[140:141], v[156:157], v[154:155]
	v_add_f64_e32 v[142:143], v[150:151], v[188:189]
	v_fmac_f64_e32 v[158:159], v[6:7], v[162:163]
	v_fma_f64 v[150:151], v[4:5], v[162:163], -v[160:161]
	v_fmac_f64_e32 v[144:145], v[136:137], v[146:147]
	v_fma_f64 v[134:135], v[134:135], v[146:147], -v[148:149]
	v_add_f64_e32 v[154:155], v[140:141], v[138:139]
	v_add_f64_e32 v[142:143], v[142:143], v[152:153]
	ds_load_b128 v[4:7], v2 offset:1696
	ds_load_b128 v[138:141], v2 offset:1712
	;; [unrolled: 16-line block ×4, first 2 shown]
	s_wait_loadcnt_dscnt 0x101
	v_mul_f64_e32 v[2:3], v[4:5], v[176:177]
	v_mul_f64_e32 v[146:147], v[6:7], v[176:177]
	s_wait_loadcnt_dscnt 0x0
	v_mul_f64_e32 v[136:137], v[8:9], v[128:129]
	v_mul_f64_e32 v[128:129], v[10:11], v[128:129]
	v_add_f64_e32 v[132:133], v[148:149], v[142:143]
	v_add_f64_e32 v[134:135], v[138:139], v[144:145]
	v_fmac_f64_e32 v[2:3], v[6:7], v[174:175]
	v_fma_f64 v[4:5], v[4:5], v[174:175], -v[146:147]
	v_fmac_f64_e32 v[136:137], v[10:11], v[126:127]
	v_fma_f64 v[8:9], v[8:9], v[126:127], -v[128:129]
	v_add_f64_e32 v[6:7], v[132:133], v[130:131]
	v_add_f64_e32 v[130:131], v[134:135], v[140:141]
	s_delay_alu instid0(VALU_DEP_2) | instskip(NEXT) | instid1(VALU_DEP_2)
	v_add_f64_e32 v[4:5], v[6:7], v[4:5]
	v_add_f64_e32 v[2:3], v[130:131], v[2:3]
	s_delay_alu instid0(VALU_DEP_2) | instskip(NEXT) | instid1(VALU_DEP_2)
	;; [unrolled: 3-line block ×3, first 2 shown]
	v_add_f64_e64 v[2:3], v[170:171], -v[4:5]
	v_add_f64_e64 v[4:5], v[172:173], -v[6:7]
	scratch_store_b128 off, v[2:5], off offset:208
	s_wait_xcnt 0x0
	v_cmpx_lt_u32_e32 12, v1
	s_cbranch_execz .LBB119_325
; %bb.324:
	scratch_load_b128 v[2:5], off, s60
	v_mov_b32_e32 v6, 0
	s_delay_alu instid0(VALU_DEP_1)
	v_dual_mov_b32 v7, v6 :: v_dual_mov_b32 v8, v6
	v_mov_b32_e32 v9, v6
	scratch_store_b128 off, v[6:9], off offset:192
	s_wait_loadcnt 0x0
	ds_store_b128 v12, v[2:5]
.LBB119_325:
	s_wait_xcnt 0x0
	s_or_b32 exec_lo, exec_lo, s2
	s_wait_storecnt_dscnt 0x0
	s_barrier_signal -1
	s_barrier_wait -1
	s_clause 0x9
	scratch_load_b128 v[4:7], off, off offset:208
	scratch_load_b128 v[8:11], off, off offset:224
	;; [unrolled: 1-line block ×10, first 2 shown]
	v_mov_b32_e32 v2, 0
	s_mov_b32 s2, exec_lo
	ds_load_b128 v[158:161], v2 offset:1104
	s_clause 0x2
	scratch_load_b128 v[162:165], off, off offset:368
	scratch_load_b128 v[166:169], off, off offset:192
	scratch_load_b128 v[174:177], off, off offset:384
	s_wait_loadcnt_dscnt 0xc00
	v_mul_f64_e32 v[178:179], v[160:161], v[6:7]
	v_mul_f64_e32 v[182:183], v[158:159], v[6:7]
	ds_load_b128 v[170:173], v2 offset:1120
	v_fma_f64 v[186:187], v[158:159], v[4:5], -v[178:179]
	v_fmac_f64_e32 v[182:183], v[160:161], v[4:5]
	ds_load_b128 v[4:7], v2 offset:1136
	s_wait_loadcnt_dscnt 0xb01
	v_mul_f64_e32 v[184:185], v[170:171], v[10:11]
	v_mul_f64_e32 v[10:11], v[172:173], v[10:11]
	scratch_load_b128 v[158:161], off, off offset:400
	ds_load_b128 v[178:181], v2 offset:1152
	s_wait_loadcnt_dscnt 0xb01
	v_mul_f64_e32 v[188:189], v[4:5], v[128:129]
	v_mul_f64_e32 v[128:129], v[6:7], v[128:129]
	v_add_f64_e32 v[182:183], 0, v[182:183]
	v_fmac_f64_e32 v[184:185], v[172:173], v[8:9]
	v_fma_f64 v[170:171], v[170:171], v[8:9], -v[10:11]
	v_add_f64_e32 v[172:173], 0, v[186:187]
	scratch_load_b128 v[8:11], off, off offset:416
	v_fmac_f64_e32 v[188:189], v[6:7], v[126:127]
	v_fma_f64 v[190:191], v[4:5], v[126:127], -v[128:129]
	ds_load_b128 v[4:7], v2 offset:1168
	s_wait_loadcnt_dscnt 0xb01
	v_mul_f64_e32 v[186:187], v[178:179], v[132:133]
	v_mul_f64_e32 v[132:133], v[180:181], v[132:133]
	scratch_load_b128 v[126:129], off, off offset:432
	v_add_f64_e32 v[182:183], v[182:183], v[184:185]
	v_add_f64_e32 v[192:193], v[172:173], v[170:171]
	ds_load_b128 v[170:173], v2 offset:1184
	s_wait_loadcnt_dscnt 0xb01
	v_mul_f64_e32 v[184:185], v[4:5], v[136:137]
	v_mul_f64_e32 v[136:137], v[6:7], v[136:137]
	v_fmac_f64_e32 v[186:187], v[180:181], v[130:131]
	v_fma_f64 v[178:179], v[178:179], v[130:131], -v[132:133]
	scratch_load_b128 v[130:133], off, off offset:448
	v_add_f64_e32 v[182:183], v[182:183], v[188:189]
	v_add_f64_e32 v[180:181], v[192:193], v[190:191]
	v_fmac_f64_e32 v[184:185], v[6:7], v[134:135]
	v_fma_f64 v[190:191], v[4:5], v[134:135], -v[136:137]
	ds_load_b128 v[4:7], v2 offset:1200
	s_wait_loadcnt_dscnt 0xb01
	v_mul_f64_e32 v[188:189], v[170:171], v[140:141]
	v_mul_f64_e32 v[140:141], v[172:173], v[140:141]
	scratch_load_b128 v[134:137], off, off offset:464
	v_add_f64_e32 v[182:183], v[182:183], v[186:187]
	s_wait_loadcnt_dscnt 0xb00
	v_mul_f64_e32 v[186:187], v[4:5], v[144:145]
	v_add_f64_e32 v[192:193], v[180:181], v[178:179]
	v_mul_f64_e32 v[144:145], v[6:7], v[144:145]
	ds_load_b128 v[178:181], v2 offset:1216
	v_fmac_f64_e32 v[188:189], v[172:173], v[138:139]
	v_fma_f64 v[170:171], v[170:171], v[138:139], -v[140:141]
	scratch_load_b128 v[138:141], off, off offset:480
	v_add_f64_e32 v[182:183], v[182:183], v[184:185]
	v_fmac_f64_e32 v[186:187], v[6:7], v[142:143]
	v_add_f64_e32 v[172:173], v[192:193], v[190:191]
	v_fma_f64 v[190:191], v[4:5], v[142:143], -v[144:145]
	ds_load_b128 v[4:7], v2 offset:1232
	s_wait_loadcnt_dscnt 0xb01
	v_mul_f64_e32 v[184:185], v[178:179], v[148:149]
	v_mul_f64_e32 v[148:149], v[180:181], v[148:149]
	scratch_load_b128 v[142:145], off, off offset:496
	v_add_f64_e32 v[182:183], v[182:183], v[188:189]
	s_wait_loadcnt_dscnt 0xb00
	v_mul_f64_e32 v[188:189], v[4:5], v[152:153]
	v_add_f64_e32 v[192:193], v[172:173], v[170:171]
	v_mul_f64_e32 v[152:153], v[6:7], v[152:153]
	ds_load_b128 v[170:173], v2 offset:1248
	v_fmac_f64_e32 v[184:185], v[180:181], v[146:147]
	v_fma_f64 v[178:179], v[178:179], v[146:147], -v[148:149]
	scratch_load_b128 v[146:149], off, off offset:512
	v_add_f64_e32 v[182:183], v[182:183], v[186:187]
	v_fmac_f64_e32 v[188:189], v[6:7], v[150:151]
	v_add_f64_e32 v[180:181], v[192:193], v[190:191]
	;; [unrolled: 18-line block ×3, first 2 shown]
	v_fma_f64 v[190:191], v[4:5], v[162:163], -v[164:165]
	ds_load_b128 v[4:7], v2 offset:1296
	s_wait_loadcnt_dscnt 0xa01
	v_mul_f64_e32 v[188:189], v[178:179], v[176:177]
	v_mul_f64_e32 v[176:177], v[180:181], v[176:177]
	scratch_load_b128 v[162:165], off, off offset:560
	v_add_f64_e32 v[182:183], v[182:183], v[186:187]
	v_add_f64_e32 v[192:193], v[172:173], v[170:171]
	s_wait_loadcnt_dscnt 0xa00
	v_mul_f64_e32 v[186:187], v[4:5], v[160:161]
	v_mul_f64_e32 v[160:161], v[6:7], v[160:161]
	v_fmac_f64_e32 v[188:189], v[180:181], v[174:175]
	v_fma_f64 v[178:179], v[178:179], v[174:175], -v[176:177]
	ds_load_b128 v[170:173], v2 offset:1312
	scratch_load_b128 v[174:177], off, off offset:576
	v_add_f64_e32 v[182:183], v[182:183], v[184:185]
	v_add_f64_e32 v[180:181], v[192:193], v[190:191]
	v_fmac_f64_e32 v[186:187], v[6:7], v[158:159]
	v_fma_f64 v[190:191], v[4:5], v[158:159], -v[160:161]
	ds_load_b128 v[4:7], v2 offset:1328
	s_wait_loadcnt_dscnt 0xa01
	v_mul_f64_e32 v[184:185], v[170:171], v[10:11]
	v_mul_f64_e32 v[10:11], v[172:173], v[10:11]
	scratch_load_b128 v[158:161], off, off offset:592
	v_add_f64_e32 v[182:183], v[182:183], v[188:189]
	s_wait_loadcnt_dscnt 0xa00
	v_mul_f64_e32 v[188:189], v[4:5], v[128:129]
	v_add_f64_e32 v[192:193], v[180:181], v[178:179]
	v_mul_f64_e32 v[128:129], v[6:7], v[128:129]
	ds_load_b128 v[178:181], v2 offset:1344
	v_fmac_f64_e32 v[184:185], v[172:173], v[8:9]
	v_fma_f64 v[170:171], v[170:171], v[8:9], -v[10:11]
	scratch_load_b128 v[8:11], off, off offset:608
	v_add_f64_e32 v[182:183], v[182:183], v[186:187]
	v_fmac_f64_e32 v[188:189], v[6:7], v[126:127]
	v_add_f64_e32 v[172:173], v[192:193], v[190:191]
	v_fma_f64 v[190:191], v[4:5], v[126:127], -v[128:129]
	ds_load_b128 v[4:7], v2 offset:1360
	s_wait_loadcnt_dscnt 0xa01
	v_mul_f64_e32 v[186:187], v[178:179], v[132:133]
	v_mul_f64_e32 v[132:133], v[180:181], v[132:133]
	scratch_load_b128 v[126:129], off, off offset:624
	v_add_f64_e32 v[182:183], v[182:183], v[184:185]
	s_wait_loadcnt_dscnt 0xa00
	v_mul_f64_e32 v[184:185], v[4:5], v[136:137]
	v_add_f64_e32 v[192:193], v[172:173], v[170:171]
	v_mul_f64_e32 v[136:137], v[6:7], v[136:137]
	ds_load_b128 v[170:173], v2 offset:1376
	v_fmac_f64_e32 v[186:187], v[180:181], v[130:131]
	v_fma_f64 v[178:179], v[178:179], v[130:131], -v[132:133]
	scratch_load_b128 v[130:133], off, off offset:640
	v_add_f64_e32 v[182:183], v[182:183], v[188:189]
	v_fmac_f64_e32 v[184:185], v[6:7], v[134:135]
	v_add_f64_e32 v[180:181], v[192:193], v[190:191]
	v_fma_f64 v[190:191], v[4:5], v[134:135], -v[136:137]
	ds_load_b128 v[4:7], v2 offset:1392
	s_wait_loadcnt_dscnt 0xa01
	v_mul_f64_e32 v[188:189], v[170:171], v[140:141]
	v_mul_f64_e32 v[140:141], v[172:173], v[140:141]
	scratch_load_b128 v[134:137], off, off offset:656
	v_add_f64_e32 v[182:183], v[182:183], v[186:187]
	s_wait_loadcnt_dscnt 0xa00
	v_mul_f64_e32 v[186:187], v[4:5], v[144:145]
	v_add_f64_e32 v[192:193], v[180:181], v[178:179]
	v_mul_f64_e32 v[144:145], v[6:7], v[144:145]
	ds_load_b128 v[178:181], v2 offset:1408
	v_fmac_f64_e32 v[188:189], v[172:173], v[138:139]
	v_fma_f64 v[170:171], v[170:171], v[138:139], -v[140:141]
	scratch_load_b128 v[138:141], off, off offset:672
	v_add_f64_e32 v[182:183], v[182:183], v[184:185]
	v_fmac_f64_e32 v[186:187], v[6:7], v[142:143]
	v_add_f64_e32 v[172:173], v[192:193], v[190:191]
	v_fma_f64 v[190:191], v[4:5], v[142:143], -v[144:145]
	ds_load_b128 v[4:7], v2 offset:1424
	s_wait_loadcnt_dscnt 0xa01
	v_mul_f64_e32 v[184:185], v[178:179], v[148:149]
	v_mul_f64_e32 v[148:149], v[180:181], v[148:149]
	scratch_load_b128 v[142:145], off, off offset:688
	v_add_f64_e32 v[182:183], v[182:183], v[188:189]
	s_wait_loadcnt_dscnt 0xa00
	v_mul_f64_e32 v[188:189], v[4:5], v[152:153]
	v_add_f64_e32 v[192:193], v[172:173], v[170:171]
	v_mul_f64_e32 v[152:153], v[6:7], v[152:153]
	ds_load_b128 v[170:173], v2 offset:1440
	v_fmac_f64_e32 v[184:185], v[180:181], v[146:147]
	v_fma_f64 v[178:179], v[178:179], v[146:147], -v[148:149]
	scratch_load_b128 v[146:149], off, off offset:704
	v_add_f64_e32 v[182:183], v[182:183], v[186:187]
	v_fmac_f64_e32 v[188:189], v[6:7], v[150:151]
	v_add_f64_e32 v[180:181], v[192:193], v[190:191]
	v_fma_f64 v[190:191], v[4:5], v[150:151], -v[152:153]
	ds_load_b128 v[4:7], v2 offset:1456
	s_wait_loadcnt_dscnt 0xa01
	v_mul_f64_e32 v[186:187], v[170:171], v[156:157]
	v_mul_f64_e32 v[156:157], v[172:173], v[156:157]
	scratch_load_b128 v[150:153], off, off offset:720
	v_add_f64_e32 v[182:183], v[182:183], v[184:185]
	s_wait_loadcnt_dscnt 0xa00
	v_mul_f64_e32 v[184:185], v[4:5], v[164:165]
	v_add_f64_e32 v[192:193], v[180:181], v[178:179]
	v_mul_f64_e32 v[164:165], v[6:7], v[164:165]
	ds_load_b128 v[178:181], v2 offset:1472
	v_fmac_f64_e32 v[186:187], v[172:173], v[154:155]
	v_fma_f64 v[170:171], v[170:171], v[154:155], -v[156:157]
	scratch_load_b128 v[154:157], off, off offset:736
	v_add_f64_e32 v[182:183], v[182:183], v[188:189]
	v_fmac_f64_e32 v[184:185], v[6:7], v[162:163]
	v_add_f64_e32 v[172:173], v[192:193], v[190:191]
	v_fma_f64 v[190:191], v[4:5], v[162:163], -v[164:165]
	ds_load_b128 v[4:7], v2 offset:1488
	s_wait_loadcnt_dscnt 0xa01
	v_mul_f64_e32 v[188:189], v[178:179], v[176:177]
	v_mul_f64_e32 v[176:177], v[180:181], v[176:177]
	scratch_load_b128 v[162:165], off, off offset:752
	v_add_f64_e32 v[182:183], v[182:183], v[186:187]
	s_wait_loadcnt_dscnt 0xa00
	v_mul_f64_e32 v[186:187], v[4:5], v[160:161]
	v_add_f64_e32 v[192:193], v[172:173], v[170:171]
	v_mul_f64_e32 v[160:161], v[6:7], v[160:161]
	ds_load_b128 v[170:173], v2 offset:1504
	v_fmac_f64_e32 v[188:189], v[180:181], v[174:175]
	v_fma_f64 v[178:179], v[178:179], v[174:175], -v[176:177]
	scratch_load_b128 v[174:177], off, off offset:768
	v_add_f64_e32 v[182:183], v[182:183], v[184:185]
	v_fmac_f64_e32 v[186:187], v[6:7], v[158:159]
	v_add_f64_e32 v[180:181], v[192:193], v[190:191]
	v_fma_f64 v[190:191], v[4:5], v[158:159], -v[160:161]
	ds_load_b128 v[4:7], v2 offset:1520
	s_wait_loadcnt_dscnt 0xa01
	v_mul_f64_e32 v[184:185], v[170:171], v[10:11]
	v_mul_f64_e32 v[10:11], v[172:173], v[10:11]
	scratch_load_b128 v[158:161], off, off offset:784
	v_add_f64_e32 v[182:183], v[182:183], v[188:189]
	s_wait_loadcnt_dscnt 0xa00
	v_mul_f64_e32 v[188:189], v[4:5], v[128:129]
	v_add_f64_e32 v[192:193], v[180:181], v[178:179]
	v_mul_f64_e32 v[128:129], v[6:7], v[128:129]
	ds_load_b128 v[178:181], v2 offset:1536
	v_fmac_f64_e32 v[184:185], v[172:173], v[8:9]
	v_fma_f64 v[170:171], v[170:171], v[8:9], -v[10:11]
	scratch_load_b128 v[8:11], off, off offset:800
	v_add_f64_e32 v[182:183], v[182:183], v[186:187]
	v_fmac_f64_e32 v[188:189], v[6:7], v[126:127]
	v_add_f64_e32 v[172:173], v[192:193], v[190:191]
	v_fma_f64 v[190:191], v[4:5], v[126:127], -v[128:129]
	ds_load_b128 v[4:7], v2 offset:1552
	s_wait_loadcnt_dscnt 0xa01
	v_mul_f64_e32 v[186:187], v[178:179], v[132:133]
	v_mul_f64_e32 v[132:133], v[180:181], v[132:133]
	scratch_load_b128 v[126:129], off, off offset:816
	v_add_f64_e32 v[182:183], v[182:183], v[184:185]
	s_wait_loadcnt_dscnt 0xa00
	v_mul_f64_e32 v[184:185], v[4:5], v[136:137]
	v_add_f64_e32 v[192:193], v[172:173], v[170:171]
	v_mul_f64_e32 v[136:137], v[6:7], v[136:137]
	ds_load_b128 v[170:173], v2 offset:1568
	v_fmac_f64_e32 v[186:187], v[180:181], v[130:131]
	v_fma_f64 v[178:179], v[178:179], v[130:131], -v[132:133]
	scratch_load_b128 v[130:133], off, off offset:832
	v_add_f64_e32 v[182:183], v[182:183], v[188:189]
	v_fmac_f64_e32 v[184:185], v[6:7], v[134:135]
	v_add_f64_e32 v[180:181], v[192:193], v[190:191]
	v_fma_f64 v[190:191], v[4:5], v[134:135], -v[136:137]
	ds_load_b128 v[4:7], v2 offset:1584
	s_wait_loadcnt_dscnt 0xa01
	v_mul_f64_e32 v[188:189], v[170:171], v[140:141]
	v_mul_f64_e32 v[140:141], v[172:173], v[140:141]
	scratch_load_b128 v[134:137], off, off offset:848
	v_add_f64_e32 v[182:183], v[182:183], v[186:187]
	s_wait_loadcnt_dscnt 0xa00
	v_mul_f64_e32 v[186:187], v[4:5], v[144:145]
	v_add_f64_e32 v[192:193], v[180:181], v[178:179]
	v_mul_f64_e32 v[144:145], v[6:7], v[144:145]
	ds_load_b128 v[178:181], v2 offset:1600
	v_fmac_f64_e32 v[188:189], v[172:173], v[138:139]
	v_fma_f64 v[170:171], v[170:171], v[138:139], -v[140:141]
	scratch_load_b128 v[138:141], off, off offset:864
	v_add_f64_e32 v[182:183], v[182:183], v[184:185]
	v_fmac_f64_e32 v[186:187], v[6:7], v[142:143]
	v_add_f64_e32 v[172:173], v[192:193], v[190:191]
	v_fma_f64 v[190:191], v[4:5], v[142:143], -v[144:145]
	ds_load_b128 v[4:7], v2 offset:1616
	s_wait_loadcnt_dscnt 0xa01
	v_mul_f64_e32 v[184:185], v[178:179], v[148:149]
	v_mul_f64_e32 v[148:149], v[180:181], v[148:149]
	scratch_load_b128 v[142:145], off, off offset:880
	v_add_f64_e32 v[182:183], v[182:183], v[188:189]
	s_wait_loadcnt_dscnt 0xa00
	v_mul_f64_e32 v[188:189], v[4:5], v[152:153]
	v_add_f64_e32 v[192:193], v[172:173], v[170:171]
	v_mul_f64_e32 v[152:153], v[6:7], v[152:153]
	ds_load_b128 v[170:173], v2 offset:1632
	v_fmac_f64_e32 v[184:185], v[180:181], v[146:147]
	v_fma_f64 v[146:147], v[178:179], v[146:147], -v[148:149]
	s_wait_loadcnt_dscnt 0x900
	v_mul_f64_e32 v[180:181], v[170:171], v[156:157]
	v_mul_f64_e32 v[156:157], v[172:173], v[156:157]
	v_add_f64_e32 v[178:179], v[182:183], v[186:187]
	v_fmac_f64_e32 v[188:189], v[6:7], v[150:151]
	v_add_f64_e32 v[148:149], v[192:193], v[190:191]
	v_fma_f64 v[150:151], v[4:5], v[150:151], -v[152:153]
	v_fmac_f64_e32 v[180:181], v[172:173], v[154:155]
	v_fma_f64 v[154:155], v[170:171], v[154:155], -v[156:157]
	v_add_f64_e32 v[178:179], v[178:179], v[184:185]
	v_add_f64_e32 v[152:153], v[148:149], v[146:147]
	ds_load_b128 v[4:7], v2 offset:1648
	ds_load_b128 v[146:149], v2 offset:1664
	s_wait_loadcnt_dscnt 0x801
	v_mul_f64_e32 v[182:183], v[4:5], v[164:165]
	v_mul_f64_e32 v[164:165], v[6:7], v[164:165]
	s_wait_loadcnt_dscnt 0x700
	v_mul_f64_e32 v[156:157], v[146:147], v[176:177]
	v_mul_f64_e32 v[170:171], v[148:149], v[176:177]
	v_add_f64_e32 v[150:151], v[152:153], v[150:151]
	v_add_f64_e32 v[152:153], v[178:179], v[188:189]
	v_fmac_f64_e32 v[182:183], v[6:7], v[162:163]
	v_fma_f64 v[162:163], v[4:5], v[162:163], -v[164:165]
	v_fmac_f64_e32 v[156:157], v[148:149], v[174:175]
	v_fma_f64 v[146:147], v[146:147], v[174:175], -v[170:171]
	v_add_f64_e32 v[154:155], v[150:151], v[154:155]
	v_add_f64_e32 v[164:165], v[152:153], v[180:181]
	ds_load_b128 v[4:7], v2 offset:1680
	ds_load_b128 v[150:153], v2 offset:1696
	s_wait_loadcnt_dscnt 0x601
	v_mul_f64_e32 v[172:173], v[4:5], v[160:161]
	v_mul_f64_e32 v[160:161], v[6:7], v[160:161]
	v_add_f64_e32 v[148:149], v[154:155], v[162:163]
	v_add_f64_e32 v[154:155], v[164:165], v[182:183]
	s_wait_loadcnt_dscnt 0x500
	v_mul_f64_e32 v[162:163], v[150:151], v[10:11]
	v_mul_f64_e32 v[10:11], v[152:153], v[10:11]
	v_fmac_f64_e32 v[172:173], v[6:7], v[158:159]
	v_fma_f64 v[158:159], v[4:5], v[158:159], -v[160:161]
	v_add_f64_e32 v[160:161], v[148:149], v[146:147]
	v_add_f64_e32 v[154:155], v[154:155], v[156:157]
	ds_load_b128 v[4:7], v2 offset:1712
	ds_load_b128 v[146:149], v2 offset:1728
	v_fmac_f64_e32 v[162:163], v[152:153], v[8:9]
	v_fma_f64 v[8:9], v[150:151], v[8:9], -v[10:11]
	s_wait_loadcnt_dscnt 0x401
	v_mul_f64_e32 v[156:157], v[4:5], v[128:129]
	v_mul_f64_e32 v[128:129], v[6:7], v[128:129]
	s_wait_loadcnt_dscnt 0x300
	v_mul_f64_e32 v[152:153], v[146:147], v[132:133]
	v_mul_f64_e32 v[132:133], v[148:149], v[132:133]
	v_add_f64_e32 v[10:11], v[160:161], v[158:159]
	v_add_f64_e32 v[150:151], v[154:155], v[172:173]
	v_fmac_f64_e32 v[156:157], v[6:7], v[126:127]
	v_fma_f64 v[126:127], v[4:5], v[126:127], -v[128:129]
	v_fmac_f64_e32 v[152:153], v[148:149], v[130:131]
	v_fma_f64 v[130:131], v[146:147], v[130:131], -v[132:133]
	v_add_f64_e32 v[128:129], v[10:11], v[8:9]
	v_add_f64_e32 v[150:151], v[150:151], v[162:163]
	ds_load_b128 v[4:7], v2 offset:1744
	ds_load_b128 v[8:11], v2 offset:1760
	s_wait_loadcnt_dscnt 0x201
	v_mul_f64_e32 v[154:155], v[4:5], v[136:137]
	v_mul_f64_e32 v[136:137], v[6:7], v[136:137]
	s_wait_loadcnt_dscnt 0x100
	v_mul_f64_e32 v[132:133], v[8:9], v[140:141]
	v_mul_f64_e32 v[140:141], v[10:11], v[140:141]
	v_add_f64_e32 v[126:127], v[128:129], v[126:127]
	v_add_f64_e32 v[128:129], v[150:151], v[156:157]
	v_fmac_f64_e32 v[154:155], v[6:7], v[134:135]
	v_fma_f64 v[134:135], v[4:5], v[134:135], -v[136:137]
	ds_load_b128 v[4:7], v2 offset:1776
	v_fmac_f64_e32 v[132:133], v[10:11], v[138:139]
	v_fma_f64 v[8:9], v[8:9], v[138:139], -v[140:141]
	v_add_f64_e32 v[126:127], v[126:127], v[130:131]
	v_add_f64_e32 v[128:129], v[128:129], v[152:153]
	s_wait_loadcnt_dscnt 0x0
	v_mul_f64_e32 v[130:131], v[4:5], v[144:145]
	v_mul_f64_e32 v[136:137], v[6:7], v[144:145]
	s_delay_alu instid0(VALU_DEP_4) | instskip(NEXT) | instid1(VALU_DEP_4)
	v_add_f64_e32 v[10:11], v[126:127], v[134:135]
	v_add_f64_e32 v[126:127], v[128:129], v[154:155]
	s_delay_alu instid0(VALU_DEP_4) | instskip(NEXT) | instid1(VALU_DEP_4)
	v_fmac_f64_e32 v[130:131], v[6:7], v[142:143]
	v_fma_f64 v[4:5], v[4:5], v[142:143], -v[136:137]
	s_delay_alu instid0(VALU_DEP_4) | instskip(NEXT) | instid1(VALU_DEP_4)
	v_add_f64_e32 v[6:7], v[10:11], v[8:9]
	v_add_f64_e32 v[8:9], v[126:127], v[132:133]
	s_delay_alu instid0(VALU_DEP_2) | instskip(NEXT) | instid1(VALU_DEP_2)
	v_add_f64_e32 v[4:5], v[6:7], v[4:5]
	v_add_f64_e32 v[6:7], v[8:9], v[130:131]
	s_delay_alu instid0(VALU_DEP_2) | instskip(NEXT) | instid1(VALU_DEP_2)
	v_add_f64_e64 v[4:5], v[166:167], -v[4:5]
	v_add_f64_e64 v[6:7], v[168:169], -v[6:7]
	scratch_store_b128 off, v[4:7], off offset:192
	s_wait_xcnt 0x0
	v_cmpx_lt_u32_e32 11, v1
	s_cbranch_execz .LBB119_327
; %bb.326:
	scratch_load_b128 v[6:9], off, s61
	v_dual_mov_b32 v3, v2 :: v_dual_mov_b32 v4, v2
	v_mov_b32_e32 v5, v2
	scratch_store_b128 off, v[2:5], off offset:176
	s_wait_loadcnt 0x0
	ds_store_b128 v12, v[6:9]
.LBB119_327:
	s_wait_xcnt 0x0
	s_or_b32 exec_lo, exec_lo, s2
	s_wait_storecnt_dscnt 0x0
	s_barrier_signal -1
	s_barrier_wait -1
	s_clause 0x9
	scratch_load_b128 v[4:7], off, off offset:192
	scratch_load_b128 v[8:11], off, off offset:208
	;; [unrolled: 1-line block ×10, first 2 shown]
	ds_load_b128 v[158:161], v2 offset:1088
	ds_load_b128 v[166:169], v2 offset:1104
	s_clause 0x2
	scratch_load_b128 v[162:165], off, off offset:352
	scratch_load_b128 v[170:173], off, off offset:176
	;; [unrolled: 1-line block ×3, first 2 shown]
	s_mov_b32 s2, exec_lo
	s_wait_loadcnt_dscnt 0xc01
	v_mul_f64_e32 v[178:179], v[160:161], v[6:7]
	v_mul_f64_e32 v[182:183], v[158:159], v[6:7]
	s_wait_loadcnt_dscnt 0xb00
	v_mul_f64_e32 v[184:185], v[166:167], v[10:11]
	v_mul_f64_e32 v[10:11], v[168:169], v[10:11]
	s_delay_alu instid0(VALU_DEP_4) | instskip(NEXT) | instid1(VALU_DEP_4)
	v_fma_f64 v[186:187], v[158:159], v[4:5], -v[178:179]
	v_fmac_f64_e32 v[182:183], v[160:161], v[4:5]
	ds_load_b128 v[4:7], v2 offset:1120
	ds_load_b128 v[158:161], v2 offset:1136
	scratch_load_b128 v[178:181], off, off offset:384
	v_fmac_f64_e32 v[184:185], v[168:169], v[8:9]
	v_fma_f64 v[166:167], v[166:167], v[8:9], -v[10:11]
	scratch_load_b128 v[8:11], off, off offset:400
	s_wait_loadcnt_dscnt 0xc01
	v_mul_f64_e32 v[188:189], v[4:5], v[128:129]
	v_mul_f64_e32 v[128:129], v[6:7], v[128:129]
	v_add_f64_e32 v[168:169], 0, v[186:187]
	v_add_f64_e32 v[182:183], 0, v[182:183]
	s_wait_loadcnt_dscnt 0xb00
	v_mul_f64_e32 v[186:187], v[158:159], v[132:133]
	v_mul_f64_e32 v[132:133], v[160:161], v[132:133]
	v_fmac_f64_e32 v[188:189], v[6:7], v[126:127]
	v_fma_f64 v[190:191], v[4:5], v[126:127], -v[128:129]
	ds_load_b128 v[4:7], v2 offset:1152
	ds_load_b128 v[126:129], v2 offset:1168
	v_add_f64_e32 v[192:193], v[168:169], v[166:167]
	v_add_f64_e32 v[182:183], v[182:183], v[184:185]
	scratch_load_b128 v[166:169], off, off offset:416
	v_fmac_f64_e32 v[186:187], v[160:161], v[130:131]
	v_fma_f64 v[158:159], v[158:159], v[130:131], -v[132:133]
	scratch_load_b128 v[130:133], off, off offset:432
	s_wait_loadcnt_dscnt 0xc01
	v_mul_f64_e32 v[184:185], v[4:5], v[136:137]
	v_mul_f64_e32 v[136:137], v[6:7], v[136:137]
	v_add_f64_e32 v[160:161], v[192:193], v[190:191]
	v_add_f64_e32 v[182:183], v[182:183], v[188:189]
	s_wait_loadcnt_dscnt 0xb00
	v_mul_f64_e32 v[188:189], v[126:127], v[140:141]
	v_mul_f64_e32 v[140:141], v[128:129], v[140:141]
	v_fmac_f64_e32 v[184:185], v[6:7], v[134:135]
	v_fma_f64 v[190:191], v[4:5], v[134:135], -v[136:137]
	ds_load_b128 v[4:7], v2 offset:1184
	ds_load_b128 v[134:137], v2 offset:1200
	v_add_f64_e32 v[192:193], v[160:161], v[158:159]
	v_add_f64_e32 v[182:183], v[182:183], v[186:187]
	scratch_load_b128 v[158:161], off, off offset:448
	s_wait_loadcnt_dscnt 0xb01
	v_mul_f64_e32 v[186:187], v[4:5], v[144:145]
	v_mul_f64_e32 v[144:145], v[6:7], v[144:145]
	v_fmac_f64_e32 v[188:189], v[128:129], v[138:139]
	v_fma_f64 v[138:139], v[126:127], v[138:139], -v[140:141]
	scratch_load_b128 v[126:129], off, off offset:464
	v_add_f64_e32 v[140:141], v[192:193], v[190:191]
	v_add_f64_e32 v[182:183], v[182:183], v[184:185]
	s_wait_loadcnt_dscnt 0xb00
	v_mul_f64_e32 v[184:185], v[134:135], v[148:149]
	v_mul_f64_e32 v[148:149], v[136:137], v[148:149]
	v_fmac_f64_e32 v[186:187], v[6:7], v[142:143]
	v_fma_f64 v[190:191], v[4:5], v[142:143], -v[144:145]
	v_add_f64_e32 v[192:193], v[140:141], v[138:139]
	v_add_f64_e32 v[182:183], v[182:183], v[188:189]
	ds_load_b128 v[4:7], v2 offset:1216
	ds_load_b128 v[138:141], v2 offset:1232
	scratch_load_b128 v[142:145], off, off offset:480
	v_fmac_f64_e32 v[184:185], v[136:137], v[146:147]
	v_fma_f64 v[146:147], v[134:135], v[146:147], -v[148:149]
	scratch_load_b128 v[134:137], off, off offset:496
	s_wait_loadcnt_dscnt 0xc01
	v_mul_f64_e32 v[188:189], v[4:5], v[152:153]
	v_mul_f64_e32 v[152:153], v[6:7], v[152:153]
	v_add_f64_e32 v[148:149], v[192:193], v[190:191]
	v_add_f64_e32 v[182:183], v[182:183], v[186:187]
	s_wait_loadcnt_dscnt 0xb00
	v_mul_f64_e32 v[186:187], v[138:139], v[156:157]
	v_mul_f64_e32 v[156:157], v[140:141], v[156:157]
	v_fmac_f64_e32 v[188:189], v[6:7], v[150:151]
	v_fma_f64 v[190:191], v[4:5], v[150:151], -v[152:153]
	v_add_f64_e32 v[192:193], v[148:149], v[146:147]
	v_add_f64_e32 v[182:183], v[182:183], v[184:185]
	ds_load_b128 v[4:7], v2 offset:1248
	ds_load_b128 v[146:149], v2 offset:1264
	scratch_load_b128 v[150:153], off, off offset:512
	v_fmac_f64_e32 v[186:187], v[140:141], v[154:155]
	v_fma_f64 v[154:155], v[138:139], v[154:155], -v[156:157]
	scratch_load_b128 v[138:141], off, off offset:528
	s_wait_loadcnt_dscnt 0xc01
	v_mul_f64_e32 v[184:185], v[4:5], v[164:165]
	v_mul_f64_e32 v[164:165], v[6:7], v[164:165]
	;; [unrolled: 18-line block ×5, first 2 shown]
	v_add_f64_e32 v[176:177], v[192:193], v[190:191]
	v_add_f64_e32 v[182:183], v[182:183], v[188:189]
	s_wait_loadcnt_dscnt 0xa00
	v_mul_f64_e32 v[188:189], v[154:155], v[128:129]
	v_mul_f64_e32 v[128:129], v[156:157], v[128:129]
	v_fmac_f64_e32 v[184:185], v[6:7], v[158:159]
	v_fma_f64 v[190:191], v[4:5], v[158:159], -v[160:161]
	ds_load_b128 v[4:7], v2 offset:1376
	ds_load_b128 v[158:161], v2 offset:1392
	v_add_f64_e32 v[192:193], v[176:177], v[174:175]
	v_add_f64_e32 v[182:183], v[182:183], v[186:187]
	scratch_load_b128 v[174:177], off, off offset:640
	v_fmac_f64_e32 v[188:189], v[156:157], v[126:127]
	v_fma_f64 v[154:155], v[154:155], v[126:127], -v[128:129]
	scratch_load_b128 v[126:129], off, off offset:656
	s_wait_loadcnt_dscnt 0xb01
	v_mul_f64_e32 v[186:187], v[4:5], v[144:145]
	v_mul_f64_e32 v[144:145], v[6:7], v[144:145]
	v_add_f64_e32 v[156:157], v[192:193], v[190:191]
	v_add_f64_e32 v[182:183], v[182:183], v[184:185]
	s_wait_loadcnt_dscnt 0xa00
	v_mul_f64_e32 v[184:185], v[158:159], v[136:137]
	v_mul_f64_e32 v[136:137], v[160:161], v[136:137]
	v_fmac_f64_e32 v[186:187], v[6:7], v[142:143]
	v_fma_f64 v[190:191], v[4:5], v[142:143], -v[144:145]
	ds_load_b128 v[4:7], v2 offset:1408
	ds_load_b128 v[142:145], v2 offset:1424
	v_add_f64_e32 v[192:193], v[156:157], v[154:155]
	v_add_f64_e32 v[182:183], v[182:183], v[188:189]
	scratch_load_b128 v[154:157], off, off offset:672
	s_wait_loadcnt_dscnt 0xa01
	v_mul_f64_e32 v[188:189], v[4:5], v[152:153]
	v_mul_f64_e32 v[152:153], v[6:7], v[152:153]
	v_fmac_f64_e32 v[184:185], v[160:161], v[134:135]
	v_fma_f64 v[158:159], v[158:159], v[134:135], -v[136:137]
	scratch_load_b128 v[134:137], off, off offset:688
	v_add_f64_e32 v[160:161], v[192:193], v[190:191]
	v_add_f64_e32 v[182:183], v[182:183], v[186:187]
	s_wait_loadcnt_dscnt 0xa00
	v_mul_f64_e32 v[186:187], v[142:143], v[140:141]
	v_mul_f64_e32 v[140:141], v[144:145], v[140:141]
	v_fmac_f64_e32 v[188:189], v[6:7], v[150:151]
	v_fma_f64 v[190:191], v[4:5], v[150:151], -v[152:153]
	ds_load_b128 v[4:7], v2 offset:1440
	ds_load_b128 v[150:153], v2 offset:1456
	v_add_f64_e32 v[192:193], v[160:161], v[158:159]
	v_add_f64_e32 v[182:183], v[182:183], v[184:185]
	scratch_load_b128 v[158:161], off, off offset:704
	s_wait_loadcnt_dscnt 0xa01
	v_mul_f64_e32 v[184:185], v[4:5], v[164:165]
	v_mul_f64_e32 v[164:165], v[6:7], v[164:165]
	v_fmac_f64_e32 v[186:187], v[144:145], v[138:139]
	v_fma_f64 v[142:143], v[142:143], v[138:139], -v[140:141]
	scratch_load_b128 v[138:141], off, off offset:720
	v_add_f64_e32 v[144:145], v[192:193], v[190:191]
	v_add_f64_e32 v[182:183], v[182:183], v[188:189]
	s_wait_loadcnt_dscnt 0xa00
	v_mul_f64_e32 v[188:189], v[150:151], v[148:149]
	v_mul_f64_e32 v[148:149], v[152:153], v[148:149]
	v_fmac_f64_e32 v[184:185], v[6:7], v[162:163]
	v_fma_f64 v[190:191], v[4:5], v[162:163], -v[164:165]
	v_add_f64_e32 v[192:193], v[144:145], v[142:143]
	v_add_f64_e32 v[182:183], v[182:183], v[186:187]
	ds_load_b128 v[4:7], v2 offset:1472
	ds_load_b128 v[142:145], v2 offset:1488
	scratch_load_b128 v[162:165], off, off offset:736
	v_fmac_f64_e32 v[188:189], v[152:153], v[146:147]
	v_fma_f64 v[150:151], v[150:151], v[146:147], -v[148:149]
	scratch_load_b128 v[146:149], off, off offset:752
	s_wait_loadcnt_dscnt 0xb01
	v_mul_f64_e32 v[186:187], v[4:5], v[180:181]
	v_mul_f64_e32 v[180:181], v[6:7], v[180:181]
	v_add_f64_e32 v[152:153], v[192:193], v[190:191]
	v_add_f64_e32 v[182:183], v[182:183], v[184:185]
	s_wait_loadcnt_dscnt 0xa00
	v_mul_f64_e32 v[184:185], v[142:143], v[10:11]
	v_mul_f64_e32 v[10:11], v[144:145], v[10:11]
	v_fmac_f64_e32 v[186:187], v[6:7], v[178:179]
	v_fma_f64 v[190:191], v[4:5], v[178:179], -v[180:181]
	v_add_f64_e32 v[192:193], v[152:153], v[150:151]
	v_add_f64_e32 v[182:183], v[182:183], v[188:189]
	ds_load_b128 v[4:7], v2 offset:1504
	ds_load_b128 v[150:153], v2 offset:1520
	scratch_load_b128 v[178:181], off, off offset:768
	v_fmac_f64_e32 v[184:185], v[144:145], v[8:9]
	v_fma_f64 v[142:143], v[142:143], v[8:9], -v[10:11]
	scratch_load_b128 v[8:11], off, off offset:784
	s_wait_loadcnt_dscnt 0xb01
	v_mul_f64_e32 v[188:189], v[4:5], v[168:169]
	v_mul_f64_e32 v[168:169], v[6:7], v[168:169]
	;; [unrolled: 18-line block ×5, first 2 shown]
	v_add_f64_e32 v[152:153], v[192:193], v[190:191]
	v_add_f64_e32 v[182:183], v[182:183], v[186:187]
	s_wait_loadcnt_dscnt 0xa00
	v_mul_f64_e32 v[186:187], v[142:143], v[140:141]
	v_mul_f64_e32 v[140:141], v[144:145], v[140:141]
	v_fmac_f64_e32 v[188:189], v[6:7], v[158:159]
	v_fma_f64 v[158:159], v[4:5], v[158:159], -v[160:161]
	v_add_f64_e32 v[160:161], v[152:153], v[150:151]
	v_add_f64_e32 v[182:183], v[182:183], v[184:185]
	ds_load_b128 v[4:7], v2 offset:1632
	ds_load_b128 v[150:153], v2 offset:1648
	v_fmac_f64_e32 v[186:187], v[144:145], v[138:139]
	v_fma_f64 v[138:139], v[142:143], v[138:139], -v[140:141]
	s_wait_loadcnt_dscnt 0x901
	v_mul_f64_e32 v[184:185], v[4:5], v[164:165]
	v_mul_f64_e32 v[164:165], v[6:7], v[164:165]
	s_wait_loadcnt_dscnt 0x800
	v_mul_f64_e32 v[144:145], v[150:151], v[148:149]
	v_mul_f64_e32 v[148:149], v[152:153], v[148:149]
	v_add_f64_e32 v[140:141], v[160:161], v[158:159]
	v_add_f64_e32 v[142:143], v[182:183], v[188:189]
	v_fmac_f64_e32 v[184:185], v[6:7], v[162:163]
	v_fma_f64 v[158:159], v[4:5], v[162:163], -v[164:165]
	v_fmac_f64_e32 v[144:145], v[152:153], v[146:147]
	v_fma_f64 v[146:147], v[150:151], v[146:147], -v[148:149]
	v_add_f64_e32 v[160:161], v[140:141], v[138:139]
	v_add_f64_e32 v[142:143], v[142:143], v[186:187]
	ds_load_b128 v[4:7], v2 offset:1664
	ds_load_b128 v[138:141], v2 offset:1680
	s_wait_loadcnt_dscnt 0x701
	v_mul_f64_e32 v[162:163], v[4:5], v[180:181]
	v_mul_f64_e32 v[164:165], v[6:7], v[180:181]
	s_wait_loadcnt_dscnt 0x600
	v_mul_f64_e32 v[150:151], v[138:139], v[10:11]
	v_mul_f64_e32 v[10:11], v[140:141], v[10:11]
	v_add_f64_e32 v[148:149], v[160:161], v[158:159]
	v_add_f64_e32 v[142:143], v[142:143], v[184:185]
	v_fmac_f64_e32 v[162:163], v[6:7], v[178:179]
	v_fma_f64 v[152:153], v[4:5], v[178:179], -v[164:165]
	v_fmac_f64_e32 v[150:151], v[140:141], v[8:9]
	v_fma_f64 v[8:9], v[138:139], v[8:9], -v[10:11]
	v_add_f64_e32 v[146:147], v[148:149], v[146:147]
	v_add_f64_e32 v[148:149], v[142:143], v[144:145]
	ds_load_b128 v[4:7], v2 offset:1696
	ds_load_b128 v[142:145], v2 offset:1712
	;; [unrolled: 16-line block ×4, first 2 shown]
	s_wait_loadcnt_dscnt 0x101
	v_mul_f64_e32 v[2:3], v[4:5], v[156:157]
	v_mul_f64_e32 v[140:141], v[6:7], v[156:157]
	v_add_f64_e32 v[10:11], v[132:133], v[146:147]
	v_add_f64_e32 v[126:127], v[138:139], v[150:151]
	s_wait_loadcnt_dscnt 0x0
	v_mul_f64_e32 v[132:133], v[128:129], v[136:137]
	v_mul_f64_e32 v[136:137], v[130:131], v[136:137]
	v_fmac_f64_e32 v[2:3], v[6:7], v[154:155]
	v_fma_f64 v[4:5], v[4:5], v[154:155], -v[140:141]
	v_add_f64_e32 v[6:7], v[10:11], v[8:9]
	v_add_f64_e32 v[8:9], v[126:127], v[142:143]
	v_fmac_f64_e32 v[132:133], v[130:131], v[134:135]
	v_fma_f64 v[10:11], v[128:129], v[134:135], -v[136:137]
	s_delay_alu instid0(VALU_DEP_4) | instskip(NEXT) | instid1(VALU_DEP_4)
	v_add_f64_e32 v[4:5], v[6:7], v[4:5]
	v_add_f64_e32 v[2:3], v[8:9], v[2:3]
	s_delay_alu instid0(VALU_DEP_2) | instskip(NEXT) | instid1(VALU_DEP_2)
	v_add_f64_e32 v[4:5], v[4:5], v[10:11]
	v_add_f64_e32 v[6:7], v[2:3], v[132:133]
	s_delay_alu instid0(VALU_DEP_2) | instskip(NEXT) | instid1(VALU_DEP_2)
	v_add_f64_e64 v[2:3], v[170:171], -v[4:5]
	v_add_f64_e64 v[4:5], v[172:173], -v[6:7]
	scratch_store_b128 off, v[2:5], off offset:176
	s_wait_xcnt 0x0
	v_cmpx_lt_u32_e32 10, v1
	s_cbranch_execz .LBB119_329
; %bb.328:
	scratch_load_b128 v[2:5], off, s62
	v_mov_b32_e32 v6, 0
	s_delay_alu instid0(VALU_DEP_1)
	v_dual_mov_b32 v7, v6 :: v_dual_mov_b32 v8, v6
	v_mov_b32_e32 v9, v6
	scratch_store_b128 off, v[6:9], off offset:160
	s_wait_loadcnt 0x0
	ds_store_b128 v12, v[2:5]
.LBB119_329:
	s_wait_xcnt 0x0
	s_or_b32 exec_lo, exec_lo, s2
	s_wait_storecnt_dscnt 0x0
	s_barrier_signal -1
	s_barrier_wait -1
	s_clause 0x9
	scratch_load_b128 v[4:7], off, off offset:176
	scratch_load_b128 v[8:11], off, off offset:192
	;; [unrolled: 1-line block ×10, first 2 shown]
	v_mov_b32_e32 v2, 0
	s_mov_b32 s2, exec_lo
	ds_load_b128 v[158:161], v2 offset:1072
	s_clause 0x2
	scratch_load_b128 v[162:165], off, off offset:336
	scratch_load_b128 v[166:169], off, off offset:160
	scratch_load_b128 v[174:177], off, off offset:352
	s_wait_loadcnt_dscnt 0xc00
	v_mul_f64_e32 v[178:179], v[160:161], v[6:7]
	v_mul_f64_e32 v[182:183], v[158:159], v[6:7]
	ds_load_b128 v[170:173], v2 offset:1088
	v_fma_f64 v[186:187], v[158:159], v[4:5], -v[178:179]
	v_fmac_f64_e32 v[182:183], v[160:161], v[4:5]
	ds_load_b128 v[4:7], v2 offset:1104
	s_wait_loadcnt_dscnt 0xb01
	v_mul_f64_e32 v[184:185], v[170:171], v[10:11]
	v_mul_f64_e32 v[10:11], v[172:173], v[10:11]
	scratch_load_b128 v[158:161], off, off offset:368
	ds_load_b128 v[178:181], v2 offset:1120
	s_wait_loadcnt_dscnt 0xb01
	v_mul_f64_e32 v[188:189], v[4:5], v[128:129]
	v_mul_f64_e32 v[128:129], v[6:7], v[128:129]
	v_add_f64_e32 v[182:183], 0, v[182:183]
	v_fmac_f64_e32 v[184:185], v[172:173], v[8:9]
	v_fma_f64 v[170:171], v[170:171], v[8:9], -v[10:11]
	v_add_f64_e32 v[172:173], 0, v[186:187]
	scratch_load_b128 v[8:11], off, off offset:384
	v_fmac_f64_e32 v[188:189], v[6:7], v[126:127]
	v_fma_f64 v[190:191], v[4:5], v[126:127], -v[128:129]
	ds_load_b128 v[4:7], v2 offset:1136
	s_wait_loadcnt_dscnt 0xb01
	v_mul_f64_e32 v[186:187], v[178:179], v[132:133]
	v_mul_f64_e32 v[132:133], v[180:181], v[132:133]
	scratch_load_b128 v[126:129], off, off offset:400
	v_add_f64_e32 v[182:183], v[182:183], v[184:185]
	v_add_f64_e32 v[192:193], v[172:173], v[170:171]
	ds_load_b128 v[170:173], v2 offset:1152
	s_wait_loadcnt_dscnt 0xb01
	v_mul_f64_e32 v[184:185], v[4:5], v[136:137]
	v_mul_f64_e32 v[136:137], v[6:7], v[136:137]
	v_fmac_f64_e32 v[186:187], v[180:181], v[130:131]
	v_fma_f64 v[178:179], v[178:179], v[130:131], -v[132:133]
	scratch_load_b128 v[130:133], off, off offset:416
	v_add_f64_e32 v[182:183], v[182:183], v[188:189]
	v_add_f64_e32 v[180:181], v[192:193], v[190:191]
	v_fmac_f64_e32 v[184:185], v[6:7], v[134:135]
	v_fma_f64 v[190:191], v[4:5], v[134:135], -v[136:137]
	ds_load_b128 v[4:7], v2 offset:1168
	s_wait_loadcnt_dscnt 0xb01
	v_mul_f64_e32 v[188:189], v[170:171], v[140:141]
	v_mul_f64_e32 v[140:141], v[172:173], v[140:141]
	scratch_load_b128 v[134:137], off, off offset:432
	v_add_f64_e32 v[182:183], v[182:183], v[186:187]
	s_wait_loadcnt_dscnt 0xb00
	v_mul_f64_e32 v[186:187], v[4:5], v[144:145]
	v_add_f64_e32 v[192:193], v[180:181], v[178:179]
	v_mul_f64_e32 v[144:145], v[6:7], v[144:145]
	ds_load_b128 v[178:181], v2 offset:1184
	v_fmac_f64_e32 v[188:189], v[172:173], v[138:139]
	v_fma_f64 v[170:171], v[170:171], v[138:139], -v[140:141]
	scratch_load_b128 v[138:141], off, off offset:448
	v_add_f64_e32 v[182:183], v[182:183], v[184:185]
	v_fmac_f64_e32 v[186:187], v[6:7], v[142:143]
	v_add_f64_e32 v[172:173], v[192:193], v[190:191]
	v_fma_f64 v[190:191], v[4:5], v[142:143], -v[144:145]
	ds_load_b128 v[4:7], v2 offset:1200
	s_wait_loadcnt_dscnt 0xb01
	v_mul_f64_e32 v[184:185], v[178:179], v[148:149]
	v_mul_f64_e32 v[148:149], v[180:181], v[148:149]
	scratch_load_b128 v[142:145], off, off offset:464
	v_add_f64_e32 v[182:183], v[182:183], v[188:189]
	s_wait_loadcnt_dscnt 0xb00
	v_mul_f64_e32 v[188:189], v[4:5], v[152:153]
	v_add_f64_e32 v[192:193], v[172:173], v[170:171]
	v_mul_f64_e32 v[152:153], v[6:7], v[152:153]
	ds_load_b128 v[170:173], v2 offset:1216
	v_fmac_f64_e32 v[184:185], v[180:181], v[146:147]
	v_fma_f64 v[178:179], v[178:179], v[146:147], -v[148:149]
	scratch_load_b128 v[146:149], off, off offset:480
	v_add_f64_e32 v[182:183], v[182:183], v[186:187]
	v_fmac_f64_e32 v[188:189], v[6:7], v[150:151]
	v_add_f64_e32 v[180:181], v[192:193], v[190:191]
	;; [unrolled: 18-line block ×3, first 2 shown]
	v_fma_f64 v[190:191], v[4:5], v[162:163], -v[164:165]
	ds_load_b128 v[4:7], v2 offset:1264
	s_wait_loadcnt_dscnt 0xa01
	v_mul_f64_e32 v[188:189], v[178:179], v[176:177]
	v_mul_f64_e32 v[176:177], v[180:181], v[176:177]
	scratch_load_b128 v[162:165], off, off offset:528
	v_add_f64_e32 v[182:183], v[182:183], v[186:187]
	v_add_f64_e32 v[192:193], v[172:173], v[170:171]
	s_wait_loadcnt_dscnt 0xa00
	v_mul_f64_e32 v[186:187], v[4:5], v[160:161]
	v_mul_f64_e32 v[160:161], v[6:7], v[160:161]
	v_fmac_f64_e32 v[188:189], v[180:181], v[174:175]
	v_fma_f64 v[178:179], v[178:179], v[174:175], -v[176:177]
	ds_load_b128 v[170:173], v2 offset:1280
	scratch_load_b128 v[174:177], off, off offset:544
	v_add_f64_e32 v[182:183], v[182:183], v[184:185]
	v_add_f64_e32 v[180:181], v[192:193], v[190:191]
	v_fmac_f64_e32 v[186:187], v[6:7], v[158:159]
	v_fma_f64 v[190:191], v[4:5], v[158:159], -v[160:161]
	ds_load_b128 v[4:7], v2 offset:1296
	s_wait_loadcnt_dscnt 0xa01
	v_mul_f64_e32 v[184:185], v[170:171], v[10:11]
	v_mul_f64_e32 v[10:11], v[172:173], v[10:11]
	scratch_load_b128 v[158:161], off, off offset:560
	v_add_f64_e32 v[182:183], v[182:183], v[188:189]
	s_wait_loadcnt_dscnt 0xa00
	v_mul_f64_e32 v[188:189], v[4:5], v[128:129]
	v_add_f64_e32 v[192:193], v[180:181], v[178:179]
	v_mul_f64_e32 v[128:129], v[6:7], v[128:129]
	ds_load_b128 v[178:181], v2 offset:1312
	v_fmac_f64_e32 v[184:185], v[172:173], v[8:9]
	v_fma_f64 v[170:171], v[170:171], v[8:9], -v[10:11]
	scratch_load_b128 v[8:11], off, off offset:576
	v_add_f64_e32 v[182:183], v[182:183], v[186:187]
	v_fmac_f64_e32 v[188:189], v[6:7], v[126:127]
	v_add_f64_e32 v[172:173], v[192:193], v[190:191]
	v_fma_f64 v[190:191], v[4:5], v[126:127], -v[128:129]
	ds_load_b128 v[4:7], v2 offset:1328
	s_wait_loadcnt_dscnt 0xa01
	v_mul_f64_e32 v[186:187], v[178:179], v[132:133]
	v_mul_f64_e32 v[132:133], v[180:181], v[132:133]
	scratch_load_b128 v[126:129], off, off offset:592
	v_add_f64_e32 v[182:183], v[182:183], v[184:185]
	s_wait_loadcnt_dscnt 0xa00
	v_mul_f64_e32 v[184:185], v[4:5], v[136:137]
	v_add_f64_e32 v[192:193], v[172:173], v[170:171]
	v_mul_f64_e32 v[136:137], v[6:7], v[136:137]
	ds_load_b128 v[170:173], v2 offset:1344
	v_fmac_f64_e32 v[186:187], v[180:181], v[130:131]
	v_fma_f64 v[178:179], v[178:179], v[130:131], -v[132:133]
	scratch_load_b128 v[130:133], off, off offset:608
	v_add_f64_e32 v[182:183], v[182:183], v[188:189]
	v_fmac_f64_e32 v[184:185], v[6:7], v[134:135]
	v_add_f64_e32 v[180:181], v[192:193], v[190:191]
	;; [unrolled: 18-line block ×10, first 2 shown]
	v_fma_f64 v[190:191], v[4:5], v[150:151], -v[152:153]
	ds_load_b128 v[4:7], v2 offset:1616
	s_wait_loadcnt_dscnt 0xa01
	v_mul_f64_e32 v[186:187], v[170:171], v[156:157]
	v_mul_f64_e32 v[156:157], v[172:173], v[156:157]
	scratch_load_b128 v[150:153], off, off offset:880
	v_add_f64_e32 v[182:183], v[182:183], v[184:185]
	s_wait_loadcnt_dscnt 0xa00
	v_mul_f64_e32 v[184:185], v[4:5], v[164:165]
	v_add_f64_e32 v[192:193], v[180:181], v[178:179]
	v_mul_f64_e32 v[164:165], v[6:7], v[164:165]
	ds_load_b128 v[178:181], v2 offset:1632
	v_fmac_f64_e32 v[186:187], v[172:173], v[154:155]
	v_fma_f64 v[154:155], v[170:171], v[154:155], -v[156:157]
	s_wait_loadcnt_dscnt 0x900
	v_mul_f64_e32 v[172:173], v[178:179], v[176:177]
	v_mul_f64_e32 v[176:177], v[180:181], v[176:177]
	v_add_f64_e32 v[170:171], v[182:183], v[188:189]
	v_fmac_f64_e32 v[184:185], v[6:7], v[162:163]
	v_add_f64_e32 v[156:157], v[192:193], v[190:191]
	v_fma_f64 v[162:163], v[4:5], v[162:163], -v[164:165]
	v_fmac_f64_e32 v[172:173], v[180:181], v[174:175]
	v_fma_f64 v[174:175], v[178:179], v[174:175], -v[176:177]
	v_add_f64_e32 v[170:171], v[170:171], v[186:187]
	v_add_f64_e32 v[164:165], v[156:157], v[154:155]
	ds_load_b128 v[4:7], v2 offset:1648
	ds_load_b128 v[154:157], v2 offset:1664
	s_wait_loadcnt_dscnt 0x801
	v_mul_f64_e32 v[182:183], v[4:5], v[160:161]
	v_mul_f64_e32 v[160:161], v[6:7], v[160:161]
	v_add_f64_e32 v[162:163], v[164:165], v[162:163]
	v_add_f64_e32 v[164:165], v[170:171], v[184:185]
	s_wait_loadcnt_dscnt 0x700
	v_mul_f64_e32 v[170:171], v[154:155], v[10:11]
	v_mul_f64_e32 v[10:11], v[156:157], v[10:11]
	v_fmac_f64_e32 v[182:183], v[6:7], v[158:159]
	v_fma_f64 v[176:177], v[4:5], v[158:159], -v[160:161]
	ds_load_b128 v[4:7], v2 offset:1680
	ds_load_b128 v[158:161], v2 offset:1696
	v_add_f64_e32 v[162:163], v[162:163], v[174:175]
	v_add_f64_e32 v[164:165], v[164:165], v[172:173]
	v_fmac_f64_e32 v[170:171], v[156:157], v[8:9]
	v_fma_f64 v[8:9], v[154:155], v[8:9], -v[10:11]
	s_wait_loadcnt_dscnt 0x601
	v_mul_f64_e32 v[172:173], v[4:5], v[128:129]
	v_mul_f64_e32 v[128:129], v[6:7], v[128:129]
	s_wait_loadcnt_dscnt 0x500
	v_mul_f64_e32 v[156:157], v[158:159], v[132:133]
	v_mul_f64_e32 v[132:133], v[160:161], v[132:133]
	v_add_f64_e32 v[10:11], v[162:163], v[176:177]
	v_add_f64_e32 v[154:155], v[164:165], v[182:183]
	v_fmac_f64_e32 v[172:173], v[6:7], v[126:127]
	v_fma_f64 v[126:127], v[4:5], v[126:127], -v[128:129]
	v_fmac_f64_e32 v[156:157], v[160:161], v[130:131]
	v_fma_f64 v[130:131], v[158:159], v[130:131], -v[132:133]
	v_add_f64_e32 v[128:129], v[10:11], v[8:9]
	v_add_f64_e32 v[154:155], v[154:155], v[170:171]
	ds_load_b128 v[4:7], v2 offset:1712
	ds_load_b128 v[8:11], v2 offset:1728
	s_wait_loadcnt_dscnt 0x401
	v_mul_f64_e32 v[162:163], v[4:5], v[136:137]
	v_mul_f64_e32 v[136:137], v[6:7], v[136:137]
	s_wait_loadcnt_dscnt 0x300
	v_mul_f64_e32 v[132:133], v[8:9], v[140:141]
	v_mul_f64_e32 v[140:141], v[10:11], v[140:141]
	v_add_f64_e32 v[126:127], v[128:129], v[126:127]
	v_add_f64_e32 v[128:129], v[154:155], v[172:173]
	v_fmac_f64_e32 v[162:163], v[6:7], v[134:135]
	v_fma_f64 v[134:135], v[4:5], v[134:135], -v[136:137]
	v_fmac_f64_e32 v[132:133], v[10:11], v[138:139]
	v_fma_f64 v[8:9], v[8:9], v[138:139], -v[140:141]
	v_add_f64_e32 v[130:131], v[126:127], v[130:131]
	v_add_f64_e32 v[136:137], v[128:129], v[156:157]
	ds_load_b128 v[4:7], v2 offset:1744
	ds_load_b128 v[126:129], v2 offset:1760
	s_wait_loadcnt_dscnt 0x201
	v_mul_f64_e32 v[154:155], v[4:5], v[144:145]
	v_mul_f64_e32 v[144:145], v[6:7], v[144:145]
	v_add_f64_e32 v[10:11], v[130:131], v[134:135]
	v_add_f64_e32 v[130:131], v[136:137], v[162:163]
	s_wait_loadcnt_dscnt 0x100
	v_mul_f64_e32 v[134:135], v[126:127], v[148:149]
	v_mul_f64_e32 v[136:137], v[128:129], v[148:149]
	v_fmac_f64_e32 v[154:155], v[6:7], v[142:143]
	v_fma_f64 v[138:139], v[4:5], v[142:143], -v[144:145]
	ds_load_b128 v[4:7], v2 offset:1776
	v_add_f64_e32 v[8:9], v[10:11], v[8:9]
	v_add_f64_e32 v[10:11], v[130:131], v[132:133]
	v_fmac_f64_e32 v[134:135], v[128:129], v[146:147]
	v_fma_f64 v[126:127], v[126:127], v[146:147], -v[136:137]
	s_wait_loadcnt_dscnt 0x0
	v_mul_f64_e32 v[130:131], v[4:5], v[152:153]
	v_mul_f64_e32 v[132:133], v[6:7], v[152:153]
	v_add_f64_e32 v[8:9], v[8:9], v[138:139]
	v_add_f64_e32 v[10:11], v[10:11], v[154:155]
	s_delay_alu instid0(VALU_DEP_4) | instskip(NEXT) | instid1(VALU_DEP_4)
	v_fmac_f64_e32 v[130:131], v[6:7], v[150:151]
	v_fma_f64 v[4:5], v[4:5], v[150:151], -v[132:133]
	s_delay_alu instid0(VALU_DEP_4) | instskip(NEXT) | instid1(VALU_DEP_4)
	v_add_f64_e32 v[6:7], v[8:9], v[126:127]
	v_add_f64_e32 v[8:9], v[10:11], v[134:135]
	s_delay_alu instid0(VALU_DEP_2) | instskip(NEXT) | instid1(VALU_DEP_2)
	v_add_f64_e32 v[4:5], v[6:7], v[4:5]
	v_add_f64_e32 v[6:7], v[8:9], v[130:131]
	s_delay_alu instid0(VALU_DEP_2) | instskip(NEXT) | instid1(VALU_DEP_2)
	v_add_f64_e64 v[4:5], v[166:167], -v[4:5]
	v_add_f64_e64 v[6:7], v[168:169], -v[6:7]
	scratch_store_b128 off, v[4:7], off offset:160
	s_wait_xcnt 0x0
	v_cmpx_lt_u32_e32 9, v1
	s_cbranch_execz .LBB119_331
; %bb.330:
	scratch_load_b128 v[6:9], off, s63
	v_dual_mov_b32 v3, v2 :: v_dual_mov_b32 v4, v2
	v_mov_b32_e32 v5, v2
	scratch_store_b128 off, v[2:5], off offset:144
	s_wait_loadcnt 0x0
	ds_store_b128 v12, v[6:9]
.LBB119_331:
	s_wait_xcnt 0x0
	s_or_b32 exec_lo, exec_lo, s2
	s_wait_storecnt_dscnt 0x0
	s_barrier_signal -1
	s_barrier_wait -1
	s_clause 0x9
	scratch_load_b128 v[4:7], off, off offset:160
	scratch_load_b128 v[8:11], off, off offset:176
	;; [unrolled: 1-line block ×10, first 2 shown]
	ds_load_b128 v[158:161], v2 offset:1056
	ds_load_b128 v[166:169], v2 offset:1072
	s_clause 0x2
	scratch_load_b128 v[162:165], off, off offset:320
	scratch_load_b128 v[170:173], off, off offset:144
	;; [unrolled: 1-line block ×3, first 2 shown]
	s_mov_b32 s2, exec_lo
	s_wait_loadcnt_dscnt 0xc01
	v_mul_f64_e32 v[178:179], v[160:161], v[6:7]
	v_mul_f64_e32 v[182:183], v[158:159], v[6:7]
	s_wait_loadcnt_dscnt 0xb00
	v_mul_f64_e32 v[184:185], v[166:167], v[10:11]
	v_mul_f64_e32 v[10:11], v[168:169], v[10:11]
	s_delay_alu instid0(VALU_DEP_4) | instskip(NEXT) | instid1(VALU_DEP_4)
	v_fma_f64 v[186:187], v[158:159], v[4:5], -v[178:179]
	v_fmac_f64_e32 v[182:183], v[160:161], v[4:5]
	ds_load_b128 v[4:7], v2 offset:1088
	ds_load_b128 v[158:161], v2 offset:1104
	scratch_load_b128 v[178:181], off, off offset:352
	v_fmac_f64_e32 v[184:185], v[168:169], v[8:9]
	v_fma_f64 v[166:167], v[166:167], v[8:9], -v[10:11]
	scratch_load_b128 v[8:11], off, off offset:368
	s_wait_loadcnt_dscnt 0xc01
	v_mul_f64_e32 v[188:189], v[4:5], v[128:129]
	v_mul_f64_e32 v[128:129], v[6:7], v[128:129]
	v_add_f64_e32 v[168:169], 0, v[186:187]
	v_add_f64_e32 v[182:183], 0, v[182:183]
	s_wait_loadcnt_dscnt 0xb00
	v_mul_f64_e32 v[186:187], v[158:159], v[132:133]
	v_mul_f64_e32 v[132:133], v[160:161], v[132:133]
	v_fmac_f64_e32 v[188:189], v[6:7], v[126:127]
	v_fma_f64 v[190:191], v[4:5], v[126:127], -v[128:129]
	ds_load_b128 v[4:7], v2 offset:1120
	ds_load_b128 v[126:129], v2 offset:1136
	v_add_f64_e32 v[192:193], v[168:169], v[166:167]
	v_add_f64_e32 v[182:183], v[182:183], v[184:185]
	scratch_load_b128 v[166:169], off, off offset:384
	v_fmac_f64_e32 v[186:187], v[160:161], v[130:131]
	v_fma_f64 v[158:159], v[158:159], v[130:131], -v[132:133]
	scratch_load_b128 v[130:133], off, off offset:400
	s_wait_loadcnt_dscnt 0xc01
	v_mul_f64_e32 v[184:185], v[4:5], v[136:137]
	v_mul_f64_e32 v[136:137], v[6:7], v[136:137]
	v_add_f64_e32 v[160:161], v[192:193], v[190:191]
	v_add_f64_e32 v[182:183], v[182:183], v[188:189]
	s_wait_loadcnt_dscnt 0xb00
	v_mul_f64_e32 v[188:189], v[126:127], v[140:141]
	v_mul_f64_e32 v[140:141], v[128:129], v[140:141]
	v_fmac_f64_e32 v[184:185], v[6:7], v[134:135]
	v_fma_f64 v[190:191], v[4:5], v[134:135], -v[136:137]
	ds_load_b128 v[4:7], v2 offset:1152
	ds_load_b128 v[134:137], v2 offset:1168
	v_add_f64_e32 v[192:193], v[160:161], v[158:159]
	v_add_f64_e32 v[182:183], v[182:183], v[186:187]
	scratch_load_b128 v[158:161], off, off offset:416
	s_wait_loadcnt_dscnt 0xb01
	v_mul_f64_e32 v[186:187], v[4:5], v[144:145]
	v_mul_f64_e32 v[144:145], v[6:7], v[144:145]
	v_fmac_f64_e32 v[188:189], v[128:129], v[138:139]
	v_fma_f64 v[138:139], v[126:127], v[138:139], -v[140:141]
	scratch_load_b128 v[126:129], off, off offset:432
	v_add_f64_e32 v[140:141], v[192:193], v[190:191]
	v_add_f64_e32 v[182:183], v[182:183], v[184:185]
	s_wait_loadcnt_dscnt 0xb00
	v_mul_f64_e32 v[184:185], v[134:135], v[148:149]
	v_mul_f64_e32 v[148:149], v[136:137], v[148:149]
	v_fmac_f64_e32 v[186:187], v[6:7], v[142:143]
	v_fma_f64 v[190:191], v[4:5], v[142:143], -v[144:145]
	v_add_f64_e32 v[192:193], v[140:141], v[138:139]
	v_add_f64_e32 v[182:183], v[182:183], v[188:189]
	ds_load_b128 v[4:7], v2 offset:1184
	ds_load_b128 v[138:141], v2 offset:1200
	scratch_load_b128 v[142:145], off, off offset:448
	v_fmac_f64_e32 v[184:185], v[136:137], v[146:147]
	v_fma_f64 v[146:147], v[134:135], v[146:147], -v[148:149]
	scratch_load_b128 v[134:137], off, off offset:464
	s_wait_loadcnt_dscnt 0xc01
	v_mul_f64_e32 v[188:189], v[4:5], v[152:153]
	v_mul_f64_e32 v[152:153], v[6:7], v[152:153]
	v_add_f64_e32 v[148:149], v[192:193], v[190:191]
	v_add_f64_e32 v[182:183], v[182:183], v[186:187]
	s_wait_loadcnt_dscnt 0xb00
	v_mul_f64_e32 v[186:187], v[138:139], v[156:157]
	v_mul_f64_e32 v[156:157], v[140:141], v[156:157]
	v_fmac_f64_e32 v[188:189], v[6:7], v[150:151]
	v_fma_f64 v[190:191], v[4:5], v[150:151], -v[152:153]
	v_add_f64_e32 v[192:193], v[148:149], v[146:147]
	v_add_f64_e32 v[182:183], v[182:183], v[184:185]
	ds_load_b128 v[4:7], v2 offset:1216
	ds_load_b128 v[146:149], v2 offset:1232
	scratch_load_b128 v[150:153], off, off offset:480
	v_fmac_f64_e32 v[186:187], v[140:141], v[154:155]
	v_fma_f64 v[154:155], v[138:139], v[154:155], -v[156:157]
	scratch_load_b128 v[138:141], off, off offset:496
	s_wait_loadcnt_dscnt 0xc01
	v_mul_f64_e32 v[184:185], v[4:5], v[164:165]
	v_mul_f64_e32 v[164:165], v[6:7], v[164:165]
	;; [unrolled: 18-line block ×5, first 2 shown]
	v_add_f64_e32 v[176:177], v[192:193], v[190:191]
	v_add_f64_e32 v[182:183], v[182:183], v[188:189]
	s_wait_loadcnt_dscnt 0xa00
	v_mul_f64_e32 v[188:189], v[154:155], v[128:129]
	v_mul_f64_e32 v[128:129], v[156:157], v[128:129]
	v_fmac_f64_e32 v[184:185], v[6:7], v[158:159]
	v_fma_f64 v[190:191], v[4:5], v[158:159], -v[160:161]
	ds_load_b128 v[4:7], v2 offset:1344
	ds_load_b128 v[158:161], v2 offset:1360
	v_add_f64_e32 v[192:193], v[176:177], v[174:175]
	v_add_f64_e32 v[182:183], v[182:183], v[186:187]
	scratch_load_b128 v[174:177], off, off offset:608
	v_fmac_f64_e32 v[188:189], v[156:157], v[126:127]
	v_fma_f64 v[154:155], v[154:155], v[126:127], -v[128:129]
	scratch_load_b128 v[126:129], off, off offset:624
	s_wait_loadcnt_dscnt 0xb01
	v_mul_f64_e32 v[186:187], v[4:5], v[144:145]
	v_mul_f64_e32 v[144:145], v[6:7], v[144:145]
	v_add_f64_e32 v[156:157], v[192:193], v[190:191]
	v_add_f64_e32 v[182:183], v[182:183], v[184:185]
	s_wait_loadcnt_dscnt 0xa00
	v_mul_f64_e32 v[184:185], v[158:159], v[136:137]
	v_mul_f64_e32 v[136:137], v[160:161], v[136:137]
	v_fmac_f64_e32 v[186:187], v[6:7], v[142:143]
	v_fma_f64 v[190:191], v[4:5], v[142:143], -v[144:145]
	ds_load_b128 v[4:7], v2 offset:1376
	ds_load_b128 v[142:145], v2 offset:1392
	v_add_f64_e32 v[192:193], v[156:157], v[154:155]
	v_add_f64_e32 v[182:183], v[182:183], v[188:189]
	scratch_load_b128 v[154:157], off, off offset:640
	s_wait_loadcnt_dscnt 0xa01
	v_mul_f64_e32 v[188:189], v[4:5], v[152:153]
	v_mul_f64_e32 v[152:153], v[6:7], v[152:153]
	v_fmac_f64_e32 v[184:185], v[160:161], v[134:135]
	v_fma_f64 v[158:159], v[158:159], v[134:135], -v[136:137]
	scratch_load_b128 v[134:137], off, off offset:656
	v_add_f64_e32 v[160:161], v[192:193], v[190:191]
	v_add_f64_e32 v[182:183], v[182:183], v[186:187]
	s_wait_loadcnt_dscnt 0xa00
	v_mul_f64_e32 v[186:187], v[142:143], v[140:141]
	v_mul_f64_e32 v[140:141], v[144:145], v[140:141]
	v_fmac_f64_e32 v[188:189], v[6:7], v[150:151]
	v_fma_f64 v[190:191], v[4:5], v[150:151], -v[152:153]
	ds_load_b128 v[4:7], v2 offset:1408
	ds_load_b128 v[150:153], v2 offset:1424
	v_add_f64_e32 v[192:193], v[160:161], v[158:159]
	v_add_f64_e32 v[182:183], v[182:183], v[184:185]
	scratch_load_b128 v[158:161], off, off offset:672
	s_wait_loadcnt_dscnt 0xa01
	v_mul_f64_e32 v[184:185], v[4:5], v[164:165]
	v_mul_f64_e32 v[164:165], v[6:7], v[164:165]
	v_fmac_f64_e32 v[186:187], v[144:145], v[138:139]
	v_fma_f64 v[142:143], v[142:143], v[138:139], -v[140:141]
	scratch_load_b128 v[138:141], off, off offset:688
	v_add_f64_e32 v[144:145], v[192:193], v[190:191]
	v_add_f64_e32 v[182:183], v[182:183], v[188:189]
	s_wait_loadcnt_dscnt 0xa00
	v_mul_f64_e32 v[188:189], v[150:151], v[148:149]
	v_mul_f64_e32 v[148:149], v[152:153], v[148:149]
	v_fmac_f64_e32 v[184:185], v[6:7], v[162:163]
	v_fma_f64 v[190:191], v[4:5], v[162:163], -v[164:165]
	v_add_f64_e32 v[192:193], v[144:145], v[142:143]
	v_add_f64_e32 v[182:183], v[182:183], v[186:187]
	ds_load_b128 v[4:7], v2 offset:1440
	ds_load_b128 v[142:145], v2 offset:1456
	scratch_load_b128 v[162:165], off, off offset:704
	v_fmac_f64_e32 v[188:189], v[152:153], v[146:147]
	v_fma_f64 v[150:151], v[150:151], v[146:147], -v[148:149]
	scratch_load_b128 v[146:149], off, off offset:720
	s_wait_loadcnt_dscnt 0xb01
	v_mul_f64_e32 v[186:187], v[4:5], v[180:181]
	v_mul_f64_e32 v[180:181], v[6:7], v[180:181]
	v_add_f64_e32 v[152:153], v[192:193], v[190:191]
	v_add_f64_e32 v[182:183], v[182:183], v[184:185]
	s_wait_loadcnt_dscnt 0xa00
	v_mul_f64_e32 v[184:185], v[142:143], v[10:11]
	v_mul_f64_e32 v[10:11], v[144:145], v[10:11]
	v_fmac_f64_e32 v[186:187], v[6:7], v[178:179]
	v_fma_f64 v[190:191], v[4:5], v[178:179], -v[180:181]
	v_add_f64_e32 v[192:193], v[152:153], v[150:151]
	v_add_f64_e32 v[182:183], v[182:183], v[188:189]
	ds_load_b128 v[4:7], v2 offset:1472
	ds_load_b128 v[150:153], v2 offset:1488
	scratch_load_b128 v[178:181], off, off offset:736
	v_fmac_f64_e32 v[184:185], v[144:145], v[8:9]
	v_fma_f64 v[142:143], v[142:143], v[8:9], -v[10:11]
	scratch_load_b128 v[8:11], off, off offset:752
	s_wait_loadcnt_dscnt 0xb01
	v_mul_f64_e32 v[188:189], v[4:5], v[168:169]
	v_mul_f64_e32 v[168:169], v[6:7], v[168:169]
	;; [unrolled: 18-line block ×6, first 2 shown]
	v_add_f64_e32 v[144:145], v[192:193], v[190:191]
	v_add_f64_e32 v[182:183], v[182:183], v[188:189]
	s_wait_loadcnt_dscnt 0xa00
	v_mul_f64_e32 v[188:189], v[150:151], v[148:149]
	v_mul_f64_e32 v[148:149], v[152:153], v[148:149]
	v_fmac_f64_e32 v[184:185], v[6:7], v[162:163]
	v_fma_f64 v[162:163], v[4:5], v[162:163], -v[164:165]
	v_add_f64_e32 v[164:165], v[144:145], v[142:143]
	v_add_f64_e32 v[182:183], v[182:183], v[186:187]
	ds_load_b128 v[4:7], v2 offset:1632
	ds_load_b128 v[142:145], v2 offset:1648
	v_fmac_f64_e32 v[188:189], v[152:153], v[146:147]
	v_fma_f64 v[146:147], v[150:151], v[146:147], -v[148:149]
	s_wait_loadcnt_dscnt 0x901
	v_mul_f64_e32 v[186:187], v[4:5], v[180:181]
	v_mul_f64_e32 v[180:181], v[6:7], v[180:181]
	s_wait_loadcnt_dscnt 0x800
	v_mul_f64_e32 v[152:153], v[142:143], v[10:11]
	v_mul_f64_e32 v[10:11], v[144:145], v[10:11]
	v_add_f64_e32 v[148:149], v[164:165], v[162:163]
	v_add_f64_e32 v[150:151], v[182:183], v[184:185]
	v_fmac_f64_e32 v[186:187], v[6:7], v[178:179]
	v_fma_f64 v[162:163], v[4:5], v[178:179], -v[180:181]
	v_fmac_f64_e32 v[152:153], v[144:145], v[8:9]
	v_fma_f64 v[8:9], v[142:143], v[8:9], -v[10:11]
	v_add_f64_e32 v[164:165], v[148:149], v[146:147]
	v_add_f64_e32 v[150:151], v[150:151], v[188:189]
	ds_load_b128 v[4:7], v2 offset:1664
	ds_load_b128 v[146:149], v2 offset:1680
	s_wait_loadcnt_dscnt 0x701
	v_mul_f64_e32 v[178:179], v[4:5], v[168:169]
	v_mul_f64_e32 v[168:169], v[6:7], v[168:169]
	s_wait_loadcnt_dscnt 0x600
	v_mul_f64_e32 v[144:145], v[146:147], v[132:133]
	v_mul_f64_e32 v[132:133], v[148:149], v[132:133]
	v_add_f64_e32 v[10:11], v[164:165], v[162:163]
	v_add_f64_e32 v[142:143], v[150:151], v[186:187]
	v_fmac_f64_e32 v[178:179], v[6:7], v[166:167]
	v_fma_f64 v[150:151], v[4:5], v[166:167], -v[168:169]
	v_fmac_f64_e32 v[144:145], v[148:149], v[130:131]
	v_fma_f64 v[130:131], v[146:147], v[130:131], -v[132:133]
	v_add_f64_e32 v[162:163], v[10:11], v[8:9]
	v_add_f64_e32 v[142:143], v[142:143], v[152:153]
	ds_load_b128 v[4:7], v2 offset:1696
	ds_load_b128 v[8:11], v2 offset:1712
	;; [unrolled: 16-line block ×3, first 2 shown]
	s_wait_loadcnt_dscnt 0x301
	v_mul_f64_e32 v[144:145], v[4:5], v[156:157]
	v_mul_f64_e32 v[156:157], v[6:7], v[156:157]
	v_add_f64_e32 v[10:11], v[132:133], v[150:151]
	v_add_f64_e32 v[126:127], v[142:143], v[152:153]
	s_wait_loadcnt_dscnt 0x200
	v_mul_f64_e32 v[132:133], v[128:129], v[136:137]
	v_mul_f64_e32 v[136:137], v[130:131], v[136:137]
	v_fmac_f64_e32 v[144:145], v[6:7], v[154:155]
	v_fma_f64 v[142:143], v[4:5], v[154:155], -v[156:157]
	v_add_f64_e32 v[148:149], v[10:11], v[8:9]
	v_add_f64_e32 v[126:127], v[126:127], v[146:147]
	ds_load_b128 v[4:7], v2 offset:1760
	ds_load_b128 v[8:11], v2 offset:1776
	v_fmac_f64_e32 v[132:133], v[130:131], v[134:135]
	v_fma_f64 v[128:129], v[128:129], v[134:135], -v[136:137]
	s_wait_loadcnt_dscnt 0x101
	v_mul_f64_e32 v[2:3], v[4:5], v[160:161]
	v_mul_f64_e32 v[146:147], v[6:7], v[160:161]
	s_wait_loadcnt_dscnt 0x0
	v_mul_f64_e32 v[134:135], v[8:9], v[140:141]
	v_mul_f64_e32 v[136:137], v[10:11], v[140:141]
	v_add_f64_e32 v[130:131], v[148:149], v[142:143]
	v_add_f64_e32 v[126:127], v[126:127], v[144:145]
	v_fmac_f64_e32 v[2:3], v[6:7], v[158:159]
	v_fma_f64 v[4:5], v[4:5], v[158:159], -v[146:147]
	v_fmac_f64_e32 v[134:135], v[10:11], v[138:139]
	v_fma_f64 v[8:9], v[8:9], v[138:139], -v[136:137]
	v_add_f64_e32 v[6:7], v[130:131], v[128:129]
	v_add_f64_e32 v[126:127], v[126:127], v[132:133]
	s_delay_alu instid0(VALU_DEP_2) | instskip(NEXT) | instid1(VALU_DEP_2)
	v_add_f64_e32 v[4:5], v[6:7], v[4:5]
	v_add_f64_e32 v[2:3], v[126:127], v[2:3]
	s_delay_alu instid0(VALU_DEP_2) | instskip(NEXT) | instid1(VALU_DEP_2)
	;; [unrolled: 3-line block ×3, first 2 shown]
	v_add_f64_e64 v[2:3], v[170:171], -v[4:5]
	v_add_f64_e64 v[4:5], v[172:173], -v[6:7]
	scratch_store_b128 off, v[2:5], off offset:144
	s_wait_xcnt 0x0
	v_cmpx_lt_u32_e32 8, v1
	s_cbranch_execz .LBB119_333
; %bb.332:
	scratch_load_b128 v[2:5], off, s64
	v_mov_b32_e32 v6, 0
	s_delay_alu instid0(VALU_DEP_1)
	v_dual_mov_b32 v7, v6 :: v_dual_mov_b32 v8, v6
	v_mov_b32_e32 v9, v6
	scratch_store_b128 off, v[6:9], off offset:128
	s_wait_loadcnt 0x0
	ds_store_b128 v12, v[2:5]
.LBB119_333:
	s_wait_xcnt 0x0
	s_or_b32 exec_lo, exec_lo, s2
	s_wait_storecnt_dscnt 0x0
	s_barrier_signal -1
	s_barrier_wait -1
	s_clause 0x9
	scratch_load_b128 v[4:7], off, off offset:144
	scratch_load_b128 v[8:11], off, off offset:160
	;; [unrolled: 1-line block ×10, first 2 shown]
	v_mov_b32_e32 v2, 0
	s_mov_b32 s2, exec_lo
	ds_load_b128 v[158:161], v2 offset:1040
	s_clause 0x2
	scratch_load_b128 v[162:165], off, off offset:304
	scratch_load_b128 v[166:169], off, off offset:128
	;; [unrolled: 1-line block ×3, first 2 shown]
	s_wait_loadcnt_dscnt 0xc00
	v_mul_f64_e32 v[178:179], v[160:161], v[6:7]
	v_mul_f64_e32 v[182:183], v[158:159], v[6:7]
	ds_load_b128 v[170:173], v2 offset:1056
	v_fma_f64 v[186:187], v[158:159], v[4:5], -v[178:179]
	v_fmac_f64_e32 v[182:183], v[160:161], v[4:5]
	ds_load_b128 v[4:7], v2 offset:1072
	s_wait_loadcnt_dscnt 0xb01
	v_mul_f64_e32 v[184:185], v[170:171], v[10:11]
	v_mul_f64_e32 v[10:11], v[172:173], v[10:11]
	scratch_load_b128 v[158:161], off, off offset:336
	ds_load_b128 v[178:181], v2 offset:1088
	s_wait_loadcnt_dscnt 0xb01
	v_mul_f64_e32 v[188:189], v[4:5], v[128:129]
	v_mul_f64_e32 v[128:129], v[6:7], v[128:129]
	v_add_f64_e32 v[182:183], 0, v[182:183]
	v_fmac_f64_e32 v[184:185], v[172:173], v[8:9]
	v_fma_f64 v[170:171], v[170:171], v[8:9], -v[10:11]
	v_add_f64_e32 v[172:173], 0, v[186:187]
	scratch_load_b128 v[8:11], off, off offset:352
	v_fmac_f64_e32 v[188:189], v[6:7], v[126:127]
	v_fma_f64 v[190:191], v[4:5], v[126:127], -v[128:129]
	ds_load_b128 v[4:7], v2 offset:1104
	s_wait_loadcnt_dscnt 0xb01
	v_mul_f64_e32 v[186:187], v[178:179], v[132:133]
	v_mul_f64_e32 v[132:133], v[180:181], v[132:133]
	scratch_load_b128 v[126:129], off, off offset:368
	v_add_f64_e32 v[182:183], v[182:183], v[184:185]
	v_add_f64_e32 v[192:193], v[172:173], v[170:171]
	ds_load_b128 v[170:173], v2 offset:1120
	s_wait_loadcnt_dscnt 0xb01
	v_mul_f64_e32 v[184:185], v[4:5], v[136:137]
	v_mul_f64_e32 v[136:137], v[6:7], v[136:137]
	v_fmac_f64_e32 v[186:187], v[180:181], v[130:131]
	v_fma_f64 v[178:179], v[178:179], v[130:131], -v[132:133]
	scratch_load_b128 v[130:133], off, off offset:384
	v_add_f64_e32 v[182:183], v[182:183], v[188:189]
	v_add_f64_e32 v[180:181], v[192:193], v[190:191]
	v_fmac_f64_e32 v[184:185], v[6:7], v[134:135]
	v_fma_f64 v[190:191], v[4:5], v[134:135], -v[136:137]
	ds_load_b128 v[4:7], v2 offset:1136
	s_wait_loadcnt_dscnt 0xb01
	v_mul_f64_e32 v[188:189], v[170:171], v[140:141]
	v_mul_f64_e32 v[140:141], v[172:173], v[140:141]
	scratch_load_b128 v[134:137], off, off offset:400
	v_add_f64_e32 v[182:183], v[182:183], v[186:187]
	s_wait_loadcnt_dscnt 0xb00
	v_mul_f64_e32 v[186:187], v[4:5], v[144:145]
	v_add_f64_e32 v[192:193], v[180:181], v[178:179]
	v_mul_f64_e32 v[144:145], v[6:7], v[144:145]
	ds_load_b128 v[178:181], v2 offset:1152
	v_fmac_f64_e32 v[188:189], v[172:173], v[138:139]
	v_fma_f64 v[170:171], v[170:171], v[138:139], -v[140:141]
	scratch_load_b128 v[138:141], off, off offset:416
	v_add_f64_e32 v[182:183], v[182:183], v[184:185]
	v_fmac_f64_e32 v[186:187], v[6:7], v[142:143]
	v_add_f64_e32 v[172:173], v[192:193], v[190:191]
	v_fma_f64 v[190:191], v[4:5], v[142:143], -v[144:145]
	ds_load_b128 v[4:7], v2 offset:1168
	s_wait_loadcnt_dscnt 0xb01
	v_mul_f64_e32 v[184:185], v[178:179], v[148:149]
	v_mul_f64_e32 v[148:149], v[180:181], v[148:149]
	scratch_load_b128 v[142:145], off, off offset:432
	v_add_f64_e32 v[182:183], v[182:183], v[188:189]
	s_wait_loadcnt_dscnt 0xb00
	v_mul_f64_e32 v[188:189], v[4:5], v[152:153]
	v_add_f64_e32 v[192:193], v[172:173], v[170:171]
	v_mul_f64_e32 v[152:153], v[6:7], v[152:153]
	ds_load_b128 v[170:173], v2 offset:1184
	v_fmac_f64_e32 v[184:185], v[180:181], v[146:147]
	v_fma_f64 v[178:179], v[178:179], v[146:147], -v[148:149]
	scratch_load_b128 v[146:149], off, off offset:448
	v_add_f64_e32 v[182:183], v[182:183], v[186:187]
	v_fmac_f64_e32 v[188:189], v[6:7], v[150:151]
	v_add_f64_e32 v[180:181], v[192:193], v[190:191]
	;; [unrolled: 18-line block ×3, first 2 shown]
	v_fma_f64 v[190:191], v[4:5], v[162:163], -v[164:165]
	ds_load_b128 v[4:7], v2 offset:1232
	s_wait_loadcnt_dscnt 0xa01
	v_mul_f64_e32 v[188:189], v[178:179], v[176:177]
	v_mul_f64_e32 v[176:177], v[180:181], v[176:177]
	scratch_load_b128 v[162:165], off, off offset:496
	v_add_f64_e32 v[182:183], v[182:183], v[186:187]
	v_add_f64_e32 v[192:193], v[172:173], v[170:171]
	s_wait_loadcnt_dscnt 0xa00
	v_mul_f64_e32 v[186:187], v[4:5], v[160:161]
	v_mul_f64_e32 v[160:161], v[6:7], v[160:161]
	v_fmac_f64_e32 v[188:189], v[180:181], v[174:175]
	v_fma_f64 v[178:179], v[178:179], v[174:175], -v[176:177]
	ds_load_b128 v[170:173], v2 offset:1248
	scratch_load_b128 v[174:177], off, off offset:512
	v_add_f64_e32 v[182:183], v[182:183], v[184:185]
	v_add_f64_e32 v[180:181], v[192:193], v[190:191]
	v_fmac_f64_e32 v[186:187], v[6:7], v[158:159]
	v_fma_f64 v[190:191], v[4:5], v[158:159], -v[160:161]
	ds_load_b128 v[4:7], v2 offset:1264
	s_wait_loadcnt_dscnt 0xa01
	v_mul_f64_e32 v[184:185], v[170:171], v[10:11]
	v_mul_f64_e32 v[10:11], v[172:173], v[10:11]
	scratch_load_b128 v[158:161], off, off offset:528
	v_add_f64_e32 v[182:183], v[182:183], v[188:189]
	s_wait_loadcnt_dscnt 0xa00
	v_mul_f64_e32 v[188:189], v[4:5], v[128:129]
	v_add_f64_e32 v[192:193], v[180:181], v[178:179]
	v_mul_f64_e32 v[128:129], v[6:7], v[128:129]
	ds_load_b128 v[178:181], v2 offset:1280
	v_fmac_f64_e32 v[184:185], v[172:173], v[8:9]
	v_fma_f64 v[170:171], v[170:171], v[8:9], -v[10:11]
	scratch_load_b128 v[8:11], off, off offset:544
	v_add_f64_e32 v[182:183], v[182:183], v[186:187]
	v_fmac_f64_e32 v[188:189], v[6:7], v[126:127]
	v_add_f64_e32 v[172:173], v[192:193], v[190:191]
	v_fma_f64 v[190:191], v[4:5], v[126:127], -v[128:129]
	ds_load_b128 v[4:7], v2 offset:1296
	s_wait_loadcnt_dscnt 0xa01
	v_mul_f64_e32 v[186:187], v[178:179], v[132:133]
	v_mul_f64_e32 v[132:133], v[180:181], v[132:133]
	scratch_load_b128 v[126:129], off, off offset:560
	v_add_f64_e32 v[182:183], v[182:183], v[184:185]
	s_wait_loadcnt_dscnt 0xa00
	v_mul_f64_e32 v[184:185], v[4:5], v[136:137]
	v_add_f64_e32 v[192:193], v[172:173], v[170:171]
	v_mul_f64_e32 v[136:137], v[6:7], v[136:137]
	ds_load_b128 v[170:173], v2 offset:1312
	v_fmac_f64_e32 v[186:187], v[180:181], v[130:131]
	v_fma_f64 v[178:179], v[178:179], v[130:131], -v[132:133]
	scratch_load_b128 v[130:133], off, off offset:576
	v_add_f64_e32 v[182:183], v[182:183], v[188:189]
	v_fmac_f64_e32 v[184:185], v[6:7], v[134:135]
	v_add_f64_e32 v[180:181], v[192:193], v[190:191]
	;; [unrolled: 18-line block ×11, first 2 shown]
	v_fma_f64 v[190:191], v[4:5], v[162:163], -v[164:165]
	ds_load_b128 v[4:7], v2 offset:1616
	s_wait_loadcnt_dscnt 0xa01
	v_mul_f64_e32 v[188:189], v[178:179], v[176:177]
	v_mul_f64_e32 v[176:177], v[180:181], v[176:177]
	scratch_load_b128 v[162:165], off, off offset:880
	v_add_f64_e32 v[182:183], v[182:183], v[186:187]
	s_wait_loadcnt_dscnt 0xa00
	v_mul_f64_e32 v[186:187], v[4:5], v[160:161]
	v_add_f64_e32 v[192:193], v[172:173], v[170:171]
	v_mul_f64_e32 v[160:161], v[6:7], v[160:161]
	ds_load_b128 v[170:173], v2 offset:1632
	v_fmac_f64_e32 v[188:189], v[180:181], v[174:175]
	v_fma_f64 v[174:175], v[178:179], v[174:175], -v[176:177]
	s_wait_loadcnt_dscnt 0x900
	v_mul_f64_e32 v[180:181], v[170:171], v[10:11]
	v_mul_f64_e32 v[10:11], v[172:173], v[10:11]
	v_add_f64_e32 v[178:179], v[182:183], v[184:185]
	v_fmac_f64_e32 v[186:187], v[6:7], v[158:159]
	v_add_f64_e32 v[176:177], v[192:193], v[190:191]
	v_fma_f64 v[182:183], v[4:5], v[158:159], -v[160:161]
	ds_load_b128 v[4:7], v2 offset:1648
	ds_load_b128 v[158:161], v2 offset:1664
	v_fmac_f64_e32 v[180:181], v[172:173], v[8:9]
	v_fma_f64 v[8:9], v[170:171], v[8:9], -v[10:11]
	v_add_f64_e32 v[174:175], v[176:177], v[174:175]
	v_add_f64_e32 v[176:177], v[178:179], v[188:189]
	s_wait_loadcnt_dscnt 0x801
	v_mul_f64_e32 v[178:179], v[4:5], v[128:129]
	v_mul_f64_e32 v[128:129], v[6:7], v[128:129]
	s_wait_loadcnt_dscnt 0x700
	v_mul_f64_e32 v[172:173], v[158:159], v[132:133]
	v_mul_f64_e32 v[132:133], v[160:161], v[132:133]
	v_add_f64_e32 v[10:11], v[174:175], v[182:183]
	v_add_f64_e32 v[170:171], v[176:177], v[186:187]
	v_fmac_f64_e32 v[178:179], v[6:7], v[126:127]
	v_fma_f64 v[126:127], v[4:5], v[126:127], -v[128:129]
	v_fmac_f64_e32 v[172:173], v[160:161], v[130:131]
	v_fma_f64 v[130:131], v[158:159], v[130:131], -v[132:133]
	v_add_f64_e32 v[128:129], v[10:11], v[8:9]
	v_add_f64_e32 v[170:171], v[170:171], v[180:181]
	ds_load_b128 v[4:7], v2 offset:1680
	ds_load_b128 v[8:11], v2 offset:1696
	s_wait_loadcnt_dscnt 0x601
	v_mul_f64_e32 v[174:175], v[4:5], v[136:137]
	v_mul_f64_e32 v[136:137], v[6:7], v[136:137]
	s_wait_loadcnt_dscnt 0x500
	v_mul_f64_e32 v[132:133], v[8:9], v[140:141]
	v_mul_f64_e32 v[140:141], v[10:11], v[140:141]
	v_add_f64_e32 v[126:127], v[128:129], v[126:127]
	v_add_f64_e32 v[128:129], v[170:171], v[178:179]
	v_fmac_f64_e32 v[174:175], v[6:7], v[134:135]
	v_fma_f64 v[134:135], v[4:5], v[134:135], -v[136:137]
	v_fmac_f64_e32 v[132:133], v[10:11], v[138:139]
	v_fma_f64 v[8:9], v[8:9], v[138:139], -v[140:141]
	v_add_f64_e32 v[130:131], v[126:127], v[130:131]
	v_add_f64_e32 v[136:137], v[128:129], v[172:173]
	ds_load_b128 v[4:7], v2 offset:1712
	ds_load_b128 v[126:129], v2 offset:1728
	s_wait_loadcnt_dscnt 0x401
	v_mul_f64_e32 v[158:159], v[4:5], v[144:145]
	v_mul_f64_e32 v[144:145], v[6:7], v[144:145]
	v_add_f64_e32 v[10:11], v[130:131], v[134:135]
	v_add_f64_e32 v[130:131], v[136:137], v[174:175]
	s_wait_loadcnt_dscnt 0x300
	v_mul_f64_e32 v[134:135], v[126:127], v[148:149]
	v_mul_f64_e32 v[136:137], v[128:129], v[148:149]
	v_fmac_f64_e32 v[158:159], v[6:7], v[142:143]
	v_fma_f64 v[138:139], v[4:5], v[142:143], -v[144:145]
	v_add_f64_e32 v[140:141], v[10:11], v[8:9]
	v_add_f64_e32 v[130:131], v[130:131], v[132:133]
	ds_load_b128 v[4:7], v2 offset:1744
	ds_load_b128 v[8:11], v2 offset:1760
	v_fmac_f64_e32 v[134:135], v[128:129], v[146:147]
	v_fma_f64 v[126:127], v[126:127], v[146:147], -v[136:137]
	s_wait_loadcnt_dscnt 0x201
	v_mul_f64_e32 v[132:133], v[4:5], v[152:153]
	v_mul_f64_e32 v[142:143], v[6:7], v[152:153]
	s_wait_loadcnt_dscnt 0x100
	v_mul_f64_e32 v[136:137], v[8:9], v[156:157]
	v_add_f64_e32 v[128:129], v[140:141], v[138:139]
	v_add_f64_e32 v[130:131], v[130:131], v[158:159]
	v_mul_f64_e32 v[138:139], v[10:11], v[156:157]
	v_fmac_f64_e32 v[132:133], v[6:7], v[150:151]
	v_fma_f64 v[140:141], v[4:5], v[150:151], -v[142:143]
	ds_load_b128 v[4:7], v2 offset:1776
	v_fmac_f64_e32 v[136:137], v[10:11], v[154:155]
	v_add_f64_e32 v[126:127], v[128:129], v[126:127]
	v_add_f64_e32 v[128:129], v[130:131], v[134:135]
	v_fma_f64 v[8:9], v[8:9], v[154:155], -v[138:139]
	s_wait_loadcnt_dscnt 0x0
	v_mul_f64_e32 v[130:131], v[4:5], v[164:165]
	v_mul_f64_e32 v[134:135], v[6:7], v[164:165]
	v_add_f64_e32 v[10:11], v[126:127], v[140:141]
	v_add_f64_e32 v[126:127], v[128:129], v[132:133]
	s_delay_alu instid0(VALU_DEP_4) | instskip(NEXT) | instid1(VALU_DEP_4)
	v_fmac_f64_e32 v[130:131], v[6:7], v[162:163]
	v_fma_f64 v[4:5], v[4:5], v[162:163], -v[134:135]
	s_delay_alu instid0(VALU_DEP_4) | instskip(NEXT) | instid1(VALU_DEP_4)
	v_add_f64_e32 v[6:7], v[10:11], v[8:9]
	v_add_f64_e32 v[8:9], v[126:127], v[136:137]
	s_delay_alu instid0(VALU_DEP_2) | instskip(NEXT) | instid1(VALU_DEP_2)
	v_add_f64_e32 v[4:5], v[6:7], v[4:5]
	v_add_f64_e32 v[6:7], v[8:9], v[130:131]
	s_delay_alu instid0(VALU_DEP_2) | instskip(NEXT) | instid1(VALU_DEP_2)
	v_add_f64_e64 v[4:5], v[166:167], -v[4:5]
	v_add_f64_e64 v[6:7], v[168:169], -v[6:7]
	scratch_store_b128 off, v[4:7], off offset:128
	s_wait_xcnt 0x0
	v_cmpx_lt_u32_e32 7, v1
	s_cbranch_execz .LBB119_335
; %bb.334:
	scratch_load_b128 v[6:9], off, s65
	v_dual_mov_b32 v3, v2 :: v_dual_mov_b32 v4, v2
	v_mov_b32_e32 v5, v2
	scratch_store_b128 off, v[2:5], off offset:112
	s_wait_loadcnt 0x0
	ds_store_b128 v12, v[6:9]
.LBB119_335:
	s_wait_xcnt 0x0
	s_or_b32 exec_lo, exec_lo, s2
	s_wait_storecnt_dscnt 0x0
	s_barrier_signal -1
	s_barrier_wait -1
	s_clause 0x9
	scratch_load_b128 v[4:7], off, off offset:128
	scratch_load_b128 v[8:11], off, off offset:144
	;; [unrolled: 1-line block ×10, first 2 shown]
	ds_load_b128 v[158:161], v2 offset:1024
	ds_load_b128 v[166:169], v2 offset:1040
	s_clause 0x2
	scratch_load_b128 v[162:165], off, off offset:288
	scratch_load_b128 v[170:173], off, off offset:112
	;; [unrolled: 1-line block ×3, first 2 shown]
	s_mov_b32 s2, exec_lo
	s_wait_loadcnt_dscnt 0xc01
	v_mul_f64_e32 v[178:179], v[160:161], v[6:7]
	v_mul_f64_e32 v[182:183], v[158:159], v[6:7]
	s_wait_loadcnt_dscnt 0xb00
	v_mul_f64_e32 v[184:185], v[166:167], v[10:11]
	v_mul_f64_e32 v[10:11], v[168:169], v[10:11]
	s_delay_alu instid0(VALU_DEP_4) | instskip(NEXT) | instid1(VALU_DEP_4)
	v_fma_f64 v[186:187], v[158:159], v[4:5], -v[178:179]
	v_fmac_f64_e32 v[182:183], v[160:161], v[4:5]
	ds_load_b128 v[4:7], v2 offset:1056
	ds_load_b128 v[158:161], v2 offset:1072
	scratch_load_b128 v[178:181], off, off offset:320
	v_fmac_f64_e32 v[184:185], v[168:169], v[8:9]
	v_fma_f64 v[166:167], v[166:167], v[8:9], -v[10:11]
	scratch_load_b128 v[8:11], off, off offset:336
	s_wait_loadcnt_dscnt 0xc01
	v_mul_f64_e32 v[188:189], v[4:5], v[128:129]
	v_mul_f64_e32 v[128:129], v[6:7], v[128:129]
	v_add_f64_e32 v[168:169], 0, v[186:187]
	v_add_f64_e32 v[182:183], 0, v[182:183]
	s_wait_loadcnt_dscnt 0xb00
	v_mul_f64_e32 v[186:187], v[158:159], v[132:133]
	v_mul_f64_e32 v[132:133], v[160:161], v[132:133]
	v_fmac_f64_e32 v[188:189], v[6:7], v[126:127]
	v_fma_f64 v[190:191], v[4:5], v[126:127], -v[128:129]
	ds_load_b128 v[4:7], v2 offset:1088
	ds_load_b128 v[126:129], v2 offset:1104
	v_add_f64_e32 v[192:193], v[168:169], v[166:167]
	v_add_f64_e32 v[182:183], v[182:183], v[184:185]
	scratch_load_b128 v[166:169], off, off offset:352
	v_fmac_f64_e32 v[186:187], v[160:161], v[130:131]
	v_fma_f64 v[158:159], v[158:159], v[130:131], -v[132:133]
	scratch_load_b128 v[130:133], off, off offset:368
	s_wait_loadcnt_dscnt 0xc01
	v_mul_f64_e32 v[184:185], v[4:5], v[136:137]
	v_mul_f64_e32 v[136:137], v[6:7], v[136:137]
	v_add_f64_e32 v[160:161], v[192:193], v[190:191]
	v_add_f64_e32 v[182:183], v[182:183], v[188:189]
	s_wait_loadcnt_dscnt 0xb00
	v_mul_f64_e32 v[188:189], v[126:127], v[140:141]
	v_mul_f64_e32 v[140:141], v[128:129], v[140:141]
	v_fmac_f64_e32 v[184:185], v[6:7], v[134:135]
	v_fma_f64 v[190:191], v[4:5], v[134:135], -v[136:137]
	ds_load_b128 v[4:7], v2 offset:1120
	ds_load_b128 v[134:137], v2 offset:1136
	v_add_f64_e32 v[192:193], v[160:161], v[158:159]
	v_add_f64_e32 v[182:183], v[182:183], v[186:187]
	scratch_load_b128 v[158:161], off, off offset:384
	s_wait_loadcnt_dscnt 0xb01
	v_mul_f64_e32 v[186:187], v[4:5], v[144:145]
	v_mul_f64_e32 v[144:145], v[6:7], v[144:145]
	v_fmac_f64_e32 v[188:189], v[128:129], v[138:139]
	v_fma_f64 v[138:139], v[126:127], v[138:139], -v[140:141]
	scratch_load_b128 v[126:129], off, off offset:400
	v_add_f64_e32 v[140:141], v[192:193], v[190:191]
	v_add_f64_e32 v[182:183], v[182:183], v[184:185]
	s_wait_loadcnt_dscnt 0xb00
	v_mul_f64_e32 v[184:185], v[134:135], v[148:149]
	v_mul_f64_e32 v[148:149], v[136:137], v[148:149]
	v_fmac_f64_e32 v[186:187], v[6:7], v[142:143]
	v_fma_f64 v[190:191], v[4:5], v[142:143], -v[144:145]
	v_add_f64_e32 v[192:193], v[140:141], v[138:139]
	v_add_f64_e32 v[182:183], v[182:183], v[188:189]
	ds_load_b128 v[4:7], v2 offset:1152
	ds_load_b128 v[138:141], v2 offset:1168
	scratch_load_b128 v[142:145], off, off offset:416
	v_fmac_f64_e32 v[184:185], v[136:137], v[146:147]
	v_fma_f64 v[146:147], v[134:135], v[146:147], -v[148:149]
	scratch_load_b128 v[134:137], off, off offset:432
	s_wait_loadcnt_dscnt 0xc01
	v_mul_f64_e32 v[188:189], v[4:5], v[152:153]
	v_mul_f64_e32 v[152:153], v[6:7], v[152:153]
	v_add_f64_e32 v[148:149], v[192:193], v[190:191]
	v_add_f64_e32 v[182:183], v[182:183], v[186:187]
	s_wait_loadcnt_dscnt 0xb00
	v_mul_f64_e32 v[186:187], v[138:139], v[156:157]
	v_mul_f64_e32 v[156:157], v[140:141], v[156:157]
	v_fmac_f64_e32 v[188:189], v[6:7], v[150:151]
	v_fma_f64 v[190:191], v[4:5], v[150:151], -v[152:153]
	v_add_f64_e32 v[192:193], v[148:149], v[146:147]
	v_add_f64_e32 v[182:183], v[182:183], v[184:185]
	ds_load_b128 v[4:7], v2 offset:1184
	ds_load_b128 v[146:149], v2 offset:1200
	scratch_load_b128 v[150:153], off, off offset:448
	v_fmac_f64_e32 v[186:187], v[140:141], v[154:155]
	v_fma_f64 v[154:155], v[138:139], v[154:155], -v[156:157]
	scratch_load_b128 v[138:141], off, off offset:464
	s_wait_loadcnt_dscnt 0xc01
	v_mul_f64_e32 v[184:185], v[4:5], v[164:165]
	v_mul_f64_e32 v[164:165], v[6:7], v[164:165]
	;; [unrolled: 18-line block ×5, first 2 shown]
	v_add_f64_e32 v[176:177], v[192:193], v[190:191]
	v_add_f64_e32 v[182:183], v[182:183], v[188:189]
	s_wait_loadcnt_dscnt 0xa00
	v_mul_f64_e32 v[188:189], v[154:155], v[128:129]
	v_mul_f64_e32 v[128:129], v[156:157], v[128:129]
	v_fmac_f64_e32 v[184:185], v[6:7], v[158:159]
	v_fma_f64 v[190:191], v[4:5], v[158:159], -v[160:161]
	ds_load_b128 v[4:7], v2 offset:1312
	ds_load_b128 v[158:161], v2 offset:1328
	v_add_f64_e32 v[192:193], v[176:177], v[174:175]
	v_add_f64_e32 v[182:183], v[182:183], v[186:187]
	scratch_load_b128 v[174:177], off, off offset:576
	v_fmac_f64_e32 v[188:189], v[156:157], v[126:127]
	v_fma_f64 v[154:155], v[154:155], v[126:127], -v[128:129]
	scratch_load_b128 v[126:129], off, off offset:592
	s_wait_loadcnt_dscnt 0xb01
	v_mul_f64_e32 v[186:187], v[4:5], v[144:145]
	v_mul_f64_e32 v[144:145], v[6:7], v[144:145]
	v_add_f64_e32 v[156:157], v[192:193], v[190:191]
	v_add_f64_e32 v[182:183], v[182:183], v[184:185]
	s_wait_loadcnt_dscnt 0xa00
	v_mul_f64_e32 v[184:185], v[158:159], v[136:137]
	v_mul_f64_e32 v[136:137], v[160:161], v[136:137]
	v_fmac_f64_e32 v[186:187], v[6:7], v[142:143]
	v_fma_f64 v[190:191], v[4:5], v[142:143], -v[144:145]
	ds_load_b128 v[4:7], v2 offset:1344
	ds_load_b128 v[142:145], v2 offset:1360
	v_add_f64_e32 v[192:193], v[156:157], v[154:155]
	v_add_f64_e32 v[182:183], v[182:183], v[188:189]
	scratch_load_b128 v[154:157], off, off offset:608
	s_wait_loadcnt_dscnt 0xa01
	v_mul_f64_e32 v[188:189], v[4:5], v[152:153]
	v_mul_f64_e32 v[152:153], v[6:7], v[152:153]
	v_fmac_f64_e32 v[184:185], v[160:161], v[134:135]
	v_fma_f64 v[158:159], v[158:159], v[134:135], -v[136:137]
	scratch_load_b128 v[134:137], off, off offset:624
	v_add_f64_e32 v[160:161], v[192:193], v[190:191]
	v_add_f64_e32 v[182:183], v[182:183], v[186:187]
	s_wait_loadcnt_dscnt 0xa00
	v_mul_f64_e32 v[186:187], v[142:143], v[140:141]
	v_mul_f64_e32 v[140:141], v[144:145], v[140:141]
	v_fmac_f64_e32 v[188:189], v[6:7], v[150:151]
	v_fma_f64 v[190:191], v[4:5], v[150:151], -v[152:153]
	ds_load_b128 v[4:7], v2 offset:1376
	ds_load_b128 v[150:153], v2 offset:1392
	v_add_f64_e32 v[192:193], v[160:161], v[158:159]
	v_add_f64_e32 v[182:183], v[182:183], v[184:185]
	scratch_load_b128 v[158:161], off, off offset:640
	s_wait_loadcnt_dscnt 0xa01
	v_mul_f64_e32 v[184:185], v[4:5], v[164:165]
	v_mul_f64_e32 v[164:165], v[6:7], v[164:165]
	v_fmac_f64_e32 v[186:187], v[144:145], v[138:139]
	v_fma_f64 v[142:143], v[142:143], v[138:139], -v[140:141]
	scratch_load_b128 v[138:141], off, off offset:656
	v_add_f64_e32 v[144:145], v[192:193], v[190:191]
	v_add_f64_e32 v[182:183], v[182:183], v[188:189]
	s_wait_loadcnt_dscnt 0xa00
	v_mul_f64_e32 v[188:189], v[150:151], v[148:149]
	v_mul_f64_e32 v[148:149], v[152:153], v[148:149]
	v_fmac_f64_e32 v[184:185], v[6:7], v[162:163]
	v_fma_f64 v[190:191], v[4:5], v[162:163], -v[164:165]
	v_add_f64_e32 v[192:193], v[144:145], v[142:143]
	v_add_f64_e32 v[182:183], v[182:183], v[186:187]
	ds_load_b128 v[4:7], v2 offset:1408
	ds_load_b128 v[142:145], v2 offset:1424
	scratch_load_b128 v[162:165], off, off offset:672
	v_fmac_f64_e32 v[188:189], v[152:153], v[146:147]
	v_fma_f64 v[150:151], v[150:151], v[146:147], -v[148:149]
	scratch_load_b128 v[146:149], off, off offset:688
	s_wait_loadcnt_dscnt 0xb01
	v_mul_f64_e32 v[186:187], v[4:5], v[180:181]
	v_mul_f64_e32 v[180:181], v[6:7], v[180:181]
	v_add_f64_e32 v[152:153], v[192:193], v[190:191]
	v_add_f64_e32 v[182:183], v[182:183], v[184:185]
	s_wait_loadcnt_dscnt 0xa00
	v_mul_f64_e32 v[184:185], v[142:143], v[10:11]
	v_mul_f64_e32 v[10:11], v[144:145], v[10:11]
	v_fmac_f64_e32 v[186:187], v[6:7], v[178:179]
	v_fma_f64 v[190:191], v[4:5], v[178:179], -v[180:181]
	v_add_f64_e32 v[192:193], v[152:153], v[150:151]
	v_add_f64_e32 v[182:183], v[182:183], v[188:189]
	ds_load_b128 v[4:7], v2 offset:1440
	ds_load_b128 v[150:153], v2 offset:1456
	scratch_load_b128 v[178:181], off, off offset:704
	v_fmac_f64_e32 v[184:185], v[144:145], v[8:9]
	v_fma_f64 v[142:143], v[142:143], v[8:9], -v[10:11]
	scratch_load_b128 v[8:11], off, off offset:720
	s_wait_loadcnt_dscnt 0xb01
	v_mul_f64_e32 v[188:189], v[4:5], v[168:169]
	v_mul_f64_e32 v[168:169], v[6:7], v[168:169]
	v_add_f64_e32 v[144:145], v[192:193], v[190:191]
	v_add_f64_e32 v[182:183], v[182:183], v[186:187]
	s_wait_loadcnt_dscnt 0xa00
	v_mul_f64_e32 v[186:187], v[150:151], v[132:133]
	v_mul_f64_e32 v[132:133], v[152:153], v[132:133]
	v_fmac_f64_e32 v[188:189], v[6:7], v[166:167]
	v_fma_f64 v[190:191], v[4:5], v[166:167], -v[168:169]
	v_add_f64_e32 v[192:193], v[144:145], v[142:143]
	v_add_f64_e32 v[182:183], v[182:183], v[184:185]
	ds_load_b128 v[4:7], v2 offset:1472
	ds_load_b128 v[142:145], v2 offset:1488
	scratch_load_b128 v[166:169], off, off offset:736
	v_fmac_f64_e32 v[186:187], v[152:153], v[130:131]
	v_fma_f64 v[150:151], v[150:151], v[130:131], -v[132:133]
	scratch_load_b128 v[130:133], off, off offset:752
	s_wait_loadcnt_dscnt 0xb01
	v_mul_f64_e32 v[184:185], v[4:5], v[176:177]
	v_mul_f64_e32 v[176:177], v[6:7], v[176:177]
	v_add_f64_e32 v[152:153], v[192:193], v[190:191]
	v_add_f64_e32 v[182:183], v[182:183], v[188:189]
	s_wait_loadcnt_dscnt 0xa00
	v_mul_f64_e32 v[188:189], v[142:143], v[128:129]
	v_mul_f64_e32 v[128:129], v[144:145], v[128:129]
	v_fmac_f64_e32 v[184:185], v[6:7], v[174:175]
	v_fma_f64 v[190:191], v[4:5], v[174:175], -v[176:177]
	v_add_f64_e32 v[192:193], v[152:153], v[150:151]
	v_add_f64_e32 v[182:183], v[182:183], v[186:187]
	ds_load_b128 v[4:7], v2 offset:1504
	ds_load_b128 v[150:153], v2 offset:1520
	scratch_load_b128 v[174:177], off, off offset:768
	v_fmac_f64_e32 v[188:189], v[144:145], v[126:127]
	v_fma_f64 v[142:143], v[142:143], v[126:127], -v[128:129]
	scratch_load_b128 v[126:129], off, off offset:784
	s_wait_loadcnt_dscnt 0xb01
	v_mul_f64_e32 v[186:187], v[4:5], v[156:157]
	v_mul_f64_e32 v[156:157], v[6:7], v[156:157]
	v_add_f64_e32 v[144:145], v[192:193], v[190:191]
	v_add_f64_e32 v[182:183], v[182:183], v[184:185]
	s_wait_loadcnt_dscnt 0xa00
	v_mul_f64_e32 v[184:185], v[150:151], v[136:137]
	v_mul_f64_e32 v[136:137], v[152:153], v[136:137]
	v_fmac_f64_e32 v[186:187], v[6:7], v[154:155]
	v_fma_f64 v[190:191], v[4:5], v[154:155], -v[156:157]
	v_add_f64_e32 v[192:193], v[144:145], v[142:143]
	v_add_f64_e32 v[182:183], v[182:183], v[188:189]
	ds_load_b128 v[4:7], v2 offset:1536
	ds_load_b128 v[142:145], v2 offset:1552
	scratch_load_b128 v[154:157], off, off offset:800
	v_fmac_f64_e32 v[184:185], v[152:153], v[134:135]
	v_fma_f64 v[150:151], v[150:151], v[134:135], -v[136:137]
	scratch_load_b128 v[134:137], off, off offset:816
	s_wait_loadcnt_dscnt 0xb01
	v_mul_f64_e32 v[188:189], v[4:5], v[160:161]
	v_mul_f64_e32 v[160:161], v[6:7], v[160:161]
	v_add_f64_e32 v[152:153], v[192:193], v[190:191]
	v_add_f64_e32 v[182:183], v[182:183], v[186:187]
	s_wait_loadcnt_dscnt 0xa00
	v_mul_f64_e32 v[186:187], v[142:143], v[140:141]
	v_mul_f64_e32 v[140:141], v[144:145], v[140:141]
	v_fmac_f64_e32 v[188:189], v[6:7], v[158:159]
	v_fma_f64 v[190:191], v[4:5], v[158:159], -v[160:161]
	v_add_f64_e32 v[192:193], v[152:153], v[150:151]
	v_add_f64_e32 v[182:183], v[182:183], v[184:185]
	ds_load_b128 v[4:7], v2 offset:1568
	ds_load_b128 v[150:153], v2 offset:1584
	scratch_load_b128 v[158:161], off, off offset:832
	v_fmac_f64_e32 v[186:187], v[144:145], v[138:139]
	v_fma_f64 v[142:143], v[142:143], v[138:139], -v[140:141]
	scratch_load_b128 v[138:141], off, off offset:848
	s_wait_loadcnt_dscnt 0xb01
	v_mul_f64_e32 v[184:185], v[4:5], v[164:165]
	v_mul_f64_e32 v[164:165], v[6:7], v[164:165]
	v_add_f64_e32 v[144:145], v[192:193], v[190:191]
	v_add_f64_e32 v[182:183], v[182:183], v[188:189]
	s_wait_loadcnt_dscnt 0xa00
	v_mul_f64_e32 v[188:189], v[150:151], v[148:149]
	v_mul_f64_e32 v[148:149], v[152:153], v[148:149]
	v_fmac_f64_e32 v[184:185], v[6:7], v[162:163]
	v_fma_f64 v[190:191], v[4:5], v[162:163], -v[164:165]
	v_add_f64_e32 v[192:193], v[144:145], v[142:143]
	v_add_f64_e32 v[182:183], v[182:183], v[186:187]
	ds_load_b128 v[4:7], v2 offset:1600
	ds_load_b128 v[142:145], v2 offset:1616
	scratch_load_b128 v[162:165], off, off offset:864
	v_fmac_f64_e32 v[188:189], v[152:153], v[146:147]
	v_fma_f64 v[150:151], v[150:151], v[146:147], -v[148:149]
	scratch_load_b128 v[146:149], off, off offset:880
	s_wait_loadcnt_dscnt 0xb01
	v_mul_f64_e32 v[186:187], v[4:5], v[180:181]
	v_mul_f64_e32 v[180:181], v[6:7], v[180:181]
	v_add_f64_e32 v[152:153], v[192:193], v[190:191]
	v_add_f64_e32 v[182:183], v[182:183], v[184:185]
	s_wait_loadcnt_dscnt 0xa00
	v_mul_f64_e32 v[184:185], v[142:143], v[10:11]
	v_mul_f64_e32 v[10:11], v[144:145], v[10:11]
	v_fmac_f64_e32 v[186:187], v[6:7], v[178:179]
	v_fma_f64 v[178:179], v[4:5], v[178:179], -v[180:181]
	v_add_f64_e32 v[180:181], v[152:153], v[150:151]
	v_add_f64_e32 v[182:183], v[182:183], v[188:189]
	ds_load_b128 v[4:7], v2 offset:1632
	ds_load_b128 v[150:153], v2 offset:1648
	v_fmac_f64_e32 v[184:185], v[144:145], v[8:9]
	v_fma_f64 v[8:9], v[142:143], v[8:9], -v[10:11]
	s_wait_loadcnt_dscnt 0x901
	v_mul_f64_e32 v[188:189], v[4:5], v[168:169]
	v_mul_f64_e32 v[168:169], v[6:7], v[168:169]
	s_wait_loadcnt_dscnt 0x800
	v_mul_f64_e32 v[144:145], v[150:151], v[132:133]
	v_mul_f64_e32 v[132:133], v[152:153], v[132:133]
	v_add_f64_e32 v[10:11], v[180:181], v[178:179]
	v_add_f64_e32 v[142:143], v[182:183], v[186:187]
	v_fmac_f64_e32 v[188:189], v[6:7], v[166:167]
	v_fma_f64 v[166:167], v[4:5], v[166:167], -v[168:169]
	v_fmac_f64_e32 v[144:145], v[152:153], v[130:131]
	v_fma_f64 v[130:131], v[150:151], v[130:131], -v[132:133]
	v_add_f64_e32 v[168:169], v[10:11], v[8:9]
	v_add_f64_e32 v[142:143], v[142:143], v[184:185]
	ds_load_b128 v[4:7], v2 offset:1664
	ds_load_b128 v[8:11], v2 offset:1680
	s_wait_loadcnt_dscnt 0x701
	v_mul_f64_e32 v[178:179], v[4:5], v[176:177]
	v_mul_f64_e32 v[176:177], v[6:7], v[176:177]
	s_wait_loadcnt_dscnt 0x600
	v_mul_f64_e32 v[150:151], v[8:9], v[128:129]
	v_mul_f64_e32 v[152:153], v[10:11], v[128:129]
	v_add_f64_e32 v[132:133], v[168:169], v[166:167]
	v_add_f64_e32 v[142:143], v[142:143], v[188:189]
	v_fmac_f64_e32 v[178:179], v[6:7], v[174:175]
	v_fma_f64 v[166:167], v[4:5], v[174:175], -v[176:177]
	v_fmac_f64_e32 v[150:151], v[10:11], v[126:127]
	v_fma_f64 v[8:9], v[8:9], v[126:127], -v[152:153]
	v_add_f64_e32 v[132:133], v[132:133], v[130:131]
	v_add_f64_e32 v[142:143], v[142:143], v[144:145]
	ds_load_b128 v[4:7], v2 offset:1696
	ds_load_b128 v[128:131], v2 offset:1712
	s_wait_loadcnt_dscnt 0x501
	v_mul_f64_e32 v[144:145], v[4:5], v[156:157]
	v_mul_f64_e32 v[156:157], v[6:7], v[156:157]
	v_add_f64_e32 v[10:11], v[132:133], v[166:167]
	v_add_f64_e32 v[126:127], v[142:143], v[178:179]
	s_wait_loadcnt_dscnt 0x400
	v_mul_f64_e32 v[132:133], v[128:129], v[136:137]
	v_mul_f64_e32 v[136:137], v[130:131], v[136:137]
	v_fmac_f64_e32 v[144:145], v[6:7], v[154:155]
	v_fma_f64 v[142:143], v[4:5], v[154:155], -v[156:157]
	v_add_f64_e32 v[152:153], v[10:11], v[8:9]
	v_add_f64_e32 v[126:127], v[126:127], v[150:151]
	ds_load_b128 v[4:7], v2 offset:1728
	ds_load_b128 v[8:11], v2 offset:1744
	v_fmac_f64_e32 v[132:133], v[130:131], v[134:135]
	v_fma_f64 v[128:129], v[128:129], v[134:135], -v[136:137]
	s_wait_loadcnt_dscnt 0x301
	v_mul_f64_e32 v[150:151], v[4:5], v[160:161]
	v_mul_f64_e32 v[154:155], v[6:7], v[160:161]
	s_wait_loadcnt_dscnt 0x200
	v_mul_f64_e32 v[134:135], v[8:9], v[140:141]
	v_mul_f64_e32 v[136:137], v[10:11], v[140:141]
	v_add_f64_e32 v[130:131], v[152:153], v[142:143]
	v_add_f64_e32 v[126:127], v[126:127], v[144:145]
	v_fmac_f64_e32 v[150:151], v[6:7], v[158:159]
	v_fma_f64 v[140:141], v[4:5], v[158:159], -v[154:155]
	v_fmac_f64_e32 v[134:135], v[10:11], v[138:139]
	v_fma_f64 v[8:9], v[8:9], v[138:139], -v[136:137]
	v_add_f64_e32 v[130:131], v[130:131], v[128:129]
	v_add_f64_e32 v[132:133], v[126:127], v[132:133]
	ds_load_b128 v[4:7], v2 offset:1760
	ds_load_b128 v[126:129], v2 offset:1776
	s_wait_loadcnt_dscnt 0x101
	v_mul_f64_e32 v[2:3], v[4:5], v[164:165]
	v_mul_f64_e32 v[142:143], v[6:7], v[164:165]
	s_wait_loadcnt_dscnt 0x0
	v_mul_f64_e32 v[136:137], v[128:129], v[148:149]
	v_add_f64_e32 v[10:11], v[130:131], v[140:141]
	v_add_f64_e32 v[130:131], v[132:133], v[150:151]
	v_mul_f64_e32 v[132:133], v[126:127], v[148:149]
	v_fmac_f64_e32 v[2:3], v[6:7], v[162:163]
	v_fma_f64 v[4:5], v[4:5], v[162:163], -v[142:143]
	v_add_f64_e32 v[6:7], v[10:11], v[8:9]
	v_add_f64_e32 v[8:9], v[130:131], v[134:135]
	v_fmac_f64_e32 v[132:133], v[128:129], v[146:147]
	v_fma_f64 v[10:11], v[126:127], v[146:147], -v[136:137]
	s_delay_alu instid0(VALU_DEP_4) | instskip(NEXT) | instid1(VALU_DEP_4)
	v_add_f64_e32 v[4:5], v[6:7], v[4:5]
	v_add_f64_e32 v[2:3], v[8:9], v[2:3]
	s_delay_alu instid0(VALU_DEP_2) | instskip(NEXT) | instid1(VALU_DEP_2)
	v_add_f64_e32 v[4:5], v[4:5], v[10:11]
	v_add_f64_e32 v[6:7], v[2:3], v[132:133]
	s_delay_alu instid0(VALU_DEP_2) | instskip(NEXT) | instid1(VALU_DEP_2)
	v_add_f64_e64 v[2:3], v[170:171], -v[4:5]
	v_add_f64_e64 v[4:5], v[172:173], -v[6:7]
	scratch_store_b128 off, v[2:5], off offset:112
	s_wait_xcnt 0x0
	v_cmpx_lt_u32_e32 6, v1
	s_cbranch_execz .LBB119_337
; %bb.336:
	scratch_load_b128 v[2:5], off, s66
	v_mov_b32_e32 v6, 0
	s_delay_alu instid0(VALU_DEP_1)
	v_dual_mov_b32 v7, v6 :: v_dual_mov_b32 v8, v6
	v_mov_b32_e32 v9, v6
	scratch_store_b128 off, v[6:9], off offset:96
	s_wait_loadcnt 0x0
	ds_store_b128 v12, v[2:5]
.LBB119_337:
	s_wait_xcnt 0x0
	s_or_b32 exec_lo, exec_lo, s2
	s_wait_storecnt_dscnt 0x0
	s_barrier_signal -1
	s_barrier_wait -1
	s_clause 0x9
	scratch_load_b128 v[4:7], off, off offset:112
	scratch_load_b128 v[8:11], off, off offset:128
	;; [unrolled: 1-line block ×10, first 2 shown]
	v_mov_b32_e32 v2, 0
	s_mov_b32 s2, exec_lo
	ds_load_b128 v[158:161], v2 offset:1008
	s_clause 0x2
	scratch_load_b128 v[162:165], off, off offset:272
	scratch_load_b128 v[166:169], off, off offset:96
	;; [unrolled: 1-line block ×3, first 2 shown]
	s_wait_loadcnt_dscnt 0xc00
	v_mul_f64_e32 v[178:179], v[160:161], v[6:7]
	v_mul_f64_e32 v[182:183], v[158:159], v[6:7]
	ds_load_b128 v[170:173], v2 offset:1024
	v_fma_f64 v[186:187], v[158:159], v[4:5], -v[178:179]
	v_fmac_f64_e32 v[182:183], v[160:161], v[4:5]
	ds_load_b128 v[4:7], v2 offset:1040
	s_wait_loadcnt_dscnt 0xb01
	v_mul_f64_e32 v[184:185], v[170:171], v[10:11]
	v_mul_f64_e32 v[10:11], v[172:173], v[10:11]
	scratch_load_b128 v[158:161], off, off offset:304
	ds_load_b128 v[178:181], v2 offset:1056
	s_wait_loadcnt_dscnt 0xb01
	v_mul_f64_e32 v[188:189], v[4:5], v[128:129]
	v_mul_f64_e32 v[128:129], v[6:7], v[128:129]
	v_add_f64_e32 v[182:183], 0, v[182:183]
	v_fmac_f64_e32 v[184:185], v[172:173], v[8:9]
	v_fma_f64 v[170:171], v[170:171], v[8:9], -v[10:11]
	v_add_f64_e32 v[172:173], 0, v[186:187]
	scratch_load_b128 v[8:11], off, off offset:320
	v_fmac_f64_e32 v[188:189], v[6:7], v[126:127]
	v_fma_f64 v[190:191], v[4:5], v[126:127], -v[128:129]
	ds_load_b128 v[4:7], v2 offset:1072
	s_wait_loadcnt_dscnt 0xb01
	v_mul_f64_e32 v[186:187], v[178:179], v[132:133]
	v_mul_f64_e32 v[132:133], v[180:181], v[132:133]
	scratch_load_b128 v[126:129], off, off offset:336
	v_add_f64_e32 v[182:183], v[182:183], v[184:185]
	v_add_f64_e32 v[192:193], v[172:173], v[170:171]
	ds_load_b128 v[170:173], v2 offset:1088
	s_wait_loadcnt_dscnt 0xb01
	v_mul_f64_e32 v[184:185], v[4:5], v[136:137]
	v_mul_f64_e32 v[136:137], v[6:7], v[136:137]
	v_fmac_f64_e32 v[186:187], v[180:181], v[130:131]
	v_fma_f64 v[178:179], v[178:179], v[130:131], -v[132:133]
	scratch_load_b128 v[130:133], off, off offset:352
	v_add_f64_e32 v[182:183], v[182:183], v[188:189]
	v_add_f64_e32 v[180:181], v[192:193], v[190:191]
	v_fmac_f64_e32 v[184:185], v[6:7], v[134:135]
	v_fma_f64 v[190:191], v[4:5], v[134:135], -v[136:137]
	ds_load_b128 v[4:7], v2 offset:1104
	s_wait_loadcnt_dscnt 0xb01
	v_mul_f64_e32 v[188:189], v[170:171], v[140:141]
	v_mul_f64_e32 v[140:141], v[172:173], v[140:141]
	scratch_load_b128 v[134:137], off, off offset:368
	v_add_f64_e32 v[182:183], v[182:183], v[186:187]
	s_wait_loadcnt_dscnt 0xb00
	v_mul_f64_e32 v[186:187], v[4:5], v[144:145]
	v_add_f64_e32 v[192:193], v[180:181], v[178:179]
	v_mul_f64_e32 v[144:145], v[6:7], v[144:145]
	ds_load_b128 v[178:181], v2 offset:1120
	v_fmac_f64_e32 v[188:189], v[172:173], v[138:139]
	v_fma_f64 v[170:171], v[170:171], v[138:139], -v[140:141]
	scratch_load_b128 v[138:141], off, off offset:384
	v_add_f64_e32 v[182:183], v[182:183], v[184:185]
	v_fmac_f64_e32 v[186:187], v[6:7], v[142:143]
	v_add_f64_e32 v[172:173], v[192:193], v[190:191]
	v_fma_f64 v[190:191], v[4:5], v[142:143], -v[144:145]
	ds_load_b128 v[4:7], v2 offset:1136
	s_wait_loadcnt_dscnt 0xb01
	v_mul_f64_e32 v[184:185], v[178:179], v[148:149]
	v_mul_f64_e32 v[148:149], v[180:181], v[148:149]
	scratch_load_b128 v[142:145], off, off offset:400
	v_add_f64_e32 v[182:183], v[182:183], v[188:189]
	s_wait_loadcnt_dscnt 0xb00
	v_mul_f64_e32 v[188:189], v[4:5], v[152:153]
	v_add_f64_e32 v[192:193], v[172:173], v[170:171]
	v_mul_f64_e32 v[152:153], v[6:7], v[152:153]
	ds_load_b128 v[170:173], v2 offset:1152
	v_fmac_f64_e32 v[184:185], v[180:181], v[146:147]
	v_fma_f64 v[178:179], v[178:179], v[146:147], -v[148:149]
	scratch_load_b128 v[146:149], off, off offset:416
	v_add_f64_e32 v[182:183], v[182:183], v[186:187]
	v_fmac_f64_e32 v[188:189], v[6:7], v[150:151]
	v_add_f64_e32 v[180:181], v[192:193], v[190:191]
	;; [unrolled: 18-line block ×3, first 2 shown]
	v_fma_f64 v[190:191], v[4:5], v[162:163], -v[164:165]
	ds_load_b128 v[4:7], v2 offset:1200
	s_wait_loadcnt_dscnt 0xa01
	v_mul_f64_e32 v[188:189], v[178:179], v[176:177]
	v_mul_f64_e32 v[176:177], v[180:181], v[176:177]
	scratch_load_b128 v[162:165], off, off offset:464
	v_add_f64_e32 v[182:183], v[182:183], v[186:187]
	v_add_f64_e32 v[192:193], v[172:173], v[170:171]
	s_wait_loadcnt_dscnt 0xa00
	v_mul_f64_e32 v[186:187], v[4:5], v[160:161]
	v_mul_f64_e32 v[160:161], v[6:7], v[160:161]
	v_fmac_f64_e32 v[188:189], v[180:181], v[174:175]
	v_fma_f64 v[178:179], v[178:179], v[174:175], -v[176:177]
	ds_load_b128 v[170:173], v2 offset:1216
	scratch_load_b128 v[174:177], off, off offset:480
	v_add_f64_e32 v[182:183], v[182:183], v[184:185]
	v_add_f64_e32 v[180:181], v[192:193], v[190:191]
	v_fmac_f64_e32 v[186:187], v[6:7], v[158:159]
	v_fma_f64 v[190:191], v[4:5], v[158:159], -v[160:161]
	ds_load_b128 v[4:7], v2 offset:1232
	s_wait_loadcnt_dscnt 0xa01
	v_mul_f64_e32 v[184:185], v[170:171], v[10:11]
	v_mul_f64_e32 v[10:11], v[172:173], v[10:11]
	scratch_load_b128 v[158:161], off, off offset:496
	v_add_f64_e32 v[182:183], v[182:183], v[188:189]
	s_wait_loadcnt_dscnt 0xa00
	v_mul_f64_e32 v[188:189], v[4:5], v[128:129]
	v_add_f64_e32 v[192:193], v[180:181], v[178:179]
	v_mul_f64_e32 v[128:129], v[6:7], v[128:129]
	ds_load_b128 v[178:181], v2 offset:1248
	v_fmac_f64_e32 v[184:185], v[172:173], v[8:9]
	v_fma_f64 v[170:171], v[170:171], v[8:9], -v[10:11]
	scratch_load_b128 v[8:11], off, off offset:512
	v_add_f64_e32 v[182:183], v[182:183], v[186:187]
	v_fmac_f64_e32 v[188:189], v[6:7], v[126:127]
	v_add_f64_e32 v[172:173], v[192:193], v[190:191]
	v_fma_f64 v[190:191], v[4:5], v[126:127], -v[128:129]
	ds_load_b128 v[4:7], v2 offset:1264
	s_wait_loadcnt_dscnt 0xa01
	v_mul_f64_e32 v[186:187], v[178:179], v[132:133]
	v_mul_f64_e32 v[132:133], v[180:181], v[132:133]
	scratch_load_b128 v[126:129], off, off offset:528
	v_add_f64_e32 v[182:183], v[182:183], v[184:185]
	s_wait_loadcnt_dscnt 0xa00
	v_mul_f64_e32 v[184:185], v[4:5], v[136:137]
	v_add_f64_e32 v[192:193], v[172:173], v[170:171]
	v_mul_f64_e32 v[136:137], v[6:7], v[136:137]
	ds_load_b128 v[170:173], v2 offset:1280
	v_fmac_f64_e32 v[186:187], v[180:181], v[130:131]
	v_fma_f64 v[178:179], v[178:179], v[130:131], -v[132:133]
	scratch_load_b128 v[130:133], off, off offset:544
	v_add_f64_e32 v[182:183], v[182:183], v[188:189]
	v_fmac_f64_e32 v[184:185], v[6:7], v[134:135]
	v_add_f64_e32 v[180:181], v[192:193], v[190:191]
	;; [unrolled: 18-line block ×12, first 2 shown]
	v_fma_f64 v[190:191], v[4:5], v[158:159], -v[160:161]
	ds_load_b128 v[4:7], v2 offset:1616
	s_wait_loadcnt_dscnt 0xa01
	v_mul_f64_e32 v[184:185], v[170:171], v[10:11]
	v_mul_f64_e32 v[10:11], v[172:173], v[10:11]
	scratch_load_b128 v[158:161], off, off offset:880
	v_add_f64_e32 v[182:183], v[182:183], v[188:189]
	s_wait_loadcnt_dscnt 0xa00
	v_mul_f64_e32 v[188:189], v[4:5], v[128:129]
	v_add_f64_e32 v[192:193], v[180:181], v[178:179]
	v_mul_f64_e32 v[128:129], v[6:7], v[128:129]
	ds_load_b128 v[178:181], v2 offset:1632
	v_fmac_f64_e32 v[184:185], v[172:173], v[8:9]
	v_fma_f64 v[8:9], v[170:171], v[8:9], -v[10:11]
	s_wait_loadcnt_dscnt 0x900
	v_mul_f64_e32 v[172:173], v[178:179], v[132:133]
	v_mul_f64_e32 v[132:133], v[180:181], v[132:133]
	v_add_f64_e32 v[170:171], v[182:183], v[186:187]
	v_fmac_f64_e32 v[188:189], v[6:7], v[126:127]
	v_add_f64_e32 v[10:11], v[192:193], v[190:191]
	v_fma_f64 v[126:127], v[4:5], v[126:127], -v[128:129]
	v_fmac_f64_e32 v[172:173], v[180:181], v[130:131]
	v_fma_f64 v[130:131], v[178:179], v[130:131], -v[132:133]
	v_add_f64_e32 v[170:171], v[170:171], v[184:185]
	v_add_f64_e32 v[128:129], v[10:11], v[8:9]
	ds_load_b128 v[4:7], v2 offset:1648
	ds_load_b128 v[8:11], v2 offset:1664
	s_wait_loadcnt_dscnt 0x801
	v_mul_f64_e32 v[182:183], v[4:5], v[136:137]
	v_mul_f64_e32 v[136:137], v[6:7], v[136:137]
	s_wait_loadcnt_dscnt 0x700
	v_mul_f64_e32 v[132:133], v[8:9], v[140:141]
	v_mul_f64_e32 v[140:141], v[10:11], v[140:141]
	v_add_f64_e32 v[126:127], v[128:129], v[126:127]
	v_add_f64_e32 v[128:129], v[170:171], v[188:189]
	v_fmac_f64_e32 v[182:183], v[6:7], v[134:135]
	v_fma_f64 v[134:135], v[4:5], v[134:135], -v[136:137]
	v_fmac_f64_e32 v[132:133], v[10:11], v[138:139]
	v_fma_f64 v[8:9], v[8:9], v[138:139], -v[140:141]
	v_add_f64_e32 v[130:131], v[126:127], v[130:131]
	v_add_f64_e32 v[136:137], v[128:129], v[172:173]
	ds_load_b128 v[4:7], v2 offset:1680
	ds_load_b128 v[126:129], v2 offset:1696
	s_wait_loadcnt_dscnt 0x601
	v_mul_f64_e32 v[170:171], v[4:5], v[144:145]
	v_mul_f64_e32 v[144:145], v[6:7], v[144:145]
	v_add_f64_e32 v[10:11], v[130:131], v[134:135]
	v_add_f64_e32 v[130:131], v[136:137], v[182:183]
	s_wait_loadcnt_dscnt 0x500
	v_mul_f64_e32 v[134:135], v[126:127], v[148:149]
	v_mul_f64_e32 v[136:137], v[128:129], v[148:149]
	v_fmac_f64_e32 v[170:171], v[6:7], v[142:143]
	v_fma_f64 v[138:139], v[4:5], v[142:143], -v[144:145]
	v_add_f64_e32 v[140:141], v[10:11], v[8:9]
	v_add_f64_e32 v[130:131], v[130:131], v[132:133]
	ds_load_b128 v[4:7], v2 offset:1712
	ds_load_b128 v[8:11], v2 offset:1728
	v_fmac_f64_e32 v[134:135], v[128:129], v[146:147]
	v_fma_f64 v[126:127], v[126:127], v[146:147], -v[136:137]
	s_wait_loadcnt_dscnt 0x401
	v_mul_f64_e32 v[132:133], v[4:5], v[152:153]
	v_mul_f64_e32 v[142:143], v[6:7], v[152:153]
	s_wait_loadcnt_dscnt 0x300
	v_mul_f64_e32 v[136:137], v[8:9], v[156:157]
	v_add_f64_e32 v[128:129], v[140:141], v[138:139]
	v_add_f64_e32 v[130:131], v[130:131], v[170:171]
	v_mul_f64_e32 v[138:139], v[10:11], v[156:157]
	v_fmac_f64_e32 v[132:133], v[6:7], v[150:151]
	v_fma_f64 v[140:141], v[4:5], v[150:151], -v[142:143]
	v_fmac_f64_e32 v[136:137], v[10:11], v[154:155]
	v_add_f64_e32 v[142:143], v[128:129], v[126:127]
	v_add_f64_e32 v[130:131], v[130:131], v[134:135]
	ds_load_b128 v[4:7], v2 offset:1744
	ds_load_b128 v[126:129], v2 offset:1760
	v_fma_f64 v[8:9], v[8:9], v[154:155], -v[138:139]
	s_wait_loadcnt_dscnt 0x201
	v_mul_f64_e32 v[134:135], v[4:5], v[164:165]
	v_mul_f64_e32 v[144:145], v[6:7], v[164:165]
	s_wait_loadcnt_dscnt 0x100
	v_mul_f64_e32 v[138:139], v[128:129], v[176:177]
	v_add_f64_e32 v[10:11], v[142:143], v[140:141]
	v_add_f64_e32 v[130:131], v[130:131], v[132:133]
	v_mul_f64_e32 v[132:133], v[126:127], v[176:177]
	v_fmac_f64_e32 v[134:135], v[6:7], v[162:163]
	v_fma_f64 v[140:141], v[4:5], v[162:163], -v[144:145]
	ds_load_b128 v[4:7], v2 offset:1776
	v_fma_f64 v[126:127], v[126:127], v[174:175], -v[138:139]
	v_add_f64_e32 v[8:9], v[10:11], v[8:9]
	v_add_f64_e32 v[10:11], v[130:131], v[136:137]
	v_fmac_f64_e32 v[132:133], v[128:129], v[174:175]
	s_wait_loadcnt_dscnt 0x0
	v_mul_f64_e32 v[130:131], v[4:5], v[160:161]
	v_mul_f64_e32 v[136:137], v[6:7], v[160:161]
	v_add_f64_e32 v[8:9], v[8:9], v[140:141]
	v_add_f64_e32 v[10:11], v[10:11], v[134:135]
	s_delay_alu instid0(VALU_DEP_4) | instskip(NEXT) | instid1(VALU_DEP_4)
	v_fmac_f64_e32 v[130:131], v[6:7], v[158:159]
	v_fma_f64 v[4:5], v[4:5], v[158:159], -v[136:137]
	s_delay_alu instid0(VALU_DEP_4) | instskip(NEXT) | instid1(VALU_DEP_4)
	v_add_f64_e32 v[6:7], v[8:9], v[126:127]
	v_add_f64_e32 v[8:9], v[10:11], v[132:133]
	s_delay_alu instid0(VALU_DEP_2) | instskip(NEXT) | instid1(VALU_DEP_2)
	v_add_f64_e32 v[4:5], v[6:7], v[4:5]
	v_add_f64_e32 v[6:7], v[8:9], v[130:131]
	s_delay_alu instid0(VALU_DEP_2) | instskip(NEXT) | instid1(VALU_DEP_2)
	v_add_f64_e64 v[4:5], v[166:167], -v[4:5]
	v_add_f64_e64 v[6:7], v[168:169], -v[6:7]
	scratch_store_b128 off, v[4:7], off offset:96
	s_wait_xcnt 0x0
	v_cmpx_lt_u32_e32 5, v1
	s_cbranch_execz .LBB119_339
; %bb.338:
	scratch_load_b128 v[6:9], off, s67
	v_dual_mov_b32 v3, v2 :: v_dual_mov_b32 v4, v2
	v_mov_b32_e32 v5, v2
	scratch_store_b128 off, v[2:5], off offset:80
	s_wait_loadcnt 0x0
	ds_store_b128 v12, v[6:9]
.LBB119_339:
	s_wait_xcnt 0x0
	s_or_b32 exec_lo, exec_lo, s2
	s_wait_storecnt_dscnt 0x0
	s_barrier_signal -1
	s_barrier_wait -1
	s_clause 0x9
	scratch_load_b128 v[4:7], off, off offset:96
	scratch_load_b128 v[8:11], off, off offset:112
	;; [unrolled: 1-line block ×10, first 2 shown]
	ds_load_b128 v[158:161], v2 offset:992
	ds_load_b128 v[166:169], v2 offset:1008
	s_clause 0x2
	scratch_load_b128 v[162:165], off, off offset:256
	scratch_load_b128 v[170:173], off, off offset:80
	;; [unrolled: 1-line block ×3, first 2 shown]
	s_mov_b32 s2, exec_lo
	s_wait_loadcnt_dscnt 0xc01
	v_mul_f64_e32 v[178:179], v[160:161], v[6:7]
	v_mul_f64_e32 v[182:183], v[158:159], v[6:7]
	s_wait_loadcnt_dscnt 0xb00
	v_mul_f64_e32 v[184:185], v[166:167], v[10:11]
	v_mul_f64_e32 v[10:11], v[168:169], v[10:11]
	s_delay_alu instid0(VALU_DEP_4) | instskip(NEXT) | instid1(VALU_DEP_4)
	v_fma_f64 v[186:187], v[158:159], v[4:5], -v[178:179]
	v_fmac_f64_e32 v[182:183], v[160:161], v[4:5]
	ds_load_b128 v[4:7], v2 offset:1024
	ds_load_b128 v[158:161], v2 offset:1040
	scratch_load_b128 v[178:181], off, off offset:288
	v_fmac_f64_e32 v[184:185], v[168:169], v[8:9]
	v_fma_f64 v[166:167], v[166:167], v[8:9], -v[10:11]
	scratch_load_b128 v[8:11], off, off offset:304
	s_wait_loadcnt_dscnt 0xc01
	v_mul_f64_e32 v[188:189], v[4:5], v[128:129]
	v_mul_f64_e32 v[128:129], v[6:7], v[128:129]
	v_add_f64_e32 v[168:169], 0, v[186:187]
	v_add_f64_e32 v[182:183], 0, v[182:183]
	s_wait_loadcnt_dscnt 0xb00
	v_mul_f64_e32 v[186:187], v[158:159], v[132:133]
	v_mul_f64_e32 v[132:133], v[160:161], v[132:133]
	v_fmac_f64_e32 v[188:189], v[6:7], v[126:127]
	v_fma_f64 v[190:191], v[4:5], v[126:127], -v[128:129]
	ds_load_b128 v[4:7], v2 offset:1056
	ds_load_b128 v[126:129], v2 offset:1072
	v_add_f64_e32 v[192:193], v[168:169], v[166:167]
	v_add_f64_e32 v[182:183], v[182:183], v[184:185]
	scratch_load_b128 v[166:169], off, off offset:320
	v_fmac_f64_e32 v[186:187], v[160:161], v[130:131]
	v_fma_f64 v[158:159], v[158:159], v[130:131], -v[132:133]
	scratch_load_b128 v[130:133], off, off offset:336
	s_wait_loadcnt_dscnt 0xc01
	v_mul_f64_e32 v[184:185], v[4:5], v[136:137]
	v_mul_f64_e32 v[136:137], v[6:7], v[136:137]
	v_add_f64_e32 v[160:161], v[192:193], v[190:191]
	v_add_f64_e32 v[182:183], v[182:183], v[188:189]
	s_wait_loadcnt_dscnt 0xb00
	v_mul_f64_e32 v[188:189], v[126:127], v[140:141]
	v_mul_f64_e32 v[140:141], v[128:129], v[140:141]
	v_fmac_f64_e32 v[184:185], v[6:7], v[134:135]
	v_fma_f64 v[190:191], v[4:5], v[134:135], -v[136:137]
	ds_load_b128 v[4:7], v2 offset:1088
	ds_load_b128 v[134:137], v2 offset:1104
	v_add_f64_e32 v[192:193], v[160:161], v[158:159]
	v_add_f64_e32 v[182:183], v[182:183], v[186:187]
	scratch_load_b128 v[158:161], off, off offset:352
	s_wait_loadcnt_dscnt 0xb01
	v_mul_f64_e32 v[186:187], v[4:5], v[144:145]
	v_mul_f64_e32 v[144:145], v[6:7], v[144:145]
	v_fmac_f64_e32 v[188:189], v[128:129], v[138:139]
	v_fma_f64 v[138:139], v[126:127], v[138:139], -v[140:141]
	scratch_load_b128 v[126:129], off, off offset:368
	v_add_f64_e32 v[140:141], v[192:193], v[190:191]
	v_add_f64_e32 v[182:183], v[182:183], v[184:185]
	s_wait_loadcnt_dscnt 0xb00
	v_mul_f64_e32 v[184:185], v[134:135], v[148:149]
	v_mul_f64_e32 v[148:149], v[136:137], v[148:149]
	v_fmac_f64_e32 v[186:187], v[6:7], v[142:143]
	v_fma_f64 v[190:191], v[4:5], v[142:143], -v[144:145]
	v_add_f64_e32 v[192:193], v[140:141], v[138:139]
	v_add_f64_e32 v[182:183], v[182:183], v[188:189]
	ds_load_b128 v[4:7], v2 offset:1120
	ds_load_b128 v[138:141], v2 offset:1136
	scratch_load_b128 v[142:145], off, off offset:384
	v_fmac_f64_e32 v[184:185], v[136:137], v[146:147]
	v_fma_f64 v[146:147], v[134:135], v[146:147], -v[148:149]
	scratch_load_b128 v[134:137], off, off offset:400
	s_wait_loadcnt_dscnt 0xc01
	v_mul_f64_e32 v[188:189], v[4:5], v[152:153]
	v_mul_f64_e32 v[152:153], v[6:7], v[152:153]
	v_add_f64_e32 v[148:149], v[192:193], v[190:191]
	v_add_f64_e32 v[182:183], v[182:183], v[186:187]
	s_wait_loadcnt_dscnt 0xb00
	v_mul_f64_e32 v[186:187], v[138:139], v[156:157]
	v_mul_f64_e32 v[156:157], v[140:141], v[156:157]
	v_fmac_f64_e32 v[188:189], v[6:7], v[150:151]
	v_fma_f64 v[190:191], v[4:5], v[150:151], -v[152:153]
	v_add_f64_e32 v[192:193], v[148:149], v[146:147]
	v_add_f64_e32 v[182:183], v[182:183], v[184:185]
	ds_load_b128 v[4:7], v2 offset:1152
	ds_load_b128 v[146:149], v2 offset:1168
	scratch_load_b128 v[150:153], off, off offset:416
	v_fmac_f64_e32 v[186:187], v[140:141], v[154:155]
	v_fma_f64 v[154:155], v[138:139], v[154:155], -v[156:157]
	scratch_load_b128 v[138:141], off, off offset:432
	s_wait_loadcnt_dscnt 0xc01
	v_mul_f64_e32 v[184:185], v[4:5], v[164:165]
	v_mul_f64_e32 v[164:165], v[6:7], v[164:165]
	;; [unrolled: 18-line block ×5, first 2 shown]
	v_add_f64_e32 v[176:177], v[192:193], v[190:191]
	v_add_f64_e32 v[182:183], v[182:183], v[188:189]
	s_wait_loadcnt_dscnt 0xa00
	v_mul_f64_e32 v[188:189], v[154:155], v[128:129]
	v_mul_f64_e32 v[128:129], v[156:157], v[128:129]
	v_fmac_f64_e32 v[184:185], v[6:7], v[158:159]
	v_fma_f64 v[190:191], v[4:5], v[158:159], -v[160:161]
	ds_load_b128 v[4:7], v2 offset:1280
	ds_load_b128 v[158:161], v2 offset:1296
	v_add_f64_e32 v[192:193], v[176:177], v[174:175]
	v_add_f64_e32 v[182:183], v[182:183], v[186:187]
	scratch_load_b128 v[174:177], off, off offset:544
	v_fmac_f64_e32 v[188:189], v[156:157], v[126:127]
	v_fma_f64 v[154:155], v[154:155], v[126:127], -v[128:129]
	scratch_load_b128 v[126:129], off, off offset:560
	s_wait_loadcnt_dscnt 0xb01
	v_mul_f64_e32 v[186:187], v[4:5], v[144:145]
	v_mul_f64_e32 v[144:145], v[6:7], v[144:145]
	v_add_f64_e32 v[156:157], v[192:193], v[190:191]
	v_add_f64_e32 v[182:183], v[182:183], v[184:185]
	s_wait_loadcnt_dscnt 0xa00
	v_mul_f64_e32 v[184:185], v[158:159], v[136:137]
	v_mul_f64_e32 v[136:137], v[160:161], v[136:137]
	v_fmac_f64_e32 v[186:187], v[6:7], v[142:143]
	v_fma_f64 v[190:191], v[4:5], v[142:143], -v[144:145]
	ds_load_b128 v[4:7], v2 offset:1312
	ds_load_b128 v[142:145], v2 offset:1328
	v_add_f64_e32 v[192:193], v[156:157], v[154:155]
	v_add_f64_e32 v[182:183], v[182:183], v[188:189]
	scratch_load_b128 v[154:157], off, off offset:576
	s_wait_loadcnt_dscnt 0xa01
	v_mul_f64_e32 v[188:189], v[4:5], v[152:153]
	v_mul_f64_e32 v[152:153], v[6:7], v[152:153]
	v_fmac_f64_e32 v[184:185], v[160:161], v[134:135]
	v_fma_f64 v[158:159], v[158:159], v[134:135], -v[136:137]
	scratch_load_b128 v[134:137], off, off offset:592
	v_add_f64_e32 v[160:161], v[192:193], v[190:191]
	v_add_f64_e32 v[182:183], v[182:183], v[186:187]
	s_wait_loadcnt_dscnt 0xa00
	v_mul_f64_e32 v[186:187], v[142:143], v[140:141]
	v_mul_f64_e32 v[140:141], v[144:145], v[140:141]
	v_fmac_f64_e32 v[188:189], v[6:7], v[150:151]
	v_fma_f64 v[190:191], v[4:5], v[150:151], -v[152:153]
	ds_load_b128 v[4:7], v2 offset:1344
	ds_load_b128 v[150:153], v2 offset:1360
	v_add_f64_e32 v[192:193], v[160:161], v[158:159]
	v_add_f64_e32 v[182:183], v[182:183], v[184:185]
	scratch_load_b128 v[158:161], off, off offset:608
	s_wait_loadcnt_dscnt 0xa01
	v_mul_f64_e32 v[184:185], v[4:5], v[164:165]
	v_mul_f64_e32 v[164:165], v[6:7], v[164:165]
	v_fmac_f64_e32 v[186:187], v[144:145], v[138:139]
	v_fma_f64 v[142:143], v[142:143], v[138:139], -v[140:141]
	scratch_load_b128 v[138:141], off, off offset:624
	v_add_f64_e32 v[144:145], v[192:193], v[190:191]
	v_add_f64_e32 v[182:183], v[182:183], v[188:189]
	s_wait_loadcnt_dscnt 0xa00
	v_mul_f64_e32 v[188:189], v[150:151], v[148:149]
	v_mul_f64_e32 v[148:149], v[152:153], v[148:149]
	v_fmac_f64_e32 v[184:185], v[6:7], v[162:163]
	v_fma_f64 v[190:191], v[4:5], v[162:163], -v[164:165]
	v_add_f64_e32 v[192:193], v[144:145], v[142:143]
	v_add_f64_e32 v[182:183], v[182:183], v[186:187]
	ds_load_b128 v[4:7], v2 offset:1376
	ds_load_b128 v[142:145], v2 offset:1392
	scratch_load_b128 v[162:165], off, off offset:640
	v_fmac_f64_e32 v[188:189], v[152:153], v[146:147]
	v_fma_f64 v[150:151], v[150:151], v[146:147], -v[148:149]
	scratch_load_b128 v[146:149], off, off offset:656
	s_wait_loadcnt_dscnt 0xb01
	v_mul_f64_e32 v[186:187], v[4:5], v[180:181]
	v_mul_f64_e32 v[180:181], v[6:7], v[180:181]
	v_add_f64_e32 v[152:153], v[192:193], v[190:191]
	v_add_f64_e32 v[182:183], v[182:183], v[184:185]
	s_wait_loadcnt_dscnt 0xa00
	v_mul_f64_e32 v[184:185], v[142:143], v[10:11]
	v_mul_f64_e32 v[10:11], v[144:145], v[10:11]
	v_fmac_f64_e32 v[186:187], v[6:7], v[178:179]
	v_fma_f64 v[190:191], v[4:5], v[178:179], -v[180:181]
	v_add_f64_e32 v[192:193], v[152:153], v[150:151]
	v_add_f64_e32 v[182:183], v[182:183], v[188:189]
	ds_load_b128 v[4:7], v2 offset:1408
	ds_load_b128 v[150:153], v2 offset:1424
	scratch_load_b128 v[178:181], off, off offset:672
	v_fmac_f64_e32 v[184:185], v[144:145], v[8:9]
	v_fma_f64 v[142:143], v[142:143], v[8:9], -v[10:11]
	scratch_load_b128 v[8:11], off, off offset:688
	s_wait_loadcnt_dscnt 0xb01
	v_mul_f64_e32 v[188:189], v[4:5], v[168:169]
	v_mul_f64_e32 v[168:169], v[6:7], v[168:169]
	;; [unrolled: 18-line block ×8, first 2 shown]
	v_add_f64_e32 v[144:145], v[192:193], v[190:191]
	v_add_f64_e32 v[182:183], v[182:183], v[186:187]
	s_wait_loadcnt_dscnt 0xa00
	v_mul_f64_e32 v[186:187], v[150:151], v[132:133]
	v_mul_f64_e32 v[132:133], v[152:153], v[132:133]
	v_fmac_f64_e32 v[188:189], v[6:7], v[166:167]
	v_fma_f64 v[166:167], v[4:5], v[166:167], -v[168:169]
	v_add_f64_e32 v[168:169], v[144:145], v[142:143]
	v_add_f64_e32 v[182:183], v[182:183], v[184:185]
	ds_load_b128 v[4:7], v2 offset:1632
	ds_load_b128 v[142:145], v2 offset:1648
	v_fmac_f64_e32 v[186:187], v[152:153], v[130:131]
	v_fma_f64 v[130:131], v[150:151], v[130:131], -v[132:133]
	s_wait_loadcnt_dscnt 0x901
	v_mul_f64_e32 v[184:185], v[4:5], v[176:177]
	v_mul_f64_e32 v[176:177], v[6:7], v[176:177]
	s_wait_loadcnt_dscnt 0x800
	v_mul_f64_e32 v[152:153], v[142:143], v[128:129]
	v_add_f64_e32 v[132:133], v[168:169], v[166:167]
	v_add_f64_e32 v[150:151], v[182:183], v[188:189]
	v_mul_f64_e32 v[166:167], v[144:145], v[128:129]
	v_fmac_f64_e32 v[184:185], v[6:7], v[174:175]
	v_fma_f64 v[168:169], v[4:5], v[174:175], -v[176:177]
	v_fmac_f64_e32 v[152:153], v[144:145], v[126:127]
	v_add_f64_e32 v[132:133], v[132:133], v[130:131]
	v_add_f64_e32 v[150:151], v[150:151], v[186:187]
	ds_load_b128 v[4:7], v2 offset:1664
	ds_load_b128 v[128:131], v2 offset:1680
	v_fma_f64 v[126:127], v[142:143], v[126:127], -v[166:167]
	s_wait_loadcnt_dscnt 0x701
	v_mul_f64_e32 v[174:175], v[4:5], v[156:157]
	v_mul_f64_e32 v[156:157], v[6:7], v[156:157]
	v_add_f64_e32 v[132:133], v[132:133], v[168:169]
	v_add_f64_e32 v[142:143], v[150:151], v[184:185]
	s_wait_loadcnt_dscnt 0x600
	v_mul_f64_e32 v[150:151], v[128:129], v[136:137]
	v_mul_f64_e32 v[136:137], v[130:131], v[136:137]
	v_fmac_f64_e32 v[174:175], v[6:7], v[154:155]
	v_fma_f64 v[154:155], v[4:5], v[154:155], -v[156:157]
	v_add_f64_e32 v[126:127], v[132:133], v[126:127]
	v_add_f64_e32 v[132:133], v[142:143], v[152:153]
	ds_load_b128 v[4:7], v2 offset:1696
	ds_load_b128 v[142:145], v2 offset:1712
	v_fmac_f64_e32 v[150:151], v[130:131], v[134:135]
	v_fma_f64 v[128:129], v[128:129], v[134:135], -v[136:137]
	s_wait_loadcnt_dscnt 0x501
	v_mul_f64_e32 v[152:153], v[4:5], v[160:161]
	v_mul_f64_e32 v[156:157], v[6:7], v[160:161]
	s_wait_loadcnt_dscnt 0x400
	v_mul_f64_e32 v[134:135], v[144:145], v[140:141]
	v_add_f64_e32 v[126:127], v[126:127], v[154:155]
	v_add_f64_e32 v[130:131], v[132:133], v[174:175]
	v_mul_f64_e32 v[132:133], v[142:143], v[140:141]
	v_fmac_f64_e32 v[152:153], v[6:7], v[158:159]
	v_fma_f64 v[136:137], v[4:5], v[158:159], -v[156:157]
	v_fma_f64 v[134:135], v[142:143], v[138:139], -v[134:135]
	v_add_f64_e32 v[140:141], v[126:127], v[128:129]
	v_add_f64_e32 v[130:131], v[130:131], v[150:151]
	ds_load_b128 v[4:7], v2 offset:1728
	ds_load_b128 v[126:129], v2 offset:1744
	v_fmac_f64_e32 v[132:133], v[144:145], v[138:139]
	s_wait_loadcnt_dscnt 0x301
	v_mul_f64_e32 v[150:151], v[4:5], v[164:165]
	v_mul_f64_e32 v[154:155], v[6:7], v[164:165]
	s_wait_loadcnt_dscnt 0x200
	v_mul_f64_e32 v[138:139], v[126:127], v[148:149]
	v_add_f64_e32 v[136:137], v[140:141], v[136:137]
	v_add_f64_e32 v[130:131], v[130:131], v[152:153]
	v_mul_f64_e32 v[140:141], v[128:129], v[148:149]
	v_fmac_f64_e32 v[150:151], v[6:7], v[162:163]
	v_fma_f64 v[142:143], v[4:5], v[162:163], -v[154:155]
	v_fmac_f64_e32 v[138:139], v[128:129], v[146:147]
	v_add_f64_e32 v[134:135], v[136:137], v[134:135]
	v_add_f64_e32 v[136:137], v[130:131], v[132:133]
	ds_load_b128 v[4:7], v2 offset:1760
	ds_load_b128 v[130:133], v2 offset:1776
	v_fma_f64 v[126:127], v[126:127], v[146:147], -v[140:141]
	s_wait_loadcnt_dscnt 0x101
	v_mul_f64_e32 v[2:3], v[4:5], v[180:181]
	v_mul_f64_e32 v[144:145], v[6:7], v[180:181]
	v_add_f64_e32 v[128:129], v[134:135], v[142:143]
	v_add_f64_e32 v[134:135], v[136:137], v[150:151]
	s_wait_loadcnt_dscnt 0x0
	v_mul_f64_e32 v[136:137], v[130:131], v[10:11]
	v_mul_f64_e32 v[10:11], v[132:133], v[10:11]
	v_fmac_f64_e32 v[2:3], v[6:7], v[178:179]
	v_fma_f64 v[4:5], v[4:5], v[178:179], -v[144:145]
	v_add_f64_e32 v[6:7], v[128:129], v[126:127]
	v_add_f64_e32 v[126:127], v[134:135], v[138:139]
	v_fmac_f64_e32 v[136:137], v[132:133], v[8:9]
	v_fma_f64 v[8:9], v[130:131], v[8:9], -v[10:11]
	s_delay_alu instid0(VALU_DEP_4) | instskip(NEXT) | instid1(VALU_DEP_4)
	v_add_f64_e32 v[4:5], v[6:7], v[4:5]
	v_add_f64_e32 v[2:3], v[126:127], v[2:3]
	s_delay_alu instid0(VALU_DEP_2) | instskip(NEXT) | instid1(VALU_DEP_2)
	v_add_f64_e32 v[4:5], v[4:5], v[8:9]
	v_add_f64_e32 v[6:7], v[2:3], v[136:137]
	s_delay_alu instid0(VALU_DEP_2) | instskip(NEXT) | instid1(VALU_DEP_2)
	v_add_f64_e64 v[2:3], v[170:171], -v[4:5]
	v_add_f64_e64 v[4:5], v[172:173], -v[6:7]
	scratch_store_b128 off, v[2:5], off offset:80
	s_wait_xcnt 0x0
	v_cmpx_lt_u32_e32 4, v1
	s_cbranch_execz .LBB119_341
; %bb.340:
	scratch_load_b128 v[2:5], off, s12
	v_mov_b32_e32 v6, 0
	s_delay_alu instid0(VALU_DEP_1)
	v_dual_mov_b32 v7, v6 :: v_dual_mov_b32 v8, v6
	v_mov_b32_e32 v9, v6
	scratch_store_b128 off, v[6:9], off offset:64
	s_wait_loadcnt 0x0
	ds_store_b128 v12, v[2:5]
.LBB119_341:
	s_wait_xcnt 0x0
	s_or_b32 exec_lo, exec_lo, s2
	s_wait_storecnt_dscnt 0x0
	s_barrier_signal -1
	s_barrier_wait -1
	s_clause 0x9
	scratch_load_b128 v[4:7], off, off offset:80
	scratch_load_b128 v[8:11], off, off offset:96
	;; [unrolled: 1-line block ×10, first 2 shown]
	v_mov_b32_e32 v2, 0
	s_mov_b32 s2, exec_lo
	ds_load_b128 v[158:161], v2 offset:976
	s_clause 0x2
	scratch_load_b128 v[162:165], off, off offset:240
	scratch_load_b128 v[166:169], off, off offset:64
	;; [unrolled: 1-line block ×3, first 2 shown]
	s_wait_loadcnt_dscnt 0xc00
	v_mul_f64_e32 v[178:179], v[160:161], v[6:7]
	v_mul_f64_e32 v[182:183], v[158:159], v[6:7]
	ds_load_b128 v[170:173], v2 offset:992
	v_fma_f64 v[186:187], v[158:159], v[4:5], -v[178:179]
	v_fmac_f64_e32 v[182:183], v[160:161], v[4:5]
	ds_load_b128 v[4:7], v2 offset:1008
	s_wait_loadcnt_dscnt 0xb01
	v_mul_f64_e32 v[184:185], v[170:171], v[10:11]
	v_mul_f64_e32 v[10:11], v[172:173], v[10:11]
	scratch_load_b128 v[158:161], off, off offset:272
	ds_load_b128 v[178:181], v2 offset:1024
	s_wait_loadcnt_dscnt 0xb01
	v_mul_f64_e32 v[188:189], v[4:5], v[128:129]
	v_mul_f64_e32 v[128:129], v[6:7], v[128:129]
	v_add_f64_e32 v[182:183], 0, v[182:183]
	v_fmac_f64_e32 v[184:185], v[172:173], v[8:9]
	v_fma_f64 v[170:171], v[170:171], v[8:9], -v[10:11]
	v_add_f64_e32 v[172:173], 0, v[186:187]
	scratch_load_b128 v[8:11], off, off offset:288
	v_fmac_f64_e32 v[188:189], v[6:7], v[126:127]
	v_fma_f64 v[190:191], v[4:5], v[126:127], -v[128:129]
	ds_load_b128 v[4:7], v2 offset:1040
	s_wait_loadcnt_dscnt 0xb01
	v_mul_f64_e32 v[186:187], v[178:179], v[132:133]
	v_mul_f64_e32 v[132:133], v[180:181], v[132:133]
	scratch_load_b128 v[126:129], off, off offset:304
	v_add_f64_e32 v[182:183], v[182:183], v[184:185]
	v_add_f64_e32 v[192:193], v[172:173], v[170:171]
	ds_load_b128 v[170:173], v2 offset:1056
	s_wait_loadcnt_dscnt 0xb01
	v_mul_f64_e32 v[184:185], v[4:5], v[136:137]
	v_mul_f64_e32 v[136:137], v[6:7], v[136:137]
	v_fmac_f64_e32 v[186:187], v[180:181], v[130:131]
	v_fma_f64 v[178:179], v[178:179], v[130:131], -v[132:133]
	scratch_load_b128 v[130:133], off, off offset:320
	v_add_f64_e32 v[182:183], v[182:183], v[188:189]
	v_add_f64_e32 v[180:181], v[192:193], v[190:191]
	v_fmac_f64_e32 v[184:185], v[6:7], v[134:135]
	v_fma_f64 v[190:191], v[4:5], v[134:135], -v[136:137]
	ds_load_b128 v[4:7], v2 offset:1072
	s_wait_loadcnt_dscnt 0xb01
	v_mul_f64_e32 v[188:189], v[170:171], v[140:141]
	v_mul_f64_e32 v[140:141], v[172:173], v[140:141]
	scratch_load_b128 v[134:137], off, off offset:336
	v_add_f64_e32 v[182:183], v[182:183], v[186:187]
	s_wait_loadcnt_dscnt 0xb00
	v_mul_f64_e32 v[186:187], v[4:5], v[144:145]
	v_add_f64_e32 v[192:193], v[180:181], v[178:179]
	v_mul_f64_e32 v[144:145], v[6:7], v[144:145]
	ds_load_b128 v[178:181], v2 offset:1088
	v_fmac_f64_e32 v[188:189], v[172:173], v[138:139]
	v_fma_f64 v[170:171], v[170:171], v[138:139], -v[140:141]
	scratch_load_b128 v[138:141], off, off offset:352
	v_add_f64_e32 v[182:183], v[182:183], v[184:185]
	v_fmac_f64_e32 v[186:187], v[6:7], v[142:143]
	v_add_f64_e32 v[172:173], v[192:193], v[190:191]
	v_fma_f64 v[190:191], v[4:5], v[142:143], -v[144:145]
	ds_load_b128 v[4:7], v2 offset:1104
	s_wait_loadcnt_dscnt 0xb01
	v_mul_f64_e32 v[184:185], v[178:179], v[148:149]
	v_mul_f64_e32 v[148:149], v[180:181], v[148:149]
	scratch_load_b128 v[142:145], off, off offset:368
	v_add_f64_e32 v[182:183], v[182:183], v[188:189]
	s_wait_loadcnt_dscnt 0xb00
	v_mul_f64_e32 v[188:189], v[4:5], v[152:153]
	v_add_f64_e32 v[192:193], v[172:173], v[170:171]
	v_mul_f64_e32 v[152:153], v[6:7], v[152:153]
	ds_load_b128 v[170:173], v2 offset:1120
	v_fmac_f64_e32 v[184:185], v[180:181], v[146:147]
	v_fma_f64 v[178:179], v[178:179], v[146:147], -v[148:149]
	scratch_load_b128 v[146:149], off, off offset:384
	v_add_f64_e32 v[182:183], v[182:183], v[186:187]
	v_fmac_f64_e32 v[188:189], v[6:7], v[150:151]
	v_add_f64_e32 v[180:181], v[192:193], v[190:191]
	;; [unrolled: 18-line block ×3, first 2 shown]
	v_fma_f64 v[190:191], v[4:5], v[162:163], -v[164:165]
	ds_load_b128 v[4:7], v2 offset:1168
	s_wait_loadcnt_dscnt 0xa01
	v_mul_f64_e32 v[188:189], v[178:179], v[176:177]
	v_mul_f64_e32 v[176:177], v[180:181], v[176:177]
	scratch_load_b128 v[162:165], off, off offset:432
	v_add_f64_e32 v[182:183], v[182:183], v[186:187]
	v_add_f64_e32 v[192:193], v[172:173], v[170:171]
	s_wait_loadcnt_dscnt 0xa00
	v_mul_f64_e32 v[186:187], v[4:5], v[160:161]
	v_mul_f64_e32 v[160:161], v[6:7], v[160:161]
	v_fmac_f64_e32 v[188:189], v[180:181], v[174:175]
	v_fma_f64 v[178:179], v[178:179], v[174:175], -v[176:177]
	ds_load_b128 v[170:173], v2 offset:1184
	scratch_load_b128 v[174:177], off, off offset:448
	v_add_f64_e32 v[182:183], v[182:183], v[184:185]
	v_add_f64_e32 v[180:181], v[192:193], v[190:191]
	v_fmac_f64_e32 v[186:187], v[6:7], v[158:159]
	v_fma_f64 v[190:191], v[4:5], v[158:159], -v[160:161]
	ds_load_b128 v[4:7], v2 offset:1200
	s_wait_loadcnt_dscnt 0xa01
	v_mul_f64_e32 v[184:185], v[170:171], v[10:11]
	v_mul_f64_e32 v[10:11], v[172:173], v[10:11]
	scratch_load_b128 v[158:161], off, off offset:464
	v_add_f64_e32 v[182:183], v[182:183], v[188:189]
	s_wait_loadcnt_dscnt 0xa00
	v_mul_f64_e32 v[188:189], v[4:5], v[128:129]
	v_add_f64_e32 v[192:193], v[180:181], v[178:179]
	v_mul_f64_e32 v[128:129], v[6:7], v[128:129]
	ds_load_b128 v[178:181], v2 offset:1216
	v_fmac_f64_e32 v[184:185], v[172:173], v[8:9]
	v_fma_f64 v[170:171], v[170:171], v[8:9], -v[10:11]
	scratch_load_b128 v[8:11], off, off offset:480
	v_add_f64_e32 v[182:183], v[182:183], v[186:187]
	v_fmac_f64_e32 v[188:189], v[6:7], v[126:127]
	v_add_f64_e32 v[172:173], v[192:193], v[190:191]
	v_fma_f64 v[190:191], v[4:5], v[126:127], -v[128:129]
	ds_load_b128 v[4:7], v2 offset:1232
	s_wait_loadcnt_dscnt 0xa01
	v_mul_f64_e32 v[186:187], v[178:179], v[132:133]
	v_mul_f64_e32 v[132:133], v[180:181], v[132:133]
	scratch_load_b128 v[126:129], off, off offset:496
	v_add_f64_e32 v[182:183], v[182:183], v[184:185]
	s_wait_loadcnt_dscnt 0xa00
	v_mul_f64_e32 v[184:185], v[4:5], v[136:137]
	v_add_f64_e32 v[192:193], v[172:173], v[170:171]
	v_mul_f64_e32 v[136:137], v[6:7], v[136:137]
	ds_load_b128 v[170:173], v2 offset:1248
	v_fmac_f64_e32 v[186:187], v[180:181], v[130:131]
	v_fma_f64 v[178:179], v[178:179], v[130:131], -v[132:133]
	scratch_load_b128 v[130:133], off, off offset:512
	v_add_f64_e32 v[182:183], v[182:183], v[188:189]
	v_fmac_f64_e32 v[184:185], v[6:7], v[134:135]
	v_add_f64_e32 v[180:181], v[192:193], v[190:191]
	;; [unrolled: 18-line block ×13, first 2 shown]
	v_fma_f64 v[190:191], v[4:5], v[126:127], -v[128:129]
	ds_load_b128 v[4:7], v2 offset:1616
	s_wait_loadcnt_dscnt 0xa01
	v_mul_f64_e32 v[186:187], v[178:179], v[132:133]
	v_mul_f64_e32 v[132:133], v[180:181], v[132:133]
	scratch_load_b128 v[126:129], off, off offset:880
	v_add_f64_e32 v[182:183], v[182:183], v[184:185]
	s_wait_loadcnt_dscnt 0xa00
	v_mul_f64_e32 v[184:185], v[4:5], v[136:137]
	v_add_f64_e32 v[192:193], v[172:173], v[170:171]
	v_mul_f64_e32 v[136:137], v[6:7], v[136:137]
	ds_load_b128 v[170:173], v2 offset:1632
	v_fmac_f64_e32 v[186:187], v[180:181], v[130:131]
	v_fma_f64 v[130:131], v[178:179], v[130:131], -v[132:133]
	s_wait_loadcnt_dscnt 0x900
	v_mul_f64_e32 v[180:181], v[170:171], v[140:141]
	v_mul_f64_e32 v[140:141], v[172:173], v[140:141]
	v_add_f64_e32 v[178:179], v[182:183], v[188:189]
	v_fmac_f64_e32 v[184:185], v[6:7], v[134:135]
	v_add_f64_e32 v[132:133], v[192:193], v[190:191]
	v_fma_f64 v[134:135], v[4:5], v[134:135], -v[136:137]
	v_fmac_f64_e32 v[180:181], v[172:173], v[138:139]
	v_fma_f64 v[138:139], v[170:171], v[138:139], -v[140:141]
	v_add_f64_e32 v[178:179], v[178:179], v[186:187]
	v_add_f64_e32 v[136:137], v[132:133], v[130:131]
	ds_load_b128 v[4:7], v2 offset:1648
	ds_load_b128 v[130:133], v2 offset:1664
	s_wait_loadcnt_dscnt 0x801
	v_mul_f64_e32 v[182:183], v[4:5], v[144:145]
	v_mul_f64_e32 v[144:145], v[6:7], v[144:145]
	s_wait_loadcnt_dscnt 0x700
	v_mul_f64_e32 v[140:141], v[130:131], v[148:149]
	v_mul_f64_e32 v[148:149], v[132:133], v[148:149]
	v_add_f64_e32 v[134:135], v[136:137], v[134:135]
	v_add_f64_e32 v[136:137], v[178:179], v[184:185]
	v_fmac_f64_e32 v[182:183], v[6:7], v[142:143]
	v_fma_f64 v[142:143], v[4:5], v[142:143], -v[144:145]
	v_fmac_f64_e32 v[140:141], v[132:133], v[146:147]
	v_fma_f64 v[130:131], v[130:131], v[146:147], -v[148:149]
	v_add_f64_e32 v[138:139], v[134:135], v[138:139]
	v_add_f64_e32 v[144:145], v[136:137], v[180:181]
	ds_load_b128 v[4:7], v2 offset:1680
	ds_load_b128 v[134:137], v2 offset:1696
	s_wait_loadcnt_dscnt 0x601
	v_mul_f64_e32 v[170:171], v[4:5], v[152:153]
	v_mul_f64_e32 v[152:153], v[6:7], v[152:153]
	v_add_f64_e32 v[132:133], v[138:139], v[142:143]
	v_add_f64_e32 v[138:139], v[144:145], v[182:183]
	s_wait_loadcnt_dscnt 0x500
	v_mul_f64_e32 v[142:143], v[134:135], v[156:157]
	v_mul_f64_e32 v[144:145], v[136:137], v[156:157]
	v_fmac_f64_e32 v[170:171], v[6:7], v[150:151]
	v_fma_f64 v[146:147], v[4:5], v[150:151], -v[152:153]
	v_add_f64_e32 v[148:149], v[132:133], v[130:131]
	v_add_f64_e32 v[138:139], v[138:139], v[140:141]
	ds_load_b128 v[4:7], v2 offset:1712
	ds_load_b128 v[130:133], v2 offset:1728
	v_fmac_f64_e32 v[142:143], v[136:137], v[154:155]
	v_fma_f64 v[134:135], v[134:135], v[154:155], -v[144:145]
	s_wait_loadcnt_dscnt 0x401
	v_mul_f64_e32 v[140:141], v[4:5], v[164:165]
	v_mul_f64_e32 v[150:151], v[6:7], v[164:165]
	s_wait_loadcnt_dscnt 0x300
	v_mul_f64_e32 v[144:145], v[130:131], v[176:177]
	v_add_f64_e32 v[136:137], v[148:149], v[146:147]
	v_add_f64_e32 v[138:139], v[138:139], v[170:171]
	v_mul_f64_e32 v[146:147], v[132:133], v[176:177]
	v_fmac_f64_e32 v[140:141], v[6:7], v[162:163]
	v_fma_f64 v[148:149], v[4:5], v[162:163], -v[150:151]
	v_fmac_f64_e32 v[144:145], v[132:133], v[174:175]
	v_add_f64_e32 v[150:151], v[136:137], v[134:135]
	v_add_f64_e32 v[138:139], v[138:139], v[142:143]
	ds_load_b128 v[4:7], v2 offset:1744
	ds_load_b128 v[134:137], v2 offset:1760
	v_fma_f64 v[130:131], v[130:131], v[174:175], -v[146:147]
	s_wait_loadcnt_dscnt 0x201
	v_mul_f64_e32 v[142:143], v[4:5], v[160:161]
	v_mul_f64_e32 v[152:153], v[6:7], v[160:161]
	v_add_f64_e32 v[132:133], v[150:151], v[148:149]
	v_add_f64_e32 v[138:139], v[138:139], v[140:141]
	s_wait_loadcnt_dscnt 0x100
	v_mul_f64_e32 v[140:141], v[134:135], v[10:11]
	v_mul_f64_e32 v[10:11], v[136:137], v[10:11]
	v_fmac_f64_e32 v[142:143], v[6:7], v[158:159]
	v_fma_f64 v[146:147], v[4:5], v[158:159], -v[152:153]
	ds_load_b128 v[4:7], v2 offset:1776
	v_add_f64_e32 v[130:131], v[132:133], v[130:131]
	v_add_f64_e32 v[132:133], v[138:139], v[144:145]
	v_fmac_f64_e32 v[140:141], v[136:137], v[8:9]
	v_fma_f64 v[8:9], v[134:135], v[8:9], -v[10:11]
	s_wait_loadcnt_dscnt 0x0
	v_mul_f64_e32 v[138:139], v[4:5], v[128:129]
	v_mul_f64_e32 v[128:129], v[6:7], v[128:129]
	v_add_f64_e32 v[10:11], v[130:131], v[146:147]
	v_add_f64_e32 v[130:131], v[132:133], v[142:143]
	s_delay_alu instid0(VALU_DEP_4) | instskip(NEXT) | instid1(VALU_DEP_4)
	v_fmac_f64_e32 v[138:139], v[6:7], v[126:127]
	v_fma_f64 v[4:5], v[4:5], v[126:127], -v[128:129]
	s_delay_alu instid0(VALU_DEP_4) | instskip(NEXT) | instid1(VALU_DEP_4)
	v_add_f64_e32 v[6:7], v[10:11], v[8:9]
	v_add_f64_e32 v[8:9], v[130:131], v[140:141]
	s_delay_alu instid0(VALU_DEP_2) | instskip(NEXT) | instid1(VALU_DEP_2)
	v_add_f64_e32 v[4:5], v[6:7], v[4:5]
	v_add_f64_e32 v[6:7], v[8:9], v[138:139]
	s_delay_alu instid0(VALU_DEP_2) | instskip(NEXT) | instid1(VALU_DEP_2)
	v_add_f64_e64 v[4:5], v[166:167], -v[4:5]
	v_add_f64_e64 v[6:7], v[168:169], -v[6:7]
	scratch_store_b128 off, v[4:7], off offset:64
	s_wait_xcnt 0x0
	v_cmpx_lt_u32_e32 3, v1
	s_cbranch_execz .LBB119_343
; %bb.342:
	scratch_load_b128 v[6:9], off, s14
	v_dual_mov_b32 v3, v2 :: v_dual_mov_b32 v4, v2
	v_mov_b32_e32 v5, v2
	scratch_store_b128 off, v[2:5], off offset:48
	s_wait_loadcnt 0x0
	ds_store_b128 v12, v[6:9]
.LBB119_343:
	s_wait_xcnt 0x0
	s_or_b32 exec_lo, exec_lo, s2
	s_wait_storecnt_dscnt 0x0
	s_barrier_signal -1
	s_barrier_wait -1
	s_clause 0x9
	scratch_load_b128 v[4:7], off, off offset:64
	scratch_load_b128 v[8:11], off, off offset:80
	;; [unrolled: 1-line block ×10, first 2 shown]
	ds_load_b128 v[158:161], v2 offset:960
	ds_load_b128 v[166:169], v2 offset:976
	s_clause 0x2
	scratch_load_b128 v[162:165], off, off offset:224
	scratch_load_b128 v[170:173], off, off offset:48
	;; [unrolled: 1-line block ×3, first 2 shown]
	s_mov_b32 s2, exec_lo
	s_wait_loadcnt_dscnt 0xc01
	v_mul_f64_e32 v[178:179], v[160:161], v[6:7]
	v_mul_f64_e32 v[182:183], v[158:159], v[6:7]
	s_wait_loadcnt_dscnt 0xb00
	v_mul_f64_e32 v[184:185], v[166:167], v[10:11]
	v_mul_f64_e32 v[10:11], v[168:169], v[10:11]
	s_delay_alu instid0(VALU_DEP_4) | instskip(NEXT) | instid1(VALU_DEP_4)
	v_fma_f64 v[186:187], v[158:159], v[4:5], -v[178:179]
	v_fmac_f64_e32 v[182:183], v[160:161], v[4:5]
	ds_load_b128 v[4:7], v2 offset:992
	ds_load_b128 v[158:161], v2 offset:1008
	scratch_load_b128 v[178:181], off, off offset:256
	v_fmac_f64_e32 v[184:185], v[168:169], v[8:9]
	v_fma_f64 v[166:167], v[166:167], v[8:9], -v[10:11]
	scratch_load_b128 v[8:11], off, off offset:272
	s_wait_loadcnt_dscnt 0xc01
	v_mul_f64_e32 v[188:189], v[4:5], v[128:129]
	v_mul_f64_e32 v[128:129], v[6:7], v[128:129]
	v_add_f64_e32 v[168:169], 0, v[186:187]
	v_add_f64_e32 v[182:183], 0, v[182:183]
	s_wait_loadcnt_dscnt 0xb00
	v_mul_f64_e32 v[186:187], v[158:159], v[132:133]
	v_mul_f64_e32 v[132:133], v[160:161], v[132:133]
	v_fmac_f64_e32 v[188:189], v[6:7], v[126:127]
	v_fma_f64 v[190:191], v[4:5], v[126:127], -v[128:129]
	ds_load_b128 v[4:7], v2 offset:1024
	ds_load_b128 v[126:129], v2 offset:1040
	v_add_f64_e32 v[192:193], v[168:169], v[166:167]
	v_add_f64_e32 v[182:183], v[182:183], v[184:185]
	scratch_load_b128 v[166:169], off, off offset:288
	v_fmac_f64_e32 v[186:187], v[160:161], v[130:131]
	v_fma_f64 v[158:159], v[158:159], v[130:131], -v[132:133]
	scratch_load_b128 v[130:133], off, off offset:304
	s_wait_loadcnt_dscnt 0xc01
	v_mul_f64_e32 v[184:185], v[4:5], v[136:137]
	v_mul_f64_e32 v[136:137], v[6:7], v[136:137]
	v_add_f64_e32 v[160:161], v[192:193], v[190:191]
	v_add_f64_e32 v[182:183], v[182:183], v[188:189]
	s_wait_loadcnt_dscnt 0xb00
	v_mul_f64_e32 v[188:189], v[126:127], v[140:141]
	v_mul_f64_e32 v[140:141], v[128:129], v[140:141]
	v_fmac_f64_e32 v[184:185], v[6:7], v[134:135]
	v_fma_f64 v[190:191], v[4:5], v[134:135], -v[136:137]
	ds_load_b128 v[4:7], v2 offset:1056
	ds_load_b128 v[134:137], v2 offset:1072
	v_add_f64_e32 v[192:193], v[160:161], v[158:159]
	v_add_f64_e32 v[182:183], v[182:183], v[186:187]
	scratch_load_b128 v[158:161], off, off offset:320
	s_wait_loadcnt_dscnt 0xb01
	v_mul_f64_e32 v[186:187], v[4:5], v[144:145]
	v_mul_f64_e32 v[144:145], v[6:7], v[144:145]
	v_fmac_f64_e32 v[188:189], v[128:129], v[138:139]
	v_fma_f64 v[138:139], v[126:127], v[138:139], -v[140:141]
	scratch_load_b128 v[126:129], off, off offset:336
	v_add_f64_e32 v[140:141], v[192:193], v[190:191]
	v_add_f64_e32 v[182:183], v[182:183], v[184:185]
	s_wait_loadcnt_dscnt 0xb00
	v_mul_f64_e32 v[184:185], v[134:135], v[148:149]
	v_mul_f64_e32 v[148:149], v[136:137], v[148:149]
	v_fmac_f64_e32 v[186:187], v[6:7], v[142:143]
	v_fma_f64 v[190:191], v[4:5], v[142:143], -v[144:145]
	v_add_f64_e32 v[192:193], v[140:141], v[138:139]
	v_add_f64_e32 v[182:183], v[182:183], v[188:189]
	ds_load_b128 v[4:7], v2 offset:1088
	ds_load_b128 v[138:141], v2 offset:1104
	scratch_load_b128 v[142:145], off, off offset:352
	v_fmac_f64_e32 v[184:185], v[136:137], v[146:147]
	v_fma_f64 v[146:147], v[134:135], v[146:147], -v[148:149]
	scratch_load_b128 v[134:137], off, off offset:368
	s_wait_loadcnt_dscnt 0xc01
	v_mul_f64_e32 v[188:189], v[4:5], v[152:153]
	v_mul_f64_e32 v[152:153], v[6:7], v[152:153]
	v_add_f64_e32 v[148:149], v[192:193], v[190:191]
	v_add_f64_e32 v[182:183], v[182:183], v[186:187]
	s_wait_loadcnt_dscnt 0xb00
	v_mul_f64_e32 v[186:187], v[138:139], v[156:157]
	v_mul_f64_e32 v[156:157], v[140:141], v[156:157]
	v_fmac_f64_e32 v[188:189], v[6:7], v[150:151]
	v_fma_f64 v[190:191], v[4:5], v[150:151], -v[152:153]
	v_add_f64_e32 v[192:193], v[148:149], v[146:147]
	v_add_f64_e32 v[182:183], v[182:183], v[184:185]
	ds_load_b128 v[4:7], v2 offset:1120
	ds_load_b128 v[146:149], v2 offset:1136
	scratch_load_b128 v[150:153], off, off offset:384
	v_fmac_f64_e32 v[186:187], v[140:141], v[154:155]
	v_fma_f64 v[154:155], v[138:139], v[154:155], -v[156:157]
	scratch_load_b128 v[138:141], off, off offset:400
	s_wait_loadcnt_dscnt 0xc01
	v_mul_f64_e32 v[184:185], v[4:5], v[164:165]
	v_mul_f64_e32 v[164:165], v[6:7], v[164:165]
	;; [unrolled: 18-line block ×5, first 2 shown]
	v_add_f64_e32 v[176:177], v[192:193], v[190:191]
	v_add_f64_e32 v[182:183], v[182:183], v[188:189]
	s_wait_loadcnt_dscnt 0xa00
	v_mul_f64_e32 v[188:189], v[154:155], v[128:129]
	v_mul_f64_e32 v[128:129], v[156:157], v[128:129]
	v_fmac_f64_e32 v[184:185], v[6:7], v[158:159]
	v_fma_f64 v[190:191], v[4:5], v[158:159], -v[160:161]
	ds_load_b128 v[4:7], v2 offset:1248
	ds_load_b128 v[158:161], v2 offset:1264
	v_add_f64_e32 v[192:193], v[176:177], v[174:175]
	v_add_f64_e32 v[182:183], v[182:183], v[186:187]
	scratch_load_b128 v[174:177], off, off offset:512
	v_fmac_f64_e32 v[188:189], v[156:157], v[126:127]
	v_fma_f64 v[154:155], v[154:155], v[126:127], -v[128:129]
	scratch_load_b128 v[126:129], off, off offset:528
	s_wait_loadcnt_dscnt 0xb01
	v_mul_f64_e32 v[186:187], v[4:5], v[144:145]
	v_mul_f64_e32 v[144:145], v[6:7], v[144:145]
	v_add_f64_e32 v[156:157], v[192:193], v[190:191]
	v_add_f64_e32 v[182:183], v[182:183], v[184:185]
	s_wait_loadcnt_dscnt 0xa00
	v_mul_f64_e32 v[184:185], v[158:159], v[136:137]
	v_mul_f64_e32 v[136:137], v[160:161], v[136:137]
	v_fmac_f64_e32 v[186:187], v[6:7], v[142:143]
	v_fma_f64 v[190:191], v[4:5], v[142:143], -v[144:145]
	ds_load_b128 v[4:7], v2 offset:1280
	ds_load_b128 v[142:145], v2 offset:1296
	v_add_f64_e32 v[192:193], v[156:157], v[154:155]
	v_add_f64_e32 v[182:183], v[182:183], v[188:189]
	scratch_load_b128 v[154:157], off, off offset:544
	s_wait_loadcnt_dscnt 0xa01
	v_mul_f64_e32 v[188:189], v[4:5], v[152:153]
	v_mul_f64_e32 v[152:153], v[6:7], v[152:153]
	v_fmac_f64_e32 v[184:185], v[160:161], v[134:135]
	v_fma_f64 v[158:159], v[158:159], v[134:135], -v[136:137]
	scratch_load_b128 v[134:137], off, off offset:560
	v_add_f64_e32 v[160:161], v[192:193], v[190:191]
	v_add_f64_e32 v[182:183], v[182:183], v[186:187]
	s_wait_loadcnt_dscnt 0xa00
	v_mul_f64_e32 v[186:187], v[142:143], v[140:141]
	v_mul_f64_e32 v[140:141], v[144:145], v[140:141]
	v_fmac_f64_e32 v[188:189], v[6:7], v[150:151]
	v_fma_f64 v[190:191], v[4:5], v[150:151], -v[152:153]
	ds_load_b128 v[4:7], v2 offset:1312
	ds_load_b128 v[150:153], v2 offset:1328
	v_add_f64_e32 v[192:193], v[160:161], v[158:159]
	v_add_f64_e32 v[182:183], v[182:183], v[184:185]
	scratch_load_b128 v[158:161], off, off offset:576
	s_wait_loadcnt_dscnt 0xa01
	v_mul_f64_e32 v[184:185], v[4:5], v[164:165]
	v_mul_f64_e32 v[164:165], v[6:7], v[164:165]
	v_fmac_f64_e32 v[186:187], v[144:145], v[138:139]
	v_fma_f64 v[142:143], v[142:143], v[138:139], -v[140:141]
	scratch_load_b128 v[138:141], off, off offset:592
	v_add_f64_e32 v[144:145], v[192:193], v[190:191]
	v_add_f64_e32 v[182:183], v[182:183], v[188:189]
	s_wait_loadcnt_dscnt 0xa00
	v_mul_f64_e32 v[188:189], v[150:151], v[148:149]
	v_mul_f64_e32 v[148:149], v[152:153], v[148:149]
	v_fmac_f64_e32 v[184:185], v[6:7], v[162:163]
	v_fma_f64 v[190:191], v[4:5], v[162:163], -v[164:165]
	v_add_f64_e32 v[192:193], v[144:145], v[142:143]
	v_add_f64_e32 v[182:183], v[182:183], v[186:187]
	ds_load_b128 v[4:7], v2 offset:1344
	ds_load_b128 v[142:145], v2 offset:1360
	scratch_load_b128 v[162:165], off, off offset:608
	v_fmac_f64_e32 v[188:189], v[152:153], v[146:147]
	v_fma_f64 v[150:151], v[150:151], v[146:147], -v[148:149]
	scratch_load_b128 v[146:149], off, off offset:624
	s_wait_loadcnt_dscnt 0xb01
	v_mul_f64_e32 v[186:187], v[4:5], v[180:181]
	v_mul_f64_e32 v[180:181], v[6:7], v[180:181]
	v_add_f64_e32 v[152:153], v[192:193], v[190:191]
	v_add_f64_e32 v[182:183], v[182:183], v[184:185]
	s_wait_loadcnt_dscnt 0xa00
	v_mul_f64_e32 v[184:185], v[142:143], v[10:11]
	v_mul_f64_e32 v[10:11], v[144:145], v[10:11]
	v_fmac_f64_e32 v[186:187], v[6:7], v[178:179]
	v_fma_f64 v[190:191], v[4:5], v[178:179], -v[180:181]
	v_add_f64_e32 v[192:193], v[152:153], v[150:151]
	v_add_f64_e32 v[182:183], v[182:183], v[188:189]
	ds_load_b128 v[4:7], v2 offset:1376
	ds_load_b128 v[150:153], v2 offset:1392
	scratch_load_b128 v[178:181], off, off offset:640
	v_fmac_f64_e32 v[184:185], v[144:145], v[8:9]
	v_fma_f64 v[142:143], v[142:143], v[8:9], -v[10:11]
	scratch_load_b128 v[8:11], off, off offset:656
	s_wait_loadcnt_dscnt 0xb01
	v_mul_f64_e32 v[188:189], v[4:5], v[168:169]
	v_mul_f64_e32 v[168:169], v[6:7], v[168:169]
	;; [unrolled: 18-line block ×9, first 2 shown]
	v_add_f64_e32 v[152:153], v[192:193], v[190:191]
	v_add_f64_e32 v[182:183], v[182:183], v[188:189]
	s_wait_loadcnt_dscnt 0xa00
	v_mul_f64_e32 v[188:189], v[142:143], v[128:129]
	v_mul_f64_e32 v[128:129], v[144:145], v[128:129]
	v_fmac_f64_e32 v[184:185], v[6:7], v[174:175]
	v_fma_f64 v[174:175], v[4:5], v[174:175], -v[176:177]
	v_add_f64_e32 v[176:177], v[152:153], v[150:151]
	v_add_f64_e32 v[182:183], v[182:183], v[186:187]
	ds_load_b128 v[4:7], v2 offset:1632
	ds_load_b128 v[150:153], v2 offset:1648
	v_fmac_f64_e32 v[188:189], v[144:145], v[126:127]
	v_fma_f64 v[126:127], v[142:143], v[126:127], -v[128:129]
	s_wait_loadcnt_dscnt 0x901
	v_mul_f64_e32 v[186:187], v[4:5], v[156:157]
	v_mul_f64_e32 v[156:157], v[6:7], v[156:157]
	s_wait_loadcnt_dscnt 0x800
	v_mul_f64_e32 v[144:145], v[150:151], v[136:137]
	v_mul_f64_e32 v[136:137], v[152:153], v[136:137]
	v_add_f64_e32 v[128:129], v[176:177], v[174:175]
	v_add_f64_e32 v[142:143], v[182:183], v[184:185]
	v_fmac_f64_e32 v[186:187], v[6:7], v[154:155]
	v_fma_f64 v[154:155], v[4:5], v[154:155], -v[156:157]
	v_fmac_f64_e32 v[144:145], v[152:153], v[134:135]
	v_fma_f64 v[134:135], v[150:151], v[134:135], -v[136:137]
	v_add_f64_e32 v[156:157], v[128:129], v[126:127]
	v_add_f64_e32 v[142:143], v[142:143], v[188:189]
	ds_load_b128 v[4:7], v2 offset:1664
	ds_load_b128 v[126:129], v2 offset:1680
	s_wait_loadcnt_dscnt 0x701
	v_mul_f64_e32 v[174:175], v[4:5], v[160:161]
	v_mul_f64_e32 v[160:161], v[6:7], v[160:161]
	s_wait_loadcnt_dscnt 0x600
	v_mul_f64_e32 v[150:151], v[126:127], v[140:141]
	v_mul_f64_e32 v[140:141], v[128:129], v[140:141]
	v_add_f64_e32 v[136:137], v[156:157], v[154:155]
	v_add_f64_e32 v[142:143], v[142:143], v[186:187]
	v_fmac_f64_e32 v[174:175], v[6:7], v[158:159]
	v_fma_f64 v[152:153], v[4:5], v[158:159], -v[160:161]
	v_fmac_f64_e32 v[150:151], v[128:129], v[138:139]
	v_fma_f64 v[126:127], v[126:127], v[138:139], -v[140:141]
	v_add_f64_e32 v[154:155], v[136:137], v[134:135]
	v_add_f64_e32 v[142:143], v[142:143], v[144:145]
	ds_load_b128 v[4:7], v2 offset:1696
	ds_load_b128 v[134:137], v2 offset:1712
	s_wait_loadcnt_dscnt 0x501
	v_mul_f64_e32 v[144:145], v[4:5], v[164:165]
	v_mul_f64_e32 v[156:157], v[6:7], v[164:165]
	s_wait_loadcnt_dscnt 0x400
	v_mul_f64_e32 v[140:141], v[134:135], v[148:149]
	v_add_f64_e32 v[128:129], v[154:155], v[152:153]
	v_add_f64_e32 v[138:139], v[142:143], v[174:175]
	v_mul_f64_e32 v[142:143], v[136:137], v[148:149]
	v_fmac_f64_e32 v[144:145], v[6:7], v[162:163]
	v_fma_f64 v[148:149], v[4:5], v[162:163], -v[156:157]
	v_fmac_f64_e32 v[140:141], v[136:137], v[146:147]
	v_add_f64_e32 v[152:153], v[128:129], v[126:127]
	v_add_f64_e32 v[138:139], v[138:139], v[150:151]
	ds_load_b128 v[4:7], v2 offset:1728
	ds_load_b128 v[126:129], v2 offset:1744
	v_fma_f64 v[134:135], v[134:135], v[146:147], -v[142:143]
	s_wait_loadcnt_dscnt 0x301
	v_mul_f64_e32 v[150:151], v[4:5], v[180:181]
	v_mul_f64_e32 v[154:155], v[6:7], v[180:181]
	s_wait_loadcnt_dscnt 0x200
	v_mul_f64_e32 v[142:143], v[126:127], v[10:11]
	v_mul_f64_e32 v[10:11], v[128:129], v[10:11]
	v_add_f64_e32 v[136:137], v[152:153], v[148:149]
	v_add_f64_e32 v[138:139], v[138:139], v[144:145]
	v_fmac_f64_e32 v[150:151], v[6:7], v[178:179]
	v_fma_f64 v[144:145], v[4:5], v[178:179], -v[154:155]
	v_fmac_f64_e32 v[142:143], v[128:129], v[8:9]
	v_fma_f64 v[8:9], v[126:127], v[8:9], -v[10:11]
	v_add_f64_e32 v[146:147], v[136:137], v[134:135]
	v_add_f64_e32 v[138:139], v[138:139], v[140:141]
	ds_load_b128 v[4:7], v2 offset:1760
	ds_load_b128 v[134:137], v2 offset:1776
	s_wait_loadcnt_dscnt 0x101
	v_mul_f64_e32 v[2:3], v[4:5], v[168:169]
	v_mul_f64_e32 v[140:141], v[6:7], v[168:169]
	s_wait_loadcnt_dscnt 0x0
	v_mul_f64_e32 v[128:129], v[134:135], v[132:133]
	v_mul_f64_e32 v[132:133], v[136:137], v[132:133]
	v_add_f64_e32 v[10:11], v[146:147], v[144:145]
	v_add_f64_e32 v[126:127], v[138:139], v[150:151]
	v_fmac_f64_e32 v[2:3], v[6:7], v[166:167]
	v_fma_f64 v[4:5], v[4:5], v[166:167], -v[140:141]
	v_fmac_f64_e32 v[128:129], v[136:137], v[130:131]
	v_add_f64_e32 v[6:7], v[10:11], v[8:9]
	v_add_f64_e32 v[8:9], v[126:127], v[142:143]
	v_fma_f64 v[10:11], v[134:135], v[130:131], -v[132:133]
	s_delay_alu instid0(VALU_DEP_3) | instskip(NEXT) | instid1(VALU_DEP_3)
	v_add_f64_e32 v[4:5], v[6:7], v[4:5]
	v_add_f64_e32 v[2:3], v[8:9], v[2:3]
	s_delay_alu instid0(VALU_DEP_2) | instskip(NEXT) | instid1(VALU_DEP_2)
	v_add_f64_e32 v[4:5], v[4:5], v[10:11]
	v_add_f64_e32 v[6:7], v[2:3], v[128:129]
	s_delay_alu instid0(VALU_DEP_2) | instskip(NEXT) | instid1(VALU_DEP_2)
	v_add_f64_e64 v[2:3], v[170:171], -v[4:5]
	v_add_f64_e64 v[4:5], v[172:173], -v[6:7]
	scratch_store_b128 off, v[2:5], off offset:48
	s_wait_xcnt 0x0
	v_cmpx_lt_u32_e32 2, v1
	s_cbranch_execz .LBB119_345
; %bb.344:
	scratch_load_b128 v[2:5], off, s16
	v_mov_b32_e32 v6, 0
	s_delay_alu instid0(VALU_DEP_1)
	v_dual_mov_b32 v7, v6 :: v_dual_mov_b32 v8, v6
	v_mov_b32_e32 v9, v6
	scratch_store_b128 off, v[6:9], off offset:32
	s_wait_loadcnt 0x0
	ds_store_b128 v12, v[2:5]
.LBB119_345:
	s_wait_xcnt 0x0
	s_or_b32 exec_lo, exec_lo, s2
	s_wait_storecnt_dscnt 0x0
	s_barrier_signal -1
	s_barrier_wait -1
	s_clause 0x9
	scratch_load_b128 v[4:7], off, off offset:48
	scratch_load_b128 v[8:11], off, off offset:64
	;; [unrolled: 1-line block ×10, first 2 shown]
	v_mov_b32_e32 v2, 0
	s_mov_b32 s2, exec_lo
	v_dual_ashrrev_i32 v21, 31, v20 :: v_dual_ashrrev_i32 v19, 31, v18
	v_ashrrev_i32_e32 v25, 31, v24
	ds_load_b128 v[158:161], v2 offset:944
	s_clause 0x2
	scratch_load_b128 v[162:165], off, off offset:208
	scratch_load_b128 v[166:169], off, off offset:32
	scratch_load_b128 v[174:177], off, off offset:224
	v_dual_ashrrev_i32 v29, 31, v28 :: v_dual_ashrrev_i32 v23, 31, v22
	v_ashrrev_i32_e32 v27, 31, v26
	v_dual_ashrrev_i32 v31, 31, v30 :: v_dual_ashrrev_i32 v33, 31, v32
	v_dual_ashrrev_i32 v37, 31, v36 :: v_dual_ashrrev_i32 v35, 31, v34
	;; [unrolled: 1-line block ×4, first 2 shown]
	v_ashrrev_i32_e32 v47, 31, v46
	v_dual_ashrrev_i32 v51, 31, v50 :: v_dual_ashrrev_i32 v49, 31, v48
	v_dual_ashrrev_i32 v53, 31, v52 :: v_dual_ashrrev_i32 v55, 31, v54
	;; [unrolled: 1-line block ×10, first 2 shown]
	v_ashrrev_i32_e32 v91, 31, v90
	v_dual_ashrrev_i32 v95, 31, v94 :: v_dual_ashrrev_i32 v89, 31, v88
	v_ashrrev_i32_e32 v93, 31, v92
	v_dual_ashrrev_i32 v97, 31, v96 :: v_dual_ashrrev_i32 v99, 31, v98
	v_dual_ashrrev_i32 v103, 31, v102 :: v_dual_ashrrev_i32 v101, 31, v100
	;; [unrolled: 1-line block ×3, first 2 shown]
	v_ashrrev_i32_e32 v111, 31, v110
	v_dual_ashrrev_i32 v115, 31, v114 :: v_dual_ashrrev_i32 v109, 31, v108
	v_dual_ashrrev_i32 v119, 31, v118 :: v_dual_ashrrev_i32 v113, 31, v112
	;; [unrolled: 1-line block ×3, first 2 shown]
	v_ashrrev_i32_e32 v121, 31, v120
	s_wait_loadcnt_dscnt 0xc00
	v_dual_mul_f64 v[178:179], v[160:161], v[6:7] :: v_dual_ashrrev_i32 v125, 31, v124
	v_mul_f64_e32 v[182:183], v[158:159], v[6:7]
	ds_load_b128 v[170:173], v2 offset:960
	v_fma_f64 v[186:187], v[158:159], v[4:5], -v[178:179]
	v_fmac_f64_e32 v[182:183], v[160:161], v[4:5]
	ds_load_b128 v[4:7], v2 offset:976
	s_wait_loadcnt_dscnt 0xb01
	v_mul_f64_e32 v[184:185], v[170:171], v[10:11]
	v_mul_f64_e32 v[10:11], v[172:173], v[10:11]
	scratch_load_b128 v[158:161], off, off offset:240
	ds_load_b128 v[178:181], v2 offset:992
	s_wait_loadcnt_dscnt 0xb01
	v_mul_f64_e32 v[188:189], v[4:5], v[128:129]
	v_mul_f64_e32 v[128:129], v[6:7], v[128:129]
	v_add_f64_e32 v[182:183], 0, v[182:183]
	v_fmac_f64_e32 v[184:185], v[172:173], v[8:9]
	v_fma_f64 v[170:171], v[170:171], v[8:9], -v[10:11]
	v_add_f64_e32 v[172:173], 0, v[186:187]
	scratch_load_b128 v[8:11], off, off offset:256
	v_fmac_f64_e32 v[188:189], v[6:7], v[126:127]
	v_fma_f64 v[190:191], v[4:5], v[126:127], -v[128:129]
	ds_load_b128 v[4:7], v2 offset:1008
	s_wait_loadcnt_dscnt 0xb01
	v_mul_f64_e32 v[186:187], v[178:179], v[132:133]
	v_mul_f64_e32 v[132:133], v[180:181], v[132:133]
	scratch_load_b128 v[126:129], off, off offset:272
	v_add_f64_e32 v[182:183], v[182:183], v[184:185]
	v_add_f64_e32 v[192:193], v[172:173], v[170:171]
	ds_load_b128 v[170:173], v2 offset:1024
	s_wait_loadcnt_dscnt 0xb01
	v_mul_f64_e32 v[184:185], v[4:5], v[136:137]
	v_mul_f64_e32 v[136:137], v[6:7], v[136:137]
	v_fmac_f64_e32 v[186:187], v[180:181], v[130:131]
	v_fma_f64 v[178:179], v[178:179], v[130:131], -v[132:133]
	scratch_load_b128 v[130:133], off, off offset:288
	v_add_f64_e32 v[182:183], v[182:183], v[188:189]
	v_add_f64_e32 v[180:181], v[192:193], v[190:191]
	v_fmac_f64_e32 v[184:185], v[6:7], v[134:135]
	v_fma_f64 v[190:191], v[4:5], v[134:135], -v[136:137]
	ds_load_b128 v[4:7], v2 offset:1040
	s_wait_loadcnt_dscnt 0xb01
	v_mul_f64_e32 v[188:189], v[170:171], v[140:141]
	v_mul_f64_e32 v[140:141], v[172:173], v[140:141]
	scratch_load_b128 v[134:137], off, off offset:304
	v_add_f64_e32 v[182:183], v[182:183], v[186:187]
	s_wait_loadcnt_dscnt 0xb00
	v_mul_f64_e32 v[186:187], v[4:5], v[144:145]
	v_add_f64_e32 v[192:193], v[180:181], v[178:179]
	v_mul_f64_e32 v[144:145], v[6:7], v[144:145]
	ds_load_b128 v[178:181], v2 offset:1056
	v_fmac_f64_e32 v[188:189], v[172:173], v[138:139]
	v_fma_f64 v[170:171], v[170:171], v[138:139], -v[140:141]
	scratch_load_b128 v[138:141], off, off offset:320
	v_add_f64_e32 v[182:183], v[182:183], v[184:185]
	v_fmac_f64_e32 v[186:187], v[6:7], v[142:143]
	v_add_f64_e32 v[172:173], v[192:193], v[190:191]
	v_fma_f64 v[190:191], v[4:5], v[142:143], -v[144:145]
	ds_load_b128 v[4:7], v2 offset:1072
	s_wait_loadcnt_dscnt 0xb01
	v_mul_f64_e32 v[184:185], v[178:179], v[148:149]
	v_mul_f64_e32 v[148:149], v[180:181], v[148:149]
	scratch_load_b128 v[142:145], off, off offset:336
	v_add_f64_e32 v[182:183], v[182:183], v[188:189]
	s_wait_loadcnt_dscnt 0xb00
	v_mul_f64_e32 v[188:189], v[4:5], v[152:153]
	v_add_f64_e32 v[192:193], v[172:173], v[170:171]
	v_mul_f64_e32 v[152:153], v[6:7], v[152:153]
	ds_load_b128 v[170:173], v2 offset:1088
	v_fmac_f64_e32 v[184:185], v[180:181], v[146:147]
	v_fma_f64 v[178:179], v[178:179], v[146:147], -v[148:149]
	scratch_load_b128 v[146:149], off, off offset:352
	v_add_f64_e32 v[182:183], v[182:183], v[186:187]
	v_fmac_f64_e32 v[188:189], v[6:7], v[150:151]
	v_add_f64_e32 v[180:181], v[192:193], v[190:191]
	;; [unrolled: 18-line block ×3, first 2 shown]
	v_fma_f64 v[190:191], v[4:5], v[162:163], -v[164:165]
	ds_load_b128 v[4:7], v2 offset:1136
	s_wait_loadcnt_dscnt 0xa01
	v_mul_f64_e32 v[188:189], v[178:179], v[176:177]
	v_mul_f64_e32 v[176:177], v[180:181], v[176:177]
	scratch_load_b128 v[162:165], off, off offset:400
	v_add_f64_e32 v[182:183], v[182:183], v[186:187]
	v_add_f64_e32 v[192:193], v[172:173], v[170:171]
	s_wait_loadcnt_dscnt 0xa00
	v_mul_f64_e32 v[186:187], v[4:5], v[160:161]
	v_mul_f64_e32 v[160:161], v[6:7], v[160:161]
	v_fmac_f64_e32 v[188:189], v[180:181], v[174:175]
	v_fma_f64 v[178:179], v[178:179], v[174:175], -v[176:177]
	ds_load_b128 v[170:173], v2 offset:1152
	scratch_load_b128 v[174:177], off, off offset:416
	v_add_f64_e32 v[182:183], v[182:183], v[184:185]
	v_add_f64_e32 v[180:181], v[192:193], v[190:191]
	v_fmac_f64_e32 v[186:187], v[6:7], v[158:159]
	v_fma_f64 v[190:191], v[4:5], v[158:159], -v[160:161]
	ds_load_b128 v[4:7], v2 offset:1168
	s_wait_loadcnt_dscnt 0xa01
	v_mul_f64_e32 v[184:185], v[170:171], v[10:11]
	v_mul_f64_e32 v[10:11], v[172:173], v[10:11]
	scratch_load_b128 v[158:161], off, off offset:432
	v_add_f64_e32 v[182:183], v[182:183], v[188:189]
	s_wait_loadcnt_dscnt 0xa00
	v_mul_f64_e32 v[188:189], v[4:5], v[128:129]
	v_add_f64_e32 v[192:193], v[180:181], v[178:179]
	v_mul_f64_e32 v[128:129], v[6:7], v[128:129]
	ds_load_b128 v[178:181], v2 offset:1184
	v_fmac_f64_e32 v[184:185], v[172:173], v[8:9]
	v_fma_f64 v[170:171], v[170:171], v[8:9], -v[10:11]
	scratch_load_b128 v[8:11], off, off offset:448
	v_add_f64_e32 v[182:183], v[182:183], v[186:187]
	v_fmac_f64_e32 v[188:189], v[6:7], v[126:127]
	v_add_f64_e32 v[172:173], v[192:193], v[190:191]
	v_fma_f64 v[190:191], v[4:5], v[126:127], -v[128:129]
	ds_load_b128 v[4:7], v2 offset:1200
	s_wait_loadcnt_dscnt 0xa01
	v_mul_f64_e32 v[186:187], v[178:179], v[132:133]
	v_mul_f64_e32 v[132:133], v[180:181], v[132:133]
	scratch_load_b128 v[126:129], off, off offset:464
	v_add_f64_e32 v[182:183], v[182:183], v[184:185]
	s_wait_loadcnt_dscnt 0xa00
	v_mul_f64_e32 v[184:185], v[4:5], v[136:137]
	v_add_f64_e32 v[192:193], v[172:173], v[170:171]
	v_mul_f64_e32 v[136:137], v[6:7], v[136:137]
	ds_load_b128 v[170:173], v2 offset:1216
	v_fmac_f64_e32 v[186:187], v[180:181], v[130:131]
	v_fma_f64 v[178:179], v[178:179], v[130:131], -v[132:133]
	scratch_load_b128 v[130:133], off, off offset:480
	v_add_f64_e32 v[182:183], v[182:183], v[188:189]
	v_fmac_f64_e32 v[184:185], v[6:7], v[134:135]
	v_add_f64_e32 v[180:181], v[192:193], v[190:191]
	;; [unrolled: 18-line block ×14, first 2 shown]
	v_fma_f64 v[190:191], v[4:5], v[134:135], -v[136:137]
	ds_load_b128 v[4:7], v2 offset:1616
	s_wait_loadcnt_dscnt 0xa01
	v_mul_f64_e32 v[188:189], v[170:171], v[140:141]
	v_mul_f64_e32 v[140:141], v[172:173], v[140:141]
	scratch_load_b128 v[134:137], off, off offset:880
	v_add_f64_e32 v[182:183], v[182:183], v[186:187]
	s_wait_loadcnt_dscnt 0xa00
	v_mul_f64_e32 v[186:187], v[4:5], v[144:145]
	v_add_f64_e32 v[192:193], v[180:181], v[178:179]
	v_mul_f64_e32 v[144:145], v[6:7], v[144:145]
	ds_load_b128 v[178:181], v2 offset:1632
	v_fmac_f64_e32 v[188:189], v[172:173], v[138:139]
	v_fma_f64 v[138:139], v[170:171], v[138:139], -v[140:141]
	s_wait_loadcnt_dscnt 0x900
	v_mul_f64_e32 v[172:173], v[178:179], v[148:149]
	v_mul_f64_e32 v[148:149], v[180:181], v[148:149]
	v_add_f64_e32 v[170:171], v[182:183], v[184:185]
	v_fmac_f64_e32 v[186:187], v[6:7], v[142:143]
	v_add_f64_e32 v[140:141], v[192:193], v[190:191]
	v_fma_f64 v[142:143], v[4:5], v[142:143], -v[144:145]
	v_fmac_f64_e32 v[172:173], v[180:181], v[146:147]
	v_fma_f64 v[146:147], v[178:179], v[146:147], -v[148:149]
	v_add_f64_e32 v[170:171], v[170:171], v[188:189]
	v_add_f64_e32 v[144:145], v[140:141], v[138:139]
	ds_load_b128 v[4:7], v2 offset:1648
	ds_load_b128 v[138:141], v2 offset:1664
	s_wait_loadcnt_dscnt 0x801
	v_mul_f64_e32 v[182:183], v[4:5], v[152:153]
	v_mul_f64_e32 v[152:153], v[6:7], v[152:153]
	s_wait_loadcnt_dscnt 0x700
	v_mul_f64_e32 v[148:149], v[138:139], v[156:157]
	v_mul_f64_e32 v[156:157], v[140:141], v[156:157]
	v_add_f64_e32 v[142:143], v[144:145], v[142:143]
	v_add_f64_e32 v[144:145], v[170:171], v[186:187]
	v_fmac_f64_e32 v[182:183], v[6:7], v[150:151]
	v_fma_f64 v[150:151], v[4:5], v[150:151], -v[152:153]
	v_fmac_f64_e32 v[148:149], v[140:141], v[154:155]
	v_fma_f64 v[138:139], v[138:139], v[154:155], -v[156:157]
	v_add_f64_e32 v[146:147], v[142:143], v[146:147]
	v_add_f64_e32 v[152:153], v[144:145], v[172:173]
	ds_load_b128 v[4:7], v2 offset:1680
	ds_load_b128 v[142:145], v2 offset:1696
	s_wait_loadcnt_dscnt 0x601
	v_mul_f64_e32 v[170:171], v[4:5], v[164:165]
	v_mul_f64_e32 v[164:165], v[6:7], v[164:165]
	v_add_f64_e32 v[140:141], v[146:147], v[150:151]
	v_add_f64_e32 v[146:147], v[152:153], v[182:183]
	s_wait_loadcnt_dscnt 0x500
	v_mul_f64_e32 v[150:151], v[142:143], v[176:177]
	v_mul_f64_e32 v[152:153], v[144:145], v[176:177]
	v_fmac_f64_e32 v[170:171], v[6:7], v[162:163]
	v_fma_f64 v[154:155], v[4:5], v[162:163], -v[164:165]
	v_add_f64_e32 v[156:157], v[140:141], v[138:139]
	v_add_f64_e32 v[146:147], v[146:147], v[148:149]
	ds_load_b128 v[4:7], v2 offset:1712
	ds_load_b128 v[138:141], v2 offset:1728
	v_fmac_f64_e32 v[150:151], v[144:145], v[174:175]
	v_fma_f64 v[142:143], v[142:143], v[174:175], -v[152:153]
	s_wait_loadcnt_dscnt 0x401
	v_mul_f64_e32 v[148:149], v[4:5], v[160:161]
	v_mul_f64_e32 v[160:161], v[6:7], v[160:161]
	s_wait_loadcnt_dscnt 0x300
	v_mul_f64_e32 v[152:153], v[138:139], v[10:11]
	v_mul_f64_e32 v[10:11], v[140:141], v[10:11]
	v_add_f64_e32 v[144:145], v[156:157], v[154:155]
	v_add_f64_e32 v[146:147], v[146:147], v[170:171]
	v_fmac_f64_e32 v[148:149], v[6:7], v[158:159]
	v_fma_f64 v[154:155], v[4:5], v[158:159], -v[160:161]
	v_fmac_f64_e32 v[152:153], v[140:141], v[8:9]
	v_fma_f64 v[8:9], v[138:139], v[8:9], -v[10:11]
	v_add_f64_e32 v[156:157], v[144:145], v[142:143]
	v_add_f64_e32 v[146:147], v[146:147], v[150:151]
	ds_load_b128 v[4:7], v2 offset:1744
	ds_load_b128 v[142:145], v2 offset:1760
	s_wait_loadcnt_dscnt 0x201
	v_mul_f64_e32 v[150:151], v[4:5], v[128:129]
	v_mul_f64_e32 v[128:129], v[6:7], v[128:129]
	s_wait_loadcnt_dscnt 0x100
	v_mul_f64_e32 v[140:141], v[142:143], v[132:133]
	v_mul_f64_e32 v[132:133], v[144:145], v[132:133]
	v_add_f64_e32 v[10:11], v[156:157], v[154:155]
	v_add_f64_e32 v[138:139], v[146:147], v[148:149]
	v_fmac_f64_e32 v[150:151], v[6:7], v[126:127]
	v_fma_f64 v[126:127], v[4:5], v[126:127], -v[128:129]
	ds_load_b128 v[4:7], v2 offset:1776
	v_fmac_f64_e32 v[140:141], v[144:145], v[130:131]
	v_fma_f64 v[130:131], v[142:143], v[130:131], -v[132:133]
	v_add_f64_e32 v[8:9], v[10:11], v[8:9]
	v_add_f64_e32 v[10:11], v[138:139], v[152:153]
	s_wait_loadcnt_dscnt 0x0
	v_mul_f64_e32 v[128:129], v[4:5], v[136:137]
	v_mul_f64_e32 v[136:137], v[6:7], v[136:137]
	s_delay_alu instid0(VALU_DEP_4) | instskip(NEXT) | instid1(VALU_DEP_4)
	v_add_f64_e32 v[8:9], v[8:9], v[126:127]
	v_add_f64_e32 v[10:11], v[10:11], v[150:151]
	s_delay_alu instid0(VALU_DEP_4) | instskip(NEXT) | instid1(VALU_DEP_4)
	v_fmac_f64_e32 v[128:129], v[6:7], v[134:135]
	v_fma_f64 v[4:5], v[4:5], v[134:135], -v[136:137]
	s_delay_alu instid0(VALU_DEP_4) | instskip(NEXT) | instid1(VALU_DEP_4)
	v_add_f64_e32 v[6:7], v[8:9], v[130:131]
	v_add_f64_e32 v[8:9], v[10:11], v[140:141]
	s_delay_alu instid0(VALU_DEP_2) | instskip(NEXT) | instid1(VALU_DEP_2)
	v_add_f64_e32 v[4:5], v[6:7], v[4:5]
	v_add_f64_e32 v[6:7], v[8:9], v[128:129]
	s_delay_alu instid0(VALU_DEP_2) | instskip(NEXT) | instid1(VALU_DEP_2)
	v_add_f64_e64 v[4:5], v[166:167], -v[4:5]
	v_add_f64_e64 v[6:7], v[168:169], -v[6:7]
	scratch_store_b128 off, v[4:7], off offset:32
	s_wait_xcnt 0x0
	v_cmpx_lt_u32_e32 1, v1
	s_cbranch_execz .LBB119_347
; %bb.346:
	scratch_load_b128 v[6:9], off, s18
	v_dual_mov_b32 v3, v2 :: v_dual_mov_b32 v4, v2
	v_mov_b32_e32 v5, v2
	scratch_store_b128 off, v[2:5], off offset:16
	s_wait_loadcnt 0x0
	ds_store_b128 v12, v[6:9]
.LBB119_347:
	s_wait_xcnt 0x0
	s_or_b32 exec_lo, exec_lo, s2
	s_wait_storecnt_dscnt 0x0
	s_barrier_signal -1
	s_barrier_wait -1
	s_clause 0x9
	scratch_load_b128 v[4:7], off, off offset:32
	scratch_load_b128 v[8:11], off, off offset:48
	;; [unrolled: 1-line block ×10, first 2 shown]
	ds_load_b128 v[158:161], v2 offset:928
	ds_load_b128 v[166:169], v2 offset:944
	s_clause 0x2
	scratch_load_b128 v[162:165], off, off offset:192
	scratch_load_b128 v[170:173], off, off offset:16
	;; [unrolled: 1-line block ×3, first 2 shown]
	s_mov_b32 s2, exec_lo
	s_wait_loadcnt_dscnt 0xc01
	v_mul_f64_e32 v[178:179], v[160:161], v[6:7]
	v_mul_f64_e32 v[182:183], v[158:159], v[6:7]
	s_wait_loadcnt_dscnt 0xb00
	v_mul_f64_e32 v[184:185], v[166:167], v[10:11]
	v_mul_f64_e32 v[10:11], v[168:169], v[10:11]
	s_delay_alu instid0(VALU_DEP_4) | instskip(NEXT) | instid1(VALU_DEP_4)
	v_fma_f64 v[186:187], v[158:159], v[4:5], -v[178:179]
	v_fmac_f64_e32 v[182:183], v[160:161], v[4:5]
	ds_load_b128 v[4:7], v2 offset:960
	ds_load_b128 v[158:161], v2 offset:976
	scratch_load_b128 v[178:181], off, off offset:224
	v_fmac_f64_e32 v[184:185], v[168:169], v[8:9]
	v_fma_f64 v[166:167], v[166:167], v[8:9], -v[10:11]
	scratch_load_b128 v[8:11], off, off offset:240
	s_wait_loadcnt_dscnt 0xc01
	v_mul_f64_e32 v[188:189], v[4:5], v[128:129]
	v_mul_f64_e32 v[128:129], v[6:7], v[128:129]
	v_add_f64_e32 v[168:169], 0, v[186:187]
	v_add_f64_e32 v[182:183], 0, v[182:183]
	s_wait_loadcnt_dscnt 0xb00
	v_mul_f64_e32 v[186:187], v[158:159], v[132:133]
	v_mul_f64_e32 v[132:133], v[160:161], v[132:133]
	v_fmac_f64_e32 v[188:189], v[6:7], v[126:127]
	v_fma_f64 v[190:191], v[4:5], v[126:127], -v[128:129]
	ds_load_b128 v[4:7], v2 offset:992
	ds_load_b128 v[126:129], v2 offset:1008
	v_add_f64_e32 v[192:193], v[168:169], v[166:167]
	v_add_f64_e32 v[182:183], v[182:183], v[184:185]
	scratch_load_b128 v[166:169], off, off offset:256
	v_fmac_f64_e32 v[186:187], v[160:161], v[130:131]
	v_fma_f64 v[158:159], v[158:159], v[130:131], -v[132:133]
	scratch_load_b128 v[130:133], off, off offset:272
	s_wait_loadcnt_dscnt 0xc01
	v_mul_f64_e32 v[184:185], v[4:5], v[136:137]
	v_mul_f64_e32 v[136:137], v[6:7], v[136:137]
	v_add_f64_e32 v[160:161], v[192:193], v[190:191]
	v_add_f64_e32 v[182:183], v[182:183], v[188:189]
	s_wait_loadcnt_dscnt 0xb00
	v_mul_f64_e32 v[188:189], v[126:127], v[140:141]
	v_mul_f64_e32 v[140:141], v[128:129], v[140:141]
	v_fmac_f64_e32 v[184:185], v[6:7], v[134:135]
	v_fma_f64 v[190:191], v[4:5], v[134:135], -v[136:137]
	ds_load_b128 v[4:7], v2 offset:1024
	ds_load_b128 v[134:137], v2 offset:1040
	v_add_f64_e32 v[192:193], v[160:161], v[158:159]
	v_add_f64_e32 v[182:183], v[182:183], v[186:187]
	scratch_load_b128 v[158:161], off, off offset:288
	s_wait_loadcnt_dscnt 0xb01
	v_mul_f64_e32 v[186:187], v[4:5], v[144:145]
	v_mul_f64_e32 v[144:145], v[6:7], v[144:145]
	v_fmac_f64_e32 v[188:189], v[128:129], v[138:139]
	v_fma_f64 v[138:139], v[126:127], v[138:139], -v[140:141]
	scratch_load_b128 v[126:129], off, off offset:304
	v_add_f64_e32 v[140:141], v[192:193], v[190:191]
	v_add_f64_e32 v[182:183], v[182:183], v[184:185]
	s_wait_loadcnt_dscnt 0xb00
	v_mul_f64_e32 v[184:185], v[134:135], v[148:149]
	v_mul_f64_e32 v[148:149], v[136:137], v[148:149]
	v_fmac_f64_e32 v[186:187], v[6:7], v[142:143]
	v_fma_f64 v[190:191], v[4:5], v[142:143], -v[144:145]
	v_add_f64_e32 v[192:193], v[140:141], v[138:139]
	v_add_f64_e32 v[182:183], v[182:183], v[188:189]
	ds_load_b128 v[4:7], v2 offset:1056
	ds_load_b128 v[138:141], v2 offset:1072
	scratch_load_b128 v[142:145], off, off offset:320
	v_fmac_f64_e32 v[184:185], v[136:137], v[146:147]
	v_fma_f64 v[146:147], v[134:135], v[146:147], -v[148:149]
	scratch_load_b128 v[134:137], off, off offset:336
	s_wait_loadcnt_dscnt 0xc01
	v_mul_f64_e32 v[188:189], v[4:5], v[152:153]
	v_mul_f64_e32 v[152:153], v[6:7], v[152:153]
	v_add_f64_e32 v[148:149], v[192:193], v[190:191]
	v_add_f64_e32 v[182:183], v[182:183], v[186:187]
	s_wait_loadcnt_dscnt 0xb00
	v_mul_f64_e32 v[186:187], v[138:139], v[156:157]
	v_mul_f64_e32 v[156:157], v[140:141], v[156:157]
	v_fmac_f64_e32 v[188:189], v[6:7], v[150:151]
	v_fma_f64 v[190:191], v[4:5], v[150:151], -v[152:153]
	v_add_f64_e32 v[192:193], v[148:149], v[146:147]
	v_add_f64_e32 v[182:183], v[182:183], v[184:185]
	ds_load_b128 v[4:7], v2 offset:1088
	ds_load_b128 v[146:149], v2 offset:1104
	scratch_load_b128 v[150:153], off, off offset:352
	v_fmac_f64_e32 v[186:187], v[140:141], v[154:155]
	v_fma_f64 v[154:155], v[138:139], v[154:155], -v[156:157]
	scratch_load_b128 v[138:141], off, off offset:368
	s_wait_loadcnt_dscnt 0xc01
	v_mul_f64_e32 v[184:185], v[4:5], v[164:165]
	v_mul_f64_e32 v[164:165], v[6:7], v[164:165]
	;; [unrolled: 18-line block ×5, first 2 shown]
	v_add_f64_e32 v[176:177], v[192:193], v[190:191]
	v_add_f64_e32 v[182:183], v[182:183], v[188:189]
	s_wait_loadcnt_dscnt 0xa00
	v_mul_f64_e32 v[188:189], v[154:155], v[128:129]
	v_mul_f64_e32 v[128:129], v[156:157], v[128:129]
	v_fmac_f64_e32 v[184:185], v[6:7], v[158:159]
	v_fma_f64 v[190:191], v[4:5], v[158:159], -v[160:161]
	ds_load_b128 v[4:7], v2 offset:1216
	ds_load_b128 v[158:161], v2 offset:1232
	v_add_f64_e32 v[192:193], v[176:177], v[174:175]
	v_add_f64_e32 v[182:183], v[182:183], v[186:187]
	scratch_load_b128 v[174:177], off, off offset:480
	v_fmac_f64_e32 v[188:189], v[156:157], v[126:127]
	v_fma_f64 v[154:155], v[154:155], v[126:127], -v[128:129]
	scratch_load_b128 v[126:129], off, off offset:496
	s_wait_loadcnt_dscnt 0xb01
	v_mul_f64_e32 v[186:187], v[4:5], v[144:145]
	v_mul_f64_e32 v[144:145], v[6:7], v[144:145]
	v_add_f64_e32 v[156:157], v[192:193], v[190:191]
	v_add_f64_e32 v[182:183], v[182:183], v[184:185]
	s_wait_loadcnt_dscnt 0xa00
	v_mul_f64_e32 v[184:185], v[158:159], v[136:137]
	v_mul_f64_e32 v[136:137], v[160:161], v[136:137]
	v_fmac_f64_e32 v[186:187], v[6:7], v[142:143]
	v_fma_f64 v[190:191], v[4:5], v[142:143], -v[144:145]
	ds_load_b128 v[4:7], v2 offset:1248
	ds_load_b128 v[142:145], v2 offset:1264
	v_add_f64_e32 v[192:193], v[156:157], v[154:155]
	v_add_f64_e32 v[182:183], v[182:183], v[188:189]
	scratch_load_b128 v[154:157], off, off offset:512
	s_wait_loadcnt_dscnt 0xa01
	v_mul_f64_e32 v[188:189], v[4:5], v[152:153]
	v_mul_f64_e32 v[152:153], v[6:7], v[152:153]
	v_fmac_f64_e32 v[184:185], v[160:161], v[134:135]
	v_fma_f64 v[158:159], v[158:159], v[134:135], -v[136:137]
	scratch_load_b128 v[134:137], off, off offset:528
	v_add_f64_e32 v[160:161], v[192:193], v[190:191]
	v_add_f64_e32 v[182:183], v[182:183], v[186:187]
	s_wait_loadcnt_dscnt 0xa00
	v_mul_f64_e32 v[186:187], v[142:143], v[140:141]
	v_mul_f64_e32 v[140:141], v[144:145], v[140:141]
	v_fmac_f64_e32 v[188:189], v[6:7], v[150:151]
	v_fma_f64 v[190:191], v[4:5], v[150:151], -v[152:153]
	ds_load_b128 v[4:7], v2 offset:1280
	ds_load_b128 v[150:153], v2 offset:1296
	v_add_f64_e32 v[192:193], v[160:161], v[158:159]
	v_add_f64_e32 v[182:183], v[182:183], v[184:185]
	scratch_load_b128 v[158:161], off, off offset:544
	s_wait_loadcnt_dscnt 0xa01
	v_mul_f64_e32 v[184:185], v[4:5], v[164:165]
	v_mul_f64_e32 v[164:165], v[6:7], v[164:165]
	v_fmac_f64_e32 v[186:187], v[144:145], v[138:139]
	v_fma_f64 v[142:143], v[142:143], v[138:139], -v[140:141]
	scratch_load_b128 v[138:141], off, off offset:560
	v_add_f64_e32 v[144:145], v[192:193], v[190:191]
	v_add_f64_e32 v[182:183], v[182:183], v[188:189]
	s_wait_loadcnt_dscnt 0xa00
	v_mul_f64_e32 v[188:189], v[150:151], v[148:149]
	v_mul_f64_e32 v[148:149], v[152:153], v[148:149]
	v_fmac_f64_e32 v[184:185], v[6:7], v[162:163]
	v_fma_f64 v[190:191], v[4:5], v[162:163], -v[164:165]
	v_add_f64_e32 v[192:193], v[144:145], v[142:143]
	v_add_f64_e32 v[182:183], v[182:183], v[186:187]
	ds_load_b128 v[4:7], v2 offset:1312
	ds_load_b128 v[142:145], v2 offset:1328
	scratch_load_b128 v[162:165], off, off offset:576
	v_fmac_f64_e32 v[188:189], v[152:153], v[146:147]
	v_fma_f64 v[150:151], v[150:151], v[146:147], -v[148:149]
	scratch_load_b128 v[146:149], off, off offset:592
	s_wait_loadcnt_dscnt 0xb01
	v_mul_f64_e32 v[186:187], v[4:5], v[180:181]
	v_mul_f64_e32 v[180:181], v[6:7], v[180:181]
	v_add_f64_e32 v[152:153], v[192:193], v[190:191]
	v_add_f64_e32 v[182:183], v[182:183], v[184:185]
	s_wait_loadcnt_dscnt 0xa00
	v_mul_f64_e32 v[184:185], v[142:143], v[10:11]
	v_mul_f64_e32 v[10:11], v[144:145], v[10:11]
	v_fmac_f64_e32 v[186:187], v[6:7], v[178:179]
	v_fma_f64 v[190:191], v[4:5], v[178:179], -v[180:181]
	v_add_f64_e32 v[192:193], v[152:153], v[150:151]
	v_add_f64_e32 v[182:183], v[182:183], v[188:189]
	ds_load_b128 v[4:7], v2 offset:1344
	ds_load_b128 v[150:153], v2 offset:1360
	scratch_load_b128 v[178:181], off, off offset:608
	v_fmac_f64_e32 v[184:185], v[144:145], v[8:9]
	v_fma_f64 v[142:143], v[142:143], v[8:9], -v[10:11]
	scratch_load_b128 v[8:11], off, off offset:624
	s_wait_loadcnt_dscnt 0xb01
	v_mul_f64_e32 v[188:189], v[4:5], v[168:169]
	v_mul_f64_e32 v[168:169], v[6:7], v[168:169]
	;; [unrolled: 18-line block ×10, first 2 shown]
	v_add_f64_e32 v[144:145], v[192:193], v[190:191]
	v_add_f64_e32 v[182:183], v[182:183], v[184:185]
	s_wait_loadcnt_dscnt 0xa00
	v_mul_f64_e32 v[184:185], v[150:151], v[136:137]
	v_mul_f64_e32 v[136:137], v[152:153], v[136:137]
	v_fmac_f64_e32 v[186:187], v[6:7], v[154:155]
	v_fma_f64 v[154:155], v[4:5], v[154:155], -v[156:157]
	v_add_f64_e32 v[156:157], v[144:145], v[142:143]
	v_add_f64_e32 v[182:183], v[182:183], v[188:189]
	ds_load_b128 v[4:7], v2 offset:1632
	ds_load_b128 v[142:145], v2 offset:1648
	v_fmac_f64_e32 v[184:185], v[152:153], v[134:135]
	v_fma_f64 v[134:135], v[150:151], v[134:135], -v[136:137]
	s_wait_loadcnt_dscnt 0x901
	v_mul_f64_e32 v[188:189], v[4:5], v[160:161]
	v_mul_f64_e32 v[160:161], v[6:7], v[160:161]
	s_wait_loadcnt_dscnt 0x800
	v_mul_f64_e32 v[152:153], v[142:143], v[140:141]
	v_mul_f64_e32 v[140:141], v[144:145], v[140:141]
	v_add_f64_e32 v[136:137], v[156:157], v[154:155]
	v_add_f64_e32 v[150:151], v[182:183], v[186:187]
	v_fmac_f64_e32 v[188:189], v[6:7], v[158:159]
	v_fma_f64 v[154:155], v[4:5], v[158:159], -v[160:161]
	v_fmac_f64_e32 v[152:153], v[144:145], v[138:139]
	v_fma_f64 v[138:139], v[142:143], v[138:139], -v[140:141]
	v_add_f64_e32 v[156:157], v[136:137], v[134:135]
	v_add_f64_e32 v[150:151], v[150:151], v[184:185]
	ds_load_b128 v[4:7], v2 offset:1664
	ds_load_b128 v[134:137], v2 offset:1680
	s_wait_loadcnt_dscnt 0x701
	v_mul_f64_e32 v[158:159], v[4:5], v[164:165]
	v_mul_f64_e32 v[160:161], v[6:7], v[164:165]
	s_wait_loadcnt_dscnt 0x600
	v_mul_f64_e32 v[144:145], v[134:135], v[148:149]
	v_mul_f64_e32 v[148:149], v[136:137], v[148:149]
	v_add_f64_e32 v[140:141], v[156:157], v[154:155]
	v_add_f64_e32 v[142:143], v[150:151], v[188:189]
	v_fmac_f64_e32 v[158:159], v[6:7], v[162:163]
	v_fma_f64 v[150:151], v[4:5], v[162:163], -v[160:161]
	v_fmac_f64_e32 v[144:145], v[136:137], v[146:147]
	v_fma_f64 v[134:135], v[134:135], v[146:147], -v[148:149]
	v_add_f64_e32 v[154:155], v[140:141], v[138:139]
	v_add_f64_e32 v[142:143], v[142:143], v[152:153]
	ds_load_b128 v[4:7], v2 offset:1696
	ds_load_b128 v[138:141], v2 offset:1712
	;; [unrolled: 16-line block ×4, first 2 shown]
	s_wait_loadcnt_dscnt 0x101
	v_mul_f64_e32 v[2:3], v[4:5], v[176:177]
	v_mul_f64_e32 v[146:147], v[6:7], v[176:177]
	s_wait_loadcnt_dscnt 0x0
	v_mul_f64_e32 v[136:137], v[8:9], v[128:129]
	v_mul_f64_e32 v[128:129], v[10:11], v[128:129]
	v_add_f64_e32 v[132:133], v[148:149], v[142:143]
	v_add_f64_e32 v[134:135], v[138:139], v[144:145]
	v_fmac_f64_e32 v[2:3], v[6:7], v[174:175]
	v_fma_f64 v[4:5], v[4:5], v[174:175], -v[146:147]
	v_fmac_f64_e32 v[136:137], v[10:11], v[126:127]
	v_fma_f64 v[8:9], v[8:9], v[126:127], -v[128:129]
	v_add_f64_e32 v[6:7], v[132:133], v[130:131]
	v_add_f64_e32 v[130:131], v[134:135], v[140:141]
	s_delay_alu instid0(VALU_DEP_2) | instskip(NEXT) | instid1(VALU_DEP_2)
	v_add_f64_e32 v[4:5], v[6:7], v[4:5]
	v_add_f64_e32 v[2:3], v[130:131], v[2:3]
	s_delay_alu instid0(VALU_DEP_2) | instskip(NEXT) | instid1(VALU_DEP_2)
	;; [unrolled: 3-line block ×3, first 2 shown]
	v_add_f64_e64 v[2:3], v[170:171], -v[4:5]
	v_add_f64_e64 v[4:5], v[172:173], -v[6:7]
	scratch_store_b128 off, v[2:5], off offset:16
	s_wait_xcnt 0x0
	v_cmpx_ne_u32_e32 0, v1
	s_cbranch_execz .LBB119_349
; %bb.348:
	scratch_load_b128 v[2:5], off, off
	v_mov_b32_e32 v6, 0
	s_delay_alu instid0(VALU_DEP_1)
	v_dual_mov_b32 v7, v6 :: v_dual_mov_b32 v8, v6
	v_mov_b32_e32 v9, v6
	scratch_store_b128 off, v[6:9], off
	s_wait_loadcnt 0x0
	ds_store_b128 v12, v[2:5]
.LBB119_349:
	s_wait_xcnt 0x0
	s_or_b32 exec_lo, exec_lo, s2
	s_wait_storecnt_dscnt 0x0
	s_barrier_signal -1
	s_barrier_wait -1
	s_clause 0x9
	scratch_load_b128 v[2:5], off, off offset:16
	scratch_load_b128 v[6:9], off, off offset:32
	;; [unrolled: 1-line block ×10, first 2 shown]
	v_mov_b32_e32 v172, 0
	s_and_b32 vcc_lo, exec_lo, s68
	ds_load_b128 v[154:157], v172 offset:912
	s_clause 0x2
	scratch_load_b128 v[158:161], off, off offset:176
	scratch_load_b128 v[174:177], off, off
	scratch_load_b128 v[166:169], off, off offset:192
	s_wait_loadcnt_dscnt 0xc00
	v_mul_f64_e32 v[170:171], v[156:157], v[4:5]
	v_mul_f64_e32 v[182:183], v[154:155], v[4:5]
	ds_load_b128 v[162:165], v172 offset:928
	ds_load_b128 v[178:181], v172 offset:960
	v_fma_f64 v[170:171], v[154:155], v[2:3], -v[170:171]
	v_fmac_f64_e32 v[182:183], v[156:157], v[2:3]
	ds_load_b128 v[2:5], v172 offset:944
	s_wait_loadcnt_dscnt 0xb02
	v_mul_f64_e32 v[184:185], v[162:163], v[8:9]
	v_mul_f64_e32 v[8:9], v[164:165], v[8:9]
	scratch_load_b128 v[154:157], off, off offset:208
	s_wait_loadcnt_dscnt 0xb00
	v_mul_f64_e32 v[186:187], v[2:3], v[12:13]
	v_mul_f64_e32 v[12:13], v[4:5], v[12:13]
	v_fmac_f64_e32 v[184:185], v[164:165], v[6:7]
	v_fma_f64 v[162:163], v[162:163], v[6:7], -v[8:9]
	v_add_f64_e32 v[164:165], 0, v[170:171]
	v_add_f64_e32 v[170:171], 0, v[182:183]
	scratch_load_b128 v[6:9], off, off offset:224
	v_fmac_f64_e32 v[186:187], v[4:5], v[10:11]
	v_fma_f64 v[188:189], v[2:3], v[10:11], -v[12:13]
	ds_load_b128 v[2:5], v172 offset:976
	s_wait_loadcnt 0xb
	v_mul_f64_e32 v[182:183], v[178:179], v[128:129]
	v_mul_f64_e32 v[128:129], v[180:181], v[128:129]
	scratch_load_b128 v[10:13], off, off offset:240
	v_add_f64_e32 v[190:191], v[164:165], v[162:163]
	v_add_f64_e32 v[170:171], v[170:171], v[184:185]
	ds_load_b128 v[162:165], v172 offset:992
	s_wait_loadcnt_dscnt 0xb01
	v_mul_f64_e32 v[184:185], v[2:3], v[132:133]
	v_mul_f64_e32 v[132:133], v[4:5], v[132:133]
	v_fmac_f64_e32 v[182:183], v[180:181], v[126:127]
	v_fma_f64 v[178:179], v[178:179], v[126:127], -v[128:129]
	scratch_load_b128 v[126:129], off, off offset:256
	v_add_f64_e32 v[180:181], v[190:191], v[188:189]
	v_add_f64_e32 v[170:171], v[170:171], v[186:187]
	v_fmac_f64_e32 v[184:185], v[4:5], v[130:131]
	v_fma_f64 v[188:189], v[2:3], v[130:131], -v[132:133]
	ds_load_b128 v[2:5], v172 offset:1008
	s_wait_loadcnt_dscnt 0xb01
	v_mul_f64_e32 v[186:187], v[162:163], v[136:137]
	v_mul_f64_e32 v[136:137], v[164:165], v[136:137]
	scratch_load_b128 v[130:133], off, off offset:272
	v_add_f64_e32 v[190:191], v[180:181], v[178:179]
	v_add_f64_e32 v[170:171], v[170:171], v[182:183]
	s_wait_loadcnt_dscnt 0xb00
	v_mul_f64_e32 v[182:183], v[2:3], v[140:141]
	v_mul_f64_e32 v[140:141], v[4:5], v[140:141]
	ds_load_b128 v[178:181], v172 offset:1024
	v_fmac_f64_e32 v[186:187], v[164:165], v[134:135]
	v_fma_f64 v[162:163], v[162:163], v[134:135], -v[136:137]
	scratch_load_b128 v[134:137], off, off offset:288
	v_add_f64_e32 v[164:165], v[190:191], v[188:189]
	v_add_f64_e32 v[170:171], v[170:171], v[184:185]
	v_fmac_f64_e32 v[182:183], v[4:5], v[138:139]
	v_fma_f64 v[188:189], v[2:3], v[138:139], -v[140:141]
	ds_load_b128 v[2:5], v172 offset:1040
	s_wait_loadcnt_dscnt 0xb01
	v_mul_f64_e32 v[184:185], v[178:179], v[144:145]
	v_mul_f64_e32 v[144:145], v[180:181], v[144:145]
	scratch_load_b128 v[138:141], off, off offset:304
	v_add_f64_e32 v[190:191], v[164:165], v[162:163]
	v_add_f64_e32 v[170:171], v[170:171], v[186:187]
	s_wait_loadcnt_dscnt 0xb00
	v_mul_f64_e32 v[186:187], v[2:3], v[148:149]
	v_mul_f64_e32 v[148:149], v[4:5], v[148:149]
	ds_load_b128 v[162:165], v172 offset:1056
	;; [unrolled: 18-line block ×20, first 2 shown]
	v_fmac_f64_e32 v[184:185], v[180:181], v[142:143]
	v_fma_f64 v[142:143], v[178:179], v[142:143], -v[144:145]
	s_wait_loadcnt_dscnt 0x900
	v_mul_f64_e32 v[178:179], v[162:163], v[152:153]
	v_mul_f64_e32 v[152:153], v[164:165], v[152:153]
	v_add_f64_e32 v[144:145], v[190:191], v[188:189]
	v_add_f64_e32 v[170:171], v[170:171], v[182:183]
	v_fmac_f64_e32 v[186:187], v[4:5], v[146:147]
	v_fma_f64 v[146:147], v[2:3], v[146:147], -v[148:149]
	v_fmac_f64_e32 v[178:179], v[164:165], v[150:151]
	v_fma_f64 v[150:151], v[162:163], v[150:151], -v[152:153]
	v_add_f64_e32 v[148:149], v[144:145], v[142:143]
	v_add_f64_e32 v[170:171], v[170:171], v[184:185]
	ds_load_b128 v[2:5], v172 offset:1648
	ds_load_b128 v[142:145], v172 offset:1664
	s_wait_loadcnt_dscnt 0x801
	v_mul_f64_e32 v[180:181], v[2:3], v[160:161]
	v_mul_f64_e32 v[160:161], v[4:5], v[160:161]
	s_wait_loadcnt_dscnt 0x700
	v_mul_f64_e32 v[152:153], v[142:143], v[168:169]
	v_mul_f64_e32 v[162:163], v[144:145], v[168:169]
	v_lshl_add_u64 v[168:169], v[20:21], 4, s[4:5]
	v_lshl_add_u64 v[20:21], v[110:111], 4, s[4:5]
	v_add_f64_e32 v[146:147], v[148:149], v[146:147]
	v_add_f64_e32 v[148:149], v[170:171], v[186:187]
	v_lshl_add_u64 v[170:171], v[18:19], 4, s[4:5]
	v_lshl_add_u64 v[18:19], v[112:113], 4, s[4:5]
	v_fmac_f64_e32 v[180:181], v[4:5], v[158:159]
	v_fma_f64 v[158:159], v[2:3], v[158:159], -v[160:161]
	v_fmac_f64_e32 v[152:153], v[144:145], v[166:167]
	v_fma_f64 v[142:143], v[142:143], v[166:167], -v[162:163]
	v_lshl_add_u64 v[166:167], v[22:23], 4, s[4:5]
	v_lshl_add_u64 v[162:163], v[26:27], 4, s[4:5]
	;; [unrolled: 1-line block ×4, first 2 shown]
	v_add_f64_e32 v[150:151], v[146:147], v[150:151]
	v_add_f64_e32 v[160:161], v[148:149], v[178:179]
	ds_load_b128 v[2:5], v172 offset:1680
	ds_load_b128 v[146:149], v172 offset:1696
	s_wait_loadcnt_dscnt 0x601
	v_mul_f64_e32 v[164:165], v[2:3], v[156:157]
	v_mul_f64_e32 v[156:157], v[4:5], v[156:157]
	v_add_f64_e32 v[144:145], v[150:151], v[158:159]
	v_add_f64_e32 v[150:151], v[160:161], v[180:181]
	s_wait_loadcnt_dscnt 0x500
	v_mul_f64_e32 v[158:159], v[146:147], v[8:9]
	v_mul_f64_e32 v[8:9], v[148:149], v[8:9]
	v_lshl_add_u64 v[160:161], v[28:29], 4, s[4:5]
	v_lshl_add_u64 v[28:29], v[102:103], 4, s[4:5]
	v_fmac_f64_e32 v[164:165], v[4:5], v[154:155]
	v_fma_f64 v[154:155], v[2:3], v[154:155], -v[156:157]
	v_add_f64_e32 v[156:157], v[144:145], v[142:143]
	v_add_f64_e32 v[150:151], v[150:151], v[152:153]
	ds_load_b128 v[2:5], v172 offset:1712
	ds_load_b128 v[142:145], v172 offset:1728
	v_fmac_f64_e32 v[158:159], v[148:149], v[6:7]
	v_fma_f64 v[6:7], v[146:147], v[6:7], -v[8:9]
	s_wait_loadcnt_dscnt 0x401
	v_mul_f64_e32 v[152:153], v[2:3], v[12:13]
	v_mul_f64_e32 v[12:13], v[4:5], v[12:13]
	s_wait_loadcnt_dscnt 0x300
	v_mul_f64_e32 v[148:149], v[142:143], v[128:129]
	v_mul_f64_e32 v[128:129], v[144:145], v[128:129]
	v_add_f64_e32 v[8:9], v[156:157], v[154:155]
	v_add_f64_e32 v[146:147], v[150:151], v[164:165]
	v_lshl_add_u64 v[164:165], v[24:25], 4, s[4:5]
	v_lshl_add_u64 v[156:157], v[32:33], 4, s[4:5]
	;; [unrolled: 1-line block ×6, first 2 shown]
	v_fmac_f64_e32 v[152:153], v[4:5], v[10:11]
	v_fma_f64 v[10:11], v[2:3], v[10:11], -v[12:13]
	v_fmac_f64_e32 v[148:149], v[144:145], v[126:127]
	v_fma_f64 v[126:127], v[142:143], v[126:127], -v[128:129]
	v_lshl_add_u64 v[144:145], v[44:45], 4, s[4:5]
	v_lshl_add_u64 v[142:143], v[46:47], 4, s[4:5]
	;; [unrolled: 1-line block ×4, first 2 shown]
	v_add_f64_e32 v[12:13], v[8:9], v[6:7]
	v_add_f64_e32 v[146:147], v[146:147], v[158:159]
	ds_load_b128 v[2:5], v172 offset:1744
	ds_load_b128 v[6:9], v172 offset:1760
	v_lshl_add_u64 v[158:159], v[30:31], 4, s[4:5]
	v_lshl_add_u64 v[30:31], v[100:101], 4, s[4:5]
	s_wait_loadcnt_dscnt 0x201
	v_mul_f64_e32 v[150:151], v[2:3], v[132:133]
	v_mul_f64_e32 v[132:133], v[4:5], v[132:133]
	s_wait_loadcnt_dscnt 0x100
	v_mul_f64_e32 v[128:129], v[6:7], v[136:137]
	v_mul_f64_e32 v[136:137], v[8:9], v[136:137]
	v_add_f64_e32 v[10:11], v[12:13], v[10:11]
	v_add_f64_e32 v[12:13], v[146:147], v[152:153]
	v_lshl_add_u64 v[152:153], v[36:37], 4, s[4:5]
	v_lshl_add_u64 v[146:147], v[42:43], 4, s[4:5]
	;; [unrolled: 1-line block ×4, first 2 shown]
	v_fmac_f64_e32 v[150:151], v[4:5], v[130:131]
	v_fma_f64 v[130:131], v[2:3], v[130:131], -v[132:133]
	ds_load_b128 v[2:5], v172 offset:1776
	v_fmac_f64_e32 v[128:129], v[8:9], v[134:135]
	v_fma_f64 v[6:7], v[6:7], v[134:135], -v[136:137]
	v_lshl_add_u64 v[136:137], v[52:53], 4, s[4:5]
	v_lshl_add_u64 v[134:135], v[64:65], 4, s[4:5]
	;; [unrolled: 1-line block ×4, first 2 shown]
	v_add_f64_e32 v[10:11], v[10:11], v[126:127]
	v_add_f64_e32 v[12:13], v[12:13], v[148:149]
	v_lshl_add_u64 v[148:149], v[40:41], 4, s[4:5]
	v_lshl_add_u64 v[40:41], v[90:91], 4, s[4:5]
	s_wait_loadcnt_dscnt 0x0
	v_mul_f64_e32 v[126:127], v[2:3], v[140:141]
	v_mul_f64_e32 v[132:133], v[4:5], v[140:141]
	v_lshl_add_u64 v[140:141], v[48:49], 4, s[4:5]
	v_lshl_add_u64 v[48:49], v[82:83], 4, s[4:5]
	v_add_f64_e32 v[8:9], v[10:11], v[130:131]
	v_add_f64_e32 v[10:11], v[12:13], v[150:151]
	v_lshl_add_u64 v[150:151], v[38:39], 4, s[4:5]
	v_lshl_add_u64 v[130:131], v[56:57], 4, s[4:5]
	;; [unrolled: 1-line block ×5, first 2 shown]
	v_fmac_f64_e32 v[126:127], v[4:5], v[138:139]
	v_fma_f64 v[2:3], v[2:3], v[138:139], -v[132:133]
	v_lshl_add_u64 v[138:139], v[50:51], 4, s[4:5]
	v_lshl_add_u64 v[132:133], v[54:55], 4, s[4:5]
	;; [unrolled: 1-line block ×5, first 2 shown]
	v_add_f64_e32 v[4:5], v[8:9], v[6:7]
	v_add_f64_e32 v[6:7], v[10:11], v[128:129]
	v_lshl_add_u64 v[128:129], v[58:59], 4, s[4:5]
	v_lshl_add_u64 v[58:59], v[62:63], 4, s[4:5]
	;; [unrolled: 1-line block ×5, first 2 shown]
	v_add_f64_e32 v[2:3], v[4:5], v[2:3]
	v_add_f64_e32 v[4:5], v[6:7], v[126:127]
	v_lshl_add_u64 v[126:127], v[60:61], 4, s[4:5]
	v_lshl_add_u64 v[60:61], v[74:75], 4, s[4:5]
	;; [unrolled: 1-line block ×3, first 2 shown]
	v_add_f64_e64 v[174:175], v[174:175], -v[2:3]
	v_add_f64_e64 v[176:177], v[176:177], -v[4:5]
	v_lshl_add_u64 v[4:5], v[122:123], 4, s[4:5]
	v_lshl_add_u64 v[2:3], v[124:125], 4, s[4:5]
	scratch_store_b128 off, v[174:177], off
	s_cbranch_vccz .LBB119_460
; %bb.350:
	global_load_b32 v68, v172, s[8:9] offset:216
	s_load_b64 s[2:3], s[0:1], 0x4
	v_bfe_u32 v69, v0, 10, 10
	v_bfe_u32 v0, v0, 20, 10
	s_wait_kmcnt 0x0
	s_lshr_b32 s0, s2, 16
	s_delay_alu instid0(VALU_DEP_2) | instskip(SKIP_1) | instid1(SALU_CYCLE_1)
	v_mul_u32_u24_e32 v69, s3, v69
	s_mul_i32 s0, s0, s3
	v_mul_u32_u24_e32 v1, s0, v1
	s_delay_alu instid0(VALU_DEP_1) | instskip(NEXT) | instid1(VALU_DEP_1)
	v_add3_u32 v0, v1, v69, v0
	v_lshl_add_u32 v0, v0, 4, 0x708
	s_wait_loadcnt 0x0
	v_cmp_ne_u32_e32 vcc_lo, 55, v68
	s_cbranch_vccz .LBB119_352
; %bb.351:
	v_lshlrev_b32_e32 v1, 4, v68
	s_clause 0x1
	scratch_load_b128 v[68:71], off, s15
	scratch_load_b128 v[72:75], v1, off offset:-16
	s_wait_loadcnt 0x1
	ds_store_2addr_b64 v0, v[68:69], v[70:71] offset1:1
	s_wait_loadcnt 0x0
	s_clause 0x1
	scratch_store_b128 off, v[72:75], s15
	scratch_store_b128 v1, v[68:71], off offset:-16
.LBB119_352:
	s_wait_xcnt 0x0
	v_mov_b32_e32 v1, 0
	global_load_b32 v68, v1, s[8:9] offset:212
	s_wait_loadcnt 0x0
	v_cmp_eq_u32_e32 vcc_lo, 54, v68
	s_cbranch_vccnz .LBB119_354
; %bb.353:
	v_lshlrev_b32_e32 v68, 4, v68
	s_delay_alu instid0(VALU_DEP_1)
	v_mov_b32_e32 v76, v68
	s_clause 0x1
	scratch_load_b128 v[68:71], off, s17
	scratch_load_b128 v[72:75], v76, off offset:-16
	s_wait_loadcnt 0x1
	ds_store_2addr_b64 v0, v[68:69], v[70:71] offset1:1
	s_wait_loadcnt 0x0
	s_clause 0x1
	scratch_store_b128 off, v[72:75], s17
	scratch_store_b128 v76, v[68:71], off offset:-16
.LBB119_354:
	global_load_b32 v1, v1, s[8:9] offset:208
	s_wait_loadcnt 0x0
	v_cmp_eq_u32_e32 vcc_lo, 53, v1
	s_cbranch_vccnz .LBB119_356
; %bb.355:
	s_wait_xcnt 0x0
	v_lshlrev_b32_e32 v1, 4, v1
	s_clause 0x1
	scratch_load_b128 v[68:71], off, s19
	scratch_load_b128 v[72:75], v1, off offset:-16
	s_wait_loadcnt 0x1
	ds_store_2addr_b64 v0, v[68:69], v[70:71] offset1:1
	s_wait_loadcnt 0x0
	s_clause 0x1
	scratch_store_b128 off, v[72:75], s19
	scratch_store_b128 v1, v[68:71], off offset:-16
.LBB119_356:
	s_wait_xcnt 0x0
	v_mov_b32_e32 v1, 0
	global_load_b32 v68, v1, s[8:9] offset:204
	s_wait_loadcnt 0x0
	v_cmp_eq_u32_e32 vcc_lo, 52, v68
	s_cbranch_vccnz .LBB119_358
; %bb.357:
	v_lshlrev_b32_e32 v68, 4, v68
	s_delay_alu instid0(VALU_DEP_1)
	v_mov_b32_e32 v76, v68
	s_clause 0x1
	scratch_load_b128 v[68:71], off, s20
	scratch_load_b128 v[72:75], v76, off offset:-16
	s_wait_loadcnt 0x1
	ds_store_2addr_b64 v0, v[68:69], v[70:71] offset1:1
	s_wait_loadcnt 0x0
	s_clause 0x1
	scratch_store_b128 off, v[72:75], s20
	scratch_store_b128 v76, v[68:71], off offset:-16
.LBB119_358:
	global_load_b32 v1, v1, s[8:9] offset:200
	s_wait_loadcnt 0x0
	v_cmp_eq_u32_e32 vcc_lo, 51, v1
	s_cbranch_vccnz .LBB119_360
; %bb.359:
	s_wait_xcnt 0x0
	v_lshlrev_b32_e32 v1, 4, v1
	s_clause 0x1
	scratch_load_b128 v[68:71], off, s21
	scratch_load_b128 v[72:75], v1, off offset:-16
	s_wait_loadcnt 0x1
	ds_store_2addr_b64 v0, v[68:69], v[70:71] offset1:1
	s_wait_loadcnt 0x0
	s_clause 0x1
	scratch_store_b128 off, v[72:75], s21
	scratch_store_b128 v1, v[68:71], off offset:-16
.LBB119_360:
	;; [unrolled: 37-line block ×26, first 2 shown]
	s_wait_xcnt 0x0
	v_mov_b32_e32 v1, 0
	global_load_b32 v68, v1, s[8:9] offset:4
	s_wait_loadcnt 0x0
	v_cmp_eq_u32_e32 vcc_lo, 2, v68
	s_cbranch_vccnz .LBB119_458
; %bb.457:
	v_lshlrev_b32_e32 v68, 4, v68
	s_delay_alu instid0(VALU_DEP_1)
	v_mov_b32_e32 v76, v68
	s_clause 0x1
	scratch_load_b128 v[68:71], off, s18
	scratch_load_b128 v[72:75], v76, off offset:-16
	s_wait_loadcnt 0x1
	ds_store_2addr_b64 v0, v[68:69], v[70:71] offset1:1
	s_wait_loadcnt 0x0
	s_clause 0x1
	scratch_store_b128 off, v[72:75], s18
	scratch_store_b128 v76, v[68:71], off offset:-16
.LBB119_458:
	global_load_b32 v1, v1, s[8:9]
	s_wait_loadcnt 0x0
	v_cmp_eq_u32_e32 vcc_lo, 1, v1
	s_cbranch_vccnz .LBB119_460
; %bb.459:
	s_wait_xcnt 0x0
	v_lshlrev_b32_e32 v1, 4, v1
	scratch_load_b128 v[68:71], off, off
	scratch_load_b128 v[72:75], v1, off offset:-16
	s_wait_loadcnt 0x1
	ds_store_2addr_b64 v0, v[68:69], v[70:71] offset1:1
	s_wait_loadcnt 0x0
	scratch_store_b128 off, v[72:75], off
	scratch_store_b128 v1, v[68:71], off offset:-16
.LBB119_460:
	scratch_load_b128 v[68:71], off, off
	s_wait_loadcnt 0x0
	flat_store_b128 v[14:15], v[68:71]
	scratch_load_b128 v[68:71], off, s18
	s_wait_loadcnt 0x0
	flat_store_b128 v[16:17], v[68:71]
	scratch_load_b128 v[14:17], off, s16
	s_wait_loadcnt 0x0
	flat_store_b128 v[170:171], v[14:17]
	scratch_load_b128 v[14:17], off, s14
	s_wait_loadcnt 0x0
	flat_store_b128 v[168:169], v[14:17]
	scratch_load_b128 v[14:17], off, s12
	s_wait_loadcnt 0x0
	flat_store_b128 v[166:167], v[14:17]
	scratch_load_b128 v[14:17], off, s67
	s_wait_loadcnt 0x0
	flat_store_b128 v[164:165], v[14:17]
	scratch_load_b128 v[14:17], off, s66
	s_wait_loadcnt 0x0
	flat_store_b128 v[162:163], v[14:17]
	scratch_load_b128 v[14:17], off, s65
	s_wait_loadcnt 0x0
	flat_store_b128 v[160:161], v[14:17]
	scratch_load_b128 v[14:17], off, s64
	s_wait_loadcnt 0x0
	flat_store_b128 v[158:159], v[14:17]
	scratch_load_b128 v[14:17], off, s63
	s_wait_loadcnt 0x0
	flat_store_b128 v[156:157], v[14:17]
	scratch_load_b128 v[14:17], off, s62
	s_wait_loadcnt 0x0
	flat_store_b128 v[154:155], v[14:17]
	scratch_load_b128 v[14:17], off, s61
	s_wait_loadcnt 0x0
	flat_store_b128 v[152:153], v[14:17]
	scratch_load_b128 v[14:17], off, s60
	s_wait_loadcnt 0x0
	flat_store_b128 v[150:151], v[14:17]
	scratch_load_b128 v[14:17], off, s59
	s_wait_loadcnt 0x0
	flat_store_b128 v[148:149], v[14:17]
	scratch_load_b128 v[14:17], off, s58
	s_wait_loadcnt 0x0
	flat_store_b128 v[146:147], v[14:17]
	scratch_load_b128 v[14:17], off, s57
	s_wait_loadcnt 0x0
	flat_store_b128 v[144:145], v[14:17]
	scratch_load_b128 v[14:17], off, s56
	s_wait_loadcnt 0x0
	flat_store_b128 v[142:143], v[14:17]
	scratch_load_b128 v[14:17], off, s55
	s_wait_loadcnt 0x0
	flat_store_b128 v[140:141], v[14:17]
	scratch_load_b128 v[14:17], off, s54
	s_wait_loadcnt 0x0
	flat_store_b128 v[138:139], v[14:17]
	scratch_load_b128 v[14:17], off, s53
	s_wait_loadcnt 0x0
	flat_store_b128 v[136:137], v[14:17]
	scratch_load_b128 v[14:17], off, s52
	s_wait_loadcnt 0x0
	flat_store_b128 v[132:133], v[14:17]
	scratch_load_b128 v[14:17], off, s51
	s_wait_loadcnt 0x0
	flat_store_b128 v[130:131], v[14:17]
	scratch_load_b128 v[14:17], off, s50
	s_wait_loadcnt 0x0
	flat_store_b128 v[128:129], v[14:17]
	scratch_load_b128 v[14:17], off, s49
	s_wait_loadcnt 0x0
	flat_store_b128 v[126:127], v[14:17]
	scratch_load_b128 v[14:17], off, s48
	s_wait_loadcnt 0x0
	flat_store_b128 v[58:59], v[14:17]
	scratch_load_b128 v[14:17], off, s47
	s_wait_loadcnt 0x0
	flat_store_b128 v[54:55], v[14:17]
	scratch_load_b128 v[14:17], off, s46
	s_wait_loadcnt 0x0
	flat_store_b128 v[134:135], v[14:17]
	scratch_load_b128 v[14:17], off, s45
	s_wait_loadcnt 0x0
	flat_store_b128 v[66:67], v[14:17]
	scratch_load_b128 v[14:17], off, s44
	s_wait_loadcnt 0x0
	flat_store_b128 v[64:65], v[14:17]
	scratch_load_b128 v[14:17], off, s43
	s_wait_loadcnt 0x0
	flat_store_b128 v[62:63], v[14:17]
	scratch_load_b128 v[14:17], off, s42
	s_wait_loadcnt 0x0
	flat_store_b128 v[60:61], v[14:17]
	scratch_load_b128 v[14:17], off, s41
	s_wait_loadcnt 0x0
	flat_store_b128 v[56:57], v[14:17]
	scratch_load_b128 v[14:17], off, s40
	s_wait_loadcnt 0x0
	flat_store_b128 v[52:53], v[14:17]
	scratch_load_b128 v[14:17], off, s39
	s_wait_loadcnt 0x0
	flat_store_b128 v[50:51], v[14:17]
	scratch_load_b128 v[14:17], off, s38
	s_wait_loadcnt 0x0
	flat_store_b128 v[48:49], v[14:17]
	scratch_load_b128 v[14:17], off, s37
	s_wait_loadcnt 0x0
	flat_store_b128 v[46:47], v[14:17]
	scratch_load_b128 v[14:17], off, s36
	s_wait_loadcnt 0x0
	flat_store_b128 v[44:45], v[14:17]
	scratch_load_b128 v[14:17], off, s35
	s_wait_loadcnt 0x0
	flat_store_b128 v[42:43], v[14:17]
	scratch_load_b128 v[14:17], off, s34
	s_wait_loadcnt 0x0
	flat_store_b128 v[40:41], v[14:17]
	scratch_load_b128 v[14:17], off, s33
	s_wait_loadcnt 0x0
	flat_store_b128 v[38:39], v[14:17]
	scratch_load_b128 v[14:17], off, s31
	s_wait_loadcnt 0x0
	flat_store_b128 v[36:37], v[14:17]
	scratch_load_b128 v[14:17], off, s30
	s_wait_loadcnt 0x0
	flat_store_b128 v[34:35], v[14:17]
	scratch_load_b128 v[14:17], off, s29
	s_wait_loadcnt 0x0
	flat_store_b128 v[32:33], v[14:17]
	scratch_load_b128 v[14:17], off, s28
	s_wait_loadcnt 0x0
	flat_store_b128 v[30:31], v[14:17]
	scratch_load_b128 v[14:17], off, s27
	s_wait_loadcnt 0x0
	flat_store_b128 v[28:29], v[14:17]
	scratch_load_b128 v[14:17], off, s26
	s_wait_loadcnt 0x0
	flat_store_b128 v[26:27], v[14:17]
	scratch_load_b128 v[14:17], off, s25
	s_wait_loadcnt 0x0
	flat_store_b128 v[24:25], v[14:17]
	scratch_load_b128 v[14:17], off, s24
	s_wait_loadcnt 0x0
	flat_store_b128 v[22:23], v[14:17]
	scratch_load_b128 v[14:17], off, s23
	s_wait_loadcnt 0x0
	flat_store_b128 v[20:21], v[14:17]
	scratch_load_b128 v[14:17], off, s22
	s_wait_loadcnt 0x0
	flat_store_b128 v[18:19], v[14:17]
	scratch_load_b128 v[14:17], off, s21
	s_wait_loadcnt 0x0
	flat_store_b128 v[12:13], v[14:17]
	scratch_load_b128 v[12:15], off, s20
	s_wait_loadcnt 0x0
	flat_store_b128 v[10:11], v[12:15]
	scratch_load_b128 v[10:13], off, s19
	s_wait_loadcnt 0x0
	flat_store_b128 v[8:9], v[10:13]
	scratch_load_b128 v[8:11], off, s17
	s_wait_loadcnt 0x0
	flat_store_b128 v[6:7], v[8:11]
	scratch_load_b128 v[6:9], off, s15
	s_wait_loadcnt 0x0
	flat_store_b128 v[4:5], v[6:9]
	scratch_load_b128 v[4:7], off, s13
	s_wait_loadcnt 0x0
	flat_store_b128 v[2:3], v[4:7]
	s_sendmsg sendmsg(MSG_DEALLOC_VGPRS)
	s_endpgm
	.section	.rodata,"a",@progbits
	.p2align	6, 0x0
	.amdhsa_kernel _ZN9rocsolver6v33100L18getri_kernel_smallILi56E19rocblas_complex_numIdEPKPS3_EEvT1_iilPiilS8_bb
		.amdhsa_group_segment_fixed_size 2824
		.amdhsa_private_segment_fixed_size 912
		.amdhsa_kernarg_size 60
		.amdhsa_user_sgpr_count 4
		.amdhsa_user_sgpr_dispatch_ptr 1
		.amdhsa_user_sgpr_queue_ptr 0
		.amdhsa_user_sgpr_kernarg_segment_ptr 1
		.amdhsa_user_sgpr_dispatch_id 0
		.amdhsa_user_sgpr_kernarg_preload_length 0
		.amdhsa_user_sgpr_kernarg_preload_offset 0
		.amdhsa_user_sgpr_private_segment_size 0
		.amdhsa_wavefront_size32 1
		.amdhsa_uses_dynamic_stack 0
		.amdhsa_enable_private_segment 1
		.amdhsa_system_sgpr_workgroup_id_x 1
		.amdhsa_system_sgpr_workgroup_id_y 0
		.amdhsa_system_sgpr_workgroup_id_z 0
		.amdhsa_system_sgpr_workgroup_info 0
		.amdhsa_system_vgpr_workitem_id 2
		.amdhsa_next_free_vgpr 194
		.amdhsa_next_free_sgpr 94
		.amdhsa_named_barrier_count 0
		.amdhsa_reserve_vcc 1
		.amdhsa_float_round_mode_32 0
		.amdhsa_float_round_mode_16_64 0
		.amdhsa_float_denorm_mode_32 3
		.amdhsa_float_denorm_mode_16_64 3
		.amdhsa_fp16_overflow 0
		.amdhsa_memory_ordered 1
		.amdhsa_forward_progress 1
		.amdhsa_inst_pref_size 255
		.amdhsa_round_robin_scheduling 0
		.amdhsa_exception_fp_ieee_invalid_op 0
		.amdhsa_exception_fp_denorm_src 0
		.amdhsa_exception_fp_ieee_div_zero 0
		.amdhsa_exception_fp_ieee_overflow 0
		.amdhsa_exception_fp_ieee_underflow 0
		.amdhsa_exception_fp_ieee_inexact 0
		.amdhsa_exception_int_div_zero 0
	.end_amdhsa_kernel
	.section	.text._ZN9rocsolver6v33100L18getri_kernel_smallILi56E19rocblas_complex_numIdEPKPS3_EEvT1_iilPiilS8_bb,"axG",@progbits,_ZN9rocsolver6v33100L18getri_kernel_smallILi56E19rocblas_complex_numIdEPKPS3_EEvT1_iilPiilS8_bb,comdat
.Lfunc_end119:
	.size	_ZN9rocsolver6v33100L18getri_kernel_smallILi56E19rocblas_complex_numIdEPKPS3_EEvT1_iilPiilS8_bb, .Lfunc_end119-_ZN9rocsolver6v33100L18getri_kernel_smallILi56E19rocblas_complex_numIdEPKPS3_EEvT1_iilPiilS8_bb
                                        ; -- End function
	.set _ZN9rocsolver6v33100L18getri_kernel_smallILi56E19rocblas_complex_numIdEPKPS3_EEvT1_iilPiilS8_bb.num_vgpr, 194
	.set _ZN9rocsolver6v33100L18getri_kernel_smallILi56E19rocblas_complex_numIdEPKPS3_EEvT1_iilPiilS8_bb.num_agpr, 0
	.set _ZN9rocsolver6v33100L18getri_kernel_smallILi56E19rocblas_complex_numIdEPKPS3_EEvT1_iilPiilS8_bb.numbered_sgpr, 94
	.set _ZN9rocsolver6v33100L18getri_kernel_smallILi56E19rocblas_complex_numIdEPKPS3_EEvT1_iilPiilS8_bb.num_named_barrier, 0
	.set _ZN9rocsolver6v33100L18getri_kernel_smallILi56E19rocblas_complex_numIdEPKPS3_EEvT1_iilPiilS8_bb.private_seg_size, 912
	.set _ZN9rocsolver6v33100L18getri_kernel_smallILi56E19rocblas_complex_numIdEPKPS3_EEvT1_iilPiilS8_bb.uses_vcc, 1
	.set _ZN9rocsolver6v33100L18getri_kernel_smallILi56E19rocblas_complex_numIdEPKPS3_EEvT1_iilPiilS8_bb.uses_flat_scratch, 1
	.set _ZN9rocsolver6v33100L18getri_kernel_smallILi56E19rocblas_complex_numIdEPKPS3_EEvT1_iilPiilS8_bb.has_dyn_sized_stack, 0
	.set _ZN9rocsolver6v33100L18getri_kernel_smallILi56E19rocblas_complex_numIdEPKPS3_EEvT1_iilPiilS8_bb.has_recursion, 0
	.set _ZN9rocsolver6v33100L18getri_kernel_smallILi56E19rocblas_complex_numIdEPKPS3_EEvT1_iilPiilS8_bb.has_indirect_call, 0
	.section	.AMDGPU.csdata,"",@progbits
; Kernel info:
; codeLenInByte = 114828
; TotalNumSgprs: 96
; NumVgprs: 194
; ScratchSize: 912
; MemoryBound: 0
; FloatMode: 240
; IeeeMode: 1
; LDSByteSize: 2824 bytes/workgroup (compile time only)
; SGPRBlocks: 0
; VGPRBlocks: 12
; NumSGPRsForWavesPerEU: 96
; NumVGPRsForWavesPerEU: 194
; NamedBarCnt: 0
; Occupancy: 4
; WaveLimiterHint : 1
; COMPUTE_PGM_RSRC2:SCRATCH_EN: 1
; COMPUTE_PGM_RSRC2:USER_SGPR: 4
; COMPUTE_PGM_RSRC2:TRAP_HANDLER: 0
; COMPUTE_PGM_RSRC2:TGID_X_EN: 1
; COMPUTE_PGM_RSRC2:TGID_Y_EN: 0
; COMPUTE_PGM_RSRC2:TGID_Z_EN: 0
; COMPUTE_PGM_RSRC2:TIDIG_COMP_CNT: 2
	.section	.text._ZN9rocsolver6v33100L18getri_kernel_smallILi57E19rocblas_complex_numIdEPKPS3_EEvT1_iilPiilS8_bb,"axG",@progbits,_ZN9rocsolver6v33100L18getri_kernel_smallILi57E19rocblas_complex_numIdEPKPS3_EEvT1_iilPiilS8_bb,comdat
	.globl	_ZN9rocsolver6v33100L18getri_kernel_smallILi57E19rocblas_complex_numIdEPKPS3_EEvT1_iilPiilS8_bb ; -- Begin function _ZN9rocsolver6v33100L18getri_kernel_smallILi57E19rocblas_complex_numIdEPKPS3_EEvT1_iilPiilS8_bb
	.p2align	8
	.type	_ZN9rocsolver6v33100L18getri_kernel_smallILi57E19rocblas_complex_numIdEPKPS3_EEvT1_iilPiilS8_bb,@function
_ZN9rocsolver6v33100L18getri_kernel_smallILi57E19rocblas_complex_numIdEPKPS3_EEvT1_iilPiilS8_bb: ; @_ZN9rocsolver6v33100L18getri_kernel_smallILi57E19rocblas_complex_numIdEPKPS3_EEvT1_iilPiilS8_bb
; %bb.0:
	v_and_b32_e32 v1, 0x3ff, v0
	s_mov_b32 s4, exec_lo
	s_delay_alu instid0(VALU_DEP_1)
	v_cmpx_gt_u32_e32 57, v1
	s_cbranch_execz .LBB120_242
; %bb.1:
	s_clause 0x1
	s_load_b32 s16, s[2:3], 0x38
	s_load_b64 s[8:9], s[2:3], 0x0
	s_getreg_b32 s6, hwreg(HW_REG_IB_STS2, 6, 4)
	s_wait_kmcnt 0x0
	s_bitcmp1_b32 s16, 8
	s_cselect_b32 s69, -1, 0
	s_bfe_u32 s4, ttmp6, 0x4000c
	s_and_b32 s5, ttmp6, 15
	s_add_co_i32 s4, s4, 1
	s_delay_alu instid0(SALU_CYCLE_1) | instskip(NEXT) | instid1(SALU_CYCLE_1)
	s_mul_i32 s4, ttmp9, s4
	s_add_co_i32 s5, s5, s4
	s_cmp_eq_u32 s6, 0
	s_cselect_b32 s10, ttmp9, s5
	s_load_b128 s[4:7], s[2:3], 0x28
	s_ashr_i32 s11, s10, 31
	s_delay_alu instid0(SALU_CYCLE_1) | instskip(NEXT) | instid1(SALU_CYCLE_1)
	s_lshl_b64 s[12:13], s[10:11], 3
	s_add_nc_u64 s[8:9], s[8:9], s[12:13]
	s_load_b64 s[14:15], s[8:9], 0x0
	s_wait_xcnt 0x0
	s_bfe_u32 s8, s16, 0x10008
	s_delay_alu instid0(SALU_CYCLE_1)
	s_cmp_eq_u32 s8, 0
                                        ; implicit-def: $sgpr8_sgpr9
	s_cbranch_scc1 .LBB120_3
; %bb.2:
	s_load_b96 s[16:18], s[2:3], 0x18
	s_wait_kmcnt 0x0
	s_mul_u64 s[4:5], s[4:5], s[10:11]
	s_delay_alu instid0(SALU_CYCLE_1) | instskip(SKIP_4) | instid1(SALU_CYCLE_1)
	s_lshl_b64 s[4:5], s[4:5], 2
	s_ashr_i32 s9, s18, 31
	s_mov_b32 s8, s18
	s_add_nc_u64 s[4:5], s[16:17], s[4:5]
	s_lshl_b64 s[8:9], s[8:9], 2
	s_add_nc_u64 s[8:9], s[4:5], s[8:9]
.LBB120_3:
	s_clause 0x1
	s_load_b64 s[12:13], s[2:3], 0x8
	s_load_b32 s70, s[2:3], 0x38
	v_dual_mov_b32 v129, 0 :: v_dual_lshlrev_b32 v128, 4, v1
	s_movk_i32 s71, 0x200
	s_movk_i32 s72, 0x210
	;; [unrolled: 1-line block ×16, first 2 shown]
	s_wait_kmcnt 0x0
	s_ashr_i32 s3, s12, 31
	s_mov_b32 s2, s12
	v_add3_u32 v18, s13, s13, v1
	s_lshl_b64 s[2:3], s[2:3], 4
	s_movk_i32 s87, 0x300
	s_add_nc_u64 s[4:5], s[14:15], s[2:3]
	s_ashr_i32 s3, s13, 31
	flat_load_b128 v[2:5], v1, s[4:5] scale_offset
	v_add_nc_u64_e32 v[14:15], s[4:5], v[128:129]
	s_mov_b32 s2, s13
	v_add_nc_u32_e32 v20, s13, v18
	s_movk_i32 s88, 0x310
	s_movk_i32 s89, 0x320
	;; [unrolled: 1-line block ×4, first 2 shown]
	v_lshl_add_u64 v[16:17], s[2:3], 4, v[14:15]
	v_add_nc_u32_e32 v22, s13, v20
	s_movk_i32 s92, 0x350
	s_movk_i32 s93, 0x360
	s_movk_i32 s94, 0x370
	s_movk_i32 s95, 0x380
	v_add_nc_u32_e32 v24, s13, v22
	s_mov_b32 s18, 16
	s_mov_b32 s16, 32
	;; [unrolled: 1-line block ×4, first 2 shown]
	v_add_nc_u32_e32 v26, s13, v24
	s_movk_i32 s68, 0x50
	s_movk_i32 s67, 0x60
	s_movk_i32 s66, 0x70
	s_movk_i32 s65, 0x80
	v_add_nc_u32_e32 v28, s13, v26
	s_movk_i32 s64, 0x90
	s_movk_i32 s63, 0xa0
	s_movk_i32 s62, 0xb0
	s_movk_i32 s61, 0xc0
	v_add_nc_u32_e32 v30, s13, v28
	s_movk_i32 s60, 0xd0
	s_movk_i32 s59, 0xe0
	s_movk_i32 s58, 0xf0
	s_movk_i32 s57, 0x100
	v_add_nc_u32_e32 v32, s13, v30
	s_movk_i32 s56, 0x110
	s_movk_i32 s55, 0x120
	s_movk_i32 s54, 0x130
	s_movk_i32 s53, 0x140
	v_add_nc_u32_e32 v34, s13, v32
	s_movk_i32 s52, 0x150
	s_movk_i32 s51, 0x160
	s_movk_i32 s50, 0x170
	s_movk_i32 s49, 0x180
	v_add_nc_u32_e32 v36, s13, v34
	s_movk_i32 s48, 0x190
	s_movk_i32 s47, 0x1a0
	s_movk_i32 s46, 0x1b0
	s_movk_i32 s45, 0x1c0
	v_add_nc_u32_e32 v38, s13, v36
	s_movk_i32 s44, 0x1d0
	s_movk_i32 s43, 0x1e0
	;; [unrolled: 1-line block ×3, first 2 shown]
	s_mov_b32 s41, s71
	v_add_nc_u32_e32 v40, s13, v38
	s_mov_b32 s40, s72
	s_mov_b32 s39, s73
	s_mov_b32 s38, s74
	s_mov_b32 s37, s75
	v_add_nc_u32_e32 v42, s13, v40
	s_mov_b32 s36, s76
	s_mov_b32 s35, s77
	s_mov_b32 s34, s78
	;; [unrolled: 5-line block ×6, first 2 shown]
	s_bitcmp0_b32 s70, 0
	v_add_nc_u32_e32 v52, s13, v50
	s_mov_b32 s3, -1
	s_delay_alu instid0(VALU_DEP_1) | instskip(NEXT) | instid1(VALU_DEP_1)
	v_add_nc_u32_e32 v54, s13, v52
	v_add_nc_u32_e32 v56, s13, v54
	s_delay_alu instid0(VALU_DEP_1) | instskip(NEXT) | instid1(VALU_DEP_1)
	v_add_nc_u32_e32 v58, s13, v56
	v_add_nc_u32_e32 v60, s13, v58
	;; [unrolled: 3-line block ×18, first 2 shown]
	s_delay_alu instid0(VALU_DEP_1)
	v_add_nc_u32_e32 v126, s13, v124
	s_mov_b32 s13, s95
	s_wait_loadcnt_dscnt 0x0
	scratch_store_b128 off, v[2:5], off
	flat_load_b128 v[2:5], v[16:17]
	s_wait_loadcnt_dscnt 0x0
	scratch_store_b128 off, v[2:5], off offset:16
	flat_load_b128 v[2:5], v18, s[4:5] scale_offset
	s_wait_loadcnt_dscnt 0x0
	scratch_store_b128 off, v[2:5], off offset:32
	flat_load_b128 v[2:5], v20, s[4:5] scale_offset
	;; [unrolled: 3-line block ×55, first 2 shown]
	s_wait_loadcnt_dscnt 0x0
	scratch_store_b128 off, v[2:5], off offset:896
	s_cbranch_scc1 .LBB120_240
; %bb.4:
	v_cmp_eq_u32_e64 s2, 0, v1
	s_wait_xcnt 0x0
	s_and_saveexec_b32 s3, s2
; %bb.5:
	v_mov_b32_e32 v2, 0
	ds_store_b32 v2, v2 offset:1824
; %bb.6:
	s_or_b32 exec_lo, exec_lo, s3
	s_wait_storecnt_dscnt 0x0
	s_barrier_signal -1
	s_barrier_wait -1
	scratch_load_b128 v[2:5], v1, off scale_offset
	s_wait_loadcnt 0x0
	v_cmp_eq_f64_e32 vcc_lo, 0, v[2:3]
	v_cmp_eq_f64_e64 s3, 0, v[4:5]
	s_and_b32 s3, vcc_lo, s3
	s_delay_alu instid0(SALU_CYCLE_1)
	s_and_saveexec_b32 s70, s3
	s_cbranch_execz .LBB120_10
; %bb.7:
	v_mov_b32_e32 v2, 0
	s_mov_b32 s71, 0
	ds_load_b32 v3, v2 offset:1824
	s_wait_dscnt 0x0
	v_readfirstlane_b32 s3, v3
	v_add_nc_u32_e32 v3, 1, v1
	s_cmp_eq_u32 s3, 0
	s_delay_alu instid0(VALU_DEP_1) | instskip(SKIP_1) | instid1(SALU_CYCLE_1)
	v_cmp_gt_i32_e32 vcc_lo, s3, v3
	s_cselect_b32 s72, -1, 0
	s_or_b32 s72, s72, vcc_lo
	s_delay_alu instid0(SALU_CYCLE_1)
	s_and_b32 exec_lo, exec_lo, s72
	s_cbranch_execz .LBB120_10
; %bb.8:
	v_mov_b32_e32 v4, s3
.LBB120_9:                              ; =>This Inner Loop Header: Depth=1
	ds_cmpstore_rtn_b32 v4, v2, v3, v4 offset:1824
	s_wait_dscnt 0x0
	v_cmp_ne_u32_e32 vcc_lo, 0, v4
	v_cmp_le_i32_e64 s3, v4, v3
	s_and_b32 s3, vcc_lo, s3
	s_delay_alu instid0(SALU_CYCLE_1) | instskip(NEXT) | instid1(SALU_CYCLE_1)
	s_and_b32 s3, exec_lo, s3
	s_or_b32 s71, s3, s71
	s_delay_alu instid0(SALU_CYCLE_1)
	s_and_not1_b32 exec_lo, exec_lo, s71
	s_cbranch_execnz .LBB120_9
.LBB120_10:
	s_or_b32 exec_lo, exec_lo, s70
	v_mov_b32_e32 v2, 0
	s_barrier_signal -1
	s_barrier_wait -1
	ds_load_b32 v3, v2 offset:1824
	s_and_saveexec_b32 s3, s2
	s_cbranch_execz .LBB120_12
; %bb.11:
	s_lshl_b64 s[70:71], s[10:11], 2
	s_delay_alu instid0(SALU_CYCLE_1)
	s_add_nc_u64 s[70:71], s[6:7], s[70:71]
	s_wait_dscnt 0x0
	global_store_b32 v2, v3, s[70:71]
.LBB120_12:
	s_wait_xcnt 0x0
	s_or_b32 exec_lo, exec_lo, s3
	s_wait_dscnt 0x0
	v_cmp_ne_u32_e32 vcc_lo, 0, v3
	s_mov_b32 s3, 0
	s_cbranch_vccnz .LBB120_240
; %bb.13:
	v_lshl_add_u32 v19, v1, 4, 0
                                        ; implicit-def: $vgpr6_vgpr7
                                        ; implicit-def: $vgpr10_vgpr11
	scratch_load_b128 v[2:5], v19, off
	s_wait_loadcnt 0x0
	v_cmp_ngt_f64_e64 s3, |v[2:3]|, |v[4:5]|
	s_wait_xcnt 0x0
	s_and_saveexec_b32 s70, s3
	s_delay_alu instid0(SALU_CYCLE_1)
	s_xor_b32 s3, exec_lo, s70
	s_cbranch_execz .LBB120_15
; %bb.14:
	v_div_scale_f64 v[6:7], null, v[4:5], v[4:5], v[2:3]
	v_div_scale_f64 v[12:13], vcc_lo, v[2:3], v[4:5], v[2:3]
	s_delay_alu instid0(VALU_DEP_2) | instskip(SKIP_1) | instid1(TRANS32_DEP_1)
	v_rcp_f64_e32 v[8:9], v[6:7]
	v_nop
	v_fma_f64 v[10:11], -v[6:7], v[8:9], 1.0
	s_delay_alu instid0(VALU_DEP_1) | instskip(NEXT) | instid1(VALU_DEP_1)
	v_fmac_f64_e32 v[8:9], v[8:9], v[10:11]
	v_fma_f64 v[10:11], -v[6:7], v[8:9], 1.0
	s_delay_alu instid0(VALU_DEP_1) | instskip(NEXT) | instid1(VALU_DEP_1)
	v_fmac_f64_e32 v[8:9], v[8:9], v[10:11]
	v_mul_f64_e32 v[10:11], v[12:13], v[8:9]
	s_delay_alu instid0(VALU_DEP_1) | instskip(NEXT) | instid1(VALU_DEP_1)
	v_fma_f64 v[6:7], -v[6:7], v[10:11], v[12:13]
	v_div_fmas_f64 v[6:7], v[6:7], v[8:9], v[10:11]
	s_delay_alu instid0(VALU_DEP_1) | instskip(NEXT) | instid1(VALU_DEP_1)
	v_div_fixup_f64 v[6:7], v[6:7], v[4:5], v[2:3]
	v_fmac_f64_e32 v[4:5], v[2:3], v[6:7]
	s_delay_alu instid0(VALU_DEP_1) | instskip(SKIP_1) | instid1(VALU_DEP_2)
	v_div_scale_f64 v[2:3], null, v[4:5], v[4:5], 1.0
	v_div_scale_f64 v[12:13], vcc_lo, 1.0, v[4:5], 1.0
	v_rcp_f64_e32 v[8:9], v[2:3]
	v_nop
	s_delay_alu instid0(TRANS32_DEP_1) | instskip(NEXT) | instid1(VALU_DEP_1)
	v_fma_f64 v[10:11], -v[2:3], v[8:9], 1.0
	v_fmac_f64_e32 v[8:9], v[8:9], v[10:11]
	s_delay_alu instid0(VALU_DEP_1) | instskip(NEXT) | instid1(VALU_DEP_1)
	v_fma_f64 v[10:11], -v[2:3], v[8:9], 1.0
	v_fmac_f64_e32 v[8:9], v[8:9], v[10:11]
	s_delay_alu instid0(VALU_DEP_1) | instskip(NEXT) | instid1(VALU_DEP_1)
	v_mul_f64_e32 v[10:11], v[12:13], v[8:9]
	v_fma_f64 v[2:3], -v[2:3], v[10:11], v[12:13]
	s_delay_alu instid0(VALU_DEP_1) | instskip(NEXT) | instid1(VALU_DEP_1)
	v_div_fmas_f64 v[2:3], v[2:3], v[8:9], v[10:11]
	v_div_fixup_f64 v[8:9], v[2:3], v[4:5], 1.0
                                        ; implicit-def: $vgpr2_vgpr3
	s_delay_alu instid0(VALU_DEP_1) | instskip(SKIP_1) | instid1(VALU_DEP_2)
	v_mul_f64_e32 v[6:7], v[6:7], v[8:9]
	v_xor_b32_e32 v9, 0x80000000, v9
	v_xor_b32_e32 v11, 0x80000000, v7
	s_delay_alu instid0(VALU_DEP_3)
	v_mov_b32_e32 v10, v6
.LBB120_15:
	s_and_not1_saveexec_b32 s3, s3
	s_cbranch_execz .LBB120_17
; %bb.16:
	v_div_scale_f64 v[6:7], null, v[2:3], v[2:3], v[4:5]
	v_div_scale_f64 v[12:13], vcc_lo, v[4:5], v[2:3], v[4:5]
	s_delay_alu instid0(VALU_DEP_2) | instskip(SKIP_1) | instid1(TRANS32_DEP_1)
	v_rcp_f64_e32 v[8:9], v[6:7]
	v_nop
	v_fma_f64 v[10:11], -v[6:7], v[8:9], 1.0
	s_delay_alu instid0(VALU_DEP_1) | instskip(NEXT) | instid1(VALU_DEP_1)
	v_fmac_f64_e32 v[8:9], v[8:9], v[10:11]
	v_fma_f64 v[10:11], -v[6:7], v[8:9], 1.0
	s_delay_alu instid0(VALU_DEP_1) | instskip(NEXT) | instid1(VALU_DEP_1)
	v_fmac_f64_e32 v[8:9], v[8:9], v[10:11]
	v_mul_f64_e32 v[10:11], v[12:13], v[8:9]
	s_delay_alu instid0(VALU_DEP_1) | instskip(NEXT) | instid1(VALU_DEP_1)
	v_fma_f64 v[6:7], -v[6:7], v[10:11], v[12:13]
	v_div_fmas_f64 v[6:7], v[6:7], v[8:9], v[10:11]
	s_delay_alu instid0(VALU_DEP_1) | instskip(NEXT) | instid1(VALU_DEP_1)
	v_div_fixup_f64 v[8:9], v[6:7], v[2:3], v[4:5]
	v_fmac_f64_e32 v[2:3], v[4:5], v[8:9]
	s_delay_alu instid0(VALU_DEP_1) | instskip(NEXT) | instid1(VALU_DEP_1)
	v_div_scale_f64 v[4:5], null, v[2:3], v[2:3], 1.0
	v_rcp_f64_e32 v[6:7], v[4:5]
	v_nop
	s_delay_alu instid0(TRANS32_DEP_1) | instskip(NEXT) | instid1(VALU_DEP_1)
	v_fma_f64 v[10:11], -v[4:5], v[6:7], 1.0
	v_fmac_f64_e32 v[6:7], v[6:7], v[10:11]
	s_delay_alu instid0(VALU_DEP_1) | instskip(NEXT) | instid1(VALU_DEP_1)
	v_fma_f64 v[10:11], -v[4:5], v[6:7], 1.0
	v_fmac_f64_e32 v[6:7], v[6:7], v[10:11]
	v_div_scale_f64 v[10:11], vcc_lo, 1.0, v[2:3], 1.0
	s_delay_alu instid0(VALU_DEP_1) | instskip(NEXT) | instid1(VALU_DEP_1)
	v_mul_f64_e32 v[12:13], v[10:11], v[6:7]
	v_fma_f64 v[4:5], -v[4:5], v[12:13], v[10:11]
	s_delay_alu instid0(VALU_DEP_1) | instskip(NEXT) | instid1(VALU_DEP_1)
	v_div_fmas_f64 v[4:5], v[4:5], v[6:7], v[12:13]
	v_div_fixup_f64 v[6:7], v[4:5], v[2:3], 1.0
	s_delay_alu instid0(VALU_DEP_1)
	v_mul_f64_e64 v[8:9], v[8:9], -v[6:7]
	v_xor_b32_e32 v11, 0x80000000, v7
	v_mov_b32_e32 v10, v6
.LBB120_17:
	s_or_b32 exec_lo, exec_lo, s3
	s_clause 0x1
	scratch_store_b128 v19, v[6:9], off
	scratch_load_b128 v[2:5], off, s18
	v_xor_b32_e32 v13, 0x80000000, v9
	v_mov_b32_e32 v12, v8
	s_wait_xcnt 0x1
	v_add_nc_u32_e32 v6, 0x390, v128
	ds_store_b128 v128, v[10:13]
	s_wait_loadcnt 0x0
	ds_store_b128 v128, v[2:5] offset:912
	s_wait_storecnt_dscnt 0x0
	s_barrier_signal -1
	s_barrier_wait -1
	s_wait_xcnt 0x0
	s_and_saveexec_b32 s3, s2
	s_cbranch_execz .LBB120_19
; %bb.18:
	scratch_load_b128 v[2:5], v19, off
	ds_load_b128 v[8:11], v6
	v_mov_b32_e32 v7, 0
	ds_load_b128 v[130:133], v7 offset:16
	s_wait_loadcnt_dscnt 0x1
	v_mul_f64_e32 v[12:13], v[8:9], v[4:5]
	v_mul_f64_e32 v[4:5], v[10:11], v[4:5]
	s_delay_alu instid0(VALU_DEP_2) | instskip(NEXT) | instid1(VALU_DEP_2)
	v_fmac_f64_e32 v[12:13], v[10:11], v[2:3]
	v_fma_f64 v[2:3], v[8:9], v[2:3], -v[4:5]
	s_delay_alu instid0(VALU_DEP_2) | instskip(NEXT) | instid1(VALU_DEP_2)
	v_add_f64_e32 v[8:9], 0, v[12:13]
	v_add_f64_e32 v[2:3], 0, v[2:3]
	s_wait_dscnt 0x0
	s_delay_alu instid0(VALU_DEP_2) | instskip(NEXT) | instid1(VALU_DEP_2)
	v_mul_f64_e32 v[10:11], v[8:9], v[132:133]
	v_mul_f64_e32 v[4:5], v[2:3], v[132:133]
	s_delay_alu instid0(VALU_DEP_2) | instskip(NEXT) | instid1(VALU_DEP_2)
	v_fma_f64 v[2:3], v[2:3], v[130:131], -v[10:11]
	v_fmac_f64_e32 v[4:5], v[8:9], v[130:131]
	scratch_store_b128 off, v[2:5], off offset:16
.LBB120_19:
	s_wait_xcnt 0x0
	s_or_b32 exec_lo, exec_lo, s3
	s_wait_storecnt 0x0
	s_barrier_signal -1
	s_barrier_wait -1
	scratch_load_b128 v[2:5], off, s16
	s_mov_b32 s3, exec_lo
	s_wait_loadcnt 0x0
	ds_store_b128 v6, v[2:5]
	s_wait_dscnt 0x0
	s_barrier_signal -1
	s_barrier_wait -1
	v_cmpx_gt_u32_e32 2, v1
	s_cbranch_execz .LBB120_23
; %bb.20:
	scratch_load_b128 v[2:5], v19, off
	ds_load_b128 v[8:11], v6
	s_wait_loadcnt_dscnt 0x0
	v_mul_f64_e32 v[12:13], v[10:11], v[4:5]
	v_mul_f64_e32 v[130:131], v[8:9], v[4:5]
	s_delay_alu instid0(VALU_DEP_2) | instskip(NEXT) | instid1(VALU_DEP_2)
	v_fma_f64 v[4:5], v[8:9], v[2:3], -v[12:13]
	v_fmac_f64_e32 v[130:131], v[10:11], v[2:3]
	s_delay_alu instid0(VALU_DEP_2) | instskip(NEXT) | instid1(VALU_DEP_2)
	v_add_f64_e32 v[4:5], 0, v[4:5]
	v_add_f64_e32 v[2:3], 0, v[130:131]
	s_and_saveexec_b32 s70, s2
	s_cbranch_execz .LBB120_22
; %bb.21:
	scratch_load_b128 v[8:11], off, off offset:16
	v_mov_b32_e32 v7, 0
	ds_load_b128 v[130:133], v7 offset:928
	s_wait_loadcnt_dscnt 0x0
	v_mul_f64_e32 v[12:13], v[130:131], v[10:11]
	v_mul_f64_e32 v[10:11], v[132:133], v[10:11]
	s_delay_alu instid0(VALU_DEP_2) | instskip(NEXT) | instid1(VALU_DEP_2)
	v_fmac_f64_e32 v[12:13], v[132:133], v[8:9]
	v_fma_f64 v[8:9], v[130:131], v[8:9], -v[10:11]
	s_delay_alu instid0(VALU_DEP_2) | instskip(NEXT) | instid1(VALU_DEP_2)
	v_add_f64_e32 v[2:3], v[2:3], v[12:13]
	v_add_f64_e32 v[4:5], v[4:5], v[8:9]
.LBB120_22:
	s_or_b32 exec_lo, exec_lo, s70
	v_mov_b32_e32 v7, 0
	ds_load_b128 v[8:11], v7 offset:32
	s_wait_dscnt 0x0
	v_mul_f64_e32 v[130:131], v[2:3], v[10:11]
	v_mul_f64_e32 v[12:13], v[4:5], v[10:11]
	s_delay_alu instid0(VALU_DEP_2) | instskip(NEXT) | instid1(VALU_DEP_2)
	v_fma_f64 v[10:11], v[4:5], v[8:9], -v[130:131]
	v_fmac_f64_e32 v[12:13], v[2:3], v[8:9]
	scratch_store_b128 off, v[10:13], off offset:32
.LBB120_23:
	s_wait_xcnt 0x0
	s_or_b32 exec_lo, exec_lo, s3
	s_wait_storecnt 0x0
	s_barrier_signal -1
	s_barrier_wait -1
	scratch_load_b128 v[2:5], off, s14
	v_add_nc_u32_e32 v7, -1, v1
	s_mov_b32 s2, exec_lo
	s_wait_loadcnt 0x0
	ds_store_b128 v6, v[2:5]
	s_wait_dscnt 0x0
	s_barrier_signal -1
	s_barrier_wait -1
	v_cmpx_gt_u32_e32 3, v1
	s_cbranch_execz .LBB120_27
; %bb.24:
	v_dual_mov_b32 v10, v128 :: v_dual_add_nc_u32 v8, -1, v1
	v_mov_b64_e32 v[2:3], 0
	v_mov_b64_e32 v[4:5], 0
	v_add_nc_u32_e32 v9, 0x390, v128
	s_delay_alu instid0(VALU_DEP_4)
	v_or_b32_e32 v10, 8, v10
	s_mov_b32 s3, 0
.LBB120_25:                             ; =>This Inner Loop Header: Depth=1
	scratch_load_b128 v[130:133], v10, off offset:-8
	ds_load_b128 v[134:137], v9
	s_wait_xcnt 0x0
	v_dual_add_nc_u32 v9, 16, v9 :: v_dual_add_nc_u32 v10, 16, v10
	v_add_nc_u32_e32 v8, 1, v8
	s_delay_alu instid0(VALU_DEP_1) | instskip(SKIP_4) | instid1(VALU_DEP_2)
	v_cmp_lt_u32_e32 vcc_lo, 1, v8
	s_or_b32 s3, vcc_lo, s3
	s_wait_loadcnt_dscnt 0x0
	v_mul_f64_e32 v[12:13], v[136:137], v[132:133]
	v_mul_f64_e32 v[132:133], v[134:135], v[132:133]
	v_fma_f64 v[12:13], v[134:135], v[130:131], -v[12:13]
	s_delay_alu instid0(VALU_DEP_2) | instskip(NEXT) | instid1(VALU_DEP_2)
	v_fmac_f64_e32 v[132:133], v[136:137], v[130:131]
	v_add_f64_e32 v[4:5], v[4:5], v[12:13]
	s_delay_alu instid0(VALU_DEP_2)
	v_add_f64_e32 v[2:3], v[2:3], v[132:133]
	s_and_not1_b32 exec_lo, exec_lo, s3
	s_cbranch_execnz .LBB120_25
; %bb.26:
	s_or_b32 exec_lo, exec_lo, s3
	v_mov_b32_e32 v8, 0
	ds_load_b128 v[8:11], v8 offset:48
	s_wait_dscnt 0x0
	v_mul_f64_e32 v[130:131], v[2:3], v[10:11]
	v_mul_f64_e32 v[12:13], v[4:5], v[10:11]
	s_delay_alu instid0(VALU_DEP_2) | instskip(NEXT) | instid1(VALU_DEP_2)
	v_fma_f64 v[10:11], v[4:5], v[8:9], -v[130:131]
	v_fmac_f64_e32 v[12:13], v[2:3], v[8:9]
	scratch_store_b128 off, v[10:13], off offset:48
.LBB120_27:
	s_wait_xcnt 0x0
	s_or_b32 exec_lo, exec_lo, s2
	s_wait_storecnt 0x0
	s_barrier_signal -1
	s_barrier_wait -1
	scratch_load_b128 v[2:5], off, s12
	s_mov_b32 s2, exec_lo
	s_wait_loadcnt 0x0
	ds_store_b128 v6, v[2:5]
	s_wait_dscnt 0x0
	s_barrier_signal -1
	s_barrier_wait -1
	v_cmpx_gt_u32_e32 4, v1
	s_cbranch_execz .LBB120_31
; %bb.28:
	v_dual_mov_b32 v10, v128 :: v_dual_add_nc_u32 v8, -1, v1
	v_mov_b64_e32 v[2:3], 0
	v_mov_b64_e32 v[4:5], 0
	v_add_nc_u32_e32 v9, 0x390, v128
	s_delay_alu instid0(VALU_DEP_4)
	v_or_b32_e32 v10, 8, v10
	s_mov_b32 s3, 0
.LBB120_29:                             ; =>This Inner Loop Header: Depth=1
	scratch_load_b128 v[130:133], v10, off offset:-8
	ds_load_b128 v[134:137], v9
	s_wait_xcnt 0x0
	v_dual_add_nc_u32 v9, 16, v9 :: v_dual_add_nc_u32 v10, 16, v10
	v_add_nc_u32_e32 v8, 1, v8
	s_delay_alu instid0(VALU_DEP_1) | instskip(SKIP_4) | instid1(VALU_DEP_2)
	v_cmp_lt_u32_e32 vcc_lo, 2, v8
	s_or_b32 s3, vcc_lo, s3
	s_wait_loadcnt_dscnt 0x0
	v_mul_f64_e32 v[12:13], v[136:137], v[132:133]
	v_mul_f64_e32 v[132:133], v[134:135], v[132:133]
	v_fma_f64 v[12:13], v[134:135], v[130:131], -v[12:13]
	s_delay_alu instid0(VALU_DEP_2) | instskip(NEXT) | instid1(VALU_DEP_2)
	v_fmac_f64_e32 v[132:133], v[136:137], v[130:131]
	v_add_f64_e32 v[4:5], v[4:5], v[12:13]
	s_delay_alu instid0(VALU_DEP_2)
	v_add_f64_e32 v[2:3], v[2:3], v[132:133]
	s_and_not1_b32 exec_lo, exec_lo, s3
	s_cbranch_execnz .LBB120_29
; %bb.30:
	s_or_b32 exec_lo, exec_lo, s3
	v_mov_b32_e32 v8, 0
	ds_load_b128 v[8:11], v8 offset:64
	s_wait_dscnt 0x0
	v_mul_f64_e32 v[130:131], v[2:3], v[10:11]
	v_mul_f64_e32 v[12:13], v[4:5], v[10:11]
	s_delay_alu instid0(VALU_DEP_2) | instskip(NEXT) | instid1(VALU_DEP_2)
	v_fma_f64 v[10:11], v[4:5], v[8:9], -v[130:131]
	v_fmac_f64_e32 v[12:13], v[2:3], v[8:9]
	scratch_store_b128 off, v[10:13], off offset:64
.LBB120_31:
	s_wait_xcnt 0x0
	s_or_b32 exec_lo, exec_lo, s2
	s_wait_storecnt 0x0
	s_barrier_signal -1
	s_barrier_wait -1
	scratch_load_b128 v[2:5], off, s68
	;; [unrolled: 54-line block ×19, first 2 shown]
	s_mov_b32 s2, exec_lo
	s_wait_loadcnt 0x0
	ds_store_b128 v6, v[2:5]
	s_wait_dscnt 0x0
	s_barrier_signal -1
	s_barrier_wait -1
	v_cmpx_gt_u32_e32 22, v1
	s_cbranch_execz .LBB120_103
; %bb.100:
	v_dual_mov_b32 v10, v128 :: v_dual_add_nc_u32 v8, -1, v1
	v_mov_b64_e32 v[2:3], 0
	v_mov_b64_e32 v[4:5], 0
	v_add_nc_u32_e32 v9, 0x390, v128
	s_delay_alu instid0(VALU_DEP_4)
	v_or_b32_e32 v10, 8, v10
	s_mov_b32 s3, 0
.LBB120_101:                            ; =>This Inner Loop Header: Depth=1
	scratch_load_b128 v[130:133], v10, off offset:-8
	ds_load_b128 v[134:137], v9
	s_wait_xcnt 0x0
	v_dual_add_nc_u32 v9, 16, v9 :: v_dual_add_nc_u32 v10, 16, v10
	v_add_nc_u32_e32 v8, 1, v8
	s_delay_alu instid0(VALU_DEP_1) | instskip(SKIP_4) | instid1(VALU_DEP_2)
	v_cmp_lt_u32_e32 vcc_lo, 20, v8
	s_or_b32 s3, vcc_lo, s3
	s_wait_loadcnt_dscnt 0x0
	v_mul_f64_e32 v[12:13], v[136:137], v[132:133]
	v_mul_f64_e32 v[132:133], v[134:135], v[132:133]
	v_fma_f64 v[12:13], v[134:135], v[130:131], -v[12:13]
	s_delay_alu instid0(VALU_DEP_2) | instskip(NEXT) | instid1(VALU_DEP_2)
	v_fmac_f64_e32 v[132:133], v[136:137], v[130:131]
	v_add_f64_e32 v[4:5], v[4:5], v[12:13]
	s_delay_alu instid0(VALU_DEP_2)
	v_add_f64_e32 v[2:3], v[2:3], v[132:133]
	s_and_not1_b32 exec_lo, exec_lo, s3
	s_cbranch_execnz .LBB120_101
; %bb.102:
	s_or_b32 exec_lo, exec_lo, s3
	v_mov_b32_e32 v8, 0
	ds_load_b128 v[8:11], v8 offset:352
	s_wait_dscnt 0x0
	v_mul_f64_e32 v[130:131], v[2:3], v[10:11]
	v_mul_f64_e32 v[12:13], v[4:5], v[10:11]
	s_delay_alu instid0(VALU_DEP_2) | instskip(NEXT) | instid1(VALU_DEP_2)
	v_fma_f64 v[10:11], v[4:5], v[8:9], -v[130:131]
	v_fmac_f64_e32 v[12:13], v[2:3], v[8:9]
	scratch_store_b128 off, v[10:13], off offset:352
.LBB120_103:
	s_wait_xcnt 0x0
	s_or_b32 exec_lo, exec_lo, s2
	s_wait_storecnt 0x0
	s_barrier_signal -1
	s_barrier_wait -1
	scratch_load_b128 v[2:5], off, s50
	s_mov_b32 s2, exec_lo
	s_wait_loadcnt 0x0
	ds_store_b128 v6, v[2:5]
	s_wait_dscnt 0x0
	s_barrier_signal -1
	s_barrier_wait -1
	v_cmpx_gt_u32_e32 23, v1
	s_cbranch_execz .LBB120_107
; %bb.104:
	v_dual_mov_b32 v10, v128 :: v_dual_add_nc_u32 v8, -1, v1
	v_mov_b64_e32 v[2:3], 0
	v_mov_b64_e32 v[4:5], 0
	v_add_nc_u32_e32 v9, 0x390, v128
	s_delay_alu instid0(VALU_DEP_4)
	v_or_b32_e32 v10, 8, v10
	s_mov_b32 s3, 0
.LBB120_105:                            ; =>This Inner Loop Header: Depth=1
	scratch_load_b128 v[130:133], v10, off offset:-8
	ds_load_b128 v[134:137], v9
	s_wait_xcnt 0x0
	v_dual_add_nc_u32 v9, 16, v9 :: v_dual_add_nc_u32 v10, 16, v10
	v_add_nc_u32_e32 v8, 1, v8
	s_delay_alu instid0(VALU_DEP_1) | instskip(SKIP_4) | instid1(VALU_DEP_2)
	v_cmp_lt_u32_e32 vcc_lo, 21, v8
	s_or_b32 s3, vcc_lo, s3
	s_wait_loadcnt_dscnt 0x0
	v_mul_f64_e32 v[12:13], v[136:137], v[132:133]
	v_mul_f64_e32 v[132:133], v[134:135], v[132:133]
	v_fma_f64 v[12:13], v[134:135], v[130:131], -v[12:13]
	s_delay_alu instid0(VALU_DEP_2) | instskip(NEXT) | instid1(VALU_DEP_2)
	v_fmac_f64_e32 v[132:133], v[136:137], v[130:131]
	v_add_f64_e32 v[4:5], v[4:5], v[12:13]
	s_delay_alu instid0(VALU_DEP_2)
	v_add_f64_e32 v[2:3], v[2:3], v[132:133]
	s_and_not1_b32 exec_lo, exec_lo, s3
	s_cbranch_execnz .LBB120_105
; %bb.106:
	s_or_b32 exec_lo, exec_lo, s3
	v_mov_b32_e32 v8, 0
	ds_load_b128 v[8:11], v8 offset:368
	s_wait_dscnt 0x0
	v_mul_f64_e32 v[130:131], v[2:3], v[10:11]
	v_mul_f64_e32 v[12:13], v[4:5], v[10:11]
	s_delay_alu instid0(VALU_DEP_2) | instskip(NEXT) | instid1(VALU_DEP_2)
	v_fma_f64 v[10:11], v[4:5], v[8:9], -v[130:131]
	v_fmac_f64_e32 v[12:13], v[2:3], v[8:9]
	scratch_store_b128 off, v[10:13], off offset:368
.LBB120_107:
	s_wait_xcnt 0x0
	s_or_b32 exec_lo, exec_lo, s2
	s_wait_storecnt 0x0
	s_barrier_signal -1
	s_barrier_wait -1
	scratch_load_b128 v[2:5], off, s49
	;; [unrolled: 54-line block ×34, first 2 shown]
	s_mov_b32 s2, exec_lo
	s_wait_loadcnt 0x0
	ds_store_b128 v6, v[2:5]
	s_wait_dscnt 0x0
	s_barrier_signal -1
	s_barrier_wait -1
	v_cmpx_ne_u32_e32 56, v1
	s_cbranch_execz .LBB120_239
; %bb.236:
	v_mov_b32_e32 v8, v128
	v_mov_b64_e32 v[2:3], 0
	v_mov_b64_e32 v[4:5], 0
	s_mov_b32 s3, 0
	s_delay_alu instid0(VALU_DEP_3)
	v_or_b32_e32 v8, 8, v8
.LBB120_237:                            ; =>This Inner Loop Header: Depth=1
	scratch_load_b128 v[10:13], v8, off offset:-8
	ds_load_b128 v[128:131], v6
	v_dual_add_nc_u32 v7, 1, v7 :: v_dual_add_nc_u32 v6, 16, v6
	s_wait_xcnt 0x0
	v_add_nc_u32_e32 v8, 16, v8
	s_delay_alu instid0(VALU_DEP_2) | instskip(SKIP_4) | instid1(VALU_DEP_2)
	v_cmp_lt_u32_e32 vcc_lo, 54, v7
	s_or_b32 s3, vcc_lo, s3
	s_wait_loadcnt_dscnt 0x0
	v_mul_f64_e32 v[132:133], v[130:131], v[12:13]
	v_mul_f64_e32 v[12:13], v[128:129], v[12:13]
	v_fma_f64 v[128:129], v[128:129], v[10:11], -v[132:133]
	s_delay_alu instid0(VALU_DEP_2) | instskip(NEXT) | instid1(VALU_DEP_2)
	v_fmac_f64_e32 v[12:13], v[130:131], v[10:11]
	v_add_f64_e32 v[4:5], v[4:5], v[128:129]
	s_delay_alu instid0(VALU_DEP_2)
	v_add_f64_e32 v[2:3], v[2:3], v[12:13]
	s_and_not1_b32 exec_lo, exec_lo, s3
	s_cbranch_execnz .LBB120_237
; %bb.238:
	s_or_b32 exec_lo, exec_lo, s3
	v_mov_b32_e32 v6, 0
	ds_load_b128 v[6:9], v6 offset:896
	s_wait_dscnt 0x0
	v_mul_f64_e32 v[12:13], v[2:3], v[8:9]
	v_mul_f64_e32 v[10:11], v[4:5], v[8:9]
	s_delay_alu instid0(VALU_DEP_2) | instskip(NEXT) | instid1(VALU_DEP_2)
	v_fma_f64 v[8:9], v[4:5], v[6:7], -v[12:13]
	v_fmac_f64_e32 v[10:11], v[2:3], v[6:7]
	scratch_store_b128 off, v[8:11], off offset:896
.LBB120_239:
	s_wait_xcnt 0x0
	s_or_b32 exec_lo, exec_lo, s2
	s_mov_b32 s3, -1
	s_wait_storecnt 0x0
	s_barrier_signal -1
	s_barrier_wait -1
.LBB120_240:
	s_and_b32 vcc_lo, exec_lo, s3
	s_cbranch_vccz .LBB120_242
; %bb.241:
	s_wait_xcnt 0x0
	v_mov_b32_e32 v2, 0
	s_lshl_b64 s[2:3], s[10:11], 2
	s_delay_alu instid0(SALU_CYCLE_1)
	s_add_nc_u64 s[2:3], s[6:7], s[2:3]
	global_load_b32 v2, v2, s[2:3]
	s_wait_loadcnt 0x0
	v_cmp_ne_u32_e32 vcc_lo, 0, v2
	s_cbranch_vccz .LBB120_243
.LBB120_242:
	s_sendmsg sendmsg(MSG_DEALLOC_VGPRS)
	s_endpgm
.LBB120_243:
	v_lshl_add_u32 v12, v1, 4, 0x390
	s_wait_xcnt 0x0
	s_mov_b32 s2, exec_lo
	v_cmpx_eq_u32_e32 56, v1
	s_cbranch_execz .LBB120_245
; %bb.244:
	scratch_load_b128 v[2:5], off, s15
	v_mov_b32_e32 v6, 0
	s_delay_alu instid0(VALU_DEP_1)
	v_dual_mov_b32 v7, v6 :: v_dual_mov_b32 v8, v6
	v_mov_b32_e32 v9, v6
	scratch_store_b128 off, v[6:9], off offset:880
	s_wait_loadcnt 0x0
	ds_store_b128 v12, v[2:5]
.LBB120_245:
	s_wait_xcnt 0x0
	s_or_b32 exec_lo, exec_lo, s2
	s_wait_storecnt_dscnt 0x0
	s_barrier_signal -1
	s_barrier_wait -1
	s_clause 0x1
	scratch_load_b128 v[4:7], off, off offset:896
	scratch_load_b128 v[8:11], off, off offset:880
	v_mov_b32_e32 v2, 0
	s_mov_b32 s2, exec_lo
	ds_load_b128 v[128:131], v2 offset:1808
	s_wait_loadcnt_dscnt 0x100
	v_mul_f64_e32 v[132:133], v[130:131], v[6:7]
	v_mul_f64_e32 v[6:7], v[128:129], v[6:7]
	s_delay_alu instid0(VALU_DEP_2) | instskip(NEXT) | instid1(VALU_DEP_2)
	v_fma_f64 v[128:129], v[128:129], v[4:5], -v[132:133]
	v_fmac_f64_e32 v[6:7], v[130:131], v[4:5]
	s_delay_alu instid0(VALU_DEP_2) | instskip(NEXT) | instid1(VALU_DEP_2)
	v_add_f64_e32 v[4:5], 0, v[128:129]
	v_add_f64_e32 v[6:7], 0, v[6:7]
	s_wait_loadcnt 0x0
	s_delay_alu instid0(VALU_DEP_2) | instskip(NEXT) | instid1(VALU_DEP_2)
	v_add_f64_e64 v[4:5], v[8:9], -v[4:5]
	v_add_f64_e64 v[6:7], v[10:11], -v[6:7]
	scratch_store_b128 off, v[4:7], off offset:880
	s_wait_xcnt 0x0
	v_cmpx_lt_u32_e32 54, v1
	s_cbranch_execz .LBB120_247
; %bb.246:
	scratch_load_b128 v[6:9], off, s17
	v_dual_mov_b32 v3, v2 :: v_dual_mov_b32 v4, v2
	v_mov_b32_e32 v5, v2
	scratch_store_b128 off, v[2:5], off offset:864
	s_wait_loadcnt 0x0
	ds_store_b128 v12, v[6:9]
.LBB120_247:
	s_wait_xcnt 0x0
	s_or_b32 exec_lo, exec_lo, s2
	s_wait_storecnt_dscnt 0x0
	s_barrier_signal -1
	s_barrier_wait -1
	s_clause 0x2
	scratch_load_b128 v[4:7], off, off offset:880
	scratch_load_b128 v[8:11], off, off offset:896
	;; [unrolled: 1-line block ×3, first 2 shown]
	ds_load_b128 v[132:135], v2 offset:1792
	ds_load_b128 v[136:139], v2 offset:1808
	s_mov_b32 s2, exec_lo
	s_wait_loadcnt_dscnt 0x201
	v_mul_f64_e32 v[2:3], v[134:135], v[6:7]
	v_mul_f64_e32 v[6:7], v[132:133], v[6:7]
	s_wait_loadcnt_dscnt 0x100
	v_mul_f64_e32 v[140:141], v[136:137], v[10:11]
	v_mul_f64_e32 v[10:11], v[138:139], v[10:11]
	s_delay_alu instid0(VALU_DEP_4) | instskip(NEXT) | instid1(VALU_DEP_4)
	v_fma_f64 v[2:3], v[132:133], v[4:5], -v[2:3]
	v_fmac_f64_e32 v[6:7], v[134:135], v[4:5]
	s_delay_alu instid0(VALU_DEP_4) | instskip(NEXT) | instid1(VALU_DEP_4)
	v_fmac_f64_e32 v[140:141], v[138:139], v[8:9]
	v_fma_f64 v[4:5], v[136:137], v[8:9], -v[10:11]
	s_delay_alu instid0(VALU_DEP_4) | instskip(NEXT) | instid1(VALU_DEP_4)
	v_add_f64_e32 v[2:3], 0, v[2:3]
	v_add_f64_e32 v[6:7], 0, v[6:7]
	s_delay_alu instid0(VALU_DEP_2) | instskip(NEXT) | instid1(VALU_DEP_2)
	v_add_f64_e32 v[2:3], v[2:3], v[4:5]
	v_add_f64_e32 v[4:5], v[6:7], v[140:141]
	s_wait_loadcnt 0x0
	s_delay_alu instid0(VALU_DEP_2) | instskip(NEXT) | instid1(VALU_DEP_2)
	v_add_f64_e64 v[2:3], v[128:129], -v[2:3]
	v_add_f64_e64 v[4:5], v[130:131], -v[4:5]
	scratch_store_b128 off, v[2:5], off offset:864
	s_wait_xcnt 0x0
	v_cmpx_lt_u32_e32 53, v1
	s_cbranch_execz .LBB120_249
; %bb.248:
	scratch_load_b128 v[2:5], off, s19
	v_mov_b32_e32 v6, 0
	s_delay_alu instid0(VALU_DEP_1)
	v_dual_mov_b32 v7, v6 :: v_dual_mov_b32 v8, v6
	v_mov_b32_e32 v9, v6
	scratch_store_b128 off, v[6:9], off offset:848
	s_wait_loadcnt 0x0
	ds_store_b128 v12, v[2:5]
.LBB120_249:
	s_wait_xcnt 0x0
	s_or_b32 exec_lo, exec_lo, s2
	s_wait_storecnt_dscnt 0x0
	s_barrier_signal -1
	s_barrier_wait -1
	s_clause 0x3
	scratch_load_b128 v[4:7], off, off offset:864
	scratch_load_b128 v[8:11], off, off offset:880
	;; [unrolled: 1-line block ×4, first 2 shown]
	v_mov_b32_e32 v2, 0
	ds_load_b128 v[136:139], v2 offset:1776
	ds_load_b128 v[140:143], v2 offset:1792
	s_mov_b32 s2, exec_lo
	s_wait_loadcnt_dscnt 0x301
	v_mul_f64_e32 v[144:145], v[138:139], v[6:7]
	v_mul_f64_e32 v[146:147], v[136:137], v[6:7]
	s_wait_loadcnt_dscnt 0x200
	v_mul_f64_e32 v[148:149], v[140:141], v[10:11]
	v_mul_f64_e32 v[10:11], v[142:143], v[10:11]
	s_delay_alu instid0(VALU_DEP_4) | instskip(NEXT) | instid1(VALU_DEP_4)
	v_fma_f64 v[136:137], v[136:137], v[4:5], -v[144:145]
	v_fmac_f64_e32 v[146:147], v[138:139], v[4:5]
	ds_load_b128 v[4:7], v2 offset:1808
	v_fmac_f64_e32 v[148:149], v[142:143], v[8:9]
	v_fma_f64 v[8:9], v[140:141], v[8:9], -v[10:11]
	s_wait_loadcnt_dscnt 0x100
	v_mul_f64_e32 v[138:139], v[4:5], v[130:131]
	v_mul_f64_e32 v[130:131], v[6:7], v[130:131]
	v_add_f64_e32 v[10:11], 0, v[136:137]
	v_add_f64_e32 v[136:137], 0, v[146:147]
	s_delay_alu instid0(VALU_DEP_4) | instskip(NEXT) | instid1(VALU_DEP_4)
	v_fmac_f64_e32 v[138:139], v[6:7], v[128:129]
	v_fma_f64 v[4:5], v[4:5], v[128:129], -v[130:131]
	s_delay_alu instid0(VALU_DEP_4) | instskip(NEXT) | instid1(VALU_DEP_4)
	v_add_f64_e32 v[6:7], v[10:11], v[8:9]
	v_add_f64_e32 v[8:9], v[136:137], v[148:149]
	s_delay_alu instid0(VALU_DEP_2) | instskip(NEXT) | instid1(VALU_DEP_2)
	v_add_f64_e32 v[4:5], v[6:7], v[4:5]
	v_add_f64_e32 v[6:7], v[8:9], v[138:139]
	s_wait_loadcnt 0x0
	s_delay_alu instid0(VALU_DEP_2) | instskip(NEXT) | instid1(VALU_DEP_2)
	v_add_f64_e64 v[4:5], v[132:133], -v[4:5]
	v_add_f64_e64 v[6:7], v[134:135], -v[6:7]
	scratch_store_b128 off, v[4:7], off offset:848
	s_wait_xcnt 0x0
	v_cmpx_lt_u32_e32 52, v1
	s_cbranch_execz .LBB120_251
; %bb.250:
	scratch_load_b128 v[6:9], off, s20
	v_dual_mov_b32 v3, v2 :: v_dual_mov_b32 v4, v2
	v_mov_b32_e32 v5, v2
	scratch_store_b128 off, v[2:5], off offset:832
	s_wait_loadcnt 0x0
	ds_store_b128 v12, v[6:9]
.LBB120_251:
	s_wait_xcnt 0x0
	s_or_b32 exec_lo, exec_lo, s2
	s_wait_storecnt_dscnt 0x0
	s_barrier_signal -1
	s_barrier_wait -1
	s_clause 0x4
	scratch_load_b128 v[4:7], off, off offset:848
	scratch_load_b128 v[8:11], off, off offset:864
	scratch_load_b128 v[128:131], off, off offset:880
	scratch_load_b128 v[132:135], off, off offset:896
	scratch_load_b128 v[136:139], off, off offset:832
	ds_load_b128 v[140:143], v2 offset:1760
	ds_load_b128 v[144:147], v2 offset:1776
	s_mov_b32 s2, exec_lo
	s_wait_loadcnt_dscnt 0x401
	v_mul_f64_e32 v[148:149], v[142:143], v[6:7]
	v_mul_f64_e32 v[150:151], v[140:141], v[6:7]
	s_wait_loadcnt_dscnt 0x300
	v_mul_f64_e32 v[152:153], v[144:145], v[10:11]
	v_mul_f64_e32 v[10:11], v[146:147], v[10:11]
	s_delay_alu instid0(VALU_DEP_4) | instskip(NEXT) | instid1(VALU_DEP_4)
	v_fma_f64 v[148:149], v[140:141], v[4:5], -v[148:149]
	v_fmac_f64_e32 v[150:151], v[142:143], v[4:5]
	ds_load_b128 v[4:7], v2 offset:1792
	ds_load_b128 v[140:143], v2 offset:1808
	v_fmac_f64_e32 v[152:153], v[146:147], v[8:9]
	v_fma_f64 v[8:9], v[144:145], v[8:9], -v[10:11]
	s_wait_loadcnt_dscnt 0x201
	v_mul_f64_e32 v[2:3], v[4:5], v[130:131]
	v_mul_f64_e32 v[130:131], v[6:7], v[130:131]
	s_wait_loadcnt_dscnt 0x100
	v_mul_f64_e32 v[146:147], v[140:141], v[134:135]
	v_mul_f64_e32 v[134:135], v[142:143], v[134:135]
	v_add_f64_e32 v[10:11], 0, v[148:149]
	v_add_f64_e32 v[144:145], 0, v[150:151]
	v_fmac_f64_e32 v[2:3], v[6:7], v[128:129]
	v_fma_f64 v[4:5], v[4:5], v[128:129], -v[130:131]
	v_fmac_f64_e32 v[146:147], v[142:143], v[132:133]
	v_add_f64_e32 v[6:7], v[10:11], v[8:9]
	v_add_f64_e32 v[8:9], v[144:145], v[152:153]
	v_fma_f64 v[10:11], v[140:141], v[132:133], -v[134:135]
	s_delay_alu instid0(VALU_DEP_3) | instskip(NEXT) | instid1(VALU_DEP_3)
	v_add_f64_e32 v[4:5], v[6:7], v[4:5]
	v_add_f64_e32 v[2:3], v[8:9], v[2:3]
	s_delay_alu instid0(VALU_DEP_2) | instskip(NEXT) | instid1(VALU_DEP_2)
	v_add_f64_e32 v[4:5], v[4:5], v[10:11]
	v_add_f64_e32 v[6:7], v[2:3], v[146:147]
	s_wait_loadcnt 0x0
	s_delay_alu instid0(VALU_DEP_2) | instskip(NEXT) | instid1(VALU_DEP_2)
	v_add_f64_e64 v[2:3], v[136:137], -v[4:5]
	v_add_f64_e64 v[4:5], v[138:139], -v[6:7]
	scratch_store_b128 off, v[2:5], off offset:832
	s_wait_xcnt 0x0
	v_cmpx_lt_u32_e32 51, v1
	s_cbranch_execz .LBB120_253
; %bb.252:
	scratch_load_b128 v[2:5], off, s21
	v_mov_b32_e32 v6, 0
	s_delay_alu instid0(VALU_DEP_1)
	v_dual_mov_b32 v7, v6 :: v_dual_mov_b32 v8, v6
	v_mov_b32_e32 v9, v6
	scratch_store_b128 off, v[6:9], off offset:816
	s_wait_loadcnt 0x0
	ds_store_b128 v12, v[2:5]
.LBB120_253:
	s_wait_xcnt 0x0
	s_or_b32 exec_lo, exec_lo, s2
	s_wait_storecnt_dscnt 0x0
	s_barrier_signal -1
	s_barrier_wait -1
	s_clause 0x5
	scratch_load_b128 v[4:7], off, off offset:832
	scratch_load_b128 v[8:11], off, off offset:848
	;; [unrolled: 1-line block ×6, first 2 shown]
	v_mov_b32_e32 v2, 0
	ds_load_b128 v[144:147], v2 offset:1744
	ds_load_b128 v[148:151], v2 offset:1760
	s_mov_b32 s2, exec_lo
	s_wait_loadcnt_dscnt 0x501
	v_mul_f64_e32 v[152:153], v[146:147], v[6:7]
	v_mul_f64_e32 v[154:155], v[144:145], v[6:7]
	s_wait_loadcnt_dscnt 0x400
	v_mul_f64_e32 v[156:157], v[148:149], v[10:11]
	v_mul_f64_e32 v[10:11], v[150:151], v[10:11]
	s_delay_alu instid0(VALU_DEP_4) | instskip(NEXT) | instid1(VALU_DEP_4)
	v_fma_f64 v[152:153], v[144:145], v[4:5], -v[152:153]
	v_fmac_f64_e32 v[154:155], v[146:147], v[4:5]
	ds_load_b128 v[4:7], v2 offset:1776
	ds_load_b128 v[144:147], v2 offset:1792
	v_fmac_f64_e32 v[156:157], v[150:151], v[8:9]
	v_fma_f64 v[8:9], v[148:149], v[8:9], -v[10:11]
	s_wait_loadcnt_dscnt 0x301
	v_mul_f64_e32 v[158:159], v[4:5], v[130:131]
	v_mul_f64_e32 v[130:131], v[6:7], v[130:131]
	s_wait_loadcnt_dscnt 0x200
	v_mul_f64_e32 v[150:151], v[144:145], v[134:135]
	v_mul_f64_e32 v[134:135], v[146:147], v[134:135]
	v_add_f64_e32 v[10:11], 0, v[152:153]
	v_add_f64_e32 v[148:149], 0, v[154:155]
	v_fmac_f64_e32 v[158:159], v[6:7], v[128:129]
	v_fma_f64 v[128:129], v[4:5], v[128:129], -v[130:131]
	ds_load_b128 v[4:7], v2 offset:1808
	v_fmac_f64_e32 v[150:151], v[146:147], v[132:133]
	v_fma_f64 v[132:133], v[144:145], v[132:133], -v[134:135]
	v_add_f64_e32 v[8:9], v[10:11], v[8:9]
	v_add_f64_e32 v[10:11], v[148:149], v[156:157]
	s_wait_loadcnt_dscnt 0x100
	v_mul_f64_e32 v[130:131], v[4:5], v[138:139]
	v_mul_f64_e32 v[138:139], v[6:7], v[138:139]
	s_delay_alu instid0(VALU_DEP_4) | instskip(NEXT) | instid1(VALU_DEP_4)
	v_add_f64_e32 v[8:9], v[8:9], v[128:129]
	v_add_f64_e32 v[10:11], v[10:11], v[158:159]
	s_delay_alu instid0(VALU_DEP_4) | instskip(NEXT) | instid1(VALU_DEP_4)
	v_fmac_f64_e32 v[130:131], v[6:7], v[136:137]
	v_fma_f64 v[4:5], v[4:5], v[136:137], -v[138:139]
	s_delay_alu instid0(VALU_DEP_4) | instskip(NEXT) | instid1(VALU_DEP_4)
	v_add_f64_e32 v[6:7], v[8:9], v[132:133]
	v_add_f64_e32 v[8:9], v[10:11], v[150:151]
	s_delay_alu instid0(VALU_DEP_2) | instskip(NEXT) | instid1(VALU_DEP_2)
	v_add_f64_e32 v[4:5], v[6:7], v[4:5]
	v_add_f64_e32 v[6:7], v[8:9], v[130:131]
	s_wait_loadcnt 0x0
	s_delay_alu instid0(VALU_DEP_2) | instskip(NEXT) | instid1(VALU_DEP_2)
	v_add_f64_e64 v[4:5], v[140:141], -v[4:5]
	v_add_f64_e64 v[6:7], v[142:143], -v[6:7]
	scratch_store_b128 off, v[4:7], off offset:816
	s_wait_xcnt 0x0
	v_cmpx_lt_u32_e32 50, v1
	s_cbranch_execz .LBB120_255
; %bb.254:
	scratch_load_b128 v[6:9], off, s22
	v_dual_mov_b32 v3, v2 :: v_dual_mov_b32 v4, v2
	v_mov_b32_e32 v5, v2
	scratch_store_b128 off, v[2:5], off offset:800
	s_wait_loadcnt 0x0
	ds_store_b128 v12, v[6:9]
.LBB120_255:
	s_wait_xcnt 0x0
	s_or_b32 exec_lo, exec_lo, s2
	s_wait_storecnt_dscnt 0x0
	s_barrier_signal -1
	s_barrier_wait -1
	s_clause 0x6
	scratch_load_b128 v[4:7], off, off offset:816
	scratch_load_b128 v[8:11], off, off offset:832
	;; [unrolled: 1-line block ×7, first 2 shown]
	ds_load_b128 v[148:151], v2 offset:1728
	ds_load_b128 v[152:155], v2 offset:1744
	s_mov_b32 s2, exec_lo
	s_wait_loadcnt_dscnt 0x601
	v_mul_f64_e32 v[156:157], v[150:151], v[6:7]
	v_mul_f64_e32 v[158:159], v[148:149], v[6:7]
	s_wait_loadcnt_dscnt 0x500
	v_mul_f64_e32 v[160:161], v[152:153], v[10:11]
	v_mul_f64_e32 v[10:11], v[154:155], v[10:11]
	s_delay_alu instid0(VALU_DEP_4) | instskip(NEXT) | instid1(VALU_DEP_4)
	v_fma_f64 v[156:157], v[148:149], v[4:5], -v[156:157]
	v_fmac_f64_e32 v[158:159], v[150:151], v[4:5]
	ds_load_b128 v[4:7], v2 offset:1760
	ds_load_b128 v[148:151], v2 offset:1776
	v_fmac_f64_e32 v[160:161], v[154:155], v[8:9]
	v_fma_f64 v[8:9], v[152:153], v[8:9], -v[10:11]
	s_wait_loadcnt_dscnt 0x401
	v_mul_f64_e32 v[162:163], v[4:5], v[130:131]
	v_mul_f64_e32 v[130:131], v[6:7], v[130:131]
	s_wait_loadcnt_dscnt 0x300
	v_mul_f64_e32 v[154:155], v[148:149], v[134:135]
	v_mul_f64_e32 v[134:135], v[150:151], v[134:135]
	v_add_f64_e32 v[10:11], 0, v[156:157]
	v_add_f64_e32 v[152:153], 0, v[158:159]
	v_fmac_f64_e32 v[162:163], v[6:7], v[128:129]
	v_fma_f64 v[128:129], v[4:5], v[128:129], -v[130:131]
	v_fmac_f64_e32 v[154:155], v[150:151], v[132:133]
	v_fma_f64 v[132:133], v[148:149], v[132:133], -v[134:135]
	v_add_f64_e32 v[130:131], v[10:11], v[8:9]
	v_add_f64_e32 v[152:153], v[152:153], v[160:161]
	ds_load_b128 v[4:7], v2 offset:1792
	ds_load_b128 v[8:11], v2 offset:1808
	s_wait_loadcnt_dscnt 0x201
	v_mul_f64_e32 v[2:3], v[4:5], v[138:139]
	v_mul_f64_e32 v[138:139], v[6:7], v[138:139]
	s_wait_loadcnt_dscnt 0x100
	v_mul_f64_e32 v[134:135], v[8:9], v[142:143]
	v_mul_f64_e32 v[142:143], v[10:11], v[142:143]
	v_add_f64_e32 v[128:129], v[130:131], v[128:129]
	v_add_f64_e32 v[130:131], v[152:153], v[162:163]
	v_fmac_f64_e32 v[2:3], v[6:7], v[136:137]
	v_fma_f64 v[4:5], v[4:5], v[136:137], -v[138:139]
	v_fmac_f64_e32 v[134:135], v[10:11], v[140:141]
	v_fma_f64 v[8:9], v[8:9], v[140:141], -v[142:143]
	v_add_f64_e32 v[6:7], v[128:129], v[132:133]
	v_add_f64_e32 v[128:129], v[130:131], v[154:155]
	s_delay_alu instid0(VALU_DEP_2) | instskip(NEXT) | instid1(VALU_DEP_2)
	v_add_f64_e32 v[4:5], v[6:7], v[4:5]
	v_add_f64_e32 v[2:3], v[128:129], v[2:3]
	s_delay_alu instid0(VALU_DEP_2) | instskip(NEXT) | instid1(VALU_DEP_2)
	v_add_f64_e32 v[4:5], v[4:5], v[8:9]
	v_add_f64_e32 v[6:7], v[2:3], v[134:135]
	s_wait_loadcnt 0x0
	s_delay_alu instid0(VALU_DEP_2) | instskip(NEXT) | instid1(VALU_DEP_2)
	v_add_f64_e64 v[2:3], v[144:145], -v[4:5]
	v_add_f64_e64 v[4:5], v[146:147], -v[6:7]
	scratch_store_b128 off, v[2:5], off offset:800
	s_wait_xcnt 0x0
	v_cmpx_lt_u32_e32 49, v1
	s_cbranch_execz .LBB120_257
; %bb.256:
	scratch_load_b128 v[2:5], off, s23
	v_mov_b32_e32 v6, 0
	s_delay_alu instid0(VALU_DEP_1)
	v_dual_mov_b32 v7, v6 :: v_dual_mov_b32 v8, v6
	v_mov_b32_e32 v9, v6
	scratch_store_b128 off, v[6:9], off offset:784
	s_wait_loadcnt 0x0
	ds_store_b128 v12, v[2:5]
.LBB120_257:
	s_wait_xcnt 0x0
	s_or_b32 exec_lo, exec_lo, s2
	s_wait_storecnt_dscnt 0x0
	s_barrier_signal -1
	s_barrier_wait -1
	s_clause 0x7
	scratch_load_b128 v[4:7], off, off offset:800
	scratch_load_b128 v[8:11], off, off offset:816
	;; [unrolled: 1-line block ×8, first 2 shown]
	v_mov_b32_e32 v2, 0
	ds_load_b128 v[152:155], v2 offset:1712
	ds_load_b128 v[156:159], v2 offset:1728
	s_mov_b32 s2, exec_lo
	s_wait_loadcnt_dscnt 0x701
	v_mul_f64_e32 v[160:161], v[154:155], v[6:7]
	v_mul_f64_e32 v[162:163], v[152:153], v[6:7]
	s_wait_loadcnt_dscnt 0x600
	v_mul_f64_e32 v[164:165], v[156:157], v[10:11]
	v_mul_f64_e32 v[10:11], v[158:159], v[10:11]
	s_delay_alu instid0(VALU_DEP_4) | instskip(NEXT) | instid1(VALU_DEP_4)
	v_fma_f64 v[160:161], v[152:153], v[4:5], -v[160:161]
	v_fmac_f64_e32 v[162:163], v[154:155], v[4:5]
	ds_load_b128 v[4:7], v2 offset:1744
	ds_load_b128 v[152:155], v2 offset:1760
	v_fmac_f64_e32 v[164:165], v[158:159], v[8:9]
	v_fma_f64 v[8:9], v[156:157], v[8:9], -v[10:11]
	s_wait_loadcnt_dscnt 0x501
	v_mul_f64_e32 v[166:167], v[4:5], v[130:131]
	v_mul_f64_e32 v[130:131], v[6:7], v[130:131]
	s_wait_loadcnt_dscnt 0x400
	v_mul_f64_e32 v[158:159], v[152:153], v[134:135]
	v_mul_f64_e32 v[134:135], v[154:155], v[134:135]
	v_add_f64_e32 v[10:11], 0, v[160:161]
	v_add_f64_e32 v[156:157], 0, v[162:163]
	v_fmac_f64_e32 v[166:167], v[6:7], v[128:129]
	v_fma_f64 v[128:129], v[4:5], v[128:129], -v[130:131]
	v_fmac_f64_e32 v[158:159], v[154:155], v[132:133]
	v_fma_f64 v[132:133], v[152:153], v[132:133], -v[134:135]
	v_add_f64_e32 v[130:131], v[10:11], v[8:9]
	v_add_f64_e32 v[156:157], v[156:157], v[164:165]
	ds_load_b128 v[4:7], v2 offset:1776
	ds_load_b128 v[8:11], v2 offset:1792
	s_wait_loadcnt_dscnt 0x301
	v_mul_f64_e32 v[160:161], v[4:5], v[138:139]
	v_mul_f64_e32 v[138:139], v[6:7], v[138:139]
	s_wait_loadcnt_dscnt 0x200
	v_mul_f64_e32 v[134:135], v[8:9], v[142:143]
	v_mul_f64_e32 v[142:143], v[10:11], v[142:143]
	v_add_f64_e32 v[128:129], v[130:131], v[128:129]
	v_add_f64_e32 v[130:131], v[156:157], v[166:167]
	v_fmac_f64_e32 v[160:161], v[6:7], v[136:137]
	v_fma_f64 v[136:137], v[4:5], v[136:137], -v[138:139]
	ds_load_b128 v[4:7], v2 offset:1808
	v_fmac_f64_e32 v[134:135], v[10:11], v[140:141]
	v_fma_f64 v[8:9], v[8:9], v[140:141], -v[142:143]
	v_add_f64_e32 v[128:129], v[128:129], v[132:133]
	v_add_f64_e32 v[130:131], v[130:131], v[158:159]
	s_wait_loadcnt_dscnt 0x100
	v_mul_f64_e32 v[132:133], v[4:5], v[146:147]
	v_mul_f64_e32 v[138:139], v[6:7], v[146:147]
	s_delay_alu instid0(VALU_DEP_4) | instskip(NEXT) | instid1(VALU_DEP_4)
	v_add_f64_e32 v[10:11], v[128:129], v[136:137]
	v_add_f64_e32 v[128:129], v[130:131], v[160:161]
	s_delay_alu instid0(VALU_DEP_4) | instskip(NEXT) | instid1(VALU_DEP_4)
	v_fmac_f64_e32 v[132:133], v[6:7], v[144:145]
	v_fma_f64 v[4:5], v[4:5], v[144:145], -v[138:139]
	s_delay_alu instid0(VALU_DEP_4) | instskip(NEXT) | instid1(VALU_DEP_4)
	v_add_f64_e32 v[6:7], v[10:11], v[8:9]
	v_add_f64_e32 v[8:9], v[128:129], v[134:135]
	s_delay_alu instid0(VALU_DEP_2) | instskip(NEXT) | instid1(VALU_DEP_2)
	v_add_f64_e32 v[4:5], v[6:7], v[4:5]
	v_add_f64_e32 v[6:7], v[8:9], v[132:133]
	s_wait_loadcnt 0x0
	s_delay_alu instid0(VALU_DEP_2) | instskip(NEXT) | instid1(VALU_DEP_2)
	v_add_f64_e64 v[4:5], v[148:149], -v[4:5]
	v_add_f64_e64 v[6:7], v[150:151], -v[6:7]
	scratch_store_b128 off, v[4:7], off offset:784
	s_wait_xcnt 0x0
	v_cmpx_lt_u32_e32 48, v1
	s_cbranch_execz .LBB120_259
; %bb.258:
	scratch_load_b128 v[6:9], off, s24
	v_dual_mov_b32 v3, v2 :: v_dual_mov_b32 v4, v2
	v_mov_b32_e32 v5, v2
	scratch_store_b128 off, v[2:5], off offset:768
	s_wait_loadcnt 0x0
	ds_store_b128 v12, v[6:9]
.LBB120_259:
	s_wait_xcnt 0x0
	s_or_b32 exec_lo, exec_lo, s2
	s_wait_storecnt_dscnt 0x0
	s_barrier_signal -1
	s_barrier_wait -1
	s_clause 0x7
	scratch_load_b128 v[4:7], off, off offset:784
	scratch_load_b128 v[8:11], off, off offset:800
	;; [unrolled: 1-line block ×8, first 2 shown]
	ds_load_b128 v[152:155], v2 offset:1696
	ds_load_b128 v[156:159], v2 offset:1712
	scratch_load_b128 v[160:163], off, off offset:768
	s_mov_b32 s2, exec_lo
	s_wait_loadcnt_dscnt 0x801
	v_mul_f64_e32 v[164:165], v[154:155], v[6:7]
	v_mul_f64_e32 v[166:167], v[152:153], v[6:7]
	s_wait_loadcnt_dscnt 0x700
	v_mul_f64_e32 v[168:169], v[156:157], v[10:11]
	v_mul_f64_e32 v[10:11], v[158:159], v[10:11]
	s_delay_alu instid0(VALU_DEP_4) | instskip(NEXT) | instid1(VALU_DEP_4)
	v_fma_f64 v[164:165], v[152:153], v[4:5], -v[164:165]
	v_fmac_f64_e32 v[166:167], v[154:155], v[4:5]
	ds_load_b128 v[4:7], v2 offset:1728
	ds_load_b128 v[152:155], v2 offset:1744
	v_fmac_f64_e32 v[168:169], v[158:159], v[8:9]
	v_fma_f64 v[8:9], v[156:157], v[8:9], -v[10:11]
	s_wait_loadcnt_dscnt 0x601
	v_mul_f64_e32 v[170:171], v[4:5], v[130:131]
	v_mul_f64_e32 v[130:131], v[6:7], v[130:131]
	s_wait_loadcnt_dscnt 0x500
	v_mul_f64_e32 v[158:159], v[152:153], v[134:135]
	v_mul_f64_e32 v[134:135], v[154:155], v[134:135]
	v_add_f64_e32 v[10:11], 0, v[164:165]
	v_add_f64_e32 v[156:157], 0, v[166:167]
	v_fmac_f64_e32 v[170:171], v[6:7], v[128:129]
	v_fma_f64 v[128:129], v[4:5], v[128:129], -v[130:131]
	v_fmac_f64_e32 v[158:159], v[154:155], v[132:133]
	v_fma_f64 v[132:133], v[152:153], v[132:133], -v[134:135]
	v_add_f64_e32 v[130:131], v[10:11], v[8:9]
	v_add_f64_e32 v[156:157], v[156:157], v[168:169]
	ds_load_b128 v[4:7], v2 offset:1760
	ds_load_b128 v[8:11], v2 offset:1776
	s_wait_loadcnt_dscnt 0x401
	v_mul_f64_e32 v[164:165], v[4:5], v[138:139]
	v_mul_f64_e32 v[138:139], v[6:7], v[138:139]
	s_wait_loadcnt_dscnt 0x300
	v_mul_f64_e32 v[134:135], v[8:9], v[142:143]
	v_mul_f64_e32 v[142:143], v[10:11], v[142:143]
	v_add_f64_e32 v[128:129], v[130:131], v[128:129]
	v_add_f64_e32 v[130:131], v[156:157], v[170:171]
	v_fmac_f64_e32 v[164:165], v[6:7], v[136:137]
	v_fma_f64 v[136:137], v[4:5], v[136:137], -v[138:139]
	v_fmac_f64_e32 v[134:135], v[10:11], v[140:141]
	v_fma_f64 v[8:9], v[8:9], v[140:141], -v[142:143]
	v_add_f64_e32 v[132:133], v[128:129], v[132:133]
	v_add_f64_e32 v[138:139], v[130:131], v[158:159]
	ds_load_b128 v[4:7], v2 offset:1792
	ds_load_b128 v[128:131], v2 offset:1808
	s_wait_loadcnt_dscnt 0x201
	v_mul_f64_e32 v[2:3], v[4:5], v[146:147]
	v_mul_f64_e32 v[146:147], v[6:7], v[146:147]
	v_add_f64_e32 v[10:11], v[132:133], v[136:137]
	v_add_f64_e32 v[132:133], v[138:139], v[164:165]
	s_wait_loadcnt_dscnt 0x100
	v_mul_f64_e32 v[136:137], v[128:129], v[150:151]
	v_mul_f64_e32 v[138:139], v[130:131], v[150:151]
	v_fmac_f64_e32 v[2:3], v[6:7], v[144:145]
	v_fma_f64 v[4:5], v[4:5], v[144:145], -v[146:147]
	v_add_f64_e32 v[6:7], v[10:11], v[8:9]
	v_add_f64_e32 v[8:9], v[132:133], v[134:135]
	v_fmac_f64_e32 v[136:137], v[130:131], v[148:149]
	v_fma_f64 v[10:11], v[128:129], v[148:149], -v[138:139]
	s_delay_alu instid0(VALU_DEP_4) | instskip(NEXT) | instid1(VALU_DEP_4)
	v_add_f64_e32 v[4:5], v[6:7], v[4:5]
	v_add_f64_e32 v[2:3], v[8:9], v[2:3]
	s_delay_alu instid0(VALU_DEP_2) | instskip(NEXT) | instid1(VALU_DEP_2)
	v_add_f64_e32 v[4:5], v[4:5], v[10:11]
	v_add_f64_e32 v[6:7], v[2:3], v[136:137]
	s_wait_loadcnt 0x0
	s_delay_alu instid0(VALU_DEP_2) | instskip(NEXT) | instid1(VALU_DEP_2)
	v_add_f64_e64 v[2:3], v[160:161], -v[4:5]
	v_add_f64_e64 v[4:5], v[162:163], -v[6:7]
	scratch_store_b128 off, v[2:5], off offset:768
	s_wait_xcnt 0x0
	v_cmpx_lt_u32_e32 47, v1
	s_cbranch_execz .LBB120_261
; %bb.260:
	scratch_load_b128 v[2:5], off, s25
	v_mov_b32_e32 v6, 0
	s_delay_alu instid0(VALU_DEP_1)
	v_dual_mov_b32 v7, v6 :: v_dual_mov_b32 v8, v6
	v_mov_b32_e32 v9, v6
	scratch_store_b128 off, v[6:9], off offset:752
	s_wait_loadcnt 0x0
	ds_store_b128 v12, v[2:5]
.LBB120_261:
	s_wait_xcnt 0x0
	s_or_b32 exec_lo, exec_lo, s2
	s_wait_storecnt_dscnt 0x0
	s_barrier_signal -1
	s_barrier_wait -1
	s_clause 0x8
	scratch_load_b128 v[4:7], off, off offset:768
	scratch_load_b128 v[8:11], off, off offset:784
	;; [unrolled: 1-line block ×9, first 2 shown]
	v_mov_b32_e32 v2, 0
	scratch_load_b128 v[160:163], off, off offset:752
	s_mov_b32 s2, exec_lo
	ds_load_b128 v[156:159], v2 offset:1680
	ds_load_b128 v[164:167], v2 offset:1696
	s_wait_loadcnt_dscnt 0x901
	v_mul_f64_e32 v[168:169], v[158:159], v[6:7]
	v_mul_f64_e32 v[170:171], v[156:157], v[6:7]
	s_wait_loadcnt_dscnt 0x800
	v_mul_f64_e32 v[172:173], v[164:165], v[10:11]
	v_mul_f64_e32 v[10:11], v[166:167], v[10:11]
	s_delay_alu instid0(VALU_DEP_4) | instskip(NEXT) | instid1(VALU_DEP_4)
	v_fma_f64 v[168:169], v[156:157], v[4:5], -v[168:169]
	v_fmac_f64_e32 v[170:171], v[158:159], v[4:5]
	ds_load_b128 v[4:7], v2 offset:1712
	ds_load_b128 v[156:159], v2 offset:1728
	v_fmac_f64_e32 v[172:173], v[166:167], v[8:9]
	v_fma_f64 v[8:9], v[164:165], v[8:9], -v[10:11]
	s_wait_loadcnt_dscnt 0x701
	v_mul_f64_e32 v[174:175], v[4:5], v[130:131]
	v_mul_f64_e32 v[130:131], v[6:7], v[130:131]
	s_wait_loadcnt_dscnt 0x600
	v_mul_f64_e32 v[166:167], v[156:157], v[134:135]
	v_mul_f64_e32 v[134:135], v[158:159], v[134:135]
	v_add_f64_e32 v[10:11], 0, v[168:169]
	v_add_f64_e32 v[164:165], 0, v[170:171]
	v_fmac_f64_e32 v[174:175], v[6:7], v[128:129]
	v_fma_f64 v[128:129], v[4:5], v[128:129], -v[130:131]
	v_fmac_f64_e32 v[166:167], v[158:159], v[132:133]
	v_fma_f64 v[132:133], v[156:157], v[132:133], -v[134:135]
	v_add_f64_e32 v[130:131], v[10:11], v[8:9]
	v_add_f64_e32 v[164:165], v[164:165], v[172:173]
	ds_load_b128 v[4:7], v2 offset:1744
	ds_load_b128 v[8:11], v2 offset:1760
	s_wait_loadcnt_dscnt 0x501
	v_mul_f64_e32 v[168:169], v[4:5], v[138:139]
	v_mul_f64_e32 v[138:139], v[6:7], v[138:139]
	s_wait_loadcnt_dscnt 0x400
	v_mul_f64_e32 v[134:135], v[8:9], v[142:143]
	v_mul_f64_e32 v[142:143], v[10:11], v[142:143]
	v_add_f64_e32 v[128:129], v[130:131], v[128:129]
	v_add_f64_e32 v[130:131], v[164:165], v[174:175]
	v_fmac_f64_e32 v[168:169], v[6:7], v[136:137]
	v_fma_f64 v[136:137], v[4:5], v[136:137], -v[138:139]
	v_fmac_f64_e32 v[134:135], v[10:11], v[140:141]
	v_fma_f64 v[8:9], v[8:9], v[140:141], -v[142:143]
	v_add_f64_e32 v[132:133], v[128:129], v[132:133]
	v_add_f64_e32 v[138:139], v[130:131], v[166:167]
	ds_load_b128 v[4:7], v2 offset:1776
	ds_load_b128 v[128:131], v2 offset:1792
	s_wait_loadcnt_dscnt 0x301
	v_mul_f64_e32 v[156:157], v[4:5], v[146:147]
	v_mul_f64_e32 v[146:147], v[6:7], v[146:147]
	v_add_f64_e32 v[10:11], v[132:133], v[136:137]
	v_add_f64_e32 v[132:133], v[138:139], v[168:169]
	s_wait_loadcnt_dscnt 0x200
	v_mul_f64_e32 v[136:137], v[128:129], v[150:151]
	v_mul_f64_e32 v[138:139], v[130:131], v[150:151]
	v_fmac_f64_e32 v[156:157], v[6:7], v[144:145]
	v_fma_f64 v[140:141], v[4:5], v[144:145], -v[146:147]
	ds_load_b128 v[4:7], v2 offset:1808
	v_add_f64_e32 v[8:9], v[10:11], v[8:9]
	v_add_f64_e32 v[10:11], v[132:133], v[134:135]
	v_fmac_f64_e32 v[136:137], v[130:131], v[148:149]
	v_fma_f64 v[128:129], v[128:129], v[148:149], -v[138:139]
	s_wait_loadcnt_dscnt 0x100
	v_mul_f64_e32 v[132:133], v[4:5], v[154:155]
	v_mul_f64_e32 v[134:135], v[6:7], v[154:155]
	v_add_f64_e32 v[8:9], v[8:9], v[140:141]
	v_add_f64_e32 v[10:11], v[10:11], v[156:157]
	s_delay_alu instid0(VALU_DEP_4) | instskip(NEXT) | instid1(VALU_DEP_4)
	v_fmac_f64_e32 v[132:133], v[6:7], v[152:153]
	v_fma_f64 v[4:5], v[4:5], v[152:153], -v[134:135]
	s_delay_alu instid0(VALU_DEP_4) | instskip(NEXT) | instid1(VALU_DEP_4)
	v_add_f64_e32 v[6:7], v[8:9], v[128:129]
	v_add_f64_e32 v[8:9], v[10:11], v[136:137]
	s_delay_alu instid0(VALU_DEP_2) | instskip(NEXT) | instid1(VALU_DEP_2)
	v_add_f64_e32 v[4:5], v[6:7], v[4:5]
	v_add_f64_e32 v[6:7], v[8:9], v[132:133]
	s_wait_loadcnt 0x0
	s_delay_alu instid0(VALU_DEP_2) | instskip(NEXT) | instid1(VALU_DEP_2)
	v_add_f64_e64 v[4:5], v[160:161], -v[4:5]
	v_add_f64_e64 v[6:7], v[162:163], -v[6:7]
	scratch_store_b128 off, v[4:7], off offset:752
	s_wait_xcnt 0x0
	v_cmpx_lt_u32_e32 46, v1
	s_cbranch_execz .LBB120_263
; %bb.262:
	scratch_load_b128 v[6:9], off, s26
	v_dual_mov_b32 v3, v2 :: v_dual_mov_b32 v4, v2
	v_mov_b32_e32 v5, v2
	scratch_store_b128 off, v[2:5], off offset:736
	s_wait_loadcnt 0x0
	ds_store_b128 v12, v[6:9]
.LBB120_263:
	s_wait_xcnt 0x0
	s_or_b32 exec_lo, exec_lo, s2
	s_wait_storecnt_dscnt 0x0
	s_barrier_signal -1
	s_barrier_wait -1
	s_clause 0x9
	scratch_load_b128 v[4:7], off, off offset:752
	scratch_load_b128 v[8:11], off, off offset:768
	;; [unrolled: 1-line block ×10, first 2 shown]
	ds_load_b128 v[160:163], v2 offset:1664
	ds_load_b128 v[164:167], v2 offset:1680
	scratch_load_b128 v[168:171], off, off offset:736
	s_mov_b32 s2, exec_lo
	s_wait_loadcnt_dscnt 0xa01
	v_mul_f64_e32 v[172:173], v[162:163], v[6:7]
	v_mul_f64_e32 v[174:175], v[160:161], v[6:7]
	s_wait_loadcnt_dscnt 0x900
	v_mul_f64_e32 v[176:177], v[164:165], v[10:11]
	v_mul_f64_e32 v[10:11], v[166:167], v[10:11]
	s_delay_alu instid0(VALU_DEP_4) | instskip(NEXT) | instid1(VALU_DEP_4)
	v_fma_f64 v[172:173], v[160:161], v[4:5], -v[172:173]
	v_fmac_f64_e32 v[174:175], v[162:163], v[4:5]
	ds_load_b128 v[4:7], v2 offset:1696
	ds_load_b128 v[160:163], v2 offset:1712
	v_fmac_f64_e32 v[176:177], v[166:167], v[8:9]
	v_fma_f64 v[8:9], v[164:165], v[8:9], -v[10:11]
	s_wait_loadcnt_dscnt 0x801
	v_mul_f64_e32 v[178:179], v[4:5], v[130:131]
	v_mul_f64_e32 v[130:131], v[6:7], v[130:131]
	s_wait_loadcnt_dscnt 0x700
	v_mul_f64_e32 v[166:167], v[160:161], v[134:135]
	v_mul_f64_e32 v[134:135], v[162:163], v[134:135]
	v_add_f64_e32 v[10:11], 0, v[172:173]
	v_add_f64_e32 v[164:165], 0, v[174:175]
	v_fmac_f64_e32 v[178:179], v[6:7], v[128:129]
	v_fma_f64 v[128:129], v[4:5], v[128:129], -v[130:131]
	v_fmac_f64_e32 v[166:167], v[162:163], v[132:133]
	v_fma_f64 v[132:133], v[160:161], v[132:133], -v[134:135]
	v_add_f64_e32 v[130:131], v[10:11], v[8:9]
	v_add_f64_e32 v[164:165], v[164:165], v[176:177]
	ds_load_b128 v[4:7], v2 offset:1728
	ds_load_b128 v[8:11], v2 offset:1744
	s_wait_loadcnt_dscnt 0x601
	v_mul_f64_e32 v[172:173], v[4:5], v[138:139]
	v_mul_f64_e32 v[138:139], v[6:7], v[138:139]
	s_wait_loadcnt_dscnt 0x500
	v_mul_f64_e32 v[134:135], v[8:9], v[142:143]
	v_mul_f64_e32 v[142:143], v[10:11], v[142:143]
	v_add_f64_e32 v[128:129], v[130:131], v[128:129]
	v_add_f64_e32 v[130:131], v[164:165], v[178:179]
	v_fmac_f64_e32 v[172:173], v[6:7], v[136:137]
	v_fma_f64 v[136:137], v[4:5], v[136:137], -v[138:139]
	v_fmac_f64_e32 v[134:135], v[10:11], v[140:141]
	v_fma_f64 v[8:9], v[8:9], v[140:141], -v[142:143]
	v_add_f64_e32 v[132:133], v[128:129], v[132:133]
	v_add_f64_e32 v[138:139], v[130:131], v[166:167]
	ds_load_b128 v[4:7], v2 offset:1760
	ds_load_b128 v[128:131], v2 offset:1776
	s_wait_loadcnt_dscnt 0x401
	v_mul_f64_e32 v[160:161], v[4:5], v[146:147]
	v_mul_f64_e32 v[146:147], v[6:7], v[146:147]
	v_add_f64_e32 v[10:11], v[132:133], v[136:137]
	v_add_f64_e32 v[132:133], v[138:139], v[172:173]
	s_wait_loadcnt_dscnt 0x300
	v_mul_f64_e32 v[136:137], v[128:129], v[150:151]
	v_mul_f64_e32 v[138:139], v[130:131], v[150:151]
	v_fmac_f64_e32 v[160:161], v[6:7], v[144:145]
	v_fma_f64 v[140:141], v[4:5], v[144:145], -v[146:147]
	v_add_f64_e32 v[142:143], v[10:11], v[8:9]
	v_add_f64_e32 v[132:133], v[132:133], v[134:135]
	ds_load_b128 v[4:7], v2 offset:1792
	ds_load_b128 v[8:11], v2 offset:1808
	v_fmac_f64_e32 v[136:137], v[130:131], v[148:149]
	v_fma_f64 v[128:129], v[128:129], v[148:149], -v[138:139]
	s_wait_loadcnt_dscnt 0x201
	v_mul_f64_e32 v[2:3], v[4:5], v[154:155]
	v_mul_f64_e32 v[134:135], v[6:7], v[154:155]
	s_wait_loadcnt_dscnt 0x100
	v_mul_f64_e32 v[138:139], v[8:9], v[158:159]
	v_add_f64_e32 v[130:131], v[142:143], v[140:141]
	v_add_f64_e32 v[132:133], v[132:133], v[160:161]
	v_mul_f64_e32 v[140:141], v[10:11], v[158:159]
	v_fmac_f64_e32 v[2:3], v[6:7], v[152:153]
	v_fma_f64 v[4:5], v[4:5], v[152:153], -v[134:135]
	v_fmac_f64_e32 v[138:139], v[10:11], v[156:157]
	v_add_f64_e32 v[6:7], v[130:131], v[128:129]
	v_add_f64_e32 v[128:129], v[132:133], v[136:137]
	v_fma_f64 v[8:9], v[8:9], v[156:157], -v[140:141]
	s_delay_alu instid0(VALU_DEP_3) | instskip(NEXT) | instid1(VALU_DEP_3)
	v_add_f64_e32 v[4:5], v[6:7], v[4:5]
	v_add_f64_e32 v[2:3], v[128:129], v[2:3]
	s_delay_alu instid0(VALU_DEP_2) | instskip(NEXT) | instid1(VALU_DEP_2)
	v_add_f64_e32 v[4:5], v[4:5], v[8:9]
	v_add_f64_e32 v[6:7], v[2:3], v[138:139]
	s_wait_loadcnt 0x0
	s_delay_alu instid0(VALU_DEP_2) | instskip(NEXT) | instid1(VALU_DEP_2)
	v_add_f64_e64 v[2:3], v[168:169], -v[4:5]
	v_add_f64_e64 v[4:5], v[170:171], -v[6:7]
	scratch_store_b128 off, v[2:5], off offset:736
	s_wait_xcnt 0x0
	v_cmpx_lt_u32_e32 45, v1
	s_cbranch_execz .LBB120_265
; %bb.264:
	scratch_load_b128 v[2:5], off, s27
	v_mov_b32_e32 v6, 0
	s_delay_alu instid0(VALU_DEP_1)
	v_dual_mov_b32 v7, v6 :: v_dual_mov_b32 v8, v6
	v_mov_b32_e32 v9, v6
	scratch_store_b128 off, v[6:9], off offset:720
	s_wait_loadcnt 0x0
	ds_store_b128 v12, v[2:5]
.LBB120_265:
	s_wait_xcnt 0x0
	s_or_b32 exec_lo, exec_lo, s2
	s_wait_storecnt_dscnt 0x0
	s_barrier_signal -1
	s_barrier_wait -1
	s_clause 0x9
	scratch_load_b128 v[4:7], off, off offset:736
	scratch_load_b128 v[8:11], off, off offset:752
	;; [unrolled: 1-line block ×10, first 2 shown]
	v_mov_b32_e32 v2, 0
	s_mov_b32 s2, exec_lo
	ds_load_b128 v[160:163], v2 offset:1648
	s_clause 0x1
	scratch_load_b128 v[164:167], off, off offset:896
	scratch_load_b128 v[168:171], off, off offset:720
	s_wait_loadcnt_dscnt 0xb00
	v_mul_f64_e32 v[176:177], v[162:163], v[6:7]
	v_mul_f64_e32 v[178:179], v[160:161], v[6:7]
	ds_load_b128 v[172:175], v2 offset:1664
	s_wait_loadcnt_dscnt 0xa00
	v_mul_f64_e32 v[180:181], v[172:173], v[10:11]
	v_mul_f64_e32 v[10:11], v[174:175], v[10:11]
	v_fma_f64 v[176:177], v[160:161], v[4:5], -v[176:177]
	v_fmac_f64_e32 v[178:179], v[162:163], v[4:5]
	ds_load_b128 v[4:7], v2 offset:1680
	ds_load_b128 v[160:163], v2 offset:1696
	s_wait_loadcnt_dscnt 0x901
	v_mul_f64_e32 v[182:183], v[4:5], v[130:131]
	v_mul_f64_e32 v[130:131], v[6:7], v[130:131]
	v_fmac_f64_e32 v[180:181], v[174:175], v[8:9]
	v_fma_f64 v[8:9], v[172:173], v[8:9], -v[10:11]
	s_wait_loadcnt_dscnt 0x800
	v_mul_f64_e32 v[174:175], v[160:161], v[134:135]
	v_mul_f64_e32 v[134:135], v[162:163], v[134:135]
	v_add_f64_e32 v[10:11], 0, v[176:177]
	v_add_f64_e32 v[172:173], 0, v[178:179]
	v_fmac_f64_e32 v[182:183], v[6:7], v[128:129]
	v_fma_f64 v[128:129], v[4:5], v[128:129], -v[130:131]
	v_fmac_f64_e32 v[174:175], v[162:163], v[132:133]
	v_fma_f64 v[132:133], v[160:161], v[132:133], -v[134:135]
	v_add_f64_e32 v[130:131], v[10:11], v[8:9]
	v_add_f64_e32 v[172:173], v[172:173], v[180:181]
	ds_load_b128 v[4:7], v2 offset:1712
	ds_load_b128 v[8:11], v2 offset:1728
	s_wait_loadcnt_dscnt 0x701
	v_mul_f64_e32 v[176:177], v[4:5], v[138:139]
	v_mul_f64_e32 v[138:139], v[6:7], v[138:139]
	s_wait_loadcnt_dscnt 0x600
	v_mul_f64_e32 v[134:135], v[8:9], v[142:143]
	v_mul_f64_e32 v[142:143], v[10:11], v[142:143]
	v_add_f64_e32 v[128:129], v[130:131], v[128:129]
	v_add_f64_e32 v[130:131], v[172:173], v[182:183]
	v_fmac_f64_e32 v[176:177], v[6:7], v[136:137]
	v_fma_f64 v[136:137], v[4:5], v[136:137], -v[138:139]
	v_fmac_f64_e32 v[134:135], v[10:11], v[140:141]
	v_fma_f64 v[8:9], v[8:9], v[140:141], -v[142:143]
	v_add_f64_e32 v[132:133], v[128:129], v[132:133]
	v_add_f64_e32 v[138:139], v[130:131], v[174:175]
	ds_load_b128 v[4:7], v2 offset:1744
	ds_load_b128 v[128:131], v2 offset:1760
	s_wait_loadcnt_dscnt 0x501
	v_mul_f64_e32 v[160:161], v[4:5], v[146:147]
	v_mul_f64_e32 v[146:147], v[6:7], v[146:147]
	v_add_f64_e32 v[10:11], v[132:133], v[136:137]
	v_add_f64_e32 v[132:133], v[138:139], v[176:177]
	s_wait_loadcnt_dscnt 0x400
	v_mul_f64_e32 v[136:137], v[128:129], v[150:151]
	v_mul_f64_e32 v[138:139], v[130:131], v[150:151]
	v_fmac_f64_e32 v[160:161], v[6:7], v[144:145]
	v_fma_f64 v[140:141], v[4:5], v[144:145], -v[146:147]
	v_add_f64_e32 v[142:143], v[10:11], v[8:9]
	v_add_f64_e32 v[132:133], v[132:133], v[134:135]
	ds_load_b128 v[4:7], v2 offset:1776
	ds_load_b128 v[8:11], v2 offset:1792
	v_fmac_f64_e32 v[136:137], v[130:131], v[148:149]
	v_fma_f64 v[128:129], v[128:129], v[148:149], -v[138:139]
	s_wait_loadcnt_dscnt 0x301
	v_mul_f64_e32 v[134:135], v[4:5], v[154:155]
	v_mul_f64_e32 v[144:145], v[6:7], v[154:155]
	s_wait_loadcnt_dscnt 0x200
	v_mul_f64_e32 v[138:139], v[8:9], v[158:159]
	v_add_f64_e32 v[130:131], v[142:143], v[140:141]
	v_add_f64_e32 v[132:133], v[132:133], v[160:161]
	v_mul_f64_e32 v[140:141], v[10:11], v[158:159]
	v_fmac_f64_e32 v[134:135], v[6:7], v[152:153]
	v_fma_f64 v[142:143], v[4:5], v[152:153], -v[144:145]
	ds_load_b128 v[4:7], v2 offset:1808
	v_fmac_f64_e32 v[138:139], v[10:11], v[156:157]
	v_add_f64_e32 v[128:129], v[130:131], v[128:129]
	v_add_f64_e32 v[130:131], v[132:133], v[136:137]
	v_fma_f64 v[8:9], v[8:9], v[156:157], -v[140:141]
	s_wait_loadcnt_dscnt 0x100
	v_mul_f64_e32 v[132:133], v[4:5], v[166:167]
	v_mul_f64_e32 v[136:137], v[6:7], v[166:167]
	v_add_f64_e32 v[10:11], v[128:129], v[142:143]
	v_add_f64_e32 v[128:129], v[130:131], v[134:135]
	s_delay_alu instid0(VALU_DEP_4) | instskip(NEXT) | instid1(VALU_DEP_4)
	v_fmac_f64_e32 v[132:133], v[6:7], v[164:165]
	v_fma_f64 v[4:5], v[4:5], v[164:165], -v[136:137]
	s_delay_alu instid0(VALU_DEP_4) | instskip(NEXT) | instid1(VALU_DEP_4)
	v_add_f64_e32 v[6:7], v[10:11], v[8:9]
	v_add_f64_e32 v[8:9], v[128:129], v[138:139]
	s_delay_alu instid0(VALU_DEP_2) | instskip(NEXT) | instid1(VALU_DEP_2)
	v_add_f64_e32 v[4:5], v[6:7], v[4:5]
	v_add_f64_e32 v[6:7], v[8:9], v[132:133]
	s_wait_loadcnt 0x0
	s_delay_alu instid0(VALU_DEP_2) | instskip(NEXT) | instid1(VALU_DEP_2)
	v_add_f64_e64 v[4:5], v[168:169], -v[4:5]
	v_add_f64_e64 v[6:7], v[170:171], -v[6:7]
	scratch_store_b128 off, v[4:7], off offset:720
	s_wait_xcnt 0x0
	v_cmpx_lt_u32_e32 44, v1
	s_cbranch_execz .LBB120_267
; %bb.266:
	scratch_load_b128 v[6:9], off, s28
	v_dual_mov_b32 v3, v2 :: v_dual_mov_b32 v4, v2
	v_mov_b32_e32 v5, v2
	scratch_store_b128 off, v[2:5], off offset:704
	s_wait_loadcnt 0x0
	ds_store_b128 v12, v[6:9]
.LBB120_267:
	s_wait_xcnt 0x0
	s_or_b32 exec_lo, exec_lo, s2
	s_wait_storecnt_dscnt 0x0
	s_barrier_signal -1
	s_barrier_wait -1
	s_clause 0x9
	scratch_load_b128 v[4:7], off, off offset:720
	scratch_load_b128 v[8:11], off, off offset:736
	;; [unrolled: 1-line block ×10, first 2 shown]
	ds_load_b128 v[160:163], v2 offset:1632
	ds_load_b128 v[168:171], v2 offset:1648
	s_clause 0x2
	scratch_load_b128 v[164:167], off, off offset:880
	scratch_load_b128 v[172:175], off, off offset:704
	;; [unrolled: 1-line block ×3, first 2 shown]
	s_mov_b32 s2, exec_lo
	s_wait_loadcnt_dscnt 0xc01
	v_mul_f64_e32 v[180:181], v[162:163], v[6:7]
	v_mul_f64_e32 v[182:183], v[160:161], v[6:7]
	s_wait_loadcnt_dscnt 0xb00
	v_mul_f64_e32 v[184:185], v[168:169], v[10:11]
	v_mul_f64_e32 v[10:11], v[170:171], v[10:11]
	s_delay_alu instid0(VALU_DEP_4) | instskip(NEXT) | instid1(VALU_DEP_4)
	v_fma_f64 v[180:181], v[160:161], v[4:5], -v[180:181]
	v_fmac_f64_e32 v[182:183], v[162:163], v[4:5]
	ds_load_b128 v[4:7], v2 offset:1664
	ds_load_b128 v[160:163], v2 offset:1680
	v_fmac_f64_e32 v[184:185], v[170:171], v[8:9]
	v_fma_f64 v[8:9], v[168:169], v[8:9], -v[10:11]
	s_wait_loadcnt_dscnt 0xa01
	v_mul_f64_e32 v[186:187], v[4:5], v[130:131]
	v_mul_f64_e32 v[130:131], v[6:7], v[130:131]
	s_wait_loadcnt_dscnt 0x900
	v_mul_f64_e32 v[170:171], v[160:161], v[134:135]
	v_mul_f64_e32 v[134:135], v[162:163], v[134:135]
	v_add_f64_e32 v[10:11], 0, v[180:181]
	v_add_f64_e32 v[168:169], 0, v[182:183]
	v_fmac_f64_e32 v[186:187], v[6:7], v[128:129]
	v_fma_f64 v[128:129], v[4:5], v[128:129], -v[130:131]
	v_fmac_f64_e32 v[170:171], v[162:163], v[132:133]
	v_fma_f64 v[132:133], v[160:161], v[132:133], -v[134:135]
	v_add_f64_e32 v[130:131], v[10:11], v[8:9]
	v_add_f64_e32 v[168:169], v[168:169], v[184:185]
	ds_load_b128 v[4:7], v2 offset:1696
	ds_load_b128 v[8:11], v2 offset:1712
	s_wait_loadcnt_dscnt 0x801
	v_mul_f64_e32 v[180:181], v[4:5], v[138:139]
	v_mul_f64_e32 v[138:139], v[6:7], v[138:139]
	s_wait_loadcnt_dscnt 0x700
	v_mul_f64_e32 v[134:135], v[8:9], v[142:143]
	v_mul_f64_e32 v[142:143], v[10:11], v[142:143]
	v_add_f64_e32 v[128:129], v[130:131], v[128:129]
	v_add_f64_e32 v[130:131], v[168:169], v[186:187]
	v_fmac_f64_e32 v[180:181], v[6:7], v[136:137]
	v_fma_f64 v[136:137], v[4:5], v[136:137], -v[138:139]
	v_fmac_f64_e32 v[134:135], v[10:11], v[140:141]
	v_fma_f64 v[8:9], v[8:9], v[140:141], -v[142:143]
	v_add_f64_e32 v[132:133], v[128:129], v[132:133]
	v_add_f64_e32 v[138:139], v[130:131], v[170:171]
	ds_load_b128 v[4:7], v2 offset:1728
	ds_load_b128 v[128:131], v2 offset:1744
	s_wait_loadcnt_dscnt 0x601
	v_mul_f64_e32 v[160:161], v[4:5], v[146:147]
	v_mul_f64_e32 v[146:147], v[6:7], v[146:147]
	v_add_f64_e32 v[10:11], v[132:133], v[136:137]
	v_add_f64_e32 v[132:133], v[138:139], v[180:181]
	s_wait_loadcnt_dscnt 0x500
	v_mul_f64_e32 v[136:137], v[128:129], v[150:151]
	v_mul_f64_e32 v[138:139], v[130:131], v[150:151]
	v_fmac_f64_e32 v[160:161], v[6:7], v[144:145]
	v_fma_f64 v[140:141], v[4:5], v[144:145], -v[146:147]
	v_add_f64_e32 v[142:143], v[10:11], v[8:9]
	v_add_f64_e32 v[132:133], v[132:133], v[134:135]
	ds_load_b128 v[4:7], v2 offset:1760
	ds_load_b128 v[8:11], v2 offset:1776
	v_fmac_f64_e32 v[136:137], v[130:131], v[148:149]
	v_fma_f64 v[128:129], v[128:129], v[148:149], -v[138:139]
	s_wait_loadcnt_dscnt 0x401
	v_mul_f64_e32 v[134:135], v[4:5], v[154:155]
	v_mul_f64_e32 v[144:145], v[6:7], v[154:155]
	s_wait_loadcnt_dscnt 0x300
	v_mul_f64_e32 v[138:139], v[8:9], v[158:159]
	v_add_f64_e32 v[130:131], v[142:143], v[140:141]
	v_add_f64_e32 v[132:133], v[132:133], v[160:161]
	v_mul_f64_e32 v[140:141], v[10:11], v[158:159]
	v_fmac_f64_e32 v[134:135], v[6:7], v[152:153]
	v_fma_f64 v[142:143], v[4:5], v[152:153], -v[144:145]
	v_fmac_f64_e32 v[138:139], v[10:11], v[156:157]
	v_add_f64_e32 v[144:145], v[130:131], v[128:129]
	v_add_f64_e32 v[132:133], v[132:133], v[136:137]
	ds_load_b128 v[4:7], v2 offset:1792
	ds_load_b128 v[128:131], v2 offset:1808
	v_fma_f64 v[8:9], v[8:9], v[156:157], -v[140:141]
	s_wait_loadcnt_dscnt 0x201
	v_mul_f64_e32 v[2:3], v[4:5], v[166:167]
	v_mul_f64_e32 v[136:137], v[6:7], v[166:167]
	s_wait_loadcnt_dscnt 0x0
	v_mul_f64_e32 v[140:141], v[130:131], v[178:179]
	v_add_f64_e32 v[10:11], v[144:145], v[142:143]
	v_add_f64_e32 v[132:133], v[132:133], v[134:135]
	v_mul_f64_e32 v[134:135], v[128:129], v[178:179]
	v_fmac_f64_e32 v[2:3], v[6:7], v[164:165]
	v_fma_f64 v[4:5], v[4:5], v[164:165], -v[136:137]
	v_add_f64_e32 v[6:7], v[10:11], v[8:9]
	v_add_f64_e32 v[8:9], v[132:133], v[138:139]
	v_fmac_f64_e32 v[134:135], v[130:131], v[176:177]
	v_fma_f64 v[10:11], v[128:129], v[176:177], -v[140:141]
	s_delay_alu instid0(VALU_DEP_4) | instskip(NEXT) | instid1(VALU_DEP_4)
	v_add_f64_e32 v[4:5], v[6:7], v[4:5]
	v_add_f64_e32 v[2:3], v[8:9], v[2:3]
	s_delay_alu instid0(VALU_DEP_2) | instskip(NEXT) | instid1(VALU_DEP_2)
	v_add_f64_e32 v[4:5], v[4:5], v[10:11]
	v_add_f64_e32 v[6:7], v[2:3], v[134:135]
	s_delay_alu instid0(VALU_DEP_2) | instskip(NEXT) | instid1(VALU_DEP_2)
	v_add_f64_e64 v[2:3], v[172:173], -v[4:5]
	v_add_f64_e64 v[4:5], v[174:175], -v[6:7]
	scratch_store_b128 off, v[2:5], off offset:704
	s_wait_xcnt 0x0
	v_cmpx_lt_u32_e32 43, v1
	s_cbranch_execz .LBB120_269
; %bb.268:
	scratch_load_b128 v[2:5], off, s29
	v_mov_b32_e32 v6, 0
	s_delay_alu instid0(VALU_DEP_1)
	v_dual_mov_b32 v7, v6 :: v_dual_mov_b32 v8, v6
	v_mov_b32_e32 v9, v6
	scratch_store_b128 off, v[6:9], off offset:688
	s_wait_loadcnt 0x0
	ds_store_b128 v12, v[2:5]
.LBB120_269:
	s_wait_xcnt 0x0
	s_or_b32 exec_lo, exec_lo, s2
	s_wait_storecnt_dscnt 0x0
	s_barrier_signal -1
	s_barrier_wait -1
	s_clause 0x9
	scratch_load_b128 v[4:7], off, off offset:704
	scratch_load_b128 v[8:11], off, off offset:720
	;; [unrolled: 1-line block ×10, first 2 shown]
	v_mov_b32_e32 v2, 0
	s_mov_b32 s2, exec_lo
	ds_load_b128 v[160:163], v2 offset:1616
	s_clause 0x2
	scratch_load_b128 v[164:167], off, off offset:864
	scratch_load_b128 v[168:171], off, off offset:688
	;; [unrolled: 1-line block ×3, first 2 shown]
	s_wait_loadcnt_dscnt 0xc00
	v_mul_f64_e32 v[180:181], v[162:163], v[6:7]
	v_mul_f64_e32 v[184:185], v[160:161], v[6:7]
	ds_load_b128 v[172:175], v2 offset:1632
	v_fma_f64 v[188:189], v[160:161], v[4:5], -v[180:181]
	v_fmac_f64_e32 v[184:185], v[162:163], v[4:5]
	ds_load_b128 v[4:7], v2 offset:1648
	s_wait_loadcnt_dscnt 0xb01
	v_mul_f64_e32 v[186:187], v[172:173], v[10:11]
	v_mul_f64_e32 v[10:11], v[174:175], v[10:11]
	scratch_load_b128 v[160:163], off, off offset:896
	ds_load_b128 v[180:183], v2 offset:1664
	s_wait_loadcnt_dscnt 0xb01
	v_mul_f64_e32 v[190:191], v[4:5], v[130:131]
	v_mul_f64_e32 v[130:131], v[6:7], v[130:131]
	v_fmac_f64_e32 v[186:187], v[174:175], v[8:9]
	v_fma_f64 v[8:9], v[172:173], v[8:9], -v[10:11]
	v_add_f64_e32 v[10:11], 0, v[188:189]
	v_add_f64_e32 v[172:173], 0, v[184:185]
	s_wait_loadcnt_dscnt 0xa00
	v_mul_f64_e32 v[174:175], v[180:181], v[134:135]
	v_mul_f64_e32 v[134:135], v[182:183], v[134:135]
	v_fmac_f64_e32 v[190:191], v[6:7], v[128:129]
	v_fma_f64 v[128:129], v[4:5], v[128:129], -v[130:131]
	v_add_f64_e32 v[130:131], v[10:11], v[8:9]
	v_add_f64_e32 v[172:173], v[172:173], v[186:187]
	ds_load_b128 v[4:7], v2 offset:1680
	ds_load_b128 v[8:11], v2 offset:1696
	v_fmac_f64_e32 v[174:175], v[182:183], v[132:133]
	v_fma_f64 v[132:133], v[180:181], v[132:133], -v[134:135]
	s_wait_loadcnt_dscnt 0x901
	v_mul_f64_e32 v[184:185], v[4:5], v[138:139]
	v_mul_f64_e32 v[138:139], v[6:7], v[138:139]
	s_wait_loadcnt_dscnt 0x800
	v_mul_f64_e32 v[134:135], v[8:9], v[142:143]
	v_mul_f64_e32 v[142:143], v[10:11], v[142:143]
	v_add_f64_e32 v[128:129], v[130:131], v[128:129]
	v_add_f64_e32 v[130:131], v[172:173], v[190:191]
	v_fmac_f64_e32 v[184:185], v[6:7], v[136:137]
	v_fma_f64 v[136:137], v[4:5], v[136:137], -v[138:139]
	v_fmac_f64_e32 v[134:135], v[10:11], v[140:141]
	v_fma_f64 v[8:9], v[8:9], v[140:141], -v[142:143]
	v_add_f64_e32 v[132:133], v[128:129], v[132:133]
	v_add_f64_e32 v[138:139], v[130:131], v[174:175]
	ds_load_b128 v[4:7], v2 offset:1712
	ds_load_b128 v[128:131], v2 offset:1728
	s_wait_loadcnt_dscnt 0x701
	v_mul_f64_e32 v[172:173], v[4:5], v[146:147]
	v_mul_f64_e32 v[146:147], v[6:7], v[146:147]
	v_add_f64_e32 v[10:11], v[132:133], v[136:137]
	v_add_f64_e32 v[132:133], v[138:139], v[184:185]
	s_wait_loadcnt_dscnt 0x600
	v_mul_f64_e32 v[136:137], v[128:129], v[150:151]
	v_mul_f64_e32 v[138:139], v[130:131], v[150:151]
	v_fmac_f64_e32 v[172:173], v[6:7], v[144:145]
	v_fma_f64 v[140:141], v[4:5], v[144:145], -v[146:147]
	v_add_f64_e32 v[142:143], v[10:11], v[8:9]
	v_add_f64_e32 v[132:133], v[132:133], v[134:135]
	ds_load_b128 v[4:7], v2 offset:1744
	ds_load_b128 v[8:11], v2 offset:1760
	v_fmac_f64_e32 v[136:137], v[130:131], v[148:149]
	v_fma_f64 v[128:129], v[128:129], v[148:149], -v[138:139]
	s_wait_loadcnt_dscnt 0x501
	v_mul_f64_e32 v[134:135], v[4:5], v[154:155]
	v_mul_f64_e32 v[144:145], v[6:7], v[154:155]
	s_wait_loadcnt_dscnt 0x400
	v_mul_f64_e32 v[138:139], v[8:9], v[158:159]
	v_add_f64_e32 v[130:131], v[142:143], v[140:141]
	v_add_f64_e32 v[132:133], v[132:133], v[172:173]
	v_mul_f64_e32 v[140:141], v[10:11], v[158:159]
	v_fmac_f64_e32 v[134:135], v[6:7], v[152:153]
	v_fma_f64 v[142:143], v[4:5], v[152:153], -v[144:145]
	v_fmac_f64_e32 v[138:139], v[10:11], v[156:157]
	v_add_f64_e32 v[144:145], v[130:131], v[128:129]
	v_add_f64_e32 v[132:133], v[132:133], v[136:137]
	ds_load_b128 v[4:7], v2 offset:1776
	ds_load_b128 v[128:131], v2 offset:1792
	v_fma_f64 v[8:9], v[8:9], v[156:157], -v[140:141]
	s_wait_loadcnt_dscnt 0x301
	v_mul_f64_e32 v[136:137], v[4:5], v[166:167]
	v_mul_f64_e32 v[146:147], v[6:7], v[166:167]
	s_wait_loadcnt_dscnt 0x100
	v_mul_f64_e32 v[140:141], v[130:131], v[178:179]
	v_add_f64_e32 v[10:11], v[144:145], v[142:143]
	v_add_f64_e32 v[132:133], v[132:133], v[134:135]
	v_mul_f64_e32 v[134:135], v[128:129], v[178:179]
	v_fmac_f64_e32 v[136:137], v[6:7], v[164:165]
	v_fma_f64 v[142:143], v[4:5], v[164:165], -v[146:147]
	ds_load_b128 v[4:7], v2 offset:1808
	v_fma_f64 v[128:129], v[128:129], v[176:177], -v[140:141]
	v_add_f64_e32 v[8:9], v[10:11], v[8:9]
	v_add_f64_e32 v[10:11], v[132:133], v[138:139]
	v_fmac_f64_e32 v[134:135], v[130:131], v[176:177]
	s_wait_loadcnt_dscnt 0x0
	v_mul_f64_e32 v[132:133], v[4:5], v[162:163]
	v_mul_f64_e32 v[138:139], v[6:7], v[162:163]
	v_add_f64_e32 v[8:9], v[8:9], v[142:143]
	v_add_f64_e32 v[10:11], v[10:11], v[136:137]
	s_delay_alu instid0(VALU_DEP_4) | instskip(NEXT) | instid1(VALU_DEP_4)
	v_fmac_f64_e32 v[132:133], v[6:7], v[160:161]
	v_fma_f64 v[4:5], v[4:5], v[160:161], -v[138:139]
	s_delay_alu instid0(VALU_DEP_4) | instskip(NEXT) | instid1(VALU_DEP_4)
	v_add_f64_e32 v[6:7], v[8:9], v[128:129]
	v_add_f64_e32 v[8:9], v[10:11], v[134:135]
	s_delay_alu instid0(VALU_DEP_2) | instskip(NEXT) | instid1(VALU_DEP_2)
	v_add_f64_e32 v[4:5], v[6:7], v[4:5]
	v_add_f64_e32 v[6:7], v[8:9], v[132:133]
	s_delay_alu instid0(VALU_DEP_2) | instskip(NEXT) | instid1(VALU_DEP_2)
	v_add_f64_e64 v[4:5], v[168:169], -v[4:5]
	v_add_f64_e64 v[6:7], v[170:171], -v[6:7]
	scratch_store_b128 off, v[4:7], off offset:688
	s_wait_xcnt 0x0
	v_cmpx_lt_u32_e32 42, v1
	s_cbranch_execz .LBB120_271
; %bb.270:
	scratch_load_b128 v[6:9], off, s30
	v_dual_mov_b32 v3, v2 :: v_dual_mov_b32 v4, v2
	v_mov_b32_e32 v5, v2
	scratch_store_b128 off, v[2:5], off offset:672
	s_wait_loadcnt 0x0
	ds_store_b128 v12, v[6:9]
.LBB120_271:
	s_wait_xcnt 0x0
	s_or_b32 exec_lo, exec_lo, s2
	s_wait_storecnt_dscnt 0x0
	s_barrier_signal -1
	s_barrier_wait -1
	s_clause 0x9
	scratch_load_b128 v[4:7], off, off offset:688
	scratch_load_b128 v[8:11], off, off offset:704
	scratch_load_b128 v[128:131], off, off offset:720
	scratch_load_b128 v[132:135], off, off offset:736
	scratch_load_b128 v[136:139], off, off offset:752
	scratch_load_b128 v[140:143], off, off offset:768
	scratch_load_b128 v[144:147], off, off offset:784
	scratch_load_b128 v[148:151], off, off offset:800
	scratch_load_b128 v[152:155], off, off offset:816
	scratch_load_b128 v[156:159], off, off offset:832
	ds_load_b128 v[160:163], v2 offset:1600
	ds_load_b128 v[168:171], v2 offset:1616
	s_clause 0x2
	scratch_load_b128 v[164:167], off, off offset:848
	scratch_load_b128 v[172:175], off, off offset:672
	;; [unrolled: 1-line block ×3, first 2 shown]
	s_mov_b32 s2, exec_lo
	s_wait_loadcnt_dscnt 0xc01
	v_mul_f64_e32 v[180:181], v[162:163], v[6:7]
	v_mul_f64_e32 v[184:185], v[160:161], v[6:7]
	s_wait_loadcnt_dscnt 0xb00
	v_mul_f64_e32 v[186:187], v[168:169], v[10:11]
	v_mul_f64_e32 v[10:11], v[170:171], v[10:11]
	s_delay_alu instid0(VALU_DEP_4) | instskip(NEXT) | instid1(VALU_DEP_4)
	v_fma_f64 v[188:189], v[160:161], v[4:5], -v[180:181]
	v_fmac_f64_e32 v[184:185], v[162:163], v[4:5]
	ds_load_b128 v[4:7], v2 offset:1632
	ds_load_b128 v[160:163], v2 offset:1648
	scratch_load_b128 v[180:183], off, off offset:880
	v_fmac_f64_e32 v[186:187], v[170:171], v[8:9]
	v_fma_f64 v[168:169], v[168:169], v[8:9], -v[10:11]
	scratch_load_b128 v[8:11], off, off offset:896
	s_wait_loadcnt_dscnt 0xc01
	v_mul_f64_e32 v[190:191], v[4:5], v[130:131]
	v_mul_f64_e32 v[130:131], v[6:7], v[130:131]
	v_add_f64_e32 v[170:171], 0, v[188:189]
	v_add_f64_e32 v[184:185], 0, v[184:185]
	s_wait_loadcnt_dscnt 0xb00
	v_mul_f64_e32 v[188:189], v[160:161], v[134:135]
	v_mul_f64_e32 v[134:135], v[162:163], v[134:135]
	v_fmac_f64_e32 v[190:191], v[6:7], v[128:129]
	v_fma_f64 v[192:193], v[4:5], v[128:129], -v[130:131]
	ds_load_b128 v[4:7], v2 offset:1664
	ds_load_b128 v[128:131], v2 offset:1680
	v_add_f64_e32 v[168:169], v[170:171], v[168:169]
	v_add_f64_e32 v[170:171], v[184:185], v[186:187]
	v_fmac_f64_e32 v[188:189], v[162:163], v[132:133]
	v_fma_f64 v[132:133], v[160:161], v[132:133], -v[134:135]
	s_wait_loadcnt_dscnt 0xa01
	v_mul_f64_e32 v[184:185], v[4:5], v[138:139]
	v_mul_f64_e32 v[138:139], v[6:7], v[138:139]
	s_wait_loadcnt_dscnt 0x900
	v_mul_f64_e32 v[162:163], v[128:129], v[142:143]
	v_mul_f64_e32 v[142:143], v[130:131], v[142:143]
	v_add_f64_e32 v[134:135], v[168:169], v[192:193]
	v_add_f64_e32 v[160:161], v[170:171], v[190:191]
	v_fmac_f64_e32 v[184:185], v[6:7], v[136:137]
	v_fma_f64 v[136:137], v[4:5], v[136:137], -v[138:139]
	v_fmac_f64_e32 v[162:163], v[130:131], v[140:141]
	v_fma_f64 v[128:129], v[128:129], v[140:141], -v[142:143]
	v_add_f64_e32 v[138:139], v[134:135], v[132:133]
	v_add_f64_e32 v[160:161], v[160:161], v[188:189]
	ds_load_b128 v[4:7], v2 offset:1696
	ds_load_b128 v[132:135], v2 offset:1712
	s_wait_loadcnt_dscnt 0x801
	v_mul_f64_e32 v[168:169], v[4:5], v[146:147]
	v_mul_f64_e32 v[146:147], v[6:7], v[146:147]
	s_wait_loadcnt_dscnt 0x700
	v_mul_f64_e32 v[140:141], v[134:135], v[150:151]
	v_add_f64_e32 v[130:131], v[138:139], v[136:137]
	v_add_f64_e32 v[136:137], v[160:161], v[184:185]
	v_mul_f64_e32 v[138:139], v[132:133], v[150:151]
	v_fmac_f64_e32 v[168:169], v[6:7], v[144:145]
	v_fma_f64 v[142:143], v[4:5], v[144:145], -v[146:147]
	v_fma_f64 v[132:133], v[132:133], v[148:149], -v[140:141]
	v_add_f64_e32 v[144:145], v[130:131], v[128:129]
	v_add_f64_e32 v[136:137], v[136:137], v[162:163]
	ds_load_b128 v[4:7], v2 offset:1728
	ds_load_b128 v[128:131], v2 offset:1744
	v_fmac_f64_e32 v[138:139], v[134:135], v[148:149]
	s_wait_loadcnt_dscnt 0x601
	v_mul_f64_e32 v[146:147], v[4:5], v[154:155]
	v_mul_f64_e32 v[150:151], v[6:7], v[154:155]
	s_wait_loadcnt_dscnt 0x500
	v_mul_f64_e32 v[140:141], v[128:129], v[158:159]
	v_add_f64_e32 v[134:135], v[144:145], v[142:143]
	v_add_f64_e32 v[136:137], v[136:137], v[168:169]
	v_mul_f64_e32 v[142:143], v[130:131], v[158:159]
	v_fmac_f64_e32 v[146:147], v[6:7], v[152:153]
	v_fma_f64 v[144:145], v[4:5], v[152:153], -v[150:151]
	v_fmac_f64_e32 v[140:141], v[130:131], v[156:157]
	v_add_f64_e32 v[148:149], v[134:135], v[132:133]
	v_add_f64_e32 v[136:137], v[136:137], v[138:139]
	ds_load_b128 v[4:7], v2 offset:1760
	ds_load_b128 v[132:135], v2 offset:1776
	v_fma_f64 v[128:129], v[128:129], v[156:157], -v[142:143]
	s_wait_loadcnt_dscnt 0x401
	v_mul_f64_e32 v[138:139], v[4:5], v[166:167]
	v_mul_f64_e32 v[150:151], v[6:7], v[166:167]
	s_wait_loadcnt_dscnt 0x200
	v_mul_f64_e32 v[142:143], v[132:133], v[178:179]
	v_add_f64_e32 v[130:131], v[148:149], v[144:145]
	v_add_f64_e32 v[136:137], v[136:137], v[146:147]
	v_mul_f64_e32 v[144:145], v[134:135], v[178:179]
	v_fmac_f64_e32 v[138:139], v[6:7], v[164:165]
	v_fma_f64 v[146:147], v[4:5], v[164:165], -v[150:151]
	v_fmac_f64_e32 v[142:143], v[134:135], v[176:177]
	v_add_f64_e32 v[148:149], v[130:131], v[128:129]
	v_add_f64_e32 v[136:137], v[136:137], v[140:141]
	ds_load_b128 v[4:7], v2 offset:1792
	ds_load_b128 v[128:131], v2 offset:1808
	v_fma_f64 v[132:133], v[132:133], v[176:177], -v[144:145]
	s_wait_loadcnt_dscnt 0x101
	v_mul_f64_e32 v[2:3], v[4:5], v[182:183]
	v_mul_f64_e32 v[140:141], v[6:7], v[182:183]
	v_add_f64_e32 v[134:135], v[148:149], v[146:147]
	v_add_f64_e32 v[136:137], v[136:137], v[138:139]
	s_wait_loadcnt_dscnt 0x0
	v_mul_f64_e32 v[138:139], v[128:129], v[10:11]
	v_mul_f64_e32 v[10:11], v[130:131], v[10:11]
	v_fmac_f64_e32 v[2:3], v[6:7], v[180:181]
	v_fma_f64 v[4:5], v[4:5], v[180:181], -v[140:141]
	v_add_f64_e32 v[6:7], v[134:135], v[132:133]
	v_add_f64_e32 v[132:133], v[136:137], v[142:143]
	v_fmac_f64_e32 v[138:139], v[130:131], v[8:9]
	v_fma_f64 v[8:9], v[128:129], v[8:9], -v[10:11]
	s_delay_alu instid0(VALU_DEP_4) | instskip(NEXT) | instid1(VALU_DEP_4)
	v_add_f64_e32 v[4:5], v[6:7], v[4:5]
	v_add_f64_e32 v[2:3], v[132:133], v[2:3]
	s_delay_alu instid0(VALU_DEP_2) | instskip(NEXT) | instid1(VALU_DEP_2)
	v_add_f64_e32 v[4:5], v[4:5], v[8:9]
	v_add_f64_e32 v[6:7], v[2:3], v[138:139]
	s_delay_alu instid0(VALU_DEP_2) | instskip(NEXT) | instid1(VALU_DEP_2)
	v_add_f64_e64 v[2:3], v[172:173], -v[4:5]
	v_add_f64_e64 v[4:5], v[174:175], -v[6:7]
	scratch_store_b128 off, v[2:5], off offset:672
	s_wait_xcnt 0x0
	v_cmpx_lt_u32_e32 41, v1
	s_cbranch_execz .LBB120_273
; %bb.272:
	scratch_load_b128 v[2:5], off, s31
	v_mov_b32_e32 v6, 0
	s_delay_alu instid0(VALU_DEP_1)
	v_dual_mov_b32 v7, v6 :: v_dual_mov_b32 v8, v6
	v_mov_b32_e32 v9, v6
	scratch_store_b128 off, v[6:9], off offset:656
	s_wait_loadcnt 0x0
	ds_store_b128 v12, v[2:5]
.LBB120_273:
	s_wait_xcnt 0x0
	s_or_b32 exec_lo, exec_lo, s2
	s_wait_storecnt_dscnt 0x0
	s_barrier_signal -1
	s_barrier_wait -1
	s_clause 0x9
	scratch_load_b128 v[4:7], off, off offset:672
	scratch_load_b128 v[8:11], off, off offset:688
	scratch_load_b128 v[128:131], off, off offset:704
	scratch_load_b128 v[132:135], off, off offset:720
	scratch_load_b128 v[136:139], off, off offset:736
	scratch_load_b128 v[140:143], off, off offset:752
	scratch_load_b128 v[144:147], off, off offset:768
	scratch_load_b128 v[148:151], off, off offset:784
	scratch_load_b128 v[152:155], off, off offset:800
	scratch_load_b128 v[156:159], off, off offset:816
	v_mov_b32_e32 v2, 0
	s_mov_b32 s2, exec_lo
	ds_load_b128 v[160:163], v2 offset:1584
	s_clause 0x2
	scratch_load_b128 v[164:167], off, off offset:832
	scratch_load_b128 v[168:171], off, off offset:656
	;; [unrolled: 1-line block ×3, first 2 shown]
	s_wait_loadcnt_dscnt 0xc00
	v_mul_f64_e32 v[180:181], v[162:163], v[6:7]
	v_mul_f64_e32 v[184:185], v[160:161], v[6:7]
	ds_load_b128 v[172:175], v2 offset:1600
	v_fma_f64 v[188:189], v[160:161], v[4:5], -v[180:181]
	v_fmac_f64_e32 v[184:185], v[162:163], v[4:5]
	ds_load_b128 v[4:7], v2 offset:1616
	s_wait_loadcnt_dscnt 0xb01
	v_mul_f64_e32 v[186:187], v[172:173], v[10:11]
	v_mul_f64_e32 v[10:11], v[174:175], v[10:11]
	scratch_load_b128 v[160:163], off, off offset:864
	ds_load_b128 v[180:183], v2 offset:1632
	s_wait_loadcnt_dscnt 0xb01
	v_mul_f64_e32 v[190:191], v[4:5], v[130:131]
	v_mul_f64_e32 v[130:131], v[6:7], v[130:131]
	v_add_f64_e32 v[184:185], 0, v[184:185]
	v_fmac_f64_e32 v[186:187], v[174:175], v[8:9]
	v_fma_f64 v[172:173], v[172:173], v[8:9], -v[10:11]
	v_add_f64_e32 v[174:175], 0, v[188:189]
	scratch_load_b128 v[8:11], off, off offset:880
	v_fmac_f64_e32 v[190:191], v[6:7], v[128:129]
	v_fma_f64 v[192:193], v[4:5], v[128:129], -v[130:131]
	ds_load_b128 v[4:7], v2 offset:1648
	s_wait_loadcnt_dscnt 0xb01
	v_mul_f64_e32 v[188:189], v[180:181], v[134:135]
	v_mul_f64_e32 v[134:135], v[182:183], v[134:135]
	scratch_load_b128 v[128:131], off, off offset:896
	v_add_f64_e32 v[184:185], v[184:185], v[186:187]
	v_add_f64_e32 v[194:195], v[174:175], v[172:173]
	ds_load_b128 v[172:175], v2 offset:1664
	s_wait_loadcnt_dscnt 0xb01
	v_mul_f64_e32 v[186:187], v[4:5], v[138:139]
	v_mul_f64_e32 v[138:139], v[6:7], v[138:139]
	v_fmac_f64_e32 v[188:189], v[182:183], v[132:133]
	v_fma_f64 v[132:133], v[180:181], v[132:133], -v[134:135]
	s_wait_loadcnt_dscnt 0xa00
	v_mul_f64_e32 v[182:183], v[172:173], v[142:143]
	v_mul_f64_e32 v[142:143], v[174:175], v[142:143]
	v_add_f64_e32 v[180:181], v[184:185], v[190:191]
	v_add_f64_e32 v[134:135], v[194:195], v[192:193]
	v_fmac_f64_e32 v[186:187], v[6:7], v[136:137]
	v_fma_f64 v[136:137], v[4:5], v[136:137], -v[138:139]
	v_fmac_f64_e32 v[182:183], v[174:175], v[140:141]
	v_fma_f64 v[140:141], v[172:173], v[140:141], -v[142:143]
	v_add_f64_e32 v[180:181], v[180:181], v[188:189]
	v_add_f64_e32 v[138:139], v[134:135], v[132:133]
	ds_load_b128 v[4:7], v2 offset:1680
	ds_load_b128 v[132:135], v2 offset:1696
	s_wait_loadcnt_dscnt 0x901
	v_mul_f64_e32 v[184:185], v[4:5], v[146:147]
	v_mul_f64_e32 v[146:147], v[6:7], v[146:147]
	s_wait_loadcnt_dscnt 0x800
	v_mul_f64_e32 v[142:143], v[132:133], v[150:151]
	v_mul_f64_e32 v[150:151], v[134:135], v[150:151]
	v_add_f64_e32 v[136:137], v[138:139], v[136:137]
	v_add_f64_e32 v[138:139], v[180:181], v[186:187]
	v_fmac_f64_e32 v[184:185], v[6:7], v[144:145]
	v_fma_f64 v[144:145], v[4:5], v[144:145], -v[146:147]
	v_fmac_f64_e32 v[142:143], v[134:135], v[148:149]
	v_fma_f64 v[132:133], v[132:133], v[148:149], -v[150:151]
	v_add_f64_e32 v[140:141], v[136:137], v[140:141]
	v_add_f64_e32 v[146:147], v[138:139], v[182:183]
	ds_load_b128 v[4:7], v2 offset:1712
	ds_load_b128 v[136:139], v2 offset:1728
	s_wait_loadcnt_dscnt 0x701
	v_mul_f64_e32 v[172:173], v[4:5], v[154:155]
	v_mul_f64_e32 v[154:155], v[6:7], v[154:155]
	v_add_f64_e32 v[134:135], v[140:141], v[144:145]
	v_add_f64_e32 v[140:141], v[146:147], v[184:185]
	s_wait_loadcnt_dscnt 0x600
	v_mul_f64_e32 v[144:145], v[136:137], v[158:159]
	v_mul_f64_e32 v[146:147], v[138:139], v[158:159]
	v_fmac_f64_e32 v[172:173], v[6:7], v[152:153]
	v_fma_f64 v[148:149], v[4:5], v[152:153], -v[154:155]
	v_add_f64_e32 v[150:151], v[134:135], v[132:133]
	v_add_f64_e32 v[140:141], v[140:141], v[142:143]
	ds_load_b128 v[4:7], v2 offset:1744
	ds_load_b128 v[132:135], v2 offset:1760
	v_fmac_f64_e32 v[144:145], v[138:139], v[156:157]
	v_fma_f64 v[136:137], v[136:137], v[156:157], -v[146:147]
	s_wait_loadcnt_dscnt 0x501
	v_mul_f64_e32 v[142:143], v[4:5], v[166:167]
	v_mul_f64_e32 v[152:153], v[6:7], v[166:167]
	s_wait_loadcnt_dscnt 0x300
	v_mul_f64_e32 v[146:147], v[132:133], v[178:179]
	v_add_f64_e32 v[138:139], v[150:151], v[148:149]
	v_add_f64_e32 v[140:141], v[140:141], v[172:173]
	v_mul_f64_e32 v[148:149], v[134:135], v[178:179]
	v_fmac_f64_e32 v[142:143], v[6:7], v[164:165]
	v_fma_f64 v[150:151], v[4:5], v[164:165], -v[152:153]
	v_fmac_f64_e32 v[146:147], v[134:135], v[176:177]
	v_add_f64_e32 v[152:153], v[138:139], v[136:137]
	v_add_f64_e32 v[140:141], v[140:141], v[144:145]
	ds_load_b128 v[4:7], v2 offset:1776
	ds_load_b128 v[136:139], v2 offset:1792
	v_fma_f64 v[132:133], v[132:133], v[176:177], -v[148:149]
	s_wait_loadcnt_dscnt 0x201
	v_mul_f64_e32 v[144:145], v[4:5], v[162:163]
	v_mul_f64_e32 v[154:155], v[6:7], v[162:163]
	v_add_f64_e32 v[134:135], v[152:153], v[150:151]
	v_add_f64_e32 v[140:141], v[140:141], v[142:143]
	s_wait_loadcnt_dscnt 0x100
	v_mul_f64_e32 v[142:143], v[136:137], v[10:11]
	v_mul_f64_e32 v[10:11], v[138:139], v[10:11]
	v_fmac_f64_e32 v[144:145], v[6:7], v[160:161]
	v_fma_f64 v[148:149], v[4:5], v[160:161], -v[154:155]
	ds_load_b128 v[4:7], v2 offset:1808
	v_add_f64_e32 v[132:133], v[134:135], v[132:133]
	v_add_f64_e32 v[134:135], v[140:141], v[146:147]
	v_fmac_f64_e32 v[142:143], v[138:139], v[8:9]
	v_fma_f64 v[8:9], v[136:137], v[8:9], -v[10:11]
	s_wait_loadcnt_dscnt 0x0
	v_mul_f64_e32 v[140:141], v[4:5], v[130:131]
	v_mul_f64_e32 v[130:131], v[6:7], v[130:131]
	v_add_f64_e32 v[10:11], v[132:133], v[148:149]
	v_add_f64_e32 v[132:133], v[134:135], v[144:145]
	s_delay_alu instid0(VALU_DEP_4) | instskip(NEXT) | instid1(VALU_DEP_4)
	v_fmac_f64_e32 v[140:141], v[6:7], v[128:129]
	v_fma_f64 v[4:5], v[4:5], v[128:129], -v[130:131]
	s_delay_alu instid0(VALU_DEP_4) | instskip(NEXT) | instid1(VALU_DEP_4)
	v_add_f64_e32 v[6:7], v[10:11], v[8:9]
	v_add_f64_e32 v[8:9], v[132:133], v[142:143]
	s_delay_alu instid0(VALU_DEP_2) | instskip(NEXT) | instid1(VALU_DEP_2)
	v_add_f64_e32 v[4:5], v[6:7], v[4:5]
	v_add_f64_e32 v[6:7], v[8:9], v[140:141]
	s_delay_alu instid0(VALU_DEP_2) | instskip(NEXT) | instid1(VALU_DEP_2)
	v_add_f64_e64 v[4:5], v[168:169], -v[4:5]
	v_add_f64_e64 v[6:7], v[170:171], -v[6:7]
	scratch_store_b128 off, v[4:7], off offset:656
	s_wait_xcnt 0x0
	v_cmpx_lt_u32_e32 40, v1
	s_cbranch_execz .LBB120_275
; %bb.274:
	scratch_load_b128 v[6:9], off, s33
	v_dual_mov_b32 v3, v2 :: v_dual_mov_b32 v4, v2
	v_mov_b32_e32 v5, v2
	scratch_store_b128 off, v[2:5], off offset:640
	s_wait_loadcnt 0x0
	ds_store_b128 v12, v[6:9]
.LBB120_275:
	s_wait_xcnt 0x0
	s_or_b32 exec_lo, exec_lo, s2
	s_wait_storecnt_dscnt 0x0
	s_barrier_signal -1
	s_barrier_wait -1
	s_clause 0x9
	scratch_load_b128 v[4:7], off, off offset:656
	scratch_load_b128 v[8:11], off, off offset:672
	;; [unrolled: 1-line block ×10, first 2 shown]
	ds_load_b128 v[160:163], v2 offset:1568
	ds_load_b128 v[168:171], v2 offset:1584
	s_clause 0x2
	scratch_load_b128 v[164:167], off, off offset:816
	scratch_load_b128 v[172:175], off, off offset:640
	;; [unrolled: 1-line block ×3, first 2 shown]
	s_mov_b32 s2, exec_lo
	s_wait_loadcnt_dscnt 0xc01
	v_mul_f64_e32 v[180:181], v[162:163], v[6:7]
	v_mul_f64_e32 v[184:185], v[160:161], v[6:7]
	s_wait_loadcnt_dscnt 0xb00
	v_mul_f64_e32 v[186:187], v[168:169], v[10:11]
	v_mul_f64_e32 v[10:11], v[170:171], v[10:11]
	s_delay_alu instid0(VALU_DEP_4) | instskip(NEXT) | instid1(VALU_DEP_4)
	v_fma_f64 v[188:189], v[160:161], v[4:5], -v[180:181]
	v_fmac_f64_e32 v[184:185], v[162:163], v[4:5]
	ds_load_b128 v[4:7], v2 offset:1600
	ds_load_b128 v[160:163], v2 offset:1616
	scratch_load_b128 v[180:183], off, off offset:848
	v_fmac_f64_e32 v[186:187], v[170:171], v[8:9]
	v_fma_f64 v[168:169], v[168:169], v[8:9], -v[10:11]
	scratch_load_b128 v[8:11], off, off offset:864
	s_wait_loadcnt_dscnt 0xc01
	v_mul_f64_e32 v[190:191], v[4:5], v[130:131]
	v_mul_f64_e32 v[130:131], v[6:7], v[130:131]
	v_add_f64_e32 v[170:171], 0, v[188:189]
	v_add_f64_e32 v[184:185], 0, v[184:185]
	s_wait_loadcnt_dscnt 0xb00
	v_mul_f64_e32 v[188:189], v[160:161], v[134:135]
	v_mul_f64_e32 v[134:135], v[162:163], v[134:135]
	v_fmac_f64_e32 v[190:191], v[6:7], v[128:129]
	v_fma_f64 v[192:193], v[4:5], v[128:129], -v[130:131]
	ds_load_b128 v[4:7], v2 offset:1632
	ds_load_b128 v[128:131], v2 offset:1648
	v_add_f64_e32 v[194:195], v[170:171], v[168:169]
	v_add_f64_e32 v[184:185], v[184:185], v[186:187]
	scratch_load_b128 v[168:171], off, off offset:880
	v_fmac_f64_e32 v[188:189], v[162:163], v[132:133]
	v_fma_f64 v[160:161], v[160:161], v[132:133], -v[134:135]
	scratch_load_b128 v[132:135], off, off offset:896
	s_wait_loadcnt_dscnt 0xc01
	v_mul_f64_e32 v[186:187], v[4:5], v[138:139]
	v_mul_f64_e32 v[138:139], v[6:7], v[138:139]
	v_add_f64_e32 v[162:163], v[194:195], v[192:193]
	v_add_f64_e32 v[184:185], v[184:185], v[190:191]
	s_wait_loadcnt_dscnt 0xb00
	v_mul_f64_e32 v[190:191], v[128:129], v[142:143]
	v_mul_f64_e32 v[142:143], v[130:131], v[142:143]
	v_fmac_f64_e32 v[186:187], v[6:7], v[136:137]
	v_fma_f64 v[192:193], v[4:5], v[136:137], -v[138:139]
	ds_load_b128 v[4:7], v2 offset:1664
	ds_load_b128 v[136:139], v2 offset:1680
	v_add_f64_e32 v[160:161], v[162:163], v[160:161]
	v_add_f64_e32 v[162:163], v[184:185], v[188:189]
	s_wait_loadcnt_dscnt 0xa01
	v_mul_f64_e32 v[184:185], v[4:5], v[146:147]
	v_mul_f64_e32 v[146:147], v[6:7], v[146:147]
	v_fmac_f64_e32 v[190:191], v[130:131], v[140:141]
	v_fma_f64 v[128:129], v[128:129], v[140:141], -v[142:143]
	s_wait_loadcnt_dscnt 0x900
	v_mul_f64_e32 v[142:143], v[136:137], v[150:151]
	v_mul_f64_e32 v[150:151], v[138:139], v[150:151]
	v_add_f64_e32 v[130:131], v[160:161], v[192:193]
	v_add_f64_e32 v[140:141], v[162:163], v[186:187]
	v_fmac_f64_e32 v[184:185], v[6:7], v[144:145]
	v_fma_f64 v[144:145], v[4:5], v[144:145], -v[146:147]
	v_fmac_f64_e32 v[142:143], v[138:139], v[148:149]
	v_fma_f64 v[136:137], v[136:137], v[148:149], -v[150:151]
	v_add_f64_e32 v[146:147], v[130:131], v[128:129]
	v_add_f64_e32 v[140:141], v[140:141], v[190:191]
	ds_load_b128 v[4:7], v2 offset:1696
	ds_load_b128 v[128:131], v2 offset:1712
	s_wait_loadcnt_dscnt 0x801
	v_mul_f64_e32 v[160:161], v[4:5], v[154:155]
	v_mul_f64_e32 v[154:155], v[6:7], v[154:155]
	v_add_f64_e32 v[138:139], v[146:147], v[144:145]
	v_add_f64_e32 v[140:141], v[140:141], v[184:185]
	s_wait_loadcnt_dscnt 0x700
	v_mul_f64_e32 v[144:145], v[128:129], v[158:159]
	v_mul_f64_e32 v[146:147], v[130:131], v[158:159]
	v_fmac_f64_e32 v[160:161], v[6:7], v[152:153]
	v_fma_f64 v[148:149], v[4:5], v[152:153], -v[154:155]
	v_add_f64_e32 v[150:151], v[138:139], v[136:137]
	v_add_f64_e32 v[140:141], v[140:141], v[142:143]
	ds_load_b128 v[4:7], v2 offset:1728
	ds_load_b128 v[136:139], v2 offset:1744
	v_fmac_f64_e32 v[144:145], v[130:131], v[156:157]
	v_fma_f64 v[128:129], v[128:129], v[156:157], -v[146:147]
	s_wait_loadcnt_dscnt 0x601
	v_mul_f64_e32 v[142:143], v[4:5], v[166:167]
	v_mul_f64_e32 v[152:153], v[6:7], v[166:167]
	s_wait_loadcnt_dscnt 0x400
	v_mul_f64_e32 v[146:147], v[136:137], v[178:179]
	v_add_f64_e32 v[130:131], v[150:151], v[148:149]
	v_add_f64_e32 v[140:141], v[140:141], v[160:161]
	v_mul_f64_e32 v[148:149], v[138:139], v[178:179]
	v_fmac_f64_e32 v[142:143], v[6:7], v[164:165]
	v_fma_f64 v[150:151], v[4:5], v[164:165], -v[152:153]
	v_fmac_f64_e32 v[146:147], v[138:139], v[176:177]
	v_add_f64_e32 v[152:153], v[130:131], v[128:129]
	v_add_f64_e32 v[140:141], v[140:141], v[144:145]
	ds_load_b128 v[4:7], v2 offset:1760
	ds_load_b128 v[128:131], v2 offset:1776
	v_fma_f64 v[136:137], v[136:137], v[176:177], -v[148:149]
	s_wait_loadcnt_dscnt 0x301
	v_mul_f64_e32 v[144:145], v[4:5], v[182:183]
	v_mul_f64_e32 v[154:155], v[6:7], v[182:183]
	v_add_f64_e32 v[138:139], v[152:153], v[150:151]
	v_add_f64_e32 v[140:141], v[140:141], v[142:143]
	s_wait_loadcnt_dscnt 0x200
	v_mul_f64_e32 v[142:143], v[128:129], v[10:11]
	v_mul_f64_e32 v[10:11], v[130:131], v[10:11]
	v_fmac_f64_e32 v[144:145], v[6:7], v[180:181]
	v_fma_f64 v[148:149], v[4:5], v[180:181], -v[154:155]
	v_add_f64_e32 v[150:151], v[138:139], v[136:137]
	v_add_f64_e32 v[140:141], v[140:141], v[146:147]
	ds_load_b128 v[4:7], v2 offset:1792
	ds_load_b128 v[136:139], v2 offset:1808
	v_fmac_f64_e32 v[142:143], v[130:131], v[8:9]
	v_fma_f64 v[8:9], v[128:129], v[8:9], -v[10:11]
	s_wait_loadcnt_dscnt 0x101
	v_mul_f64_e32 v[2:3], v[4:5], v[170:171]
	v_mul_f64_e32 v[146:147], v[6:7], v[170:171]
	s_wait_loadcnt_dscnt 0x0
	v_mul_f64_e32 v[130:131], v[136:137], v[134:135]
	v_mul_f64_e32 v[134:135], v[138:139], v[134:135]
	v_add_f64_e32 v[10:11], v[150:151], v[148:149]
	v_add_f64_e32 v[128:129], v[140:141], v[144:145]
	v_fmac_f64_e32 v[2:3], v[6:7], v[168:169]
	v_fma_f64 v[4:5], v[4:5], v[168:169], -v[146:147]
	v_fmac_f64_e32 v[130:131], v[138:139], v[132:133]
	v_add_f64_e32 v[6:7], v[10:11], v[8:9]
	v_add_f64_e32 v[8:9], v[128:129], v[142:143]
	v_fma_f64 v[10:11], v[136:137], v[132:133], -v[134:135]
	s_delay_alu instid0(VALU_DEP_3) | instskip(NEXT) | instid1(VALU_DEP_3)
	v_add_f64_e32 v[4:5], v[6:7], v[4:5]
	v_add_f64_e32 v[2:3], v[8:9], v[2:3]
	s_delay_alu instid0(VALU_DEP_2) | instskip(NEXT) | instid1(VALU_DEP_2)
	v_add_f64_e32 v[4:5], v[4:5], v[10:11]
	v_add_f64_e32 v[6:7], v[2:3], v[130:131]
	s_delay_alu instid0(VALU_DEP_2) | instskip(NEXT) | instid1(VALU_DEP_2)
	v_add_f64_e64 v[2:3], v[172:173], -v[4:5]
	v_add_f64_e64 v[4:5], v[174:175], -v[6:7]
	scratch_store_b128 off, v[2:5], off offset:640
	s_wait_xcnt 0x0
	v_cmpx_lt_u32_e32 39, v1
	s_cbranch_execz .LBB120_277
; %bb.276:
	scratch_load_b128 v[2:5], off, s34
	v_mov_b32_e32 v6, 0
	s_delay_alu instid0(VALU_DEP_1)
	v_dual_mov_b32 v7, v6 :: v_dual_mov_b32 v8, v6
	v_mov_b32_e32 v9, v6
	scratch_store_b128 off, v[6:9], off offset:624
	s_wait_loadcnt 0x0
	ds_store_b128 v12, v[2:5]
.LBB120_277:
	s_wait_xcnt 0x0
	s_or_b32 exec_lo, exec_lo, s2
	s_wait_storecnt_dscnt 0x0
	s_barrier_signal -1
	s_barrier_wait -1
	s_clause 0x9
	scratch_load_b128 v[4:7], off, off offset:640
	scratch_load_b128 v[8:11], off, off offset:656
	;; [unrolled: 1-line block ×10, first 2 shown]
	v_mov_b32_e32 v2, 0
	s_mov_b32 s2, exec_lo
	ds_load_b128 v[160:163], v2 offset:1552
	s_clause 0x2
	scratch_load_b128 v[164:167], off, off offset:800
	scratch_load_b128 v[168:171], off, off offset:624
	;; [unrolled: 1-line block ×3, first 2 shown]
	s_wait_loadcnt_dscnt 0xc00
	v_mul_f64_e32 v[180:181], v[162:163], v[6:7]
	v_mul_f64_e32 v[184:185], v[160:161], v[6:7]
	ds_load_b128 v[172:175], v2 offset:1568
	v_fma_f64 v[188:189], v[160:161], v[4:5], -v[180:181]
	v_fmac_f64_e32 v[184:185], v[162:163], v[4:5]
	ds_load_b128 v[4:7], v2 offset:1584
	s_wait_loadcnt_dscnt 0xb01
	v_mul_f64_e32 v[186:187], v[172:173], v[10:11]
	v_mul_f64_e32 v[10:11], v[174:175], v[10:11]
	scratch_load_b128 v[160:163], off, off offset:832
	ds_load_b128 v[180:183], v2 offset:1600
	s_wait_loadcnt_dscnt 0xb01
	v_mul_f64_e32 v[190:191], v[4:5], v[130:131]
	v_mul_f64_e32 v[130:131], v[6:7], v[130:131]
	v_add_f64_e32 v[184:185], 0, v[184:185]
	v_fmac_f64_e32 v[186:187], v[174:175], v[8:9]
	v_fma_f64 v[172:173], v[172:173], v[8:9], -v[10:11]
	v_add_f64_e32 v[174:175], 0, v[188:189]
	scratch_load_b128 v[8:11], off, off offset:848
	v_fmac_f64_e32 v[190:191], v[6:7], v[128:129]
	v_fma_f64 v[192:193], v[4:5], v[128:129], -v[130:131]
	ds_load_b128 v[4:7], v2 offset:1616
	s_wait_loadcnt_dscnt 0xb01
	v_mul_f64_e32 v[188:189], v[180:181], v[134:135]
	v_mul_f64_e32 v[134:135], v[182:183], v[134:135]
	scratch_load_b128 v[128:131], off, off offset:864
	v_add_f64_e32 v[184:185], v[184:185], v[186:187]
	v_add_f64_e32 v[194:195], v[174:175], v[172:173]
	ds_load_b128 v[172:175], v2 offset:1632
	s_wait_loadcnt_dscnt 0xb01
	v_mul_f64_e32 v[186:187], v[4:5], v[138:139]
	v_mul_f64_e32 v[138:139], v[6:7], v[138:139]
	v_fmac_f64_e32 v[188:189], v[182:183], v[132:133]
	v_fma_f64 v[180:181], v[180:181], v[132:133], -v[134:135]
	scratch_load_b128 v[132:135], off, off offset:880
	v_add_f64_e32 v[184:185], v[184:185], v[190:191]
	v_add_f64_e32 v[182:183], v[194:195], v[192:193]
	v_fmac_f64_e32 v[186:187], v[6:7], v[136:137]
	v_fma_f64 v[192:193], v[4:5], v[136:137], -v[138:139]
	ds_load_b128 v[4:7], v2 offset:1648
	s_wait_loadcnt_dscnt 0xb01
	v_mul_f64_e32 v[190:191], v[172:173], v[142:143]
	v_mul_f64_e32 v[142:143], v[174:175], v[142:143]
	scratch_load_b128 v[136:139], off, off offset:896
	v_add_f64_e32 v[184:185], v[184:185], v[188:189]
	s_wait_loadcnt_dscnt 0xb00
	v_mul_f64_e32 v[188:189], v[4:5], v[146:147]
	v_add_f64_e32 v[194:195], v[182:183], v[180:181]
	v_mul_f64_e32 v[146:147], v[6:7], v[146:147]
	ds_load_b128 v[180:183], v2 offset:1664
	v_fmac_f64_e32 v[190:191], v[174:175], v[140:141]
	v_fma_f64 v[140:141], v[172:173], v[140:141], -v[142:143]
	s_wait_loadcnt_dscnt 0xa00
	v_mul_f64_e32 v[174:175], v[180:181], v[150:151]
	v_mul_f64_e32 v[150:151], v[182:183], v[150:151]
	v_add_f64_e32 v[172:173], v[184:185], v[186:187]
	v_fmac_f64_e32 v[188:189], v[6:7], v[144:145]
	v_add_f64_e32 v[142:143], v[194:195], v[192:193]
	v_fma_f64 v[144:145], v[4:5], v[144:145], -v[146:147]
	v_fmac_f64_e32 v[174:175], v[182:183], v[148:149]
	v_fma_f64 v[148:149], v[180:181], v[148:149], -v[150:151]
	v_add_f64_e32 v[172:173], v[172:173], v[190:191]
	v_add_f64_e32 v[146:147], v[142:143], v[140:141]
	ds_load_b128 v[4:7], v2 offset:1680
	ds_load_b128 v[140:143], v2 offset:1696
	s_wait_loadcnt_dscnt 0x901
	v_mul_f64_e32 v[184:185], v[4:5], v[154:155]
	v_mul_f64_e32 v[154:155], v[6:7], v[154:155]
	s_wait_loadcnt_dscnt 0x800
	v_mul_f64_e32 v[150:151], v[140:141], v[158:159]
	v_mul_f64_e32 v[158:159], v[142:143], v[158:159]
	v_add_f64_e32 v[144:145], v[146:147], v[144:145]
	v_add_f64_e32 v[146:147], v[172:173], v[188:189]
	v_fmac_f64_e32 v[184:185], v[6:7], v[152:153]
	v_fma_f64 v[152:153], v[4:5], v[152:153], -v[154:155]
	v_fmac_f64_e32 v[150:151], v[142:143], v[156:157]
	v_fma_f64 v[140:141], v[140:141], v[156:157], -v[158:159]
	v_add_f64_e32 v[148:149], v[144:145], v[148:149]
	v_add_f64_e32 v[154:155], v[146:147], v[174:175]
	ds_load_b128 v[4:7], v2 offset:1712
	ds_load_b128 v[144:147], v2 offset:1728
	s_wait_loadcnt_dscnt 0x701
	v_mul_f64_e32 v[172:173], v[4:5], v[166:167]
	v_mul_f64_e32 v[166:167], v[6:7], v[166:167]
	v_add_f64_e32 v[142:143], v[148:149], v[152:153]
	v_add_f64_e32 v[148:149], v[154:155], v[184:185]
	s_wait_loadcnt_dscnt 0x500
	v_mul_f64_e32 v[152:153], v[144:145], v[178:179]
	v_mul_f64_e32 v[154:155], v[146:147], v[178:179]
	v_fmac_f64_e32 v[172:173], v[6:7], v[164:165]
	v_fma_f64 v[156:157], v[4:5], v[164:165], -v[166:167]
	v_add_f64_e32 v[158:159], v[142:143], v[140:141]
	v_add_f64_e32 v[148:149], v[148:149], v[150:151]
	ds_load_b128 v[4:7], v2 offset:1744
	ds_load_b128 v[140:143], v2 offset:1760
	v_fmac_f64_e32 v[152:153], v[146:147], v[176:177]
	v_fma_f64 v[144:145], v[144:145], v[176:177], -v[154:155]
	s_wait_loadcnt_dscnt 0x401
	v_mul_f64_e32 v[150:151], v[4:5], v[162:163]
	v_mul_f64_e32 v[162:163], v[6:7], v[162:163]
	v_add_f64_e32 v[146:147], v[158:159], v[156:157]
	v_add_f64_e32 v[148:149], v[148:149], v[172:173]
	s_wait_loadcnt_dscnt 0x300
	v_mul_f64_e32 v[154:155], v[140:141], v[10:11]
	v_mul_f64_e32 v[10:11], v[142:143], v[10:11]
	v_fmac_f64_e32 v[150:151], v[6:7], v[160:161]
	v_fma_f64 v[156:157], v[4:5], v[160:161], -v[162:163]
	v_add_f64_e32 v[158:159], v[146:147], v[144:145]
	v_add_f64_e32 v[148:149], v[148:149], v[152:153]
	ds_load_b128 v[4:7], v2 offset:1776
	ds_load_b128 v[144:147], v2 offset:1792
	v_fmac_f64_e32 v[154:155], v[142:143], v[8:9]
	v_fma_f64 v[8:9], v[140:141], v[8:9], -v[10:11]
	s_wait_loadcnt_dscnt 0x201
	v_mul_f64_e32 v[152:153], v[4:5], v[130:131]
	v_mul_f64_e32 v[130:131], v[6:7], v[130:131]
	s_wait_loadcnt_dscnt 0x100
	v_mul_f64_e32 v[142:143], v[144:145], v[134:135]
	v_mul_f64_e32 v[134:135], v[146:147], v[134:135]
	v_add_f64_e32 v[10:11], v[158:159], v[156:157]
	v_add_f64_e32 v[140:141], v[148:149], v[150:151]
	v_fmac_f64_e32 v[152:153], v[6:7], v[128:129]
	v_fma_f64 v[128:129], v[4:5], v[128:129], -v[130:131]
	ds_load_b128 v[4:7], v2 offset:1808
	v_fmac_f64_e32 v[142:143], v[146:147], v[132:133]
	v_fma_f64 v[132:133], v[144:145], v[132:133], -v[134:135]
	v_add_f64_e32 v[8:9], v[10:11], v[8:9]
	v_add_f64_e32 v[10:11], v[140:141], v[154:155]
	s_wait_loadcnt_dscnt 0x0
	v_mul_f64_e32 v[130:131], v[4:5], v[138:139]
	v_mul_f64_e32 v[138:139], v[6:7], v[138:139]
	s_delay_alu instid0(VALU_DEP_4) | instskip(NEXT) | instid1(VALU_DEP_4)
	v_add_f64_e32 v[8:9], v[8:9], v[128:129]
	v_add_f64_e32 v[10:11], v[10:11], v[152:153]
	s_delay_alu instid0(VALU_DEP_4) | instskip(NEXT) | instid1(VALU_DEP_4)
	v_fmac_f64_e32 v[130:131], v[6:7], v[136:137]
	v_fma_f64 v[4:5], v[4:5], v[136:137], -v[138:139]
	s_delay_alu instid0(VALU_DEP_4) | instskip(NEXT) | instid1(VALU_DEP_4)
	v_add_f64_e32 v[6:7], v[8:9], v[132:133]
	v_add_f64_e32 v[8:9], v[10:11], v[142:143]
	s_delay_alu instid0(VALU_DEP_2) | instskip(NEXT) | instid1(VALU_DEP_2)
	v_add_f64_e32 v[4:5], v[6:7], v[4:5]
	v_add_f64_e32 v[6:7], v[8:9], v[130:131]
	s_delay_alu instid0(VALU_DEP_2) | instskip(NEXT) | instid1(VALU_DEP_2)
	v_add_f64_e64 v[4:5], v[168:169], -v[4:5]
	v_add_f64_e64 v[6:7], v[170:171], -v[6:7]
	scratch_store_b128 off, v[4:7], off offset:624
	s_wait_xcnt 0x0
	v_cmpx_lt_u32_e32 38, v1
	s_cbranch_execz .LBB120_279
; %bb.278:
	scratch_load_b128 v[6:9], off, s35
	v_dual_mov_b32 v3, v2 :: v_dual_mov_b32 v4, v2
	v_mov_b32_e32 v5, v2
	scratch_store_b128 off, v[2:5], off offset:608
	s_wait_loadcnt 0x0
	ds_store_b128 v12, v[6:9]
.LBB120_279:
	s_wait_xcnt 0x0
	s_or_b32 exec_lo, exec_lo, s2
	s_wait_storecnt_dscnt 0x0
	s_barrier_signal -1
	s_barrier_wait -1
	s_clause 0x9
	scratch_load_b128 v[4:7], off, off offset:624
	scratch_load_b128 v[8:11], off, off offset:640
	;; [unrolled: 1-line block ×10, first 2 shown]
	ds_load_b128 v[160:163], v2 offset:1536
	ds_load_b128 v[168:171], v2 offset:1552
	s_clause 0x2
	scratch_load_b128 v[164:167], off, off offset:784
	scratch_load_b128 v[172:175], off, off offset:608
	;; [unrolled: 1-line block ×3, first 2 shown]
	s_mov_b32 s2, exec_lo
	s_wait_loadcnt_dscnt 0xc01
	v_mul_f64_e32 v[180:181], v[162:163], v[6:7]
	v_mul_f64_e32 v[184:185], v[160:161], v[6:7]
	s_wait_loadcnt_dscnt 0xb00
	v_mul_f64_e32 v[186:187], v[168:169], v[10:11]
	v_mul_f64_e32 v[10:11], v[170:171], v[10:11]
	s_delay_alu instid0(VALU_DEP_4) | instskip(NEXT) | instid1(VALU_DEP_4)
	v_fma_f64 v[188:189], v[160:161], v[4:5], -v[180:181]
	v_fmac_f64_e32 v[184:185], v[162:163], v[4:5]
	ds_load_b128 v[4:7], v2 offset:1568
	ds_load_b128 v[160:163], v2 offset:1584
	scratch_load_b128 v[180:183], off, off offset:816
	v_fmac_f64_e32 v[186:187], v[170:171], v[8:9]
	v_fma_f64 v[168:169], v[168:169], v[8:9], -v[10:11]
	scratch_load_b128 v[8:11], off, off offset:832
	s_wait_loadcnt_dscnt 0xc01
	v_mul_f64_e32 v[190:191], v[4:5], v[130:131]
	v_mul_f64_e32 v[130:131], v[6:7], v[130:131]
	v_add_f64_e32 v[170:171], 0, v[188:189]
	v_add_f64_e32 v[184:185], 0, v[184:185]
	s_wait_loadcnt_dscnt 0xb00
	v_mul_f64_e32 v[188:189], v[160:161], v[134:135]
	v_mul_f64_e32 v[134:135], v[162:163], v[134:135]
	v_fmac_f64_e32 v[190:191], v[6:7], v[128:129]
	v_fma_f64 v[192:193], v[4:5], v[128:129], -v[130:131]
	ds_load_b128 v[4:7], v2 offset:1600
	ds_load_b128 v[128:131], v2 offset:1616
	v_add_f64_e32 v[194:195], v[170:171], v[168:169]
	v_add_f64_e32 v[184:185], v[184:185], v[186:187]
	scratch_load_b128 v[168:171], off, off offset:848
	v_fmac_f64_e32 v[188:189], v[162:163], v[132:133]
	v_fma_f64 v[160:161], v[160:161], v[132:133], -v[134:135]
	scratch_load_b128 v[132:135], off, off offset:864
	s_wait_loadcnt_dscnt 0xc01
	v_mul_f64_e32 v[186:187], v[4:5], v[138:139]
	v_mul_f64_e32 v[138:139], v[6:7], v[138:139]
	v_add_f64_e32 v[162:163], v[194:195], v[192:193]
	v_add_f64_e32 v[184:185], v[184:185], v[190:191]
	s_wait_loadcnt_dscnt 0xb00
	v_mul_f64_e32 v[190:191], v[128:129], v[142:143]
	v_mul_f64_e32 v[142:143], v[130:131], v[142:143]
	v_fmac_f64_e32 v[186:187], v[6:7], v[136:137]
	v_fma_f64 v[192:193], v[4:5], v[136:137], -v[138:139]
	ds_load_b128 v[4:7], v2 offset:1632
	ds_load_b128 v[136:139], v2 offset:1648
	v_add_f64_e32 v[194:195], v[162:163], v[160:161]
	v_add_f64_e32 v[184:185], v[184:185], v[188:189]
	scratch_load_b128 v[160:163], off, off offset:880
	s_wait_loadcnt_dscnt 0xb01
	v_mul_f64_e32 v[188:189], v[4:5], v[146:147]
	v_mul_f64_e32 v[146:147], v[6:7], v[146:147]
	v_fmac_f64_e32 v[190:191], v[130:131], v[140:141]
	v_fma_f64 v[140:141], v[128:129], v[140:141], -v[142:143]
	scratch_load_b128 v[128:131], off, off offset:896
	v_add_f64_e32 v[142:143], v[194:195], v[192:193]
	v_add_f64_e32 v[184:185], v[184:185], v[186:187]
	s_wait_loadcnt_dscnt 0xb00
	v_mul_f64_e32 v[186:187], v[136:137], v[150:151]
	v_mul_f64_e32 v[150:151], v[138:139], v[150:151]
	v_fmac_f64_e32 v[188:189], v[6:7], v[144:145]
	v_fma_f64 v[144:145], v[4:5], v[144:145], -v[146:147]
	v_add_f64_e32 v[146:147], v[142:143], v[140:141]
	v_add_f64_e32 v[184:185], v[184:185], v[190:191]
	ds_load_b128 v[4:7], v2 offset:1664
	ds_load_b128 v[140:143], v2 offset:1680
	v_fmac_f64_e32 v[186:187], v[138:139], v[148:149]
	v_fma_f64 v[136:137], v[136:137], v[148:149], -v[150:151]
	s_wait_loadcnt_dscnt 0xa01
	v_mul_f64_e32 v[190:191], v[4:5], v[154:155]
	v_mul_f64_e32 v[154:155], v[6:7], v[154:155]
	s_wait_loadcnt_dscnt 0x900
	v_mul_f64_e32 v[148:149], v[142:143], v[158:159]
	v_add_f64_e32 v[138:139], v[146:147], v[144:145]
	v_add_f64_e32 v[144:145], v[184:185], v[188:189]
	v_mul_f64_e32 v[146:147], v[140:141], v[158:159]
	v_fmac_f64_e32 v[190:191], v[6:7], v[152:153]
	v_fma_f64 v[150:151], v[4:5], v[152:153], -v[154:155]
	v_fma_f64 v[140:141], v[140:141], v[156:157], -v[148:149]
	v_add_f64_e32 v[152:153], v[138:139], v[136:137]
	v_add_f64_e32 v[144:145], v[144:145], v[186:187]
	ds_load_b128 v[4:7], v2 offset:1696
	ds_load_b128 v[136:139], v2 offset:1712
	v_fmac_f64_e32 v[146:147], v[142:143], v[156:157]
	s_wait_loadcnt_dscnt 0x801
	v_mul_f64_e32 v[154:155], v[4:5], v[166:167]
	v_mul_f64_e32 v[158:159], v[6:7], v[166:167]
	s_wait_loadcnt_dscnt 0x600
	v_mul_f64_e32 v[148:149], v[136:137], v[178:179]
	v_add_f64_e32 v[142:143], v[152:153], v[150:151]
	v_add_f64_e32 v[144:145], v[144:145], v[190:191]
	v_mul_f64_e32 v[150:151], v[138:139], v[178:179]
	v_fmac_f64_e32 v[154:155], v[6:7], v[164:165]
	v_fma_f64 v[152:153], v[4:5], v[164:165], -v[158:159]
	v_fmac_f64_e32 v[148:149], v[138:139], v[176:177]
	v_add_f64_e32 v[156:157], v[142:143], v[140:141]
	v_add_f64_e32 v[144:145], v[144:145], v[146:147]
	ds_load_b128 v[4:7], v2 offset:1728
	ds_load_b128 v[140:143], v2 offset:1744
	v_fma_f64 v[136:137], v[136:137], v[176:177], -v[150:151]
	s_wait_loadcnt_dscnt 0x501
	v_mul_f64_e32 v[146:147], v[4:5], v[182:183]
	v_mul_f64_e32 v[158:159], v[6:7], v[182:183]
	s_wait_loadcnt_dscnt 0x400
	v_mul_f64_e32 v[150:151], v[140:141], v[10:11]
	v_mul_f64_e32 v[10:11], v[142:143], v[10:11]
	v_add_f64_e32 v[138:139], v[156:157], v[152:153]
	v_add_f64_e32 v[144:145], v[144:145], v[154:155]
	v_fmac_f64_e32 v[146:147], v[6:7], v[180:181]
	v_fma_f64 v[152:153], v[4:5], v[180:181], -v[158:159]
	v_fmac_f64_e32 v[150:151], v[142:143], v[8:9]
	v_fma_f64 v[8:9], v[140:141], v[8:9], -v[10:11]
	v_add_f64_e32 v[154:155], v[138:139], v[136:137]
	v_add_f64_e32 v[144:145], v[144:145], v[148:149]
	ds_load_b128 v[4:7], v2 offset:1760
	ds_load_b128 v[136:139], v2 offset:1776
	s_wait_loadcnt_dscnt 0x301
	v_mul_f64_e32 v[148:149], v[4:5], v[170:171]
	v_mul_f64_e32 v[156:157], v[6:7], v[170:171]
	s_wait_loadcnt_dscnt 0x200
	v_mul_f64_e32 v[142:143], v[136:137], v[134:135]
	v_mul_f64_e32 v[134:135], v[138:139], v[134:135]
	v_add_f64_e32 v[10:11], v[154:155], v[152:153]
	v_add_f64_e32 v[140:141], v[144:145], v[146:147]
	v_fmac_f64_e32 v[148:149], v[6:7], v[168:169]
	v_fma_f64 v[144:145], v[4:5], v[168:169], -v[156:157]
	v_fmac_f64_e32 v[142:143], v[138:139], v[132:133]
	v_fma_f64 v[132:133], v[136:137], v[132:133], -v[134:135]
	v_add_f64_e32 v[146:147], v[10:11], v[8:9]
	v_add_f64_e32 v[140:141], v[140:141], v[150:151]
	ds_load_b128 v[4:7], v2 offset:1792
	ds_load_b128 v[8:11], v2 offset:1808
	s_wait_loadcnt_dscnt 0x101
	v_mul_f64_e32 v[2:3], v[4:5], v[162:163]
	v_mul_f64_e32 v[150:151], v[6:7], v[162:163]
	s_wait_loadcnt_dscnt 0x0
	v_mul_f64_e32 v[138:139], v[8:9], v[130:131]
	v_mul_f64_e32 v[130:131], v[10:11], v[130:131]
	v_add_f64_e32 v[134:135], v[146:147], v[144:145]
	v_add_f64_e32 v[136:137], v[140:141], v[148:149]
	v_fmac_f64_e32 v[2:3], v[6:7], v[160:161]
	v_fma_f64 v[4:5], v[4:5], v[160:161], -v[150:151]
	v_fmac_f64_e32 v[138:139], v[10:11], v[128:129]
	v_fma_f64 v[8:9], v[8:9], v[128:129], -v[130:131]
	v_add_f64_e32 v[6:7], v[134:135], v[132:133]
	v_add_f64_e32 v[132:133], v[136:137], v[142:143]
	s_delay_alu instid0(VALU_DEP_2) | instskip(NEXT) | instid1(VALU_DEP_2)
	v_add_f64_e32 v[4:5], v[6:7], v[4:5]
	v_add_f64_e32 v[2:3], v[132:133], v[2:3]
	s_delay_alu instid0(VALU_DEP_2) | instskip(NEXT) | instid1(VALU_DEP_2)
	;; [unrolled: 3-line block ×3, first 2 shown]
	v_add_f64_e64 v[2:3], v[172:173], -v[4:5]
	v_add_f64_e64 v[4:5], v[174:175], -v[6:7]
	scratch_store_b128 off, v[2:5], off offset:608
	s_wait_xcnt 0x0
	v_cmpx_lt_u32_e32 37, v1
	s_cbranch_execz .LBB120_281
; %bb.280:
	scratch_load_b128 v[2:5], off, s36
	v_mov_b32_e32 v6, 0
	s_delay_alu instid0(VALU_DEP_1)
	v_dual_mov_b32 v7, v6 :: v_dual_mov_b32 v8, v6
	v_mov_b32_e32 v9, v6
	scratch_store_b128 off, v[6:9], off offset:592
	s_wait_loadcnt 0x0
	ds_store_b128 v12, v[2:5]
.LBB120_281:
	s_wait_xcnt 0x0
	s_or_b32 exec_lo, exec_lo, s2
	s_wait_storecnt_dscnt 0x0
	s_barrier_signal -1
	s_barrier_wait -1
	s_clause 0x9
	scratch_load_b128 v[4:7], off, off offset:608
	scratch_load_b128 v[8:11], off, off offset:624
	;; [unrolled: 1-line block ×10, first 2 shown]
	v_mov_b32_e32 v2, 0
	s_mov_b32 s2, exec_lo
	ds_load_b128 v[160:163], v2 offset:1520
	s_clause 0x2
	scratch_load_b128 v[164:167], off, off offset:768
	scratch_load_b128 v[168:171], off, off offset:592
	;; [unrolled: 1-line block ×3, first 2 shown]
	s_wait_loadcnt_dscnt 0xc00
	v_mul_f64_e32 v[180:181], v[162:163], v[6:7]
	v_mul_f64_e32 v[184:185], v[160:161], v[6:7]
	ds_load_b128 v[172:175], v2 offset:1536
	v_fma_f64 v[188:189], v[160:161], v[4:5], -v[180:181]
	v_fmac_f64_e32 v[184:185], v[162:163], v[4:5]
	ds_load_b128 v[4:7], v2 offset:1552
	s_wait_loadcnt_dscnt 0xb01
	v_mul_f64_e32 v[186:187], v[172:173], v[10:11]
	v_mul_f64_e32 v[10:11], v[174:175], v[10:11]
	scratch_load_b128 v[160:163], off, off offset:800
	ds_load_b128 v[180:183], v2 offset:1568
	s_wait_loadcnt_dscnt 0xb01
	v_mul_f64_e32 v[190:191], v[4:5], v[130:131]
	v_mul_f64_e32 v[130:131], v[6:7], v[130:131]
	v_add_f64_e32 v[184:185], 0, v[184:185]
	v_fmac_f64_e32 v[186:187], v[174:175], v[8:9]
	v_fma_f64 v[172:173], v[172:173], v[8:9], -v[10:11]
	v_add_f64_e32 v[174:175], 0, v[188:189]
	scratch_load_b128 v[8:11], off, off offset:816
	v_fmac_f64_e32 v[190:191], v[6:7], v[128:129]
	v_fma_f64 v[192:193], v[4:5], v[128:129], -v[130:131]
	ds_load_b128 v[4:7], v2 offset:1584
	s_wait_loadcnt_dscnt 0xb01
	v_mul_f64_e32 v[188:189], v[180:181], v[134:135]
	v_mul_f64_e32 v[134:135], v[182:183], v[134:135]
	scratch_load_b128 v[128:131], off, off offset:832
	v_add_f64_e32 v[184:185], v[184:185], v[186:187]
	v_add_f64_e32 v[194:195], v[174:175], v[172:173]
	ds_load_b128 v[172:175], v2 offset:1600
	s_wait_loadcnt_dscnt 0xb01
	v_mul_f64_e32 v[186:187], v[4:5], v[138:139]
	v_mul_f64_e32 v[138:139], v[6:7], v[138:139]
	v_fmac_f64_e32 v[188:189], v[182:183], v[132:133]
	v_fma_f64 v[180:181], v[180:181], v[132:133], -v[134:135]
	scratch_load_b128 v[132:135], off, off offset:848
	v_add_f64_e32 v[184:185], v[184:185], v[190:191]
	v_add_f64_e32 v[182:183], v[194:195], v[192:193]
	v_fmac_f64_e32 v[186:187], v[6:7], v[136:137]
	v_fma_f64 v[192:193], v[4:5], v[136:137], -v[138:139]
	ds_load_b128 v[4:7], v2 offset:1616
	s_wait_loadcnt_dscnt 0xb01
	v_mul_f64_e32 v[190:191], v[172:173], v[142:143]
	v_mul_f64_e32 v[142:143], v[174:175], v[142:143]
	scratch_load_b128 v[136:139], off, off offset:864
	v_add_f64_e32 v[184:185], v[184:185], v[188:189]
	s_wait_loadcnt_dscnt 0xb00
	v_mul_f64_e32 v[188:189], v[4:5], v[146:147]
	v_add_f64_e32 v[194:195], v[182:183], v[180:181]
	v_mul_f64_e32 v[146:147], v[6:7], v[146:147]
	ds_load_b128 v[180:183], v2 offset:1632
	v_fmac_f64_e32 v[190:191], v[174:175], v[140:141]
	v_fma_f64 v[172:173], v[172:173], v[140:141], -v[142:143]
	scratch_load_b128 v[140:143], off, off offset:880
	v_add_f64_e32 v[184:185], v[184:185], v[186:187]
	v_fmac_f64_e32 v[188:189], v[6:7], v[144:145]
	v_add_f64_e32 v[174:175], v[194:195], v[192:193]
	v_fma_f64 v[192:193], v[4:5], v[144:145], -v[146:147]
	ds_load_b128 v[4:7], v2 offset:1648
	s_wait_loadcnt_dscnt 0xb01
	v_mul_f64_e32 v[186:187], v[180:181], v[150:151]
	v_mul_f64_e32 v[150:151], v[182:183], v[150:151]
	scratch_load_b128 v[144:147], off, off offset:896
	v_add_f64_e32 v[184:185], v[184:185], v[190:191]
	s_wait_loadcnt_dscnt 0xb00
	v_mul_f64_e32 v[190:191], v[4:5], v[154:155]
	v_add_f64_e32 v[194:195], v[174:175], v[172:173]
	v_mul_f64_e32 v[154:155], v[6:7], v[154:155]
	ds_load_b128 v[172:175], v2 offset:1664
	v_fmac_f64_e32 v[186:187], v[182:183], v[148:149]
	v_fma_f64 v[148:149], v[180:181], v[148:149], -v[150:151]
	s_wait_loadcnt_dscnt 0xa00
	v_mul_f64_e32 v[182:183], v[172:173], v[158:159]
	v_mul_f64_e32 v[158:159], v[174:175], v[158:159]
	v_add_f64_e32 v[180:181], v[184:185], v[188:189]
	v_fmac_f64_e32 v[190:191], v[6:7], v[152:153]
	v_add_f64_e32 v[150:151], v[194:195], v[192:193]
	v_fma_f64 v[152:153], v[4:5], v[152:153], -v[154:155]
	v_fmac_f64_e32 v[182:183], v[174:175], v[156:157]
	v_fma_f64 v[156:157], v[172:173], v[156:157], -v[158:159]
	v_add_f64_e32 v[180:181], v[180:181], v[186:187]
	v_add_f64_e32 v[154:155], v[150:151], v[148:149]
	ds_load_b128 v[4:7], v2 offset:1680
	ds_load_b128 v[148:151], v2 offset:1696
	s_wait_loadcnt_dscnt 0x901
	v_mul_f64_e32 v[184:185], v[4:5], v[166:167]
	v_mul_f64_e32 v[166:167], v[6:7], v[166:167]
	s_wait_loadcnt_dscnt 0x700
	v_mul_f64_e32 v[158:159], v[148:149], v[178:179]
	v_mul_f64_e32 v[172:173], v[150:151], v[178:179]
	v_add_f64_e32 v[152:153], v[154:155], v[152:153]
	v_add_f64_e32 v[154:155], v[180:181], v[190:191]
	v_fmac_f64_e32 v[184:185], v[6:7], v[164:165]
	v_fma_f64 v[164:165], v[4:5], v[164:165], -v[166:167]
	v_fmac_f64_e32 v[158:159], v[150:151], v[176:177]
	v_fma_f64 v[148:149], v[148:149], v[176:177], -v[172:173]
	v_add_f64_e32 v[156:157], v[152:153], v[156:157]
	v_add_f64_e32 v[166:167], v[154:155], v[182:183]
	ds_load_b128 v[4:7], v2 offset:1712
	ds_load_b128 v[152:155], v2 offset:1728
	s_wait_loadcnt_dscnt 0x601
	v_mul_f64_e32 v[174:175], v[4:5], v[162:163]
	v_mul_f64_e32 v[162:163], v[6:7], v[162:163]
	v_add_f64_e32 v[150:151], v[156:157], v[164:165]
	v_add_f64_e32 v[156:157], v[166:167], v[184:185]
	s_wait_loadcnt_dscnt 0x500
	v_mul_f64_e32 v[164:165], v[152:153], v[10:11]
	v_mul_f64_e32 v[10:11], v[154:155], v[10:11]
	v_fmac_f64_e32 v[174:175], v[6:7], v[160:161]
	v_fma_f64 v[160:161], v[4:5], v[160:161], -v[162:163]
	v_add_f64_e32 v[162:163], v[150:151], v[148:149]
	v_add_f64_e32 v[156:157], v[156:157], v[158:159]
	ds_load_b128 v[4:7], v2 offset:1744
	ds_load_b128 v[148:151], v2 offset:1760
	v_fmac_f64_e32 v[164:165], v[154:155], v[8:9]
	v_fma_f64 v[8:9], v[152:153], v[8:9], -v[10:11]
	s_wait_loadcnt_dscnt 0x401
	v_mul_f64_e32 v[158:159], v[4:5], v[130:131]
	v_mul_f64_e32 v[130:131], v[6:7], v[130:131]
	s_wait_loadcnt_dscnt 0x300
	v_mul_f64_e32 v[154:155], v[148:149], v[134:135]
	v_mul_f64_e32 v[134:135], v[150:151], v[134:135]
	v_add_f64_e32 v[10:11], v[162:163], v[160:161]
	v_add_f64_e32 v[152:153], v[156:157], v[174:175]
	v_fmac_f64_e32 v[158:159], v[6:7], v[128:129]
	v_fma_f64 v[128:129], v[4:5], v[128:129], -v[130:131]
	v_fmac_f64_e32 v[154:155], v[150:151], v[132:133]
	v_fma_f64 v[132:133], v[148:149], v[132:133], -v[134:135]
	v_add_f64_e32 v[130:131], v[10:11], v[8:9]
	v_add_f64_e32 v[152:153], v[152:153], v[164:165]
	ds_load_b128 v[4:7], v2 offset:1776
	ds_load_b128 v[8:11], v2 offset:1792
	s_wait_loadcnt_dscnt 0x201
	v_mul_f64_e32 v[156:157], v[4:5], v[138:139]
	v_mul_f64_e32 v[138:139], v[6:7], v[138:139]
	s_wait_loadcnt_dscnt 0x100
	v_mul_f64_e32 v[134:135], v[8:9], v[142:143]
	v_mul_f64_e32 v[142:143], v[10:11], v[142:143]
	v_add_f64_e32 v[128:129], v[130:131], v[128:129]
	v_add_f64_e32 v[130:131], v[152:153], v[158:159]
	v_fmac_f64_e32 v[156:157], v[6:7], v[136:137]
	v_fma_f64 v[136:137], v[4:5], v[136:137], -v[138:139]
	ds_load_b128 v[4:7], v2 offset:1808
	v_fmac_f64_e32 v[134:135], v[10:11], v[140:141]
	v_fma_f64 v[8:9], v[8:9], v[140:141], -v[142:143]
	v_add_f64_e32 v[128:129], v[128:129], v[132:133]
	v_add_f64_e32 v[130:131], v[130:131], v[154:155]
	s_wait_loadcnt_dscnt 0x0
	v_mul_f64_e32 v[132:133], v[4:5], v[146:147]
	v_mul_f64_e32 v[138:139], v[6:7], v[146:147]
	s_delay_alu instid0(VALU_DEP_4) | instskip(NEXT) | instid1(VALU_DEP_4)
	v_add_f64_e32 v[10:11], v[128:129], v[136:137]
	v_add_f64_e32 v[128:129], v[130:131], v[156:157]
	s_delay_alu instid0(VALU_DEP_4) | instskip(NEXT) | instid1(VALU_DEP_4)
	v_fmac_f64_e32 v[132:133], v[6:7], v[144:145]
	v_fma_f64 v[4:5], v[4:5], v[144:145], -v[138:139]
	s_delay_alu instid0(VALU_DEP_4) | instskip(NEXT) | instid1(VALU_DEP_4)
	v_add_f64_e32 v[6:7], v[10:11], v[8:9]
	v_add_f64_e32 v[8:9], v[128:129], v[134:135]
	s_delay_alu instid0(VALU_DEP_2) | instskip(NEXT) | instid1(VALU_DEP_2)
	v_add_f64_e32 v[4:5], v[6:7], v[4:5]
	v_add_f64_e32 v[6:7], v[8:9], v[132:133]
	s_delay_alu instid0(VALU_DEP_2) | instskip(NEXT) | instid1(VALU_DEP_2)
	v_add_f64_e64 v[4:5], v[168:169], -v[4:5]
	v_add_f64_e64 v[6:7], v[170:171], -v[6:7]
	scratch_store_b128 off, v[4:7], off offset:592
	s_wait_xcnt 0x0
	v_cmpx_lt_u32_e32 36, v1
	s_cbranch_execz .LBB120_283
; %bb.282:
	scratch_load_b128 v[6:9], off, s37
	v_dual_mov_b32 v3, v2 :: v_dual_mov_b32 v4, v2
	v_mov_b32_e32 v5, v2
	scratch_store_b128 off, v[2:5], off offset:576
	s_wait_loadcnt 0x0
	ds_store_b128 v12, v[6:9]
.LBB120_283:
	s_wait_xcnt 0x0
	s_or_b32 exec_lo, exec_lo, s2
	s_wait_storecnt_dscnt 0x0
	s_barrier_signal -1
	s_barrier_wait -1
	s_clause 0x9
	scratch_load_b128 v[4:7], off, off offset:592
	scratch_load_b128 v[8:11], off, off offset:608
	;; [unrolled: 1-line block ×10, first 2 shown]
	ds_load_b128 v[160:163], v2 offset:1504
	ds_load_b128 v[168:171], v2 offset:1520
	s_clause 0x2
	scratch_load_b128 v[164:167], off, off offset:752
	scratch_load_b128 v[172:175], off, off offset:576
	scratch_load_b128 v[176:179], off, off offset:768
	s_mov_b32 s2, exec_lo
	s_wait_loadcnt_dscnt 0xc01
	v_mul_f64_e32 v[180:181], v[162:163], v[6:7]
	v_mul_f64_e32 v[184:185], v[160:161], v[6:7]
	s_wait_loadcnt_dscnt 0xb00
	v_mul_f64_e32 v[186:187], v[168:169], v[10:11]
	v_mul_f64_e32 v[10:11], v[170:171], v[10:11]
	s_delay_alu instid0(VALU_DEP_4) | instskip(NEXT) | instid1(VALU_DEP_4)
	v_fma_f64 v[188:189], v[160:161], v[4:5], -v[180:181]
	v_fmac_f64_e32 v[184:185], v[162:163], v[4:5]
	ds_load_b128 v[4:7], v2 offset:1536
	ds_load_b128 v[160:163], v2 offset:1552
	scratch_load_b128 v[180:183], off, off offset:784
	v_fmac_f64_e32 v[186:187], v[170:171], v[8:9]
	v_fma_f64 v[168:169], v[168:169], v[8:9], -v[10:11]
	scratch_load_b128 v[8:11], off, off offset:800
	s_wait_loadcnt_dscnt 0xc01
	v_mul_f64_e32 v[190:191], v[4:5], v[130:131]
	v_mul_f64_e32 v[130:131], v[6:7], v[130:131]
	v_add_f64_e32 v[170:171], 0, v[188:189]
	v_add_f64_e32 v[184:185], 0, v[184:185]
	s_wait_loadcnt_dscnt 0xb00
	v_mul_f64_e32 v[188:189], v[160:161], v[134:135]
	v_mul_f64_e32 v[134:135], v[162:163], v[134:135]
	v_fmac_f64_e32 v[190:191], v[6:7], v[128:129]
	v_fma_f64 v[192:193], v[4:5], v[128:129], -v[130:131]
	ds_load_b128 v[4:7], v2 offset:1568
	ds_load_b128 v[128:131], v2 offset:1584
	v_add_f64_e32 v[194:195], v[170:171], v[168:169]
	v_add_f64_e32 v[184:185], v[184:185], v[186:187]
	scratch_load_b128 v[168:171], off, off offset:816
	v_fmac_f64_e32 v[188:189], v[162:163], v[132:133]
	v_fma_f64 v[160:161], v[160:161], v[132:133], -v[134:135]
	scratch_load_b128 v[132:135], off, off offset:832
	s_wait_loadcnt_dscnt 0xc01
	v_mul_f64_e32 v[186:187], v[4:5], v[138:139]
	v_mul_f64_e32 v[138:139], v[6:7], v[138:139]
	v_add_f64_e32 v[162:163], v[194:195], v[192:193]
	v_add_f64_e32 v[184:185], v[184:185], v[190:191]
	s_wait_loadcnt_dscnt 0xb00
	v_mul_f64_e32 v[190:191], v[128:129], v[142:143]
	v_mul_f64_e32 v[142:143], v[130:131], v[142:143]
	v_fmac_f64_e32 v[186:187], v[6:7], v[136:137]
	v_fma_f64 v[192:193], v[4:5], v[136:137], -v[138:139]
	ds_load_b128 v[4:7], v2 offset:1600
	ds_load_b128 v[136:139], v2 offset:1616
	v_add_f64_e32 v[194:195], v[162:163], v[160:161]
	v_add_f64_e32 v[184:185], v[184:185], v[188:189]
	scratch_load_b128 v[160:163], off, off offset:848
	s_wait_loadcnt_dscnt 0xb01
	v_mul_f64_e32 v[188:189], v[4:5], v[146:147]
	v_mul_f64_e32 v[146:147], v[6:7], v[146:147]
	v_fmac_f64_e32 v[190:191], v[130:131], v[140:141]
	v_fma_f64 v[140:141], v[128:129], v[140:141], -v[142:143]
	scratch_load_b128 v[128:131], off, off offset:864
	v_add_f64_e32 v[142:143], v[194:195], v[192:193]
	v_add_f64_e32 v[184:185], v[184:185], v[186:187]
	s_wait_loadcnt_dscnt 0xb00
	v_mul_f64_e32 v[186:187], v[136:137], v[150:151]
	v_mul_f64_e32 v[150:151], v[138:139], v[150:151]
	v_fmac_f64_e32 v[188:189], v[6:7], v[144:145]
	v_fma_f64 v[192:193], v[4:5], v[144:145], -v[146:147]
	v_add_f64_e32 v[194:195], v[142:143], v[140:141]
	v_add_f64_e32 v[184:185], v[184:185], v[190:191]
	ds_load_b128 v[4:7], v2 offset:1632
	ds_load_b128 v[140:143], v2 offset:1648
	scratch_load_b128 v[144:147], off, off offset:880
	v_fmac_f64_e32 v[186:187], v[138:139], v[148:149]
	v_fma_f64 v[148:149], v[136:137], v[148:149], -v[150:151]
	scratch_load_b128 v[136:139], off, off offset:896
	s_wait_loadcnt_dscnt 0xc01
	v_mul_f64_e32 v[190:191], v[4:5], v[154:155]
	v_mul_f64_e32 v[154:155], v[6:7], v[154:155]
	v_add_f64_e32 v[150:151], v[194:195], v[192:193]
	v_add_f64_e32 v[184:185], v[184:185], v[188:189]
	s_wait_loadcnt_dscnt 0xb00
	v_mul_f64_e32 v[188:189], v[140:141], v[158:159]
	v_mul_f64_e32 v[158:159], v[142:143], v[158:159]
	v_fmac_f64_e32 v[190:191], v[6:7], v[152:153]
	v_fma_f64 v[152:153], v[4:5], v[152:153], -v[154:155]
	v_add_f64_e32 v[154:155], v[150:151], v[148:149]
	v_add_f64_e32 v[184:185], v[184:185], v[186:187]
	ds_load_b128 v[4:7], v2 offset:1664
	ds_load_b128 v[148:151], v2 offset:1680
	v_fmac_f64_e32 v[188:189], v[142:143], v[156:157]
	v_fma_f64 v[140:141], v[140:141], v[156:157], -v[158:159]
	s_wait_loadcnt_dscnt 0xa01
	v_mul_f64_e32 v[186:187], v[4:5], v[166:167]
	v_mul_f64_e32 v[166:167], v[6:7], v[166:167]
	s_wait_loadcnt_dscnt 0x800
	v_mul_f64_e32 v[156:157], v[150:151], v[178:179]
	v_add_f64_e32 v[142:143], v[154:155], v[152:153]
	v_add_f64_e32 v[152:153], v[184:185], v[190:191]
	v_mul_f64_e32 v[154:155], v[148:149], v[178:179]
	v_fmac_f64_e32 v[186:187], v[6:7], v[164:165]
	v_fma_f64 v[158:159], v[4:5], v[164:165], -v[166:167]
	v_fma_f64 v[148:149], v[148:149], v[176:177], -v[156:157]
	v_add_f64_e32 v[164:165], v[142:143], v[140:141]
	v_add_f64_e32 v[152:153], v[152:153], v[188:189]
	ds_load_b128 v[4:7], v2 offset:1696
	ds_load_b128 v[140:143], v2 offset:1712
	v_fmac_f64_e32 v[154:155], v[150:151], v[176:177]
	s_wait_loadcnt_dscnt 0x701
	v_mul_f64_e32 v[166:167], v[4:5], v[182:183]
	v_mul_f64_e32 v[178:179], v[6:7], v[182:183]
	s_wait_loadcnt_dscnt 0x600
	v_mul_f64_e32 v[156:157], v[140:141], v[10:11]
	v_mul_f64_e32 v[10:11], v[142:143], v[10:11]
	v_add_f64_e32 v[150:151], v[164:165], v[158:159]
	v_add_f64_e32 v[152:153], v[152:153], v[186:187]
	v_fmac_f64_e32 v[166:167], v[6:7], v[180:181]
	v_fma_f64 v[158:159], v[4:5], v[180:181], -v[178:179]
	v_fmac_f64_e32 v[156:157], v[142:143], v[8:9]
	v_fma_f64 v[8:9], v[140:141], v[8:9], -v[10:11]
	v_add_f64_e32 v[164:165], v[150:151], v[148:149]
	v_add_f64_e32 v[152:153], v[152:153], v[154:155]
	ds_load_b128 v[4:7], v2 offset:1728
	ds_load_b128 v[148:151], v2 offset:1744
	s_wait_loadcnt_dscnt 0x501
	v_mul_f64_e32 v[154:155], v[4:5], v[170:171]
	v_mul_f64_e32 v[170:171], v[6:7], v[170:171]
	s_wait_loadcnt_dscnt 0x400
	v_mul_f64_e32 v[142:143], v[148:149], v[134:135]
	v_mul_f64_e32 v[134:135], v[150:151], v[134:135]
	v_add_f64_e32 v[10:11], v[164:165], v[158:159]
	v_add_f64_e32 v[140:141], v[152:153], v[166:167]
	v_fmac_f64_e32 v[154:155], v[6:7], v[168:169]
	v_fma_f64 v[152:153], v[4:5], v[168:169], -v[170:171]
	v_fmac_f64_e32 v[142:143], v[150:151], v[132:133]
	v_fma_f64 v[132:133], v[148:149], v[132:133], -v[134:135]
	v_add_f64_e32 v[158:159], v[10:11], v[8:9]
	v_add_f64_e32 v[140:141], v[140:141], v[156:157]
	ds_load_b128 v[4:7], v2 offset:1760
	ds_load_b128 v[8:11], v2 offset:1776
	;; [unrolled: 16-line block ×3, first 2 shown]
	s_wait_loadcnt_dscnt 0x101
	v_mul_f64_e32 v[2:3], v[4:5], v[146:147]
	v_mul_f64_e32 v[142:143], v[6:7], v[146:147]
	v_add_f64_e32 v[10:11], v[134:135], v[152:153]
	v_add_f64_e32 v[128:129], v[140:141], v[156:157]
	s_wait_loadcnt_dscnt 0x0
	v_mul_f64_e32 v[134:135], v[130:131], v[138:139]
	v_mul_f64_e32 v[138:139], v[132:133], v[138:139]
	v_fmac_f64_e32 v[2:3], v[6:7], v[144:145]
	v_fma_f64 v[4:5], v[4:5], v[144:145], -v[142:143]
	v_add_f64_e32 v[6:7], v[10:11], v[8:9]
	v_add_f64_e32 v[8:9], v[128:129], v[148:149]
	v_fmac_f64_e32 v[134:135], v[132:133], v[136:137]
	v_fma_f64 v[10:11], v[130:131], v[136:137], -v[138:139]
	s_delay_alu instid0(VALU_DEP_4) | instskip(NEXT) | instid1(VALU_DEP_4)
	v_add_f64_e32 v[4:5], v[6:7], v[4:5]
	v_add_f64_e32 v[2:3], v[8:9], v[2:3]
	s_delay_alu instid0(VALU_DEP_2) | instskip(NEXT) | instid1(VALU_DEP_2)
	v_add_f64_e32 v[4:5], v[4:5], v[10:11]
	v_add_f64_e32 v[6:7], v[2:3], v[134:135]
	s_delay_alu instid0(VALU_DEP_2) | instskip(NEXT) | instid1(VALU_DEP_2)
	v_add_f64_e64 v[2:3], v[172:173], -v[4:5]
	v_add_f64_e64 v[4:5], v[174:175], -v[6:7]
	scratch_store_b128 off, v[2:5], off offset:576
	s_wait_xcnt 0x0
	v_cmpx_lt_u32_e32 35, v1
	s_cbranch_execz .LBB120_285
; %bb.284:
	scratch_load_b128 v[2:5], off, s38
	v_mov_b32_e32 v6, 0
	s_delay_alu instid0(VALU_DEP_1)
	v_dual_mov_b32 v7, v6 :: v_dual_mov_b32 v8, v6
	v_mov_b32_e32 v9, v6
	scratch_store_b128 off, v[6:9], off offset:560
	s_wait_loadcnt 0x0
	ds_store_b128 v12, v[2:5]
.LBB120_285:
	s_wait_xcnt 0x0
	s_or_b32 exec_lo, exec_lo, s2
	s_wait_storecnt_dscnt 0x0
	s_barrier_signal -1
	s_barrier_wait -1
	s_clause 0x9
	scratch_load_b128 v[4:7], off, off offset:576
	scratch_load_b128 v[8:11], off, off offset:592
	;; [unrolled: 1-line block ×10, first 2 shown]
	v_mov_b32_e32 v2, 0
	s_mov_b32 s2, exec_lo
	ds_load_b128 v[160:163], v2 offset:1488
	s_clause 0x2
	scratch_load_b128 v[164:167], off, off offset:736
	scratch_load_b128 v[168:171], off, off offset:560
	;; [unrolled: 1-line block ×3, first 2 shown]
	s_wait_loadcnt_dscnt 0xc00
	v_mul_f64_e32 v[180:181], v[162:163], v[6:7]
	v_mul_f64_e32 v[184:185], v[160:161], v[6:7]
	ds_load_b128 v[172:175], v2 offset:1504
	v_fma_f64 v[188:189], v[160:161], v[4:5], -v[180:181]
	v_fmac_f64_e32 v[184:185], v[162:163], v[4:5]
	ds_load_b128 v[4:7], v2 offset:1520
	s_wait_loadcnt_dscnt 0xb01
	v_mul_f64_e32 v[186:187], v[172:173], v[10:11]
	v_mul_f64_e32 v[10:11], v[174:175], v[10:11]
	scratch_load_b128 v[160:163], off, off offset:768
	ds_load_b128 v[180:183], v2 offset:1536
	s_wait_loadcnt_dscnt 0xb01
	v_mul_f64_e32 v[190:191], v[4:5], v[130:131]
	v_mul_f64_e32 v[130:131], v[6:7], v[130:131]
	v_add_f64_e32 v[184:185], 0, v[184:185]
	v_fmac_f64_e32 v[186:187], v[174:175], v[8:9]
	v_fma_f64 v[172:173], v[172:173], v[8:9], -v[10:11]
	v_add_f64_e32 v[174:175], 0, v[188:189]
	scratch_load_b128 v[8:11], off, off offset:784
	v_fmac_f64_e32 v[190:191], v[6:7], v[128:129]
	v_fma_f64 v[192:193], v[4:5], v[128:129], -v[130:131]
	ds_load_b128 v[4:7], v2 offset:1552
	s_wait_loadcnt_dscnt 0xb01
	v_mul_f64_e32 v[188:189], v[180:181], v[134:135]
	v_mul_f64_e32 v[134:135], v[182:183], v[134:135]
	scratch_load_b128 v[128:131], off, off offset:800
	v_add_f64_e32 v[184:185], v[184:185], v[186:187]
	v_add_f64_e32 v[194:195], v[174:175], v[172:173]
	ds_load_b128 v[172:175], v2 offset:1568
	s_wait_loadcnt_dscnt 0xb01
	v_mul_f64_e32 v[186:187], v[4:5], v[138:139]
	v_mul_f64_e32 v[138:139], v[6:7], v[138:139]
	v_fmac_f64_e32 v[188:189], v[182:183], v[132:133]
	v_fma_f64 v[180:181], v[180:181], v[132:133], -v[134:135]
	scratch_load_b128 v[132:135], off, off offset:816
	v_add_f64_e32 v[184:185], v[184:185], v[190:191]
	v_add_f64_e32 v[182:183], v[194:195], v[192:193]
	v_fmac_f64_e32 v[186:187], v[6:7], v[136:137]
	v_fma_f64 v[192:193], v[4:5], v[136:137], -v[138:139]
	ds_load_b128 v[4:7], v2 offset:1584
	s_wait_loadcnt_dscnt 0xb01
	v_mul_f64_e32 v[190:191], v[172:173], v[142:143]
	v_mul_f64_e32 v[142:143], v[174:175], v[142:143]
	scratch_load_b128 v[136:139], off, off offset:832
	v_add_f64_e32 v[184:185], v[184:185], v[188:189]
	s_wait_loadcnt_dscnt 0xb00
	v_mul_f64_e32 v[188:189], v[4:5], v[146:147]
	v_add_f64_e32 v[194:195], v[182:183], v[180:181]
	v_mul_f64_e32 v[146:147], v[6:7], v[146:147]
	ds_load_b128 v[180:183], v2 offset:1600
	v_fmac_f64_e32 v[190:191], v[174:175], v[140:141]
	v_fma_f64 v[172:173], v[172:173], v[140:141], -v[142:143]
	scratch_load_b128 v[140:143], off, off offset:848
	v_add_f64_e32 v[184:185], v[184:185], v[186:187]
	v_fmac_f64_e32 v[188:189], v[6:7], v[144:145]
	v_add_f64_e32 v[174:175], v[194:195], v[192:193]
	v_fma_f64 v[192:193], v[4:5], v[144:145], -v[146:147]
	ds_load_b128 v[4:7], v2 offset:1616
	s_wait_loadcnt_dscnt 0xb01
	v_mul_f64_e32 v[186:187], v[180:181], v[150:151]
	v_mul_f64_e32 v[150:151], v[182:183], v[150:151]
	scratch_load_b128 v[144:147], off, off offset:864
	v_add_f64_e32 v[184:185], v[184:185], v[190:191]
	s_wait_loadcnt_dscnt 0xb00
	v_mul_f64_e32 v[190:191], v[4:5], v[154:155]
	v_add_f64_e32 v[194:195], v[174:175], v[172:173]
	v_mul_f64_e32 v[154:155], v[6:7], v[154:155]
	ds_load_b128 v[172:175], v2 offset:1632
	v_fmac_f64_e32 v[186:187], v[182:183], v[148:149]
	v_fma_f64 v[180:181], v[180:181], v[148:149], -v[150:151]
	scratch_load_b128 v[148:151], off, off offset:880
	v_add_f64_e32 v[184:185], v[184:185], v[188:189]
	v_fmac_f64_e32 v[190:191], v[6:7], v[152:153]
	v_add_f64_e32 v[182:183], v[194:195], v[192:193]
	v_fma_f64 v[192:193], v[4:5], v[152:153], -v[154:155]
	ds_load_b128 v[4:7], v2 offset:1648
	s_wait_loadcnt_dscnt 0xb01
	v_mul_f64_e32 v[188:189], v[172:173], v[158:159]
	v_mul_f64_e32 v[158:159], v[174:175], v[158:159]
	scratch_load_b128 v[152:155], off, off offset:896
	v_add_f64_e32 v[184:185], v[184:185], v[186:187]
	s_wait_loadcnt_dscnt 0xb00
	v_mul_f64_e32 v[186:187], v[4:5], v[166:167]
	v_add_f64_e32 v[194:195], v[182:183], v[180:181]
	v_mul_f64_e32 v[166:167], v[6:7], v[166:167]
	ds_load_b128 v[180:183], v2 offset:1664
	v_fmac_f64_e32 v[188:189], v[174:175], v[156:157]
	v_fma_f64 v[156:157], v[172:173], v[156:157], -v[158:159]
	s_wait_loadcnt_dscnt 0x900
	v_mul_f64_e32 v[174:175], v[180:181], v[178:179]
	v_mul_f64_e32 v[178:179], v[182:183], v[178:179]
	v_add_f64_e32 v[172:173], v[184:185], v[190:191]
	v_fmac_f64_e32 v[186:187], v[6:7], v[164:165]
	v_add_f64_e32 v[158:159], v[194:195], v[192:193]
	v_fma_f64 v[164:165], v[4:5], v[164:165], -v[166:167]
	v_fmac_f64_e32 v[174:175], v[182:183], v[176:177]
	v_fma_f64 v[176:177], v[180:181], v[176:177], -v[178:179]
	v_add_f64_e32 v[172:173], v[172:173], v[188:189]
	v_add_f64_e32 v[166:167], v[158:159], v[156:157]
	ds_load_b128 v[4:7], v2 offset:1680
	ds_load_b128 v[156:159], v2 offset:1696
	s_wait_loadcnt_dscnt 0x801
	v_mul_f64_e32 v[184:185], v[4:5], v[162:163]
	v_mul_f64_e32 v[162:163], v[6:7], v[162:163]
	v_add_f64_e32 v[164:165], v[166:167], v[164:165]
	v_add_f64_e32 v[166:167], v[172:173], v[186:187]
	s_wait_loadcnt_dscnt 0x700
	v_mul_f64_e32 v[172:173], v[156:157], v[10:11]
	v_mul_f64_e32 v[10:11], v[158:159], v[10:11]
	v_fmac_f64_e32 v[184:185], v[6:7], v[160:161]
	v_fma_f64 v[178:179], v[4:5], v[160:161], -v[162:163]
	ds_load_b128 v[4:7], v2 offset:1712
	ds_load_b128 v[160:163], v2 offset:1728
	v_add_f64_e32 v[164:165], v[164:165], v[176:177]
	v_add_f64_e32 v[166:167], v[166:167], v[174:175]
	v_fmac_f64_e32 v[172:173], v[158:159], v[8:9]
	v_fma_f64 v[8:9], v[156:157], v[8:9], -v[10:11]
	s_wait_loadcnt_dscnt 0x601
	v_mul_f64_e32 v[174:175], v[4:5], v[130:131]
	v_mul_f64_e32 v[130:131], v[6:7], v[130:131]
	s_wait_loadcnt_dscnt 0x500
	v_mul_f64_e32 v[158:159], v[160:161], v[134:135]
	v_mul_f64_e32 v[134:135], v[162:163], v[134:135]
	v_add_f64_e32 v[10:11], v[164:165], v[178:179]
	v_add_f64_e32 v[156:157], v[166:167], v[184:185]
	v_fmac_f64_e32 v[174:175], v[6:7], v[128:129]
	v_fma_f64 v[128:129], v[4:5], v[128:129], -v[130:131]
	v_fmac_f64_e32 v[158:159], v[162:163], v[132:133]
	v_fma_f64 v[132:133], v[160:161], v[132:133], -v[134:135]
	v_add_f64_e32 v[130:131], v[10:11], v[8:9]
	v_add_f64_e32 v[156:157], v[156:157], v[172:173]
	ds_load_b128 v[4:7], v2 offset:1744
	ds_load_b128 v[8:11], v2 offset:1760
	s_wait_loadcnt_dscnt 0x401
	v_mul_f64_e32 v[164:165], v[4:5], v[138:139]
	v_mul_f64_e32 v[138:139], v[6:7], v[138:139]
	s_wait_loadcnt_dscnt 0x300
	v_mul_f64_e32 v[134:135], v[8:9], v[142:143]
	v_mul_f64_e32 v[142:143], v[10:11], v[142:143]
	v_add_f64_e32 v[128:129], v[130:131], v[128:129]
	v_add_f64_e32 v[130:131], v[156:157], v[174:175]
	v_fmac_f64_e32 v[164:165], v[6:7], v[136:137]
	v_fma_f64 v[136:137], v[4:5], v[136:137], -v[138:139]
	v_fmac_f64_e32 v[134:135], v[10:11], v[140:141]
	v_fma_f64 v[8:9], v[8:9], v[140:141], -v[142:143]
	v_add_f64_e32 v[132:133], v[128:129], v[132:133]
	v_add_f64_e32 v[138:139], v[130:131], v[158:159]
	ds_load_b128 v[4:7], v2 offset:1776
	ds_load_b128 v[128:131], v2 offset:1792
	s_wait_loadcnt_dscnt 0x201
	v_mul_f64_e32 v[156:157], v[4:5], v[146:147]
	v_mul_f64_e32 v[146:147], v[6:7], v[146:147]
	v_add_f64_e32 v[10:11], v[132:133], v[136:137]
	v_add_f64_e32 v[132:133], v[138:139], v[164:165]
	s_wait_loadcnt_dscnt 0x100
	v_mul_f64_e32 v[136:137], v[128:129], v[150:151]
	v_mul_f64_e32 v[138:139], v[130:131], v[150:151]
	v_fmac_f64_e32 v[156:157], v[6:7], v[144:145]
	v_fma_f64 v[140:141], v[4:5], v[144:145], -v[146:147]
	ds_load_b128 v[4:7], v2 offset:1808
	v_add_f64_e32 v[8:9], v[10:11], v[8:9]
	v_add_f64_e32 v[10:11], v[132:133], v[134:135]
	v_fmac_f64_e32 v[136:137], v[130:131], v[148:149]
	v_fma_f64 v[128:129], v[128:129], v[148:149], -v[138:139]
	s_wait_loadcnt_dscnt 0x0
	v_mul_f64_e32 v[132:133], v[4:5], v[154:155]
	v_mul_f64_e32 v[134:135], v[6:7], v[154:155]
	v_add_f64_e32 v[8:9], v[8:9], v[140:141]
	v_add_f64_e32 v[10:11], v[10:11], v[156:157]
	s_delay_alu instid0(VALU_DEP_4) | instskip(NEXT) | instid1(VALU_DEP_4)
	v_fmac_f64_e32 v[132:133], v[6:7], v[152:153]
	v_fma_f64 v[4:5], v[4:5], v[152:153], -v[134:135]
	s_delay_alu instid0(VALU_DEP_4) | instskip(NEXT) | instid1(VALU_DEP_4)
	v_add_f64_e32 v[6:7], v[8:9], v[128:129]
	v_add_f64_e32 v[8:9], v[10:11], v[136:137]
	s_delay_alu instid0(VALU_DEP_2) | instskip(NEXT) | instid1(VALU_DEP_2)
	v_add_f64_e32 v[4:5], v[6:7], v[4:5]
	v_add_f64_e32 v[6:7], v[8:9], v[132:133]
	s_delay_alu instid0(VALU_DEP_2) | instskip(NEXT) | instid1(VALU_DEP_2)
	v_add_f64_e64 v[4:5], v[168:169], -v[4:5]
	v_add_f64_e64 v[6:7], v[170:171], -v[6:7]
	scratch_store_b128 off, v[4:7], off offset:560
	s_wait_xcnt 0x0
	v_cmpx_lt_u32_e32 34, v1
	s_cbranch_execz .LBB120_287
; %bb.286:
	scratch_load_b128 v[6:9], off, s39
	v_dual_mov_b32 v3, v2 :: v_dual_mov_b32 v4, v2
	v_mov_b32_e32 v5, v2
	scratch_store_b128 off, v[2:5], off offset:544
	s_wait_loadcnt 0x0
	ds_store_b128 v12, v[6:9]
.LBB120_287:
	s_wait_xcnt 0x0
	s_or_b32 exec_lo, exec_lo, s2
	s_wait_storecnt_dscnt 0x0
	s_barrier_signal -1
	s_barrier_wait -1
	s_clause 0x9
	scratch_load_b128 v[4:7], off, off offset:560
	scratch_load_b128 v[8:11], off, off offset:576
	;; [unrolled: 1-line block ×10, first 2 shown]
	ds_load_b128 v[160:163], v2 offset:1472
	ds_load_b128 v[168:171], v2 offset:1488
	s_clause 0x2
	scratch_load_b128 v[164:167], off, off offset:720
	scratch_load_b128 v[172:175], off, off offset:544
	;; [unrolled: 1-line block ×3, first 2 shown]
	s_mov_b32 s2, exec_lo
	s_wait_loadcnt_dscnt 0xc01
	v_mul_f64_e32 v[180:181], v[162:163], v[6:7]
	v_mul_f64_e32 v[184:185], v[160:161], v[6:7]
	s_wait_loadcnt_dscnt 0xb00
	v_mul_f64_e32 v[186:187], v[168:169], v[10:11]
	v_mul_f64_e32 v[10:11], v[170:171], v[10:11]
	s_delay_alu instid0(VALU_DEP_4) | instskip(NEXT) | instid1(VALU_DEP_4)
	v_fma_f64 v[188:189], v[160:161], v[4:5], -v[180:181]
	v_fmac_f64_e32 v[184:185], v[162:163], v[4:5]
	ds_load_b128 v[4:7], v2 offset:1504
	ds_load_b128 v[160:163], v2 offset:1520
	scratch_load_b128 v[180:183], off, off offset:752
	v_fmac_f64_e32 v[186:187], v[170:171], v[8:9]
	v_fma_f64 v[168:169], v[168:169], v[8:9], -v[10:11]
	scratch_load_b128 v[8:11], off, off offset:768
	s_wait_loadcnt_dscnt 0xc01
	v_mul_f64_e32 v[190:191], v[4:5], v[130:131]
	v_mul_f64_e32 v[130:131], v[6:7], v[130:131]
	v_add_f64_e32 v[170:171], 0, v[188:189]
	v_add_f64_e32 v[184:185], 0, v[184:185]
	s_wait_loadcnt_dscnt 0xb00
	v_mul_f64_e32 v[188:189], v[160:161], v[134:135]
	v_mul_f64_e32 v[134:135], v[162:163], v[134:135]
	v_fmac_f64_e32 v[190:191], v[6:7], v[128:129]
	v_fma_f64 v[192:193], v[4:5], v[128:129], -v[130:131]
	ds_load_b128 v[4:7], v2 offset:1536
	ds_load_b128 v[128:131], v2 offset:1552
	v_add_f64_e32 v[194:195], v[170:171], v[168:169]
	v_add_f64_e32 v[184:185], v[184:185], v[186:187]
	scratch_load_b128 v[168:171], off, off offset:784
	v_fmac_f64_e32 v[188:189], v[162:163], v[132:133]
	v_fma_f64 v[160:161], v[160:161], v[132:133], -v[134:135]
	scratch_load_b128 v[132:135], off, off offset:800
	s_wait_loadcnt_dscnt 0xc01
	v_mul_f64_e32 v[186:187], v[4:5], v[138:139]
	v_mul_f64_e32 v[138:139], v[6:7], v[138:139]
	v_add_f64_e32 v[162:163], v[194:195], v[192:193]
	v_add_f64_e32 v[184:185], v[184:185], v[190:191]
	s_wait_loadcnt_dscnt 0xb00
	v_mul_f64_e32 v[190:191], v[128:129], v[142:143]
	v_mul_f64_e32 v[142:143], v[130:131], v[142:143]
	v_fmac_f64_e32 v[186:187], v[6:7], v[136:137]
	v_fma_f64 v[192:193], v[4:5], v[136:137], -v[138:139]
	ds_load_b128 v[4:7], v2 offset:1568
	ds_load_b128 v[136:139], v2 offset:1584
	v_add_f64_e32 v[194:195], v[162:163], v[160:161]
	v_add_f64_e32 v[184:185], v[184:185], v[188:189]
	scratch_load_b128 v[160:163], off, off offset:816
	s_wait_loadcnt_dscnt 0xb01
	v_mul_f64_e32 v[188:189], v[4:5], v[146:147]
	v_mul_f64_e32 v[146:147], v[6:7], v[146:147]
	v_fmac_f64_e32 v[190:191], v[130:131], v[140:141]
	v_fma_f64 v[140:141], v[128:129], v[140:141], -v[142:143]
	scratch_load_b128 v[128:131], off, off offset:832
	v_add_f64_e32 v[142:143], v[194:195], v[192:193]
	v_add_f64_e32 v[184:185], v[184:185], v[186:187]
	s_wait_loadcnt_dscnt 0xb00
	v_mul_f64_e32 v[186:187], v[136:137], v[150:151]
	v_mul_f64_e32 v[150:151], v[138:139], v[150:151]
	v_fmac_f64_e32 v[188:189], v[6:7], v[144:145]
	v_fma_f64 v[192:193], v[4:5], v[144:145], -v[146:147]
	v_add_f64_e32 v[194:195], v[142:143], v[140:141]
	v_add_f64_e32 v[184:185], v[184:185], v[190:191]
	ds_load_b128 v[4:7], v2 offset:1600
	ds_load_b128 v[140:143], v2 offset:1616
	scratch_load_b128 v[144:147], off, off offset:848
	v_fmac_f64_e32 v[186:187], v[138:139], v[148:149]
	v_fma_f64 v[148:149], v[136:137], v[148:149], -v[150:151]
	scratch_load_b128 v[136:139], off, off offset:864
	s_wait_loadcnt_dscnt 0xc01
	v_mul_f64_e32 v[190:191], v[4:5], v[154:155]
	v_mul_f64_e32 v[154:155], v[6:7], v[154:155]
	v_add_f64_e32 v[150:151], v[194:195], v[192:193]
	v_add_f64_e32 v[184:185], v[184:185], v[188:189]
	s_wait_loadcnt_dscnt 0xb00
	v_mul_f64_e32 v[188:189], v[140:141], v[158:159]
	v_mul_f64_e32 v[158:159], v[142:143], v[158:159]
	v_fmac_f64_e32 v[190:191], v[6:7], v[152:153]
	v_fma_f64 v[192:193], v[4:5], v[152:153], -v[154:155]
	v_add_f64_e32 v[194:195], v[150:151], v[148:149]
	v_add_f64_e32 v[184:185], v[184:185], v[186:187]
	ds_load_b128 v[4:7], v2 offset:1632
	ds_load_b128 v[148:151], v2 offset:1648
	scratch_load_b128 v[152:155], off, off offset:880
	v_fmac_f64_e32 v[188:189], v[142:143], v[156:157]
	v_fma_f64 v[156:157], v[140:141], v[156:157], -v[158:159]
	scratch_load_b128 v[140:143], off, off offset:896
	s_wait_loadcnt_dscnt 0xc01
	v_mul_f64_e32 v[186:187], v[4:5], v[166:167]
	v_mul_f64_e32 v[166:167], v[6:7], v[166:167]
	v_add_f64_e32 v[158:159], v[194:195], v[192:193]
	v_add_f64_e32 v[184:185], v[184:185], v[190:191]
	s_wait_loadcnt_dscnt 0xa00
	v_mul_f64_e32 v[190:191], v[148:149], v[178:179]
	v_mul_f64_e32 v[178:179], v[150:151], v[178:179]
	v_fmac_f64_e32 v[186:187], v[6:7], v[164:165]
	v_fma_f64 v[164:165], v[4:5], v[164:165], -v[166:167]
	v_add_f64_e32 v[166:167], v[158:159], v[156:157]
	v_add_f64_e32 v[184:185], v[184:185], v[188:189]
	ds_load_b128 v[4:7], v2 offset:1664
	ds_load_b128 v[156:159], v2 offset:1680
	v_fmac_f64_e32 v[190:191], v[150:151], v[176:177]
	v_fma_f64 v[148:149], v[148:149], v[176:177], -v[178:179]
	s_wait_loadcnt_dscnt 0x901
	v_mul_f64_e32 v[188:189], v[4:5], v[182:183]
	v_mul_f64_e32 v[182:183], v[6:7], v[182:183]
	v_add_f64_e32 v[150:151], v[166:167], v[164:165]
	v_add_f64_e32 v[164:165], v[184:185], v[186:187]
	s_wait_loadcnt_dscnt 0x800
	v_mul_f64_e32 v[166:167], v[156:157], v[10:11]
	v_mul_f64_e32 v[10:11], v[158:159], v[10:11]
	v_fmac_f64_e32 v[188:189], v[6:7], v[180:181]
	v_fma_f64 v[176:177], v[4:5], v[180:181], -v[182:183]
	v_add_f64_e32 v[178:179], v[150:151], v[148:149]
	v_add_f64_e32 v[164:165], v[164:165], v[190:191]
	ds_load_b128 v[4:7], v2 offset:1696
	ds_load_b128 v[148:151], v2 offset:1712
	v_fmac_f64_e32 v[166:167], v[158:159], v[8:9]
	v_fma_f64 v[8:9], v[156:157], v[8:9], -v[10:11]
	s_wait_loadcnt_dscnt 0x701
	v_mul_f64_e32 v[180:181], v[4:5], v[170:171]
	v_mul_f64_e32 v[170:171], v[6:7], v[170:171]
	s_wait_loadcnt_dscnt 0x600
	v_mul_f64_e32 v[158:159], v[148:149], v[134:135]
	v_mul_f64_e32 v[134:135], v[150:151], v[134:135]
	v_add_f64_e32 v[10:11], v[178:179], v[176:177]
	v_add_f64_e32 v[156:157], v[164:165], v[188:189]
	v_fmac_f64_e32 v[180:181], v[6:7], v[168:169]
	v_fma_f64 v[164:165], v[4:5], v[168:169], -v[170:171]
	v_fmac_f64_e32 v[158:159], v[150:151], v[132:133]
	v_fma_f64 v[132:133], v[148:149], v[132:133], -v[134:135]
	v_add_f64_e32 v[168:169], v[10:11], v[8:9]
	v_add_f64_e32 v[156:157], v[156:157], v[166:167]
	ds_load_b128 v[4:7], v2 offset:1728
	ds_load_b128 v[8:11], v2 offset:1744
	s_wait_loadcnt_dscnt 0x501
	v_mul_f64_e32 v[166:167], v[4:5], v[162:163]
	v_mul_f64_e32 v[162:163], v[6:7], v[162:163]
	s_wait_loadcnt_dscnt 0x400
	v_mul_f64_e32 v[150:151], v[8:9], v[130:131]
	v_add_f64_e32 v[134:135], v[168:169], v[164:165]
	v_add_f64_e32 v[148:149], v[156:157], v[180:181]
	v_mul_f64_e32 v[156:157], v[10:11], v[130:131]
	v_fmac_f64_e32 v[166:167], v[6:7], v[160:161]
	v_fma_f64 v[160:161], v[4:5], v[160:161], -v[162:163]
	v_fmac_f64_e32 v[150:151], v[10:11], v[128:129]
	v_add_f64_e32 v[134:135], v[134:135], v[132:133]
	v_add_f64_e32 v[148:149], v[148:149], v[158:159]
	ds_load_b128 v[4:7], v2 offset:1760
	ds_load_b128 v[130:133], v2 offset:1776
	v_fma_f64 v[8:9], v[8:9], v[128:129], -v[156:157]
	s_wait_loadcnt_dscnt 0x301
	v_mul_f64_e32 v[158:159], v[4:5], v[146:147]
	v_mul_f64_e32 v[146:147], v[6:7], v[146:147]
	v_add_f64_e32 v[10:11], v[134:135], v[160:161]
	v_add_f64_e32 v[128:129], v[148:149], v[166:167]
	s_wait_loadcnt_dscnt 0x200
	v_mul_f64_e32 v[134:135], v[130:131], v[138:139]
	v_mul_f64_e32 v[138:139], v[132:133], v[138:139]
	v_fmac_f64_e32 v[158:159], v[6:7], v[144:145]
	v_fma_f64 v[144:145], v[4:5], v[144:145], -v[146:147]
	v_add_f64_e32 v[146:147], v[10:11], v[8:9]
	v_add_f64_e32 v[128:129], v[128:129], v[150:151]
	ds_load_b128 v[4:7], v2 offset:1792
	ds_load_b128 v[8:11], v2 offset:1808
	v_fmac_f64_e32 v[134:135], v[132:133], v[136:137]
	v_fma_f64 v[130:131], v[130:131], v[136:137], -v[138:139]
	s_wait_loadcnt_dscnt 0x101
	v_mul_f64_e32 v[2:3], v[4:5], v[154:155]
	v_mul_f64_e32 v[148:149], v[6:7], v[154:155]
	s_wait_loadcnt_dscnt 0x0
	v_mul_f64_e32 v[136:137], v[8:9], v[142:143]
	v_mul_f64_e32 v[138:139], v[10:11], v[142:143]
	v_add_f64_e32 v[132:133], v[146:147], v[144:145]
	v_add_f64_e32 v[128:129], v[128:129], v[158:159]
	v_fmac_f64_e32 v[2:3], v[6:7], v[152:153]
	v_fma_f64 v[4:5], v[4:5], v[152:153], -v[148:149]
	v_fmac_f64_e32 v[136:137], v[10:11], v[140:141]
	v_fma_f64 v[8:9], v[8:9], v[140:141], -v[138:139]
	v_add_f64_e32 v[6:7], v[132:133], v[130:131]
	v_add_f64_e32 v[128:129], v[128:129], v[134:135]
	s_delay_alu instid0(VALU_DEP_2) | instskip(NEXT) | instid1(VALU_DEP_2)
	v_add_f64_e32 v[4:5], v[6:7], v[4:5]
	v_add_f64_e32 v[2:3], v[128:129], v[2:3]
	s_delay_alu instid0(VALU_DEP_2) | instskip(NEXT) | instid1(VALU_DEP_2)
	;; [unrolled: 3-line block ×3, first 2 shown]
	v_add_f64_e64 v[2:3], v[172:173], -v[4:5]
	v_add_f64_e64 v[4:5], v[174:175], -v[6:7]
	scratch_store_b128 off, v[2:5], off offset:544
	s_wait_xcnt 0x0
	v_cmpx_lt_u32_e32 33, v1
	s_cbranch_execz .LBB120_289
; %bb.288:
	scratch_load_b128 v[2:5], off, s40
	v_mov_b32_e32 v6, 0
	s_delay_alu instid0(VALU_DEP_1)
	v_dual_mov_b32 v7, v6 :: v_dual_mov_b32 v8, v6
	v_mov_b32_e32 v9, v6
	scratch_store_b128 off, v[6:9], off offset:528
	s_wait_loadcnt 0x0
	ds_store_b128 v12, v[2:5]
.LBB120_289:
	s_wait_xcnt 0x0
	s_or_b32 exec_lo, exec_lo, s2
	s_wait_storecnt_dscnt 0x0
	s_barrier_signal -1
	s_barrier_wait -1
	s_clause 0x9
	scratch_load_b128 v[4:7], off, off offset:544
	scratch_load_b128 v[8:11], off, off offset:560
	;; [unrolled: 1-line block ×10, first 2 shown]
	v_mov_b32_e32 v2, 0
	s_mov_b32 s2, exec_lo
	ds_load_b128 v[160:163], v2 offset:1456
	s_clause 0x2
	scratch_load_b128 v[164:167], off, off offset:704
	scratch_load_b128 v[168:171], off, off offset:528
	;; [unrolled: 1-line block ×3, first 2 shown]
	s_wait_loadcnt_dscnt 0xc00
	v_mul_f64_e32 v[180:181], v[162:163], v[6:7]
	v_mul_f64_e32 v[184:185], v[160:161], v[6:7]
	ds_load_b128 v[172:175], v2 offset:1472
	v_fma_f64 v[188:189], v[160:161], v[4:5], -v[180:181]
	v_fmac_f64_e32 v[184:185], v[162:163], v[4:5]
	ds_load_b128 v[4:7], v2 offset:1488
	s_wait_loadcnt_dscnt 0xb01
	v_mul_f64_e32 v[186:187], v[172:173], v[10:11]
	v_mul_f64_e32 v[10:11], v[174:175], v[10:11]
	scratch_load_b128 v[160:163], off, off offset:736
	ds_load_b128 v[180:183], v2 offset:1504
	s_wait_loadcnt_dscnt 0xb01
	v_mul_f64_e32 v[190:191], v[4:5], v[130:131]
	v_mul_f64_e32 v[130:131], v[6:7], v[130:131]
	v_add_f64_e32 v[184:185], 0, v[184:185]
	v_fmac_f64_e32 v[186:187], v[174:175], v[8:9]
	v_fma_f64 v[172:173], v[172:173], v[8:9], -v[10:11]
	v_add_f64_e32 v[174:175], 0, v[188:189]
	scratch_load_b128 v[8:11], off, off offset:752
	v_fmac_f64_e32 v[190:191], v[6:7], v[128:129]
	v_fma_f64 v[192:193], v[4:5], v[128:129], -v[130:131]
	ds_load_b128 v[4:7], v2 offset:1520
	s_wait_loadcnt_dscnt 0xb01
	v_mul_f64_e32 v[188:189], v[180:181], v[134:135]
	v_mul_f64_e32 v[134:135], v[182:183], v[134:135]
	scratch_load_b128 v[128:131], off, off offset:768
	v_add_f64_e32 v[184:185], v[184:185], v[186:187]
	v_add_f64_e32 v[194:195], v[174:175], v[172:173]
	ds_load_b128 v[172:175], v2 offset:1536
	s_wait_loadcnt_dscnt 0xb01
	v_mul_f64_e32 v[186:187], v[4:5], v[138:139]
	v_mul_f64_e32 v[138:139], v[6:7], v[138:139]
	v_fmac_f64_e32 v[188:189], v[182:183], v[132:133]
	v_fma_f64 v[180:181], v[180:181], v[132:133], -v[134:135]
	scratch_load_b128 v[132:135], off, off offset:784
	v_add_f64_e32 v[184:185], v[184:185], v[190:191]
	v_add_f64_e32 v[182:183], v[194:195], v[192:193]
	v_fmac_f64_e32 v[186:187], v[6:7], v[136:137]
	v_fma_f64 v[192:193], v[4:5], v[136:137], -v[138:139]
	ds_load_b128 v[4:7], v2 offset:1552
	s_wait_loadcnt_dscnt 0xb01
	v_mul_f64_e32 v[190:191], v[172:173], v[142:143]
	v_mul_f64_e32 v[142:143], v[174:175], v[142:143]
	scratch_load_b128 v[136:139], off, off offset:800
	v_add_f64_e32 v[184:185], v[184:185], v[188:189]
	s_wait_loadcnt_dscnt 0xb00
	v_mul_f64_e32 v[188:189], v[4:5], v[146:147]
	v_add_f64_e32 v[194:195], v[182:183], v[180:181]
	v_mul_f64_e32 v[146:147], v[6:7], v[146:147]
	ds_load_b128 v[180:183], v2 offset:1568
	v_fmac_f64_e32 v[190:191], v[174:175], v[140:141]
	v_fma_f64 v[172:173], v[172:173], v[140:141], -v[142:143]
	scratch_load_b128 v[140:143], off, off offset:816
	v_add_f64_e32 v[184:185], v[184:185], v[186:187]
	v_fmac_f64_e32 v[188:189], v[6:7], v[144:145]
	v_add_f64_e32 v[174:175], v[194:195], v[192:193]
	v_fma_f64 v[192:193], v[4:5], v[144:145], -v[146:147]
	ds_load_b128 v[4:7], v2 offset:1584
	s_wait_loadcnt_dscnt 0xb01
	v_mul_f64_e32 v[186:187], v[180:181], v[150:151]
	v_mul_f64_e32 v[150:151], v[182:183], v[150:151]
	scratch_load_b128 v[144:147], off, off offset:832
	v_add_f64_e32 v[184:185], v[184:185], v[190:191]
	s_wait_loadcnt_dscnt 0xb00
	v_mul_f64_e32 v[190:191], v[4:5], v[154:155]
	v_add_f64_e32 v[194:195], v[174:175], v[172:173]
	v_mul_f64_e32 v[154:155], v[6:7], v[154:155]
	ds_load_b128 v[172:175], v2 offset:1600
	v_fmac_f64_e32 v[186:187], v[182:183], v[148:149]
	v_fma_f64 v[180:181], v[180:181], v[148:149], -v[150:151]
	scratch_load_b128 v[148:151], off, off offset:848
	v_add_f64_e32 v[184:185], v[184:185], v[188:189]
	v_fmac_f64_e32 v[190:191], v[6:7], v[152:153]
	v_add_f64_e32 v[182:183], v[194:195], v[192:193]
	;; [unrolled: 18-line block ×3, first 2 shown]
	v_fma_f64 v[192:193], v[4:5], v[164:165], -v[166:167]
	ds_load_b128 v[4:7], v2 offset:1648
	s_wait_loadcnt_dscnt 0xa01
	v_mul_f64_e32 v[190:191], v[180:181], v[178:179]
	v_mul_f64_e32 v[178:179], v[182:183], v[178:179]
	scratch_load_b128 v[164:167], off, off offset:896
	v_add_f64_e32 v[184:185], v[184:185], v[188:189]
	v_add_f64_e32 v[194:195], v[174:175], v[172:173]
	s_wait_loadcnt_dscnt 0xa00
	v_mul_f64_e32 v[188:189], v[4:5], v[162:163]
	v_mul_f64_e32 v[162:163], v[6:7], v[162:163]
	v_fmac_f64_e32 v[190:191], v[182:183], v[176:177]
	v_fma_f64 v[176:177], v[180:181], v[176:177], -v[178:179]
	ds_load_b128 v[172:175], v2 offset:1664
	v_add_f64_e32 v[180:181], v[184:185], v[186:187]
	v_add_f64_e32 v[178:179], v[194:195], v[192:193]
	s_wait_loadcnt_dscnt 0x900
	v_mul_f64_e32 v[182:183], v[172:173], v[10:11]
	v_mul_f64_e32 v[10:11], v[174:175], v[10:11]
	v_fmac_f64_e32 v[188:189], v[6:7], v[160:161]
	v_fma_f64 v[184:185], v[4:5], v[160:161], -v[162:163]
	ds_load_b128 v[4:7], v2 offset:1680
	ds_load_b128 v[160:163], v2 offset:1696
	v_add_f64_e32 v[176:177], v[178:179], v[176:177]
	v_add_f64_e32 v[178:179], v[180:181], v[190:191]
	s_wait_loadcnt_dscnt 0x801
	v_mul_f64_e32 v[180:181], v[4:5], v[130:131]
	v_mul_f64_e32 v[130:131], v[6:7], v[130:131]
	v_fmac_f64_e32 v[182:183], v[174:175], v[8:9]
	v_fma_f64 v[8:9], v[172:173], v[8:9], -v[10:11]
	s_wait_loadcnt_dscnt 0x700
	v_mul_f64_e32 v[174:175], v[160:161], v[134:135]
	v_mul_f64_e32 v[134:135], v[162:163], v[134:135]
	v_add_f64_e32 v[10:11], v[176:177], v[184:185]
	v_add_f64_e32 v[172:173], v[178:179], v[188:189]
	v_fmac_f64_e32 v[180:181], v[6:7], v[128:129]
	v_fma_f64 v[128:129], v[4:5], v[128:129], -v[130:131]
	v_fmac_f64_e32 v[174:175], v[162:163], v[132:133]
	v_fma_f64 v[132:133], v[160:161], v[132:133], -v[134:135]
	v_add_f64_e32 v[130:131], v[10:11], v[8:9]
	v_add_f64_e32 v[172:173], v[172:173], v[182:183]
	ds_load_b128 v[4:7], v2 offset:1712
	ds_load_b128 v[8:11], v2 offset:1728
	s_wait_loadcnt_dscnt 0x601
	v_mul_f64_e32 v[176:177], v[4:5], v[138:139]
	v_mul_f64_e32 v[138:139], v[6:7], v[138:139]
	s_wait_loadcnt_dscnt 0x500
	v_mul_f64_e32 v[134:135], v[8:9], v[142:143]
	v_mul_f64_e32 v[142:143], v[10:11], v[142:143]
	v_add_f64_e32 v[128:129], v[130:131], v[128:129]
	v_add_f64_e32 v[130:131], v[172:173], v[180:181]
	v_fmac_f64_e32 v[176:177], v[6:7], v[136:137]
	v_fma_f64 v[136:137], v[4:5], v[136:137], -v[138:139]
	v_fmac_f64_e32 v[134:135], v[10:11], v[140:141]
	v_fma_f64 v[8:9], v[8:9], v[140:141], -v[142:143]
	v_add_f64_e32 v[132:133], v[128:129], v[132:133]
	v_add_f64_e32 v[138:139], v[130:131], v[174:175]
	ds_load_b128 v[4:7], v2 offset:1744
	ds_load_b128 v[128:131], v2 offset:1760
	s_wait_loadcnt_dscnt 0x401
	v_mul_f64_e32 v[160:161], v[4:5], v[146:147]
	v_mul_f64_e32 v[146:147], v[6:7], v[146:147]
	v_add_f64_e32 v[10:11], v[132:133], v[136:137]
	v_add_f64_e32 v[132:133], v[138:139], v[176:177]
	s_wait_loadcnt_dscnt 0x300
	v_mul_f64_e32 v[136:137], v[128:129], v[150:151]
	v_mul_f64_e32 v[138:139], v[130:131], v[150:151]
	v_fmac_f64_e32 v[160:161], v[6:7], v[144:145]
	v_fma_f64 v[140:141], v[4:5], v[144:145], -v[146:147]
	v_add_f64_e32 v[142:143], v[10:11], v[8:9]
	v_add_f64_e32 v[132:133], v[132:133], v[134:135]
	ds_load_b128 v[4:7], v2 offset:1776
	ds_load_b128 v[8:11], v2 offset:1792
	v_fmac_f64_e32 v[136:137], v[130:131], v[148:149]
	v_fma_f64 v[128:129], v[128:129], v[148:149], -v[138:139]
	s_wait_loadcnt_dscnt 0x201
	v_mul_f64_e32 v[134:135], v[4:5], v[154:155]
	v_mul_f64_e32 v[144:145], v[6:7], v[154:155]
	s_wait_loadcnt_dscnt 0x100
	v_mul_f64_e32 v[138:139], v[8:9], v[158:159]
	v_add_f64_e32 v[130:131], v[142:143], v[140:141]
	v_add_f64_e32 v[132:133], v[132:133], v[160:161]
	v_mul_f64_e32 v[140:141], v[10:11], v[158:159]
	v_fmac_f64_e32 v[134:135], v[6:7], v[152:153]
	v_fma_f64 v[142:143], v[4:5], v[152:153], -v[144:145]
	ds_load_b128 v[4:7], v2 offset:1808
	v_fmac_f64_e32 v[138:139], v[10:11], v[156:157]
	v_add_f64_e32 v[128:129], v[130:131], v[128:129]
	v_add_f64_e32 v[130:131], v[132:133], v[136:137]
	v_fma_f64 v[8:9], v[8:9], v[156:157], -v[140:141]
	s_wait_loadcnt_dscnt 0x0
	v_mul_f64_e32 v[132:133], v[4:5], v[166:167]
	v_mul_f64_e32 v[136:137], v[6:7], v[166:167]
	v_add_f64_e32 v[10:11], v[128:129], v[142:143]
	v_add_f64_e32 v[128:129], v[130:131], v[134:135]
	s_delay_alu instid0(VALU_DEP_4) | instskip(NEXT) | instid1(VALU_DEP_4)
	v_fmac_f64_e32 v[132:133], v[6:7], v[164:165]
	v_fma_f64 v[4:5], v[4:5], v[164:165], -v[136:137]
	s_delay_alu instid0(VALU_DEP_4) | instskip(NEXT) | instid1(VALU_DEP_4)
	v_add_f64_e32 v[6:7], v[10:11], v[8:9]
	v_add_f64_e32 v[8:9], v[128:129], v[138:139]
	s_delay_alu instid0(VALU_DEP_2) | instskip(NEXT) | instid1(VALU_DEP_2)
	v_add_f64_e32 v[4:5], v[6:7], v[4:5]
	v_add_f64_e32 v[6:7], v[8:9], v[132:133]
	s_delay_alu instid0(VALU_DEP_2) | instskip(NEXT) | instid1(VALU_DEP_2)
	v_add_f64_e64 v[4:5], v[168:169], -v[4:5]
	v_add_f64_e64 v[6:7], v[170:171], -v[6:7]
	scratch_store_b128 off, v[4:7], off offset:528
	s_wait_xcnt 0x0
	v_cmpx_lt_u32_e32 32, v1
	s_cbranch_execz .LBB120_291
; %bb.290:
	scratch_load_b128 v[6:9], off, s41
	v_dual_mov_b32 v3, v2 :: v_dual_mov_b32 v4, v2
	v_mov_b32_e32 v5, v2
	scratch_store_b128 off, v[2:5], off offset:512
	s_wait_loadcnt 0x0
	ds_store_b128 v12, v[6:9]
.LBB120_291:
	s_wait_xcnt 0x0
	s_or_b32 exec_lo, exec_lo, s2
	s_wait_storecnt_dscnt 0x0
	s_barrier_signal -1
	s_barrier_wait -1
	s_clause 0x9
	scratch_load_b128 v[4:7], off, off offset:528
	scratch_load_b128 v[8:11], off, off offset:544
	;; [unrolled: 1-line block ×10, first 2 shown]
	ds_load_b128 v[160:163], v2 offset:1440
	ds_load_b128 v[168:171], v2 offset:1456
	s_clause 0x2
	scratch_load_b128 v[164:167], off, off offset:688
	scratch_load_b128 v[172:175], off, off offset:512
	scratch_load_b128 v[176:179], off, off offset:704
	s_mov_b32 s2, exec_lo
	s_wait_loadcnt_dscnt 0xc01
	v_mul_f64_e32 v[180:181], v[162:163], v[6:7]
	v_mul_f64_e32 v[184:185], v[160:161], v[6:7]
	s_wait_loadcnt_dscnt 0xb00
	v_mul_f64_e32 v[186:187], v[168:169], v[10:11]
	v_mul_f64_e32 v[10:11], v[170:171], v[10:11]
	s_delay_alu instid0(VALU_DEP_4) | instskip(NEXT) | instid1(VALU_DEP_4)
	v_fma_f64 v[188:189], v[160:161], v[4:5], -v[180:181]
	v_fmac_f64_e32 v[184:185], v[162:163], v[4:5]
	ds_load_b128 v[4:7], v2 offset:1472
	ds_load_b128 v[160:163], v2 offset:1488
	scratch_load_b128 v[180:183], off, off offset:720
	v_fmac_f64_e32 v[186:187], v[170:171], v[8:9]
	v_fma_f64 v[168:169], v[168:169], v[8:9], -v[10:11]
	scratch_load_b128 v[8:11], off, off offset:736
	s_wait_loadcnt_dscnt 0xc01
	v_mul_f64_e32 v[190:191], v[4:5], v[130:131]
	v_mul_f64_e32 v[130:131], v[6:7], v[130:131]
	v_add_f64_e32 v[170:171], 0, v[188:189]
	v_add_f64_e32 v[184:185], 0, v[184:185]
	s_wait_loadcnt_dscnt 0xb00
	v_mul_f64_e32 v[188:189], v[160:161], v[134:135]
	v_mul_f64_e32 v[134:135], v[162:163], v[134:135]
	v_fmac_f64_e32 v[190:191], v[6:7], v[128:129]
	v_fma_f64 v[192:193], v[4:5], v[128:129], -v[130:131]
	ds_load_b128 v[4:7], v2 offset:1504
	ds_load_b128 v[128:131], v2 offset:1520
	v_add_f64_e32 v[194:195], v[170:171], v[168:169]
	v_add_f64_e32 v[184:185], v[184:185], v[186:187]
	scratch_load_b128 v[168:171], off, off offset:752
	v_fmac_f64_e32 v[188:189], v[162:163], v[132:133]
	v_fma_f64 v[160:161], v[160:161], v[132:133], -v[134:135]
	scratch_load_b128 v[132:135], off, off offset:768
	s_wait_loadcnt_dscnt 0xc01
	v_mul_f64_e32 v[186:187], v[4:5], v[138:139]
	v_mul_f64_e32 v[138:139], v[6:7], v[138:139]
	v_add_f64_e32 v[162:163], v[194:195], v[192:193]
	v_add_f64_e32 v[184:185], v[184:185], v[190:191]
	s_wait_loadcnt_dscnt 0xb00
	v_mul_f64_e32 v[190:191], v[128:129], v[142:143]
	v_mul_f64_e32 v[142:143], v[130:131], v[142:143]
	v_fmac_f64_e32 v[186:187], v[6:7], v[136:137]
	v_fma_f64 v[192:193], v[4:5], v[136:137], -v[138:139]
	ds_load_b128 v[4:7], v2 offset:1536
	ds_load_b128 v[136:139], v2 offset:1552
	v_add_f64_e32 v[194:195], v[162:163], v[160:161]
	v_add_f64_e32 v[184:185], v[184:185], v[188:189]
	scratch_load_b128 v[160:163], off, off offset:784
	s_wait_loadcnt_dscnt 0xb01
	v_mul_f64_e32 v[188:189], v[4:5], v[146:147]
	v_mul_f64_e32 v[146:147], v[6:7], v[146:147]
	v_fmac_f64_e32 v[190:191], v[130:131], v[140:141]
	v_fma_f64 v[140:141], v[128:129], v[140:141], -v[142:143]
	scratch_load_b128 v[128:131], off, off offset:800
	v_add_f64_e32 v[142:143], v[194:195], v[192:193]
	v_add_f64_e32 v[184:185], v[184:185], v[186:187]
	s_wait_loadcnt_dscnt 0xb00
	v_mul_f64_e32 v[186:187], v[136:137], v[150:151]
	v_mul_f64_e32 v[150:151], v[138:139], v[150:151]
	v_fmac_f64_e32 v[188:189], v[6:7], v[144:145]
	v_fma_f64 v[192:193], v[4:5], v[144:145], -v[146:147]
	v_add_f64_e32 v[194:195], v[142:143], v[140:141]
	v_add_f64_e32 v[184:185], v[184:185], v[190:191]
	ds_load_b128 v[4:7], v2 offset:1568
	ds_load_b128 v[140:143], v2 offset:1584
	scratch_load_b128 v[144:147], off, off offset:816
	v_fmac_f64_e32 v[186:187], v[138:139], v[148:149]
	v_fma_f64 v[148:149], v[136:137], v[148:149], -v[150:151]
	scratch_load_b128 v[136:139], off, off offset:832
	s_wait_loadcnt_dscnt 0xc01
	v_mul_f64_e32 v[190:191], v[4:5], v[154:155]
	v_mul_f64_e32 v[154:155], v[6:7], v[154:155]
	v_add_f64_e32 v[150:151], v[194:195], v[192:193]
	v_add_f64_e32 v[184:185], v[184:185], v[188:189]
	s_wait_loadcnt_dscnt 0xb00
	v_mul_f64_e32 v[188:189], v[140:141], v[158:159]
	v_mul_f64_e32 v[158:159], v[142:143], v[158:159]
	v_fmac_f64_e32 v[190:191], v[6:7], v[152:153]
	v_fma_f64 v[192:193], v[4:5], v[152:153], -v[154:155]
	v_add_f64_e32 v[194:195], v[150:151], v[148:149]
	v_add_f64_e32 v[184:185], v[184:185], v[186:187]
	ds_load_b128 v[4:7], v2 offset:1600
	ds_load_b128 v[148:151], v2 offset:1616
	scratch_load_b128 v[152:155], off, off offset:848
	v_fmac_f64_e32 v[188:189], v[142:143], v[156:157]
	v_fma_f64 v[156:157], v[140:141], v[156:157], -v[158:159]
	scratch_load_b128 v[140:143], off, off offset:864
	s_wait_loadcnt_dscnt 0xc01
	v_mul_f64_e32 v[186:187], v[4:5], v[166:167]
	v_mul_f64_e32 v[166:167], v[6:7], v[166:167]
	;; [unrolled: 18-line block ×3, first 2 shown]
	v_add_f64_e32 v[178:179], v[194:195], v[192:193]
	v_add_f64_e32 v[184:185], v[184:185], v[186:187]
	s_wait_loadcnt_dscnt 0xa00
	v_mul_f64_e32 v[186:187], v[156:157], v[10:11]
	v_mul_f64_e32 v[10:11], v[158:159], v[10:11]
	v_fmac_f64_e32 v[188:189], v[6:7], v[180:181]
	v_fma_f64 v[180:181], v[4:5], v[180:181], -v[182:183]
	v_add_f64_e32 v[182:183], v[178:179], v[176:177]
	v_add_f64_e32 v[184:185], v[184:185], v[190:191]
	ds_load_b128 v[4:7], v2 offset:1664
	ds_load_b128 v[176:179], v2 offset:1680
	v_fmac_f64_e32 v[186:187], v[158:159], v[8:9]
	v_fma_f64 v[8:9], v[156:157], v[8:9], -v[10:11]
	s_wait_loadcnt_dscnt 0x901
	v_mul_f64_e32 v[190:191], v[4:5], v[170:171]
	v_mul_f64_e32 v[170:171], v[6:7], v[170:171]
	s_wait_loadcnt_dscnt 0x800
	v_mul_f64_e32 v[158:159], v[176:177], v[134:135]
	v_mul_f64_e32 v[134:135], v[178:179], v[134:135]
	v_add_f64_e32 v[10:11], v[182:183], v[180:181]
	v_add_f64_e32 v[156:157], v[184:185], v[188:189]
	v_fmac_f64_e32 v[190:191], v[6:7], v[168:169]
	v_fma_f64 v[168:169], v[4:5], v[168:169], -v[170:171]
	v_fmac_f64_e32 v[158:159], v[178:179], v[132:133]
	v_fma_f64 v[132:133], v[176:177], v[132:133], -v[134:135]
	v_add_f64_e32 v[170:171], v[10:11], v[8:9]
	v_add_f64_e32 v[156:157], v[156:157], v[186:187]
	ds_load_b128 v[4:7], v2 offset:1696
	ds_load_b128 v[8:11], v2 offset:1712
	s_wait_loadcnt_dscnt 0x701
	v_mul_f64_e32 v[180:181], v[4:5], v[162:163]
	v_mul_f64_e32 v[162:163], v[6:7], v[162:163]
	v_add_f64_e32 v[134:135], v[170:171], v[168:169]
	v_add_f64_e32 v[156:157], v[156:157], v[190:191]
	s_wait_loadcnt_dscnt 0x600
	v_mul_f64_e32 v[168:169], v[8:9], v[130:131]
	v_mul_f64_e32 v[170:171], v[10:11], v[130:131]
	v_fmac_f64_e32 v[180:181], v[6:7], v[160:161]
	v_fma_f64 v[160:161], v[4:5], v[160:161], -v[162:163]
	v_add_f64_e32 v[134:135], v[134:135], v[132:133]
	v_add_f64_e32 v[156:157], v[156:157], v[158:159]
	ds_load_b128 v[4:7], v2 offset:1728
	ds_load_b128 v[130:133], v2 offset:1744
	v_fmac_f64_e32 v[168:169], v[10:11], v[128:129]
	v_fma_f64 v[8:9], v[8:9], v[128:129], -v[170:171]
	s_wait_loadcnt_dscnt 0x501
	v_mul_f64_e32 v[158:159], v[4:5], v[146:147]
	v_mul_f64_e32 v[146:147], v[6:7], v[146:147]
	v_add_f64_e32 v[10:11], v[134:135], v[160:161]
	v_add_f64_e32 v[128:129], v[156:157], v[180:181]
	s_wait_loadcnt_dscnt 0x400
	v_mul_f64_e32 v[134:135], v[130:131], v[138:139]
	v_mul_f64_e32 v[138:139], v[132:133], v[138:139]
	v_fmac_f64_e32 v[158:159], v[6:7], v[144:145]
	v_fma_f64 v[144:145], v[4:5], v[144:145], -v[146:147]
	v_add_f64_e32 v[146:147], v[10:11], v[8:9]
	v_add_f64_e32 v[128:129], v[128:129], v[168:169]
	ds_load_b128 v[4:7], v2 offset:1760
	ds_load_b128 v[8:11], v2 offset:1776
	v_fmac_f64_e32 v[134:135], v[132:133], v[136:137]
	v_fma_f64 v[130:131], v[130:131], v[136:137], -v[138:139]
	s_wait_loadcnt_dscnt 0x301
	v_mul_f64_e32 v[156:157], v[4:5], v[154:155]
	v_mul_f64_e32 v[154:155], v[6:7], v[154:155]
	s_wait_loadcnt_dscnt 0x200
	v_mul_f64_e32 v[136:137], v[8:9], v[142:143]
	v_mul_f64_e32 v[138:139], v[10:11], v[142:143]
	v_add_f64_e32 v[132:133], v[146:147], v[144:145]
	v_add_f64_e32 v[128:129], v[128:129], v[158:159]
	v_fmac_f64_e32 v[156:157], v[6:7], v[152:153]
	v_fma_f64 v[142:143], v[4:5], v[152:153], -v[154:155]
	v_fmac_f64_e32 v[136:137], v[10:11], v[140:141]
	v_fma_f64 v[8:9], v[8:9], v[140:141], -v[138:139]
	v_add_f64_e32 v[132:133], v[132:133], v[130:131]
	v_add_f64_e32 v[134:135], v[128:129], v[134:135]
	ds_load_b128 v[4:7], v2 offset:1792
	ds_load_b128 v[128:131], v2 offset:1808
	s_wait_loadcnt_dscnt 0x101
	v_mul_f64_e32 v[2:3], v[4:5], v[166:167]
	v_mul_f64_e32 v[144:145], v[6:7], v[166:167]
	s_wait_loadcnt_dscnt 0x0
	v_mul_f64_e32 v[138:139], v[130:131], v[150:151]
	v_add_f64_e32 v[10:11], v[132:133], v[142:143]
	v_add_f64_e32 v[132:133], v[134:135], v[156:157]
	v_mul_f64_e32 v[134:135], v[128:129], v[150:151]
	v_fmac_f64_e32 v[2:3], v[6:7], v[164:165]
	v_fma_f64 v[4:5], v[4:5], v[164:165], -v[144:145]
	v_add_f64_e32 v[6:7], v[10:11], v[8:9]
	v_add_f64_e32 v[8:9], v[132:133], v[136:137]
	v_fmac_f64_e32 v[134:135], v[130:131], v[148:149]
	v_fma_f64 v[10:11], v[128:129], v[148:149], -v[138:139]
	s_delay_alu instid0(VALU_DEP_4) | instskip(NEXT) | instid1(VALU_DEP_4)
	v_add_f64_e32 v[4:5], v[6:7], v[4:5]
	v_add_f64_e32 v[2:3], v[8:9], v[2:3]
	s_delay_alu instid0(VALU_DEP_2) | instskip(NEXT) | instid1(VALU_DEP_2)
	v_add_f64_e32 v[4:5], v[4:5], v[10:11]
	v_add_f64_e32 v[6:7], v[2:3], v[134:135]
	s_delay_alu instid0(VALU_DEP_2) | instskip(NEXT) | instid1(VALU_DEP_2)
	v_add_f64_e64 v[2:3], v[172:173], -v[4:5]
	v_add_f64_e64 v[4:5], v[174:175], -v[6:7]
	scratch_store_b128 off, v[2:5], off offset:512
	s_wait_xcnt 0x0
	v_cmpx_lt_u32_e32 31, v1
	s_cbranch_execz .LBB120_293
; %bb.292:
	scratch_load_b128 v[2:5], off, s42
	v_mov_b32_e32 v6, 0
	s_delay_alu instid0(VALU_DEP_1)
	v_dual_mov_b32 v7, v6 :: v_dual_mov_b32 v8, v6
	v_mov_b32_e32 v9, v6
	scratch_store_b128 off, v[6:9], off offset:496
	s_wait_loadcnt 0x0
	ds_store_b128 v12, v[2:5]
.LBB120_293:
	s_wait_xcnt 0x0
	s_or_b32 exec_lo, exec_lo, s2
	s_wait_storecnt_dscnt 0x0
	s_barrier_signal -1
	s_barrier_wait -1
	s_clause 0x9
	scratch_load_b128 v[4:7], off, off offset:512
	scratch_load_b128 v[8:11], off, off offset:528
	scratch_load_b128 v[128:131], off, off offset:544
	scratch_load_b128 v[132:135], off, off offset:560
	scratch_load_b128 v[136:139], off, off offset:576
	scratch_load_b128 v[140:143], off, off offset:592
	scratch_load_b128 v[144:147], off, off offset:608
	scratch_load_b128 v[148:151], off, off offset:624
	scratch_load_b128 v[152:155], off, off offset:640
	scratch_load_b128 v[156:159], off, off offset:656
	v_mov_b32_e32 v2, 0
	s_mov_b32 s2, exec_lo
	ds_load_b128 v[160:163], v2 offset:1424
	s_clause 0x2
	scratch_load_b128 v[164:167], off, off offset:672
	scratch_load_b128 v[168:171], off, off offset:496
	;; [unrolled: 1-line block ×3, first 2 shown]
	s_wait_loadcnt_dscnt 0xc00
	v_mul_f64_e32 v[180:181], v[162:163], v[6:7]
	v_mul_f64_e32 v[184:185], v[160:161], v[6:7]
	ds_load_b128 v[172:175], v2 offset:1440
	v_fma_f64 v[188:189], v[160:161], v[4:5], -v[180:181]
	v_fmac_f64_e32 v[184:185], v[162:163], v[4:5]
	ds_load_b128 v[4:7], v2 offset:1456
	s_wait_loadcnt_dscnt 0xb01
	v_mul_f64_e32 v[186:187], v[172:173], v[10:11]
	v_mul_f64_e32 v[10:11], v[174:175], v[10:11]
	scratch_load_b128 v[160:163], off, off offset:704
	ds_load_b128 v[180:183], v2 offset:1472
	s_wait_loadcnt_dscnt 0xb01
	v_mul_f64_e32 v[190:191], v[4:5], v[130:131]
	v_mul_f64_e32 v[130:131], v[6:7], v[130:131]
	v_add_f64_e32 v[184:185], 0, v[184:185]
	v_fmac_f64_e32 v[186:187], v[174:175], v[8:9]
	v_fma_f64 v[172:173], v[172:173], v[8:9], -v[10:11]
	v_add_f64_e32 v[174:175], 0, v[188:189]
	scratch_load_b128 v[8:11], off, off offset:720
	v_fmac_f64_e32 v[190:191], v[6:7], v[128:129]
	v_fma_f64 v[192:193], v[4:5], v[128:129], -v[130:131]
	ds_load_b128 v[4:7], v2 offset:1488
	s_wait_loadcnt_dscnt 0xb01
	v_mul_f64_e32 v[188:189], v[180:181], v[134:135]
	v_mul_f64_e32 v[134:135], v[182:183], v[134:135]
	scratch_load_b128 v[128:131], off, off offset:736
	v_add_f64_e32 v[184:185], v[184:185], v[186:187]
	v_add_f64_e32 v[194:195], v[174:175], v[172:173]
	ds_load_b128 v[172:175], v2 offset:1504
	s_wait_loadcnt_dscnt 0xb01
	v_mul_f64_e32 v[186:187], v[4:5], v[138:139]
	v_mul_f64_e32 v[138:139], v[6:7], v[138:139]
	v_fmac_f64_e32 v[188:189], v[182:183], v[132:133]
	v_fma_f64 v[180:181], v[180:181], v[132:133], -v[134:135]
	scratch_load_b128 v[132:135], off, off offset:752
	v_add_f64_e32 v[184:185], v[184:185], v[190:191]
	v_add_f64_e32 v[182:183], v[194:195], v[192:193]
	v_fmac_f64_e32 v[186:187], v[6:7], v[136:137]
	v_fma_f64 v[192:193], v[4:5], v[136:137], -v[138:139]
	ds_load_b128 v[4:7], v2 offset:1520
	s_wait_loadcnt_dscnt 0xb01
	v_mul_f64_e32 v[190:191], v[172:173], v[142:143]
	v_mul_f64_e32 v[142:143], v[174:175], v[142:143]
	scratch_load_b128 v[136:139], off, off offset:768
	v_add_f64_e32 v[184:185], v[184:185], v[188:189]
	s_wait_loadcnt_dscnt 0xb00
	v_mul_f64_e32 v[188:189], v[4:5], v[146:147]
	v_add_f64_e32 v[194:195], v[182:183], v[180:181]
	v_mul_f64_e32 v[146:147], v[6:7], v[146:147]
	ds_load_b128 v[180:183], v2 offset:1536
	v_fmac_f64_e32 v[190:191], v[174:175], v[140:141]
	v_fma_f64 v[172:173], v[172:173], v[140:141], -v[142:143]
	scratch_load_b128 v[140:143], off, off offset:784
	v_add_f64_e32 v[184:185], v[184:185], v[186:187]
	v_fmac_f64_e32 v[188:189], v[6:7], v[144:145]
	v_add_f64_e32 v[174:175], v[194:195], v[192:193]
	v_fma_f64 v[192:193], v[4:5], v[144:145], -v[146:147]
	ds_load_b128 v[4:7], v2 offset:1552
	s_wait_loadcnt_dscnt 0xb01
	v_mul_f64_e32 v[186:187], v[180:181], v[150:151]
	v_mul_f64_e32 v[150:151], v[182:183], v[150:151]
	scratch_load_b128 v[144:147], off, off offset:800
	v_add_f64_e32 v[184:185], v[184:185], v[190:191]
	s_wait_loadcnt_dscnt 0xb00
	v_mul_f64_e32 v[190:191], v[4:5], v[154:155]
	v_add_f64_e32 v[194:195], v[174:175], v[172:173]
	v_mul_f64_e32 v[154:155], v[6:7], v[154:155]
	ds_load_b128 v[172:175], v2 offset:1568
	v_fmac_f64_e32 v[186:187], v[182:183], v[148:149]
	v_fma_f64 v[180:181], v[180:181], v[148:149], -v[150:151]
	scratch_load_b128 v[148:151], off, off offset:816
	v_add_f64_e32 v[184:185], v[184:185], v[188:189]
	v_fmac_f64_e32 v[190:191], v[6:7], v[152:153]
	v_add_f64_e32 v[182:183], v[194:195], v[192:193]
	v_fma_f64 v[192:193], v[4:5], v[152:153], -v[154:155]
	ds_load_b128 v[4:7], v2 offset:1584
	s_wait_loadcnt_dscnt 0xb01
	v_mul_f64_e32 v[188:189], v[172:173], v[158:159]
	v_mul_f64_e32 v[158:159], v[174:175], v[158:159]
	scratch_load_b128 v[152:155], off, off offset:832
	v_add_f64_e32 v[184:185], v[184:185], v[186:187]
	s_wait_loadcnt_dscnt 0xb00
	v_mul_f64_e32 v[186:187], v[4:5], v[166:167]
	v_add_f64_e32 v[194:195], v[182:183], v[180:181]
	v_mul_f64_e32 v[166:167], v[6:7], v[166:167]
	ds_load_b128 v[180:183], v2 offset:1600
	v_fmac_f64_e32 v[188:189], v[174:175], v[156:157]
	v_fma_f64 v[172:173], v[172:173], v[156:157], -v[158:159]
	scratch_load_b128 v[156:159], off, off offset:848
	v_add_f64_e32 v[184:185], v[184:185], v[190:191]
	v_fmac_f64_e32 v[186:187], v[6:7], v[164:165]
	v_add_f64_e32 v[174:175], v[194:195], v[192:193]
	v_fma_f64 v[192:193], v[4:5], v[164:165], -v[166:167]
	ds_load_b128 v[4:7], v2 offset:1616
	s_wait_loadcnt_dscnt 0xa01
	v_mul_f64_e32 v[190:191], v[180:181], v[178:179]
	v_mul_f64_e32 v[178:179], v[182:183], v[178:179]
	scratch_load_b128 v[164:167], off, off offset:864
	v_add_f64_e32 v[184:185], v[184:185], v[188:189]
	v_add_f64_e32 v[194:195], v[174:175], v[172:173]
	s_wait_loadcnt_dscnt 0xa00
	v_mul_f64_e32 v[188:189], v[4:5], v[162:163]
	v_mul_f64_e32 v[162:163], v[6:7], v[162:163]
	v_fmac_f64_e32 v[190:191], v[182:183], v[176:177]
	v_fma_f64 v[180:181], v[180:181], v[176:177], -v[178:179]
	ds_load_b128 v[172:175], v2 offset:1632
	scratch_load_b128 v[176:179], off, off offset:880
	v_add_f64_e32 v[184:185], v[184:185], v[186:187]
	v_add_f64_e32 v[182:183], v[194:195], v[192:193]
	v_fmac_f64_e32 v[188:189], v[6:7], v[160:161]
	v_fma_f64 v[192:193], v[4:5], v[160:161], -v[162:163]
	ds_load_b128 v[4:7], v2 offset:1648
	s_wait_loadcnt_dscnt 0xa01
	v_mul_f64_e32 v[186:187], v[172:173], v[10:11]
	v_mul_f64_e32 v[10:11], v[174:175], v[10:11]
	scratch_load_b128 v[160:163], off, off offset:896
	v_add_f64_e32 v[184:185], v[184:185], v[190:191]
	s_wait_loadcnt_dscnt 0xa00
	v_mul_f64_e32 v[190:191], v[4:5], v[130:131]
	v_add_f64_e32 v[194:195], v[182:183], v[180:181]
	v_mul_f64_e32 v[130:131], v[6:7], v[130:131]
	ds_load_b128 v[180:183], v2 offset:1664
	v_fmac_f64_e32 v[186:187], v[174:175], v[8:9]
	v_fma_f64 v[8:9], v[172:173], v[8:9], -v[10:11]
	s_wait_loadcnt_dscnt 0x900
	v_mul_f64_e32 v[174:175], v[180:181], v[134:135]
	v_mul_f64_e32 v[134:135], v[182:183], v[134:135]
	v_add_f64_e32 v[172:173], v[184:185], v[188:189]
	v_fmac_f64_e32 v[190:191], v[6:7], v[128:129]
	v_add_f64_e32 v[10:11], v[194:195], v[192:193]
	v_fma_f64 v[128:129], v[4:5], v[128:129], -v[130:131]
	v_fmac_f64_e32 v[174:175], v[182:183], v[132:133]
	v_fma_f64 v[132:133], v[180:181], v[132:133], -v[134:135]
	v_add_f64_e32 v[172:173], v[172:173], v[186:187]
	v_add_f64_e32 v[130:131], v[10:11], v[8:9]
	ds_load_b128 v[4:7], v2 offset:1680
	ds_load_b128 v[8:11], v2 offset:1696
	s_wait_loadcnt_dscnt 0x801
	v_mul_f64_e32 v[184:185], v[4:5], v[138:139]
	v_mul_f64_e32 v[138:139], v[6:7], v[138:139]
	s_wait_loadcnt_dscnt 0x700
	v_mul_f64_e32 v[134:135], v[8:9], v[142:143]
	v_mul_f64_e32 v[142:143], v[10:11], v[142:143]
	v_add_f64_e32 v[128:129], v[130:131], v[128:129]
	v_add_f64_e32 v[130:131], v[172:173], v[190:191]
	v_fmac_f64_e32 v[184:185], v[6:7], v[136:137]
	v_fma_f64 v[136:137], v[4:5], v[136:137], -v[138:139]
	v_fmac_f64_e32 v[134:135], v[10:11], v[140:141]
	v_fma_f64 v[8:9], v[8:9], v[140:141], -v[142:143]
	v_add_f64_e32 v[132:133], v[128:129], v[132:133]
	v_add_f64_e32 v[138:139], v[130:131], v[174:175]
	ds_load_b128 v[4:7], v2 offset:1712
	ds_load_b128 v[128:131], v2 offset:1728
	s_wait_loadcnt_dscnt 0x601
	v_mul_f64_e32 v[172:173], v[4:5], v[146:147]
	v_mul_f64_e32 v[146:147], v[6:7], v[146:147]
	v_add_f64_e32 v[10:11], v[132:133], v[136:137]
	v_add_f64_e32 v[132:133], v[138:139], v[184:185]
	s_wait_loadcnt_dscnt 0x500
	v_mul_f64_e32 v[136:137], v[128:129], v[150:151]
	v_mul_f64_e32 v[138:139], v[130:131], v[150:151]
	v_fmac_f64_e32 v[172:173], v[6:7], v[144:145]
	v_fma_f64 v[140:141], v[4:5], v[144:145], -v[146:147]
	v_add_f64_e32 v[142:143], v[10:11], v[8:9]
	v_add_f64_e32 v[132:133], v[132:133], v[134:135]
	ds_load_b128 v[4:7], v2 offset:1744
	ds_load_b128 v[8:11], v2 offset:1760
	v_fmac_f64_e32 v[136:137], v[130:131], v[148:149]
	v_fma_f64 v[128:129], v[128:129], v[148:149], -v[138:139]
	s_wait_loadcnt_dscnt 0x401
	v_mul_f64_e32 v[134:135], v[4:5], v[154:155]
	v_mul_f64_e32 v[144:145], v[6:7], v[154:155]
	s_wait_loadcnt_dscnt 0x300
	v_mul_f64_e32 v[138:139], v[8:9], v[158:159]
	v_add_f64_e32 v[130:131], v[142:143], v[140:141]
	v_add_f64_e32 v[132:133], v[132:133], v[172:173]
	v_mul_f64_e32 v[140:141], v[10:11], v[158:159]
	v_fmac_f64_e32 v[134:135], v[6:7], v[152:153]
	v_fma_f64 v[142:143], v[4:5], v[152:153], -v[144:145]
	v_fmac_f64_e32 v[138:139], v[10:11], v[156:157]
	v_add_f64_e32 v[144:145], v[130:131], v[128:129]
	v_add_f64_e32 v[132:133], v[132:133], v[136:137]
	ds_load_b128 v[4:7], v2 offset:1776
	ds_load_b128 v[128:131], v2 offset:1792
	v_fma_f64 v[8:9], v[8:9], v[156:157], -v[140:141]
	s_wait_loadcnt_dscnt 0x201
	v_mul_f64_e32 v[136:137], v[4:5], v[166:167]
	v_mul_f64_e32 v[146:147], v[6:7], v[166:167]
	s_wait_loadcnt_dscnt 0x100
	v_mul_f64_e32 v[140:141], v[130:131], v[178:179]
	v_add_f64_e32 v[10:11], v[144:145], v[142:143]
	v_add_f64_e32 v[132:133], v[132:133], v[134:135]
	v_mul_f64_e32 v[134:135], v[128:129], v[178:179]
	v_fmac_f64_e32 v[136:137], v[6:7], v[164:165]
	v_fma_f64 v[142:143], v[4:5], v[164:165], -v[146:147]
	ds_load_b128 v[4:7], v2 offset:1808
	v_fma_f64 v[128:129], v[128:129], v[176:177], -v[140:141]
	v_add_f64_e32 v[8:9], v[10:11], v[8:9]
	v_add_f64_e32 v[10:11], v[132:133], v[138:139]
	v_fmac_f64_e32 v[134:135], v[130:131], v[176:177]
	s_wait_loadcnt_dscnt 0x0
	v_mul_f64_e32 v[132:133], v[4:5], v[162:163]
	v_mul_f64_e32 v[138:139], v[6:7], v[162:163]
	v_add_f64_e32 v[8:9], v[8:9], v[142:143]
	v_add_f64_e32 v[10:11], v[10:11], v[136:137]
	s_delay_alu instid0(VALU_DEP_4) | instskip(NEXT) | instid1(VALU_DEP_4)
	v_fmac_f64_e32 v[132:133], v[6:7], v[160:161]
	v_fma_f64 v[4:5], v[4:5], v[160:161], -v[138:139]
	s_delay_alu instid0(VALU_DEP_4) | instskip(NEXT) | instid1(VALU_DEP_4)
	v_add_f64_e32 v[6:7], v[8:9], v[128:129]
	v_add_f64_e32 v[8:9], v[10:11], v[134:135]
	s_delay_alu instid0(VALU_DEP_2) | instskip(NEXT) | instid1(VALU_DEP_2)
	v_add_f64_e32 v[4:5], v[6:7], v[4:5]
	v_add_f64_e32 v[6:7], v[8:9], v[132:133]
	s_delay_alu instid0(VALU_DEP_2) | instskip(NEXT) | instid1(VALU_DEP_2)
	v_add_f64_e64 v[4:5], v[168:169], -v[4:5]
	v_add_f64_e64 v[6:7], v[170:171], -v[6:7]
	scratch_store_b128 off, v[4:7], off offset:496
	s_wait_xcnt 0x0
	v_cmpx_lt_u32_e32 30, v1
	s_cbranch_execz .LBB120_295
; %bb.294:
	scratch_load_b128 v[6:9], off, s43
	v_dual_mov_b32 v3, v2 :: v_dual_mov_b32 v4, v2
	v_mov_b32_e32 v5, v2
	scratch_store_b128 off, v[2:5], off offset:480
	s_wait_loadcnt 0x0
	ds_store_b128 v12, v[6:9]
.LBB120_295:
	s_wait_xcnt 0x0
	s_or_b32 exec_lo, exec_lo, s2
	s_wait_storecnt_dscnt 0x0
	s_barrier_signal -1
	s_barrier_wait -1
	s_clause 0x9
	scratch_load_b128 v[4:7], off, off offset:496
	scratch_load_b128 v[8:11], off, off offset:512
	;; [unrolled: 1-line block ×10, first 2 shown]
	ds_load_b128 v[160:163], v2 offset:1408
	ds_load_b128 v[168:171], v2 offset:1424
	s_clause 0x2
	scratch_load_b128 v[164:167], off, off offset:656
	scratch_load_b128 v[172:175], off, off offset:480
	;; [unrolled: 1-line block ×3, first 2 shown]
	s_mov_b32 s2, exec_lo
	s_wait_loadcnt_dscnt 0xc01
	v_mul_f64_e32 v[180:181], v[162:163], v[6:7]
	v_mul_f64_e32 v[184:185], v[160:161], v[6:7]
	s_wait_loadcnt_dscnt 0xb00
	v_mul_f64_e32 v[186:187], v[168:169], v[10:11]
	v_mul_f64_e32 v[10:11], v[170:171], v[10:11]
	s_delay_alu instid0(VALU_DEP_4) | instskip(NEXT) | instid1(VALU_DEP_4)
	v_fma_f64 v[188:189], v[160:161], v[4:5], -v[180:181]
	v_fmac_f64_e32 v[184:185], v[162:163], v[4:5]
	ds_load_b128 v[4:7], v2 offset:1440
	ds_load_b128 v[160:163], v2 offset:1456
	scratch_load_b128 v[180:183], off, off offset:688
	v_fmac_f64_e32 v[186:187], v[170:171], v[8:9]
	v_fma_f64 v[168:169], v[168:169], v[8:9], -v[10:11]
	scratch_load_b128 v[8:11], off, off offset:704
	s_wait_loadcnt_dscnt 0xc01
	v_mul_f64_e32 v[190:191], v[4:5], v[130:131]
	v_mul_f64_e32 v[130:131], v[6:7], v[130:131]
	v_add_f64_e32 v[170:171], 0, v[188:189]
	v_add_f64_e32 v[184:185], 0, v[184:185]
	s_wait_loadcnt_dscnt 0xb00
	v_mul_f64_e32 v[188:189], v[160:161], v[134:135]
	v_mul_f64_e32 v[134:135], v[162:163], v[134:135]
	v_fmac_f64_e32 v[190:191], v[6:7], v[128:129]
	v_fma_f64 v[192:193], v[4:5], v[128:129], -v[130:131]
	ds_load_b128 v[4:7], v2 offset:1472
	ds_load_b128 v[128:131], v2 offset:1488
	v_add_f64_e32 v[194:195], v[170:171], v[168:169]
	v_add_f64_e32 v[184:185], v[184:185], v[186:187]
	scratch_load_b128 v[168:171], off, off offset:720
	v_fmac_f64_e32 v[188:189], v[162:163], v[132:133]
	v_fma_f64 v[160:161], v[160:161], v[132:133], -v[134:135]
	scratch_load_b128 v[132:135], off, off offset:736
	s_wait_loadcnt_dscnt 0xc01
	v_mul_f64_e32 v[186:187], v[4:5], v[138:139]
	v_mul_f64_e32 v[138:139], v[6:7], v[138:139]
	v_add_f64_e32 v[162:163], v[194:195], v[192:193]
	v_add_f64_e32 v[184:185], v[184:185], v[190:191]
	s_wait_loadcnt_dscnt 0xb00
	v_mul_f64_e32 v[190:191], v[128:129], v[142:143]
	v_mul_f64_e32 v[142:143], v[130:131], v[142:143]
	v_fmac_f64_e32 v[186:187], v[6:7], v[136:137]
	v_fma_f64 v[192:193], v[4:5], v[136:137], -v[138:139]
	ds_load_b128 v[4:7], v2 offset:1504
	ds_load_b128 v[136:139], v2 offset:1520
	v_add_f64_e32 v[194:195], v[162:163], v[160:161]
	v_add_f64_e32 v[184:185], v[184:185], v[188:189]
	scratch_load_b128 v[160:163], off, off offset:752
	s_wait_loadcnt_dscnt 0xb01
	v_mul_f64_e32 v[188:189], v[4:5], v[146:147]
	v_mul_f64_e32 v[146:147], v[6:7], v[146:147]
	v_fmac_f64_e32 v[190:191], v[130:131], v[140:141]
	v_fma_f64 v[140:141], v[128:129], v[140:141], -v[142:143]
	scratch_load_b128 v[128:131], off, off offset:768
	v_add_f64_e32 v[142:143], v[194:195], v[192:193]
	v_add_f64_e32 v[184:185], v[184:185], v[186:187]
	s_wait_loadcnt_dscnt 0xb00
	v_mul_f64_e32 v[186:187], v[136:137], v[150:151]
	v_mul_f64_e32 v[150:151], v[138:139], v[150:151]
	v_fmac_f64_e32 v[188:189], v[6:7], v[144:145]
	v_fma_f64 v[192:193], v[4:5], v[144:145], -v[146:147]
	v_add_f64_e32 v[194:195], v[142:143], v[140:141]
	v_add_f64_e32 v[184:185], v[184:185], v[190:191]
	ds_load_b128 v[4:7], v2 offset:1536
	ds_load_b128 v[140:143], v2 offset:1552
	scratch_load_b128 v[144:147], off, off offset:784
	v_fmac_f64_e32 v[186:187], v[138:139], v[148:149]
	v_fma_f64 v[148:149], v[136:137], v[148:149], -v[150:151]
	scratch_load_b128 v[136:139], off, off offset:800
	s_wait_loadcnt_dscnt 0xc01
	v_mul_f64_e32 v[190:191], v[4:5], v[154:155]
	v_mul_f64_e32 v[154:155], v[6:7], v[154:155]
	v_add_f64_e32 v[150:151], v[194:195], v[192:193]
	v_add_f64_e32 v[184:185], v[184:185], v[188:189]
	s_wait_loadcnt_dscnt 0xb00
	v_mul_f64_e32 v[188:189], v[140:141], v[158:159]
	v_mul_f64_e32 v[158:159], v[142:143], v[158:159]
	v_fmac_f64_e32 v[190:191], v[6:7], v[152:153]
	v_fma_f64 v[192:193], v[4:5], v[152:153], -v[154:155]
	v_add_f64_e32 v[194:195], v[150:151], v[148:149]
	v_add_f64_e32 v[184:185], v[184:185], v[186:187]
	ds_load_b128 v[4:7], v2 offset:1568
	ds_load_b128 v[148:151], v2 offset:1584
	scratch_load_b128 v[152:155], off, off offset:816
	v_fmac_f64_e32 v[188:189], v[142:143], v[156:157]
	v_fma_f64 v[156:157], v[140:141], v[156:157], -v[158:159]
	scratch_load_b128 v[140:143], off, off offset:832
	s_wait_loadcnt_dscnt 0xc01
	v_mul_f64_e32 v[186:187], v[4:5], v[166:167]
	v_mul_f64_e32 v[166:167], v[6:7], v[166:167]
	;; [unrolled: 18-line block ×4, first 2 shown]
	v_add_f64_e32 v[158:159], v[194:195], v[192:193]
	v_add_f64_e32 v[184:185], v[184:185], v[188:189]
	s_wait_loadcnt_dscnt 0xa00
	v_mul_f64_e32 v[188:189], v[176:177], v[134:135]
	v_mul_f64_e32 v[134:135], v[178:179], v[134:135]
	v_fmac_f64_e32 v[190:191], v[6:7], v[168:169]
	v_fma_f64 v[168:169], v[4:5], v[168:169], -v[170:171]
	v_add_f64_e32 v[170:171], v[158:159], v[156:157]
	v_add_f64_e32 v[184:185], v[184:185], v[186:187]
	ds_load_b128 v[4:7], v2 offset:1664
	ds_load_b128 v[156:159], v2 offset:1680
	v_fmac_f64_e32 v[188:189], v[178:179], v[132:133]
	v_fma_f64 v[132:133], v[176:177], v[132:133], -v[134:135]
	s_wait_loadcnt_dscnt 0x901
	v_mul_f64_e32 v[186:187], v[4:5], v[162:163]
	v_mul_f64_e32 v[162:163], v[6:7], v[162:163]
	s_wait_loadcnt_dscnt 0x800
	v_mul_f64_e32 v[176:177], v[158:159], v[130:131]
	v_add_f64_e32 v[134:135], v[170:171], v[168:169]
	v_add_f64_e32 v[168:169], v[184:185], v[190:191]
	v_mul_f64_e32 v[170:171], v[156:157], v[130:131]
	v_fmac_f64_e32 v[186:187], v[6:7], v[160:161]
	v_fma_f64 v[160:161], v[4:5], v[160:161], -v[162:163]
	v_add_f64_e32 v[134:135], v[134:135], v[132:133]
	v_add_f64_e32 v[162:163], v[168:169], v[188:189]
	ds_load_b128 v[4:7], v2 offset:1696
	ds_load_b128 v[130:133], v2 offset:1712
	v_fmac_f64_e32 v[170:171], v[158:159], v[128:129]
	v_fma_f64 v[128:129], v[156:157], v[128:129], -v[176:177]
	s_wait_loadcnt_dscnt 0x701
	v_mul_f64_e32 v[168:169], v[4:5], v[146:147]
	v_mul_f64_e32 v[146:147], v[6:7], v[146:147]
	s_wait_loadcnt_dscnt 0x600
	v_mul_f64_e32 v[158:159], v[130:131], v[138:139]
	v_mul_f64_e32 v[138:139], v[132:133], v[138:139]
	v_add_f64_e32 v[134:135], v[134:135], v[160:161]
	v_add_f64_e32 v[156:157], v[162:163], v[186:187]
	v_fmac_f64_e32 v[168:169], v[6:7], v[144:145]
	v_fma_f64 v[160:161], v[4:5], v[144:145], -v[146:147]
	ds_load_b128 v[4:7], v2 offset:1728
	ds_load_b128 v[144:147], v2 offset:1744
	v_fmac_f64_e32 v[158:159], v[132:133], v[136:137]
	v_fma_f64 v[130:131], v[130:131], v[136:137], -v[138:139]
	v_add_f64_e32 v[128:129], v[134:135], v[128:129]
	v_add_f64_e32 v[134:135], v[156:157], v[170:171]
	s_wait_loadcnt_dscnt 0x501
	v_mul_f64_e32 v[156:157], v[4:5], v[154:155]
	v_mul_f64_e32 v[154:155], v[6:7], v[154:155]
	s_wait_loadcnt_dscnt 0x400
	v_mul_f64_e32 v[136:137], v[146:147], v[142:143]
	v_add_f64_e32 v[128:129], v[128:129], v[160:161]
	v_add_f64_e32 v[132:133], v[134:135], v[168:169]
	v_mul_f64_e32 v[134:135], v[144:145], v[142:143]
	v_fmac_f64_e32 v[156:157], v[6:7], v[152:153]
	v_fma_f64 v[138:139], v[4:5], v[152:153], -v[154:155]
	v_fma_f64 v[136:137], v[144:145], v[140:141], -v[136:137]
	v_add_f64_e32 v[142:143], v[128:129], v[130:131]
	v_add_f64_e32 v[132:133], v[132:133], v[158:159]
	ds_load_b128 v[4:7], v2 offset:1760
	ds_load_b128 v[128:131], v2 offset:1776
	v_fmac_f64_e32 v[134:135], v[146:147], v[140:141]
	s_wait_loadcnt_dscnt 0x301
	v_mul_f64_e32 v[152:153], v[4:5], v[166:167]
	v_mul_f64_e32 v[154:155], v[6:7], v[166:167]
	s_wait_loadcnt_dscnt 0x200
	v_mul_f64_e32 v[140:141], v[128:129], v[150:151]
	v_add_f64_e32 v[138:139], v[142:143], v[138:139]
	v_add_f64_e32 v[132:133], v[132:133], v[156:157]
	v_mul_f64_e32 v[142:143], v[130:131], v[150:151]
	v_fmac_f64_e32 v[152:153], v[6:7], v[164:165]
	v_fma_f64 v[144:145], v[4:5], v[164:165], -v[154:155]
	v_fmac_f64_e32 v[140:141], v[130:131], v[148:149]
	v_add_f64_e32 v[136:137], v[138:139], v[136:137]
	v_add_f64_e32 v[138:139], v[132:133], v[134:135]
	ds_load_b128 v[4:7], v2 offset:1792
	ds_load_b128 v[132:135], v2 offset:1808
	v_fma_f64 v[128:129], v[128:129], v[148:149], -v[142:143]
	s_wait_loadcnt_dscnt 0x101
	v_mul_f64_e32 v[2:3], v[4:5], v[182:183]
	v_mul_f64_e32 v[146:147], v[6:7], v[182:183]
	v_add_f64_e32 v[130:131], v[136:137], v[144:145]
	v_add_f64_e32 v[136:137], v[138:139], v[152:153]
	s_wait_loadcnt_dscnt 0x0
	v_mul_f64_e32 v[138:139], v[132:133], v[10:11]
	v_mul_f64_e32 v[10:11], v[134:135], v[10:11]
	v_fmac_f64_e32 v[2:3], v[6:7], v[180:181]
	v_fma_f64 v[4:5], v[4:5], v[180:181], -v[146:147]
	v_add_f64_e32 v[6:7], v[130:131], v[128:129]
	v_add_f64_e32 v[128:129], v[136:137], v[140:141]
	v_fmac_f64_e32 v[138:139], v[134:135], v[8:9]
	v_fma_f64 v[8:9], v[132:133], v[8:9], -v[10:11]
	s_delay_alu instid0(VALU_DEP_4) | instskip(NEXT) | instid1(VALU_DEP_4)
	v_add_f64_e32 v[4:5], v[6:7], v[4:5]
	v_add_f64_e32 v[2:3], v[128:129], v[2:3]
	s_delay_alu instid0(VALU_DEP_2) | instskip(NEXT) | instid1(VALU_DEP_2)
	v_add_f64_e32 v[4:5], v[4:5], v[8:9]
	v_add_f64_e32 v[6:7], v[2:3], v[138:139]
	s_delay_alu instid0(VALU_DEP_2) | instskip(NEXT) | instid1(VALU_DEP_2)
	v_add_f64_e64 v[2:3], v[172:173], -v[4:5]
	v_add_f64_e64 v[4:5], v[174:175], -v[6:7]
	scratch_store_b128 off, v[2:5], off offset:480
	s_wait_xcnt 0x0
	v_cmpx_lt_u32_e32 29, v1
	s_cbranch_execz .LBB120_297
; %bb.296:
	scratch_load_b128 v[2:5], off, s44
	v_mov_b32_e32 v6, 0
	s_delay_alu instid0(VALU_DEP_1)
	v_dual_mov_b32 v7, v6 :: v_dual_mov_b32 v8, v6
	v_mov_b32_e32 v9, v6
	scratch_store_b128 off, v[6:9], off offset:464
	s_wait_loadcnt 0x0
	ds_store_b128 v12, v[2:5]
.LBB120_297:
	s_wait_xcnt 0x0
	s_or_b32 exec_lo, exec_lo, s2
	s_wait_storecnt_dscnt 0x0
	s_barrier_signal -1
	s_barrier_wait -1
	s_clause 0x9
	scratch_load_b128 v[4:7], off, off offset:480
	scratch_load_b128 v[8:11], off, off offset:496
	;; [unrolled: 1-line block ×10, first 2 shown]
	v_mov_b32_e32 v2, 0
	s_mov_b32 s2, exec_lo
	ds_load_b128 v[160:163], v2 offset:1392
	s_clause 0x2
	scratch_load_b128 v[164:167], off, off offset:640
	scratch_load_b128 v[168:171], off, off offset:464
	;; [unrolled: 1-line block ×3, first 2 shown]
	s_wait_loadcnt_dscnt 0xc00
	v_mul_f64_e32 v[180:181], v[162:163], v[6:7]
	v_mul_f64_e32 v[184:185], v[160:161], v[6:7]
	ds_load_b128 v[172:175], v2 offset:1408
	v_fma_f64 v[188:189], v[160:161], v[4:5], -v[180:181]
	v_fmac_f64_e32 v[184:185], v[162:163], v[4:5]
	ds_load_b128 v[4:7], v2 offset:1424
	s_wait_loadcnt_dscnt 0xb01
	v_mul_f64_e32 v[186:187], v[172:173], v[10:11]
	v_mul_f64_e32 v[10:11], v[174:175], v[10:11]
	scratch_load_b128 v[160:163], off, off offset:672
	ds_load_b128 v[180:183], v2 offset:1440
	s_wait_loadcnt_dscnt 0xb01
	v_mul_f64_e32 v[190:191], v[4:5], v[130:131]
	v_mul_f64_e32 v[130:131], v[6:7], v[130:131]
	v_add_f64_e32 v[184:185], 0, v[184:185]
	v_fmac_f64_e32 v[186:187], v[174:175], v[8:9]
	v_fma_f64 v[172:173], v[172:173], v[8:9], -v[10:11]
	v_add_f64_e32 v[174:175], 0, v[188:189]
	scratch_load_b128 v[8:11], off, off offset:688
	v_fmac_f64_e32 v[190:191], v[6:7], v[128:129]
	v_fma_f64 v[192:193], v[4:5], v[128:129], -v[130:131]
	ds_load_b128 v[4:7], v2 offset:1456
	s_wait_loadcnt_dscnt 0xb01
	v_mul_f64_e32 v[188:189], v[180:181], v[134:135]
	v_mul_f64_e32 v[134:135], v[182:183], v[134:135]
	scratch_load_b128 v[128:131], off, off offset:704
	v_add_f64_e32 v[184:185], v[184:185], v[186:187]
	v_add_f64_e32 v[194:195], v[174:175], v[172:173]
	ds_load_b128 v[172:175], v2 offset:1472
	s_wait_loadcnt_dscnt 0xb01
	v_mul_f64_e32 v[186:187], v[4:5], v[138:139]
	v_mul_f64_e32 v[138:139], v[6:7], v[138:139]
	v_fmac_f64_e32 v[188:189], v[182:183], v[132:133]
	v_fma_f64 v[180:181], v[180:181], v[132:133], -v[134:135]
	scratch_load_b128 v[132:135], off, off offset:720
	v_add_f64_e32 v[184:185], v[184:185], v[190:191]
	v_add_f64_e32 v[182:183], v[194:195], v[192:193]
	v_fmac_f64_e32 v[186:187], v[6:7], v[136:137]
	v_fma_f64 v[192:193], v[4:5], v[136:137], -v[138:139]
	ds_load_b128 v[4:7], v2 offset:1488
	s_wait_loadcnt_dscnt 0xb01
	v_mul_f64_e32 v[190:191], v[172:173], v[142:143]
	v_mul_f64_e32 v[142:143], v[174:175], v[142:143]
	scratch_load_b128 v[136:139], off, off offset:736
	v_add_f64_e32 v[184:185], v[184:185], v[188:189]
	s_wait_loadcnt_dscnt 0xb00
	v_mul_f64_e32 v[188:189], v[4:5], v[146:147]
	v_add_f64_e32 v[194:195], v[182:183], v[180:181]
	v_mul_f64_e32 v[146:147], v[6:7], v[146:147]
	ds_load_b128 v[180:183], v2 offset:1504
	v_fmac_f64_e32 v[190:191], v[174:175], v[140:141]
	v_fma_f64 v[172:173], v[172:173], v[140:141], -v[142:143]
	scratch_load_b128 v[140:143], off, off offset:752
	v_add_f64_e32 v[184:185], v[184:185], v[186:187]
	v_fmac_f64_e32 v[188:189], v[6:7], v[144:145]
	v_add_f64_e32 v[174:175], v[194:195], v[192:193]
	v_fma_f64 v[192:193], v[4:5], v[144:145], -v[146:147]
	ds_load_b128 v[4:7], v2 offset:1520
	s_wait_loadcnt_dscnt 0xb01
	v_mul_f64_e32 v[186:187], v[180:181], v[150:151]
	v_mul_f64_e32 v[150:151], v[182:183], v[150:151]
	scratch_load_b128 v[144:147], off, off offset:768
	v_add_f64_e32 v[184:185], v[184:185], v[190:191]
	s_wait_loadcnt_dscnt 0xb00
	v_mul_f64_e32 v[190:191], v[4:5], v[154:155]
	v_add_f64_e32 v[194:195], v[174:175], v[172:173]
	v_mul_f64_e32 v[154:155], v[6:7], v[154:155]
	ds_load_b128 v[172:175], v2 offset:1536
	v_fmac_f64_e32 v[186:187], v[182:183], v[148:149]
	v_fma_f64 v[180:181], v[180:181], v[148:149], -v[150:151]
	scratch_load_b128 v[148:151], off, off offset:784
	v_add_f64_e32 v[184:185], v[184:185], v[188:189]
	v_fmac_f64_e32 v[190:191], v[6:7], v[152:153]
	v_add_f64_e32 v[182:183], v[194:195], v[192:193]
	;; [unrolled: 18-line block ×3, first 2 shown]
	v_fma_f64 v[192:193], v[4:5], v[164:165], -v[166:167]
	ds_load_b128 v[4:7], v2 offset:1584
	s_wait_loadcnt_dscnt 0xa01
	v_mul_f64_e32 v[190:191], v[180:181], v[178:179]
	v_mul_f64_e32 v[178:179], v[182:183], v[178:179]
	scratch_load_b128 v[164:167], off, off offset:832
	v_add_f64_e32 v[184:185], v[184:185], v[188:189]
	v_add_f64_e32 v[194:195], v[174:175], v[172:173]
	s_wait_loadcnt_dscnt 0xa00
	v_mul_f64_e32 v[188:189], v[4:5], v[162:163]
	v_mul_f64_e32 v[162:163], v[6:7], v[162:163]
	v_fmac_f64_e32 v[190:191], v[182:183], v[176:177]
	v_fma_f64 v[180:181], v[180:181], v[176:177], -v[178:179]
	ds_load_b128 v[172:175], v2 offset:1600
	scratch_load_b128 v[176:179], off, off offset:848
	v_add_f64_e32 v[184:185], v[184:185], v[186:187]
	v_add_f64_e32 v[182:183], v[194:195], v[192:193]
	v_fmac_f64_e32 v[188:189], v[6:7], v[160:161]
	v_fma_f64 v[192:193], v[4:5], v[160:161], -v[162:163]
	ds_load_b128 v[4:7], v2 offset:1616
	s_wait_loadcnt_dscnt 0xa01
	v_mul_f64_e32 v[186:187], v[172:173], v[10:11]
	v_mul_f64_e32 v[10:11], v[174:175], v[10:11]
	scratch_load_b128 v[160:163], off, off offset:864
	v_add_f64_e32 v[184:185], v[184:185], v[190:191]
	s_wait_loadcnt_dscnt 0xa00
	v_mul_f64_e32 v[190:191], v[4:5], v[130:131]
	v_add_f64_e32 v[194:195], v[182:183], v[180:181]
	v_mul_f64_e32 v[130:131], v[6:7], v[130:131]
	ds_load_b128 v[180:183], v2 offset:1632
	v_fmac_f64_e32 v[186:187], v[174:175], v[8:9]
	v_fma_f64 v[172:173], v[172:173], v[8:9], -v[10:11]
	scratch_load_b128 v[8:11], off, off offset:880
	v_add_f64_e32 v[184:185], v[184:185], v[188:189]
	v_fmac_f64_e32 v[190:191], v[6:7], v[128:129]
	v_add_f64_e32 v[174:175], v[194:195], v[192:193]
	v_fma_f64 v[192:193], v[4:5], v[128:129], -v[130:131]
	ds_load_b128 v[4:7], v2 offset:1648
	s_wait_loadcnt_dscnt 0xa01
	v_mul_f64_e32 v[188:189], v[180:181], v[134:135]
	v_mul_f64_e32 v[134:135], v[182:183], v[134:135]
	scratch_load_b128 v[128:131], off, off offset:896
	v_add_f64_e32 v[184:185], v[184:185], v[186:187]
	s_wait_loadcnt_dscnt 0xa00
	v_mul_f64_e32 v[186:187], v[4:5], v[138:139]
	v_add_f64_e32 v[194:195], v[174:175], v[172:173]
	v_mul_f64_e32 v[138:139], v[6:7], v[138:139]
	ds_load_b128 v[172:175], v2 offset:1664
	v_fmac_f64_e32 v[188:189], v[182:183], v[132:133]
	v_fma_f64 v[132:133], v[180:181], v[132:133], -v[134:135]
	s_wait_loadcnt_dscnt 0x900
	v_mul_f64_e32 v[182:183], v[172:173], v[142:143]
	v_mul_f64_e32 v[142:143], v[174:175], v[142:143]
	v_add_f64_e32 v[180:181], v[184:185], v[190:191]
	v_fmac_f64_e32 v[186:187], v[6:7], v[136:137]
	v_add_f64_e32 v[134:135], v[194:195], v[192:193]
	v_fma_f64 v[136:137], v[4:5], v[136:137], -v[138:139]
	v_fmac_f64_e32 v[182:183], v[174:175], v[140:141]
	v_fma_f64 v[140:141], v[172:173], v[140:141], -v[142:143]
	v_add_f64_e32 v[180:181], v[180:181], v[188:189]
	v_add_f64_e32 v[138:139], v[134:135], v[132:133]
	ds_load_b128 v[4:7], v2 offset:1680
	ds_load_b128 v[132:135], v2 offset:1696
	s_wait_loadcnt_dscnt 0x801
	v_mul_f64_e32 v[184:185], v[4:5], v[146:147]
	v_mul_f64_e32 v[146:147], v[6:7], v[146:147]
	s_wait_loadcnt_dscnt 0x700
	v_mul_f64_e32 v[142:143], v[132:133], v[150:151]
	v_mul_f64_e32 v[150:151], v[134:135], v[150:151]
	v_add_f64_e32 v[136:137], v[138:139], v[136:137]
	v_add_f64_e32 v[138:139], v[180:181], v[186:187]
	v_fmac_f64_e32 v[184:185], v[6:7], v[144:145]
	v_fma_f64 v[144:145], v[4:5], v[144:145], -v[146:147]
	v_fmac_f64_e32 v[142:143], v[134:135], v[148:149]
	v_fma_f64 v[132:133], v[132:133], v[148:149], -v[150:151]
	v_add_f64_e32 v[140:141], v[136:137], v[140:141]
	v_add_f64_e32 v[146:147], v[138:139], v[182:183]
	ds_load_b128 v[4:7], v2 offset:1712
	ds_load_b128 v[136:139], v2 offset:1728
	s_wait_loadcnt_dscnt 0x601
	v_mul_f64_e32 v[172:173], v[4:5], v[154:155]
	v_mul_f64_e32 v[154:155], v[6:7], v[154:155]
	v_add_f64_e32 v[134:135], v[140:141], v[144:145]
	v_add_f64_e32 v[140:141], v[146:147], v[184:185]
	s_wait_loadcnt_dscnt 0x500
	v_mul_f64_e32 v[144:145], v[136:137], v[158:159]
	v_mul_f64_e32 v[146:147], v[138:139], v[158:159]
	v_fmac_f64_e32 v[172:173], v[6:7], v[152:153]
	v_fma_f64 v[148:149], v[4:5], v[152:153], -v[154:155]
	v_add_f64_e32 v[150:151], v[134:135], v[132:133]
	v_add_f64_e32 v[140:141], v[140:141], v[142:143]
	ds_load_b128 v[4:7], v2 offset:1744
	ds_load_b128 v[132:135], v2 offset:1760
	v_fmac_f64_e32 v[144:145], v[138:139], v[156:157]
	v_fma_f64 v[136:137], v[136:137], v[156:157], -v[146:147]
	s_wait_loadcnt_dscnt 0x401
	v_mul_f64_e32 v[142:143], v[4:5], v[166:167]
	v_mul_f64_e32 v[152:153], v[6:7], v[166:167]
	s_wait_loadcnt_dscnt 0x300
	v_mul_f64_e32 v[146:147], v[132:133], v[178:179]
	v_add_f64_e32 v[138:139], v[150:151], v[148:149]
	v_add_f64_e32 v[140:141], v[140:141], v[172:173]
	v_mul_f64_e32 v[148:149], v[134:135], v[178:179]
	v_fmac_f64_e32 v[142:143], v[6:7], v[164:165]
	v_fma_f64 v[150:151], v[4:5], v[164:165], -v[152:153]
	v_fmac_f64_e32 v[146:147], v[134:135], v[176:177]
	v_add_f64_e32 v[152:153], v[138:139], v[136:137]
	v_add_f64_e32 v[140:141], v[140:141], v[144:145]
	ds_load_b128 v[4:7], v2 offset:1776
	ds_load_b128 v[136:139], v2 offset:1792
	v_fma_f64 v[132:133], v[132:133], v[176:177], -v[148:149]
	s_wait_loadcnt_dscnt 0x201
	v_mul_f64_e32 v[144:145], v[4:5], v[162:163]
	v_mul_f64_e32 v[154:155], v[6:7], v[162:163]
	v_add_f64_e32 v[134:135], v[152:153], v[150:151]
	v_add_f64_e32 v[140:141], v[140:141], v[142:143]
	s_wait_loadcnt_dscnt 0x100
	v_mul_f64_e32 v[142:143], v[136:137], v[10:11]
	v_mul_f64_e32 v[10:11], v[138:139], v[10:11]
	v_fmac_f64_e32 v[144:145], v[6:7], v[160:161]
	v_fma_f64 v[148:149], v[4:5], v[160:161], -v[154:155]
	ds_load_b128 v[4:7], v2 offset:1808
	v_add_f64_e32 v[132:133], v[134:135], v[132:133]
	v_add_f64_e32 v[134:135], v[140:141], v[146:147]
	v_fmac_f64_e32 v[142:143], v[138:139], v[8:9]
	v_fma_f64 v[8:9], v[136:137], v[8:9], -v[10:11]
	s_wait_loadcnt_dscnt 0x0
	v_mul_f64_e32 v[140:141], v[4:5], v[130:131]
	v_mul_f64_e32 v[130:131], v[6:7], v[130:131]
	v_add_f64_e32 v[10:11], v[132:133], v[148:149]
	v_add_f64_e32 v[132:133], v[134:135], v[144:145]
	s_delay_alu instid0(VALU_DEP_4) | instskip(NEXT) | instid1(VALU_DEP_4)
	v_fmac_f64_e32 v[140:141], v[6:7], v[128:129]
	v_fma_f64 v[4:5], v[4:5], v[128:129], -v[130:131]
	s_delay_alu instid0(VALU_DEP_4) | instskip(NEXT) | instid1(VALU_DEP_4)
	v_add_f64_e32 v[6:7], v[10:11], v[8:9]
	v_add_f64_e32 v[8:9], v[132:133], v[142:143]
	s_delay_alu instid0(VALU_DEP_2) | instskip(NEXT) | instid1(VALU_DEP_2)
	v_add_f64_e32 v[4:5], v[6:7], v[4:5]
	v_add_f64_e32 v[6:7], v[8:9], v[140:141]
	s_delay_alu instid0(VALU_DEP_2) | instskip(NEXT) | instid1(VALU_DEP_2)
	v_add_f64_e64 v[4:5], v[168:169], -v[4:5]
	v_add_f64_e64 v[6:7], v[170:171], -v[6:7]
	scratch_store_b128 off, v[4:7], off offset:464
	s_wait_xcnt 0x0
	v_cmpx_lt_u32_e32 28, v1
	s_cbranch_execz .LBB120_299
; %bb.298:
	scratch_load_b128 v[6:9], off, s45
	v_dual_mov_b32 v3, v2 :: v_dual_mov_b32 v4, v2
	v_mov_b32_e32 v5, v2
	scratch_store_b128 off, v[2:5], off offset:448
	s_wait_loadcnt 0x0
	ds_store_b128 v12, v[6:9]
.LBB120_299:
	s_wait_xcnt 0x0
	s_or_b32 exec_lo, exec_lo, s2
	s_wait_storecnt_dscnt 0x0
	s_barrier_signal -1
	s_barrier_wait -1
	s_clause 0x9
	scratch_load_b128 v[4:7], off, off offset:464
	scratch_load_b128 v[8:11], off, off offset:480
	;; [unrolled: 1-line block ×10, first 2 shown]
	ds_load_b128 v[160:163], v2 offset:1376
	ds_load_b128 v[168:171], v2 offset:1392
	s_clause 0x2
	scratch_load_b128 v[164:167], off, off offset:624
	scratch_load_b128 v[172:175], off, off offset:448
	;; [unrolled: 1-line block ×3, first 2 shown]
	s_mov_b32 s2, exec_lo
	s_wait_loadcnt_dscnt 0xc01
	v_mul_f64_e32 v[180:181], v[162:163], v[6:7]
	v_mul_f64_e32 v[184:185], v[160:161], v[6:7]
	s_wait_loadcnt_dscnt 0xb00
	v_mul_f64_e32 v[186:187], v[168:169], v[10:11]
	v_mul_f64_e32 v[10:11], v[170:171], v[10:11]
	s_delay_alu instid0(VALU_DEP_4) | instskip(NEXT) | instid1(VALU_DEP_4)
	v_fma_f64 v[188:189], v[160:161], v[4:5], -v[180:181]
	v_fmac_f64_e32 v[184:185], v[162:163], v[4:5]
	ds_load_b128 v[4:7], v2 offset:1408
	ds_load_b128 v[160:163], v2 offset:1424
	scratch_load_b128 v[180:183], off, off offset:656
	v_fmac_f64_e32 v[186:187], v[170:171], v[8:9]
	v_fma_f64 v[168:169], v[168:169], v[8:9], -v[10:11]
	scratch_load_b128 v[8:11], off, off offset:672
	s_wait_loadcnt_dscnt 0xc01
	v_mul_f64_e32 v[190:191], v[4:5], v[130:131]
	v_mul_f64_e32 v[130:131], v[6:7], v[130:131]
	v_add_f64_e32 v[170:171], 0, v[188:189]
	v_add_f64_e32 v[184:185], 0, v[184:185]
	s_wait_loadcnt_dscnt 0xb00
	v_mul_f64_e32 v[188:189], v[160:161], v[134:135]
	v_mul_f64_e32 v[134:135], v[162:163], v[134:135]
	v_fmac_f64_e32 v[190:191], v[6:7], v[128:129]
	v_fma_f64 v[192:193], v[4:5], v[128:129], -v[130:131]
	ds_load_b128 v[4:7], v2 offset:1440
	ds_load_b128 v[128:131], v2 offset:1456
	v_add_f64_e32 v[194:195], v[170:171], v[168:169]
	v_add_f64_e32 v[184:185], v[184:185], v[186:187]
	scratch_load_b128 v[168:171], off, off offset:688
	v_fmac_f64_e32 v[188:189], v[162:163], v[132:133]
	v_fma_f64 v[160:161], v[160:161], v[132:133], -v[134:135]
	scratch_load_b128 v[132:135], off, off offset:704
	s_wait_loadcnt_dscnt 0xc01
	v_mul_f64_e32 v[186:187], v[4:5], v[138:139]
	v_mul_f64_e32 v[138:139], v[6:7], v[138:139]
	v_add_f64_e32 v[162:163], v[194:195], v[192:193]
	v_add_f64_e32 v[184:185], v[184:185], v[190:191]
	s_wait_loadcnt_dscnt 0xb00
	v_mul_f64_e32 v[190:191], v[128:129], v[142:143]
	v_mul_f64_e32 v[142:143], v[130:131], v[142:143]
	v_fmac_f64_e32 v[186:187], v[6:7], v[136:137]
	v_fma_f64 v[192:193], v[4:5], v[136:137], -v[138:139]
	ds_load_b128 v[4:7], v2 offset:1472
	ds_load_b128 v[136:139], v2 offset:1488
	v_add_f64_e32 v[194:195], v[162:163], v[160:161]
	v_add_f64_e32 v[184:185], v[184:185], v[188:189]
	scratch_load_b128 v[160:163], off, off offset:720
	s_wait_loadcnt_dscnt 0xb01
	v_mul_f64_e32 v[188:189], v[4:5], v[146:147]
	v_mul_f64_e32 v[146:147], v[6:7], v[146:147]
	v_fmac_f64_e32 v[190:191], v[130:131], v[140:141]
	v_fma_f64 v[140:141], v[128:129], v[140:141], -v[142:143]
	scratch_load_b128 v[128:131], off, off offset:736
	v_add_f64_e32 v[142:143], v[194:195], v[192:193]
	v_add_f64_e32 v[184:185], v[184:185], v[186:187]
	s_wait_loadcnt_dscnt 0xb00
	v_mul_f64_e32 v[186:187], v[136:137], v[150:151]
	v_mul_f64_e32 v[150:151], v[138:139], v[150:151]
	v_fmac_f64_e32 v[188:189], v[6:7], v[144:145]
	v_fma_f64 v[192:193], v[4:5], v[144:145], -v[146:147]
	v_add_f64_e32 v[194:195], v[142:143], v[140:141]
	v_add_f64_e32 v[184:185], v[184:185], v[190:191]
	ds_load_b128 v[4:7], v2 offset:1504
	ds_load_b128 v[140:143], v2 offset:1520
	scratch_load_b128 v[144:147], off, off offset:752
	v_fmac_f64_e32 v[186:187], v[138:139], v[148:149]
	v_fma_f64 v[148:149], v[136:137], v[148:149], -v[150:151]
	scratch_load_b128 v[136:139], off, off offset:768
	s_wait_loadcnt_dscnt 0xc01
	v_mul_f64_e32 v[190:191], v[4:5], v[154:155]
	v_mul_f64_e32 v[154:155], v[6:7], v[154:155]
	v_add_f64_e32 v[150:151], v[194:195], v[192:193]
	v_add_f64_e32 v[184:185], v[184:185], v[188:189]
	s_wait_loadcnt_dscnt 0xb00
	v_mul_f64_e32 v[188:189], v[140:141], v[158:159]
	v_mul_f64_e32 v[158:159], v[142:143], v[158:159]
	v_fmac_f64_e32 v[190:191], v[6:7], v[152:153]
	v_fma_f64 v[192:193], v[4:5], v[152:153], -v[154:155]
	v_add_f64_e32 v[194:195], v[150:151], v[148:149]
	v_add_f64_e32 v[184:185], v[184:185], v[186:187]
	ds_load_b128 v[4:7], v2 offset:1536
	ds_load_b128 v[148:151], v2 offset:1552
	scratch_load_b128 v[152:155], off, off offset:784
	v_fmac_f64_e32 v[188:189], v[142:143], v[156:157]
	v_fma_f64 v[156:157], v[140:141], v[156:157], -v[158:159]
	scratch_load_b128 v[140:143], off, off offset:800
	s_wait_loadcnt_dscnt 0xc01
	v_mul_f64_e32 v[186:187], v[4:5], v[166:167]
	v_mul_f64_e32 v[166:167], v[6:7], v[166:167]
	v_add_f64_e32 v[158:159], v[194:195], v[192:193]
	v_add_f64_e32 v[184:185], v[184:185], v[190:191]
	s_wait_loadcnt_dscnt 0xa00
	v_mul_f64_e32 v[190:191], v[148:149], v[178:179]
	v_mul_f64_e32 v[178:179], v[150:151], v[178:179]
	v_fmac_f64_e32 v[186:187], v[6:7], v[164:165]
	v_fma_f64 v[192:193], v[4:5], v[164:165], -v[166:167]
	v_add_f64_e32 v[194:195], v[158:159], v[156:157]
	v_add_f64_e32 v[184:185], v[184:185], v[188:189]
	ds_load_b128 v[4:7], v2 offset:1568
	ds_load_b128 v[156:159], v2 offset:1584
	scratch_load_b128 v[164:167], off, off offset:816
	v_fmac_f64_e32 v[190:191], v[150:151], v[176:177]
	v_fma_f64 v[176:177], v[148:149], v[176:177], -v[178:179]
	scratch_load_b128 v[148:151], off, off offset:832
	s_wait_loadcnt_dscnt 0xb01
	v_mul_f64_e32 v[188:189], v[4:5], v[182:183]
	v_mul_f64_e32 v[182:183], v[6:7], v[182:183]
	v_add_f64_e32 v[178:179], v[194:195], v[192:193]
	v_add_f64_e32 v[184:185], v[184:185], v[186:187]
	s_wait_loadcnt_dscnt 0xa00
	v_mul_f64_e32 v[186:187], v[156:157], v[10:11]
	v_mul_f64_e32 v[10:11], v[158:159], v[10:11]
	v_fmac_f64_e32 v[188:189], v[6:7], v[180:181]
	v_fma_f64 v[192:193], v[4:5], v[180:181], -v[182:183]
	v_add_f64_e32 v[194:195], v[178:179], v[176:177]
	v_add_f64_e32 v[184:185], v[184:185], v[190:191]
	ds_load_b128 v[4:7], v2 offset:1600
	ds_load_b128 v[176:179], v2 offset:1616
	scratch_load_b128 v[180:183], off, off offset:848
	v_fmac_f64_e32 v[186:187], v[158:159], v[8:9]
	v_fma_f64 v[156:157], v[156:157], v[8:9], -v[10:11]
	scratch_load_b128 v[8:11], off, off offset:864
	s_wait_loadcnt_dscnt 0xb01
	v_mul_f64_e32 v[190:191], v[4:5], v[170:171]
	v_mul_f64_e32 v[170:171], v[6:7], v[170:171]
	v_add_f64_e32 v[158:159], v[194:195], v[192:193]
	v_add_f64_e32 v[184:185], v[184:185], v[188:189]
	s_wait_loadcnt_dscnt 0xa00
	v_mul_f64_e32 v[188:189], v[176:177], v[134:135]
	v_mul_f64_e32 v[134:135], v[178:179], v[134:135]
	v_fmac_f64_e32 v[190:191], v[6:7], v[168:169]
	v_fma_f64 v[192:193], v[4:5], v[168:169], -v[170:171]
	v_add_f64_e32 v[194:195], v[158:159], v[156:157]
	v_add_f64_e32 v[184:185], v[184:185], v[186:187]
	ds_load_b128 v[4:7], v2 offset:1632
	ds_load_b128 v[156:159], v2 offset:1648
	scratch_load_b128 v[168:171], off, off offset:880
	v_fmac_f64_e32 v[188:189], v[178:179], v[132:133]
	v_fma_f64 v[176:177], v[176:177], v[132:133], -v[134:135]
	scratch_load_b128 v[132:135], off, off offset:896
	s_wait_loadcnt_dscnt 0xb01
	v_mul_f64_e32 v[186:187], v[4:5], v[162:163]
	v_mul_f64_e32 v[162:163], v[6:7], v[162:163]
	v_add_f64_e32 v[178:179], v[194:195], v[192:193]
	v_add_f64_e32 v[184:185], v[184:185], v[190:191]
	s_wait_loadcnt_dscnt 0xa00
	v_mul_f64_e32 v[190:191], v[156:157], v[130:131]
	v_mul_f64_e32 v[130:131], v[158:159], v[130:131]
	v_fmac_f64_e32 v[186:187], v[6:7], v[160:161]
	v_fma_f64 v[192:193], v[4:5], v[160:161], -v[162:163]
	ds_load_b128 v[4:7], v2 offset:1664
	ds_load_b128 v[160:163], v2 offset:1680
	v_add_f64_e32 v[176:177], v[178:179], v[176:177]
	v_add_f64_e32 v[178:179], v[184:185], v[188:189]
	v_fmac_f64_e32 v[190:191], v[158:159], v[128:129]
	v_fma_f64 v[128:129], v[156:157], v[128:129], -v[130:131]
	s_wait_loadcnt_dscnt 0x901
	v_mul_f64_e32 v[184:185], v[4:5], v[146:147]
	v_mul_f64_e32 v[146:147], v[6:7], v[146:147]
	s_wait_loadcnt_dscnt 0x800
	v_mul_f64_e32 v[158:159], v[160:161], v[138:139]
	v_mul_f64_e32 v[138:139], v[162:163], v[138:139]
	v_add_f64_e32 v[130:131], v[176:177], v[192:193]
	v_add_f64_e32 v[156:157], v[178:179], v[186:187]
	v_fmac_f64_e32 v[184:185], v[6:7], v[144:145]
	v_fma_f64 v[144:145], v[4:5], v[144:145], -v[146:147]
	v_fmac_f64_e32 v[158:159], v[162:163], v[136:137]
	v_fma_f64 v[136:137], v[160:161], v[136:137], -v[138:139]
	v_add_f64_e32 v[146:147], v[130:131], v[128:129]
	v_add_f64_e32 v[156:157], v[156:157], v[190:191]
	ds_load_b128 v[4:7], v2 offset:1696
	ds_load_b128 v[128:131], v2 offset:1712
	s_wait_loadcnt_dscnt 0x701
	v_mul_f64_e32 v[176:177], v[4:5], v[154:155]
	v_mul_f64_e32 v[154:155], v[6:7], v[154:155]
	v_add_f64_e32 v[138:139], v[146:147], v[144:145]
	v_add_f64_e32 v[144:145], v[156:157], v[184:185]
	s_wait_loadcnt_dscnt 0x600
	v_mul_f64_e32 v[146:147], v[128:129], v[142:143]
	v_mul_f64_e32 v[142:143], v[130:131], v[142:143]
	v_fmac_f64_e32 v[176:177], v[6:7], v[152:153]
	v_fma_f64 v[152:153], v[4:5], v[152:153], -v[154:155]
	v_add_f64_e32 v[154:155], v[138:139], v[136:137]
	v_add_f64_e32 v[144:145], v[144:145], v[158:159]
	ds_load_b128 v[4:7], v2 offset:1728
	ds_load_b128 v[136:139], v2 offset:1744
	v_fmac_f64_e32 v[146:147], v[130:131], v[140:141]
	v_fma_f64 v[128:129], v[128:129], v[140:141], -v[142:143]
	s_wait_loadcnt_dscnt 0x501
	v_mul_f64_e32 v[156:157], v[4:5], v[166:167]
	v_mul_f64_e32 v[158:159], v[6:7], v[166:167]
	s_wait_loadcnt_dscnt 0x400
	v_mul_f64_e32 v[142:143], v[136:137], v[150:151]
	v_add_f64_e32 v[130:131], v[154:155], v[152:153]
	v_add_f64_e32 v[140:141], v[144:145], v[176:177]
	v_mul_f64_e32 v[144:145], v[138:139], v[150:151]
	v_fmac_f64_e32 v[156:157], v[6:7], v[164:165]
	v_fma_f64 v[150:151], v[4:5], v[164:165], -v[158:159]
	v_fmac_f64_e32 v[142:143], v[138:139], v[148:149]
	v_add_f64_e32 v[152:153], v[130:131], v[128:129]
	v_add_f64_e32 v[140:141], v[140:141], v[146:147]
	ds_load_b128 v[4:7], v2 offset:1760
	ds_load_b128 v[128:131], v2 offset:1776
	v_fma_f64 v[136:137], v[136:137], v[148:149], -v[144:145]
	s_wait_loadcnt_dscnt 0x301
	v_mul_f64_e32 v[146:147], v[4:5], v[182:183]
	v_mul_f64_e32 v[154:155], v[6:7], v[182:183]
	s_wait_loadcnt_dscnt 0x200
	v_mul_f64_e32 v[144:145], v[128:129], v[10:11]
	v_mul_f64_e32 v[10:11], v[130:131], v[10:11]
	v_add_f64_e32 v[138:139], v[152:153], v[150:151]
	v_add_f64_e32 v[140:141], v[140:141], v[156:157]
	v_fmac_f64_e32 v[146:147], v[6:7], v[180:181]
	v_fma_f64 v[148:149], v[4:5], v[180:181], -v[154:155]
	v_fmac_f64_e32 v[144:145], v[130:131], v[8:9]
	v_fma_f64 v[8:9], v[128:129], v[8:9], -v[10:11]
	v_add_f64_e32 v[150:151], v[138:139], v[136:137]
	v_add_f64_e32 v[140:141], v[140:141], v[142:143]
	ds_load_b128 v[4:7], v2 offset:1792
	ds_load_b128 v[136:139], v2 offset:1808
	s_wait_loadcnt_dscnt 0x101
	v_mul_f64_e32 v[2:3], v[4:5], v[170:171]
	v_mul_f64_e32 v[142:143], v[6:7], v[170:171]
	s_wait_loadcnt_dscnt 0x0
	v_mul_f64_e32 v[130:131], v[136:137], v[134:135]
	v_mul_f64_e32 v[134:135], v[138:139], v[134:135]
	v_add_f64_e32 v[10:11], v[150:151], v[148:149]
	v_add_f64_e32 v[128:129], v[140:141], v[146:147]
	v_fmac_f64_e32 v[2:3], v[6:7], v[168:169]
	v_fma_f64 v[4:5], v[4:5], v[168:169], -v[142:143]
	v_fmac_f64_e32 v[130:131], v[138:139], v[132:133]
	v_add_f64_e32 v[6:7], v[10:11], v[8:9]
	v_add_f64_e32 v[8:9], v[128:129], v[144:145]
	v_fma_f64 v[10:11], v[136:137], v[132:133], -v[134:135]
	s_delay_alu instid0(VALU_DEP_3) | instskip(NEXT) | instid1(VALU_DEP_3)
	v_add_f64_e32 v[4:5], v[6:7], v[4:5]
	v_add_f64_e32 v[2:3], v[8:9], v[2:3]
	s_delay_alu instid0(VALU_DEP_2) | instskip(NEXT) | instid1(VALU_DEP_2)
	v_add_f64_e32 v[4:5], v[4:5], v[10:11]
	v_add_f64_e32 v[6:7], v[2:3], v[130:131]
	s_delay_alu instid0(VALU_DEP_2) | instskip(NEXT) | instid1(VALU_DEP_2)
	v_add_f64_e64 v[2:3], v[172:173], -v[4:5]
	v_add_f64_e64 v[4:5], v[174:175], -v[6:7]
	scratch_store_b128 off, v[2:5], off offset:448
	s_wait_xcnt 0x0
	v_cmpx_lt_u32_e32 27, v1
	s_cbranch_execz .LBB120_301
; %bb.300:
	scratch_load_b128 v[2:5], off, s46
	v_mov_b32_e32 v6, 0
	s_delay_alu instid0(VALU_DEP_1)
	v_dual_mov_b32 v7, v6 :: v_dual_mov_b32 v8, v6
	v_mov_b32_e32 v9, v6
	scratch_store_b128 off, v[6:9], off offset:432
	s_wait_loadcnt 0x0
	ds_store_b128 v12, v[2:5]
.LBB120_301:
	s_wait_xcnt 0x0
	s_or_b32 exec_lo, exec_lo, s2
	s_wait_storecnt_dscnt 0x0
	s_barrier_signal -1
	s_barrier_wait -1
	s_clause 0x9
	scratch_load_b128 v[4:7], off, off offset:448
	scratch_load_b128 v[8:11], off, off offset:464
	;; [unrolled: 1-line block ×10, first 2 shown]
	v_mov_b32_e32 v2, 0
	s_mov_b32 s2, exec_lo
	ds_load_b128 v[160:163], v2 offset:1360
	s_clause 0x2
	scratch_load_b128 v[164:167], off, off offset:608
	scratch_load_b128 v[168:171], off, off offset:432
	;; [unrolled: 1-line block ×3, first 2 shown]
	s_wait_loadcnt_dscnt 0xc00
	v_mul_f64_e32 v[180:181], v[162:163], v[6:7]
	v_mul_f64_e32 v[184:185], v[160:161], v[6:7]
	ds_load_b128 v[172:175], v2 offset:1376
	v_fma_f64 v[188:189], v[160:161], v[4:5], -v[180:181]
	v_fmac_f64_e32 v[184:185], v[162:163], v[4:5]
	ds_load_b128 v[4:7], v2 offset:1392
	s_wait_loadcnt_dscnt 0xb01
	v_mul_f64_e32 v[186:187], v[172:173], v[10:11]
	v_mul_f64_e32 v[10:11], v[174:175], v[10:11]
	scratch_load_b128 v[160:163], off, off offset:640
	ds_load_b128 v[180:183], v2 offset:1408
	s_wait_loadcnt_dscnt 0xb01
	v_mul_f64_e32 v[190:191], v[4:5], v[130:131]
	v_mul_f64_e32 v[130:131], v[6:7], v[130:131]
	v_add_f64_e32 v[184:185], 0, v[184:185]
	v_fmac_f64_e32 v[186:187], v[174:175], v[8:9]
	v_fma_f64 v[172:173], v[172:173], v[8:9], -v[10:11]
	v_add_f64_e32 v[174:175], 0, v[188:189]
	scratch_load_b128 v[8:11], off, off offset:656
	v_fmac_f64_e32 v[190:191], v[6:7], v[128:129]
	v_fma_f64 v[192:193], v[4:5], v[128:129], -v[130:131]
	ds_load_b128 v[4:7], v2 offset:1424
	s_wait_loadcnt_dscnt 0xb01
	v_mul_f64_e32 v[188:189], v[180:181], v[134:135]
	v_mul_f64_e32 v[134:135], v[182:183], v[134:135]
	scratch_load_b128 v[128:131], off, off offset:672
	v_add_f64_e32 v[184:185], v[184:185], v[186:187]
	v_add_f64_e32 v[194:195], v[174:175], v[172:173]
	ds_load_b128 v[172:175], v2 offset:1440
	s_wait_loadcnt_dscnt 0xb01
	v_mul_f64_e32 v[186:187], v[4:5], v[138:139]
	v_mul_f64_e32 v[138:139], v[6:7], v[138:139]
	v_fmac_f64_e32 v[188:189], v[182:183], v[132:133]
	v_fma_f64 v[180:181], v[180:181], v[132:133], -v[134:135]
	scratch_load_b128 v[132:135], off, off offset:688
	v_add_f64_e32 v[184:185], v[184:185], v[190:191]
	v_add_f64_e32 v[182:183], v[194:195], v[192:193]
	v_fmac_f64_e32 v[186:187], v[6:7], v[136:137]
	v_fma_f64 v[192:193], v[4:5], v[136:137], -v[138:139]
	ds_load_b128 v[4:7], v2 offset:1456
	s_wait_loadcnt_dscnt 0xb01
	v_mul_f64_e32 v[190:191], v[172:173], v[142:143]
	v_mul_f64_e32 v[142:143], v[174:175], v[142:143]
	scratch_load_b128 v[136:139], off, off offset:704
	v_add_f64_e32 v[184:185], v[184:185], v[188:189]
	s_wait_loadcnt_dscnt 0xb00
	v_mul_f64_e32 v[188:189], v[4:5], v[146:147]
	v_add_f64_e32 v[194:195], v[182:183], v[180:181]
	v_mul_f64_e32 v[146:147], v[6:7], v[146:147]
	ds_load_b128 v[180:183], v2 offset:1472
	v_fmac_f64_e32 v[190:191], v[174:175], v[140:141]
	v_fma_f64 v[172:173], v[172:173], v[140:141], -v[142:143]
	scratch_load_b128 v[140:143], off, off offset:720
	v_add_f64_e32 v[184:185], v[184:185], v[186:187]
	v_fmac_f64_e32 v[188:189], v[6:7], v[144:145]
	v_add_f64_e32 v[174:175], v[194:195], v[192:193]
	v_fma_f64 v[192:193], v[4:5], v[144:145], -v[146:147]
	ds_load_b128 v[4:7], v2 offset:1488
	s_wait_loadcnt_dscnt 0xb01
	v_mul_f64_e32 v[186:187], v[180:181], v[150:151]
	v_mul_f64_e32 v[150:151], v[182:183], v[150:151]
	scratch_load_b128 v[144:147], off, off offset:736
	v_add_f64_e32 v[184:185], v[184:185], v[190:191]
	s_wait_loadcnt_dscnt 0xb00
	v_mul_f64_e32 v[190:191], v[4:5], v[154:155]
	v_add_f64_e32 v[194:195], v[174:175], v[172:173]
	v_mul_f64_e32 v[154:155], v[6:7], v[154:155]
	ds_load_b128 v[172:175], v2 offset:1504
	v_fmac_f64_e32 v[186:187], v[182:183], v[148:149]
	v_fma_f64 v[180:181], v[180:181], v[148:149], -v[150:151]
	scratch_load_b128 v[148:151], off, off offset:752
	v_add_f64_e32 v[184:185], v[184:185], v[188:189]
	v_fmac_f64_e32 v[190:191], v[6:7], v[152:153]
	v_add_f64_e32 v[182:183], v[194:195], v[192:193]
	v_fma_f64 v[192:193], v[4:5], v[152:153], -v[154:155]
	ds_load_b128 v[4:7], v2 offset:1520
	s_wait_loadcnt_dscnt 0xb01
	v_mul_f64_e32 v[188:189], v[172:173], v[158:159]
	v_mul_f64_e32 v[158:159], v[174:175], v[158:159]
	scratch_load_b128 v[152:155], off, off offset:768
	v_add_f64_e32 v[184:185], v[184:185], v[186:187]
	s_wait_loadcnt_dscnt 0xb00
	v_mul_f64_e32 v[186:187], v[4:5], v[166:167]
	v_add_f64_e32 v[194:195], v[182:183], v[180:181]
	v_mul_f64_e32 v[166:167], v[6:7], v[166:167]
	ds_load_b128 v[180:183], v2 offset:1536
	v_fmac_f64_e32 v[188:189], v[174:175], v[156:157]
	v_fma_f64 v[172:173], v[172:173], v[156:157], -v[158:159]
	scratch_load_b128 v[156:159], off, off offset:784
	v_add_f64_e32 v[184:185], v[184:185], v[190:191]
	v_fmac_f64_e32 v[186:187], v[6:7], v[164:165]
	v_add_f64_e32 v[174:175], v[194:195], v[192:193]
	v_fma_f64 v[192:193], v[4:5], v[164:165], -v[166:167]
	ds_load_b128 v[4:7], v2 offset:1552
	s_wait_loadcnt_dscnt 0xa01
	v_mul_f64_e32 v[190:191], v[180:181], v[178:179]
	v_mul_f64_e32 v[178:179], v[182:183], v[178:179]
	scratch_load_b128 v[164:167], off, off offset:800
	v_add_f64_e32 v[184:185], v[184:185], v[188:189]
	v_add_f64_e32 v[194:195], v[174:175], v[172:173]
	s_wait_loadcnt_dscnt 0xa00
	v_mul_f64_e32 v[188:189], v[4:5], v[162:163]
	v_mul_f64_e32 v[162:163], v[6:7], v[162:163]
	v_fmac_f64_e32 v[190:191], v[182:183], v[176:177]
	v_fma_f64 v[180:181], v[180:181], v[176:177], -v[178:179]
	ds_load_b128 v[172:175], v2 offset:1568
	scratch_load_b128 v[176:179], off, off offset:816
	v_add_f64_e32 v[184:185], v[184:185], v[186:187]
	v_add_f64_e32 v[182:183], v[194:195], v[192:193]
	v_fmac_f64_e32 v[188:189], v[6:7], v[160:161]
	v_fma_f64 v[192:193], v[4:5], v[160:161], -v[162:163]
	ds_load_b128 v[4:7], v2 offset:1584
	s_wait_loadcnt_dscnt 0xa01
	v_mul_f64_e32 v[186:187], v[172:173], v[10:11]
	v_mul_f64_e32 v[10:11], v[174:175], v[10:11]
	scratch_load_b128 v[160:163], off, off offset:832
	v_add_f64_e32 v[184:185], v[184:185], v[190:191]
	s_wait_loadcnt_dscnt 0xa00
	v_mul_f64_e32 v[190:191], v[4:5], v[130:131]
	v_add_f64_e32 v[194:195], v[182:183], v[180:181]
	v_mul_f64_e32 v[130:131], v[6:7], v[130:131]
	ds_load_b128 v[180:183], v2 offset:1600
	v_fmac_f64_e32 v[186:187], v[174:175], v[8:9]
	v_fma_f64 v[172:173], v[172:173], v[8:9], -v[10:11]
	scratch_load_b128 v[8:11], off, off offset:848
	v_add_f64_e32 v[184:185], v[184:185], v[188:189]
	v_fmac_f64_e32 v[190:191], v[6:7], v[128:129]
	v_add_f64_e32 v[174:175], v[194:195], v[192:193]
	v_fma_f64 v[192:193], v[4:5], v[128:129], -v[130:131]
	ds_load_b128 v[4:7], v2 offset:1616
	s_wait_loadcnt_dscnt 0xa01
	v_mul_f64_e32 v[188:189], v[180:181], v[134:135]
	v_mul_f64_e32 v[134:135], v[182:183], v[134:135]
	scratch_load_b128 v[128:131], off, off offset:864
	v_add_f64_e32 v[184:185], v[184:185], v[186:187]
	s_wait_loadcnt_dscnt 0xa00
	v_mul_f64_e32 v[186:187], v[4:5], v[138:139]
	v_add_f64_e32 v[194:195], v[174:175], v[172:173]
	v_mul_f64_e32 v[138:139], v[6:7], v[138:139]
	ds_load_b128 v[172:175], v2 offset:1632
	v_fmac_f64_e32 v[188:189], v[182:183], v[132:133]
	v_fma_f64 v[180:181], v[180:181], v[132:133], -v[134:135]
	scratch_load_b128 v[132:135], off, off offset:880
	v_add_f64_e32 v[184:185], v[184:185], v[190:191]
	v_fmac_f64_e32 v[186:187], v[6:7], v[136:137]
	v_add_f64_e32 v[182:183], v[194:195], v[192:193]
	v_fma_f64 v[192:193], v[4:5], v[136:137], -v[138:139]
	ds_load_b128 v[4:7], v2 offset:1648
	s_wait_loadcnt_dscnt 0xa01
	v_mul_f64_e32 v[190:191], v[172:173], v[142:143]
	v_mul_f64_e32 v[142:143], v[174:175], v[142:143]
	scratch_load_b128 v[136:139], off, off offset:896
	v_add_f64_e32 v[184:185], v[184:185], v[188:189]
	s_wait_loadcnt_dscnt 0xa00
	v_mul_f64_e32 v[188:189], v[4:5], v[146:147]
	v_add_f64_e32 v[194:195], v[182:183], v[180:181]
	v_mul_f64_e32 v[146:147], v[6:7], v[146:147]
	ds_load_b128 v[180:183], v2 offset:1664
	v_fmac_f64_e32 v[190:191], v[174:175], v[140:141]
	v_fma_f64 v[140:141], v[172:173], v[140:141], -v[142:143]
	s_wait_loadcnt_dscnt 0x900
	v_mul_f64_e32 v[174:175], v[180:181], v[150:151]
	v_mul_f64_e32 v[150:151], v[182:183], v[150:151]
	v_add_f64_e32 v[172:173], v[184:185], v[186:187]
	v_fmac_f64_e32 v[188:189], v[6:7], v[144:145]
	v_add_f64_e32 v[142:143], v[194:195], v[192:193]
	v_fma_f64 v[144:145], v[4:5], v[144:145], -v[146:147]
	v_fmac_f64_e32 v[174:175], v[182:183], v[148:149]
	v_fma_f64 v[148:149], v[180:181], v[148:149], -v[150:151]
	v_add_f64_e32 v[172:173], v[172:173], v[190:191]
	v_add_f64_e32 v[146:147], v[142:143], v[140:141]
	ds_load_b128 v[4:7], v2 offset:1680
	ds_load_b128 v[140:143], v2 offset:1696
	s_wait_loadcnt_dscnt 0x801
	v_mul_f64_e32 v[184:185], v[4:5], v[154:155]
	v_mul_f64_e32 v[154:155], v[6:7], v[154:155]
	s_wait_loadcnt_dscnt 0x700
	v_mul_f64_e32 v[150:151], v[140:141], v[158:159]
	v_mul_f64_e32 v[158:159], v[142:143], v[158:159]
	v_add_f64_e32 v[144:145], v[146:147], v[144:145]
	v_add_f64_e32 v[146:147], v[172:173], v[188:189]
	v_fmac_f64_e32 v[184:185], v[6:7], v[152:153]
	v_fma_f64 v[152:153], v[4:5], v[152:153], -v[154:155]
	v_fmac_f64_e32 v[150:151], v[142:143], v[156:157]
	v_fma_f64 v[140:141], v[140:141], v[156:157], -v[158:159]
	v_add_f64_e32 v[148:149], v[144:145], v[148:149]
	v_add_f64_e32 v[154:155], v[146:147], v[174:175]
	ds_load_b128 v[4:7], v2 offset:1712
	ds_load_b128 v[144:147], v2 offset:1728
	s_wait_loadcnt_dscnt 0x601
	v_mul_f64_e32 v[172:173], v[4:5], v[166:167]
	v_mul_f64_e32 v[166:167], v[6:7], v[166:167]
	v_add_f64_e32 v[142:143], v[148:149], v[152:153]
	v_add_f64_e32 v[148:149], v[154:155], v[184:185]
	s_wait_loadcnt_dscnt 0x500
	v_mul_f64_e32 v[152:153], v[144:145], v[178:179]
	v_mul_f64_e32 v[154:155], v[146:147], v[178:179]
	v_fmac_f64_e32 v[172:173], v[6:7], v[164:165]
	v_fma_f64 v[156:157], v[4:5], v[164:165], -v[166:167]
	v_add_f64_e32 v[158:159], v[142:143], v[140:141]
	v_add_f64_e32 v[148:149], v[148:149], v[150:151]
	ds_load_b128 v[4:7], v2 offset:1744
	ds_load_b128 v[140:143], v2 offset:1760
	v_fmac_f64_e32 v[152:153], v[146:147], v[176:177]
	v_fma_f64 v[144:145], v[144:145], v[176:177], -v[154:155]
	s_wait_loadcnt_dscnt 0x401
	v_mul_f64_e32 v[150:151], v[4:5], v[162:163]
	v_mul_f64_e32 v[162:163], v[6:7], v[162:163]
	s_wait_loadcnt_dscnt 0x300
	v_mul_f64_e32 v[154:155], v[140:141], v[10:11]
	v_mul_f64_e32 v[10:11], v[142:143], v[10:11]
	v_add_f64_e32 v[146:147], v[158:159], v[156:157]
	v_add_f64_e32 v[148:149], v[148:149], v[172:173]
	v_fmac_f64_e32 v[150:151], v[6:7], v[160:161]
	v_fma_f64 v[156:157], v[4:5], v[160:161], -v[162:163]
	v_fmac_f64_e32 v[154:155], v[142:143], v[8:9]
	v_fma_f64 v[8:9], v[140:141], v[8:9], -v[10:11]
	v_add_f64_e32 v[158:159], v[146:147], v[144:145]
	v_add_f64_e32 v[148:149], v[148:149], v[152:153]
	ds_load_b128 v[4:7], v2 offset:1776
	ds_load_b128 v[144:147], v2 offset:1792
	s_wait_loadcnt_dscnt 0x201
	v_mul_f64_e32 v[152:153], v[4:5], v[130:131]
	v_mul_f64_e32 v[130:131], v[6:7], v[130:131]
	s_wait_loadcnt_dscnt 0x100
	v_mul_f64_e32 v[142:143], v[144:145], v[134:135]
	v_mul_f64_e32 v[134:135], v[146:147], v[134:135]
	v_add_f64_e32 v[10:11], v[158:159], v[156:157]
	v_add_f64_e32 v[140:141], v[148:149], v[150:151]
	v_fmac_f64_e32 v[152:153], v[6:7], v[128:129]
	v_fma_f64 v[128:129], v[4:5], v[128:129], -v[130:131]
	ds_load_b128 v[4:7], v2 offset:1808
	v_fmac_f64_e32 v[142:143], v[146:147], v[132:133]
	v_fma_f64 v[132:133], v[144:145], v[132:133], -v[134:135]
	v_add_f64_e32 v[8:9], v[10:11], v[8:9]
	v_add_f64_e32 v[10:11], v[140:141], v[154:155]
	s_wait_loadcnt_dscnt 0x0
	v_mul_f64_e32 v[130:131], v[4:5], v[138:139]
	v_mul_f64_e32 v[138:139], v[6:7], v[138:139]
	s_delay_alu instid0(VALU_DEP_4) | instskip(NEXT) | instid1(VALU_DEP_4)
	v_add_f64_e32 v[8:9], v[8:9], v[128:129]
	v_add_f64_e32 v[10:11], v[10:11], v[152:153]
	s_delay_alu instid0(VALU_DEP_4) | instskip(NEXT) | instid1(VALU_DEP_4)
	v_fmac_f64_e32 v[130:131], v[6:7], v[136:137]
	v_fma_f64 v[4:5], v[4:5], v[136:137], -v[138:139]
	s_delay_alu instid0(VALU_DEP_4) | instskip(NEXT) | instid1(VALU_DEP_4)
	v_add_f64_e32 v[6:7], v[8:9], v[132:133]
	v_add_f64_e32 v[8:9], v[10:11], v[142:143]
	s_delay_alu instid0(VALU_DEP_2) | instskip(NEXT) | instid1(VALU_DEP_2)
	v_add_f64_e32 v[4:5], v[6:7], v[4:5]
	v_add_f64_e32 v[6:7], v[8:9], v[130:131]
	s_delay_alu instid0(VALU_DEP_2) | instskip(NEXT) | instid1(VALU_DEP_2)
	v_add_f64_e64 v[4:5], v[168:169], -v[4:5]
	v_add_f64_e64 v[6:7], v[170:171], -v[6:7]
	scratch_store_b128 off, v[4:7], off offset:432
	s_wait_xcnt 0x0
	v_cmpx_lt_u32_e32 26, v1
	s_cbranch_execz .LBB120_303
; %bb.302:
	scratch_load_b128 v[6:9], off, s47
	v_dual_mov_b32 v3, v2 :: v_dual_mov_b32 v4, v2
	v_mov_b32_e32 v5, v2
	scratch_store_b128 off, v[2:5], off offset:416
	s_wait_loadcnt 0x0
	ds_store_b128 v12, v[6:9]
.LBB120_303:
	s_wait_xcnt 0x0
	s_or_b32 exec_lo, exec_lo, s2
	s_wait_storecnt_dscnt 0x0
	s_barrier_signal -1
	s_barrier_wait -1
	s_clause 0x9
	scratch_load_b128 v[4:7], off, off offset:432
	scratch_load_b128 v[8:11], off, off offset:448
	;; [unrolled: 1-line block ×10, first 2 shown]
	ds_load_b128 v[160:163], v2 offset:1344
	ds_load_b128 v[168:171], v2 offset:1360
	s_clause 0x2
	scratch_load_b128 v[164:167], off, off offset:592
	scratch_load_b128 v[172:175], off, off offset:416
	;; [unrolled: 1-line block ×3, first 2 shown]
	s_mov_b32 s2, exec_lo
	s_wait_loadcnt_dscnt 0xc01
	v_mul_f64_e32 v[180:181], v[162:163], v[6:7]
	v_mul_f64_e32 v[184:185], v[160:161], v[6:7]
	s_wait_loadcnt_dscnt 0xb00
	v_mul_f64_e32 v[186:187], v[168:169], v[10:11]
	v_mul_f64_e32 v[10:11], v[170:171], v[10:11]
	s_delay_alu instid0(VALU_DEP_4) | instskip(NEXT) | instid1(VALU_DEP_4)
	v_fma_f64 v[188:189], v[160:161], v[4:5], -v[180:181]
	v_fmac_f64_e32 v[184:185], v[162:163], v[4:5]
	ds_load_b128 v[4:7], v2 offset:1376
	ds_load_b128 v[160:163], v2 offset:1392
	scratch_load_b128 v[180:183], off, off offset:624
	v_fmac_f64_e32 v[186:187], v[170:171], v[8:9]
	v_fma_f64 v[168:169], v[168:169], v[8:9], -v[10:11]
	scratch_load_b128 v[8:11], off, off offset:640
	s_wait_loadcnt_dscnt 0xc01
	v_mul_f64_e32 v[190:191], v[4:5], v[130:131]
	v_mul_f64_e32 v[130:131], v[6:7], v[130:131]
	v_add_f64_e32 v[170:171], 0, v[188:189]
	v_add_f64_e32 v[184:185], 0, v[184:185]
	s_wait_loadcnt_dscnt 0xb00
	v_mul_f64_e32 v[188:189], v[160:161], v[134:135]
	v_mul_f64_e32 v[134:135], v[162:163], v[134:135]
	v_fmac_f64_e32 v[190:191], v[6:7], v[128:129]
	v_fma_f64 v[192:193], v[4:5], v[128:129], -v[130:131]
	ds_load_b128 v[4:7], v2 offset:1408
	ds_load_b128 v[128:131], v2 offset:1424
	v_add_f64_e32 v[194:195], v[170:171], v[168:169]
	v_add_f64_e32 v[184:185], v[184:185], v[186:187]
	scratch_load_b128 v[168:171], off, off offset:656
	v_fmac_f64_e32 v[188:189], v[162:163], v[132:133]
	v_fma_f64 v[160:161], v[160:161], v[132:133], -v[134:135]
	scratch_load_b128 v[132:135], off, off offset:672
	s_wait_loadcnt_dscnt 0xc01
	v_mul_f64_e32 v[186:187], v[4:5], v[138:139]
	v_mul_f64_e32 v[138:139], v[6:7], v[138:139]
	v_add_f64_e32 v[162:163], v[194:195], v[192:193]
	v_add_f64_e32 v[184:185], v[184:185], v[190:191]
	s_wait_loadcnt_dscnt 0xb00
	v_mul_f64_e32 v[190:191], v[128:129], v[142:143]
	v_mul_f64_e32 v[142:143], v[130:131], v[142:143]
	v_fmac_f64_e32 v[186:187], v[6:7], v[136:137]
	v_fma_f64 v[192:193], v[4:5], v[136:137], -v[138:139]
	ds_load_b128 v[4:7], v2 offset:1440
	ds_load_b128 v[136:139], v2 offset:1456
	v_add_f64_e32 v[194:195], v[162:163], v[160:161]
	v_add_f64_e32 v[184:185], v[184:185], v[188:189]
	scratch_load_b128 v[160:163], off, off offset:688
	s_wait_loadcnt_dscnt 0xb01
	v_mul_f64_e32 v[188:189], v[4:5], v[146:147]
	v_mul_f64_e32 v[146:147], v[6:7], v[146:147]
	v_fmac_f64_e32 v[190:191], v[130:131], v[140:141]
	v_fma_f64 v[140:141], v[128:129], v[140:141], -v[142:143]
	scratch_load_b128 v[128:131], off, off offset:704
	v_add_f64_e32 v[142:143], v[194:195], v[192:193]
	v_add_f64_e32 v[184:185], v[184:185], v[186:187]
	s_wait_loadcnt_dscnt 0xb00
	v_mul_f64_e32 v[186:187], v[136:137], v[150:151]
	v_mul_f64_e32 v[150:151], v[138:139], v[150:151]
	v_fmac_f64_e32 v[188:189], v[6:7], v[144:145]
	v_fma_f64 v[192:193], v[4:5], v[144:145], -v[146:147]
	v_add_f64_e32 v[194:195], v[142:143], v[140:141]
	v_add_f64_e32 v[184:185], v[184:185], v[190:191]
	ds_load_b128 v[4:7], v2 offset:1472
	ds_load_b128 v[140:143], v2 offset:1488
	scratch_load_b128 v[144:147], off, off offset:720
	v_fmac_f64_e32 v[186:187], v[138:139], v[148:149]
	v_fma_f64 v[148:149], v[136:137], v[148:149], -v[150:151]
	scratch_load_b128 v[136:139], off, off offset:736
	s_wait_loadcnt_dscnt 0xc01
	v_mul_f64_e32 v[190:191], v[4:5], v[154:155]
	v_mul_f64_e32 v[154:155], v[6:7], v[154:155]
	v_add_f64_e32 v[150:151], v[194:195], v[192:193]
	v_add_f64_e32 v[184:185], v[184:185], v[188:189]
	s_wait_loadcnt_dscnt 0xb00
	v_mul_f64_e32 v[188:189], v[140:141], v[158:159]
	v_mul_f64_e32 v[158:159], v[142:143], v[158:159]
	v_fmac_f64_e32 v[190:191], v[6:7], v[152:153]
	v_fma_f64 v[192:193], v[4:5], v[152:153], -v[154:155]
	v_add_f64_e32 v[194:195], v[150:151], v[148:149]
	v_add_f64_e32 v[184:185], v[184:185], v[186:187]
	ds_load_b128 v[4:7], v2 offset:1504
	ds_load_b128 v[148:151], v2 offset:1520
	scratch_load_b128 v[152:155], off, off offset:752
	v_fmac_f64_e32 v[188:189], v[142:143], v[156:157]
	v_fma_f64 v[156:157], v[140:141], v[156:157], -v[158:159]
	scratch_load_b128 v[140:143], off, off offset:768
	s_wait_loadcnt_dscnt 0xc01
	v_mul_f64_e32 v[186:187], v[4:5], v[166:167]
	v_mul_f64_e32 v[166:167], v[6:7], v[166:167]
	;; [unrolled: 18-line block ×5, first 2 shown]
	v_add_f64_e32 v[178:179], v[194:195], v[192:193]
	v_add_f64_e32 v[184:185], v[184:185], v[190:191]
	s_wait_loadcnt_dscnt 0xa00
	v_mul_f64_e32 v[190:191], v[156:157], v[130:131]
	v_mul_f64_e32 v[130:131], v[158:159], v[130:131]
	v_fmac_f64_e32 v[186:187], v[6:7], v[160:161]
	v_fma_f64 v[192:193], v[4:5], v[160:161], -v[162:163]
	ds_load_b128 v[4:7], v2 offset:1632
	ds_load_b128 v[160:163], v2 offset:1648
	v_add_f64_e32 v[194:195], v[178:179], v[176:177]
	v_add_f64_e32 v[184:185], v[184:185], v[188:189]
	scratch_load_b128 v[176:179], off, off offset:880
	v_fmac_f64_e32 v[190:191], v[158:159], v[128:129]
	v_fma_f64 v[156:157], v[156:157], v[128:129], -v[130:131]
	scratch_load_b128 v[128:131], off, off offset:896
	s_wait_loadcnt_dscnt 0xb01
	v_mul_f64_e32 v[188:189], v[4:5], v[146:147]
	v_mul_f64_e32 v[146:147], v[6:7], v[146:147]
	v_add_f64_e32 v[158:159], v[194:195], v[192:193]
	v_add_f64_e32 v[184:185], v[184:185], v[186:187]
	s_wait_loadcnt_dscnt 0xa00
	v_mul_f64_e32 v[186:187], v[160:161], v[138:139]
	v_mul_f64_e32 v[138:139], v[162:163], v[138:139]
	v_fmac_f64_e32 v[188:189], v[6:7], v[144:145]
	v_fma_f64 v[192:193], v[4:5], v[144:145], -v[146:147]
	ds_load_b128 v[4:7], v2 offset:1664
	ds_load_b128 v[144:147], v2 offset:1680
	v_add_f64_e32 v[156:157], v[158:159], v[156:157]
	v_add_f64_e32 v[158:159], v[184:185], v[190:191]
	v_fmac_f64_e32 v[186:187], v[162:163], v[136:137]
	s_wait_loadcnt_dscnt 0x901
	v_mul_f64_e32 v[184:185], v[4:5], v[154:155]
	v_mul_f64_e32 v[154:155], v[6:7], v[154:155]
	v_fma_f64 v[136:137], v[160:161], v[136:137], -v[138:139]
	v_add_f64_e32 v[138:139], v[156:157], v[192:193]
	v_add_f64_e32 v[156:157], v[158:159], v[188:189]
	s_wait_loadcnt_dscnt 0x800
	v_mul_f64_e32 v[158:159], v[144:145], v[142:143]
	v_mul_f64_e32 v[142:143], v[146:147], v[142:143]
	v_fmac_f64_e32 v[184:185], v[6:7], v[152:153]
	v_fma_f64 v[152:153], v[4:5], v[152:153], -v[154:155]
	v_add_f64_e32 v[154:155], v[138:139], v[136:137]
	v_add_f64_e32 v[156:157], v[156:157], v[186:187]
	ds_load_b128 v[4:7], v2 offset:1696
	ds_load_b128 v[136:139], v2 offset:1712
	v_fmac_f64_e32 v[158:159], v[146:147], v[140:141]
	v_fma_f64 v[140:141], v[144:145], v[140:141], -v[142:143]
	s_wait_loadcnt_dscnt 0x701
	v_mul_f64_e32 v[160:161], v[4:5], v[166:167]
	v_mul_f64_e32 v[162:163], v[6:7], v[166:167]
	s_wait_loadcnt_dscnt 0x600
	v_mul_f64_e32 v[146:147], v[136:137], v[150:151]
	v_mul_f64_e32 v[150:151], v[138:139], v[150:151]
	v_add_f64_e32 v[142:143], v[154:155], v[152:153]
	v_add_f64_e32 v[144:145], v[156:157], v[184:185]
	v_fmac_f64_e32 v[160:161], v[6:7], v[164:165]
	v_fma_f64 v[152:153], v[4:5], v[164:165], -v[162:163]
	v_fmac_f64_e32 v[146:147], v[138:139], v[148:149]
	v_fma_f64 v[136:137], v[136:137], v[148:149], -v[150:151]
	v_add_f64_e32 v[154:155], v[142:143], v[140:141]
	v_add_f64_e32 v[144:145], v[144:145], v[158:159]
	ds_load_b128 v[4:7], v2 offset:1728
	ds_load_b128 v[140:143], v2 offset:1744
	s_wait_loadcnt_dscnt 0x501
	v_mul_f64_e32 v[156:157], v[4:5], v[182:183]
	v_mul_f64_e32 v[158:159], v[6:7], v[182:183]
	s_wait_loadcnt_dscnt 0x400
	v_mul_f64_e32 v[148:149], v[140:141], v[10:11]
	v_mul_f64_e32 v[10:11], v[142:143], v[10:11]
	v_add_f64_e32 v[138:139], v[154:155], v[152:153]
	v_add_f64_e32 v[144:145], v[144:145], v[160:161]
	v_fmac_f64_e32 v[156:157], v[6:7], v[180:181]
	v_fma_f64 v[150:151], v[4:5], v[180:181], -v[158:159]
	v_fmac_f64_e32 v[148:149], v[142:143], v[8:9]
	v_fma_f64 v[8:9], v[140:141], v[8:9], -v[10:11]
	v_add_f64_e32 v[152:153], v[138:139], v[136:137]
	v_add_f64_e32 v[144:145], v[144:145], v[146:147]
	ds_load_b128 v[4:7], v2 offset:1760
	ds_load_b128 v[136:139], v2 offset:1776
	;; [unrolled: 16-line block ×3, first 2 shown]
	s_wait_loadcnt_dscnt 0x101
	v_mul_f64_e32 v[2:3], v[4:5], v[178:179]
	v_mul_f64_e32 v[148:149], v[6:7], v[178:179]
	s_wait_loadcnt_dscnt 0x0
	v_mul_f64_e32 v[138:139], v[8:9], v[130:131]
	v_mul_f64_e32 v[130:131], v[10:11], v[130:131]
	v_add_f64_e32 v[134:135], v[150:151], v[144:145]
	v_add_f64_e32 v[136:137], v[140:141], v[146:147]
	v_fmac_f64_e32 v[2:3], v[6:7], v[176:177]
	v_fma_f64 v[4:5], v[4:5], v[176:177], -v[148:149]
	v_fmac_f64_e32 v[138:139], v[10:11], v[128:129]
	v_fma_f64 v[8:9], v[8:9], v[128:129], -v[130:131]
	v_add_f64_e32 v[6:7], v[134:135], v[132:133]
	v_add_f64_e32 v[132:133], v[136:137], v[142:143]
	s_delay_alu instid0(VALU_DEP_2) | instskip(NEXT) | instid1(VALU_DEP_2)
	v_add_f64_e32 v[4:5], v[6:7], v[4:5]
	v_add_f64_e32 v[2:3], v[132:133], v[2:3]
	s_delay_alu instid0(VALU_DEP_2) | instskip(NEXT) | instid1(VALU_DEP_2)
	;; [unrolled: 3-line block ×3, first 2 shown]
	v_add_f64_e64 v[2:3], v[172:173], -v[4:5]
	v_add_f64_e64 v[4:5], v[174:175], -v[6:7]
	scratch_store_b128 off, v[2:5], off offset:416
	s_wait_xcnt 0x0
	v_cmpx_lt_u32_e32 25, v1
	s_cbranch_execz .LBB120_305
; %bb.304:
	scratch_load_b128 v[2:5], off, s48
	v_mov_b32_e32 v6, 0
	s_delay_alu instid0(VALU_DEP_1)
	v_dual_mov_b32 v7, v6 :: v_dual_mov_b32 v8, v6
	v_mov_b32_e32 v9, v6
	scratch_store_b128 off, v[6:9], off offset:400
	s_wait_loadcnt 0x0
	ds_store_b128 v12, v[2:5]
.LBB120_305:
	s_wait_xcnt 0x0
	s_or_b32 exec_lo, exec_lo, s2
	s_wait_storecnt_dscnt 0x0
	s_barrier_signal -1
	s_barrier_wait -1
	s_clause 0x9
	scratch_load_b128 v[4:7], off, off offset:416
	scratch_load_b128 v[8:11], off, off offset:432
	;; [unrolled: 1-line block ×10, first 2 shown]
	v_mov_b32_e32 v2, 0
	s_mov_b32 s2, exec_lo
	ds_load_b128 v[160:163], v2 offset:1328
	s_clause 0x2
	scratch_load_b128 v[164:167], off, off offset:576
	scratch_load_b128 v[168:171], off, off offset:400
	;; [unrolled: 1-line block ×3, first 2 shown]
	s_wait_loadcnt_dscnt 0xc00
	v_mul_f64_e32 v[180:181], v[162:163], v[6:7]
	v_mul_f64_e32 v[184:185], v[160:161], v[6:7]
	ds_load_b128 v[172:175], v2 offset:1344
	v_fma_f64 v[188:189], v[160:161], v[4:5], -v[180:181]
	v_fmac_f64_e32 v[184:185], v[162:163], v[4:5]
	ds_load_b128 v[4:7], v2 offset:1360
	s_wait_loadcnt_dscnt 0xb01
	v_mul_f64_e32 v[186:187], v[172:173], v[10:11]
	v_mul_f64_e32 v[10:11], v[174:175], v[10:11]
	scratch_load_b128 v[160:163], off, off offset:608
	ds_load_b128 v[180:183], v2 offset:1376
	s_wait_loadcnt_dscnt 0xb01
	v_mul_f64_e32 v[190:191], v[4:5], v[130:131]
	v_mul_f64_e32 v[130:131], v[6:7], v[130:131]
	v_add_f64_e32 v[184:185], 0, v[184:185]
	v_fmac_f64_e32 v[186:187], v[174:175], v[8:9]
	v_fma_f64 v[172:173], v[172:173], v[8:9], -v[10:11]
	v_add_f64_e32 v[174:175], 0, v[188:189]
	scratch_load_b128 v[8:11], off, off offset:624
	v_fmac_f64_e32 v[190:191], v[6:7], v[128:129]
	v_fma_f64 v[192:193], v[4:5], v[128:129], -v[130:131]
	ds_load_b128 v[4:7], v2 offset:1392
	s_wait_loadcnt_dscnt 0xb01
	v_mul_f64_e32 v[188:189], v[180:181], v[134:135]
	v_mul_f64_e32 v[134:135], v[182:183], v[134:135]
	scratch_load_b128 v[128:131], off, off offset:640
	v_add_f64_e32 v[184:185], v[184:185], v[186:187]
	v_add_f64_e32 v[194:195], v[174:175], v[172:173]
	ds_load_b128 v[172:175], v2 offset:1408
	s_wait_loadcnt_dscnt 0xb01
	v_mul_f64_e32 v[186:187], v[4:5], v[138:139]
	v_mul_f64_e32 v[138:139], v[6:7], v[138:139]
	v_fmac_f64_e32 v[188:189], v[182:183], v[132:133]
	v_fma_f64 v[180:181], v[180:181], v[132:133], -v[134:135]
	scratch_load_b128 v[132:135], off, off offset:656
	v_add_f64_e32 v[184:185], v[184:185], v[190:191]
	v_add_f64_e32 v[182:183], v[194:195], v[192:193]
	v_fmac_f64_e32 v[186:187], v[6:7], v[136:137]
	v_fma_f64 v[192:193], v[4:5], v[136:137], -v[138:139]
	ds_load_b128 v[4:7], v2 offset:1424
	s_wait_loadcnt_dscnt 0xb01
	v_mul_f64_e32 v[190:191], v[172:173], v[142:143]
	v_mul_f64_e32 v[142:143], v[174:175], v[142:143]
	scratch_load_b128 v[136:139], off, off offset:672
	v_add_f64_e32 v[184:185], v[184:185], v[188:189]
	s_wait_loadcnt_dscnt 0xb00
	v_mul_f64_e32 v[188:189], v[4:5], v[146:147]
	v_add_f64_e32 v[194:195], v[182:183], v[180:181]
	v_mul_f64_e32 v[146:147], v[6:7], v[146:147]
	ds_load_b128 v[180:183], v2 offset:1440
	v_fmac_f64_e32 v[190:191], v[174:175], v[140:141]
	v_fma_f64 v[172:173], v[172:173], v[140:141], -v[142:143]
	scratch_load_b128 v[140:143], off, off offset:688
	v_add_f64_e32 v[184:185], v[184:185], v[186:187]
	v_fmac_f64_e32 v[188:189], v[6:7], v[144:145]
	v_add_f64_e32 v[174:175], v[194:195], v[192:193]
	v_fma_f64 v[192:193], v[4:5], v[144:145], -v[146:147]
	ds_load_b128 v[4:7], v2 offset:1456
	s_wait_loadcnt_dscnt 0xb01
	v_mul_f64_e32 v[186:187], v[180:181], v[150:151]
	v_mul_f64_e32 v[150:151], v[182:183], v[150:151]
	scratch_load_b128 v[144:147], off, off offset:704
	v_add_f64_e32 v[184:185], v[184:185], v[190:191]
	s_wait_loadcnt_dscnt 0xb00
	v_mul_f64_e32 v[190:191], v[4:5], v[154:155]
	v_add_f64_e32 v[194:195], v[174:175], v[172:173]
	v_mul_f64_e32 v[154:155], v[6:7], v[154:155]
	ds_load_b128 v[172:175], v2 offset:1472
	v_fmac_f64_e32 v[186:187], v[182:183], v[148:149]
	v_fma_f64 v[180:181], v[180:181], v[148:149], -v[150:151]
	scratch_load_b128 v[148:151], off, off offset:720
	v_add_f64_e32 v[184:185], v[184:185], v[188:189]
	v_fmac_f64_e32 v[190:191], v[6:7], v[152:153]
	v_add_f64_e32 v[182:183], v[194:195], v[192:193]
	;; [unrolled: 18-line block ×3, first 2 shown]
	v_fma_f64 v[192:193], v[4:5], v[164:165], -v[166:167]
	ds_load_b128 v[4:7], v2 offset:1520
	s_wait_loadcnt_dscnt 0xa01
	v_mul_f64_e32 v[190:191], v[180:181], v[178:179]
	v_mul_f64_e32 v[178:179], v[182:183], v[178:179]
	scratch_load_b128 v[164:167], off, off offset:768
	v_add_f64_e32 v[184:185], v[184:185], v[188:189]
	v_add_f64_e32 v[194:195], v[174:175], v[172:173]
	s_wait_loadcnt_dscnt 0xa00
	v_mul_f64_e32 v[188:189], v[4:5], v[162:163]
	v_mul_f64_e32 v[162:163], v[6:7], v[162:163]
	v_fmac_f64_e32 v[190:191], v[182:183], v[176:177]
	v_fma_f64 v[180:181], v[180:181], v[176:177], -v[178:179]
	ds_load_b128 v[172:175], v2 offset:1536
	scratch_load_b128 v[176:179], off, off offset:784
	v_add_f64_e32 v[184:185], v[184:185], v[186:187]
	v_add_f64_e32 v[182:183], v[194:195], v[192:193]
	v_fmac_f64_e32 v[188:189], v[6:7], v[160:161]
	v_fma_f64 v[192:193], v[4:5], v[160:161], -v[162:163]
	ds_load_b128 v[4:7], v2 offset:1552
	s_wait_loadcnt_dscnt 0xa01
	v_mul_f64_e32 v[186:187], v[172:173], v[10:11]
	v_mul_f64_e32 v[10:11], v[174:175], v[10:11]
	scratch_load_b128 v[160:163], off, off offset:800
	v_add_f64_e32 v[184:185], v[184:185], v[190:191]
	s_wait_loadcnt_dscnt 0xa00
	v_mul_f64_e32 v[190:191], v[4:5], v[130:131]
	v_add_f64_e32 v[194:195], v[182:183], v[180:181]
	v_mul_f64_e32 v[130:131], v[6:7], v[130:131]
	ds_load_b128 v[180:183], v2 offset:1568
	v_fmac_f64_e32 v[186:187], v[174:175], v[8:9]
	v_fma_f64 v[172:173], v[172:173], v[8:9], -v[10:11]
	scratch_load_b128 v[8:11], off, off offset:816
	v_add_f64_e32 v[184:185], v[184:185], v[188:189]
	v_fmac_f64_e32 v[190:191], v[6:7], v[128:129]
	v_add_f64_e32 v[174:175], v[194:195], v[192:193]
	v_fma_f64 v[192:193], v[4:5], v[128:129], -v[130:131]
	ds_load_b128 v[4:7], v2 offset:1584
	s_wait_loadcnt_dscnt 0xa01
	v_mul_f64_e32 v[188:189], v[180:181], v[134:135]
	v_mul_f64_e32 v[134:135], v[182:183], v[134:135]
	scratch_load_b128 v[128:131], off, off offset:832
	v_add_f64_e32 v[184:185], v[184:185], v[186:187]
	s_wait_loadcnt_dscnt 0xa00
	v_mul_f64_e32 v[186:187], v[4:5], v[138:139]
	v_add_f64_e32 v[194:195], v[174:175], v[172:173]
	v_mul_f64_e32 v[138:139], v[6:7], v[138:139]
	ds_load_b128 v[172:175], v2 offset:1600
	v_fmac_f64_e32 v[188:189], v[182:183], v[132:133]
	v_fma_f64 v[180:181], v[180:181], v[132:133], -v[134:135]
	scratch_load_b128 v[132:135], off, off offset:848
	v_add_f64_e32 v[184:185], v[184:185], v[190:191]
	v_fmac_f64_e32 v[186:187], v[6:7], v[136:137]
	v_add_f64_e32 v[182:183], v[194:195], v[192:193]
	;; [unrolled: 18-line block ×3, first 2 shown]
	v_fma_f64 v[192:193], v[4:5], v[144:145], -v[146:147]
	ds_load_b128 v[4:7], v2 offset:1648
	s_wait_loadcnt_dscnt 0xa01
	v_mul_f64_e32 v[186:187], v[180:181], v[150:151]
	v_mul_f64_e32 v[150:151], v[182:183], v[150:151]
	scratch_load_b128 v[144:147], off, off offset:896
	v_add_f64_e32 v[184:185], v[184:185], v[190:191]
	s_wait_loadcnt_dscnt 0xa00
	v_mul_f64_e32 v[190:191], v[4:5], v[154:155]
	v_add_f64_e32 v[194:195], v[174:175], v[172:173]
	v_mul_f64_e32 v[154:155], v[6:7], v[154:155]
	ds_load_b128 v[172:175], v2 offset:1664
	v_fmac_f64_e32 v[186:187], v[182:183], v[148:149]
	v_fma_f64 v[148:149], v[180:181], v[148:149], -v[150:151]
	s_wait_loadcnt_dscnt 0x900
	v_mul_f64_e32 v[182:183], v[172:173], v[158:159]
	v_mul_f64_e32 v[158:159], v[174:175], v[158:159]
	v_add_f64_e32 v[180:181], v[184:185], v[188:189]
	v_fmac_f64_e32 v[190:191], v[6:7], v[152:153]
	v_add_f64_e32 v[150:151], v[194:195], v[192:193]
	v_fma_f64 v[152:153], v[4:5], v[152:153], -v[154:155]
	v_fmac_f64_e32 v[182:183], v[174:175], v[156:157]
	v_fma_f64 v[156:157], v[172:173], v[156:157], -v[158:159]
	v_add_f64_e32 v[180:181], v[180:181], v[186:187]
	v_add_f64_e32 v[154:155], v[150:151], v[148:149]
	ds_load_b128 v[4:7], v2 offset:1680
	ds_load_b128 v[148:151], v2 offset:1696
	s_wait_loadcnt_dscnt 0x801
	v_mul_f64_e32 v[184:185], v[4:5], v[166:167]
	v_mul_f64_e32 v[166:167], v[6:7], v[166:167]
	s_wait_loadcnt_dscnt 0x700
	v_mul_f64_e32 v[158:159], v[148:149], v[178:179]
	v_mul_f64_e32 v[172:173], v[150:151], v[178:179]
	v_add_f64_e32 v[152:153], v[154:155], v[152:153]
	v_add_f64_e32 v[154:155], v[180:181], v[190:191]
	v_fmac_f64_e32 v[184:185], v[6:7], v[164:165]
	v_fma_f64 v[164:165], v[4:5], v[164:165], -v[166:167]
	v_fmac_f64_e32 v[158:159], v[150:151], v[176:177]
	v_fma_f64 v[148:149], v[148:149], v[176:177], -v[172:173]
	v_add_f64_e32 v[156:157], v[152:153], v[156:157]
	v_add_f64_e32 v[166:167], v[154:155], v[182:183]
	ds_load_b128 v[4:7], v2 offset:1712
	ds_load_b128 v[152:155], v2 offset:1728
	s_wait_loadcnt_dscnt 0x601
	v_mul_f64_e32 v[174:175], v[4:5], v[162:163]
	v_mul_f64_e32 v[162:163], v[6:7], v[162:163]
	v_add_f64_e32 v[150:151], v[156:157], v[164:165]
	v_add_f64_e32 v[156:157], v[166:167], v[184:185]
	s_wait_loadcnt_dscnt 0x500
	v_mul_f64_e32 v[164:165], v[152:153], v[10:11]
	v_mul_f64_e32 v[10:11], v[154:155], v[10:11]
	v_fmac_f64_e32 v[174:175], v[6:7], v[160:161]
	v_fma_f64 v[160:161], v[4:5], v[160:161], -v[162:163]
	v_add_f64_e32 v[162:163], v[150:151], v[148:149]
	v_add_f64_e32 v[156:157], v[156:157], v[158:159]
	ds_load_b128 v[4:7], v2 offset:1744
	ds_load_b128 v[148:151], v2 offset:1760
	v_fmac_f64_e32 v[164:165], v[154:155], v[8:9]
	v_fma_f64 v[8:9], v[152:153], v[8:9], -v[10:11]
	s_wait_loadcnt_dscnt 0x401
	v_mul_f64_e32 v[158:159], v[4:5], v[130:131]
	v_mul_f64_e32 v[130:131], v[6:7], v[130:131]
	s_wait_loadcnt_dscnt 0x300
	v_mul_f64_e32 v[154:155], v[148:149], v[134:135]
	v_mul_f64_e32 v[134:135], v[150:151], v[134:135]
	v_add_f64_e32 v[10:11], v[162:163], v[160:161]
	v_add_f64_e32 v[152:153], v[156:157], v[174:175]
	v_fmac_f64_e32 v[158:159], v[6:7], v[128:129]
	v_fma_f64 v[128:129], v[4:5], v[128:129], -v[130:131]
	v_fmac_f64_e32 v[154:155], v[150:151], v[132:133]
	v_fma_f64 v[132:133], v[148:149], v[132:133], -v[134:135]
	v_add_f64_e32 v[130:131], v[10:11], v[8:9]
	v_add_f64_e32 v[152:153], v[152:153], v[164:165]
	ds_load_b128 v[4:7], v2 offset:1776
	ds_load_b128 v[8:11], v2 offset:1792
	s_wait_loadcnt_dscnt 0x201
	v_mul_f64_e32 v[156:157], v[4:5], v[138:139]
	v_mul_f64_e32 v[138:139], v[6:7], v[138:139]
	s_wait_loadcnt_dscnt 0x100
	v_mul_f64_e32 v[134:135], v[8:9], v[142:143]
	v_mul_f64_e32 v[142:143], v[10:11], v[142:143]
	v_add_f64_e32 v[128:129], v[130:131], v[128:129]
	v_add_f64_e32 v[130:131], v[152:153], v[158:159]
	v_fmac_f64_e32 v[156:157], v[6:7], v[136:137]
	v_fma_f64 v[136:137], v[4:5], v[136:137], -v[138:139]
	ds_load_b128 v[4:7], v2 offset:1808
	v_fmac_f64_e32 v[134:135], v[10:11], v[140:141]
	v_fma_f64 v[8:9], v[8:9], v[140:141], -v[142:143]
	v_add_f64_e32 v[128:129], v[128:129], v[132:133]
	v_add_f64_e32 v[130:131], v[130:131], v[154:155]
	s_wait_loadcnt_dscnt 0x0
	v_mul_f64_e32 v[132:133], v[4:5], v[146:147]
	v_mul_f64_e32 v[138:139], v[6:7], v[146:147]
	s_delay_alu instid0(VALU_DEP_4) | instskip(NEXT) | instid1(VALU_DEP_4)
	v_add_f64_e32 v[10:11], v[128:129], v[136:137]
	v_add_f64_e32 v[128:129], v[130:131], v[156:157]
	s_delay_alu instid0(VALU_DEP_4) | instskip(NEXT) | instid1(VALU_DEP_4)
	v_fmac_f64_e32 v[132:133], v[6:7], v[144:145]
	v_fma_f64 v[4:5], v[4:5], v[144:145], -v[138:139]
	s_delay_alu instid0(VALU_DEP_4) | instskip(NEXT) | instid1(VALU_DEP_4)
	v_add_f64_e32 v[6:7], v[10:11], v[8:9]
	v_add_f64_e32 v[8:9], v[128:129], v[134:135]
	s_delay_alu instid0(VALU_DEP_2) | instskip(NEXT) | instid1(VALU_DEP_2)
	v_add_f64_e32 v[4:5], v[6:7], v[4:5]
	v_add_f64_e32 v[6:7], v[8:9], v[132:133]
	s_delay_alu instid0(VALU_DEP_2) | instskip(NEXT) | instid1(VALU_DEP_2)
	v_add_f64_e64 v[4:5], v[168:169], -v[4:5]
	v_add_f64_e64 v[6:7], v[170:171], -v[6:7]
	scratch_store_b128 off, v[4:7], off offset:400
	s_wait_xcnt 0x0
	v_cmpx_lt_u32_e32 24, v1
	s_cbranch_execz .LBB120_307
; %bb.306:
	scratch_load_b128 v[6:9], off, s49
	v_dual_mov_b32 v3, v2 :: v_dual_mov_b32 v4, v2
	v_mov_b32_e32 v5, v2
	scratch_store_b128 off, v[2:5], off offset:384
	s_wait_loadcnt 0x0
	ds_store_b128 v12, v[6:9]
.LBB120_307:
	s_wait_xcnt 0x0
	s_or_b32 exec_lo, exec_lo, s2
	s_wait_storecnt_dscnt 0x0
	s_barrier_signal -1
	s_barrier_wait -1
	s_clause 0x9
	scratch_load_b128 v[4:7], off, off offset:400
	scratch_load_b128 v[8:11], off, off offset:416
	;; [unrolled: 1-line block ×10, first 2 shown]
	ds_load_b128 v[160:163], v2 offset:1312
	ds_load_b128 v[168:171], v2 offset:1328
	s_clause 0x2
	scratch_load_b128 v[164:167], off, off offset:560
	scratch_load_b128 v[172:175], off, off offset:384
	;; [unrolled: 1-line block ×3, first 2 shown]
	s_mov_b32 s2, exec_lo
	s_wait_loadcnt_dscnt 0xc01
	v_mul_f64_e32 v[180:181], v[162:163], v[6:7]
	v_mul_f64_e32 v[184:185], v[160:161], v[6:7]
	s_wait_loadcnt_dscnt 0xb00
	v_mul_f64_e32 v[186:187], v[168:169], v[10:11]
	v_mul_f64_e32 v[10:11], v[170:171], v[10:11]
	s_delay_alu instid0(VALU_DEP_4) | instskip(NEXT) | instid1(VALU_DEP_4)
	v_fma_f64 v[188:189], v[160:161], v[4:5], -v[180:181]
	v_fmac_f64_e32 v[184:185], v[162:163], v[4:5]
	ds_load_b128 v[4:7], v2 offset:1344
	ds_load_b128 v[160:163], v2 offset:1360
	scratch_load_b128 v[180:183], off, off offset:592
	v_fmac_f64_e32 v[186:187], v[170:171], v[8:9]
	v_fma_f64 v[168:169], v[168:169], v[8:9], -v[10:11]
	scratch_load_b128 v[8:11], off, off offset:608
	s_wait_loadcnt_dscnt 0xc01
	v_mul_f64_e32 v[190:191], v[4:5], v[130:131]
	v_mul_f64_e32 v[130:131], v[6:7], v[130:131]
	v_add_f64_e32 v[170:171], 0, v[188:189]
	v_add_f64_e32 v[184:185], 0, v[184:185]
	s_wait_loadcnt_dscnt 0xb00
	v_mul_f64_e32 v[188:189], v[160:161], v[134:135]
	v_mul_f64_e32 v[134:135], v[162:163], v[134:135]
	v_fmac_f64_e32 v[190:191], v[6:7], v[128:129]
	v_fma_f64 v[192:193], v[4:5], v[128:129], -v[130:131]
	ds_load_b128 v[4:7], v2 offset:1376
	ds_load_b128 v[128:131], v2 offset:1392
	v_add_f64_e32 v[194:195], v[170:171], v[168:169]
	v_add_f64_e32 v[184:185], v[184:185], v[186:187]
	scratch_load_b128 v[168:171], off, off offset:624
	v_fmac_f64_e32 v[188:189], v[162:163], v[132:133]
	v_fma_f64 v[160:161], v[160:161], v[132:133], -v[134:135]
	scratch_load_b128 v[132:135], off, off offset:640
	s_wait_loadcnt_dscnt 0xc01
	v_mul_f64_e32 v[186:187], v[4:5], v[138:139]
	v_mul_f64_e32 v[138:139], v[6:7], v[138:139]
	v_add_f64_e32 v[162:163], v[194:195], v[192:193]
	v_add_f64_e32 v[184:185], v[184:185], v[190:191]
	s_wait_loadcnt_dscnt 0xb00
	v_mul_f64_e32 v[190:191], v[128:129], v[142:143]
	v_mul_f64_e32 v[142:143], v[130:131], v[142:143]
	v_fmac_f64_e32 v[186:187], v[6:7], v[136:137]
	v_fma_f64 v[192:193], v[4:5], v[136:137], -v[138:139]
	ds_load_b128 v[4:7], v2 offset:1408
	ds_load_b128 v[136:139], v2 offset:1424
	v_add_f64_e32 v[194:195], v[162:163], v[160:161]
	v_add_f64_e32 v[184:185], v[184:185], v[188:189]
	scratch_load_b128 v[160:163], off, off offset:656
	s_wait_loadcnt_dscnt 0xb01
	v_mul_f64_e32 v[188:189], v[4:5], v[146:147]
	v_mul_f64_e32 v[146:147], v[6:7], v[146:147]
	v_fmac_f64_e32 v[190:191], v[130:131], v[140:141]
	v_fma_f64 v[140:141], v[128:129], v[140:141], -v[142:143]
	scratch_load_b128 v[128:131], off, off offset:672
	v_add_f64_e32 v[142:143], v[194:195], v[192:193]
	v_add_f64_e32 v[184:185], v[184:185], v[186:187]
	s_wait_loadcnt_dscnt 0xb00
	v_mul_f64_e32 v[186:187], v[136:137], v[150:151]
	v_mul_f64_e32 v[150:151], v[138:139], v[150:151]
	v_fmac_f64_e32 v[188:189], v[6:7], v[144:145]
	v_fma_f64 v[192:193], v[4:5], v[144:145], -v[146:147]
	v_add_f64_e32 v[194:195], v[142:143], v[140:141]
	v_add_f64_e32 v[184:185], v[184:185], v[190:191]
	ds_load_b128 v[4:7], v2 offset:1440
	ds_load_b128 v[140:143], v2 offset:1456
	scratch_load_b128 v[144:147], off, off offset:688
	v_fmac_f64_e32 v[186:187], v[138:139], v[148:149]
	v_fma_f64 v[148:149], v[136:137], v[148:149], -v[150:151]
	scratch_load_b128 v[136:139], off, off offset:704
	s_wait_loadcnt_dscnt 0xc01
	v_mul_f64_e32 v[190:191], v[4:5], v[154:155]
	v_mul_f64_e32 v[154:155], v[6:7], v[154:155]
	v_add_f64_e32 v[150:151], v[194:195], v[192:193]
	v_add_f64_e32 v[184:185], v[184:185], v[188:189]
	s_wait_loadcnt_dscnt 0xb00
	v_mul_f64_e32 v[188:189], v[140:141], v[158:159]
	v_mul_f64_e32 v[158:159], v[142:143], v[158:159]
	v_fmac_f64_e32 v[190:191], v[6:7], v[152:153]
	v_fma_f64 v[192:193], v[4:5], v[152:153], -v[154:155]
	v_add_f64_e32 v[194:195], v[150:151], v[148:149]
	v_add_f64_e32 v[184:185], v[184:185], v[186:187]
	ds_load_b128 v[4:7], v2 offset:1472
	ds_load_b128 v[148:151], v2 offset:1488
	scratch_load_b128 v[152:155], off, off offset:720
	v_fmac_f64_e32 v[188:189], v[142:143], v[156:157]
	v_fma_f64 v[156:157], v[140:141], v[156:157], -v[158:159]
	scratch_load_b128 v[140:143], off, off offset:736
	s_wait_loadcnt_dscnt 0xc01
	v_mul_f64_e32 v[186:187], v[4:5], v[166:167]
	v_mul_f64_e32 v[166:167], v[6:7], v[166:167]
	;; [unrolled: 18-line block ×5, first 2 shown]
	v_add_f64_e32 v[178:179], v[194:195], v[192:193]
	v_add_f64_e32 v[184:185], v[184:185], v[190:191]
	s_wait_loadcnt_dscnt 0xa00
	v_mul_f64_e32 v[190:191], v[156:157], v[130:131]
	v_mul_f64_e32 v[130:131], v[158:159], v[130:131]
	v_fmac_f64_e32 v[186:187], v[6:7], v[160:161]
	v_fma_f64 v[192:193], v[4:5], v[160:161], -v[162:163]
	ds_load_b128 v[4:7], v2 offset:1600
	ds_load_b128 v[160:163], v2 offset:1616
	v_add_f64_e32 v[194:195], v[178:179], v[176:177]
	v_add_f64_e32 v[184:185], v[184:185], v[188:189]
	scratch_load_b128 v[176:179], off, off offset:848
	v_fmac_f64_e32 v[190:191], v[158:159], v[128:129]
	v_fma_f64 v[156:157], v[156:157], v[128:129], -v[130:131]
	scratch_load_b128 v[128:131], off, off offset:864
	s_wait_loadcnt_dscnt 0xb01
	v_mul_f64_e32 v[188:189], v[4:5], v[146:147]
	v_mul_f64_e32 v[146:147], v[6:7], v[146:147]
	v_add_f64_e32 v[158:159], v[194:195], v[192:193]
	v_add_f64_e32 v[184:185], v[184:185], v[186:187]
	s_wait_loadcnt_dscnt 0xa00
	v_mul_f64_e32 v[186:187], v[160:161], v[138:139]
	v_mul_f64_e32 v[138:139], v[162:163], v[138:139]
	v_fmac_f64_e32 v[188:189], v[6:7], v[144:145]
	v_fma_f64 v[192:193], v[4:5], v[144:145], -v[146:147]
	ds_load_b128 v[4:7], v2 offset:1632
	ds_load_b128 v[144:147], v2 offset:1648
	v_add_f64_e32 v[194:195], v[158:159], v[156:157]
	v_add_f64_e32 v[184:185], v[184:185], v[190:191]
	scratch_load_b128 v[156:159], off, off offset:880
	s_wait_loadcnt_dscnt 0xa01
	v_mul_f64_e32 v[190:191], v[4:5], v[154:155]
	v_mul_f64_e32 v[154:155], v[6:7], v[154:155]
	v_fmac_f64_e32 v[186:187], v[162:163], v[136:137]
	v_fma_f64 v[160:161], v[160:161], v[136:137], -v[138:139]
	scratch_load_b128 v[136:139], off, off offset:896
	v_add_f64_e32 v[162:163], v[194:195], v[192:193]
	v_add_f64_e32 v[184:185], v[184:185], v[188:189]
	s_wait_loadcnt_dscnt 0xa00
	v_mul_f64_e32 v[188:189], v[144:145], v[142:143]
	v_mul_f64_e32 v[142:143], v[146:147], v[142:143]
	v_fmac_f64_e32 v[190:191], v[6:7], v[152:153]
	v_fma_f64 v[192:193], v[4:5], v[152:153], -v[154:155]
	ds_load_b128 v[4:7], v2 offset:1664
	ds_load_b128 v[152:155], v2 offset:1680
	v_add_f64_e32 v[160:161], v[162:163], v[160:161]
	v_add_f64_e32 v[162:163], v[184:185], v[186:187]
	v_fmac_f64_e32 v[188:189], v[146:147], v[140:141]
	s_wait_loadcnt_dscnt 0x901
	v_mul_f64_e32 v[184:185], v[4:5], v[166:167]
	v_mul_f64_e32 v[166:167], v[6:7], v[166:167]
	v_fma_f64 v[140:141], v[144:145], v[140:141], -v[142:143]
	s_wait_loadcnt_dscnt 0x800
	v_mul_f64_e32 v[146:147], v[152:153], v[150:151]
	v_mul_f64_e32 v[150:151], v[154:155], v[150:151]
	v_add_f64_e32 v[142:143], v[160:161], v[192:193]
	v_add_f64_e32 v[144:145], v[162:163], v[190:191]
	v_fmac_f64_e32 v[184:185], v[6:7], v[164:165]
	v_fma_f64 v[160:161], v[4:5], v[164:165], -v[166:167]
	v_fmac_f64_e32 v[146:147], v[154:155], v[148:149]
	v_fma_f64 v[148:149], v[152:153], v[148:149], -v[150:151]
	v_add_f64_e32 v[162:163], v[142:143], v[140:141]
	v_add_f64_e32 v[144:145], v[144:145], v[188:189]
	ds_load_b128 v[4:7], v2 offset:1696
	ds_load_b128 v[140:143], v2 offset:1712
	s_wait_loadcnt_dscnt 0x701
	v_mul_f64_e32 v[164:165], v[4:5], v[182:183]
	v_mul_f64_e32 v[166:167], v[6:7], v[182:183]
	s_wait_loadcnt_dscnt 0x600
	v_mul_f64_e32 v[152:153], v[140:141], v[10:11]
	v_mul_f64_e32 v[10:11], v[142:143], v[10:11]
	v_add_f64_e32 v[150:151], v[162:163], v[160:161]
	v_add_f64_e32 v[144:145], v[144:145], v[184:185]
	v_fmac_f64_e32 v[164:165], v[6:7], v[180:181]
	v_fma_f64 v[154:155], v[4:5], v[180:181], -v[166:167]
	v_fmac_f64_e32 v[152:153], v[142:143], v[8:9]
	v_fma_f64 v[8:9], v[140:141], v[8:9], -v[10:11]
	v_add_f64_e32 v[148:149], v[150:151], v[148:149]
	v_add_f64_e32 v[150:151], v[144:145], v[146:147]
	ds_load_b128 v[4:7], v2 offset:1728
	ds_load_b128 v[144:147], v2 offset:1744
	s_wait_loadcnt_dscnt 0x501
	v_mul_f64_e32 v[160:161], v[4:5], v[170:171]
	v_mul_f64_e32 v[162:163], v[6:7], v[170:171]
	;; [unrolled: 16-line block ×4, first 2 shown]
	v_add_f64_e32 v[10:11], v[134:135], v[148:149]
	v_add_f64_e32 v[128:129], v[140:141], v[152:153]
	s_wait_loadcnt_dscnt 0x0
	v_mul_f64_e32 v[134:135], v[130:131], v[138:139]
	v_mul_f64_e32 v[138:139], v[132:133], v[138:139]
	v_fmac_f64_e32 v[2:3], v[6:7], v[156:157]
	v_fma_f64 v[4:5], v[4:5], v[156:157], -v[142:143]
	v_add_f64_e32 v[6:7], v[10:11], v[8:9]
	v_add_f64_e32 v[8:9], v[128:129], v[144:145]
	v_fmac_f64_e32 v[134:135], v[132:133], v[136:137]
	v_fma_f64 v[10:11], v[130:131], v[136:137], -v[138:139]
	s_delay_alu instid0(VALU_DEP_4) | instskip(NEXT) | instid1(VALU_DEP_4)
	v_add_f64_e32 v[4:5], v[6:7], v[4:5]
	v_add_f64_e32 v[2:3], v[8:9], v[2:3]
	s_delay_alu instid0(VALU_DEP_2) | instskip(NEXT) | instid1(VALU_DEP_2)
	v_add_f64_e32 v[4:5], v[4:5], v[10:11]
	v_add_f64_e32 v[6:7], v[2:3], v[134:135]
	s_delay_alu instid0(VALU_DEP_2) | instskip(NEXT) | instid1(VALU_DEP_2)
	v_add_f64_e64 v[2:3], v[172:173], -v[4:5]
	v_add_f64_e64 v[4:5], v[174:175], -v[6:7]
	scratch_store_b128 off, v[2:5], off offset:384
	s_wait_xcnt 0x0
	v_cmpx_lt_u32_e32 23, v1
	s_cbranch_execz .LBB120_309
; %bb.308:
	scratch_load_b128 v[2:5], off, s50
	v_mov_b32_e32 v6, 0
	s_delay_alu instid0(VALU_DEP_1)
	v_dual_mov_b32 v7, v6 :: v_dual_mov_b32 v8, v6
	v_mov_b32_e32 v9, v6
	scratch_store_b128 off, v[6:9], off offset:368
	s_wait_loadcnt 0x0
	ds_store_b128 v12, v[2:5]
.LBB120_309:
	s_wait_xcnt 0x0
	s_or_b32 exec_lo, exec_lo, s2
	s_wait_storecnt_dscnt 0x0
	s_barrier_signal -1
	s_barrier_wait -1
	s_clause 0x9
	scratch_load_b128 v[4:7], off, off offset:384
	scratch_load_b128 v[8:11], off, off offset:400
	;; [unrolled: 1-line block ×10, first 2 shown]
	v_mov_b32_e32 v2, 0
	s_mov_b32 s2, exec_lo
	ds_load_b128 v[160:163], v2 offset:1296
	s_clause 0x2
	scratch_load_b128 v[164:167], off, off offset:544
	scratch_load_b128 v[168:171], off, off offset:368
	scratch_load_b128 v[176:179], off, off offset:560
	s_wait_loadcnt_dscnt 0xc00
	v_mul_f64_e32 v[180:181], v[162:163], v[6:7]
	v_mul_f64_e32 v[184:185], v[160:161], v[6:7]
	ds_load_b128 v[172:175], v2 offset:1312
	v_fma_f64 v[188:189], v[160:161], v[4:5], -v[180:181]
	v_fmac_f64_e32 v[184:185], v[162:163], v[4:5]
	ds_load_b128 v[4:7], v2 offset:1328
	s_wait_loadcnt_dscnt 0xb01
	v_mul_f64_e32 v[186:187], v[172:173], v[10:11]
	v_mul_f64_e32 v[10:11], v[174:175], v[10:11]
	scratch_load_b128 v[160:163], off, off offset:576
	ds_load_b128 v[180:183], v2 offset:1344
	s_wait_loadcnt_dscnt 0xb01
	v_mul_f64_e32 v[190:191], v[4:5], v[130:131]
	v_mul_f64_e32 v[130:131], v[6:7], v[130:131]
	v_add_f64_e32 v[184:185], 0, v[184:185]
	v_fmac_f64_e32 v[186:187], v[174:175], v[8:9]
	v_fma_f64 v[172:173], v[172:173], v[8:9], -v[10:11]
	v_add_f64_e32 v[174:175], 0, v[188:189]
	scratch_load_b128 v[8:11], off, off offset:592
	v_fmac_f64_e32 v[190:191], v[6:7], v[128:129]
	v_fma_f64 v[192:193], v[4:5], v[128:129], -v[130:131]
	ds_load_b128 v[4:7], v2 offset:1360
	s_wait_loadcnt_dscnt 0xb01
	v_mul_f64_e32 v[188:189], v[180:181], v[134:135]
	v_mul_f64_e32 v[134:135], v[182:183], v[134:135]
	scratch_load_b128 v[128:131], off, off offset:608
	v_add_f64_e32 v[184:185], v[184:185], v[186:187]
	v_add_f64_e32 v[194:195], v[174:175], v[172:173]
	ds_load_b128 v[172:175], v2 offset:1376
	s_wait_loadcnt_dscnt 0xb01
	v_mul_f64_e32 v[186:187], v[4:5], v[138:139]
	v_mul_f64_e32 v[138:139], v[6:7], v[138:139]
	v_fmac_f64_e32 v[188:189], v[182:183], v[132:133]
	v_fma_f64 v[180:181], v[180:181], v[132:133], -v[134:135]
	scratch_load_b128 v[132:135], off, off offset:624
	v_add_f64_e32 v[184:185], v[184:185], v[190:191]
	v_add_f64_e32 v[182:183], v[194:195], v[192:193]
	v_fmac_f64_e32 v[186:187], v[6:7], v[136:137]
	v_fma_f64 v[192:193], v[4:5], v[136:137], -v[138:139]
	ds_load_b128 v[4:7], v2 offset:1392
	s_wait_loadcnt_dscnt 0xb01
	v_mul_f64_e32 v[190:191], v[172:173], v[142:143]
	v_mul_f64_e32 v[142:143], v[174:175], v[142:143]
	scratch_load_b128 v[136:139], off, off offset:640
	v_add_f64_e32 v[184:185], v[184:185], v[188:189]
	s_wait_loadcnt_dscnt 0xb00
	v_mul_f64_e32 v[188:189], v[4:5], v[146:147]
	v_add_f64_e32 v[194:195], v[182:183], v[180:181]
	v_mul_f64_e32 v[146:147], v[6:7], v[146:147]
	ds_load_b128 v[180:183], v2 offset:1408
	v_fmac_f64_e32 v[190:191], v[174:175], v[140:141]
	v_fma_f64 v[172:173], v[172:173], v[140:141], -v[142:143]
	scratch_load_b128 v[140:143], off, off offset:656
	v_add_f64_e32 v[184:185], v[184:185], v[186:187]
	v_fmac_f64_e32 v[188:189], v[6:7], v[144:145]
	v_add_f64_e32 v[174:175], v[194:195], v[192:193]
	v_fma_f64 v[192:193], v[4:5], v[144:145], -v[146:147]
	ds_load_b128 v[4:7], v2 offset:1424
	s_wait_loadcnt_dscnt 0xb01
	v_mul_f64_e32 v[186:187], v[180:181], v[150:151]
	v_mul_f64_e32 v[150:151], v[182:183], v[150:151]
	scratch_load_b128 v[144:147], off, off offset:672
	v_add_f64_e32 v[184:185], v[184:185], v[190:191]
	s_wait_loadcnt_dscnt 0xb00
	v_mul_f64_e32 v[190:191], v[4:5], v[154:155]
	v_add_f64_e32 v[194:195], v[174:175], v[172:173]
	v_mul_f64_e32 v[154:155], v[6:7], v[154:155]
	ds_load_b128 v[172:175], v2 offset:1440
	v_fmac_f64_e32 v[186:187], v[182:183], v[148:149]
	v_fma_f64 v[180:181], v[180:181], v[148:149], -v[150:151]
	scratch_load_b128 v[148:151], off, off offset:688
	v_add_f64_e32 v[184:185], v[184:185], v[188:189]
	v_fmac_f64_e32 v[190:191], v[6:7], v[152:153]
	v_add_f64_e32 v[182:183], v[194:195], v[192:193]
	v_fma_f64 v[192:193], v[4:5], v[152:153], -v[154:155]
	ds_load_b128 v[4:7], v2 offset:1456
	s_wait_loadcnt_dscnt 0xb01
	v_mul_f64_e32 v[188:189], v[172:173], v[158:159]
	v_mul_f64_e32 v[158:159], v[174:175], v[158:159]
	scratch_load_b128 v[152:155], off, off offset:704
	v_add_f64_e32 v[184:185], v[184:185], v[186:187]
	s_wait_loadcnt_dscnt 0xb00
	v_mul_f64_e32 v[186:187], v[4:5], v[166:167]
	v_add_f64_e32 v[194:195], v[182:183], v[180:181]
	v_mul_f64_e32 v[166:167], v[6:7], v[166:167]
	ds_load_b128 v[180:183], v2 offset:1472
	v_fmac_f64_e32 v[188:189], v[174:175], v[156:157]
	v_fma_f64 v[172:173], v[172:173], v[156:157], -v[158:159]
	scratch_load_b128 v[156:159], off, off offset:720
	v_add_f64_e32 v[184:185], v[184:185], v[190:191]
	v_fmac_f64_e32 v[186:187], v[6:7], v[164:165]
	v_add_f64_e32 v[174:175], v[194:195], v[192:193]
	v_fma_f64 v[192:193], v[4:5], v[164:165], -v[166:167]
	ds_load_b128 v[4:7], v2 offset:1488
	s_wait_loadcnt_dscnt 0xa01
	v_mul_f64_e32 v[190:191], v[180:181], v[178:179]
	v_mul_f64_e32 v[178:179], v[182:183], v[178:179]
	scratch_load_b128 v[164:167], off, off offset:736
	v_add_f64_e32 v[184:185], v[184:185], v[188:189]
	v_add_f64_e32 v[194:195], v[174:175], v[172:173]
	s_wait_loadcnt_dscnt 0xa00
	v_mul_f64_e32 v[188:189], v[4:5], v[162:163]
	v_mul_f64_e32 v[162:163], v[6:7], v[162:163]
	v_fmac_f64_e32 v[190:191], v[182:183], v[176:177]
	v_fma_f64 v[180:181], v[180:181], v[176:177], -v[178:179]
	ds_load_b128 v[172:175], v2 offset:1504
	scratch_load_b128 v[176:179], off, off offset:752
	v_add_f64_e32 v[184:185], v[184:185], v[186:187]
	v_add_f64_e32 v[182:183], v[194:195], v[192:193]
	v_fmac_f64_e32 v[188:189], v[6:7], v[160:161]
	v_fma_f64 v[192:193], v[4:5], v[160:161], -v[162:163]
	ds_load_b128 v[4:7], v2 offset:1520
	s_wait_loadcnt_dscnt 0xa01
	v_mul_f64_e32 v[186:187], v[172:173], v[10:11]
	v_mul_f64_e32 v[10:11], v[174:175], v[10:11]
	scratch_load_b128 v[160:163], off, off offset:768
	v_add_f64_e32 v[184:185], v[184:185], v[190:191]
	s_wait_loadcnt_dscnt 0xa00
	v_mul_f64_e32 v[190:191], v[4:5], v[130:131]
	v_add_f64_e32 v[194:195], v[182:183], v[180:181]
	v_mul_f64_e32 v[130:131], v[6:7], v[130:131]
	ds_load_b128 v[180:183], v2 offset:1536
	v_fmac_f64_e32 v[186:187], v[174:175], v[8:9]
	v_fma_f64 v[172:173], v[172:173], v[8:9], -v[10:11]
	scratch_load_b128 v[8:11], off, off offset:784
	v_add_f64_e32 v[184:185], v[184:185], v[188:189]
	v_fmac_f64_e32 v[190:191], v[6:7], v[128:129]
	v_add_f64_e32 v[174:175], v[194:195], v[192:193]
	v_fma_f64 v[192:193], v[4:5], v[128:129], -v[130:131]
	ds_load_b128 v[4:7], v2 offset:1552
	s_wait_loadcnt_dscnt 0xa01
	v_mul_f64_e32 v[188:189], v[180:181], v[134:135]
	v_mul_f64_e32 v[134:135], v[182:183], v[134:135]
	scratch_load_b128 v[128:131], off, off offset:800
	v_add_f64_e32 v[184:185], v[184:185], v[186:187]
	s_wait_loadcnt_dscnt 0xa00
	v_mul_f64_e32 v[186:187], v[4:5], v[138:139]
	v_add_f64_e32 v[194:195], v[174:175], v[172:173]
	v_mul_f64_e32 v[138:139], v[6:7], v[138:139]
	ds_load_b128 v[172:175], v2 offset:1568
	v_fmac_f64_e32 v[188:189], v[182:183], v[132:133]
	v_fma_f64 v[180:181], v[180:181], v[132:133], -v[134:135]
	scratch_load_b128 v[132:135], off, off offset:816
	v_add_f64_e32 v[184:185], v[184:185], v[190:191]
	v_fmac_f64_e32 v[186:187], v[6:7], v[136:137]
	v_add_f64_e32 v[182:183], v[194:195], v[192:193]
	;; [unrolled: 18-line block ×4, first 2 shown]
	v_fma_f64 v[192:193], v[4:5], v[152:153], -v[154:155]
	ds_load_b128 v[4:7], v2 offset:1648
	s_wait_loadcnt_dscnt 0xa01
	v_mul_f64_e32 v[188:189], v[172:173], v[158:159]
	v_mul_f64_e32 v[158:159], v[174:175], v[158:159]
	scratch_load_b128 v[152:155], off, off offset:896
	v_add_f64_e32 v[184:185], v[184:185], v[186:187]
	s_wait_loadcnt_dscnt 0xa00
	v_mul_f64_e32 v[186:187], v[4:5], v[166:167]
	v_add_f64_e32 v[194:195], v[182:183], v[180:181]
	v_mul_f64_e32 v[166:167], v[6:7], v[166:167]
	ds_load_b128 v[180:183], v2 offset:1664
	v_fmac_f64_e32 v[188:189], v[174:175], v[156:157]
	v_fma_f64 v[156:157], v[172:173], v[156:157], -v[158:159]
	s_wait_loadcnt_dscnt 0x900
	v_mul_f64_e32 v[174:175], v[180:181], v[178:179]
	v_mul_f64_e32 v[178:179], v[182:183], v[178:179]
	v_add_f64_e32 v[172:173], v[184:185], v[190:191]
	v_fmac_f64_e32 v[186:187], v[6:7], v[164:165]
	v_add_f64_e32 v[158:159], v[194:195], v[192:193]
	v_fma_f64 v[164:165], v[4:5], v[164:165], -v[166:167]
	v_fmac_f64_e32 v[174:175], v[182:183], v[176:177]
	v_fma_f64 v[176:177], v[180:181], v[176:177], -v[178:179]
	v_add_f64_e32 v[172:173], v[172:173], v[188:189]
	v_add_f64_e32 v[166:167], v[158:159], v[156:157]
	ds_load_b128 v[4:7], v2 offset:1680
	ds_load_b128 v[156:159], v2 offset:1696
	s_wait_loadcnt_dscnt 0x801
	v_mul_f64_e32 v[184:185], v[4:5], v[162:163]
	v_mul_f64_e32 v[162:163], v[6:7], v[162:163]
	v_add_f64_e32 v[164:165], v[166:167], v[164:165]
	v_add_f64_e32 v[166:167], v[172:173], v[186:187]
	s_wait_loadcnt_dscnt 0x700
	v_mul_f64_e32 v[172:173], v[156:157], v[10:11]
	v_mul_f64_e32 v[10:11], v[158:159], v[10:11]
	v_fmac_f64_e32 v[184:185], v[6:7], v[160:161]
	v_fma_f64 v[178:179], v[4:5], v[160:161], -v[162:163]
	ds_load_b128 v[4:7], v2 offset:1712
	ds_load_b128 v[160:163], v2 offset:1728
	v_add_f64_e32 v[164:165], v[164:165], v[176:177]
	v_add_f64_e32 v[166:167], v[166:167], v[174:175]
	v_fmac_f64_e32 v[172:173], v[158:159], v[8:9]
	v_fma_f64 v[8:9], v[156:157], v[8:9], -v[10:11]
	s_wait_loadcnt_dscnt 0x601
	v_mul_f64_e32 v[174:175], v[4:5], v[130:131]
	v_mul_f64_e32 v[130:131], v[6:7], v[130:131]
	s_wait_loadcnt_dscnt 0x500
	v_mul_f64_e32 v[158:159], v[160:161], v[134:135]
	v_mul_f64_e32 v[134:135], v[162:163], v[134:135]
	v_add_f64_e32 v[10:11], v[164:165], v[178:179]
	v_add_f64_e32 v[156:157], v[166:167], v[184:185]
	v_fmac_f64_e32 v[174:175], v[6:7], v[128:129]
	v_fma_f64 v[128:129], v[4:5], v[128:129], -v[130:131]
	v_fmac_f64_e32 v[158:159], v[162:163], v[132:133]
	v_fma_f64 v[132:133], v[160:161], v[132:133], -v[134:135]
	v_add_f64_e32 v[130:131], v[10:11], v[8:9]
	v_add_f64_e32 v[156:157], v[156:157], v[172:173]
	ds_load_b128 v[4:7], v2 offset:1744
	ds_load_b128 v[8:11], v2 offset:1760
	s_wait_loadcnt_dscnt 0x401
	v_mul_f64_e32 v[164:165], v[4:5], v[138:139]
	v_mul_f64_e32 v[138:139], v[6:7], v[138:139]
	s_wait_loadcnt_dscnt 0x300
	v_mul_f64_e32 v[134:135], v[8:9], v[142:143]
	v_mul_f64_e32 v[142:143], v[10:11], v[142:143]
	v_add_f64_e32 v[128:129], v[130:131], v[128:129]
	v_add_f64_e32 v[130:131], v[156:157], v[174:175]
	v_fmac_f64_e32 v[164:165], v[6:7], v[136:137]
	v_fma_f64 v[136:137], v[4:5], v[136:137], -v[138:139]
	v_fmac_f64_e32 v[134:135], v[10:11], v[140:141]
	v_fma_f64 v[8:9], v[8:9], v[140:141], -v[142:143]
	v_add_f64_e32 v[132:133], v[128:129], v[132:133]
	v_add_f64_e32 v[138:139], v[130:131], v[158:159]
	ds_load_b128 v[4:7], v2 offset:1776
	ds_load_b128 v[128:131], v2 offset:1792
	s_wait_loadcnt_dscnt 0x201
	v_mul_f64_e32 v[156:157], v[4:5], v[146:147]
	v_mul_f64_e32 v[146:147], v[6:7], v[146:147]
	v_add_f64_e32 v[10:11], v[132:133], v[136:137]
	v_add_f64_e32 v[132:133], v[138:139], v[164:165]
	s_wait_loadcnt_dscnt 0x100
	v_mul_f64_e32 v[136:137], v[128:129], v[150:151]
	v_mul_f64_e32 v[138:139], v[130:131], v[150:151]
	v_fmac_f64_e32 v[156:157], v[6:7], v[144:145]
	v_fma_f64 v[140:141], v[4:5], v[144:145], -v[146:147]
	ds_load_b128 v[4:7], v2 offset:1808
	v_add_f64_e32 v[8:9], v[10:11], v[8:9]
	v_add_f64_e32 v[10:11], v[132:133], v[134:135]
	v_fmac_f64_e32 v[136:137], v[130:131], v[148:149]
	v_fma_f64 v[128:129], v[128:129], v[148:149], -v[138:139]
	s_wait_loadcnt_dscnt 0x0
	v_mul_f64_e32 v[132:133], v[4:5], v[154:155]
	v_mul_f64_e32 v[134:135], v[6:7], v[154:155]
	v_add_f64_e32 v[8:9], v[8:9], v[140:141]
	v_add_f64_e32 v[10:11], v[10:11], v[156:157]
	s_delay_alu instid0(VALU_DEP_4) | instskip(NEXT) | instid1(VALU_DEP_4)
	v_fmac_f64_e32 v[132:133], v[6:7], v[152:153]
	v_fma_f64 v[4:5], v[4:5], v[152:153], -v[134:135]
	s_delay_alu instid0(VALU_DEP_4) | instskip(NEXT) | instid1(VALU_DEP_4)
	v_add_f64_e32 v[6:7], v[8:9], v[128:129]
	v_add_f64_e32 v[8:9], v[10:11], v[136:137]
	s_delay_alu instid0(VALU_DEP_2) | instskip(NEXT) | instid1(VALU_DEP_2)
	v_add_f64_e32 v[4:5], v[6:7], v[4:5]
	v_add_f64_e32 v[6:7], v[8:9], v[132:133]
	s_delay_alu instid0(VALU_DEP_2) | instskip(NEXT) | instid1(VALU_DEP_2)
	v_add_f64_e64 v[4:5], v[168:169], -v[4:5]
	v_add_f64_e64 v[6:7], v[170:171], -v[6:7]
	scratch_store_b128 off, v[4:7], off offset:368
	s_wait_xcnt 0x0
	v_cmpx_lt_u32_e32 22, v1
	s_cbranch_execz .LBB120_311
; %bb.310:
	scratch_load_b128 v[6:9], off, s51
	v_dual_mov_b32 v3, v2 :: v_dual_mov_b32 v4, v2
	v_mov_b32_e32 v5, v2
	scratch_store_b128 off, v[2:5], off offset:352
	s_wait_loadcnt 0x0
	ds_store_b128 v12, v[6:9]
.LBB120_311:
	s_wait_xcnt 0x0
	s_or_b32 exec_lo, exec_lo, s2
	s_wait_storecnt_dscnt 0x0
	s_barrier_signal -1
	s_barrier_wait -1
	s_clause 0x9
	scratch_load_b128 v[4:7], off, off offset:368
	scratch_load_b128 v[8:11], off, off offset:384
	;; [unrolled: 1-line block ×10, first 2 shown]
	ds_load_b128 v[160:163], v2 offset:1280
	ds_load_b128 v[168:171], v2 offset:1296
	s_clause 0x2
	scratch_load_b128 v[164:167], off, off offset:528
	scratch_load_b128 v[172:175], off, off offset:352
	scratch_load_b128 v[176:179], off, off offset:544
	s_mov_b32 s2, exec_lo
	s_wait_loadcnt_dscnt 0xc01
	v_mul_f64_e32 v[180:181], v[162:163], v[6:7]
	v_mul_f64_e32 v[184:185], v[160:161], v[6:7]
	s_wait_loadcnt_dscnt 0xb00
	v_mul_f64_e32 v[186:187], v[168:169], v[10:11]
	v_mul_f64_e32 v[10:11], v[170:171], v[10:11]
	s_delay_alu instid0(VALU_DEP_4) | instskip(NEXT) | instid1(VALU_DEP_4)
	v_fma_f64 v[188:189], v[160:161], v[4:5], -v[180:181]
	v_fmac_f64_e32 v[184:185], v[162:163], v[4:5]
	ds_load_b128 v[4:7], v2 offset:1312
	ds_load_b128 v[160:163], v2 offset:1328
	scratch_load_b128 v[180:183], off, off offset:560
	v_fmac_f64_e32 v[186:187], v[170:171], v[8:9]
	v_fma_f64 v[168:169], v[168:169], v[8:9], -v[10:11]
	scratch_load_b128 v[8:11], off, off offset:576
	s_wait_loadcnt_dscnt 0xc01
	v_mul_f64_e32 v[190:191], v[4:5], v[130:131]
	v_mul_f64_e32 v[130:131], v[6:7], v[130:131]
	v_add_f64_e32 v[170:171], 0, v[188:189]
	v_add_f64_e32 v[184:185], 0, v[184:185]
	s_wait_loadcnt_dscnt 0xb00
	v_mul_f64_e32 v[188:189], v[160:161], v[134:135]
	v_mul_f64_e32 v[134:135], v[162:163], v[134:135]
	v_fmac_f64_e32 v[190:191], v[6:7], v[128:129]
	v_fma_f64 v[192:193], v[4:5], v[128:129], -v[130:131]
	ds_load_b128 v[4:7], v2 offset:1344
	ds_load_b128 v[128:131], v2 offset:1360
	v_add_f64_e32 v[194:195], v[170:171], v[168:169]
	v_add_f64_e32 v[184:185], v[184:185], v[186:187]
	scratch_load_b128 v[168:171], off, off offset:592
	v_fmac_f64_e32 v[188:189], v[162:163], v[132:133]
	v_fma_f64 v[160:161], v[160:161], v[132:133], -v[134:135]
	scratch_load_b128 v[132:135], off, off offset:608
	s_wait_loadcnt_dscnt 0xc01
	v_mul_f64_e32 v[186:187], v[4:5], v[138:139]
	v_mul_f64_e32 v[138:139], v[6:7], v[138:139]
	v_add_f64_e32 v[162:163], v[194:195], v[192:193]
	v_add_f64_e32 v[184:185], v[184:185], v[190:191]
	s_wait_loadcnt_dscnt 0xb00
	v_mul_f64_e32 v[190:191], v[128:129], v[142:143]
	v_mul_f64_e32 v[142:143], v[130:131], v[142:143]
	v_fmac_f64_e32 v[186:187], v[6:7], v[136:137]
	v_fma_f64 v[192:193], v[4:5], v[136:137], -v[138:139]
	ds_load_b128 v[4:7], v2 offset:1376
	ds_load_b128 v[136:139], v2 offset:1392
	v_add_f64_e32 v[194:195], v[162:163], v[160:161]
	v_add_f64_e32 v[184:185], v[184:185], v[188:189]
	scratch_load_b128 v[160:163], off, off offset:624
	s_wait_loadcnt_dscnt 0xb01
	v_mul_f64_e32 v[188:189], v[4:5], v[146:147]
	v_mul_f64_e32 v[146:147], v[6:7], v[146:147]
	v_fmac_f64_e32 v[190:191], v[130:131], v[140:141]
	v_fma_f64 v[140:141], v[128:129], v[140:141], -v[142:143]
	scratch_load_b128 v[128:131], off, off offset:640
	v_add_f64_e32 v[142:143], v[194:195], v[192:193]
	v_add_f64_e32 v[184:185], v[184:185], v[186:187]
	s_wait_loadcnt_dscnt 0xb00
	v_mul_f64_e32 v[186:187], v[136:137], v[150:151]
	v_mul_f64_e32 v[150:151], v[138:139], v[150:151]
	v_fmac_f64_e32 v[188:189], v[6:7], v[144:145]
	v_fma_f64 v[192:193], v[4:5], v[144:145], -v[146:147]
	v_add_f64_e32 v[194:195], v[142:143], v[140:141]
	v_add_f64_e32 v[184:185], v[184:185], v[190:191]
	ds_load_b128 v[4:7], v2 offset:1408
	ds_load_b128 v[140:143], v2 offset:1424
	scratch_load_b128 v[144:147], off, off offset:656
	v_fmac_f64_e32 v[186:187], v[138:139], v[148:149]
	v_fma_f64 v[148:149], v[136:137], v[148:149], -v[150:151]
	scratch_load_b128 v[136:139], off, off offset:672
	s_wait_loadcnt_dscnt 0xc01
	v_mul_f64_e32 v[190:191], v[4:5], v[154:155]
	v_mul_f64_e32 v[154:155], v[6:7], v[154:155]
	v_add_f64_e32 v[150:151], v[194:195], v[192:193]
	v_add_f64_e32 v[184:185], v[184:185], v[188:189]
	s_wait_loadcnt_dscnt 0xb00
	v_mul_f64_e32 v[188:189], v[140:141], v[158:159]
	v_mul_f64_e32 v[158:159], v[142:143], v[158:159]
	v_fmac_f64_e32 v[190:191], v[6:7], v[152:153]
	v_fma_f64 v[192:193], v[4:5], v[152:153], -v[154:155]
	v_add_f64_e32 v[194:195], v[150:151], v[148:149]
	v_add_f64_e32 v[184:185], v[184:185], v[186:187]
	ds_load_b128 v[4:7], v2 offset:1440
	ds_load_b128 v[148:151], v2 offset:1456
	scratch_load_b128 v[152:155], off, off offset:688
	v_fmac_f64_e32 v[188:189], v[142:143], v[156:157]
	v_fma_f64 v[156:157], v[140:141], v[156:157], -v[158:159]
	scratch_load_b128 v[140:143], off, off offset:704
	s_wait_loadcnt_dscnt 0xc01
	v_mul_f64_e32 v[186:187], v[4:5], v[166:167]
	v_mul_f64_e32 v[166:167], v[6:7], v[166:167]
	;; [unrolled: 18-line block ×5, first 2 shown]
	v_add_f64_e32 v[178:179], v[194:195], v[192:193]
	v_add_f64_e32 v[184:185], v[184:185], v[190:191]
	s_wait_loadcnt_dscnt 0xa00
	v_mul_f64_e32 v[190:191], v[156:157], v[130:131]
	v_mul_f64_e32 v[130:131], v[158:159], v[130:131]
	v_fmac_f64_e32 v[186:187], v[6:7], v[160:161]
	v_fma_f64 v[192:193], v[4:5], v[160:161], -v[162:163]
	ds_load_b128 v[4:7], v2 offset:1568
	ds_load_b128 v[160:163], v2 offset:1584
	v_add_f64_e32 v[194:195], v[178:179], v[176:177]
	v_add_f64_e32 v[184:185], v[184:185], v[188:189]
	scratch_load_b128 v[176:179], off, off offset:816
	v_fmac_f64_e32 v[190:191], v[158:159], v[128:129]
	v_fma_f64 v[156:157], v[156:157], v[128:129], -v[130:131]
	scratch_load_b128 v[128:131], off, off offset:832
	s_wait_loadcnt_dscnt 0xb01
	v_mul_f64_e32 v[188:189], v[4:5], v[146:147]
	v_mul_f64_e32 v[146:147], v[6:7], v[146:147]
	v_add_f64_e32 v[158:159], v[194:195], v[192:193]
	v_add_f64_e32 v[184:185], v[184:185], v[186:187]
	s_wait_loadcnt_dscnt 0xa00
	v_mul_f64_e32 v[186:187], v[160:161], v[138:139]
	v_mul_f64_e32 v[138:139], v[162:163], v[138:139]
	v_fmac_f64_e32 v[188:189], v[6:7], v[144:145]
	v_fma_f64 v[192:193], v[4:5], v[144:145], -v[146:147]
	ds_load_b128 v[4:7], v2 offset:1600
	ds_load_b128 v[144:147], v2 offset:1616
	v_add_f64_e32 v[194:195], v[158:159], v[156:157]
	v_add_f64_e32 v[184:185], v[184:185], v[190:191]
	scratch_load_b128 v[156:159], off, off offset:848
	s_wait_loadcnt_dscnt 0xa01
	v_mul_f64_e32 v[190:191], v[4:5], v[154:155]
	v_mul_f64_e32 v[154:155], v[6:7], v[154:155]
	v_fmac_f64_e32 v[186:187], v[162:163], v[136:137]
	v_fma_f64 v[160:161], v[160:161], v[136:137], -v[138:139]
	scratch_load_b128 v[136:139], off, off offset:864
	v_add_f64_e32 v[162:163], v[194:195], v[192:193]
	v_add_f64_e32 v[184:185], v[184:185], v[188:189]
	s_wait_loadcnt_dscnt 0xa00
	v_mul_f64_e32 v[188:189], v[144:145], v[142:143]
	v_mul_f64_e32 v[142:143], v[146:147], v[142:143]
	v_fmac_f64_e32 v[190:191], v[6:7], v[152:153]
	v_fma_f64 v[192:193], v[4:5], v[152:153], -v[154:155]
	ds_load_b128 v[4:7], v2 offset:1632
	ds_load_b128 v[152:155], v2 offset:1648
	v_add_f64_e32 v[194:195], v[162:163], v[160:161]
	v_add_f64_e32 v[184:185], v[184:185], v[186:187]
	scratch_load_b128 v[160:163], off, off offset:880
	s_wait_loadcnt_dscnt 0xa01
	v_mul_f64_e32 v[186:187], v[4:5], v[166:167]
	v_mul_f64_e32 v[166:167], v[6:7], v[166:167]
	v_fmac_f64_e32 v[188:189], v[146:147], v[140:141]
	v_fma_f64 v[144:145], v[144:145], v[140:141], -v[142:143]
	scratch_load_b128 v[140:143], off, off offset:896
	v_add_f64_e32 v[146:147], v[194:195], v[192:193]
	v_add_f64_e32 v[184:185], v[184:185], v[190:191]
	s_wait_loadcnt_dscnt 0xa00
	v_mul_f64_e32 v[190:191], v[152:153], v[150:151]
	v_mul_f64_e32 v[150:151], v[154:155], v[150:151]
	v_fmac_f64_e32 v[186:187], v[6:7], v[164:165]
	v_fma_f64 v[164:165], v[4:5], v[164:165], -v[166:167]
	v_add_f64_e32 v[166:167], v[146:147], v[144:145]
	v_add_f64_e32 v[184:185], v[184:185], v[188:189]
	ds_load_b128 v[4:7], v2 offset:1664
	ds_load_b128 v[144:147], v2 offset:1680
	v_fmac_f64_e32 v[190:191], v[154:155], v[148:149]
	v_fma_f64 v[148:149], v[152:153], v[148:149], -v[150:151]
	s_wait_loadcnt_dscnt 0x901
	v_mul_f64_e32 v[188:189], v[4:5], v[182:183]
	v_mul_f64_e32 v[182:183], v[6:7], v[182:183]
	s_wait_loadcnt_dscnt 0x800
	v_mul_f64_e32 v[154:155], v[144:145], v[10:11]
	v_mul_f64_e32 v[10:11], v[146:147], v[10:11]
	v_add_f64_e32 v[150:151], v[166:167], v[164:165]
	v_add_f64_e32 v[152:153], v[184:185], v[186:187]
	v_fmac_f64_e32 v[188:189], v[6:7], v[180:181]
	v_fma_f64 v[164:165], v[4:5], v[180:181], -v[182:183]
	v_fmac_f64_e32 v[154:155], v[146:147], v[8:9]
	v_fma_f64 v[8:9], v[144:145], v[8:9], -v[10:11]
	v_add_f64_e32 v[166:167], v[150:151], v[148:149]
	v_add_f64_e32 v[152:153], v[152:153], v[190:191]
	ds_load_b128 v[4:7], v2 offset:1696
	ds_load_b128 v[148:151], v2 offset:1712
	s_wait_loadcnt_dscnt 0x701
	v_mul_f64_e32 v[180:181], v[4:5], v[170:171]
	v_mul_f64_e32 v[170:171], v[6:7], v[170:171]
	s_wait_loadcnt_dscnt 0x600
	v_mul_f64_e32 v[146:147], v[148:149], v[134:135]
	v_mul_f64_e32 v[134:135], v[150:151], v[134:135]
	v_add_f64_e32 v[10:11], v[166:167], v[164:165]
	v_add_f64_e32 v[144:145], v[152:153], v[188:189]
	v_fmac_f64_e32 v[180:181], v[6:7], v[168:169]
	v_fma_f64 v[152:153], v[4:5], v[168:169], -v[170:171]
	v_fmac_f64_e32 v[146:147], v[150:151], v[132:133]
	v_fma_f64 v[132:133], v[148:149], v[132:133], -v[134:135]
	v_add_f64_e32 v[164:165], v[10:11], v[8:9]
	v_add_f64_e32 v[144:145], v[144:145], v[154:155]
	ds_load_b128 v[4:7], v2 offset:1728
	ds_load_b128 v[8:11], v2 offset:1744
	;; [unrolled: 16-line block ×3, first 2 shown]
	s_wait_loadcnt_dscnt 0x301
	v_mul_f64_e32 v[146:147], v[4:5], v[158:159]
	v_mul_f64_e32 v[158:159], v[6:7], v[158:159]
	v_add_f64_e32 v[10:11], v[134:135], v[152:153]
	v_add_f64_e32 v[128:129], v[144:145], v[154:155]
	s_wait_loadcnt_dscnt 0x200
	v_mul_f64_e32 v[134:135], v[130:131], v[138:139]
	v_mul_f64_e32 v[138:139], v[132:133], v[138:139]
	v_fmac_f64_e32 v[146:147], v[6:7], v[156:157]
	v_fma_f64 v[144:145], v[4:5], v[156:157], -v[158:159]
	v_add_f64_e32 v[150:151], v[10:11], v[8:9]
	v_add_f64_e32 v[128:129], v[128:129], v[148:149]
	ds_load_b128 v[4:7], v2 offset:1792
	ds_load_b128 v[8:11], v2 offset:1808
	v_fmac_f64_e32 v[134:135], v[132:133], v[136:137]
	v_fma_f64 v[130:131], v[130:131], v[136:137], -v[138:139]
	s_wait_loadcnt_dscnt 0x101
	v_mul_f64_e32 v[2:3], v[4:5], v[162:163]
	v_mul_f64_e32 v[148:149], v[6:7], v[162:163]
	s_wait_loadcnt_dscnt 0x0
	v_mul_f64_e32 v[136:137], v[8:9], v[142:143]
	v_mul_f64_e32 v[138:139], v[10:11], v[142:143]
	v_add_f64_e32 v[132:133], v[150:151], v[144:145]
	v_add_f64_e32 v[128:129], v[128:129], v[146:147]
	v_fmac_f64_e32 v[2:3], v[6:7], v[160:161]
	v_fma_f64 v[4:5], v[4:5], v[160:161], -v[148:149]
	v_fmac_f64_e32 v[136:137], v[10:11], v[140:141]
	v_fma_f64 v[8:9], v[8:9], v[140:141], -v[138:139]
	v_add_f64_e32 v[6:7], v[132:133], v[130:131]
	v_add_f64_e32 v[128:129], v[128:129], v[134:135]
	s_delay_alu instid0(VALU_DEP_2) | instskip(NEXT) | instid1(VALU_DEP_2)
	v_add_f64_e32 v[4:5], v[6:7], v[4:5]
	v_add_f64_e32 v[2:3], v[128:129], v[2:3]
	s_delay_alu instid0(VALU_DEP_2) | instskip(NEXT) | instid1(VALU_DEP_2)
	;; [unrolled: 3-line block ×3, first 2 shown]
	v_add_f64_e64 v[2:3], v[172:173], -v[4:5]
	v_add_f64_e64 v[4:5], v[174:175], -v[6:7]
	scratch_store_b128 off, v[2:5], off offset:352
	s_wait_xcnt 0x0
	v_cmpx_lt_u32_e32 21, v1
	s_cbranch_execz .LBB120_313
; %bb.312:
	scratch_load_b128 v[2:5], off, s52
	v_mov_b32_e32 v6, 0
	s_delay_alu instid0(VALU_DEP_1)
	v_dual_mov_b32 v7, v6 :: v_dual_mov_b32 v8, v6
	v_mov_b32_e32 v9, v6
	scratch_store_b128 off, v[6:9], off offset:336
	s_wait_loadcnt 0x0
	ds_store_b128 v12, v[2:5]
.LBB120_313:
	s_wait_xcnt 0x0
	s_or_b32 exec_lo, exec_lo, s2
	s_wait_storecnt_dscnt 0x0
	s_barrier_signal -1
	s_barrier_wait -1
	s_clause 0x9
	scratch_load_b128 v[4:7], off, off offset:352
	scratch_load_b128 v[8:11], off, off offset:368
	;; [unrolled: 1-line block ×10, first 2 shown]
	v_mov_b32_e32 v2, 0
	s_mov_b32 s2, exec_lo
	ds_load_b128 v[160:163], v2 offset:1264
	s_clause 0x2
	scratch_load_b128 v[164:167], off, off offset:512
	scratch_load_b128 v[168:171], off, off offset:336
	;; [unrolled: 1-line block ×3, first 2 shown]
	s_wait_loadcnt_dscnt 0xc00
	v_mul_f64_e32 v[180:181], v[162:163], v[6:7]
	v_mul_f64_e32 v[184:185], v[160:161], v[6:7]
	ds_load_b128 v[172:175], v2 offset:1280
	v_fma_f64 v[188:189], v[160:161], v[4:5], -v[180:181]
	v_fmac_f64_e32 v[184:185], v[162:163], v[4:5]
	ds_load_b128 v[4:7], v2 offset:1296
	s_wait_loadcnt_dscnt 0xb01
	v_mul_f64_e32 v[186:187], v[172:173], v[10:11]
	v_mul_f64_e32 v[10:11], v[174:175], v[10:11]
	scratch_load_b128 v[160:163], off, off offset:544
	ds_load_b128 v[180:183], v2 offset:1312
	s_wait_loadcnt_dscnt 0xb01
	v_mul_f64_e32 v[190:191], v[4:5], v[130:131]
	v_mul_f64_e32 v[130:131], v[6:7], v[130:131]
	v_add_f64_e32 v[184:185], 0, v[184:185]
	v_fmac_f64_e32 v[186:187], v[174:175], v[8:9]
	v_fma_f64 v[172:173], v[172:173], v[8:9], -v[10:11]
	v_add_f64_e32 v[174:175], 0, v[188:189]
	scratch_load_b128 v[8:11], off, off offset:560
	v_fmac_f64_e32 v[190:191], v[6:7], v[128:129]
	v_fma_f64 v[192:193], v[4:5], v[128:129], -v[130:131]
	ds_load_b128 v[4:7], v2 offset:1328
	s_wait_loadcnt_dscnt 0xb01
	v_mul_f64_e32 v[188:189], v[180:181], v[134:135]
	v_mul_f64_e32 v[134:135], v[182:183], v[134:135]
	scratch_load_b128 v[128:131], off, off offset:576
	v_add_f64_e32 v[184:185], v[184:185], v[186:187]
	v_add_f64_e32 v[194:195], v[174:175], v[172:173]
	ds_load_b128 v[172:175], v2 offset:1344
	s_wait_loadcnt_dscnt 0xb01
	v_mul_f64_e32 v[186:187], v[4:5], v[138:139]
	v_mul_f64_e32 v[138:139], v[6:7], v[138:139]
	v_fmac_f64_e32 v[188:189], v[182:183], v[132:133]
	v_fma_f64 v[180:181], v[180:181], v[132:133], -v[134:135]
	scratch_load_b128 v[132:135], off, off offset:592
	v_add_f64_e32 v[184:185], v[184:185], v[190:191]
	v_add_f64_e32 v[182:183], v[194:195], v[192:193]
	v_fmac_f64_e32 v[186:187], v[6:7], v[136:137]
	v_fma_f64 v[192:193], v[4:5], v[136:137], -v[138:139]
	ds_load_b128 v[4:7], v2 offset:1360
	s_wait_loadcnt_dscnt 0xb01
	v_mul_f64_e32 v[190:191], v[172:173], v[142:143]
	v_mul_f64_e32 v[142:143], v[174:175], v[142:143]
	scratch_load_b128 v[136:139], off, off offset:608
	v_add_f64_e32 v[184:185], v[184:185], v[188:189]
	s_wait_loadcnt_dscnt 0xb00
	v_mul_f64_e32 v[188:189], v[4:5], v[146:147]
	v_add_f64_e32 v[194:195], v[182:183], v[180:181]
	v_mul_f64_e32 v[146:147], v[6:7], v[146:147]
	ds_load_b128 v[180:183], v2 offset:1376
	v_fmac_f64_e32 v[190:191], v[174:175], v[140:141]
	v_fma_f64 v[172:173], v[172:173], v[140:141], -v[142:143]
	scratch_load_b128 v[140:143], off, off offset:624
	v_add_f64_e32 v[184:185], v[184:185], v[186:187]
	v_fmac_f64_e32 v[188:189], v[6:7], v[144:145]
	v_add_f64_e32 v[174:175], v[194:195], v[192:193]
	v_fma_f64 v[192:193], v[4:5], v[144:145], -v[146:147]
	ds_load_b128 v[4:7], v2 offset:1392
	s_wait_loadcnt_dscnt 0xb01
	v_mul_f64_e32 v[186:187], v[180:181], v[150:151]
	v_mul_f64_e32 v[150:151], v[182:183], v[150:151]
	scratch_load_b128 v[144:147], off, off offset:640
	v_add_f64_e32 v[184:185], v[184:185], v[190:191]
	s_wait_loadcnt_dscnt 0xb00
	v_mul_f64_e32 v[190:191], v[4:5], v[154:155]
	v_add_f64_e32 v[194:195], v[174:175], v[172:173]
	v_mul_f64_e32 v[154:155], v[6:7], v[154:155]
	ds_load_b128 v[172:175], v2 offset:1408
	v_fmac_f64_e32 v[186:187], v[182:183], v[148:149]
	v_fma_f64 v[180:181], v[180:181], v[148:149], -v[150:151]
	scratch_load_b128 v[148:151], off, off offset:656
	v_add_f64_e32 v[184:185], v[184:185], v[188:189]
	v_fmac_f64_e32 v[190:191], v[6:7], v[152:153]
	v_add_f64_e32 v[182:183], v[194:195], v[192:193]
	;; [unrolled: 18-line block ×3, first 2 shown]
	v_fma_f64 v[192:193], v[4:5], v[164:165], -v[166:167]
	ds_load_b128 v[4:7], v2 offset:1456
	s_wait_loadcnt_dscnt 0xa01
	v_mul_f64_e32 v[190:191], v[180:181], v[178:179]
	v_mul_f64_e32 v[178:179], v[182:183], v[178:179]
	scratch_load_b128 v[164:167], off, off offset:704
	v_add_f64_e32 v[184:185], v[184:185], v[188:189]
	v_add_f64_e32 v[194:195], v[174:175], v[172:173]
	s_wait_loadcnt_dscnt 0xa00
	v_mul_f64_e32 v[188:189], v[4:5], v[162:163]
	v_mul_f64_e32 v[162:163], v[6:7], v[162:163]
	v_fmac_f64_e32 v[190:191], v[182:183], v[176:177]
	v_fma_f64 v[180:181], v[180:181], v[176:177], -v[178:179]
	ds_load_b128 v[172:175], v2 offset:1472
	scratch_load_b128 v[176:179], off, off offset:720
	v_add_f64_e32 v[184:185], v[184:185], v[186:187]
	v_add_f64_e32 v[182:183], v[194:195], v[192:193]
	v_fmac_f64_e32 v[188:189], v[6:7], v[160:161]
	v_fma_f64 v[192:193], v[4:5], v[160:161], -v[162:163]
	ds_load_b128 v[4:7], v2 offset:1488
	s_wait_loadcnt_dscnt 0xa01
	v_mul_f64_e32 v[186:187], v[172:173], v[10:11]
	v_mul_f64_e32 v[10:11], v[174:175], v[10:11]
	scratch_load_b128 v[160:163], off, off offset:736
	v_add_f64_e32 v[184:185], v[184:185], v[190:191]
	s_wait_loadcnt_dscnt 0xa00
	v_mul_f64_e32 v[190:191], v[4:5], v[130:131]
	v_add_f64_e32 v[194:195], v[182:183], v[180:181]
	v_mul_f64_e32 v[130:131], v[6:7], v[130:131]
	ds_load_b128 v[180:183], v2 offset:1504
	v_fmac_f64_e32 v[186:187], v[174:175], v[8:9]
	v_fma_f64 v[172:173], v[172:173], v[8:9], -v[10:11]
	scratch_load_b128 v[8:11], off, off offset:752
	v_add_f64_e32 v[184:185], v[184:185], v[188:189]
	v_fmac_f64_e32 v[190:191], v[6:7], v[128:129]
	v_add_f64_e32 v[174:175], v[194:195], v[192:193]
	v_fma_f64 v[192:193], v[4:5], v[128:129], -v[130:131]
	ds_load_b128 v[4:7], v2 offset:1520
	s_wait_loadcnt_dscnt 0xa01
	v_mul_f64_e32 v[188:189], v[180:181], v[134:135]
	v_mul_f64_e32 v[134:135], v[182:183], v[134:135]
	scratch_load_b128 v[128:131], off, off offset:768
	v_add_f64_e32 v[184:185], v[184:185], v[186:187]
	s_wait_loadcnt_dscnt 0xa00
	v_mul_f64_e32 v[186:187], v[4:5], v[138:139]
	v_add_f64_e32 v[194:195], v[174:175], v[172:173]
	v_mul_f64_e32 v[138:139], v[6:7], v[138:139]
	ds_load_b128 v[172:175], v2 offset:1536
	v_fmac_f64_e32 v[188:189], v[182:183], v[132:133]
	v_fma_f64 v[180:181], v[180:181], v[132:133], -v[134:135]
	scratch_load_b128 v[132:135], off, off offset:784
	v_add_f64_e32 v[184:185], v[184:185], v[190:191]
	v_fmac_f64_e32 v[186:187], v[6:7], v[136:137]
	v_add_f64_e32 v[182:183], v[194:195], v[192:193]
	;; [unrolled: 18-line block ×5, first 2 shown]
	v_fma_f64 v[192:193], v[4:5], v[164:165], -v[166:167]
	ds_load_b128 v[4:7], v2 offset:1648
	s_wait_loadcnt_dscnt 0xa01
	v_mul_f64_e32 v[190:191], v[180:181], v[178:179]
	v_mul_f64_e32 v[178:179], v[182:183], v[178:179]
	scratch_load_b128 v[164:167], off, off offset:896
	v_add_f64_e32 v[184:185], v[184:185], v[188:189]
	s_wait_loadcnt_dscnt 0xa00
	v_mul_f64_e32 v[188:189], v[4:5], v[162:163]
	v_add_f64_e32 v[194:195], v[174:175], v[172:173]
	v_mul_f64_e32 v[162:163], v[6:7], v[162:163]
	ds_load_b128 v[172:175], v2 offset:1664
	v_fmac_f64_e32 v[190:191], v[182:183], v[176:177]
	v_fma_f64 v[176:177], v[180:181], v[176:177], -v[178:179]
	s_wait_loadcnt_dscnt 0x900
	v_mul_f64_e32 v[182:183], v[172:173], v[10:11]
	v_mul_f64_e32 v[10:11], v[174:175], v[10:11]
	v_add_f64_e32 v[180:181], v[184:185], v[186:187]
	v_fmac_f64_e32 v[188:189], v[6:7], v[160:161]
	v_add_f64_e32 v[178:179], v[194:195], v[192:193]
	v_fma_f64 v[184:185], v[4:5], v[160:161], -v[162:163]
	ds_load_b128 v[4:7], v2 offset:1680
	ds_load_b128 v[160:163], v2 offset:1696
	v_fmac_f64_e32 v[182:183], v[174:175], v[8:9]
	v_fma_f64 v[8:9], v[172:173], v[8:9], -v[10:11]
	v_add_f64_e32 v[176:177], v[178:179], v[176:177]
	v_add_f64_e32 v[178:179], v[180:181], v[190:191]
	s_wait_loadcnt_dscnt 0x801
	v_mul_f64_e32 v[180:181], v[4:5], v[130:131]
	v_mul_f64_e32 v[130:131], v[6:7], v[130:131]
	s_wait_loadcnt_dscnt 0x700
	v_mul_f64_e32 v[174:175], v[160:161], v[134:135]
	v_mul_f64_e32 v[134:135], v[162:163], v[134:135]
	v_add_f64_e32 v[10:11], v[176:177], v[184:185]
	v_add_f64_e32 v[172:173], v[178:179], v[188:189]
	v_fmac_f64_e32 v[180:181], v[6:7], v[128:129]
	v_fma_f64 v[128:129], v[4:5], v[128:129], -v[130:131]
	v_fmac_f64_e32 v[174:175], v[162:163], v[132:133]
	v_fma_f64 v[132:133], v[160:161], v[132:133], -v[134:135]
	v_add_f64_e32 v[130:131], v[10:11], v[8:9]
	v_add_f64_e32 v[172:173], v[172:173], v[182:183]
	ds_load_b128 v[4:7], v2 offset:1712
	ds_load_b128 v[8:11], v2 offset:1728
	s_wait_loadcnt_dscnt 0x601
	v_mul_f64_e32 v[176:177], v[4:5], v[138:139]
	v_mul_f64_e32 v[138:139], v[6:7], v[138:139]
	s_wait_loadcnt_dscnt 0x500
	v_mul_f64_e32 v[134:135], v[8:9], v[142:143]
	v_mul_f64_e32 v[142:143], v[10:11], v[142:143]
	v_add_f64_e32 v[128:129], v[130:131], v[128:129]
	v_add_f64_e32 v[130:131], v[172:173], v[180:181]
	v_fmac_f64_e32 v[176:177], v[6:7], v[136:137]
	v_fma_f64 v[136:137], v[4:5], v[136:137], -v[138:139]
	v_fmac_f64_e32 v[134:135], v[10:11], v[140:141]
	v_fma_f64 v[8:9], v[8:9], v[140:141], -v[142:143]
	v_add_f64_e32 v[132:133], v[128:129], v[132:133]
	v_add_f64_e32 v[138:139], v[130:131], v[174:175]
	ds_load_b128 v[4:7], v2 offset:1744
	ds_load_b128 v[128:131], v2 offset:1760
	s_wait_loadcnt_dscnt 0x401
	v_mul_f64_e32 v[160:161], v[4:5], v[146:147]
	v_mul_f64_e32 v[146:147], v[6:7], v[146:147]
	v_add_f64_e32 v[10:11], v[132:133], v[136:137]
	v_add_f64_e32 v[132:133], v[138:139], v[176:177]
	s_wait_loadcnt_dscnt 0x300
	v_mul_f64_e32 v[136:137], v[128:129], v[150:151]
	v_mul_f64_e32 v[138:139], v[130:131], v[150:151]
	v_fmac_f64_e32 v[160:161], v[6:7], v[144:145]
	v_fma_f64 v[140:141], v[4:5], v[144:145], -v[146:147]
	v_add_f64_e32 v[142:143], v[10:11], v[8:9]
	v_add_f64_e32 v[132:133], v[132:133], v[134:135]
	ds_load_b128 v[4:7], v2 offset:1776
	ds_load_b128 v[8:11], v2 offset:1792
	v_fmac_f64_e32 v[136:137], v[130:131], v[148:149]
	v_fma_f64 v[128:129], v[128:129], v[148:149], -v[138:139]
	s_wait_loadcnt_dscnt 0x201
	v_mul_f64_e32 v[134:135], v[4:5], v[154:155]
	v_mul_f64_e32 v[144:145], v[6:7], v[154:155]
	s_wait_loadcnt_dscnt 0x100
	v_mul_f64_e32 v[138:139], v[8:9], v[158:159]
	v_add_f64_e32 v[130:131], v[142:143], v[140:141]
	v_add_f64_e32 v[132:133], v[132:133], v[160:161]
	v_mul_f64_e32 v[140:141], v[10:11], v[158:159]
	v_fmac_f64_e32 v[134:135], v[6:7], v[152:153]
	v_fma_f64 v[142:143], v[4:5], v[152:153], -v[144:145]
	ds_load_b128 v[4:7], v2 offset:1808
	v_fmac_f64_e32 v[138:139], v[10:11], v[156:157]
	v_add_f64_e32 v[128:129], v[130:131], v[128:129]
	v_add_f64_e32 v[130:131], v[132:133], v[136:137]
	v_fma_f64 v[8:9], v[8:9], v[156:157], -v[140:141]
	s_wait_loadcnt_dscnt 0x0
	v_mul_f64_e32 v[132:133], v[4:5], v[166:167]
	v_mul_f64_e32 v[136:137], v[6:7], v[166:167]
	v_add_f64_e32 v[10:11], v[128:129], v[142:143]
	v_add_f64_e32 v[128:129], v[130:131], v[134:135]
	s_delay_alu instid0(VALU_DEP_4) | instskip(NEXT) | instid1(VALU_DEP_4)
	v_fmac_f64_e32 v[132:133], v[6:7], v[164:165]
	v_fma_f64 v[4:5], v[4:5], v[164:165], -v[136:137]
	s_delay_alu instid0(VALU_DEP_4) | instskip(NEXT) | instid1(VALU_DEP_4)
	v_add_f64_e32 v[6:7], v[10:11], v[8:9]
	v_add_f64_e32 v[8:9], v[128:129], v[138:139]
	s_delay_alu instid0(VALU_DEP_2) | instskip(NEXT) | instid1(VALU_DEP_2)
	v_add_f64_e32 v[4:5], v[6:7], v[4:5]
	v_add_f64_e32 v[6:7], v[8:9], v[132:133]
	s_delay_alu instid0(VALU_DEP_2) | instskip(NEXT) | instid1(VALU_DEP_2)
	v_add_f64_e64 v[4:5], v[168:169], -v[4:5]
	v_add_f64_e64 v[6:7], v[170:171], -v[6:7]
	scratch_store_b128 off, v[4:7], off offset:336
	s_wait_xcnt 0x0
	v_cmpx_lt_u32_e32 20, v1
	s_cbranch_execz .LBB120_315
; %bb.314:
	scratch_load_b128 v[6:9], off, s53
	v_dual_mov_b32 v3, v2 :: v_dual_mov_b32 v4, v2
	v_mov_b32_e32 v5, v2
	scratch_store_b128 off, v[2:5], off offset:320
	s_wait_loadcnt 0x0
	ds_store_b128 v12, v[6:9]
.LBB120_315:
	s_wait_xcnt 0x0
	s_or_b32 exec_lo, exec_lo, s2
	s_wait_storecnt_dscnt 0x0
	s_barrier_signal -1
	s_barrier_wait -1
	s_clause 0x9
	scratch_load_b128 v[4:7], off, off offset:336
	scratch_load_b128 v[8:11], off, off offset:352
	;; [unrolled: 1-line block ×10, first 2 shown]
	ds_load_b128 v[160:163], v2 offset:1248
	ds_load_b128 v[168:171], v2 offset:1264
	s_clause 0x2
	scratch_load_b128 v[164:167], off, off offset:496
	scratch_load_b128 v[172:175], off, off offset:320
	;; [unrolled: 1-line block ×3, first 2 shown]
	s_mov_b32 s2, exec_lo
	s_wait_loadcnt_dscnt 0xc01
	v_mul_f64_e32 v[180:181], v[162:163], v[6:7]
	v_mul_f64_e32 v[184:185], v[160:161], v[6:7]
	s_wait_loadcnt_dscnt 0xb00
	v_mul_f64_e32 v[186:187], v[168:169], v[10:11]
	v_mul_f64_e32 v[10:11], v[170:171], v[10:11]
	s_delay_alu instid0(VALU_DEP_4) | instskip(NEXT) | instid1(VALU_DEP_4)
	v_fma_f64 v[188:189], v[160:161], v[4:5], -v[180:181]
	v_fmac_f64_e32 v[184:185], v[162:163], v[4:5]
	ds_load_b128 v[4:7], v2 offset:1280
	ds_load_b128 v[160:163], v2 offset:1296
	scratch_load_b128 v[180:183], off, off offset:528
	v_fmac_f64_e32 v[186:187], v[170:171], v[8:9]
	v_fma_f64 v[168:169], v[168:169], v[8:9], -v[10:11]
	scratch_load_b128 v[8:11], off, off offset:544
	s_wait_loadcnt_dscnt 0xc01
	v_mul_f64_e32 v[190:191], v[4:5], v[130:131]
	v_mul_f64_e32 v[130:131], v[6:7], v[130:131]
	v_add_f64_e32 v[170:171], 0, v[188:189]
	v_add_f64_e32 v[184:185], 0, v[184:185]
	s_wait_loadcnt_dscnt 0xb00
	v_mul_f64_e32 v[188:189], v[160:161], v[134:135]
	v_mul_f64_e32 v[134:135], v[162:163], v[134:135]
	v_fmac_f64_e32 v[190:191], v[6:7], v[128:129]
	v_fma_f64 v[192:193], v[4:5], v[128:129], -v[130:131]
	ds_load_b128 v[4:7], v2 offset:1312
	ds_load_b128 v[128:131], v2 offset:1328
	v_add_f64_e32 v[194:195], v[170:171], v[168:169]
	v_add_f64_e32 v[184:185], v[184:185], v[186:187]
	scratch_load_b128 v[168:171], off, off offset:560
	v_fmac_f64_e32 v[188:189], v[162:163], v[132:133]
	v_fma_f64 v[160:161], v[160:161], v[132:133], -v[134:135]
	scratch_load_b128 v[132:135], off, off offset:576
	s_wait_loadcnt_dscnt 0xc01
	v_mul_f64_e32 v[186:187], v[4:5], v[138:139]
	v_mul_f64_e32 v[138:139], v[6:7], v[138:139]
	v_add_f64_e32 v[162:163], v[194:195], v[192:193]
	v_add_f64_e32 v[184:185], v[184:185], v[190:191]
	s_wait_loadcnt_dscnt 0xb00
	v_mul_f64_e32 v[190:191], v[128:129], v[142:143]
	v_mul_f64_e32 v[142:143], v[130:131], v[142:143]
	v_fmac_f64_e32 v[186:187], v[6:7], v[136:137]
	v_fma_f64 v[192:193], v[4:5], v[136:137], -v[138:139]
	ds_load_b128 v[4:7], v2 offset:1344
	ds_load_b128 v[136:139], v2 offset:1360
	v_add_f64_e32 v[194:195], v[162:163], v[160:161]
	v_add_f64_e32 v[184:185], v[184:185], v[188:189]
	scratch_load_b128 v[160:163], off, off offset:592
	s_wait_loadcnt_dscnt 0xb01
	v_mul_f64_e32 v[188:189], v[4:5], v[146:147]
	v_mul_f64_e32 v[146:147], v[6:7], v[146:147]
	v_fmac_f64_e32 v[190:191], v[130:131], v[140:141]
	v_fma_f64 v[140:141], v[128:129], v[140:141], -v[142:143]
	scratch_load_b128 v[128:131], off, off offset:608
	v_add_f64_e32 v[142:143], v[194:195], v[192:193]
	v_add_f64_e32 v[184:185], v[184:185], v[186:187]
	s_wait_loadcnt_dscnt 0xb00
	v_mul_f64_e32 v[186:187], v[136:137], v[150:151]
	v_mul_f64_e32 v[150:151], v[138:139], v[150:151]
	v_fmac_f64_e32 v[188:189], v[6:7], v[144:145]
	v_fma_f64 v[192:193], v[4:5], v[144:145], -v[146:147]
	v_add_f64_e32 v[194:195], v[142:143], v[140:141]
	v_add_f64_e32 v[184:185], v[184:185], v[190:191]
	ds_load_b128 v[4:7], v2 offset:1376
	ds_load_b128 v[140:143], v2 offset:1392
	scratch_load_b128 v[144:147], off, off offset:624
	v_fmac_f64_e32 v[186:187], v[138:139], v[148:149]
	v_fma_f64 v[148:149], v[136:137], v[148:149], -v[150:151]
	scratch_load_b128 v[136:139], off, off offset:640
	s_wait_loadcnt_dscnt 0xc01
	v_mul_f64_e32 v[190:191], v[4:5], v[154:155]
	v_mul_f64_e32 v[154:155], v[6:7], v[154:155]
	v_add_f64_e32 v[150:151], v[194:195], v[192:193]
	v_add_f64_e32 v[184:185], v[184:185], v[188:189]
	s_wait_loadcnt_dscnt 0xb00
	v_mul_f64_e32 v[188:189], v[140:141], v[158:159]
	v_mul_f64_e32 v[158:159], v[142:143], v[158:159]
	v_fmac_f64_e32 v[190:191], v[6:7], v[152:153]
	v_fma_f64 v[192:193], v[4:5], v[152:153], -v[154:155]
	v_add_f64_e32 v[194:195], v[150:151], v[148:149]
	v_add_f64_e32 v[184:185], v[184:185], v[186:187]
	ds_load_b128 v[4:7], v2 offset:1408
	ds_load_b128 v[148:151], v2 offset:1424
	scratch_load_b128 v[152:155], off, off offset:656
	v_fmac_f64_e32 v[188:189], v[142:143], v[156:157]
	v_fma_f64 v[156:157], v[140:141], v[156:157], -v[158:159]
	scratch_load_b128 v[140:143], off, off offset:672
	s_wait_loadcnt_dscnt 0xc01
	v_mul_f64_e32 v[186:187], v[4:5], v[166:167]
	v_mul_f64_e32 v[166:167], v[6:7], v[166:167]
	;; [unrolled: 18-line block ×5, first 2 shown]
	v_add_f64_e32 v[178:179], v[194:195], v[192:193]
	v_add_f64_e32 v[184:185], v[184:185], v[190:191]
	s_wait_loadcnt_dscnt 0xa00
	v_mul_f64_e32 v[190:191], v[156:157], v[130:131]
	v_mul_f64_e32 v[130:131], v[158:159], v[130:131]
	v_fmac_f64_e32 v[186:187], v[6:7], v[160:161]
	v_fma_f64 v[192:193], v[4:5], v[160:161], -v[162:163]
	ds_load_b128 v[4:7], v2 offset:1536
	ds_load_b128 v[160:163], v2 offset:1552
	v_add_f64_e32 v[194:195], v[178:179], v[176:177]
	v_add_f64_e32 v[184:185], v[184:185], v[188:189]
	scratch_load_b128 v[176:179], off, off offset:784
	v_fmac_f64_e32 v[190:191], v[158:159], v[128:129]
	v_fma_f64 v[156:157], v[156:157], v[128:129], -v[130:131]
	scratch_load_b128 v[128:131], off, off offset:800
	s_wait_loadcnt_dscnt 0xb01
	v_mul_f64_e32 v[188:189], v[4:5], v[146:147]
	v_mul_f64_e32 v[146:147], v[6:7], v[146:147]
	v_add_f64_e32 v[158:159], v[194:195], v[192:193]
	v_add_f64_e32 v[184:185], v[184:185], v[186:187]
	s_wait_loadcnt_dscnt 0xa00
	v_mul_f64_e32 v[186:187], v[160:161], v[138:139]
	v_mul_f64_e32 v[138:139], v[162:163], v[138:139]
	v_fmac_f64_e32 v[188:189], v[6:7], v[144:145]
	v_fma_f64 v[192:193], v[4:5], v[144:145], -v[146:147]
	ds_load_b128 v[4:7], v2 offset:1568
	ds_load_b128 v[144:147], v2 offset:1584
	v_add_f64_e32 v[194:195], v[158:159], v[156:157]
	v_add_f64_e32 v[184:185], v[184:185], v[190:191]
	scratch_load_b128 v[156:159], off, off offset:816
	s_wait_loadcnt_dscnt 0xa01
	v_mul_f64_e32 v[190:191], v[4:5], v[154:155]
	v_mul_f64_e32 v[154:155], v[6:7], v[154:155]
	v_fmac_f64_e32 v[186:187], v[162:163], v[136:137]
	v_fma_f64 v[160:161], v[160:161], v[136:137], -v[138:139]
	scratch_load_b128 v[136:139], off, off offset:832
	v_add_f64_e32 v[162:163], v[194:195], v[192:193]
	v_add_f64_e32 v[184:185], v[184:185], v[188:189]
	s_wait_loadcnt_dscnt 0xa00
	v_mul_f64_e32 v[188:189], v[144:145], v[142:143]
	v_mul_f64_e32 v[142:143], v[146:147], v[142:143]
	v_fmac_f64_e32 v[190:191], v[6:7], v[152:153]
	v_fma_f64 v[192:193], v[4:5], v[152:153], -v[154:155]
	ds_load_b128 v[4:7], v2 offset:1600
	ds_load_b128 v[152:155], v2 offset:1616
	v_add_f64_e32 v[194:195], v[162:163], v[160:161]
	v_add_f64_e32 v[184:185], v[184:185], v[186:187]
	scratch_load_b128 v[160:163], off, off offset:848
	s_wait_loadcnt_dscnt 0xa01
	v_mul_f64_e32 v[186:187], v[4:5], v[166:167]
	v_mul_f64_e32 v[166:167], v[6:7], v[166:167]
	v_fmac_f64_e32 v[188:189], v[146:147], v[140:141]
	v_fma_f64 v[144:145], v[144:145], v[140:141], -v[142:143]
	scratch_load_b128 v[140:143], off, off offset:864
	v_add_f64_e32 v[146:147], v[194:195], v[192:193]
	v_add_f64_e32 v[184:185], v[184:185], v[190:191]
	s_wait_loadcnt_dscnt 0xa00
	v_mul_f64_e32 v[190:191], v[152:153], v[150:151]
	v_mul_f64_e32 v[150:151], v[154:155], v[150:151]
	v_fmac_f64_e32 v[186:187], v[6:7], v[164:165]
	v_fma_f64 v[192:193], v[4:5], v[164:165], -v[166:167]
	v_add_f64_e32 v[194:195], v[146:147], v[144:145]
	v_add_f64_e32 v[184:185], v[184:185], v[188:189]
	ds_load_b128 v[4:7], v2 offset:1632
	ds_load_b128 v[144:147], v2 offset:1648
	scratch_load_b128 v[164:167], off, off offset:880
	v_fmac_f64_e32 v[190:191], v[154:155], v[148:149]
	v_fma_f64 v[152:153], v[152:153], v[148:149], -v[150:151]
	scratch_load_b128 v[148:151], off, off offset:896
	s_wait_loadcnt_dscnt 0xb01
	v_mul_f64_e32 v[188:189], v[4:5], v[182:183]
	v_mul_f64_e32 v[182:183], v[6:7], v[182:183]
	v_add_f64_e32 v[154:155], v[194:195], v[192:193]
	v_add_f64_e32 v[184:185], v[184:185], v[186:187]
	s_wait_loadcnt_dscnt 0xa00
	v_mul_f64_e32 v[186:187], v[144:145], v[10:11]
	v_mul_f64_e32 v[10:11], v[146:147], v[10:11]
	v_fmac_f64_e32 v[188:189], v[6:7], v[180:181]
	v_fma_f64 v[180:181], v[4:5], v[180:181], -v[182:183]
	v_add_f64_e32 v[182:183], v[154:155], v[152:153]
	v_add_f64_e32 v[184:185], v[184:185], v[190:191]
	ds_load_b128 v[4:7], v2 offset:1664
	ds_load_b128 v[152:155], v2 offset:1680
	v_fmac_f64_e32 v[186:187], v[146:147], v[8:9]
	v_fma_f64 v[8:9], v[144:145], v[8:9], -v[10:11]
	s_wait_loadcnt_dscnt 0x901
	v_mul_f64_e32 v[190:191], v[4:5], v[170:171]
	v_mul_f64_e32 v[170:171], v[6:7], v[170:171]
	s_wait_loadcnt_dscnt 0x800
	v_mul_f64_e32 v[146:147], v[152:153], v[134:135]
	v_mul_f64_e32 v[134:135], v[154:155], v[134:135]
	v_add_f64_e32 v[10:11], v[182:183], v[180:181]
	v_add_f64_e32 v[144:145], v[184:185], v[188:189]
	v_fmac_f64_e32 v[190:191], v[6:7], v[168:169]
	v_fma_f64 v[168:169], v[4:5], v[168:169], -v[170:171]
	v_fmac_f64_e32 v[146:147], v[154:155], v[132:133]
	v_fma_f64 v[132:133], v[152:153], v[132:133], -v[134:135]
	v_add_f64_e32 v[170:171], v[10:11], v[8:9]
	v_add_f64_e32 v[144:145], v[144:145], v[186:187]
	ds_load_b128 v[4:7], v2 offset:1696
	ds_load_b128 v[8:11], v2 offset:1712
	s_wait_loadcnt_dscnt 0x701
	v_mul_f64_e32 v[180:181], v[4:5], v[178:179]
	v_mul_f64_e32 v[178:179], v[6:7], v[178:179]
	s_wait_loadcnt_dscnt 0x600
	v_mul_f64_e32 v[152:153], v[8:9], v[130:131]
	v_mul_f64_e32 v[154:155], v[10:11], v[130:131]
	v_add_f64_e32 v[134:135], v[170:171], v[168:169]
	v_add_f64_e32 v[144:145], v[144:145], v[190:191]
	v_fmac_f64_e32 v[180:181], v[6:7], v[176:177]
	v_fma_f64 v[168:169], v[4:5], v[176:177], -v[178:179]
	v_fmac_f64_e32 v[152:153], v[10:11], v[128:129]
	v_fma_f64 v[8:9], v[8:9], v[128:129], -v[154:155]
	v_add_f64_e32 v[134:135], v[134:135], v[132:133]
	v_add_f64_e32 v[144:145], v[144:145], v[146:147]
	ds_load_b128 v[4:7], v2 offset:1728
	ds_load_b128 v[130:133], v2 offset:1744
	s_wait_loadcnt_dscnt 0x501
	v_mul_f64_e32 v[146:147], v[4:5], v[158:159]
	v_mul_f64_e32 v[158:159], v[6:7], v[158:159]
	v_add_f64_e32 v[10:11], v[134:135], v[168:169]
	v_add_f64_e32 v[128:129], v[144:145], v[180:181]
	s_wait_loadcnt_dscnt 0x400
	v_mul_f64_e32 v[134:135], v[130:131], v[138:139]
	v_mul_f64_e32 v[138:139], v[132:133], v[138:139]
	v_fmac_f64_e32 v[146:147], v[6:7], v[156:157]
	v_fma_f64 v[144:145], v[4:5], v[156:157], -v[158:159]
	v_add_f64_e32 v[154:155], v[10:11], v[8:9]
	v_add_f64_e32 v[128:129], v[128:129], v[152:153]
	ds_load_b128 v[4:7], v2 offset:1760
	ds_load_b128 v[8:11], v2 offset:1776
	v_fmac_f64_e32 v[134:135], v[132:133], v[136:137]
	v_fma_f64 v[130:131], v[130:131], v[136:137], -v[138:139]
	s_wait_loadcnt_dscnt 0x301
	v_mul_f64_e32 v[152:153], v[4:5], v[162:163]
	v_mul_f64_e32 v[156:157], v[6:7], v[162:163]
	s_wait_loadcnt_dscnt 0x200
	v_mul_f64_e32 v[136:137], v[8:9], v[142:143]
	v_mul_f64_e32 v[138:139], v[10:11], v[142:143]
	v_add_f64_e32 v[132:133], v[154:155], v[144:145]
	v_add_f64_e32 v[128:129], v[128:129], v[146:147]
	v_fmac_f64_e32 v[152:153], v[6:7], v[160:161]
	v_fma_f64 v[142:143], v[4:5], v[160:161], -v[156:157]
	v_fmac_f64_e32 v[136:137], v[10:11], v[140:141]
	v_fma_f64 v[8:9], v[8:9], v[140:141], -v[138:139]
	v_add_f64_e32 v[132:133], v[132:133], v[130:131]
	v_add_f64_e32 v[134:135], v[128:129], v[134:135]
	ds_load_b128 v[4:7], v2 offset:1792
	ds_load_b128 v[128:131], v2 offset:1808
	s_wait_loadcnt_dscnt 0x101
	v_mul_f64_e32 v[2:3], v[4:5], v[166:167]
	v_mul_f64_e32 v[144:145], v[6:7], v[166:167]
	s_wait_loadcnt_dscnt 0x0
	v_mul_f64_e32 v[138:139], v[130:131], v[150:151]
	v_add_f64_e32 v[10:11], v[132:133], v[142:143]
	v_add_f64_e32 v[132:133], v[134:135], v[152:153]
	v_mul_f64_e32 v[134:135], v[128:129], v[150:151]
	v_fmac_f64_e32 v[2:3], v[6:7], v[164:165]
	v_fma_f64 v[4:5], v[4:5], v[164:165], -v[144:145]
	v_add_f64_e32 v[6:7], v[10:11], v[8:9]
	v_add_f64_e32 v[8:9], v[132:133], v[136:137]
	v_fmac_f64_e32 v[134:135], v[130:131], v[148:149]
	v_fma_f64 v[10:11], v[128:129], v[148:149], -v[138:139]
	s_delay_alu instid0(VALU_DEP_4) | instskip(NEXT) | instid1(VALU_DEP_4)
	v_add_f64_e32 v[4:5], v[6:7], v[4:5]
	v_add_f64_e32 v[2:3], v[8:9], v[2:3]
	s_delay_alu instid0(VALU_DEP_2) | instskip(NEXT) | instid1(VALU_DEP_2)
	v_add_f64_e32 v[4:5], v[4:5], v[10:11]
	v_add_f64_e32 v[6:7], v[2:3], v[134:135]
	s_delay_alu instid0(VALU_DEP_2) | instskip(NEXT) | instid1(VALU_DEP_2)
	v_add_f64_e64 v[2:3], v[172:173], -v[4:5]
	v_add_f64_e64 v[4:5], v[174:175], -v[6:7]
	scratch_store_b128 off, v[2:5], off offset:320
	s_wait_xcnt 0x0
	v_cmpx_lt_u32_e32 19, v1
	s_cbranch_execz .LBB120_317
; %bb.316:
	scratch_load_b128 v[2:5], off, s54
	v_mov_b32_e32 v6, 0
	s_delay_alu instid0(VALU_DEP_1)
	v_dual_mov_b32 v7, v6 :: v_dual_mov_b32 v8, v6
	v_mov_b32_e32 v9, v6
	scratch_store_b128 off, v[6:9], off offset:304
	s_wait_loadcnt 0x0
	ds_store_b128 v12, v[2:5]
.LBB120_317:
	s_wait_xcnt 0x0
	s_or_b32 exec_lo, exec_lo, s2
	s_wait_storecnt_dscnt 0x0
	s_barrier_signal -1
	s_barrier_wait -1
	s_clause 0x9
	scratch_load_b128 v[4:7], off, off offset:320
	scratch_load_b128 v[8:11], off, off offset:336
	;; [unrolled: 1-line block ×10, first 2 shown]
	v_mov_b32_e32 v2, 0
	s_mov_b32 s2, exec_lo
	ds_load_b128 v[160:163], v2 offset:1232
	s_clause 0x2
	scratch_load_b128 v[164:167], off, off offset:480
	scratch_load_b128 v[168:171], off, off offset:304
	scratch_load_b128 v[176:179], off, off offset:496
	s_wait_loadcnt_dscnt 0xc00
	v_mul_f64_e32 v[180:181], v[162:163], v[6:7]
	v_mul_f64_e32 v[184:185], v[160:161], v[6:7]
	ds_load_b128 v[172:175], v2 offset:1248
	v_fma_f64 v[188:189], v[160:161], v[4:5], -v[180:181]
	v_fmac_f64_e32 v[184:185], v[162:163], v[4:5]
	ds_load_b128 v[4:7], v2 offset:1264
	s_wait_loadcnt_dscnt 0xb01
	v_mul_f64_e32 v[186:187], v[172:173], v[10:11]
	v_mul_f64_e32 v[10:11], v[174:175], v[10:11]
	scratch_load_b128 v[160:163], off, off offset:512
	ds_load_b128 v[180:183], v2 offset:1280
	s_wait_loadcnt_dscnt 0xb01
	v_mul_f64_e32 v[190:191], v[4:5], v[130:131]
	v_mul_f64_e32 v[130:131], v[6:7], v[130:131]
	v_add_f64_e32 v[184:185], 0, v[184:185]
	v_fmac_f64_e32 v[186:187], v[174:175], v[8:9]
	v_fma_f64 v[172:173], v[172:173], v[8:9], -v[10:11]
	v_add_f64_e32 v[174:175], 0, v[188:189]
	scratch_load_b128 v[8:11], off, off offset:528
	v_fmac_f64_e32 v[190:191], v[6:7], v[128:129]
	v_fma_f64 v[192:193], v[4:5], v[128:129], -v[130:131]
	ds_load_b128 v[4:7], v2 offset:1296
	s_wait_loadcnt_dscnt 0xb01
	v_mul_f64_e32 v[188:189], v[180:181], v[134:135]
	v_mul_f64_e32 v[134:135], v[182:183], v[134:135]
	scratch_load_b128 v[128:131], off, off offset:544
	v_add_f64_e32 v[184:185], v[184:185], v[186:187]
	v_add_f64_e32 v[194:195], v[174:175], v[172:173]
	ds_load_b128 v[172:175], v2 offset:1312
	s_wait_loadcnt_dscnt 0xb01
	v_mul_f64_e32 v[186:187], v[4:5], v[138:139]
	v_mul_f64_e32 v[138:139], v[6:7], v[138:139]
	v_fmac_f64_e32 v[188:189], v[182:183], v[132:133]
	v_fma_f64 v[180:181], v[180:181], v[132:133], -v[134:135]
	scratch_load_b128 v[132:135], off, off offset:560
	v_add_f64_e32 v[184:185], v[184:185], v[190:191]
	v_add_f64_e32 v[182:183], v[194:195], v[192:193]
	v_fmac_f64_e32 v[186:187], v[6:7], v[136:137]
	v_fma_f64 v[192:193], v[4:5], v[136:137], -v[138:139]
	ds_load_b128 v[4:7], v2 offset:1328
	s_wait_loadcnt_dscnt 0xb01
	v_mul_f64_e32 v[190:191], v[172:173], v[142:143]
	v_mul_f64_e32 v[142:143], v[174:175], v[142:143]
	scratch_load_b128 v[136:139], off, off offset:576
	v_add_f64_e32 v[184:185], v[184:185], v[188:189]
	s_wait_loadcnt_dscnt 0xb00
	v_mul_f64_e32 v[188:189], v[4:5], v[146:147]
	v_add_f64_e32 v[194:195], v[182:183], v[180:181]
	v_mul_f64_e32 v[146:147], v[6:7], v[146:147]
	ds_load_b128 v[180:183], v2 offset:1344
	v_fmac_f64_e32 v[190:191], v[174:175], v[140:141]
	v_fma_f64 v[172:173], v[172:173], v[140:141], -v[142:143]
	scratch_load_b128 v[140:143], off, off offset:592
	v_add_f64_e32 v[184:185], v[184:185], v[186:187]
	v_fmac_f64_e32 v[188:189], v[6:7], v[144:145]
	v_add_f64_e32 v[174:175], v[194:195], v[192:193]
	v_fma_f64 v[192:193], v[4:5], v[144:145], -v[146:147]
	ds_load_b128 v[4:7], v2 offset:1360
	s_wait_loadcnt_dscnt 0xb01
	v_mul_f64_e32 v[186:187], v[180:181], v[150:151]
	v_mul_f64_e32 v[150:151], v[182:183], v[150:151]
	scratch_load_b128 v[144:147], off, off offset:608
	v_add_f64_e32 v[184:185], v[184:185], v[190:191]
	s_wait_loadcnt_dscnt 0xb00
	v_mul_f64_e32 v[190:191], v[4:5], v[154:155]
	v_add_f64_e32 v[194:195], v[174:175], v[172:173]
	v_mul_f64_e32 v[154:155], v[6:7], v[154:155]
	ds_load_b128 v[172:175], v2 offset:1376
	v_fmac_f64_e32 v[186:187], v[182:183], v[148:149]
	v_fma_f64 v[180:181], v[180:181], v[148:149], -v[150:151]
	scratch_load_b128 v[148:151], off, off offset:624
	v_add_f64_e32 v[184:185], v[184:185], v[188:189]
	v_fmac_f64_e32 v[190:191], v[6:7], v[152:153]
	v_add_f64_e32 v[182:183], v[194:195], v[192:193]
	;; [unrolled: 18-line block ×3, first 2 shown]
	v_fma_f64 v[192:193], v[4:5], v[164:165], -v[166:167]
	ds_load_b128 v[4:7], v2 offset:1424
	s_wait_loadcnt_dscnt 0xa01
	v_mul_f64_e32 v[190:191], v[180:181], v[178:179]
	v_mul_f64_e32 v[178:179], v[182:183], v[178:179]
	scratch_load_b128 v[164:167], off, off offset:672
	v_add_f64_e32 v[184:185], v[184:185], v[188:189]
	v_add_f64_e32 v[194:195], v[174:175], v[172:173]
	s_wait_loadcnt_dscnt 0xa00
	v_mul_f64_e32 v[188:189], v[4:5], v[162:163]
	v_mul_f64_e32 v[162:163], v[6:7], v[162:163]
	v_fmac_f64_e32 v[190:191], v[182:183], v[176:177]
	v_fma_f64 v[180:181], v[180:181], v[176:177], -v[178:179]
	ds_load_b128 v[172:175], v2 offset:1440
	scratch_load_b128 v[176:179], off, off offset:688
	v_add_f64_e32 v[184:185], v[184:185], v[186:187]
	v_add_f64_e32 v[182:183], v[194:195], v[192:193]
	v_fmac_f64_e32 v[188:189], v[6:7], v[160:161]
	v_fma_f64 v[192:193], v[4:5], v[160:161], -v[162:163]
	ds_load_b128 v[4:7], v2 offset:1456
	s_wait_loadcnt_dscnt 0xa01
	v_mul_f64_e32 v[186:187], v[172:173], v[10:11]
	v_mul_f64_e32 v[10:11], v[174:175], v[10:11]
	scratch_load_b128 v[160:163], off, off offset:704
	v_add_f64_e32 v[184:185], v[184:185], v[190:191]
	s_wait_loadcnt_dscnt 0xa00
	v_mul_f64_e32 v[190:191], v[4:5], v[130:131]
	v_add_f64_e32 v[194:195], v[182:183], v[180:181]
	v_mul_f64_e32 v[130:131], v[6:7], v[130:131]
	ds_load_b128 v[180:183], v2 offset:1472
	v_fmac_f64_e32 v[186:187], v[174:175], v[8:9]
	v_fma_f64 v[172:173], v[172:173], v[8:9], -v[10:11]
	scratch_load_b128 v[8:11], off, off offset:720
	v_add_f64_e32 v[184:185], v[184:185], v[188:189]
	v_fmac_f64_e32 v[190:191], v[6:7], v[128:129]
	v_add_f64_e32 v[174:175], v[194:195], v[192:193]
	v_fma_f64 v[192:193], v[4:5], v[128:129], -v[130:131]
	ds_load_b128 v[4:7], v2 offset:1488
	s_wait_loadcnt_dscnt 0xa01
	v_mul_f64_e32 v[188:189], v[180:181], v[134:135]
	v_mul_f64_e32 v[134:135], v[182:183], v[134:135]
	scratch_load_b128 v[128:131], off, off offset:736
	v_add_f64_e32 v[184:185], v[184:185], v[186:187]
	s_wait_loadcnt_dscnt 0xa00
	v_mul_f64_e32 v[186:187], v[4:5], v[138:139]
	v_add_f64_e32 v[194:195], v[174:175], v[172:173]
	v_mul_f64_e32 v[138:139], v[6:7], v[138:139]
	ds_load_b128 v[172:175], v2 offset:1504
	v_fmac_f64_e32 v[188:189], v[182:183], v[132:133]
	v_fma_f64 v[180:181], v[180:181], v[132:133], -v[134:135]
	scratch_load_b128 v[132:135], off, off offset:752
	v_add_f64_e32 v[184:185], v[184:185], v[190:191]
	v_fmac_f64_e32 v[186:187], v[6:7], v[136:137]
	v_add_f64_e32 v[182:183], v[194:195], v[192:193]
	;; [unrolled: 18-line block ×6, first 2 shown]
	v_fma_f64 v[192:193], v[4:5], v[160:161], -v[162:163]
	ds_load_b128 v[4:7], v2 offset:1648
	s_wait_loadcnt_dscnt 0xa01
	v_mul_f64_e32 v[186:187], v[172:173], v[10:11]
	v_mul_f64_e32 v[10:11], v[174:175], v[10:11]
	scratch_load_b128 v[160:163], off, off offset:896
	v_add_f64_e32 v[184:185], v[184:185], v[190:191]
	s_wait_loadcnt_dscnt 0xa00
	v_mul_f64_e32 v[190:191], v[4:5], v[130:131]
	v_add_f64_e32 v[194:195], v[182:183], v[180:181]
	v_mul_f64_e32 v[130:131], v[6:7], v[130:131]
	ds_load_b128 v[180:183], v2 offset:1664
	v_fmac_f64_e32 v[186:187], v[174:175], v[8:9]
	v_fma_f64 v[8:9], v[172:173], v[8:9], -v[10:11]
	s_wait_loadcnt_dscnt 0x900
	v_mul_f64_e32 v[174:175], v[180:181], v[134:135]
	v_mul_f64_e32 v[134:135], v[182:183], v[134:135]
	v_add_f64_e32 v[172:173], v[184:185], v[188:189]
	v_fmac_f64_e32 v[190:191], v[6:7], v[128:129]
	v_add_f64_e32 v[10:11], v[194:195], v[192:193]
	v_fma_f64 v[128:129], v[4:5], v[128:129], -v[130:131]
	v_fmac_f64_e32 v[174:175], v[182:183], v[132:133]
	v_fma_f64 v[132:133], v[180:181], v[132:133], -v[134:135]
	v_add_f64_e32 v[172:173], v[172:173], v[186:187]
	v_add_f64_e32 v[130:131], v[10:11], v[8:9]
	ds_load_b128 v[4:7], v2 offset:1680
	ds_load_b128 v[8:11], v2 offset:1696
	s_wait_loadcnt_dscnt 0x801
	v_mul_f64_e32 v[184:185], v[4:5], v[138:139]
	v_mul_f64_e32 v[138:139], v[6:7], v[138:139]
	s_wait_loadcnt_dscnt 0x700
	v_mul_f64_e32 v[134:135], v[8:9], v[142:143]
	v_mul_f64_e32 v[142:143], v[10:11], v[142:143]
	v_add_f64_e32 v[128:129], v[130:131], v[128:129]
	v_add_f64_e32 v[130:131], v[172:173], v[190:191]
	v_fmac_f64_e32 v[184:185], v[6:7], v[136:137]
	v_fma_f64 v[136:137], v[4:5], v[136:137], -v[138:139]
	v_fmac_f64_e32 v[134:135], v[10:11], v[140:141]
	v_fma_f64 v[8:9], v[8:9], v[140:141], -v[142:143]
	v_add_f64_e32 v[132:133], v[128:129], v[132:133]
	v_add_f64_e32 v[138:139], v[130:131], v[174:175]
	ds_load_b128 v[4:7], v2 offset:1712
	ds_load_b128 v[128:131], v2 offset:1728
	s_wait_loadcnt_dscnt 0x601
	v_mul_f64_e32 v[172:173], v[4:5], v[146:147]
	v_mul_f64_e32 v[146:147], v[6:7], v[146:147]
	v_add_f64_e32 v[10:11], v[132:133], v[136:137]
	v_add_f64_e32 v[132:133], v[138:139], v[184:185]
	s_wait_loadcnt_dscnt 0x500
	v_mul_f64_e32 v[136:137], v[128:129], v[150:151]
	v_mul_f64_e32 v[138:139], v[130:131], v[150:151]
	v_fmac_f64_e32 v[172:173], v[6:7], v[144:145]
	v_fma_f64 v[140:141], v[4:5], v[144:145], -v[146:147]
	v_add_f64_e32 v[142:143], v[10:11], v[8:9]
	v_add_f64_e32 v[132:133], v[132:133], v[134:135]
	ds_load_b128 v[4:7], v2 offset:1744
	ds_load_b128 v[8:11], v2 offset:1760
	v_fmac_f64_e32 v[136:137], v[130:131], v[148:149]
	v_fma_f64 v[128:129], v[128:129], v[148:149], -v[138:139]
	s_wait_loadcnt_dscnt 0x401
	v_mul_f64_e32 v[134:135], v[4:5], v[154:155]
	v_mul_f64_e32 v[144:145], v[6:7], v[154:155]
	s_wait_loadcnt_dscnt 0x300
	v_mul_f64_e32 v[138:139], v[8:9], v[158:159]
	v_add_f64_e32 v[130:131], v[142:143], v[140:141]
	v_add_f64_e32 v[132:133], v[132:133], v[172:173]
	v_mul_f64_e32 v[140:141], v[10:11], v[158:159]
	v_fmac_f64_e32 v[134:135], v[6:7], v[152:153]
	v_fma_f64 v[142:143], v[4:5], v[152:153], -v[144:145]
	v_fmac_f64_e32 v[138:139], v[10:11], v[156:157]
	v_add_f64_e32 v[144:145], v[130:131], v[128:129]
	v_add_f64_e32 v[132:133], v[132:133], v[136:137]
	ds_load_b128 v[4:7], v2 offset:1776
	ds_load_b128 v[128:131], v2 offset:1792
	v_fma_f64 v[8:9], v[8:9], v[156:157], -v[140:141]
	s_wait_loadcnt_dscnt 0x201
	v_mul_f64_e32 v[136:137], v[4:5], v[166:167]
	v_mul_f64_e32 v[146:147], v[6:7], v[166:167]
	s_wait_loadcnt_dscnt 0x100
	v_mul_f64_e32 v[140:141], v[130:131], v[178:179]
	v_add_f64_e32 v[10:11], v[144:145], v[142:143]
	v_add_f64_e32 v[132:133], v[132:133], v[134:135]
	v_mul_f64_e32 v[134:135], v[128:129], v[178:179]
	v_fmac_f64_e32 v[136:137], v[6:7], v[164:165]
	v_fma_f64 v[142:143], v[4:5], v[164:165], -v[146:147]
	ds_load_b128 v[4:7], v2 offset:1808
	v_fma_f64 v[128:129], v[128:129], v[176:177], -v[140:141]
	v_add_f64_e32 v[8:9], v[10:11], v[8:9]
	v_add_f64_e32 v[10:11], v[132:133], v[138:139]
	v_fmac_f64_e32 v[134:135], v[130:131], v[176:177]
	s_wait_loadcnt_dscnt 0x0
	v_mul_f64_e32 v[132:133], v[4:5], v[162:163]
	v_mul_f64_e32 v[138:139], v[6:7], v[162:163]
	v_add_f64_e32 v[8:9], v[8:9], v[142:143]
	v_add_f64_e32 v[10:11], v[10:11], v[136:137]
	s_delay_alu instid0(VALU_DEP_4) | instskip(NEXT) | instid1(VALU_DEP_4)
	v_fmac_f64_e32 v[132:133], v[6:7], v[160:161]
	v_fma_f64 v[4:5], v[4:5], v[160:161], -v[138:139]
	s_delay_alu instid0(VALU_DEP_4) | instskip(NEXT) | instid1(VALU_DEP_4)
	v_add_f64_e32 v[6:7], v[8:9], v[128:129]
	v_add_f64_e32 v[8:9], v[10:11], v[134:135]
	s_delay_alu instid0(VALU_DEP_2) | instskip(NEXT) | instid1(VALU_DEP_2)
	v_add_f64_e32 v[4:5], v[6:7], v[4:5]
	v_add_f64_e32 v[6:7], v[8:9], v[132:133]
	s_delay_alu instid0(VALU_DEP_2) | instskip(NEXT) | instid1(VALU_DEP_2)
	v_add_f64_e64 v[4:5], v[168:169], -v[4:5]
	v_add_f64_e64 v[6:7], v[170:171], -v[6:7]
	scratch_store_b128 off, v[4:7], off offset:304
	s_wait_xcnt 0x0
	v_cmpx_lt_u32_e32 18, v1
	s_cbranch_execz .LBB120_319
; %bb.318:
	scratch_load_b128 v[6:9], off, s55
	v_dual_mov_b32 v3, v2 :: v_dual_mov_b32 v4, v2
	v_mov_b32_e32 v5, v2
	scratch_store_b128 off, v[2:5], off offset:288
	s_wait_loadcnt 0x0
	ds_store_b128 v12, v[6:9]
.LBB120_319:
	s_wait_xcnt 0x0
	s_or_b32 exec_lo, exec_lo, s2
	s_wait_storecnt_dscnt 0x0
	s_barrier_signal -1
	s_barrier_wait -1
	s_clause 0x9
	scratch_load_b128 v[4:7], off, off offset:304
	scratch_load_b128 v[8:11], off, off offset:320
	;; [unrolled: 1-line block ×10, first 2 shown]
	ds_load_b128 v[160:163], v2 offset:1216
	ds_load_b128 v[168:171], v2 offset:1232
	s_clause 0x2
	scratch_load_b128 v[164:167], off, off offset:464
	scratch_load_b128 v[172:175], off, off offset:288
	scratch_load_b128 v[176:179], off, off offset:480
	s_mov_b32 s2, exec_lo
	s_wait_loadcnt_dscnt 0xc01
	v_mul_f64_e32 v[180:181], v[162:163], v[6:7]
	v_mul_f64_e32 v[184:185], v[160:161], v[6:7]
	s_wait_loadcnt_dscnt 0xb00
	v_mul_f64_e32 v[186:187], v[168:169], v[10:11]
	v_mul_f64_e32 v[10:11], v[170:171], v[10:11]
	s_delay_alu instid0(VALU_DEP_4) | instskip(NEXT) | instid1(VALU_DEP_4)
	v_fma_f64 v[188:189], v[160:161], v[4:5], -v[180:181]
	v_fmac_f64_e32 v[184:185], v[162:163], v[4:5]
	ds_load_b128 v[4:7], v2 offset:1248
	ds_load_b128 v[160:163], v2 offset:1264
	scratch_load_b128 v[180:183], off, off offset:496
	v_fmac_f64_e32 v[186:187], v[170:171], v[8:9]
	v_fma_f64 v[168:169], v[168:169], v[8:9], -v[10:11]
	scratch_load_b128 v[8:11], off, off offset:512
	s_wait_loadcnt_dscnt 0xc01
	v_mul_f64_e32 v[190:191], v[4:5], v[130:131]
	v_mul_f64_e32 v[130:131], v[6:7], v[130:131]
	v_add_f64_e32 v[170:171], 0, v[188:189]
	v_add_f64_e32 v[184:185], 0, v[184:185]
	s_wait_loadcnt_dscnt 0xb00
	v_mul_f64_e32 v[188:189], v[160:161], v[134:135]
	v_mul_f64_e32 v[134:135], v[162:163], v[134:135]
	v_fmac_f64_e32 v[190:191], v[6:7], v[128:129]
	v_fma_f64 v[192:193], v[4:5], v[128:129], -v[130:131]
	ds_load_b128 v[4:7], v2 offset:1280
	ds_load_b128 v[128:131], v2 offset:1296
	v_add_f64_e32 v[194:195], v[170:171], v[168:169]
	v_add_f64_e32 v[184:185], v[184:185], v[186:187]
	scratch_load_b128 v[168:171], off, off offset:528
	v_fmac_f64_e32 v[188:189], v[162:163], v[132:133]
	v_fma_f64 v[160:161], v[160:161], v[132:133], -v[134:135]
	scratch_load_b128 v[132:135], off, off offset:544
	s_wait_loadcnt_dscnt 0xc01
	v_mul_f64_e32 v[186:187], v[4:5], v[138:139]
	v_mul_f64_e32 v[138:139], v[6:7], v[138:139]
	v_add_f64_e32 v[162:163], v[194:195], v[192:193]
	v_add_f64_e32 v[184:185], v[184:185], v[190:191]
	s_wait_loadcnt_dscnt 0xb00
	v_mul_f64_e32 v[190:191], v[128:129], v[142:143]
	v_mul_f64_e32 v[142:143], v[130:131], v[142:143]
	v_fmac_f64_e32 v[186:187], v[6:7], v[136:137]
	v_fma_f64 v[192:193], v[4:5], v[136:137], -v[138:139]
	ds_load_b128 v[4:7], v2 offset:1312
	ds_load_b128 v[136:139], v2 offset:1328
	v_add_f64_e32 v[194:195], v[162:163], v[160:161]
	v_add_f64_e32 v[184:185], v[184:185], v[188:189]
	scratch_load_b128 v[160:163], off, off offset:560
	s_wait_loadcnt_dscnt 0xb01
	v_mul_f64_e32 v[188:189], v[4:5], v[146:147]
	v_mul_f64_e32 v[146:147], v[6:7], v[146:147]
	v_fmac_f64_e32 v[190:191], v[130:131], v[140:141]
	v_fma_f64 v[140:141], v[128:129], v[140:141], -v[142:143]
	scratch_load_b128 v[128:131], off, off offset:576
	v_add_f64_e32 v[142:143], v[194:195], v[192:193]
	v_add_f64_e32 v[184:185], v[184:185], v[186:187]
	s_wait_loadcnt_dscnt 0xb00
	v_mul_f64_e32 v[186:187], v[136:137], v[150:151]
	v_mul_f64_e32 v[150:151], v[138:139], v[150:151]
	v_fmac_f64_e32 v[188:189], v[6:7], v[144:145]
	v_fma_f64 v[192:193], v[4:5], v[144:145], -v[146:147]
	v_add_f64_e32 v[194:195], v[142:143], v[140:141]
	v_add_f64_e32 v[184:185], v[184:185], v[190:191]
	ds_load_b128 v[4:7], v2 offset:1344
	ds_load_b128 v[140:143], v2 offset:1360
	scratch_load_b128 v[144:147], off, off offset:592
	v_fmac_f64_e32 v[186:187], v[138:139], v[148:149]
	v_fma_f64 v[148:149], v[136:137], v[148:149], -v[150:151]
	scratch_load_b128 v[136:139], off, off offset:608
	s_wait_loadcnt_dscnt 0xc01
	v_mul_f64_e32 v[190:191], v[4:5], v[154:155]
	v_mul_f64_e32 v[154:155], v[6:7], v[154:155]
	v_add_f64_e32 v[150:151], v[194:195], v[192:193]
	v_add_f64_e32 v[184:185], v[184:185], v[188:189]
	s_wait_loadcnt_dscnt 0xb00
	v_mul_f64_e32 v[188:189], v[140:141], v[158:159]
	v_mul_f64_e32 v[158:159], v[142:143], v[158:159]
	v_fmac_f64_e32 v[190:191], v[6:7], v[152:153]
	v_fma_f64 v[192:193], v[4:5], v[152:153], -v[154:155]
	v_add_f64_e32 v[194:195], v[150:151], v[148:149]
	v_add_f64_e32 v[184:185], v[184:185], v[186:187]
	ds_load_b128 v[4:7], v2 offset:1376
	ds_load_b128 v[148:151], v2 offset:1392
	scratch_load_b128 v[152:155], off, off offset:624
	v_fmac_f64_e32 v[188:189], v[142:143], v[156:157]
	v_fma_f64 v[156:157], v[140:141], v[156:157], -v[158:159]
	scratch_load_b128 v[140:143], off, off offset:640
	s_wait_loadcnt_dscnt 0xc01
	v_mul_f64_e32 v[186:187], v[4:5], v[166:167]
	v_mul_f64_e32 v[166:167], v[6:7], v[166:167]
	;; [unrolled: 18-line block ×5, first 2 shown]
	v_add_f64_e32 v[178:179], v[194:195], v[192:193]
	v_add_f64_e32 v[184:185], v[184:185], v[190:191]
	s_wait_loadcnt_dscnt 0xa00
	v_mul_f64_e32 v[190:191], v[156:157], v[130:131]
	v_mul_f64_e32 v[130:131], v[158:159], v[130:131]
	v_fmac_f64_e32 v[186:187], v[6:7], v[160:161]
	v_fma_f64 v[192:193], v[4:5], v[160:161], -v[162:163]
	ds_load_b128 v[4:7], v2 offset:1504
	ds_load_b128 v[160:163], v2 offset:1520
	v_add_f64_e32 v[194:195], v[178:179], v[176:177]
	v_add_f64_e32 v[184:185], v[184:185], v[188:189]
	scratch_load_b128 v[176:179], off, off offset:752
	v_fmac_f64_e32 v[190:191], v[158:159], v[128:129]
	v_fma_f64 v[156:157], v[156:157], v[128:129], -v[130:131]
	scratch_load_b128 v[128:131], off, off offset:768
	s_wait_loadcnt_dscnt 0xb01
	v_mul_f64_e32 v[188:189], v[4:5], v[146:147]
	v_mul_f64_e32 v[146:147], v[6:7], v[146:147]
	v_add_f64_e32 v[158:159], v[194:195], v[192:193]
	v_add_f64_e32 v[184:185], v[184:185], v[186:187]
	s_wait_loadcnt_dscnt 0xa00
	v_mul_f64_e32 v[186:187], v[160:161], v[138:139]
	v_mul_f64_e32 v[138:139], v[162:163], v[138:139]
	v_fmac_f64_e32 v[188:189], v[6:7], v[144:145]
	v_fma_f64 v[192:193], v[4:5], v[144:145], -v[146:147]
	ds_load_b128 v[4:7], v2 offset:1536
	ds_load_b128 v[144:147], v2 offset:1552
	v_add_f64_e32 v[194:195], v[158:159], v[156:157]
	v_add_f64_e32 v[184:185], v[184:185], v[190:191]
	scratch_load_b128 v[156:159], off, off offset:784
	s_wait_loadcnt_dscnt 0xa01
	v_mul_f64_e32 v[190:191], v[4:5], v[154:155]
	v_mul_f64_e32 v[154:155], v[6:7], v[154:155]
	v_fmac_f64_e32 v[186:187], v[162:163], v[136:137]
	v_fma_f64 v[160:161], v[160:161], v[136:137], -v[138:139]
	scratch_load_b128 v[136:139], off, off offset:800
	v_add_f64_e32 v[162:163], v[194:195], v[192:193]
	v_add_f64_e32 v[184:185], v[184:185], v[188:189]
	s_wait_loadcnt_dscnt 0xa00
	v_mul_f64_e32 v[188:189], v[144:145], v[142:143]
	v_mul_f64_e32 v[142:143], v[146:147], v[142:143]
	v_fmac_f64_e32 v[190:191], v[6:7], v[152:153]
	v_fma_f64 v[192:193], v[4:5], v[152:153], -v[154:155]
	ds_load_b128 v[4:7], v2 offset:1568
	ds_load_b128 v[152:155], v2 offset:1584
	v_add_f64_e32 v[194:195], v[162:163], v[160:161]
	v_add_f64_e32 v[184:185], v[184:185], v[186:187]
	scratch_load_b128 v[160:163], off, off offset:816
	s_wait_loadcnt_dscnt 0xa01
	v_mul_f64_e32 v[186:187], v[4:5], v[166:167]
	v_mul_f64_e32 v[166:167], v[6:7], v[166:167]
	v_fmac_f64_e32 v[188:189], v[146:147], v[140:141]
	v_fma_f64 v[144:145], v[144:145], v[140:141], -v[142:143]
	scratch_load_b128 v[140:143], off, off offset:832
	v_add_f64_e32 v[146:147], v[194:195], v[192:193]
	v_add_f64_e32 v[184:185], v[184:185], v[190:191]
	s_wait_loadcnt_dscnt 0xa00
	v_mul_f64_e32 v[190:191], v[152:153], v[150:151]
	v_mul_f64_e32 v[150:151], v[154:155], v[150:151]
	v_fmac_f64_e32 v[186:187], v[6:7], v[164:165]
	v_fma_f64 v[192:193], v[4:5], v[164:165], -v[166:167]
	v_add_f64_e32 v[194:195], v[146:147], v[144:145]
	v_add_f64_e32 v[184:185], v[184:185], v[188:189]
	ds_load_b128 v[4:7], v2 offset:1600
	ds_load_b128 v[144:147], v2 offset:1616
	scratch_load_b128 v[164:167], off, off offset:848
	v_fmac_f64_e32 v[190:191], v[154:155], v[148:149]
	v_fma_f64 v[152:153], v[152:153], v[148:149], -v[150:151]
	scratch_load_b128 v[148:151], off, off offset:864
	s_wait_loadcnt_dscnt 0xb01
	v_mul_f64_e32 v[188:189], v[4:5], v[182:183]
	v_mul_f64_e32 v[182:183], v[6:7], v[182:183]
	v_add_f64_e32 v[154:155], v[194:195], v[192:193]
	v_add_f64_e32 v[184:185], v[184:185], v[186:187]
	s_wait_loadcnt_dscnt 0xa00
	v_mul_f64_e32 v[186:187], v[144:145], v[10:11]
	v_mul_f64_e32 v[10:11], v[146:147], v[10:11]
	v_fmac_f64_e32 v[188:189], v[6:7], v[180:181]
	v_fma_f64 v[192:193], v[4:5], v[180:181], -v[182:183]
	v_add_f64_e32 v[194:195], v[154:155], v[152:153]
	v_add_f64_e32 v[184:185], v[184:185], v[190:191]
	ds_load_b128 v[4:7], v2 offset:1632
	ds_load_b128 v[152:155], v2 offset:1648
	scratch_load_b128 v[180:183], off, off offset:880
	v_fmac_f64_e32 v[186:187], v[146:147], v[8:9]
	v_fma_f64 v[144:145], v[144:145], v[8:9], -v[10:11]
	scratch_load_b128 v[8:11], off, off offset:896
	s_wait_loadcnt_dscnt 0xb01
	v_mul_f64_e32 v[190:191], v[4:5], v[170:171]
	v_mul_f64_e32 v[170:171], v[6:7], v[170:171]
	v_add_f64_e32 v[146:147], v[194:195], v[192:193]
	v_add_f64_e32 v[184:185], v[184:185], v[188:189]
	s_wait_loadcnt_dscnt 0xa00
	v_mul_f64_e32 v[188:189], v[152:153], v[134:135]
	v_mul_f64_e32 v[134:135], v[154:155], v[134:135]
	v_fmac_f64_e32 v[190:191], v[6:7], v[168:169]
	v_fma_f64 v[168:169], v[4:5], v[168:169], -v[170:171]
	v_add_f64_e32 v[170:171], v[146:147], v[144:145]
	v_add_f64_e32 v[184:185], v[184:185], v[186:187]
	ds_load_b128 v[4:7], v2 offset:1664
	ds_load_b128 v[144:147], v2 offset:1680
	v_fmac_f64_e32 v[188:189], v[154:155], v[132:133]
	v_fma_f64 v[132:133], v[152:153], v[132:133], -v[134:135]
	s_wait_loadcnt_dscnt 0x901
	v_mul_f64_e32 v[186:187], v[4:5], v[178:179]
	v_mul_f64_e32 v[178:179], v[6:7], v[178:179]
	s_wait_loadcnt_dscnt 0x800
	v_mul_f64_e32 v[154:155], v[144:145], v[130:131]
	v_add_f64_e32 v[134:135], v[170:171], v[168:169]
	v_add_f64_e32 v[152:153], v[184:185], v[190:191]
	v_mul_f64_e32 v[168:169], v[146:147], v[130:131]
	v_fmac_f64_e32 v[186:187], v[6:7], v[176:177]
	v_fma_f64 v[170:171], v[4:5], v[176:177], -v[178:179]
	v_fmac_f64_e32 v[154:155], v[146:147], v[128:129]
	v_add_f64_e32 v[134:135], v[134:135], v[132:133]
	v_add_f64_e32 v[152:153], v[152:153], v[188:189]
	ds_load_b128 v[4:7], v2 offset:1696
	ds_load_b128 v[130:133], v2 offset:1712
	v_fma_f64 v[128:129], v[144:145], v[128:129], -v[168:169]
	s_wait_loadcnt_dscnt 0x701
	v_mul_f64_e32 v[176:177], v[4:5], v[158:159]
	v_mul_f64_e32 v[158:159], v[6:7], v[158:159]
	v_add_f64_e32 v[134:135], v[134:135], v[170:171]
	v_add_f64_e32 v[144:145], v[152:153], v[186:187]
	s_wait_loadcnt_dscnt 0x600
	v_mul_f64_e32 v[152:153], v[130:131], v[138:139]
	v_mul_f64_e32 v[138:139], v[132:133], v[138:139]
	v_fmac_f64_e32 v[176:177], v[6:7], v[156:157]
	v_fma_f64 v[156:157], v[4:5], v[156:157], -v[158:159]
	v_add_f64_e32 v[128:129], v[134:135], v[128:129]
	v_add_f64_e32 v[134:135], v[144:145], v[154:155]
	ds_load_b128 v[4:7], v2 offset:1728
	ds_load_b128 v[144:147], v2 offset:1744
	v_fmac_f64_e32 v[152:153], v[132:133], v[136:137]
	v_fma_f64 v[130:131], v[130:131], v[136:137], -v[138:139]
	s_wait_loadcnt_dscnt 0x501
	v_mul_f64_e32 v[154:155], v[4:5], v[162:163]
	v_mul_f64_e32 v[158:159], v[6:7], v[162:163]
	s_wait_loadcnt_dscnt 0x400
	v_mul_f64_e32 v[136:137], v[146:147], v[142:143]
	v_add_f64_e32 v[128:129], v[128:129], v[156:157]
	v_add_f64_e32 v[132:133], v[134:135], v[176:177]
	v_mul_f64_e32 v[134:135], v[144:145], v[142:143]
	v_fmac_f64_e32 v[154:155], v[6:7], v[160:161]
	v_fma_f64 v[138:139], v[4:5], v[160:161], -v[158:159]
	v_fma_f64 v[136:137], v[144:145], v[140:141], -v[136:137]
	v_add_f64_e32 v[142:143], v[128:129], v[130:131]
	v_add_f64_e32 v[132:133], v[132:133], v[152:153]
	ds_load_b128 v[4:7], v2 offset:1760
	ds_load_b128 v[128:131], v2 offset:1776
	v_fmac_f64_e32 v[134:135], v[146:147], v[140:141]
	s_wait_loadcnt_dscnt 0x301
	v_mul_f64_e32 v[152:153], v[4:5], v[166:167]
	v_mul_f64_e32 v[156:157], v[6:7], v[166:167]
	s_wait_loadcnt_dscnt 0x200
	v_mul_f64_e32 v[140:141], v[128:129], v[150:151]
	v_add_f64_e32 v[138:139], v[142:143], v[138:139]
	v_add_f64_e32 v[132:133], v[132:133], v[154:155]
	v_mul_f64_e32 v[142:143], v[130:131], v[150:151]
	v_fmac_f64_e32 v[152:153], v[6:7], v[164:165]
	v_fma_f64 v[144:145], v[4:5], v[164:165], -v[156:157]
	v_fmac_f64_e32 v[140:141], v[130:131], v[148:149]
	v_add_f64_e32 v[136:137], v[138:139], v[136:137]
	v_add_f64_e32 v[138:139], v[132:133], v[134:135]
	ds_load_b128 v[4:7], v2 offset:1792
	ds_load_b128 v[132:135], v2 offset:1808
	v_fma_f64 v[128:129], v[128:129], v[148:149], -v[142:143]
	s_wait_loadcnt_dscnt 0x101
	v_mul_f64_e32 v[2:3], v[4:5], v[182:183]
	v_mul_f64_e32 v[146:147], v[6:7], v[182:183]
	v_add_f64_e32 v[130:131], v[136:137], v[144:145]
	v_add_f64_e32 v[136:137], v[138:139], v[152:153]
	s_wait_loadcnt_dscnt 0x0
	v_mul_f64_e32 v[138:139], v[132:133], v[10:11]
	v_mul_f64_e32 v[10:11], v[134:135], v[10:11]
	v_fmac_f64_e32 v[2:3], v[6:7], v[180:181]
	v_fma_f64 v[4:5], v[4:5], v[180:181], -v[146:147]
	v_add_f64_e32 v[6:7], v[130:131], v[128:129]
	v_add_f64_e32 v[128:129], v[136:137], v[140:141]
	v_fmac_f64_e32 v[138:139], v[134:135], v[8:9]
	v_fma_f64 v[8:9], v[132:133], v[8:9], -v[10:11]
	s_delay_alu instid0(VALU_DEP_4) | instskip(NEXT) | instid1(VALU_DEP_4)
	v_add_f64_e32 v[4:5], v[6:7], v[4:5]
	v_add_f64_e32 v[2:3], v[128:129], v[2:3]
	s_delay_alu instid0(VALU_DEP_2) | instskip(NEXT) | instid1(VALU_DEP_2)
	v_add_f64_e32 v[4:5], v[4:5], v[8:9]
	v_add_f64_e32 v[6:7], v[2:3], v[138:139]
	s_delay_alu instid0(VALU_DEP_2) | instskip(NEXT) | instid1(VALU_DEP_2)
	v_add_f64_e64 v[2:3], v[172:173], -v[4:5]
	v_add_f64_e64 v[4:5], v[174:175], -v[6:7]
	scratch_store_b128 off, v[2:5], off offset:288
	s_wait_xcnt 0x0
	v_cmpx_lt_u32_e32 17, v1
	s_cbranch_execz .LBB120_321
; %bb.320:
	scratch_load_b128 v[2:5], off, s56
	v_mov_b32_e32 v6, 0
	s_delay_alu instid0(VALU_DEP_1)
	v_dual_mov_b32 v7, v6 :: v_dual_mov_b32 v8, v6
	v_mov_b32_e32 v9, v6
	scratch_store_b128 off, v[6:9], off offset:272
	s_wait_loadcnt 0x0
	ds_store_b128 v12, v[2:5]
.LBB120_321:
	s_wait_xcnt 0x0
	s_or_b32 exec_lo, exec_lo, s2
	s_wait_storecnt_dscnt 0x0
	s_barrier_signal -1
	s_barrier_wait -1
	s_clause 0x9
	scratch_load_b128 v[4:7], off, off offset:288
	scratch_load_b128 v[8:11], off, off offset:304
	scratch_load_b128 v[128:131], off, off offset:320
	scratch_load_b128 v[132:135], off, off offset:336
	scratch_load_b128 v[136:139], off, off offset:352
	scratch_load_b128 v[140:143], off, off offset:368
	scratch_load_b128 v[144:147], off, off offset:384
	scratch_load_b128 v[148:151], off, off offset:400
	scratch_load_b128 v[152:155], off, off offset:416
	scratch_load_b128 v[156:159], off, off offset:432
	v_mov_b32_e32 v2, 0
	s_mov_b32 s2, exec_lo
	ds_load_b128 v[160:163], v2 offset:1200
	s_clause 0x2
	scratch_load_b128 v[164:167], off, off offset:448
	scratch_load_b128 v[168:171], off, off offset:272
	;; [unrolled: 1-line block ×3, first 2 shown]
	s_wait_loadcnt_dscnt 0xc00
	v_mul_f64_e32 v[180:181], v[162:163], v[6:7]
	v_mul_f64_e32 v[184:185], v[160:161], v[6:7]
	ds_load_b128 v[172:175], v2 offset:1216
	v_fma_f64 v[188:189], v[160:161], v[4:5], -v[180:181]
	v_fmac_f64_e32 v[184:185], v[162:163], v[4:5]
	ds_load_b128 v[4:7], v2 offset:1232
	s_wait_loadcnt_dscnt 0xb01
	v_mul_f64_e32 v[186:187], v[172:173], v[10:11]
	v_mul_f64_e32 v[10:11], v[174:175], v[10:11]
	scratch_load_b128 v[160:163], off, off offset:480
	ds_load_b128 v[180:183], v2 offset:1248
	s_wait_loadcnt_dscnt 0xb01
	v_mul_f64_e32 v[190:191], v[4:5], v[130:131]
	v_mul_f64_e32 v[130:131], v[6:7], v[130:131]
	v_add_f64_e32 v[184:185], 0, v[184:185]
	v_fmac_f64_e32 v[186:187], v[174:175], v[8:9]
	v_fma_f64 v[172:173], v[172:173], v[8:9], -v[10:11]
	v_add_f64_e32 v[174:175], 0, v[188:189]
	scratch_load_b128 v[8:11], off, off offset:496
	v_fmac_f64_e32 v[190:191], v[6:7], v[128:129]
	v_fma_f64 v[192:193], v[4:5], v[128:129], -v[130:131]
	ds_load_b128 v[4:7], v2 offset:1264
	s_wait_loadcnt_dscnt 0xb01
	v_mul_f64_e32 v[188:189], v[180:181], v[134:135]
	v_mul_f64_e32 v[134:135], v[182:183], v[134:135]
	scratch_load_b128 v[128:131], off, off offset:512
	v_add_f64_e32 v[184:185], v[184:185], v[186:187]
	v_add_f64_e32 v[194:195], v[174:175], v[172:173]
	ds_load_b128 v[172:175], v2 offset:1280
	s_wait_loadcnt_dscnt 0xb01
	v_mul_f64_e32 v[186:187], v[4:5], v[138:139]
	v_mul_f64_e32 v[138:139], v[6:7], v[138:139]
	v_fmac_f64_e32 v[188:189], v[182:183], v[132:133]
	v_fma_f64 v[180:181], v[180:181], v[132:133], -v[134:135]
	scratch_load_b128 v[132:135], off, off offset:528
	v_add_f64_e32 v[184:185], v[184:185], v[190:191]
	v_add_f64_e32 v[182:183], v[194:195], v[192:193]
	v_fmac_f64_e32 v[186:187], v[6:7], v[136:137]
	v_fma_f64 v[192:193], v[4:5], v[136:137], -v[138:139]
	ds_load_b128 v[4:7], v2 offset:1296
	s_wait_loadcnt_dscnt 0xb01
	v_mul_f64_e32 v[190:191], v[172:173], v[142:143]
	v_mul_f64_e32 v[142:143], v[174:175], v[142:143]
	scratch_load_b128 v[136:139], off, off offset:544
	v_add_f64_e32 v[184:185], v[184:185], v[188:189]
	s_wait_loadcnt_dscnt 0xb00
	v_mul_f64_e32 v[188:189], v[4:5], v[146:147]
	v_add_f64_e32 v[194:195], v[182:183], v[180:181]
	v_mul_f64_e32 v[146:147], v[6:7], v[146:147]
	ds_load_b128 v[180:183], v2 offset:1312
	v_fmac_f64_e32 v[190:191], v[174:175], v[140:141]
	v_fma_f64 v[172:173], v[172:173], v[140:141], -v[142:143]
	scratch_load_b128 v[140:143], off, off offset:560
	v_add_f64_e32 v[184:185], v[184:185], v[186:187]
	v_fmac_f64_e32 v[188:189], v[6:7], v[144:145]
	v_add_f64_e32 v[174:175], v[194:195], v[192:193]
	v_fma_f64 v[192:193], v[4:5], v[144:145], -v[146:147]
	ds_load_b128 v[4:7], v2 offset:1328
	s_wait_loadcnt_dscnt 0xb01
	v_mul_f64_e32 v[186:187], v[180:181], v[150:151]
	v_mul_f64_e32 v[150:151], v[182:183], v[150:151]
	scratch_load_b128 v[144:147], off, off offset:576
	v_add_f64_e32 v[184:185], v[184:185], v[190:191]
	s_wait_loadcnt_dscnt 0xb00
	v_mul_f64_e32 v[190:191], v[4:5], v[154:155]
	v_add_f64_e32 v[194:195], v[174:175], v[172:173]
	v_mul_f64_e32 v[154:155], v[6:7], v[154:155]
	ds_load_b128 v[172:175], v2 offset:1344
	v_fmac_f64_e32 v[186:187], v[182:183], v[148:149]
	v_fma_f64 v[180:181], v[180:181], v[148:149], -v[150:151]
	scratch_load_b128 v[148:151], off, off offset:592
	v_add_f64_e32 v[184:185], v[184:185], v[188:189]
	v_fmac_f64_e32 v[190:191], v[6:7], v[152:153]
	v_add_f64_e32 v[182:183], v[194:195], v[192:193]
	;; [unrolled: 18-line block ×3, first 2 shown]
	v_fma_f64 v[192:193], v[4:5], v[164:165], -v[166:167]
	ds_load_b128 v[4:7], v2 offset:1392
	s_wait_loadcnt_dscnt 0xa01
	v_mul_f64_e32 v[190:191], v[180:181], v[178:179]
	v_mul_f64_e32 v[178:179], v[182:183], v[178:179]
	scratch_load_b128 v[164:167], off, off offset:640
	v_add_f64_e32 v[184:185], v[184:185], v[188:189]
	v_add_f64_e32 v[194:195], v[174:175], v[172:173]
	s_wait_loadcnt_dscnt 0xa00
	v_mul_f64_e32 v[188:189], v[4:5], v[162:163]
	v_mul_f64_e32 v[162:163], v[6:7], v[162:163]
	v_fmac_f64_e32 v[190:191], v[182:183], v[176:177]
	v_fma_f64 v[180:181], v[180:181], v[176:177], -v[178:179]
	ds_load_b128 v[172:175], v2 offset:1408
	scratch_load_b128 v[176:179], off, off offset:656
	v_add_f64_e32 v[184:185], v[184:185], v[186:187]
	v_add_f64_e32 v[182:183], v[194:195], v[192:193]
	v_fmac_f64_e32 v[188:189], v[6:7], v[160:161]
	v_fma_f64 v[192:193], v[4:5], v[160:161], -v[162:163]
	ds_load_b128 v[4:7], v2 offset:1424
	s_wait_loadcnt_dscnt 0xa01
	v_mul_f64_e32 v[186:187], v[172:173], v[10:11]
	v_mul_f64_e32 v[10:11], v[174:175], v[10:11]
	scratch_load_b128 v[160:163], off, off offset:672
	v_add_f64_e32 v[184:185], v[184:185], v[190:191]
	s_wait_loadcnt_dscnt 0xa00
	v_mul_f64_e32 v[190:191], v[4:5], v[130:131]
	v_add_f64_e32 v[194:195], v[182:183], v[180:181]
	v_mul_f64_e32 v[130:131], v[6:7], v[130:131]
	ds_load_b128 v[180:183], v2 offset:1440
	v_fmac_f64_e32 v[186:187], v[174:175], v[8:9]
	v_fma_f64 v[172:173], v[172:173], v[8:9], -v[10:11]
	scratch_load_b128 v[8:11], off, off offset:688
	v_add_f64_e32 v[184:185], v[184:185], v[188:189]
	v_fmac_f64_e32 v[190:191], v[6:7], v[128:129]
	v_add_f64_e32 v[174:175], v[194:195], v[192:193]
	v_fma_f64 v[192:193], v[4:5], v[128:129], -v[130:131]
	ds_load_b128 v[4:7], v2 offset:1456
	s_wait_loadcnt_dscnt 0xa01
	v_mul_f64_e32 v[188:189], v[180:181], v[134:135]
	v_mul_f64_e32 v[134:135], v[182:183], v[134:135]
	scratch_load_b128 v[128:131], off, off offset:704
	v_add_f64_e32 v[184:185], v[184:185], v[186:187]
	s_wait_loadcnt_dscnt 0xa00
	v_mul_f64_e32 v[186:187], v[4:5], v[138:139]
	v_add_f64_e32 v[194:195], v[174:175], v[172:173]
	v_mul_f64_e32 v[138:139], v[6:7], v[138:139]
	ds_load_b128 v[172:175], v2 offset:1472
	v_fmac_f64_e32 v[188:189], v[182:183], v[132:133]
	v_fma_f64 v[180:181], v[180:181], v[132:133], -v[134:135]
	scratch_load_b128 v[132:135], off, off offset:720
	v_add_f64_e32 v[184:185], v[184:185], v[190:191]
	v_fmac_f64_e32 v[186:187], v[6:7], v[136:137]
	v_add_f64_e32 v[182:183], v[194:195], v[192:193]
	;; [unrolled: 18-line block ×7, first 2 shown]
	v_fma_f64 v[192:193], v[4:5], v[128:129], -v[130:131]
	ds_load_b128 v[4:7], v2 offset:1648
	s_wait_loadcnt_dscnt 0xa01
	v_mul_f64_e32 v[188:189], v[180:181], v[134:135]
	v_mul_f64_e32 v[134:135], v[182:183], v[134:135]
	scratch_load_b128 v[128:131], off, off offset:896
	v_add_f64_e32 v[184:185], v[184:185], v[186:187]
	s_wait_loadcnt_dscnt 0xa00
	v_mul_f64_e32 v[186:187], v[4:5], v[138:139]
	v_add_f64_e32 v[194:195], v[174:175], v[172:173]
	v_mul_f64_e32 v[138:139], v[6:7], v[138:139]
	ds_load_b128 v[172:175], v2 offset:1664
	v_fmac_f64_e32 v[188:189], v[182:183], v[132:133]
	v_fma_f64 v[132:133], v[180:181], v[132:133], -v[134:135]
	s_wait_loadcnt_dscnt 0x900
	v_mul_f64_e32 v[182:183], v[172:173], v[142:143]
	v_mul_f64_e32 v[142:143], v[174:175], v[142:143]
	v_add_f64_e32 v[180:181], v[184:185], v[190:191]
	v_fmac_f64_e32 v[186:187], v[6:7], v[136:137]
	v_add_f64_e32 v[134:135], v[194:195], v[192:193]
	v_fma_f64 v[136:137], v[4:5], v[136:137], -v[138:139]
	v_fmac_f64_e32 v[182:183], v[174:175], v[140:141]
	v_fma_f64 v[140:141], v[172:173], v[140:141], -v[142:143]
	v_add_f64_e32 v[180:181], v[180:181], v[188:189]
	v_add_f64_e32 v[138:139], v[134:135], v[132:133]
	ds_load_b128 v[4:7], v2 offset:1680
	ds_load_b128 v[132:135], v2 offset:1696
	s_wait_loadcnt_dscnt 0x801
	v_mul_f64_e32 v[184:185], v[4:5], v[146:147]
	v_mul_f64_e32 v[146:147], v[6:7], v[146:147]
	s_wait_loadcnt_dscnt 0x700
	v_mul_f64_e32 v[142:143], v[132:133], v[150:151]
	v_mul_f64_e32 v[150:151], v[134:135], v[150:151]
	v_add_f64_e32 v[136:137], v[138:139], v[136:137]
	v_add_f64_e32 v[138:139], v[180:181], v[186:187]
	v_fmac_f64_e32 v[184:185], v[6:7], v[144:145]
	v_fma_f64 v[144:145], v[4:5], v[144:145], -v[146:147]
	v_fmac_f64_e32 v[142:143], v[134:135], v[148:149]
	v_fma_f64 v[132:133], v[132:133], v[148:149], -v[150:151]
	v_add_f64_e32 v[140:141], v[136:137], v[140:141]
	v_add_f64_e32 v[146:147], v[138:139], v[182:183]
	ds_load_b128 v[4:7], v2 offset:1712
	ds_load_b128 v[136:139], v2 offset:1728
	s_wait_loadcnt_dscnt 0x601
	v_mul_f64_e32 v[172:173], v[4:5], v[154:155]
	v_mul_f64_e32 v[154:155], v[6:7], v[154:155]
	v_add_f64_e32 v[134:135], v[140:141], v[144:145]
	v_add_f64_e32 v[140:141], v[146:147], v[184:185]
	s_wait_loadcnt_dscnt 0x500
	v_mul_f64_e32 v[144:145], v[136:137], v[158:159]
	v_mul_f64_e32 v[146:147], v[138:139], v[158:159]
	v_fmac_f64_e32 v[172:173], v[6:7], v[152:153]
	v_fma_f64 v[148:149], v[4:5], v[152:153], -v[154:155]
	v_add_f64_e32 v[150:151], v[134:135], v[132:133]
	v_add_f64_e32 v[140:141], v[140:141], v[142:143]
	ds_load_b128 v[4:7], v2 offset:1744
	ds_load_b128 v[132:135], v2 offset:1760
	v_fmac_f64_e32 v[144:145], v[138:139], v[156:157]
	v_fma_f64 v[136:137], v[136:137], v[156:157], -v[146:147]
	s_wait_loadcnt_dscnt 0x401
	v_mul_f64_e32 v[142:143], v[4:5], v[166:167]
	v_mul_f64_e32 v[152:153], v[6:7], v[166:167]
	s_wait_loadcnt_dscnt 0x300
	v_mul_f64_e32 v[146:147], v[132:133], v[178:179]
	v_add_f64_e32 v[138:139], v[150:151], v[148:149]
	v_add_f64_e32 v[140:141], v[140:141], v[172:173]
	v_mul_f64_e32 v[148:149], v[134:135], v[178:179]
	v_fmac_f64_e32 v[142:143], v[6:7], v[164:165]
	v_fma_f64 v[150:151], v[4:5], v[164:165], -v[152:153]
	v_fmac_f64_e32 v[146:147], v[134:135], v[176:177]
	v_add_f64_e32 v[152:153], v[138:139], v[136:137]
	v_add_f64_e32 v[140:141], v[140:141], v[144:145]
	ds_load_b128 v[4:7], v2 offset:1776
	ds_load_b128 v[136:139], v2 offset:1792
	v_fma_f64 v[132:133], v[132:133], v[176:177], -v[148:149]
	s_wait_loadcnt_dscnt 0x201
	v_mul_f64_e32 v[144:145], v[4:5], v[162:163]
	v_mul_f64_e32 v[154:155], v[6:7], v[162:163]
	v_add_f64_e32 v[134:135], v[152:153], v[150:151]
	v_add_f64_e32 v[140:141], v[140:141], v[142:143]
	s_wait_loadcnt_dscnt 0x100
	v_mul_f64_e32 v[142:143], v[136:137], v[10:11]
	v_mul_f64_e32 v[10:11], v[138:139], v[10:11]
	v_fmac_f64_e32 v[144:145], v[6:7], v[160:161]
	v_fma_f64 v[148:149], v[4:5], v[160:161], -v[154:155]
	ds_load_b128 v[4:7], v2 offset:1808
	v_add_f64_e32 v[132:133], v[134:135], v[132:133]
	v_add_f64_e32 v[134:135], v[140:141], v[146:147]
	v_fmac_f64_e32 v[142:143], v[138:139], v[8:9]
	v_fma_f64 v[8:9], v[136:137], v[8:9], -v[10:11]
	s_wait_loadcnt_dscnt 0x0
	v_mul_f64_e32 v[140:141], v[4:5], v[130:131]
	v_mul_f64_e32 v[130:131], v[6:7], v[130:131]
	v_add_f64_e32 v[10:11], v[132:133], v[148:149]
	v_add_f64_e32 v[132:133], v[134:135], v[144:145]
	s_delay_alu instid0(VALU_DEP_4) | instskip(NEXT) | instid1(VALU_DEP_4)
	v_fmac_f64_e32 v[140:141], v[6:7], v[128:129]
	v_fma_f64 v[4:5], v[4:5], v[128:129], -v[130:131]
	s_delay_alu instid0(VALU_DEP_4) | instskip(NEXT) | instid1(VALU_DEP_4)
	v_add_f64_e32 v[6:7], v[10:11], v[8:9]
	v_add_f64_e32 v[8:9], v[132:133], v[142:143]
	s_delay_alu instid0(VALU_DEP_2) | instskip(NEXT) | instid1(VALU_DEP_2)
	v_add_f64_e32 v[4:5], v[6:7], v[4:5]
	v_add_f64_e32 v[6:7], v[8:9], v[140:141]
	s_delay_alu instid0(VALU_DEP_2) | instskip(NEXT) | instid1(VALU_DEP_2)
	v_add_f64_e64 v[4:5], v[168:169], -v[4:5]
	v_add_f64_e64 v[6:7], v[170:171], -v[6:7]
	scratch_store_b128 off, v[4:7], off offset:272
	s_wait_xcnt 0x0
	v_cmpx_lt_u32_e32 16, v1
	s_cbranch_execz .LBB120_323
; %bb.322:
	scratch_load_b128 v[6:9], off, s57
	v_dual_mov_b32 v3, v2 :: v_dual_mov_b32 v4, v2
	v_mov_b32_e32 v5, v2
	scratch_store_b128 off, v[2:5], off offset:256
	s_wait_loadcnt 0x0
	ds_store_b128 v12, v[6:9]
.LBB120_323:
	s_wait_xcnt 0x0
	s_or_b32 exec_lo, exec_lo, s2
	s_wait_storecnt_dscnt 0x0
	s_barrier_signal -1
	s_barrier_wait -1
	s_clause 0x9
	scratch_load_b128 v[4:7], off, off offset:272
	scratch_load_b128 v[8:11], off, off offset:288
	;; [unrolled: 1-line block ×10, first 2 shown]
	ds_load_b128 v[160:163], v2 offset:1184
	ds_load_b128 v[168:171], v2 offset:1200
	s_clause 0x2
	scratch_load_b128 v[164:167], off, off offset:432
	scratch_load_b128 v[172:175], off, off offset:256
	;; [unrolled: 1-line block ×3, first 2 shown]
	s_mov_b32 s2, exec_lo
	s_wait_loadcnt_dscnt 0xc01
	v_mul_f64_e32 v[180:181], v[162:163], v[6:7]
	v_mul_f64_e32 v[184:185], v[160:161], v[6:7]
	s_wait_loadcnt_dscnt 0xb00
	v_mul_f64_e32 v[186:187], v[168:169], v[10:11]
	v_mul_f64_e32 v[10:11], v[170:171], v[10:11]
	s_delay_alu instid0(VALU_DEP_4) | instskip(NEXT) | instid1(VALU_DEP_4)
	v_fma_f64 v[188:189], v[160:161], v[4:5], -v[180:181]
	v_fmac_f64_e32 v[184:185], v[162:163], v[4:5]
	ds_load_b128 v[4:7], v2 offset:1216
	ds_load_b128 v[160:163], v2 offset:1232
	scratch_load_b128 v[180:183], off, off offset:464
	v_fmac_f64_e32 v[186:187], v[170:171], v[8:9]
	v_fma_f64 v[168:169], v[168:169], v[8:9], -v[10:11]
	scratch_load_b128 v[8:11], off, off offset:480
	s_wait_loadcnt_dscnt 0xc01
	v_mul_f64_e32 v[190:191], v[4:5], v[130:131]
	v_mul_f64_e32 v[130:131], v[6:7], v[130:131]
	v_add_f64_e32 v[170:171], 0, v[188:189]
	v_add_f64_e32 v[184:185], 0, v[184:185]
	s_wait_loadcnt_dscnt 0xb00
	v_mul_f64_e32 v[188:189], v[160:161], v[134:135]
	v_mul_f64_e32 v[134:135], v[162:163], v[134:135]
	v_fmac_f64_e32 v[190:191], v[6:7], v[128:129]
	v_fma_f64 v[192:193], v[4:5], v[128:129], -v[130:131]
	ds_load_b128 v[4:7], v2 offset:1248
	ds_load_b128 v[128:131], v2 offset:1264
	v_add_f64_e32 v[194:195], v[170:171], v[168:169]
	v_add_f64_e32 v[184:185], v[184:185], v[186:187]
	scratch_load_b128 v[168:171], off, off offset:496
	v_fmac_f64_e32 v[188:189], v[162:163], v[132:133]
	v_fma_f64 v[160:161], v[160:161], v[132:133], -v[134:135]
	scratch_load_b128 v[132:135], off, off offset:512
	s_wait_loadcnt_dscnt 0xc01
	v_mul_f64_e32 v[186:187], v[4:5], v[138:139]
	v_mul_f64_e32 v[138:139], v[6:7], v[138:139]
	v_add_f64_e32 v[162:163], v[194:195], v[192:193]
	v_add_f64_e32 v[184:185], v[184:185], v[190:191]
	s_wait_loadcnt_dscnt 0xb00
	v_mul_f64_e32 v[190:191], v[128:129], v[142:143]
	v_mul_f64_e32 v[142:143], v[130:131], v[142:143]
	v_fmac_f64_e32 v[186:187], v[6:7], v[136:137]
	v_fma_f64 v[192:193], v[4:5], v[136:137], -v[138:139]
	ds_load_b128 v[4:7], v2 offset:1280
	ds_load_b128 v[136:139], v2 offset:1296
	v_add_f64_e32 v[194:195], v[162:163], v[160:161]
	v_add_f64_e32 v[184:185], v[184:185], v[188:189]
	scratch_load_b128 v[160:163], off, off offset:528
	s_wait_loadcnt_dscnt 0xb01
	v_mul_f64_e32 v[188:189], v[4:5], v[146:147]
	v_mul_f64_e32 v[146:147], v[6:7], v[146:147]
	v_fmac_f64_e32 v[190:191], v[130:131], v[140:141]
	v_fma_f64 v[140:141], v[128:129], v[140:141], -v[142:143]
	scratch_load_b128 v[128:131], off, off offset:544
	v_add_f64_e32 v[142:143], v[194:195], v[192:193]
	v_add_f64_e32 v[184:185], v[184:185], v[186:187]
	s_wait_loadcnt_dscnt 0xb00
	v_mul_f64_e32 v[186:187], v[136:137], v[150:151]
	v_mul_f64_e32 v[150:151], v[138:139], v[150:151]
	v_fmac_f64_e32 v[188:189], v[6:7], v[144:145]
	v_fma_f64 v[192:193], v[4:5], v[144:145], -v[146:147]
	v_add_f64_e32 v[194:195], v[142:143], v[140:141]
	v_add_f64_e32 v[184:185], v[184:185], v[190:191]
	ds_load_b128 v[4:7], v2 offset:1312
	ds_load_b128 v[140:143], v2 offset:1328
	scratch_load_b128 v[144:147], off, off offset:560
	v_fmac_f64_e32 v[186:187], v[138:139], v[148:149]
	v_fma_f64 v[148:149], v[136:137], v[148:149], -v[150:151]
	scratch_load_b128 v[136:139], off, off offset:576
	s_wait_loadcnt_dscnt 0xc01
	v_mul_f64_e32 v[190:191], v[4:5], v[154:155]
	v_mul_f64_e32 v[154:155], v[6:7], v[154:155]
	v_add_f64_e32 v[150:151], v[194:195], v[192:193]
	v_add_f64_e32 v[184:185], v[184:185], v[188:189]
	s_wait_loadcnt_dscnt 0xb00
	v_mul_f64_e32 v[188:189], v[140:141], v[158:159]
	v_mul_f64_e32 v[158:159], v[142:143], v[158:159]
	v_fmac_f64_e32 v[190:191], v[6:7], v[152:153]
	v_fma_f64 v[192:193], v[4:5], v[152:153], -v[154:155]
	v_add_f64_e32 v[194:195], v[150:151], v[148:149]
	v_add_f64_e32 v[184:185], v[184:185], v[186:187]
	ds_load_b128 v[4:7], v2 offset:1344
	ds_load_b128 v[148:151], v2 offset:1360
	scratch_load_b128 v[152:155], off, off offset:592
	v_fmac_f64_e32 v[188:189], v[142:143], v[156:157]
	v_fma_f64 v[156:157], v[140:141], v[156:157], -v[158:159]
	scratch_load_b128 v[140:143], off, off offset:608
	s_wait_loadcnt_dscnt 0xc01
	v_mul_f64_e32 v[186:187], v[4:5], v[166:167]
	v_mul_f64_e32 v[166:167], v[6:7], v[166:167]
	;; [unrolled: 18-line block ×5, first 2 shown]
	v_add_f64_e32 v[178:179], v[194:195], v[192:193]
	v_add_f64_e32 v[184:185], v[184:185], v[190:191]
	s_wait_loadcnt_dscnt 0xa00
	v_mul_f64_e32 v[190:191], v[156:157], v[130:131]
	v_mul_f64_e32 v[130:131], v[158:159], v[130:131]
	v_fmac_f64_e32 v[186:187], v[6:7], v[160:161]
	v_fma_f64 v[192:193], v[4:5], v[160:161], -v[162:163]
	ds_load_b128 v[4:7], v2 offset:1472
	ds_load_b128 v[160:163], v2 offset:1488
	v_add_f64_e32 v[194:195], v[178:179], v[176:177]
	v_add_f64_e32 v[184:185], v[184:185], v[188:189]
	scratch_load_b128 v[176:179], off, off offset:720
	v_fmac_f64_e32 v[190:191], v[158:159], v[128:129]
	v_fma_f64 v[156:157], v[156:157], v[128:129], -v[130:131]
	scratch_load_b128 v[128:131], off, off offset:736
	s_wait_loadcnt_dscnt 0xb01
	v_mul_f64_e32 v[188:189], v[4:5], v[146:147]
	v_mul_f64_e32 v[146:147], v[6:7], v[146:147]
	v_add_f64_e32 v[158:159], v[194:195], v[192:193]
	v_add_f64_e32 v[184:185], v[184:185], v[186:187]
	s_wait_loadcnt_dscnt 0xa00
	v_mul_f64_e32 v[186:187], v[160:161], v[138:139]
	v_mul_f64_e32 v[138:139], v[162:163], v[138:139]
	v_fmac_f64_e32 v[188:189], v[6:7], v[144:145]
	v_fma_f64 v[192:193], v[4:5], v[144:145], -v[146:147]
	ds_load_b128 v[4:7], v2 offset:1504
	ds_load_b128 v[144:147], v2 offset:1520
	v_add_f64_e32 v[194:195], v[158:159], v[156:157]
	v_add_f64_e32 v[184:185], v[184:185], v[190:191]
	scratch_load_b128 v[156:159], off, off offset:752
	s_wait_loadcnt_dscnt 0xa01
	v_mul_f64_e32 v[190:191], v[4:5], v[154:155]
	v_mul_f64_e32 v[154:155], v[6:7], v[154:155]
	v_fmac_f64_e32 v[186:187], v[162:163], v[136:137]
	v_fma_f64 v[160:161], v[160:161], v[136:137], -v[138:139]
	scratch_load_b128 v[136:139], off, off offset:768
	v_add_f64_e32 v[162:163], v[194:195], v[192:193]
	v_add_f64_e32 v[184:185], v[184:185], v[188:189]
	s_wait_loadcnt_dscnt 0xa00
	v_mul_f64_e32 v[188:189], v[144:145], v[142:143]
	v_mul_f64_e32 v[142:143], v[146:147], v[142:143]
	v_fmac_f64_e32 v[190:191], v[6:7], v[152:153]
	v_fma_f64 v[192:193], v[4:5], v[152:153], -v[154:155]
	ds_load_b128 v[4:7], v2 offset:1536
	ds_load_b128 v[152:155], v2 offset:1552
	v_add_f64_e32 v[194:195], v[162:163], v[160:161]
	v_add_f64_e32 v[184:185], v[184:185], v[186:187]
	scratch_load_b128 v[160:163], off, off offset:784
	s_wait_loadcnt_dscnt 0xa01
	v_mul_f64_e32 v[186:187], v[4:5], v[166:167]
	v_mul_f64_e32 v[166:167], v[6:7], v[166:167]
	v_fmac_f64_e32 v[188:189], v[146:147], v[140:141]
	v_fma_f64 v[144:145], v[144:145], v[140:141], -v[142:143]
	scratch_load_b128 v[140:143], off, off offset:800
	v_add_f64_e32 v[146:147], v[194:195], v[192:193]
	v_add_f64_e32 v[184:185], v[184:185], v[190:191]
	s_wait_loadcnt_dscnt 0xa00
	v_mul_f64_e32 v[190:191], v[152:153], v[150:151]
	v_mul_f64_e32 v[150:151], v[154:155], v[150:151]
	v_fmac_f64_e32 v[186:187], v[6:7], v[164:165]
	v_fma_f64 v[192:193], v[4:5], v[164:165], -v[166:167]
	v_add_f64_e32 v[194:195], v[146:147], v[144:145]
	v_add_f64_e32 v[184:185], v[184:185], v[188:189]
	ds_load_b128 v[4:7], v2 offset:1568
	ds_load_b128 v[144:147], v2 offset:1584
	scratch_load_b128 v[164:167], off, off offset:816
	v_fmac_f64_e32 v[190:191], v[154:155], v[148:149]
	v_fma_f64 v[152:153], v[152:153], v[148:149], -v[150:151]
	scratch_load_b128 v[148:151], off, off offset:832
	s_wait_loadcnt_dscnt 0xb01
	v_mul_f64_e32 v[188:189], v[4:5], v[182:183]
	v_mul_f64_e32 v[182:183], v[6:7], v[182:183]
	v_add_f64_e32 v[154:155], v[194:195], v[192:193]
	v_add_f64_e32 v[184:185], v[184:185], v[186:187]
	s_wait_loadcnt_dscnt 0xa00
	v_mul_f64_e32 v[186:187], v[144:145], v[10:11]
	v_mul_f64_e32 v[10:11], v[146:147], v[10:11]
	v_fmac_f64_e32 v[188:189], v[6:7], v[180:181]
	v_fma_f64 v[192:193], v[4:5], v[180:181], -v[182:183]
	v_add_f64_e32 v[194:195], v[154:155], v[152:153]
	v_add_f64_e32 v[184:185], v[184:185], v[190:191]
	ds_load_b128 v[4:7], v2 offset:1600
	ds_load_b128 v[152:155], v2 offset:1616
	scratch_load_b128 v[180:183], off, off offset:848
	v_fmac_f64_e32 v[186:187], v[146:147], v[8:9]
	v_fma_f64 v[144:145], v[144:145], v[8:9], -v[10:11]
	scratch_load_b128 v[8:11], off, off offset:864
	s_wait_loadcnt_dscnt 0xb01
	v_mul_f64_e32 v[190:191], v[4:5], v[170:171]
	v_mul_f64_e32 v[170:171], v[6:7], v[170:171]
	;; [unrolled: 18-line block ×3, first 2 shown]
	v_add_f64_e32 v[154:155], v[194:195], v[192:193]
	v_add_f64_e32 v[184:185], v[184:185], v[190:191]
	s_wait_loadcnt_dscnt 0xa00
	v_mul_f64_e32 v[190:191], v[144:145], v[130:131]
	v_mul_f64_e32 v[130:131], v[146:147], v[130:131]
	v_fmac_f64_e32 v[186:187], v[6:7], v[176:177]
	v_fma_f64 v[176:177], v[4:5], v[176:177], -v[178:179]
	v_add_f64_e32 v[178:179], v[154:155], v[152:153]
	v_add_f64_e32 v[184:185], v[184:185], v[188:189]
	ds_load_b128 v[4:7], v2 offset:1664
	ds_load_b128 v[152:155], v2 offset:1680
	v_fmac_f64_e32 v[190:191], v[146:147], v[128:129]
	v_fma_f64 v[128:129], v[144:145], v[128:129], -v[130:131]
	s_wait_loadcnt_dscnt 0x901
	v_mul_f64_e32 v[188:189], v[4:5], v[158:159]
	v_mul_f64_e32 v[158:159], v[6:7], v[158:159]
	s_wait_loadcnt_dscnt 0x800
	v_mul_f64_e32 v[146:147], v[152:153], v[138:139]
	v_mul_f64_e32 v[138:139], v[154:155], v[138:139]
	v_add_f64_e32 v[130:131], v[178:179], v[176:177]
	v_add_f64_e32 v[144:145], v[184:185], v[186:187]
	v_fmac_f64_e32 v[188:189], v[6:7], v[156:157]
	v_fma_f64 v[156:157], v[4:5], v[156:157], -v[158:159]
	v_fmac_f64_e32 v[146:147], v[154:155], v[136:137]
	v_fma_f64 v[136:137], v[152:153], v[136:137], -v[138:139]
	v_add_f64_e32 v[158:159], v[130:131], v[128:129]
	v_add_f64_e32 v[144:145], v[144:145], v[190:191]
	ds_load_b128 v[4:7], v2 offset:1696
	ds_load_b128 v[128:131], v2 offset:1712
	s_wait_loadcnt_dscnt 0x701
	v_mul_f64_e32 v[176:177], v[4:5], v[162:163]
	v_mul_f64_e32 v[162:163], v[6:7], v[162:163]
	s_wait_loadcnt_dscnt 0x600
	v_mul_f64_e32 v[152:153], v[128:129], v[142:143]
	v_mul_f64_e32 v[142:143], v[130:131], v[142:143]
	v_add_f64_e32 v[138:139], v[158:159], v[156:157]
	v_add_f64_e32 v[144:145], v[144:145], v[188:189]
	v_fmac_f64_e32 v[176:177], v[6:7], v[160:161]
	v_fma_f64 v[154:155], v[4:5], v[160:161], -v[162:163]
	v_fmac_f64_e32 v[152:153], v[130:131], v[140:141]
	v_fma_f64 v[128:129], v[128:129], v[140:141], -v[142:143]
	v_add_f64_e32 v[156:157], v[138:139], v[136:137]
	v_add_f64_e32 v[144:145], v[144:145], v[146:147]
	ds_load_b128 v[4:7], v2 offset:1728
	ds_load_b128 v[136:139], v2 offset:1744
	s_wait_loadcnt_dscnt 0x501
	v_mul_f64_e32 v[146:147], v[4:5], v[166:167]
	v_mul_f64_e32 v[158:159], v[6:7], v[166:167]
	s_wait_loadcnt_dscnt 0x400
	v_mul_f64_e32 v[142:143], v[136:137], v[150:151]
	v_add_f64_e32 v[130:131], v[156:157], v[154:155]
	v_add_f64_e32 v[140:141], v[144:145], v[176:177]
	v_mul_f64_e32 v[144:145], v[138:139], v[150:151]
	v_fmac_f64_e32 v[146:147], v[6:7], v[164:165]
	v_fma_f64 v[150:151], v[4:5], v[164:165], -v[158:159]
	v_fmac_f64_e32 v[142:143], v[138:139], v[148:149]
	v_add_f64_e32 v[154:155], v[130:131], v[128:129]
	v_add_f64_e32 v[140:141], v[140:141], v[152:153]
	ds_load_b128 v[4:7], v2 offset:1760
	ds_load_b128 v[128:131], v2 offset:1776
	v_fma_f64 v[136:137], v[136:137], v[148:149], -v[144:145]
	s_wait_loadcnt_dscnt 0x301
	v_mul_f64_e32 v[152:153], v[4:5], v[182:183]
	v_mul_f64_e32 v[156:157], v[6:7], v[182:183]
	s_wait_loadcnt_dscnt 0x200
	v_mul_f64_e32 v[144:145], v[128:129], v[10:11]
	v_mul_f64_e32 v[10:11], v[130:131], v[10:11]
	v_add_f64_e32 v[138:139], v[154:155], v[150:151]
	v_add_f64_e32 v[140:141], v[140:141], v[146:147]
	v_fmac_f64_e32 v[152:153], v[6:7], v[180:181]
	v_fma_f64 v[146:147], v[4:5], v[180:181], -v[156:157]
	v_fmac_f64_e32 v[144:145], v[130:131], v[8:9]
	v_fma_f64 v[8:9], v[128:129], v[8:9], -v[10:11]
	v_add_f64_e32 v[148:149], v[138:139], v[136:137]
	v_add_f64_e32 v[140:141], v[140:141], v[142:143]
	ds_load_b128 v[4:7], v2 offset:1792
	ds_load_b128 v[136:139], v2 offset:1808
	s_wait_loadcnt_dscnt 0x101
	v_mul_f64_e32 v[2:3], v[4:5], v[170:171]
	v_mul_f64_e32 v[142:143], v[6:7], v[170:171]
	s_wait_loadcnt_dscnt 0x0
	v_mul_f64_e32 v[130:131], v[136:137], v[134:135]
	v_mul_f64_e32 v[134:135], v[138:139], v[134:135]
	v_add_f64_e32 v[10:11], v[148:149], v[146:147]
	v_add_f64_e32 v[128:129], v[140:141], v[152:153]
	v_fmac_f64_e32 v[2:3], v[6:7], v[168:169]
	v_fma_f64 v[4:5], v[4:5], v[168:169], -v[142:143]
	v_fmac_f64_e32 v[130:131], v[138:139], v[132:133]
	v_add_f64_e32 v[6:7], v[10:11], v[8:9]
	v_add_f64_e32 v[8:9], v[128:129], v[144:145]
	v_fma_f64 v[10:11], v[136:137], v[132:133], -v[134:135]
	s_delay_alu instid0(VALU_DEP_3) | instskip(NEXT) | instid1(VALU_DEP_3)
	v_add_f64_e32 v[4:5], v[6:7], v[4:5]
	v_add_f64_e32 v[2:3], v[8:9], v[2:3]
	s_delay_alu instid0(VALU_DEP_2) | instskip(NEXT) | instid1(VALU_DEP_2)
	v_add_f64_e32 v[4:5], v[4:5], v[10:11]
	v_add_f64_e32 v[6:7], v[2:3], v[130:131]
	s_delay_alu instid0(VALU_DEP_2) | instskip(NEXT) | instid1(VALU_DEP_2)
	v_add_f64_e64 v[2:3], v[172:173], -v[4:5]
	v_add_f64_e64 v[4:5], v[174:175], -v[6:7]
	scratch_store_b128 off, v[2:5], off offset:256
	s_wait_xcnt 0x0
	v_cmpx_lt_u32_e32 15, v1
	s_cbranch_execz .LBB120_325
; %bb.324:
	scratch_load_b128 v[2:5], off, s58
	v_mov_b32_e32 v6, 0
	s_delay_alu instid0(VALU_DEP_1)
	v_dual_mov_b32 v7, v6 :: v_dual_mov_b32 v8, v6
	v_mov_b32_e32 v9, v6
	scratch_store_b128 off, v[6:9], off offset:240
	s_wait_loadcnt 0x0
	ds_store_b128 v12, v[2:5]
.LBB120_325:
	s_wait_xcnt 0x0
	s_or_b32 exec_lo, exec_lo, s2
	s_wait_storecnt_dscnt 0x0
	s_barrier_signal -1
	s_barrier_wait -1
	s_clause 0x9
	scratch_load_b128 v[4:7], off, off offset:256
	scratch_load_b128 v[8:11], off, off offset:272
	scratch_load_b128 v[128:131], off, off offset:288
	scratch_load_b128 v[132:135], off, off offset:304
	scratch_load_b128 v[136:139], off, off offset:320
	scratch_load_b128 v[140:143], off, off offset:336
	scratch_load_b128 v[144:147], off, off offset:352
	scratch_load_b128 v[148:151], off, off offset:368
	scratch_load_b128 v[152:155], off, off offset:384
	scratch_load_b128 v[156:159], off, off offset:400
	v_mov_b32_e32 v2, 0
	s_mov_b32 s2, exec_lo
	ds_load_b128 v[160:163], v2 offset:1168
	s_clause 0x2
	scratch_load_b128 v[164:167], off, off offset:416
	scratch_load_b128 v[168:171], off, off offset:240
	;; [unrolled: 1-line block ×3, first 2 shown]
	s_wait_loadcnt_dscnt 0xc00
	v_mul_f64_e32 v[180:181], v[162:163], v[6:7]
	v_mul_f64_e32 v[184:185], v[160:161], v[6:7]
	ds_load_b128 v[172:175], v2 offset:1184
	v_fma_f64 v[188:189], v[160:161], v[4:5], -v[180:181]
	v_fmac_f64_e32 v[184:185], v[162:163], v[4:5]
	ds_load_b128 v[4:7], v2 offset:1200
	s_wait_loadcnt_dscnt 0xb01
	v_mul_f64_e32 v[186:187], v[172:173], v[10:11]
	v_mul_f64_e32 v[10:11], v[174:175], v[10:11]
	scratch_load_b128 v[160:163], off, off offset:448
	ds_load_b128 v[180:183], v2 offset:1216
	s_wait_loadcnt_dscnt 0xb01
	v_mul_f64_e32 v[190:191], v[4:5], v[130:131]
	v_mul_f64_e32 v[130:131], v[6:7], v[130:131]
	v_add_f64_e32 v[184:185], 0, v[184:185]
	v_fmac_f64_e32 v[186:187], v[174:175], v[8:9]
	v_fma_f64 v[172:173], v[172:173], v[8:9], -v[10:11]
	v_add_f64_e32 v[174:175], 0, v[188:189]
	scratch_load_b128 v[8:11], off, off offset:464
	v_fmac_f64_e32 v[190:191], v[6:7], v[128:129]
	v_fma_f64 v[192:193], v[4:5], v[128:129], -v[130:131]
	ds_load_b128 v[4:7], v2 offset:1232
	s_wait_loadcnt_dscnt 0xb01
	v_mul_f64_e32 v[188:189], v[180:181], v[134:135]
	v_mul_f64_e32 v[134:135], v[182:183], v[134:135]
	scratch_load_b128 v[128:131], off, off offset:480
	v_add_f64_e32 v[184:185], v[184:185], v[186:187]
	v_add_f64_e32 v[194:195], v[174:175], v[172:173]
	ds_load_b128 v[172:175], v2 offset:1248
	s_wait_loadcnt_dscnt 0xb01
	v_mul_f64_e32 v[186:187], v[4:5], v[138:139]
	v_mul_f64_e32 v[138:139], v[6:7], v[138:139]
	v_fmac_f64_e32 v[188:189], v[182:183], v[132:133]
	v_fma_f64 v[180:181], v[180:181], v[132:133], -v[134:135]
	scratch_load_b128 v[132:135], off, off offset:496
	v_add_f64_e32 v[184:185], v[184:185], v[190:191]
	v_add_f64_e32 v[182:183], v[194:195], v[192:193]
	v_fmac_f64_e32 v[186:187], v[6:7], v[136:137]
	v_fma_f64 v[192:193], v[4:5], v[136:137], -v[138:139]
	ds_load_b128 v[4:7], v2 offset:1264
	s_wait_loadcnt_dscnt 0xb01
	v_mul_f64_e32 v[190:191], v[172:173], v[142:143]
	v_mul_f64_e32 v[142:143], v[174:175], v[142:143]
	scratch_load_b128 v[136:139], off, off offset:512
	v_add_f64_e32 v[184:185], v[184:185], v[188:189]
	s_wait_loadcnt_dscnt 0xb00
	v_mul_f64_e32 v[188:189], v[4:5], v[146:147]
	v_add_f64_e32 v[194:195], v[182:183], v[180:181]
	v_mul_f64_e32 v[146:147], v[6:7], v[146:147]
	ds_load_b128 v[180:183], v2 offset:1280
	v_fmac_f64_e32 v[190:191], v[174:175], v[140:141]
	v_fma_f64 v[172:173], v[172:173], v[140:141], -v[142:143]
	scratch_load_b128 v[140:143], off, off offset:528
	v_add_f64_e32 v[184:185], v[184:185], v[186:187]
	v_fmac_f64_e32 v[188:189], v[6:7], v[144:145]
	v_add_f64_e32 v[174:175], v[194:195], v[192:193]
	v_fma_f64 v[192:193], v[4:5], v[144:145], -v[146:147]
	ds_load_b128 v[4:7], v2 offset:1296
	s_wait_loadcnt_dscnt 0xb01
	v_mul_f64_e32 v[186:187], v[180:181], v[150:151]
	v_mul_f64_e32 v[150:151], v[182:183], v[150:151]
	scratch_load_b128 v[144:147], off, off offset:544
	v_add_f64_e32 v[184:185], v[184:185], v[190:191]
	s_wait_loadcnt_dscnt 0xb00
	v_mul_f64_e32 v[190:191], v[4:5], v[154:155]
	v_add_f64_e32 v[194:195], v[174:175], v[172:173]
	v_mul_f64_e32 v[154:155], v[6:7], v[154:155]
	ds_load_b128 v[172:175], v2 offset:1312
	v_fmac_f64_e32 v[186:187], v[182:183], v[148:149]
	v_fma_f64 v[180:181], v[180:181], v[148:149], -v[150:151]
	scratch_load_b128 v[148:151], off, off offset:560
	v_add_f64_e32 v[184:185], v[184:185], v[188:189]
	v_fmac_f64_e32 v[190:191], v[6:7], v[152:153]
	v_add_f64_e32 v[182:183], v[194:195], v[192:193]
	;; [unrolled: 18-line block ×3, first 2 shown]
	v_fma_f64 v[192:193], v[4:5], v[164:165], -v[166:167]
	ds_load_b128 v[4:7], v2 offset:1360
	s_wait_loadcnt_dscnt 0xa01
	v_mul_f64_e32 v[190:191], v[180:181], v[178:179]
	v_mul_f64_e32 v[178:179], v[182:183], v[178:179]
	scratch_load_b128 v[164:167], off, off offset:608
	v_add_f64_e32 v[184:185], v[184:185], v[188:189]
	v_add_f64_e32 v[194:195], v[174:175], v[172:173]
	s_wait_loadcnt_dscnt 0xa00
	v_mul_f64_e32 v[188:189], v[4:5], v[162:163]
	v_mul_f64_e32 v[162:163], v[6:7], v[162:163]
	v_fmac_f64_e32 v[190:191], v[182:183], v[176:177]
	v_fma_f64 v[180:181], v[180:181], v[176:177], -v[178:179]
	ds_load_b128 v[172:175], v2 offset:1376
	scratch_load_b128 v[176:179], off, off offset:624
	v_add_f64_e32 v[184:185], v[184:185], v[186:187]
	v_add_f64_e32 v[182:183], v[194:195], v[192:193]
	v_fmac_f64_e32 v[188:189], v[6:7], v[160:161]
	v_fma_f64 v[192:193], v[4:5], v[160:161], -v[162:163]
	ds_load_b128 v[4:7], v2 offset:1392
	s_wait_loadcnt_dscnt 0xa01
	v_mul_f64_e32 v[186:187], v[172:173], v[10:11]
	v_mul_f64_e32 v[10:11], v[174:175], v[10:11]
	scratch_load_b128 v[160:163], off, off offset:640
	v_add_f64_e32 v[184:185], v[184:185], v[190:191]
	s_wait_loadcnt_dscnt 0xa00
	v_mul_f64_e32 v[190:191], v[4:5], v[130:131]
	v_add_f64_e32 v[194:195], v[182:183], v[180:181]
	v_mul_f64_e32 v[130:131], v[6:7], v[130:131]
	ds_load_b128 v[180:183], v2 offset:1408
	v_fmac_f64_e32 v[186:187], v[174:175], v[8:9]
	v_fma_f64 v[172:173], v[172:173], v[8:9], -v[10:11]
	scratch_load_b128 v[8:11], off, off offset:656
	v_add_f64_e32 v[184:185], v[184:185], v[188:189]
	v_fmac_f64_e32 v[190:191], v[6:7], v[128:129]
	v_add_f64_e32 v[174:175], v[194:195], v[192:193]
	v_fma_f64 v[192:193], v[4:5], v[128:129], -v[130:131]
	ds_load_b128 v[4:7], v2 offset:1424
	s_wait_loadcnt_dscnt 0xa01
	v_mul_f64_e32 v[188:189], v[180:181], v[134:135]
	v_mul_f64_e32 v[134:135], v[182:183], v[134:135]
	scratch_load_b128 v[128:131], off, off offset:672
	v_add_f64_e32 v[184:185], v[184:185], v[186:187]
	s_wait_loadcnt_dscnt 0xa00
	v_mul_f64_e32 v[186:187], v[4:5], v[138:139]
	v_add_f64_e32 v[194:195], v[174:175], v[172:173]
	v_mul_f64_e32 v[138:139], v[6:7], v[138:139]
	ds_load_b128 v[172:175], v2 offset:1440
	v_fmac_f64_e32 v[188:189], v[182:183], v[132:133]
	v_fma_f64 v[180:181], v[180:181], v[132:133], -v[134:135]
	scratch_load_b128 v[132:135], off, off offset:688
	v_add_f64_e32 v[184:185], v[184:185], v[190:191]
	v_fmac_f64_e32 v[186:187], v[6:7], v[136:137]
	v_add_f64_e32 v[182:183], v[194:195], v[192:193]
	;; [unrolled: 18-line block ×8, first 2 shown]
	v_fma_f64 v[192:193], v[4:5], v[136:137], -v[138:139]
	ds_load_b128 v[4:7], v2 offset:1648
	s_wait_loadcnt_dscnt 0xa01
	v_mul_f64_e32 v[190:191], v[172:173], v[142:143]
	v_mul_f64_e32 v[142:143], v[174:175], v[142:143]
	scratch_load_b128 v[136:139], off, off offset:896
	v_add_f64_e32 v[184:185], v[184:185], v[188:189]
	s_wait_loadcnt_dscnt 0xa00
	v_mul_f64_e32 v[188:189], v[4:5], v[146:147]
	v_add_f64_e32 v[194:195], v[182:183], v[180:181]
	v_mul_f64_e32 v[146:147], v[6:7], v[146:147]
	ds_load_b128 v[180:183], v2 offset:1664
	v_fmac_f64_e32 v[190:191], v[174:175], v[140:141]
	v_fma_f64 v[140:141], v[172:173], v[140:141], -v[142:143]
	s_wait_loadcnt_dscnt 0x900
	v_mul_f64_e32 v[174:175], v[180:181], v[150:151]
	v_mul_f64_e32 v[150:151], v[182:183], v[150:151]
	v_add_f64_e32 v[172:173], v[184:185], v[186:187]
	v_fmac_f64_e32 v[188:189], v[6:7], v[144:145]
	v_add_f64_e32 v[142:143], v[194:195], v[192:193]
	v_fma_f64 v[144:145], v[4:5], v[144:145], -v[146:147]
	v_fmac_f64_e32 v[174:175], v[182:183], v[148:149]
	v_fma_f64 v[148:149], v[180:181], v[148:149], -v[150:151]
	v_add_f64_e32 v[172:173], v[172:173], v[190:191]
	v_add_f64_e32 v[146:147], v[142:143], v[140:141]
	ds_load_b128 v[4:7], v2 offset:1680
	ds_load_b128 v[140:143], v2 offset:1696
	s_wait_loadcnt_dscnt 0x801
	v_mul_f64_e32 v[184:185], v[4:5], v[154:155]
	v_mul_f64_e32 v[154:155], v[6:7], v[154:155]
	s_wait_loadcnt_dscnt 0x700
	v_mul_f64_e32 v[150:151], v[140:141], v[158:159]
	v_mul_f64_e32 v[158:159], v[142:143], v[158:159]
	v_add_f64_e32 v[144:145], v[146:147], v[144:145]
	v_add_f64_e32 v[146:147], v[172:173], v[188:189]
	v_fmac_f64_e32 v[184:185], v[6:7], v[152:153]
	v_fma_f64 v[152:153], v[4:5], v[152:153], -v[154:155]
	v_fmac_f64_e32 v[150:151], v[142:143], v[156:157]
	v_fma_f64 v[140:141], v[140:141], v[156:157], -v[158:159]
	v_add_f64_e32 v[148:149], v[144:145], v[148:149]
	v_add_f64_e32 v[154:155], v[146:147], v[174:175]
	ds_load_b128 v[4:7], v2 offset:1712
	ds_load_b128 v[144:147], v2 offset:1728
	s_wait_loadcnt_dscnt 0x601
	v_mul_f64_e32 v[172:173], v[4:5], v[166:167]
	v_mul_f64_e32 v[166:167], v[6:7], v[166:167]
	v_add_f64_e32 v[142:143], v[148:149], v[152:153]
	v_add_f64_e32 v[148:149], v[154:155], v[184:185]
	s_wait_loadcnt_dscnt 0x500
	v_mul_f64_e32 v[152:153], v[144:145], v[178:179]
	v_mul_f64_e32 v[154:155], v[146:147], v[178:179]
	v_fmac_f64_e32 v[172:173], v[6:7], v[164:165]
	v_fma_f64 v[156:157], v[4:5], v[164:165], -v[166:167]
	v_add_f64_e32 v[158:159], v[142:143], v[140:141]
	v_add_f64_e32 v[148:149], v[148:149], v[150:151]
	ds_load_b128 v[4:7], v2 offset:1744
	ds_load_b128 v[140:143], v2 offset:1760
	v_fmac_f64_e32 v[152:153], v[146:147], v[176:177]
	v_fma_f64 v[144:145], v[144:145], v[176:177], -v[154:155]
	s_wait_loadcnt_dscnt 0x401
	v_mul_f64_e32 v[150:151], v[4:5], v[162:163]
	v_mul_f64_e32 v[162:163], v[6:7], v[162:163]
	s_wait_loadcnt_dscnt 0x300
	v_mul_f64_e32 v[154:155], v[140:141], v[10:11]
	v_mul_f64_e32 v[10:11], v[142:143], v[10:11]
	v_add_f64_e32 v[146:147], v[158:159], v[156:157]
	v_add_f64_e32 v[148:149], v[148:149], v[172:173]
	v_fmac_f64_e32 v[150:151], v[6:7], v[160:161]
	v_fma_f64 v[156:157], v[4:5], v[160:161], -v[162:163]
	v_fmac_f64_e32 v[154:155], v[142:143], v[8:9]
	v_fma_f64 v[8:9], v[140:141], v[8:9], -v[10:11]
	v_add_f64_e32 v[158:159], v[146:147], v[144:145]
	v_add_f64_e32 v[148:149], v[148:149], v[152:153]
	ds_load_b128 v[4:7], v2 offset:1776
	ds_load_b128 v[144:147], v2 offset:1792
	s_wait_loadcnt_dscnt 0x201
	v_mul_f64_e32 v[152:153], v[4:5], v[130:131]
	v_mul_f64_e32 v[130:131], v[6:7], v[130:131]
	s_wait_loadcnt_dscnt 0x100
	v_mul_f64_e32 v[142:143], v[144:145], v[134:135]
	v_mul_f64_e32 v[134:135], v[146:147], v[134:135]
	v_add_f64_e32 v[10:11], v[158:159], v[156:157]
	v_add_f64_e32 v[140:141], v[148:149], v[150:151]
	v_fmac_f64_e32 v[152:153], v[6:7], v[128:129]
	v_fma_f64 v[128:129], v[4:5], v[128:129], -v[130:131]
	ds_load_b128 v[4:7], v2 offset:1808
	v_fmac_f64_e32 v[142:143], v[146:147], v[132:133]
	v_fma_f64 v[132:133], v[144:145], v[132:133], -v[134:135]
	v_add_f64_e32 v[8:9], v[10:11], v[8:9]
	v_add_f64_e32 v[10:11], v[140:141], v[154:155]
	s_wait_loadcnt_dscnt 0x0
	v_mul_f64_e32 v[130:131], v[4:5], v[138:139]
	v_mul_f64_e32 v[138:139], v[6:7], v[138:139]
	s_delay_alu instid0(VALU_DEP_4) | instskip(NEXT) | instid1(VALU_DEP_4)
	v_add_f64_e32 v[8:9], v[8:9], v[128:129]
	v_add_f64_e32 v[10:11], v[10:11], v[152:153]
	s_delay_alu instid0(VALU_DEP_4) | instskip(NEXT) | instid1(VALU_DEP_4)
	v_fmac_f64_e32 v[130:131], v[6:7], v[136:137]
	v_fma_f64 v[4:5], v[4:5], v[136:137], -v[138:139]
	s_delay_alu instid0(VALU_DEP_4) | instskip(NEXT) | instid1(VALU_DEP_4)
	v_add_f64_e32 v[6:7], v[8:9], v[132:133]
	v_add_f64_e32 v[8:9], v[10:11], v[142:143]
	s_delay_alu instid0(VALU_DEP_2) | instskip(NEXT) | instid1(VALU_DEP_2)
	v_add_f64_e32 v[4:5], v[6:7], v[4:5]
	v_add_f64_e32 v[6:7], v[8:9], v[130:131]
	s_delay_alu instid0(VALU_DEP_2) | instskip(NEXT) | instid1(VALU_DEP_2)
	v_add_f64_e64 v[4:5], v[168:169], -v[4:5]
	v_add_f64_e64 v[6:7], v[170:171], -v[6:7]
	scratch_store_b128 off, v[4:7], off offset:240
	s_wait_xcnt 0x0
	v_cmpx_lt_u32_e32 14, v1
	s_cbranch_execz .LBB120_327
; %bb.326:
	scratch_load_b128 v[6:9], off, s59
	v_dual_mov_b32 v3, v2 :: v_dual_mov_b32 v4, v2
	v_mov_b32_e32 v5, v2
	scratch_store_b128 off, v[2:5], off offset:224
	s_wait_loadcnt 0x0
	ds_store_b128 v12, v[6:9]
.LBB120_327:
	s_wait_xcnt 0x0
	s_or_b32 exec_lo, exec_lo, s2
	s_wait_storecnt_dscnt 0x0
	s_barrier_signal -1
	s_barrier_wait -1
	s_clause 0x9
	scratch_load_b128 v[4:7], off, off offset:240
	scratch_load_b128 v[8:11], off, off offset:256
	;; [unrolled: 1-line block ×10, first 2 shown]
	ds_load_b128 v[160:163], v2 offset:1152
	ds_load_b128 v[168:171], v2 offset:1168
	s_clause 0x2
	scratch_load_b128 v[164:167], off, off offset:400
	scratch_load_b128 v[172:175], off, off offset:224
	;; [unrolled: 1-line block ×3, first 2 shown]
	s_mov_b32 s2, exec_lo
	s_wait_loadcnt_dscnt 0xc01
	v_mul_f64_e32 v[180:181], v[162:163], v[6:7]
	v_mul_f64_e32 v[184:185], v[160:161], v[6:7]
	s_wait_loadcnt_dscnt 0xb00
	v_mul_f64_e32 v[186:187], v[168:169], v[10:11]
	v_mul_f64_e32 v[10:11], v[170:171], v[10:11]
	s_delay_alu instid0(VALU_DEP_4) | instskip(NEXT) | instid1(VALU_DEP_4)
	v_fma_f64 v[188:189], v[160:161], v[4:5], -v[180:181]
	v_fmac_f64_e32 v[184:185], v[162:163], v[4:5]
	ds_load_b128 v[4:7], v2 offset:1184
	ds_load_b128 v[160:163], v2 offset:1200
	scratch_load_b128 v[180:183], off, off offset:432
	v_fmac_f64_e32 v[186:187], v[170:171], v[8:9]
	v_fma_f64 v[168:169], v[168:169], v[8:9], -v[10:11]
	scratch_load_b128 v[8:11], off, off offset:448
	s_wait_loadcnt_dscnt 0xc01
	v_mul_f64_e32 v[190:191], v[4:5], v[130:131]
	v_mul_f64_e32 v[130:131], v[6:7], v[130:131]
	v_add_f64_e32 v[170:171], 0, v[188:189]
	v_add_f64_e32 v[184:185], 0, v[184:185]
	s_wait_loadcnt_dscnt 0xb00
	v_mul_f64_e32 v[188:189], v[160:161], v[134:135]
	v_mul_f64_e32 v[134:135], v[162:163], v[134:135]
	v_fmac_f64_e32 v[190:191], v[6:7], v[128:129]
	v_fma_f64 v[192:193], v[4:5], v[128:129], -v[130:131]
	ds_load_b128 v[4:7], v2 offset:1216
	ds_load_b128 v[128:131], v2 offset:1232
	v_add_f64_e32 v[194:195], v[170:171], v[168:169]
	v_add_f64_e32 v[184:185], v[184:185], v[186:187]
	scratch_load_b128 v[168:171], off, off offset:464
	v_fmac_f64_e32 v[188:189], v[162:163], v[132:133]
	v_fma_f64 v[160:161], v[160:161], v[132:133], -v[134:135]
	scratch_load_b128 v[132:135], off, off offset:480
	s_wait_loadcnt_dscnt 0xc01
	v_mul_f64_e32 v[186:187], v[4:5], v[138:139]
	v_mul_f64_e32 v[138:139], v[6:7], v[138:139]
	v_add_f64_e32 v[162:163], v[194:195], v[192:193]
	v_add_f64_e32 v[184:185], v[184:185], v[190:191]
	s_wait_loadcnt_dscnt 0xb00
	v_mul_f64_e32 v[190:191], v[128:129], v[142:143]
	v_mul_f64_e32 v[142:143], v[130:131], v[142:143]
	v_fmac_f64_e32 v[186:187], v[6:7], v[136:137]
	v_fma_f64 v[192:193], v[4:5], v[136:137], -v[138:139]
	ds_load_b128 v[4:7], v2 offset:1248
	ds_load_b128 v[136:139], v2 offset:1264
	v_add_f64_e32 v[194:195], v[162:163], v[160:161]
	v_add_f64_e32 v[184:185], v[184:185], v[188:189]
	scratch_load_b128 v[160:163], off, off offset:496
	s_wait_loadcnt_dscnt 0xb01
	v_mul_f64_e32 v[188:189], v[4:5], v[146:147]
	v_mul_f64_e32 v[146:147], v[6:7], v[146:147]
	v_fmac_f64_e32 v[190:191], v[130:131], v[140:141]
	v_fma_f64 v[140:141], v[128:129], v[140:141], -v[142:143]
	scratch_load_b128 v[128:131], off, off offset:512
	v_add_f64_e32 v[142:143], v[194:195], v[192:193]
	v_add_f64_e32 v[184:185], v[184:185], v[186:187]
	s_wait_loadcnt_dscnt 0xb00
	v_mul_f64_e32 v[186:187], v[136:137], v[150:151]
	v_mul_f64_e32 v[150:151], v[138:139], v[150:151]
	v_fmac_f64_e32 v[188:189], v[6:7], v[144:145]
	v_fma_f64 v[192:193], v[4:5], v[144:145], -v[146:147]
	v_add_f64_e32 v[194:195], v[142:143], v[140:141]
	v_add_f64_e32 v[184:185], v[184:185], v[190:191]
	ds_load_b128 v[4:7], v2 offset:1280
	ds_load_b128 v[140:143], v2 offset:1296
	scratch_load_b128 v[144:147], off, off offset:528
	v_fmac_f64_e32 v[186:187], v[138:139], v[148:149]
	v_fma_f64 v[148:149], v[136:137], v[148:149], -v[150:151]
	scratch_load_b128 v[136:139], off, off offset:544
	s_wait_loadcnt_dscnt 0xc01
	v_mul_f64_e32 v[190:191], v[4:5], v[154:155]
	v_mul_f64_e32 v[154:155], v[6:7], v[154:155]
	v_add_f64_e32 v[150:151], v[194:195], v[192:193]
	v_add_f64_e32 v[184:185], v[184:185], v[188:189]
	s_wait_loadcnt_dscnt 0xb00
	v_mul_f64_e32 v[188:189], v[140:141], v[158:159]
	v_mul_f64_e32 v[158:159], v[142:143], v[158:159]
	v_fmac_f64_e32 v[190:191], v[6:7], v[152:153]
	v_fma_f64 v[192:193], v[4:5], v[152:153], -v[154:155]
	v_add_f64_e32 v[194:195], v[150:151], v[148:149]
	v_add_f64_e32 v[184:185], v[184:185], v[186:187]
	ds_load_b128 v[4:7], v2 offset:1312
	ds_load_b128 v[148:151], v2 offset:1328
	scratch_load_b128 v[152:155], off, off offset:560
	v_fmac_f64_e32 v[188:189], v[142:143], v[156:157]
	v_fma_f64 v[156:157], v[140:141], v[156:157], -v[158:159]
	scratch_load_b128 v[140:143], off, off offset:576
	s_wait_loadcnt_dscnt 0xc01
	v_mul_f64_e32 v[186:187], v[4:5], v[166:167]
	v_mul_f64_e32 v[166:167], v[6:7], v[166:167]
	;; [unrolled: 18-line block ×5, first 2 shown]
	v_add_f64_e32 v[178:179], v[194:195], v[192:193]
	v_add_f64_e32 v[184:185], v[184:185], v[190:191]
	s_wait_loadcnt_dscnt 0xa00
	v_mul_f64_e32 v[190:191], v[156:157], v[130:131]
	v_mul_f64_e32 v[130:131], v[158:159], v[130:131]
	v_fmac_f64_e32 v[186:187], v[6:7], v[160:161]
	v_fma_f64 v[192:193], v[4:5], v[160:161], -v[162:163]
	ds_load_b128 v[4:7], v2 offset:1440
	ds_load_b128 v[160:163], v2 offset:1456
	v_add_f64_e32 v[194:195], v[178:179], v[176:177]
	v_add_f64_e32 v[184:185], v[184:185], v[188:189]
	scratch_load_b128 v[176:179], off, off offset:688
	v_fmac_f64_e32 v[190:191], v[158:159], v[128:129]
	v_fma_f64 v[156:157], v[156:157], v[128:129], -v[130:131]
	scratch_load_b128 v[128:131], off, off offset:704
	s_wait_loadcnt_dscnt 0xb01
	v_mul_f64_e32 v[188:189], v[4:5], v[146:147]
	v_mul_f64_e32 v[146:147], v[6:7], v[146:147]
	v_add_f64_e32 v[158:159], v[194:195], v[192:193]
	v_add_f64_e32 v[184:185], v[184:185], v[186:187]
	s_wait_loadcnt_dscnt 0xa00
	v_mul_f64_e32 v[186:187], v[160:161], v[138:139]
	v_mul_f64_e32 v[138:139], v[162:163], v[138:139]
	v_fmac_f64_e32 v[188:189], v[6:7], v[144:145]
	v_fma_f64 v[192:193], v[4:5], v[144:145], -v[146:147]
	ds_load_b128 v[4:7], v2 offset:1472
	ds_load_b128 v[144:147], v2 offset:1488
	v_add_f64_e32 v[194:195], v[158:159], v[156:157]
	v_add_f64_e32 v[184:185], v[184:185], v[190:191]
	scratch_load_b128 v[156:159], off, off offset:720
	s_wait_loadcnt_dscnt 0xa01
	v_mul_f64_e32 v[190:191], v[4:5], v[154:155]
	v_mul_f64_e32 v[154:155], v[6:7], v[154:155]
	v_fmac_f64_e32 v[186:187], v[162:163], v[136:137]
	v_fma_f64 v[160:161], v[160:161], v[136:137], -v[138:139]
	scratch_load_b128 v[136:139], off, off offset:736
	v_add_f64_e32 v[162:163], v[194:195], v[192:193]
	v_add_f64_e32 v[184:185], v[184:185], v[188:189]
	s_wait_loadcnt_dscnt 0xa00
	v_mul_f64_e32 v[188:189], v[144:145], v[142:143]
	v_mul_f64_e32 v[142:143], v[146:147], v[142:143]
	v_fmac_f64_e32 v[190:191], v[6:7], v[152:153]
	v_fma_f64 v[192:193], v[4:5], v[152:153], -v[154:155]
	ds_load_b128 v[4:7], v2 offset:1504
	ds_load_b128 v[152:155], v2 offset:1520
	v_add_f64_e32 v[194:195], v[162:163], v[160:161]
	v_add_f64_e32 v[184:185], v[184:185], v[186:187]
	scratch_load_b128 v[160:163], off, off offset:752
	s_wait_loadcnt_dscnt 0xa01
	v_mul_f64_e32 v[186:187], v[4:5], v[166:167]
	v_mul_f64_e32 v[166:167], v[6:7], v[166:167]
	v_fmac_f64_e32 v[188:189], v[146:147], v[140:141]
	v_fma_f64 v[144:145], v[144:145], v[140:141], -v[142:143]
	scratch_load_b128 v[140:143], off, off offset:768
	v_add_f64_e32 v[146:147], v[194:195], v[192:193]
	v_add_f64_e32 v[184:185], v[184:185], v[190:191]
	s_wait_loadcnt_dscnt 0xa00
	v_mul_f64_e32 v[190:191], v[152:153], v[150:151]
	v_mul_f64_e32 v[150:151], v[154:155], v[150:151]
	v_fmac_f64_e32 v[186:187], v[6:7], v[164:165]
	v_fma_f64 v[192:193], v[4:5], v[164:165], -v[166:167]
	v_add_f64_e32 v[194:195], v[146:147], v[144:145]
	v_add_f64_e32 v[184:185], v[184:185], v[188:189]
	ds_load_b128 v[4:7], v2 offset:1536
	ds_load_b128 v[144:147], v2 offset:1552
	scratch_load_b128 v[164:167], off, off offset:784
	v_fmac_f64_e32 v[190:191], v[154:155], v[148:149]
	v_fma_f64 v[152:153], v[152:153], v[148:149], -v[150:151]
	scratch_load_b128 v[148:151], off, off offset:800
	s_wait_loadcnt_dscnt 0xb01
	v_mul_f64_e32 v[188:189], v[4:5], v[182:183]
	v_mul_f64_e32 v[182:183], v[6:7], v[182:183]
	v_add_f64_e32 v[154:155], v[194:195], v[192:193]
	v_add_f64_e32 v[184:185], v[184:185], v[186:187]
	s_wait_loadcnt_dscnt 0xa00
	v_mul_f64_e32 v[186:187], v[144:145], v[10:11]
	v_mul_f64_e32 v[10:11], v[146:147], v[10:11]
	v_fmac_f64_e32 v[188:189], v[6:7], v[180:181]
	v_fma_f64 v[192:193], v[4:5], v[180:181], -v[182:183]
	v_add_f64_e32 v[194:195], v[154:155], v[152:153]
	v_add_f64_e32 v[184:185], v[184:185], v[190:191]
	ds_load_b128 v[4:7], v2 offset:1568
	ds_load_b128 v[152:155], v2 offset:1584
	scratch_load_b128 v[180:183], off, off offset:816
	v_fmac_f64_e32 v[186:187], v[146:147], v[8:9]
	v_fma_f64 v[144:145], v[144:145], v[8:9], -v[10:11]
	scratch_load_b128 v[8:11], off, off offset:832
	s_wait_loadcnt_dscnt 0xb01
	v_mul_f64_e32 v[190:191], v[4:5], v[170:171]
	v_mul_f64_e32 v[170:171], v[6:7], v[170:171]
	v_add_f64_e32 v[146:147], v[194:195], v[192:193]
	v_add_f64_e32 v[184:185], v[184:185], v[188:189]
	s_wait_loadcnt_dscnt 0xa00
	v_mul_f64_e32 v[188:189], v[152:153], v[134:135]
	v_mul_f64_e32 v[134:135], v[154:155], v[134:135]
	v_fmac_f64_e32 v[190:191], v[6:7], v[168:169]
	v_fma_f64 v[192:193], v[4:5], v[168:169], -v[170:171]
	v_add_f64_e32 v[194:195], v[146:147], v[144:145]
	v_add_f64_e32 v[184:185], v[184:185], v[186:187]
	ds_load_b128 v[4:7], v2 offset:1600
	ds_load_b128 v[144:147], v2 offset:1616
	scratch_load_b128 v[168:171], off, off offset:848
	v_fmac_f64_e32 v[188:189], v[154:155], v[132:133]
	v_fma_f64 v[152:153], v[152:153], v[132:133], -v[134:135]
	scratch_load_b128 v[132:135], off, off offset:864
	s_wait_loadcnt_dscnt 0xb01
	v_mul_f64_e32 v[186:187], v[4:5], v[178:179]
	v_mul_f64_e32 v[178:179], v[6:7], v[178:179]
	v_add_f64_e32 v[154:155], v[194:195], v[192:193]
	v_add_f64_e32 v[184:185], v[184:185], v[190:191]
	s_wait_loadcnt_dscnt 0xa00
	v_mul_f64_e32 v[190:191], v[144:145], v[130:131]
	v_mul_f64_e32 v[130:131], v[146:147], v[130:131]
	v_fmac_f64_e32 v[186:187], v[6:7], v[176:177]
	v_fma_f64 v[192:193], v[4:5], v[176:177], -v[178:179]
	v_add_f64_e32 v[194:195], v[154:155], v[152:153]
	v_add_f64_e32 v[184:185], v[184:185], v[188:189]
	ds_load_b128 v[4:7], v2 offset:1632
	ds_load_b128 v[152:155], v2 offset:1648
	scratch_load_b128 v[176:179], off, off offset:880
	v_fmac_f64_e32 v[190:191], v[146:147], v[128:129]
	v_fma_f64 v[144:145], v[144:145], v[128:129], -v[130:131]
	scratch_load_b128 v[128:131], off, off offset:896
	s_wait_loadcnt_dscnt 0xb01
	v_mul_f64_e32 v[188:189], v[4:5], v[158:159]
	v_mul_f64_e32 v[158:159], v[6:7], v[158:159]
	v_add_f64_e32 v[146:147], v[194:195], v[192:193]
	v_add_f64_e32 v[184:185], v[184:185], v[186:187]
	s_wait_loadcnt_dscnt 0xa00
	v_mul_f64_e32 v[186:187], v[152:153], v[138:139]
	v_mul_f64_e32 v[138:139], v[154:155], v[138:139]
	v_fmac_f64_e32 v[188:189], v[6:7], v[156:157]
	v_fma_f64 v[156:157], v[4:5], v[156:157], -v[158:159]
	v_add_f64_e32 v[158:159], v[146:147], v[144:145]
	v_add_f64_e32 v[184:185], v[184:185], v[190:191]
	ds_load_b128 v[4:7], v2 offset:1664
	ds_load_b128 v[144:147], v2 offset:1680
	v_fmac_f64_e32 v[186:187], v[154:155], v[136:137]
	v_fma_f64 v[136:137], v[152:153], v[136:137], -v[138:139]
	s_wait_loadcnt_dscnt 0x901
	v_mul_f64_e32 v[190:191], v[4:5], v[162:163]
	v_mul_f64_e32 v[162:163], v[6:7], v[162:163]
	s_wait_loadcnt_dscnt 0x800
	v_mul_f64_e32 v[154:155], v[144:145], v[142:143]
	v_mul_f64_e32 v[142:143], v[146:147], v[142:143]
	v_add_f64_e32 v[138:139], v[158:159], v[156:157]
	v_add_f64_e32 v[152:153], v[184:185], v[188:189]
	v_fmac_f64_e32 v[190:191], v[6:7], v[160:161]
	v_fma_f64 v[156:157], v[4:5], v[160:161], -v[162:163]
	v_fmac_f64_e32 v[154:155], v[146:147], v[140:141]
	v_fma_f64 v[140:141], v[144:145], v[140:141], -v[142:143]
	v_add_f64_e32 v[158:159], v[138:139], v[136:137]
	v_add_f64_e32 v[152:153], v[152:153], v[186:187]
	ds_load_b128 v[4:7], v2 offset:1696
	ds_load_b128 v[136:139], v2 offset:1712
	s_wait_loadcnt_dscnt 0x701
	v_mul_f64_e32 v[160:161], v[4:5], v[166:167]
	v_mul_f64_e32 v[162:163], v[6:7], v[166:167]
	s_wait_loadcnt_dscnt 0x600
	v_mul_f64_e32 v[146:147], v[136:137], v[150:151]
	v_mul_f64_e32 v[150:151], v[138:139], v[150:151]
	v_add_f64_e32 v[142:143], v[158:159], v[156:157]
	v_add_f64_e32 v[144:145], v[152:153], v[190:191]
	v_fmac_f64_e32 v[160:161], v[6:7], v[164:165]
	v_fma_f64 v[152:153], v[4:5], v[164:165], -v[162:163]
	v_fmac_f64_e32 v[146:147], v[138:139], v[148:149]
	v_fma_f64 v[136:137], v[136:137], v[148:149], -v[150:151]
	v_add_f64_e32 v[156:157], v[142:143], v[140:141]
	v_add_f64_e32 v[144:145], v[144:145], v[154:155]
	ds_load_b128 v[4:7], v2 offset:1728
	ds_load_b128 v[140:143], v2 offset:1744
	;; [unrolled: 16-line block ×4, first 2 shown]
	s_wait_loadcnt_dscnt 0x101
	v_mul_f64_e32 v[2:3], v[4:5], v[178:179]
	v_mul_f64_e32 v[148:149], v[6:7], v[178:179]
	s_wait_loadcnt_dscnt 0x0
	v_mul_f64_e32 v[138:139], v[8:9], v[130:131]
	v_mul_f64_e32 v[130:131], v[10:11], v[130:131]
	v_add_f64_e32 v[134:135], v[150:151], v[144:145]
	v_add_f64_e32 v[136:137], v[140:141], v[146:147]
	v_fmac_f64_e32 v[2:3], v[6:7], v[176:177]
	v_fma_f64 v[4:5], v[4:5], v[176:177], -v[148:149]
	v_fmac_f64_e32 v[138:139], v[10:11], v[128:129]
	v_fma_f64 v[8:9], v[8:9], v[128:129], -v[130:131]
	v_add_f64_e32 v[6:7], v[134:135], v[132:133]
	v_add_f64_e32 v[132:133], v[136:137], v[142:143]
	s_delay_alu instid0(VALU_DEP_2) | instskip(NEXT) | instid1(VALU_DEP_2)
	v_add_f64_e32 v[4:5], v[6:7], v[4:5]
	v_add_f64_e32 v[2:3], v[132:133], v[2:3]
	s_delay_alu instid0(VALU_DEP_2) | instskip(NEXT) | instid1(VALU_DEP_2)
	;; [unrolled: 3-line block ×3, first 2 shown]
	v_add_f64_e64 v[2:3], v[172:173], -v[4:5]
	v_add_f64_e64 v[4:5], v[174:175], -v[6:7]
	scratch_store_b128 off, v[2:5], off offset:224
	s_wait_xcnt 0x0
	v_cmpx_lt_u32_e32 13, v1
	s_cbranch_execz .LBB120_329
; %bb.328:
	scratch_load_b128 v[2:5], off, s60
	v_mov_b32_e32 v6, 0
	s_delay_alu instid0(VALU_DEP_1)
	v_dual_mov_b32 v7, v6 :: v_dual_mov_b32 v8, v6
	v_mov_b32_e32 v9, v6
	scratch_store_b128 off, v[6:9], off offset:208
	s_wait_loadcnt 0x0
	ds_store_b128 v12, v[2:5]
.LBB120_329:
	s_wait_xcnt 0x0
	s_or_b32 exec_lo, exec_lo, s2
	s_wait_storecnt_dscnt 0x0
	s_barrier_signal -1
	s_barrier_wait -1
	s_clause 0x9
	scratch_load_b128 v[4:7], off, off offset:224
	scratch_load_b128 v[8:11], off, off offset:240
	scratch_load_b128 v[128:131], off, off offset:256
	scratch_load_b128 v[132:135], off, off offset:272
	scratch_load_b128 v[136:139], off, off offset:288
	scratch_load_b128 v[140:143], off, off offset:304
	scratch_load_b128 v[144:147], off, off offset:320
	scratch_load_b128 v[148:151], off, off offset:336
	scratch_load_b128 v[152:155], off, off offset:352
	scratch_load_b128 v[156:159], off, off offset:368
	v_mov_b32_e32 v2, 0
	s_mov_b32 s2, exec_lo
	ds_load_b128 v[160:163], v2 offset:1136
	s_clause 0x2
	scratch_load_b128 v[164:167], off, off offset:384
	scratch_load_b128 v[168:171], off, off offset:208
	;; [unrolled: 1-line block ×3, first 2 shown]
	s_wait_loadcnt_dscnt 0xc00
	v_mul_f64_e32 v[180:181], v[162:163], v[6:7]
	v_mul_f64_e32 v[184:185], v[160:161], v[6:7]
	ds_load_b128 v[172:175], v2 offset:1152
	v_fma_f64 v[188:189], v[160:161], v[4:5], -v[180:181]
	v_fmac_f64_e32 v[184:185], v[162:163], v[4:5]
	ds_load_b128 v[4:7], v2 offset:1168
	s_wait_loadcnt_dscnt 0xb01
	v_mul_f64_e32 v[186:187], v[172:173], v[10:11]
	v_mul_f64_e32 v[10:11], v[174:175], v[10:11]
	scratch_load_b128 v[160:163], off, off offset:416
	ds_load_b128 v[180:183], v2 offset:1184
	s_wait_loadcnt_dscnt 0xb01
	v_mul_f64_e32 v[190:191], v[4:5], v[130:131]
	v_mul_f64_e32 v[130:131], v[6:7], v[130:131]
	v_add_f64_e32 v[184:185], 0, v[184:185]
	v_fmac_f64_e32 v[186:187], v[174:175], v[8:9]
	v_fma_f64 v[172:173], v[172:173], v[8:9], -v[10:11]
	v_add_f64_e32 v[174:175], 0, v[188:189]
	scratch_load_b128 v[8:11], off, off offset:432
	v_fmac_f64_e32 v[190:191], v[6:7], v[128:129]
	v_fma_f64 v[192:193], v[4:5], v[128:129], -v[130:131]
	ds_load_b128 v[4:7], v2 offset:1200
	s_wait_loadcnt_dscnt 0xb01
	v_mul_f64_e32 v[188:189], v[180:181], v[134:135]
	v_mul_f64_e32 v[134:135], v[182:183], v[134:135]
	scratch_load_b128 v[128:131], off, off offset:448
	v_add_f64_e32 v[184:185], v[184:185], v[186:187]
	v_add_f64_e32 v[194:195], v[174:175], v[172:173]
	ds_load_b128 v[172:175], v2 offset:1216
	s_wait_loadcnt_dscnt 0xb01
	v_mul_f64_e32 v[186:187], v[4:5], v[138:139]
	v_mul_f64_e32 v[138:139], v[6:7], v[138:139]
	v_fmac_f64_e32 v[188:189], v[182:183], v[132:133]
	v_fma_f64 v[180:181], v[180:181], v[132:133], -v[134:135]
	scratch_load_b128 v[132:135], off, off offset:464
	v_add_f64_e32 v[184:185], v[184:185], v[190:191]
	v_add_f64_e32 v[182:183], v[194:195], v[192:193]
	v_fmac_f64_e32 v[186:187], v[6:7], v[136:137]
	v_fma_f64 v[192:193], v[4:5], v[136:137], -v[138:139]
	ds_load_b128 v[4:7], v2 offset:1232
	s_wait_loadcnt_dscnt 0xb01
	v_mul_f64_e32 v[190:191], v[172:173], v[142:143]
	v_mul_f64_e32 v[142:143], v[174:175], v[142:143]
	scratch_load_b128 v[136:139], off, off offset:480
	v_add_f64_e32 v[184:185], v[184:185], v[188:189]
	s_wait_loadcnt_dscnt 0xb00
	v_mul_f64_e32 v[188:189], v[4:5], v[146:147]
	v_add_f64_e32 v[194:195], v[182:183], v[180:181]
	v_mul_f64_e32 v[146:147], v[6:7], v[146:147]
	ds_load_b128 v[180:183], v2 offset:1248
	v_fmac_f64_e32 v[190:191], v[174:175], v[140:141]
	v_fma_f64 v[172:173], v[172:173], v[140:141], -v[142:143]
	scratch_load_b128 v[140:143], off, off offset:496
	v_add_f64_e32 v[184:185], v[184:185], v[186:187]
	v_fmac_f64_e32 v[188:189], v[6:7], v[144:145]
	v_add_f64_e32 v[174:175], v[194:195], v[192:193]
	v_fma_f64 v[192:193], v[4:5], v[144:145], -v[146:147]
	ds_load_b128 v[4:7], v2 offset:1264
	s_wait_loadcnt_dscnt 0xb01
	v_mul_f64_e32 v[186:187], v[180:181], v[150:151]
	v_mul_f64_e32 v[150:151], v[182:183], v[150:151]
	scratch_load_b128 v[144:147], off, off offset:512
	v_add_f64_e32 v[184:185], v[184:185], v[190:191]
	s_wait_loadcnt_dscnt 0xb00
	v_mul_f64_e32 v[190:191], v[4:5], v[154:155]
	v_add_f64_e32 v[194:195], v[174:175], v[172:173]
	v_mul_f64_e32 v[154:155], v[6:7], v[154:155]
	ds_load_b128 v[172:175], v2 offset:1280
	v_fmac_f64_e32 v[186:187], v[182:183], v[148:149]
	v_fma_f64 v[180:181], v[180:181], v[148:149], -v[150:151]
	scratch_load_b128 v[148:151], off, off offset:528
	v_add_f64_e32 v[184:185], v[184:185], v[188:189]
	v_fmac_f64_e32 v[190:191], v[6:7], v[152:153]
	v_add_f64_e32 v[182:183], v[194:195], v[192:193]
	v_fma_f64 v[192:193], v[4:5], v[152:153], -v[154:155]
	ds_load_b128 v[4:7], v2 offset:1296
	s_wait_loadcnt_dscnt 0xb01
	v_mul_f64_e32 v[188:189], v[172:173], v[158:159]
	v_mul_f64_e32 v[158:159], v[174:175], v[158:159]
	scratch_load_b128 v[152:155], off, off offset:544
	v_add_f64_e32 v[184:185], v[184:185], v[186:187]
	s_wait_loadcnt_dscnt 0xb00
	v_mul_f64_e32 v[186:187], v[4:5], v[166:167]
	v_add_f64_e32 v[194:195], v[182:183], v[180:181]
	v_mul_f64_e32 v[166:167], v[6:7], v[166:167]
	ds_load_b128 v[180:183], v2 offset:1312
	v_fmac_f64_e32 v[188:189], v[174:175], v[156:157]
	v_fma_f64 v[172:173], v[172:173], v[156:157], -v[158:159]
	scratch_load_b128 v[156:159], off, off offset:560
	v_add_f64_e32 v[184:185], v[184:185], v[190:191]
	v_fmac_f64_e32 v[186:187], v[6:7], v[164:165]
	v_add_f64_e32 v[174:175], v[194:195], v[192:193]
	v_fma_f64 v[192:193], v[4:5], v[164:165], -v[166:167]
	ds_load_b128 v[4:7], v2 offset:1328
	s_wait_loadcnt_dscnt 0xa01
	v_mul_f64_e32 v[190:191], v[180:181], v[178:179]
	v_mul_f64_e32 v[178:179], v[182:183], v[178:179]
	scratch_load_b128 v[164:167], off, off offset:576
	v_add_f64_e32 v[184:185], v[184:185], v[188:189]
	v_add_f64_e32 v[194:195], v[174:175], v[172:173]
	s_wait_loadcnt_dscnt 0xa00
	v_mul_f64_e32 v[188:189], v[4:5], v[162:163]
	v_mul_f64_e32 v[162:163], v[6:7], v[162:163]
	v_fmac_f64_e32 v[190:191], v[182:183], v[176:177]
	v_fma_f64 v[180:181], v[180:181], v[176:177], -v[178:179]
	ds_load_b128 v[172:175], v2 offset:1344
	scratch_load_b128 v[176:179], off, off offset:592
	v_add_f64_e32 v[184:185], v[184:185], v[186:187]
	v_add_f64_e32 v[182:183], v[194:195], v[192:193]
	v_fmac_f64_e32 v[188:189], v[6:7], v[160:161]
	v_fma_f64 v[192:193], v[4:5], v[160:161], -v[162:163]
	ds_load_b128 v[4:7], v2 offset:1360
	s_wait_loadcnt_dscnt 0xa01
	v_mul_f64_e32 v[186:187], v[172:173], v[10:11]
	v_mul_f64_e32 v[10:11], v[174:175], v[10:11]
	scratch_load_b128 v[160:163], off, off offset:608
	v_add_f64_e32 v[184:185], v[184:185], v[190:191]
	s_wait_loadcnt_dscnt 0xa00
	v_mul_f64_e32 v[190:191], v[4:5], v[130:131]
	v_add_f64_e32 v[194:195], v[182:183], v[180:181]
	v_mul_f64_e32 v[130:131], v[6:7], v[130:131]
	ds_load_b128 v[180:183], v2 offset:1376
	v_fmac_f64_e32 v[186:187], v[174:175], v[8:9]
	v_fma_f64 v[172:173], v[172:173], v[8:9], -v[10:11]
	scratch_load_b128 v[8:11], off, off offset:624
	v_add_f64_e32 v[184:185], v[184:185], v[188:189]
	v_fmac_f64_e32 v[190:191], v[6:7], v[128:129]
	v_add_f64_e32 v[174:175], v[194:195], v[192:193]
	v_fma_f64 v[192:193], v[4:5], v[128:129], -v[130:131]
	ds_load_b128 v[4:7], v2 offset:1392
	s_wait_loadcnt_dscnt 0xa01
	v_mul_f64_e32 v[188:189], v[180:181], v[134:135]
	v_mul_f64_e32 v[134:135], v[182:183], v[134:135]
	scratch_load_b128 v[128:131], off, off offset:640
	v_add_f64_e32 v[184:185], v[184:185], v[186:187]
	s_wait_loadcnt_dscnt 0xa00
	v_mul_f64_e32 v[186:187], v[4:5], v[138:139]
	v_add_f64_e32 v[194:195], v[174:175], v[172:173]
	v_mul_f64_e32 v[138:139], v[6:7], v[138:139]
	ds_load_b128 v[172:175], v2 offset:1408
	v_fmac_f64_e32 v[188:189], v[182:183], v[132:133]
	v_fma_f64 v[180:181], v[180:181], v[132:133], -v[134:135]
	scratch_load_b128 v[132:135], off, off offset:656
	v_add_f64_e32 v[184:185], v[184:185], v[190:191]
	v_fmac_f64_e32 v[186:187], v[6:7], v[136:137]
	v_add_f64_e32 v[182:183], v[194:195], v[192:193]
	;; [unrolled: 18-line block ×9, first 2 shown]
	v_fma_f64 v[192:193], v[4:5], v[144:145], -v[146:147]
	ds_load_b128 v[4:7], v2 offset:1648
	s_wait_loadcnt_dscnt 0xa01
	v_mul_f64_e32 v[186:187], v[180:181], v[150:151]
	v_mul_f64_e32 v[150:151], v[182:183], v[150:151]
	scratch_load_b128 v[144:147], off, off offset:896
	v_add_f64_e32 v[184:185], v[184:185], v[190:191]
	s_wait_loadcnt_dscnt 0xa00
	v_mul_f64_e32 v[190:191], v[4:5], v[154:155]
	v_add_f64_e32 v[194:195], v[174:175], v[172:173]
	v_mul_f64_e32 v[154:155], v[6:7], v[154:155]
	ds_load_b128 v[172:175], v2 offset:1664
	v_fmac_f64_e32 v[186:187], v[182:183], v[148:149]
	v_fma_f64 v[148:149], v[180:181], v[148:149], -v[150:151]
	s_wait_loadcnt_dscnt 0x900
	v_mul_f64_e32 v[182:183], v[172:173], v[158:159]
	v_mul_f64_e32 v[158:159], v[174:175], v[158:159]
	v_add_f64_e32 v[180:181], v[184:185], v[188:189]
	v_fmac_f64_e32 v[190:191], v[6:7], v[152:153]
	v_add_f64_e32 v[150:151], v[194:195], v[192:193]
	v_fma_f64 v[152:153], v[4:5], v[152:153], -v[154:155]
	v_fmac_f64_e32 v[182:183], v[174:175], v[156:157]
	v_fma_f64 v[156:157], v[172:173], v[156:157], -v[158:159]
	v_add_f64_e32 v[180:181], v[180:181], v[186:187]
	v_add_f64_e32 v[154:155], v[150:151], v[148:149]
	ds_load_b128 v[4:7], v2 offset:1680
	ds_load_b128 v[148:151], v2 offset:1696
	s_wait_loadcnt_dscnt 0x801
	v_mul_f64_e32 v[184:185], v[4:5], v[166:167]
	v_mul_f64_e32 v[166:167], v[6:7], v[166:167]
	s_wait_loadcnt_dscnt 0x700
	v_mul_f64_e32 v[158:159], v[148:149], v[178:179]
	v_mul_f64_e32 v[172:173], v[150:151], v[178:179]
	v_add_f64_e32 v[152:153], v[154:155], v[152:153]
	v_add_f64_e32 v[154:155], v[180:181], v[190:191]
	v_fmac_f64_e32 v[184:185], v[6:7], v[164:165]
	v_fma_f64 v[164:165], v[4:5], v[164:165], -v[166:167]
	v_fmac_f64_e32 v[158:159], v[150:151], v[176:177]
	v_fma_f64 v[148:149], v[148:149], v[176:177], -v[172:173]
	v_add_f64_e32 v[156:157], v[152:153], v[156:157]
	v_add_f64_e32 v[166:167], v[154:155], v[182:183]
	ds_load_b128 v[4:7], v2 offset:1712
	ds_load_b128 v[152:155], v2 offset:1728
	s_wait_loadcnt_dscnt 0x601
	v_mul_f64_e32 v[174:175], v[4:5], v[162:163]
	v_mul_f64_e32 v[162:163], v[6:7], v[162:163]
	v_add_f64_e32 v[150:151], v[156:157], v[164:165]
	v_add_f64_e32 v[156:157], v[166:167], v[184:185]
	s_wait_loadcnt_dscnt 0x500
	v_mul_f64_e32 v[164:165], v[152:153], v[10:11]
	v_mul_f64_e32 v[10:11], v[154:155], v[10:11]
	v_fmac_f64_e32 v[174:175], v[6:7], v[160:161]
	v_fma_f64 v[160:161], v[4:5], v[160:161], -v[162:163]
	v_add_f64_e32 v[162:163], v[150:151], v[148:149]
	v_add_f64_e32 v[156:157], v[156:157], v[158:159]
	ds_load_b128 v[4:7], v2 offset:1744
	ds_load_b128 v[148:151], v2 offset:1760
	v_fmac_f64_e32 v[164:165], v[154:155], v[8:9]
	v_fma_f64 v[8:9], v[152:153], v[8:9], -v[10:11]
	s_wait_loadcnt_dscnt 0x401
	v_mul_f64_e32 v[158:159], v[4:5], v[130:131]
	v_mul_f64_e32 v[130:131], v[6:7], v[130:131]
	s_wait_loadcnt_dscnt 0x300
	v_mul_f64_e32 v[154:155], v[148:149], v[134:135]
	v_mul_f64_e32 v[134:135], v[150:151], v[134:135]
	v_add_f64_e32 v[10:11], v[162:163], v[160:161]
	v_add_f64_e32 v[152:153], v[156:157], v[174:175]
	v_fmac_f64_e32 v[158:159], v[6:7], v[128:129]
	v_fma_f64 v[128:129], v[4:5], v[128:129], -v[130:131]
	v_fmac_f64_e32 v[154:155], v[150:151], v[132:133]
	v_fma_f64 v[132:133], v[148:149], v[132:133], -v[134:135]
	v_add_f64_e32 v[130:131], v[10:11], v[8:9]
	v_add_f64_e32 v[152:153], v[152:153], v[164:165]
	ds_load_b128 v[4:7], v2 offset:1776
	ds_load_b128 v[8:11], v2 offset:1792
	s_wait_loadcnt_dscnt 0x201
	v_mul_f64_e32 v[156:157], v[4:5], v[138:139]
	v_mul_f64_e32 v[138:139], v[6:7], v[138:139]
	s_wait_loadcnt_dscnt 0x100
	v_mul_f64_e32 v[134:135], v[8:9], v[142:143]
	v_mul_f64_e32 v[142:143], v[10:11], v[142:143]
	v_add_f64_e32 v[128:129], v[130:131], v[128:129]
	v_add_f64_e32 v[130:131], v[152:153], v[158:159]
	v_fmac_f64_e32 v[156:157], v[6:7], v[136:137]
	v_fma_f64 v[136:137], v[4:5], v[136:137], -v[138:139]
	ds_load_b128 v[4:7], v2 offset:1808
	v_fmac_f64_e32 v[134:135], v[10:11], v[140:141]
	v_fma_f64 v[8:9], v[8:9], v[140:141], -v[142:143]
	v_add_f64_e32 v[128:129], v[128:129], v[132:133]
	v_add_f64_e32 v[130:131], v[130:131], v[154:155]
	s_wait_loadcnt_dscnt 0x0
	v_mul_f64_e32 v[132:133], v[4:5], v[146:147]
	v_mul_f64_e32 v[138:139], v[6:7], v[146:147]
	s_delay_alu instid0(VALU_DEP_4) | instskip(NEXT) | instid1(VALU_DEP_4)
	v_add_f64_e32 v[10:11], v[128:129], v[136:137]
	v_add_f64_e32 v[128:129], v[130:131], v[156:157]
	s_delay_alu instid0(VALU_DEP_4) | instskip(NEXT) | instid1(VALU_DEP_4)
	v_fmac_f64_e32 v[132:133], v[6:7], v[144:145]
	v_fma_f64 v[4:5], v[4:5], v[144:145], -v[138:139]
	s_delay_alu instid0(VALU_DEP_4) | instskip(NEXT) | instid1(VALU_DEP_4)
	v_add_f64_e32 v[6:7], v[10:11], v[8:9]
	v_add_f64_e32 v[8:9], v[128:129], v[134:135]
	s_delay_alu instid0(VALU_DEP_2) | instskip(NEXT) | instid1(VALU_DEP_2)
	v_add_f64_e32 v[4:5], v[6:7], v[4:5]
	v_add_f64_e32 v[6:7], v[8:9], v[132:133]
	s_delay_alu instid0(VALU_DEP_2) | instskip(NEXT) | instid1(VALU_DEP_2)
	v_add_f64_e64 v[4:5], v[168:169], -v[4:5]
	v_add_f64_e64 v[6:7], v[170:171], -v[6:7]
	scratch_store_b128 off, v[4:7], off offset:208
	s_wait_xcnt 0x0
	v_cmpx_lt_u32_e32 12, v1
	s_cbranch_execz .LBB120_331
; %bb.330:
	scratch_load_b128 v[6:9], off, s61
	v_dual_mov_b32 v3, v2 :: v_dual_mov_b32 v4, v2
	v_mov_b32_e32 v5, v2
	scratch_store_b128 off, v[2:5], off offset:192
	s_wait_loadcnt 0x0
	ds_store_b128 v12, v[6:9]
.LBB120_331:
	s_wait_xcnt 0x0
	s_or_b32 exec_lo, exec_lo, s2
	s_wait_storecnt_dscnt 0x0
	s_barrier_signal -1
	s_barrier_wait -1
	s_clause 0x9
	scratch_load_b128 v[4:7], off, off offset:208
	scratch_load_b128 v[8:11], off, off offset:224
	;; [unrolled: 1-line block ×10, first 2 shown]
	ds_load_b128 v[160:163], v2 offset:1120
	ds_load_b128 v[168:171], v2 offset:1136
	s_clause 0x2
	scratch_load_b128 v[164:167], off, off offset:368
	scratch_load_b128 v[172:175], off, off offset:192
	;; [unrolled: 1-line block ×3, first 2 shown]
	s_mov_b32 s2, exec_lo
	s_wait_loadcnt_dscnt 0xc01
	v_mul_f64_e32 v[180:181], v[162:163], v[6:7]
	v_mul_f64_e32 v[184:185], v[160:161], v[6:7]
	s_wait_loadcnt_dscnt 0xb00
	v_mul_f64_e32 v[186:187], v[168:169], v[10:11]
	v_mul_f64_e32 v[10:11], v[170:171], v[10:11]
	s_delay_alu instid0(VALU_DEP_4) | instskip(NEXT) | instid1(VALU_DEP_4)
	v_fma_f64 v[188:189], v[160:161], v[4:5], -v[180:181]
	v_fmac_f64_e32 v[184:185], v[162:163], v[4:5]
	ds_load_b128 v[4:7], v2 offset:1152
	ds_load_b128 v[160:163], v2 offset:1168
	scratch_load_b128 v[180:183], off, off offset:400
	v_fmac_f64_e32 v[186:187], v[170:171], v[8:9]
	v_fma_f64 v[168:169], v[168:169], v[8:9], -v[10:11]
	scratch_load_b128 v[8:11], off, off offset:416
	s_wait_loadcnt_dscnt 0xc01
	v_mul_f64_e32 v[190:191], v[4:5], v[130:131]
	v_mul_f64_e32 v[130:131], v[6:7], v[130:131]
	v_add_f64_e32 v[170:171], 0, v[188:189]
	v_add_f64_e32 v[184:185], 0, v[184:185]
	s_wait_loadcnt_dscnt 0xb00
	v_mul_f64_e32 v[188:189], v[160:161], v[134:135]
	v_mul_f64_e32 v[134:135], v[162:163], v[134:135]
	v_fmac_f64_e32 v[190:191], v[6:7], v[128:129]
	v_fma_f64 v[192:193], v[4:5], v[128:129], -v[130:131]
	ds_load_b128 v[4:7], v2 offset:1184
	ds_load_b128 v[128:131], v2 offset:1200
	v_add_f64_e32 v[194:195], v[170:171], v[168:169]
	v_add_f64_e32 v[184:185], v[184:185], v[186:187]
	scratch_load_b128 v[168:171], off, off offset:432
	v_fmac_f64_e32 v[188:189], v[162:163], v[132:133]
	v_fma_f64 v[160:161], v[160:161], v[132:133], -v[134:135]
	scratch_load_b128 v[132:135], off, off offset:448
	s_wait_loadcnt_dscnt 0xc01
	v_mul_f64_e32 v[186:187], v[4:5], v[138:139]
	v_mul_f64_e32 v[138:139], v[6:7], v[138:139]
	v_add_f64_e32 v[162:163], v[194:195], v[192:193]
	v_add_f64_e32 v[184:185], v[184:185], v[190:191]
	s_wait_loadcnt_dscnt 0xb00
	v_mul_f64_e32 v[190:191], v[128:129], v[142:143]
	v_mul_f64_e32 v[142:143], v[130:131], v[142:143]
	v_fmac_f64_e32 v[186:187], v[6:7], v[136:137]
	v_fma_f64 v[192:193], v[4:5], v[136:137], -v[138:139]
	ds_load_b128 v[4:7], v2 offset:1216
	ds_load_b128 v[136:139], v2 offset:1232
	v_add_f64_e32 v[194:195], v[162:163], v[160:161]
	v_add_f64_e32 v[184:185], v[184:185], v[188:189]
	scratch_load_b128 v[160:163], off, off offset:464
	s_wait_loadcnt_dscnt 0xb01
	v_mul_f64_e32 v[188:189], v[4:5], v[146:147]
	v_mul_f64_e32 v[146:147], v[6:7], v[146:147]
	v_fmac_f64_e32 v[190:191], v[130:131], v[140:141]
	v_fma_f64 v[140:141], v[128:129], v[140:141], -v[142:143]
	scratch_load_b128 v[128:131], off, off offset:480
	v_add_f64_e32 v[142:143], v[194:195], v[192:193]
	v_add_f64_e32 v[184:185], v[184:185], v[186:187]
	s_wait_loadcnt_dscnt 0xb00
	v_mul_f64_e32 v[186:187], v[136:137], v[150:151]
	v_mul_f64_e32 v[150:151], v[138:139], v[150:151]
	v_fmac_f64_e32 v[188:189], v[6:7], v[144:145]
	v_fma_f64 v[192:193], v[4:5], v[144:145], -v[146:147]
	v_add_f64_e32 v[194:195], v[142:143], v[140:141]
	v_add_f64_e32 v[184:185], v[184:185], v[190:191]
	ds_load_b128 v[4:7], v2 offset:1248
	ds_load_b128 v[140:143], v2 offset:1264
	scratch_load_b128 v[144:147], off, off offset:496
	v_fmac_f64_e32 v[186:187], v[138:139], v[148:149]
	v_fma_f64 v[148:149], v[136:137], v[148:149], -v[150:151]
	scratch_load_b128 v[136:139], off, off offset:512
	s_wait_loadcnt_dscnt 0xc01
	v_mul_f64_e32 v[190:191], v[4:5], v[154:155]
	v_mul_f64_e32 v[154:155], v[6:7], v[154:155]
	v_add_f64_e32 v[150:151], v[194:195], v[192:193]
	v_add_f64_e32 v[184:185], v[184:185], v[188:189]
	s_wait_loadcnt_dscnt 0xb00
	v_mul_f64_e32 v[188:189], v[140:141], v[158:159]
	v_mul_f64_e32 v[158:159], v[142:143], v[158:159]
	v_fmac_f64_e32 v[190:191], v[6:7], v[152:153]
	v_fma_f64 v[192:193], v[4:5], v[152:153], -v[154:155]
	v_add_f64_e32 v[194:195], v[150:151], v[148:149]
	v_add_f64_e32 v[184:185], v[184:185], v[186:187]
	ds_load_b128 v[4:7], v2 offset:1280
	ds_load_b128 v[148:151], v2 offset:1296
	scratch_load_b128 v[152:155], off, off offset:528
	v_fmac_f64_e32 v[188:189], v[142:143], v[156:157]
	v_fma_f64 v[156:157], v[140:141], v[156:157], -v[158:159]
	scratch_load_b128 v[140:143], off, off offset:544
	s_wait_loadcnt_dscnt 0xc01
	v_mul_f64_e32 v[186:187], v[4:5], v[166:167]
	v_mul_f64_e32 v[166:167], v[6:7], v[166:167]
	;; [unrolled: 18-line block ×5, first 2 shown]
	v_add_f64_e32 v[178:179], v[194:195], v[192:193]
	v_add_f64_e32 v[184:185], v[184:185], v[190:191]
	s_wait_loadcnt_dscnt 0xa00
	v_mul_f64_e32 v[190:191], v[156:157], v[130:131]
	v_mul_f64_e32 v[130:131], v[158:159], v[130:131]
	v_fmac_f64_e32 v[186:187], v[6:7], v[160:161]
	v_fma_f64 v[192:193], v[4:5], v[160:161], -v[162:163]
	ds_load_b128 v[4:7], v2 offset:1408
	ds_load_b128 v[160:163], v2 offset:1424
	v_add_f64_e32 v[194:195], v[178:179], v[176:177]
	v_add_f64_e32 v[184:185], v[184:185], v[188:189]
	scratch_load_b128 v[176:179], off, off offset:656
	v_fmac_f64_e32 v[190:191], v[158:159], v[128:129]
	v_fma_f64 v[156:157], v[156:157], v[128:129], -v[130:131]
	scratch_load_b128 v[128:131], off, off offset:672
	s_wait_loadcnt_dscnt 0xb01
	v_mul_f64_e32 v[188:189], v[4:5], v[146:147]
	v_mul_f64_e32 v[146:147], v[6:7], v[146:147]
	v_add_f64_e32 v[158:159], v[194:195], v[192:193]
	v_add_f64_e32 v[184:185], v[184:185], v[186:187]
	s_wait_loadcnt_dscnt 0xa00
	v_mul_f64_e32 v[186:187], v[160:161], v[138:139]
	v_mul_f64_e32 v[138:139], v[162:163], v[138:139]
	v_fmac_f64_e32 v[188:189], v[6:7], v[144:145]
	v_fma_f64 v[192:193], v[4:5], v[144:145], -v[146:147]
	ds_load_b128 v[4:7], v2 offset:1440
	ds_load_b128 v[144:147], v2 offset:1456
	v_add_f64_e32 v[194:195], v[158:159], v[156:157]
	v_add_f64_e32 v[184:185], v[184:185], v[190:191]
	scratch_load_b128 v[156:159], off, off offset:688
	s_wait_loadcnt_dscnt 0xa01
	v_mul_f64_e32 v[190:191], v[4:5], v[154:155]
	v_mul_f64_e32 v[154:155], v[6:7], v[154:155]
	v_fmac_f64_e32 v[186:187], v[162:163], v[136:137]
	v_fma_f64 v[160:161], v[160:161], v[136:137], -v[138:139]
	scratch_load_b128 v[136:139], off, off offset:704
	v_add_f64_e32 v[162:163], v[194:195], v[192:193]
	v_add_f64_e32 v[184:185], v[184:185], v[188:189]
	s_wait_loadcnt_dscnt 0xa00
	v_mul_f64_e32 v[188:189], v[144:145], v[142:143]
	v_mul_f64_e32 v[142:143], v[146:147], v[142:143]
	v_fmac_f64_e32 v[190:191], v[6:7], v[152:153]
	v_fma_f64 v[192:193], v[4:5], v[152:153], -v[154:155]
	ds_load_b128 v[4:7], v2 offset:1472
	ds_load_b128 v[152:155], v2 offset:1488
	v_add_f64_e32 v[194:195], v[162:163], v[160:161]
	v_add_f64_e32 v[184:185], v[184:185], v[186:187]
	scratch_load_b128 v[160:163], off, off offset:720
	s_wait_loadcnt_dscnt 0xa01
	v_mul_f64_e32 v[186:187], v[4:5], v[166:167]
	v_mul_f64_e32 v[166:167], v[6:7], v[166:167]
	v_fmac_f64_e32 v[188:189], v[146:147], v[140:141]
	v_fma_f64 v[144:145], v[144:145], v[140:141], -v[142:143]
	scratch_load_b128 v[140:143], off, off offset:736
	v_add_f64_e32 v[146:147], v[194:195], v[192:193]
	v_add_f64_e32 v[184:185], v[184:185], v[190:191]
	s_wait_loadcnt_dscnt 0xa00
	v_mul_f64_e32 v[190:191], v[152:153], v[150:151]
	v_mul_f64_e32 v[150:151], v[154:155], v[150:151]
	v_fmac_f64_e32 v[186:187], v[6:7], v[164:165]
	v_fma_f64 v[192:193], v[4:5], v[164:165], -v[166:167]
	v_add_f64_e32 v[194:195], v[146:147], v[144:145]
	v_add_f64_e32 v[184:185], v[184:185], v[188:189]
	ds_load_b128 v[4:7], v2 offset:1504
	ds_load_b128 v[144:147], v2 offset:1520
	scratch_load_b128 v[164:167], off, off offset:752
	v_fmac_f64_e32 v[190:191], v[154:155], v[148:149]
	v_fma_f64 v[152:153], v[152:153], v[148:149], -v[150:151]
	scratch_load_b128 v[148:151], off, off offset:768
	s_wait_loadcnt_dscnt 0xb01
	v_mul_f64_e32 v[188:189], v[4:5], v[182:183]
	v_mul_f64_e32 v[182:183], v[6:7], v[182:183]
	v_add_f64_e32 v[154:155], v[194:195], v[192:193]
	v_add_f64_e32 v[184:185], v[184:185], v[186:187]
	s_wait_loadcnt_dscnt 0xa00
	v_mul_f64_e32 v[186:187], v[144:145], v[10:11]
	v_mul_f64_e32 v[10:11], v[146:147], v[10:11]
	v_fmac_f64_e32 v[188:189], v[6:7], v[180:181]
	v_fma_f64 v[192:193], v[4:5], v[180:181], -v[182:183]
	v_add_f64_e32 v[194:195], v[154:155], v[152:153]
	v_add_f64_e32 v[184:185], v[184:185], v[190:191]
	ds_load_b128 v[4:7], v2 offset:1536
	ds_load_b128 v[152:155], v2 offset:1552
	scratch_load_b128 v[180:183], off, off offset:784
	v_fmac_f64_e32 v[186:187], v[146:147], v[8:9]
	v_fma_f64 v[144:145], v[144:145], v[8:9], -v[10:11]
	scratch_load_b128 v[8:11], off, off offset:800
	s_wait_loadcnt_dscnt 0xb01
	v_mul_f64_e32 v[190:191], v[4:5], v[170:171]
	v_mul_f64_e32 v[170:171], v[6:7], v[170:171]
	;; [unrolled: 18-line block ×5, first 2 shown]
	v_add_f64_e32 v[154:155], v[194:195], v[192:193]
	v_add_f64_e32 v[184:185], v[184:185], v[188:189]
	s_wait_loadcnt_dscnt 0xa00
	v_mul_f64_e32 v[188:189], v[144:145], v[142:143]
	v_mul_f64_e32 v[142:143], v[146:147], v[142:143]
	v_fmac_f64_e32 v[190:191], v[6:7], v[160:161]
	v_fma_f64 v[160:161], v[4:5], v[160:161], -v[162:163]
	v_add_f64_e32 v[162:163], v[154:155], v[152:153]
	v_add_f64_e32 v[184:185], v[184:185], v[186:187]
	ds_load_b128 v[4:7], v2 offset:1664
	ds_load_b128 v[152:155], v2 offset:1680
	v_fmac_f64_e32 v[188:189], v[146:147], v[140:141]
	v_fma_f64 v[140:141], v[144:145], v[140:141], -v[142:143]
	s_wait_loadcnt_dscnt 0x901
	v_mul_f64_e32 v[186:187], v[4:5], v[166:167]
	v_mul_f64_e32 v[166:167], v[6:7], v[166:167]
	s_wait_loadcnt_dscnt 0x800
	v_mul_f64_e32 v[146:147], v[152:153], v[150:151]
	v_mul_f64_e32 v[150:151], v[154:155], v[150:151]
	v_add_f64_e32 v[142:143], v[162:163], v[160:161]
	v_add_f64_e32 v[144:145], v[184:185], v[190:191]
	v_fmac_f64_e32 v[186:187], v[6:7], v[164:165]
	v_fma_f64 v[160:161], v[4:5], v[164:165], -v[166:167]
	v_fmac_f64_e32 v[146:147], v[154:155], v[148:149]
	v_fma_f64 v[148:149], v[152:153], v[148:149], -v[150:151]
	v_add_f64_e32 v[162:163], v[142:143], v[140:141]
	v_add_f64_e32 v[144:145], v[144:145], v[188:189]
	ds_load_b128 v[4:7], v2 offset:1696
	ds_load_b128 v[140:143], v2 offset:1712
	s_wait_loadcnt_dscnt 0x701
	v_mul_f64_e32 v[164:165], v[4:5], v[182:183]
	v_mul_f64_e32 v[166:167], v[6:7], v[182:183]
	s_wait_loadcnt_dscnt 0x600
	v_mul_f64_e32 v[152:153], v[140:141], v[10:11]
	v_mul_f64_e32 v[10:11], v[142:143], v[10:11]
	v_add_f64_e32 v[150:151], v[162:163], v[160:161]
	v_add_f64_e32 v[144:145], v[144:145], v[186:187]
	v_fmac_f64_e32 v[164:165], v[6:7], v[180:181]
	v_fma_f64 v[154:155], v[4:5], v[180:181], -v[166:167]
	v_fmac_f64_e32 v[152:153], v[142:143], v[8:9]
	v_fma_f64 v[8:9], v[140:141], v[8:9], -v[10:11]
	v_add_f64_e32 v[148:149], v[150:151], v[148:149]
	v_add_f64_e32 v[150:151], v[144:145], v[146:147]
	ds_load_b128 v[4:7], v2 offset:1728
	ds_load_b128 v[144:147], v2 offset:1744
	;; [unrolled: 16-line block ×4, first 2 shown]
	s_wait_loadcnt_dscnt 0x101
	v_mul_f64_e32 v[2:3], v[4:5], v[158:159]
	v_mul_f64_e32 v[142:143], v[6:7], v[158:159]
	v_add_f64_e32 v[10:11], v[134:135], v[148:149]
	v_add_f64_e32 v[128:129], v[140:141], v[152:153]
	s_wait_loadcnt_dscnt 0x0
	v_mul_f64_e32 v[134:135], v[130:131], v[138:139]
	v_mul_f64_e32 v[138:139], v[132:133], v[138:139]
	v_fmac_f64_e32 v[2:3], v[6:7], v[156:157]
	v_fma_f64 v[4:5], v[4:5], v[156:157], -v[142:143]
	v_add_f64_e32 v[6:7], v[10:11], v[8:9]
	v_add_f64_e32 v[8:9], v[128:129], v[144:145]
	v_fmac_f64_e32 v[134:135], v[132:133], v[136:137]
	v_fma_f64 v[10:11], v[130:131], v[136:137], -v[138:139]
	s_delay_alu instid0(VALU_DEP_4) | instskip(NEXT) | instid1(VALU_DEP_4)
	v_add_f64_e32 v[4:5], v[6:7], v[4:5]
	v_add_f64_e32 v[2:3], v[8:9], v[2:3]
	s_delay_alu instid0(VALU_DEP_2) | instskip(NEXT) | instid1(VALU_DEP_2)
	v_add_f64_e32 v[4:5], v[4:5], v[10:11]
	v_add_f64_e32 v[6:7], v[2:3], v[134:135]
	s_delay_alu instid0(VALU_DEP_2) | instskip(NEXT) | instid1(VALU_DEP_2)
	v_add_f64_e64 v[2:3], v[172:173], -v[4:5]
	v_add_f64_e64 v[4:5], v[174:175], -v[6:7]
	scratch_store_b128 off, v[2:5], off offset:192
	s_wait_xcnt 0x0
	v_cmpx_lt_u32_e32 11, v1
	s_cbranch_execz .LBB120_333
; %bb.332:
	scratch_load_b128 v[2:5], off, s62
	v_mov_b32_e32 v6, 0
	s_delay_alu instid0(VALU_DEP_1)
	v_dual_mov_b32 v7, v6 :: v_dual_mov_b32 v8, v6
	v_mov_b32_e32 v9, v6
	scratch_store_b128 off, v[6:9], off offset:176
	s_wait_loadcnt 0x0
	ds_store_b128 v12, v[2:5]
.LBB120_333:
	s_wait_xcnt 0x0
	s_or_b32 exec_lo, exec_lo, s2
	s_wait_storecnt_dscnt 0x0
	s_barrier_signal -1
	s_barrier_wait -1
	s_clause 0x9
	scratch_load_b128 v[4:7], off, off offset:192
	scratch_load_b128 v[8:11], off, off offset:208
	scratch_load_b128 v[128:131], off, off offset:224
	scratch_load_b128 v[132:135], off, off offset:240
	scratch_load_b128 v[136:139], off, off offset:256
	scratch_load_b128 v[140:143], off, off offset:272
	scratch_load_b128 v[144:147], off, off offset:288
	scratch_load_b128 v[148:151], off, off offset:304
	scratch_load_b128 v[152:155], off, off offset:320
	scratch_load_b128 v[156:159], off, off offset:336
	v_mov_b32_e32 v2, 0
	s_mov_b32 s2, exec_lo
	ds_load_b128 v[160:163], v2 offset:1104
	s_clause 0x2
	scratch_load_b128 v[164:167], off, off offset:352
	scratch_load_b128 v[168:171], off, off offset:176
	;; [unrolled: 1-line block ×3, first 2 shown]
	s_wait_loadcnt_dscnt 0xc00
	v_mul_f64_e32 v[180:181], v[162:163], v[6:7]
	v_mul_f64_e32 v[184:185], v[160:161], v[6:7]
	ds_load_b128 v[172:175], v2 offset:1120
	v_fma_f64 v[188:189], v[160:161], v[4:5], -v[180:181]
	v_fmac_f64_e32 v[184:185], v[162:163], v[4:5]
	ds_load_b128 v[4:7], v2 offset:1136
	s_wait_loadcnt_dscnt 0xb01
	v_mul_f64_e32 v[186:187], v[172:173], v[10:11]
	v_mul_f64_e32 v[10:11], v[174:175], v[10:11]
	scratch_load_b128 v[160:163], off, off offset:384
	ds_load_b128 v[180:183], v2 offset:1152
	s_wait_loadcnt_dscnt 0xb01
	v_mul_f64_e32 v[190:191], v[4:5], v[130:131]
	v_mul_f64_e32 v[130:131], v[6:7], v[130:131]
	v_add_f64_e32 v[184:185], 0, v[184:185]
	v_fmac_f64_e32 v[186:187], v[174:175], v[8:9]
	v_fma_f64 v[172:173], v[172:173], v[8:9], -v[10:11]
	v_add_f64_e32 v[174:175], 0, v[188:189]
	scratch_load_b128 v[8:11], off, off offset:400
	v_fmac_f64_e32 v[190:191], v[6:7], v[128:129]
	v_fma_f64 v[192:193], v[4:5], v[128:129], -v[130:131]
	ds_load_b128 v[4:7], v2 offset:1168
	s_wait_loadcnt_dscnt 0xb01
	v_mul_f64_e32 v[188:189], v[180:181], v[134:135]
	v_mul_f64_e32 v[134:135], v[182:183], v[134:135]
	scratch_load_b128 v[128:131], off, off offset:416
	v_add_f64_e32 v[184:185], v[184:185], v[186:187]
	v_add_f64_e32 v[194:195], v[174:175], v[172:173]
	ds_load_b128 v[172:175], v2 offset:1184
	s_wait_loadcnt_dscnt 0xb01
	v_mul_f64_e32 v[186:187], v[4:5], v[138:139]
	v_mul_f64_e32 v[138:139], v[6:7], v[138:139]
	v_fmac_f64_e32 v[188:189], v[182:183], v[132:133]
	v_fma_f64 v[180:181], v[180:181], v[132:133], -v[134:135]
	scratch_load_b128 v[132:135], off, off offset:432
	v_add_f64_e32 v[184:185], v[184:185], v[190:191]
	v_add_f64_e32 v[182:183], v[194:195], v[192:193]
	v_fmac_f64_e32 v[186:187], v[6:7], v[136:137]
	v_fma_f64 v[192:193], v[4:5], v[136:137], -v[138:139]
	ds_load_b128 v[4:7], v2 offset:1200
	s_wait_loadcnt_dscnt 0xb01
	v_mul_f64_e32 v[190:191], v[172:173], v[142:143]
	v_mul_f64_e32 v[142:143], v[174:175], v[142:143]
	scratch_load_b128 v[136:139], off, off offset:448
	v_add_f64_e32 v[184:185], v[184:185], v[188:189]
	s_wait_loadcnt_dscnt 0xb00
	v_mul_f64_e32 v[188:189], v[4:5], v[146:147]
	v_add_f64_e32 v[194:195], v[182:183], v[180:181]
	v_mul_f64_e32 v[146:147], v[6:7], v[146:147]
	ds_load_b128 v[180:183], v2 offset:1216
	v_fmac_f64_e32 v[190:191], v[174:175], v[140:141]
	v_fma_f64 v[172:173], v[172:173], v[140:141], -v[142:143]
	scratch_load_b128 v[140:143], off, off offset:464
	v_add_f64_e32 v[184:185], v[184:185], v[186:187]
	v_fmac_f64_e32 v[188:189], v[6:7], v[144:145]
	v_add_f64_e32 v[174:175], v[194:195], v[192:193]
	v_fma_f64 v[192:193], v[4:5], v[144:145], -v[146:147]
	ds_load_b128 v[4:7], v2 offset:1232
	s_wait_loadcnt_dscnt 0xb01
	v_mul_f64_e32 v[186:187], v[180:181], v[150:151]
	v_mul_f64_e32 v[150:151], v[182:183], v[150:151]
	scratch_load_b128 v[144:147], off, off offset:480
	v_add_f64_e32 v[184:185], v[184:185], v[190:191]
	s_wait_loadcnt_dscnt 0xb00
	v_mul_f64_e32 v[190:191], v[4:5], v[154:155]
	v_add_f64_e32 v[194:195], v[174:175], v[172:173]
	v_mul_f64_e32 v[154:155], v[6:7], v[154:155]
	ds_load_b128 v[172:175], v2 offset:1248
	v_fmac_f64_e32 v[186:187], v[182:183], v[148:149]
	v_fma_f64 v[180:181], v[180:181], v[148:149], -v[150:151]
	scratch_load_b128 v[148:151], off, off offset:496
	v_add_f64_e32 v[184:185], v[184:185], v[188:189]
	v_fmac_f64_e32 v[190:191], v[6:7], v[152:153]
	v_add_f64_e32 v[182:183], v[194:195], v[192:193]
	;; [unrolled: 18-line block ×3, first 2 shown]
	v_fma_f64 v[192:193], v[4:5], v[164:165], -v[166:167]
	ds_load_b128 v[4:7], v2 offset:1296
	s_wait_loadcnt_dscnt 0xa01
	v_mul_f64_e32 v[190:191], v[180:181], v[178:179]
	v_mul_f64_e32 v[178:179], v[182:183], v[178:179]
	scratch_load_b128 v[164:167], off, off offset:544
	v_add_f64_e32 v[184:185], v[184:185], v[188:189]
	v_add_f64_e32 v[194:195], v[174:175], v[172:173]
	s_wait_loadcnt_dscnt 0xa00
	v_mul_f64_e32 v[188:189], v[4:5], v[162:163]
	v_mul_f64_e32 v[162:163], v[6:7], v[162:163]
	v_fmac_f64_e32 v[190:191], v[182:183], v[176:177]
	v_fma_f64 v[180:181], v[180:181], v[176:177], -v[178:179]
	ds_load_b128 v[172:175], v2 offset:1312
	scratch_load_b128 v[176:179], off, off offset:560
	v_add_f64_e32 v[184:185], v[184:185], v[186:187]
	v_add_f64_e32 v[182:183], v[194:195], v[192:193]
	v_fmac_f64_e32 v[188:189], v[6:7], v[160:161]
	v_fma_f64 v[192:193], v[4:5], v[160:161], -v[162:163]
	ds_load_b128 v[4:7], v2 offset:1328
	s_wait_loadcnt_dscnt 0xa01
	v_mul_f64_e32 v[186:187], v[172:173], v[10:11]
	v_mul_f64_e32 v[10:11], v[174:175], v[10:11]
	scratch_load_b128 v[160:163], off, off offset:576
	v_add_f64_e32 v[184:185], v[184:185], v[190:191]
	s_wait_loadcnt_dscnt 0xa00
	v_mul_f64_e32 v[190:191], v[4:5], v[130:131]
	v_add_f64_e32 v[194:195], v[182:183], v[180:181]
	v_mul_f64_e32 v[130:131], v[6:7], v[130:131]
	ds_load_b128 v[180:183], v2 offset:1344
	v_fmac_f64_e32 v[186:187], v[174:175], v[8:9]
	v_fma_f64 v[172:173], v[172:173], v[8:9], -v[10:11]
	scratch_load_b128 v[8:11], off, off offset:592
	v_add_f64_e32 v[184:185], v[184:185], v[188:189]
	v_fmac_f64_e32 v[190:191], v[6:7], v[128:129]
	v_add_f64_e32 v[174:175], v[194:195], v[192:193]
	v_fma_f64 v[192:193], v[4:5], v[128:129], -v[130:131]
	ds_load_b128 v[4:7], v2 offset:1360
	s_wait_loadcnt_dscnt 0xa01
	v_mul_f64_e32 v[188:189], v[180:181], v[134:135]
	v_mul_f64_e32 v[134:135], v[182:183], v[134:135]
	scratch_load_b128 v[128:131], off, off offset:608
	v_add_f64_e32 v[184:185], v[184:185], v[186:187]
	s_wait_loadcnt_dscnt 0xa00
	v_mul_f64_e32 v[186:187], v[4:5], v[138:139]
	v_add_f64_e32 v[194:195], v[174:175], v[172:173]
	v_mul_f64_e32 v[138:139], v[6:7], v[138:139]
	ds_load_b128 v[172:175], v2 offset:1376
	v_fmac_f64_e32 v[188:189], v[182:183], v[132:133]
	v_fma_f64 v[180:181], v[180:181], v[132:133], -v[134:135]
	scratch_load_b128 v[132:135], off, off offset:624
	v_add_f64_e32 v[184:185], v[184:185], v[190:191]
	v_fmac_f64_e32 v[186:187], v[6:7], v[136:137]
	v_add_f64_e32 v[182:183], v[194:195], v[192:193]
	;; [unrolled: 18-line block ×10, first 2 shown]
	v_fma_f64 v[192:193], v[4:5], v[152:153], -v[154:155]
	ds_load_b128 v[4:7], v2 offset:1648
	s_wait_loadcnt_dscnt 0xa01
	v_mul_f64_e32 v[188:189], v[172:173], v[158:159]
	v_mul_f64_e32 v[158:159], v[174:175], v[158:159]
	scratch_load_b128 v[152:155], off, off offset:896
	v_add_f64_e32 v[184:185], v[184:185], v[186:187]
	s_wait_loadcnt_dscnt 0xa00
	v_mul_f64_e32 v[186:187], v[4:5], v[166:167]
	v_add_f64_e32 v[194:195], v[182:183], v[180:181]
	v_mul_f64_e32 v[166:167], v[6:7], v[166:167]
	ds_load_b128 v[180:183], v2 offset:1664
	v_fmac_f64_e32 v[188:189], v[174:175], v[156:157]
	v_fma_f64 v[156:157], v[172:173], v[156:157], -v[158:159]
	s_wait_loadcnt_dscnt 0x900
	v_mul_f64_e32 v[174:175], v[180:181], v[178:179]
	v_mul_f64_e32 v[178:179], v[182:183], v[178:179]
	v_add_f64_e32 v[172:173], v[184:185], v[190:191]
	v_fmac_f64_e32 v[186:187], v[6:7], v[164:165]
	v_add_f64_e32 v[158:159], v[194:195], v[192:193]
	v_fma_f64 v[164:165], v[4:5], v[164:165], -v[166:167]
	v_fmac_f64_e32 v[174:175], v[182:183], v[176:177]
	v_fma_f64 v[176:177], v[180:181], v[176:177], -v[178:179]
	v_add_f64_e32 v[172:173], v[172:173], v[188:189]
	v_add_f64_e32 v[166:167], v[158:159], v[156:157]
	ds_load_b128 v[4:7], v2 offset:1680
	ds_load_b128 v[156:159], v2 offset:1696
	s_wait_loadcnt_dscnt 0x801
	v_mul_f64_e32 v[184:185], v[4:5], v[162:163]
	v_mul_f64_e32 v[162:163], v[6:7], v[162:163]
	v_add_f64_e32 v[164:165], v[166:167], v[164:165]
	v_add_f64_e32 v[166:167], v[172:173], v[186:187]
	s_wait_loadcnt_dscnt 0x700
	v_mul_f64_e32 v[172:173], v[156:157], v[10:11]
	v_mul_f64_e32 v[10:11], v[158:159], v[10:11]
	v_fmac_f64_e32 v[184:185], v[6:7], v[160:161]
	v_fma_f64 v[178:179], v[4:5], v[160:161], -v[162:163]
	ds_load_b128 v[4:7], v2 offset:1712
	ds_load_b128 v[160:163], v2 offset:1728
	v_add_f64_e32 v[164:165], v[164:165], v[176:177]
	v_add_f64_e32 v[166:167], v[166:167], v[174:175]
	v_fmac_f64_e32 v[172:173], v[158:159], v[8:9]
	v_fma_f64 v[8:9], v[156:157], v[8:9], -v[10:11]
	s_wait_loadcnt_dscnt 0x601
	v_mul_f64_e32 v[174:175], v[4:5], v[130:131]
	v_mul_f64_e32 v[130:131], v[6:7], v[130:131]
	s_wait_loadcnt_dscnt 0x500
	v_mul_f64_e32 v[158:159], v[160:161], v[134:135]
	v_mul_f64_e32 v[134:135], v[162:163], v[134:135]
	v_add_f64_e32 v[10:11], v[164:165], v[178:179]
	v_add_f64_e32 v[156:157], v[166:167], v[184:185]
	v_fmac_f64_e32 v[174:175], v[6:7], v[128:129]
	v_fma_f64 v[128:129], v[4:5], v[128:129], -v[130:131]
	v_fmac_f64_e32 v[158:159], v[162:163], v[132:133]
	v_fma_f64 v[132:133], v[160:161], v[132:133], -v[134:135]
	v_add_f64_e32 v[130:131], v[10:11], v[8:9]
	v_add_f64_e32 v[156:157], v[156:157], v[172:173]
	ds_load_b128 v[4:7], v2 offset:1744
	ds_load_b128 v[8:11], v2 offset:1760
	s_wait_loadcnt_dscnt 0x401
	v_mul_f64_e32 v[164:165], v[4:5], v[138:139]
	v_mul_f64_e32 v[138:139], v[6:7], v[138:139]
	s_wait_loadcnt_dscnt 0x300
	v_mul_f64_e32 v[134:135], v[8:9], v[142:143]
	v_mul_f64_e32 v[142:143], v[10:11], v[142:143]
	v_add_f64_e32 v[128:129], v[130:131], v[128:129]
	v_add_f64_e32 v[130:131], v[156:157], v[174:175]
	v_fmac_f64_e32 v[164:165], v[6:7], v[136:137]
	v_fma_f64 v[136:137], v[4:5], v[136:137], -v[138:139]
	v_fmac_f64_e32 v[134:135], v[10:11], v[140:141]
	v_fma_f64 v[8:9], v[8:9], v[140:141], -v[142:143]
	v_add_f64_e32 v[132:133], v[128:129], v[132:133]
	v_add_f64_e32 v[138:139], v[130:131], v[158:159]
	ds_load_b128 v[4:7], v2 offset:1776
	ds_load_b128 v[128:131], v2 offset:1792
	s_wait_loadcnt_dscnt 0x201
	v_mul_f64_e32 v[156:157], v[4:5], v[146:147]
	v_mul_f64_e32 v[146:147], v[6:7], v[146:147]
	v_add_f64_e32 v[10:11], v[132:133], v[136:137]
	v_add_f64_e32 v[132:133], v[138:139], v[164:165]
	s_wait_loadcnt_dscnt 0x100
	v_mul_f64_e32 v[136:137], v[128:129], v[150:151]
	v_mul_f64_e32 v[138:139], v[130:131], v[150:151]
	v_fmac_f64_e32 v[156:157], v[6:7], v[144:145]
	v_fma_f64 v[140:141], v[4:5], v[144:145], -v[146:147]
	ds_load_b128 v[4:7], v2 offset:1808
	v_add_f64_e32 v[8:9], v[10:11], v[8:9]
	v_add_f64_e32 v[10:11], v[132:133], v[134:135]
	v_fmac_f64_e32 v[136:137], v[130:131], v[148:149]
	v_fma_f64 v[128:129], v[128:129], v[148:149], -v[138:139]
	s_wait_loadcnt_dscnt 0x0
	v_mul_f64_e32 v[132:133], v[4:5], v[154:155]
	v_mul_f64_e32 v[134:135], v[6:7], v[154:155]
	v_add_f64_e32 v[8:9], v[8:9], v[140:141]
	v_add_f64_e32 v[10:11], v[10:11], v[156:157]
	s_delay_alu instid0(VALU_DEP_4) | instskip(NEXT) | instid1(VALU_DEP_4)
	v_fmac_f64_e32 v[132:133], v[6:7], v[152:153]
	v_fma_f64 v[4:5], v[4:5], v[152:153], -v[134:135]
	s_delay_alu instid0(VALU_DEP_4) | instskip(NEXT) | instid1(VALU_DEP_4)
	v_add_f64_e32 v[6:7], v[8:9], v[128:129]
	v_add_f64_e32 v[8:9], v[10:11], v[136:137]
	s_delay_alu instid0(VALU_DEP_2) | instskip(NEXT) | instid1(VALU_DEP_2)
	v_add_f64_e32 v[4:5], v[6:7], v[4:5]
	v_add_f64_e32 v[6:7], v[8:9], v[132:133]
	s_delay_alu instid0(VALU_DEP_2) | instskip(NEXT) | instid1(VALU_DEP_2)
	v_add_f64_e64 v[4:5], v[168:169], -v[4:5]
	v_add_f64_e64 v[6:7], v[170:171], -v[6:7]
	scratch_store_b128 off, v[4:7], off offset:176
	s_wait_xcnt 0x0
	v_cmpx_lt_u32_e32 10, v1
	s_cbranch_execz .LBB120_335
; %bb.334:
	scratch_load_b128 v[6:9], off, s63
	v_dual_mov_b32 v3, v2 :: v_dual_mov_b32 v4, v2
	v_mov_b32_e32 v5, v2
	scratch_store_b128 off, v[2:5], off offset:160
	s_wait_loadcnt 0x0
	ds_store_b128 v12, v[6:9]
.LBB120_335:
	s_wait_xcnt 0x0
	s_or_b32 exec_lo, exec_lo, s2
	s_wait_storecnt_dscnt 0x0
	s_barrier_signal -1
	s_barrier_wait -1
	s_clause 0x9
	scratch_load_b128 v[4:7], off, off offset:176
	scratch_load_b128 v[8:11], off, off offset:192
	;; [unrolled: 1-line block ×10, first 2 shown]
	ds_load_b128 v[160:163], v2 offset:1088
	ds_load_b128 v[168:171], v2 offset:1104
	s_clause 0x2
	scratch_load_b128 v[164:167], off, off offset:336
	scratch_load_b128 v[172:175], off, off offset:160
	scratch_load_b128 v[176:179], off, off offset:352
	s_mov_b32 s2, exec_lo
	s_wait_loadcnt_dscnt 0xc01
	v_mul_f64_e32 v[180:181], v[162:163], v[6:7]
	v_mul_f64_e32 v[184:185], v[160:161], v[6:7]
	s_wait_loadcnt_dscnt 0xb00
	v_mul_f64_e32 v[186:187], v[168:169], v[10:11]
	v_mul_f64_e32 v[10:11], v[170:171], v[10:11]
	s_delay_alu instid0(VALU_DEP_4) | instskip(NEXT) | instid1(VALU_DEP_4)
	v_fma_f64 v[188:189], v[160:161], v[4:5], -v[180:181]
	v_fmac_f64_e32 v[184:185], v[162:163], v[4:5]
	ds_load_b128 v[4:7], v2 offset:1120
	ds_load_b128 v[160:163], v2 offset:1136
	scratch_load_b128 v[180:183], off, off offset:368
	v_fmac_f64_e32 v[186:187], v[170:171], v[8:9]
	v_fma_f64 v[168:169], v[168:169], v[8:9], -v[10:11]
	scratch_load_b128 v[8:11], off, off offset:384
	s_wait_loadcnt_dscnt 0xc01
	v_mul_f64_e32 v[190:191], v[4:5], v[130:131]
	v_mul_f64_e32 v[130:131], v[6:7], v[130:131]
	v_add_f64_e32 v[170:171], 0, v[188:189]
	v_add_f64_e32 v[184:185], 0, v[184:185]
	s_wait_loadcnt_dscnt 0xb00
	v_mul_f64_e32 v[188:189], v[160:161], v[134:135]
	v_mul_f64_e32 v[134:135], v[162:163], v[134:135]
	v_fmac_f64_e32 v[190:191], v[6:7], v[128:129]
	v_fma_f64 v[192:193], v[4:5], v[128:129], -v[130:131]
	ds_load_b128 v[4:7], v2 offset:1152
	ds_load_b128 v[128:131], v2 offset:1168
	v_add_f64_e32 v[194:195], v[170:171], v[168:169]
	v_add_f64_e32 v[184:185], v[184:185], v[186:187]
	scratch_load_b128 v[168:171], off, off offset:400
	v_fmac_f64_e32 v[188:189], v[162:163], v[132:133]
	v_fma_f64 v[160:161], v[160:161], v[132:133], -v[134:135]
	scratch_load_b128 v[132:135], off, off offset:416
	s_wait_loadcnt_dscnt 0xc01
	v_mul_f64_e32 v[186:187], v[4:5], v[138:139]
	v_mul_f64_e32 v[138:139], v[6:7], v[138:139]
	v_add_f64_e32 v[162:163], v[194:195], v[192:193]
	v_add_f64_e32 v[184:185], v[184:185], v[190:191]
	s_wait_loadcnt_dscnt 0xb00
	v_mul_f64_e32 v[190:191], v[128:129], v[142:143]
	v_mul_f64_e32 v[142:143], v[130:131], v[142:143]
	v_fmac_f64_e32 v[186:187], v[6:7], v[136:137]
	v_fma_f64 v[192:193], v[4:5], v[136:137], -v[138:139]
	ds_load_b128 v[4:7], v2 offset:1184
	ds_load_b128 v[136:139], v2 offset:1200
	v_add_f64_e32 v[194:195], v[162:163], v[160:161]
	v_add_f64_e32 v[184:185], v[184:185], v[188:189]
	scratch_load_b128 v[160:163], off, off offset:432
	s_wait_loadcnt_dscnt 0xb01
	v_mul_f64_e32 v[188:189], v[4:5], v[146:147]
	v_mul_f64_e32 v[146:147], v[6:7], v[146:147]
	v_fmac_f64_e32 v[190:191], v[130:131], v[140:141]
	v_fma_f64 v[140:141], v[128:129], v[140:141], -v[142:143]
	scratch_load_b128 v[128:131], off, off offset:448
	v_add_f64_e32 v[142:143], v[194:195], v[192:193]
	v_add_f64_e32 v[184:185], v[184:185], v[186:187]
	s_wait_loadcnt_dscnt 0xb00
	v_mul_f64_e32 v[186:187], v[136:137], v[150:151]
	v_mul_f64_e32 v[150:151], v[138:139], v[150:151]
	v_fmac_f64_e32 v[188:189], v[6:7], v[144:145]
	v_fma_f64 v[192:193], v[4:5], v[144:145], -v[146:147]
	v_add_f64_e32 v[194:195], v[142:143], v[140:141]
	v_add_f64_e32 v[184:185], v[184:185], v[190:191]
	ds_load_b128 v[4:7], v2 offset:1216
	ds_load_b128 v[140:143], v2 offset:1232
	scratch_load_b128 v[144:147], off, off offset:464
	v_fmac_f64_e32 v[186:187], v[138:139], v[148:149]
	v_fma_f64 v[148:149], v[136:137], v[148:149], -v[150:151]
	scratch_load_b128 v[136:139], off, off offset:480
	s_wait_loadcnt_dscnt 0xc01
	v_mul_f64_e32 v[190:191], v[4:5], v[154:155]
	v_mul_f64_e32 v[154:155], v[6:7], v[154:155]
	v_add_f64_e32 v[150:151], v[194:195], v[192:193]
	v_add_f64_e32 v[184:185], v[184:185], v[188:189]
	s_wait_loadcnt_dscnt 0xb00
	v_mul_f64_e32 v[188:189], v[140:141], v[158:159]
	v_mul_f64_e32 v[158:159], v[142:143], v[158:159]
	v_fmac_f64_e32 v[190:191], v[6:7], v[152:153]
	v_fma_f64 v[192:193], v[4:5], v[152:153], -v[154:155]
	v_add_f64_e32 v[194:195], v[150:151], v[148:149]
	v_add_f64_e32 v[184:185], v[184:185], v[186:187]
	ds_load_b128 v[4:7], v2 offset:1248
	ds_load_b128 v[148:151], v2 offset:1264
	scratch_load_b128 v[152:155], off, off offset:496
	v_fmac_f64_e32 v[188:189], v[142:143], v[156:157]
	v_fma_f64 v[156:157], v[140:141], v[156:157], -v[158:159]
	scratch_load_b128 v[140:143], off, off offset:512
	s_wait_loadcnt_dscnt 0xc01
	v_mul_f64_e32 v[186:187], v[4:5], v[166:167]
	v_mul_f64_e32 v[166:167], v[6:7], v[166:167]
	;; [unrolled: 18-line block ×5, first 2 shown]
	v_add_f64_e32 v[178:179], v[194:195], v[192:193]
	v_add_f64_e32 v[184:185], v[184:185], v[190:191]
	s_wait_loadcnt_dscnt 0xa00
	v_mul_f64_e32 v[190:191], v[156:157], v[130:131]
	v_mul_f64_e32 v[130:131], v[158:159], v[130:131]
	v_fmac_f64_e32 v[186:187], v[6:7], v[160:161]
	v_fma_f64 v[192:193], v[4:5], v[160:161], -v[162:163]
	ds_load_b128 v[4:7], v2 offset:1376
	ds_load_b128 v[160:163], v2 offset:1392
	v_add_f64_e32 v[194:195], v[178:179], v[176:177]
	v_add_f64_e32 v[184:185], v[184:185], v[188:189]
	scratch_load_b128 v[176:179], off, off offset:624
	v_fmac_f64_e32 v[190:191], v[158:159], v[128:129]
	v_fma_f64 v[156:157], v[156:157], v[128:129], -v[130:131]
	scratch_load_b128 v[128:131], off, off offset:640
	s_wait_loadcnt_dscnt 0xb01
	v_mul_f64_e32 v[188:189], v[4:5], v[146:147]
	v_mul_f64_e32 v[146:147], v[6:7], v[146:147]
	v_add_f64_e32 v[158:159], v[194:195], v[192:193]
	v_add_f64_e32 v[184:185], v[184:185], v[186:187]
	s_wait_loadcnt_dscnt 0xa00
	v_mul_f64_e32 v[186:187], v[160:161], v[138:139]
	v_mul_f64_e32 v[138:139], v[162:163], v[138:139]
	v_fmac_f64_e32 v[188:189], v[6:7], v[144:145]
	v_fma_f64 v[192:193], v[4:5], v[144:145], -v[146:147]
	ds_load_b128 v[4:7], v2 offset:1408
	ds_load_b128 v[144:147], v2 offset:1424
	v_add_f64_e32 v[194:195], v[158:159], v[156:157]
	v_add_f64_e32 v[184:185], v[184:185], v[190:191]
	scratch_load_b128 v[156:159], off, off offset:656
	s_wait_loadcnt_dscnt 0xa01
	v_mul_f64_e32 v[190:191], v[4:5], v[154:155]
	v_mul_f64_e32 v[154:155], v[6:7], v[154:155]
	v_fmac_f64_e32 v[186:187], v[162:163], v[136:137]
	v_fma_f64 v[160:161], v[160:161], v[136:137], -v[138:139]
	scratch_load_b128 v[136:139], off, off offset:672
	v_add_f64_e32 v[162:163], v[194:195], v[192:193]
	v_add_f64_e32 v[184:185], v[184:185], v[188:189]
	s_wait_loadcnt_dscnt 0xa00
	v_mul_f64_e32 v[188:189], v[144:145], v[142:143]
	v_mul_f64_e32 v[142:143], v[146:147], v[142:143]
	v_fmac_f64_e32 v[190:191], v[6:7], v[152:153]
	v_fma_f64 v[192:193], v[4:5], v[152:153], -v[154:155]
	ds_load_b128 v[4:7], v2 offset:1440
	ds_load_b128 v[152:155], v2 offset:1456
	v_add_f64_e32 v[194:195], v[162:163], v[160:161]
	v_add_f64_e32 v[184:185], v[184:185], v[186:187]
	scratch_load_b128 v[160:163], off, off offset:688
	s_wait_loadcnt_dscnt 0xa01
	v_mul_f64_e32 v[186:187], v[4:5], v[166:167]
	v_mul_f64_e32 v[166:167], v[6:7], v[166:167]
	v_fmac_f64_e32 v[188:189], v[146:147], v[140:141]
	v_fma_f64 v[144:145], v[144:145], v[140:141], -v[142:143]
	scratch_load_b128 v[140:143], off, off offset:704
	v_add_f64_e32 v[146:147], v[194:195], v[192:193]
	v_add_f64_e32 v[184:185], v[184:185], v[190:191]
	s_wait_loadcnt_dscnt 0xa00
	v_mul_f64_e32 v[190:191], v[152:153], v[150:151]
	v_mul_f64_e32 v[150:151], v[154:155], v[150:151]
	v_fmac_f64_e32 v[186:187], v[6:7], v[164:165]
	v_fma_f64 v[192:193], v[4:5], v[164:165], -v[166:167]
	v_add_f64_e32 v[194:195], v[146:147], v[144:145]
	v_add_f64_e32 v[184:185], v[184:185], v[188:189]
	ds_load_b128 v[4:7], v2 offset:1472
	ds_load_b128 v[144:147], v2 offset:1488
	scratch_load_b128 v[164:167], off, off offset:720
	v_fmac_f64_e32 v[190:191], v[154:155], v[148:149]
	v_fma_f64 v[152:153], v[152:153], v[148:149], -v[150:151]
	scratch_load_b128 v[148:151], off, off offset:736
	s_wait_loadcnt_dscnt 0xb01
	v_mul_f64_e32 v[188:189], v[4:5], v[182:183]
	v_mul_f64_e32 v[182:183], v[6:7], v[182:183]
	v_add_f64_e32 v[154:155], v[194:195], v[192:193]
	v_add_f64_e32 v[184:185], v[184:185], v[186:187]
	s_wait_loadcnt_dscnt 0xa00
	v_mul_f64_e32 v[186:187], v[144:145], v[10:11]
	v_mul_f64_e32 v[10:11], v[146:147], v[10:11]
	v_fmac_f64_e32 v[188:189], v[6:7], v[180:181]
	v_fma_f64 v[192:193], v[4:5], v[180:181], -v[182:183]
	v_add_f64_e32 v[194:195], v[154:155], v[152:153]
	v_add_f64_e32 v[184:185], v[184:185], v[190:191]
	ds_load_b128 v[4:7], v2 offset:1504
	ds_load_b128 v[152:155], v2 offset:1520
	scratch_load_b128 v[180:183], off, off offset:752
	v_fmac_f64_e32 v[186:187], v[146:147], v[8:9]
	v_fma_f64 v[144:145], v[144:145], v[8:9], -v[10:11]
	scratch_load_b128 v[8:11], off, off offset:768
	s_wait_loadcnt_dscnt 0xb01
	v_mul_f64_e32 v[190:191], v[4:5], v[170:171]
	v_mul_f64_e32 v[170:171], v[6:7], v[170:171]
	;; [unrolled: 18-line block ×6, first 2 shown]
	v_add_f64_e32 v[146:147], v[194:195], v[192:193]
	v_add_f64_e32 v[184:185], v[184:185], v[190:191]
	s_wait_loadcnt_dscnt 0xa00
	v_mul_f64_e32 v[190:191], v[152:153], v[150:151]
	v_mul_f64_e32 v[150:151], v[154:155], v[150:151]
	v_fmac_f64_e32 v[186:187], v[6:7], v[164:165]
	v_fma_f64 v[164:165], v[4:5], v[164:165], -v[166:167]
	v_add_f64_e32 v[166:167], v[146:147], v[144:145]
	v_add_f64_e32 v[184:185], v[184:185], v[188:189]
	ds_load_b128 v[4:7], v2 offset:1664
	ds_load_b128 v[144:147], v2 offset:1680
	v_fmac_f64_e32 v[190:191], v[154:155], v[148:149]
	v_fma_f64 v[148:149], v[152:153], v[148:149], -v[150:151]
	s_wait_loadcnt_dscnt 0x901
	v_mul_f64_e32 v[188:189], v[4:5], v[182:183]
	v_mul_f64_e32 v[182:183], v[6:7], v[182:183]
	s_wait_loadcnt_dscnt 0x800
	v_mul_f64_e32 v[154:155], v[144:145], v[10:11]
	v_mul_f64_e32 v[10:11], v[146:147], v[10:11]
	v_add_f64_e32 v[150:151], v[166:167], v[164:165]
	v_add_f64_e32 v[152:153], v[184:185], v[186:187]
	v_fmac_f64_e32 v[188:189], v[6:7], v[180:181]
	v_fma_f64 v[164:165], v[4:5], v[180:181], -v[182:183]
	v_fmac_f64_e32 v[154:155], v[146:147], v[8:9]
	v_fma_f64 v[8:9], v[144:145], v[8:9], -v[10:11]
	v_add_f64_e32 v[166:167], v[150:151], v[148:149]
	v_add_f64_e32 v[152:153], v[152:153], v[190:191]
	ds_load_b128 v[4:7], v2 offset:1696
	ds_load_b128 v[148:151], v2 offset:1712
	s_wait_loadcnt_dscnt 0x701
	v_mul_f64_e32 v[180:181], v[4:5], v[170:171]
	v_mul_f64_e32 v[170:171], v[6:7], v[170:171]
	s_wait_loadcnt_dscnt 0x600
	v_mul_f64_e32 v[146:147], v[148:149], v[134:135]
	v_mul_f64_e32 v[134:135], v[150:151], v[134:135]
	v_add_f64_e32 v[10:11], v[166:167], v[164:165]
	v_add_f64_e32 v[144:145], v[152:153], v[188:189]
	v_fmac_f64_e32 v[180:181], v[6:7], v[168:169]
	v_fma_f64 v[152:153], v[4:5], v[168:169], -v[170:171]
	v_fmac_f64_e32 v[146:147], v[150:151], v[132:133]
	v_fma_f64 v[132:133], v[148:149], v[132:133], -v[134:135]
	v_add_f64_e32 v[164:165], v[10:11], v[8:9]
	v_add_f64_e32 v[144:145], v[144:145], v[154:155]
	ds_load_b128 v[4:7], v2 offset:1728
	ds_load_b128 v[8:11], v2 offset:1744
	;; [unrolled: 16-line block ×3, first 2 shown]
	s_wait_loadcnt_dscnt 0x301
	v_mul_f64_e32 v[146:147], v[4:5], v[158:159]
	v_mul_f64_e32 v[158:159], v[6:7], v[158:159]
	v_add_f64_e32 v[10:11], v[134:135], v[152:153]
	v_add_f64_e32 v[128:129], v[144:145], v[154:155]
	s_wait_loadcnt_dscnt 0x200
	v_mul_f64_e32 v[134:135], v[130:131], v[138:139]
	v_mul_f64_e32 v[138:139], v[132:133], v[138:139]
	v_fmac_f64_e32 v[146:147], v[6:7], v[156:157]
	v_fma_f64 v[144:145], v[4:5], v[156:157], -v[158:159]
	v_add_f64_e32 v[150:151], v[10:11], v[8:9]
	v_add_f64_e32 v[128:129], v[128:129], v[148:149]
	ds_load_b128 v[4:7], v2 offset:1792
	ds_load_b128 v[8:11], v2 offset:1808
	v_fmac_f64_e32 v[134:135], v[132:133], v[136:137]
	v_fma_f64 v[130:131], v[130:131], v[136:137], -v[138:139]
	s_wait_loadcnt_dscnt 0x101
	v_mul_f64_e32 v[2:3], v[4:5], v[162:163]
	v_mul_f64_e32 v[148:149], v[6:7], v[162:163]
	s_wait_loadcnt_dscnt 0x0
	v_mul_f64_e32 v[136:137], v[8:9], v[142:143]
	v_mul_f64_e32 v[138:139], v[10:11], v[142:143]
	v_add_f64_e32 v[132:133], v[150:151], v[144:145]
	v_add_f64_e32 v[128:129], v[128:129], v[146:147]
	v_fmac_f64_e32 v[2:3], v[6:7], v[160:161]
	v_fma_f64 v[4:5], v[4:5], v[160:161], -v[148:149]
	v_fmac_f64_e32 v[136:137], v[10:11], v[140:141]
	v_fma_f64 v[8:9], v[8:9], v[140:141], -v[138:139]
	v_add_f64_e32 v[6:7], v[132:133], v[130:131]
	v_add_f64_e32 v[128:129], v[128:129], v[134:135]
	s_delay_alu instid0(VALU_DEP_2) | instskip(NEXT) | instid1(VALU_DEP_2)
	v_add_f64_e32 v[4:5], v[6:7], v[4:5]
	v_add_f64_e32 v[2:3], v[128:129], v[2:3]
	s_delay_alu instid0(VALU_DEP_2) | instskip(NEXT) | instid1(VALU_DEP_2)
	;; [unrolled: 3-line block ×3, first 2 shown]
	v_add_f64_e64 v[2:3], v[172:173], -v[4:5]
	v_add_f64_e64 v[4:5], v[174:175], -v[6:7]
	scratch_store_b128 off, v[2:5], off offset:160
	s_wait_xcnt 0x0
	v_cmpx_lt_u32_e32 9, v1
	s_cbranch_execz .LBB120_337
; %bb.336:
	scratch_load_b128 v[2:5], off, s64
	v_mov_b32_e32 v6, 0
	s_delay_alu instid0(VALU_DEP_1)
	v_dual_mov_b32 v7, v6 :: v_dual_mov_b32 v8, v6
	v_mov_b32_e32 v9, v6
	scratch_store_b128 off, v[6:9], off offset:144
	s_wait_loadcnt 0x0
	ds_store_b128 v12, v[2:5]
.LBB120_337:
	s_wait_xcnt 0x0
	s_or_b32 exec_lo, exec_lo, s2
	s_wait_storecnt_dscnt 0x0
	s_barrier_signal -1
	s_barrier_wait -1
	s_clause 0x9
	scratch_load_b128 v[4:7], off, off offset:160
	scratch_load_b128 v[8:11], off, off offset:176
	;; [unrolled: 1-line block ×10, first 2 shown]
	v_mov_b32_e32 v2, 0
	s_mov_b32 s2, exec_lo
	ds_load_b128 v[160:163], v2 offset:1072
	s_clause 0x2
	scratch_load_b128 v[164:167], off, off offset:320
	scratch_load_b128 v[168:171], off, off offset:144
	;; [unrolled: 1-line block ×3, first 2 shown]
	s_wait_loadcnt_dscnt 0xc00
	v_mul_f64_e32 v[180:181], v[162:163], v[6:7]
	v_mul_f64_e32 v[184:185], v[160:161], v[6:7]
	ds_load_b128 v[172:175], v2 offset:1088
	v_fma_f64 v[188:189], v[160:161], v[4:5], -v[180:181]
	v_fmac_f64_e32 v[184:185], v[162:163], v[4:5]
	ds_load_b128 v[4:7], v2 offset:1104
	s_wait_loadcnt_dscnt 0xb01
	v_mul_f64_e32 v[186:187], v[172:173], v[10:11]
	v_mul_f64_e32 v[10:11], v[174:175], v[10:11]
	scratch_load_b128 v[160:163], off, off offset:352
	ds_load_b128 v[180:183], v2 offset:1120
	s_wait_loadcnt_dscnt 0xb01
	v_mul_f64_e32 v[190:191], v[4:5], v[130:131]
	v_mul_f64_e32 v[130:131], v[6:7], v[130:131]
	v_add_f64_e32 v[184:185], 0, v[184:185]
	v_fmac_f64_e32 v[186:187], v[174:175], v[8:9]
	v_fma_f64 v[172:173], v[172:173], v[8:9], -v[10:11]
	v_add_f64_e32 v[174:175], 0, v[188:189]
	scratch_load_b128 v[8:11], off, off offset:368
	v_fmac_f64_e32 v[190:191], v[6:7], v[128:129]
	v_fma_f64 v[192:193], v[4:5], v[128:129], -v[130:131]
	ds_load_b128 v[4:7], v2 offset:1136
	s_wait_loadcnt_dscnt 0xb01
	v_mul_f64_e32 v[188:189], v[180:181], v[134:135]
	v_mul_f64_e32 v[134:135], v[182:183], v[134:135]
	scratch_load_b128 v[128:131], off, off offset:384
	v_add_f64_e32 v[184:185], v[184:185], v[186:187]
	v_add_f64_e32 v[194:195], v[174:175], v[172:173]
	ds_load_b128 v[172:175], v2 offset:1152
	s_wait_loadcnt_dscnt 0xb01
	v_mul_f64_e32 v[186:187], v[4:5], v[138:139]
	v_mul_f64_e32 v[138:139], v[6:7], v[138:139]
	v_fmac_f64_e32 v[188:189], v[182:183], v[132:133]
	v_fma_f64 v[180:181], v[180:181], v[132:133], -v[134:135]
	scratch_load_b128 v[132:135], off, off offset:400
	v_add_f64_e32 v[184:185], v[184:185], v[190:191]
	v_add_f64_e32 v[182:183], v[194:195], v[192:193]
	v_fmac_f64_e32 v[186:187], v[6:7], v[136:137]
	v_fma_f64 v[192:193], v[4:5], v[136:137], -v[138:139]
	ds_load_b128 v[4:7], v2 offset:1168
	s_wait_loadcnt_dscnt 0xb01
	v_mul_f64_e32 v[190:191], v[172:173], v[142:143]
	v_mul_f64_e32 v[142:143], v[174:175], v[142:143]
	scratch_load_b128 v[136:139], off, off offset:416
	v_add_f64_e32 v[184:185], v[184:185], v[188:189]
	s_wait_loadcnt_dscnt 0xb00
	v_mul_f64_e32 v[188:189], v[4:5], v[146:147]
	v_add_f64_e32 v[194:195], v[182:183], v[180:181]
	v_mul_f64_e32 v[146:147], v[6:7], v[146:147]
	ds_load_b128 v[180:183], v2 offset:1184
	v_fmac_f64_e32 v[190:191], v[174:175], v[140:141]
	v_fma_f64 v[172:173], v[172:173], v[140:141], -v[142:143]
	scratch_load_b128 v[140:143], off, off offset:432
	v_add_f64_e32 v[184:185], v[184:185], v[186:187]
	v_fmac_f64_e32 v[188:189], v[6:7], v[144:145]
	v_add_f64_e32 v[174:175], v[194:195], v[192:193]
	v_fma_f64 v[192:193], v[4:5], v[144:145], -v[146:147]
	ds_load_b128 v[4:7], v2 offset:1200
	s_wait_loadcnt_dscnt 0xb01
	v_mul_f64_e32 v[186:187], v[180:181], v[150:151]
	v_mul_f64_e32 v[150:151], v[182:183], v[150:151]
	scratch_load_b128 v[144:147], off, off offset:448
	v_add_f64_e32 v[184:185], v[184:185], v[190:191]
	s_wait_loadcnt_dscnt 0xb00
	v_mul_f64_e32 v[190:191], v[4:5], v[154:155]
	v_add_f64_e32 v[194:195], v[174:175], v[172:173]
	v_mul_f64_e32 v[154:155], v[6:7], v[154:155]
	ds_load_b128 v[172:175], v2 offset:1216
	v_fmac_f64_e32 v[186:187], v[182:183], v[148:149]
	v_fma_f64 v[180:181], v[180:181], v[148:149], -v[150:151]
	scratch_load_b128 v[148:151], off, off offset:464
	v_add_f64_e32 v[184:185], v[184:185], v[188:189]
	v_fmac_f64_e32 v[190:191], v[6:7], v[152:153]
	v_add_f64_e32 v[182:183], v[194:195], v[192:193]
	;; [unrolled: 18-line block ×3, first 2 shown]
	v_fma_f64 v[192:193], v[4:5], v[164:165], -v[166:167]
	ds_load_b128 v[4:7], v2 offset:1264
	s_wait_loadcnt_dscnt 0xa01
	v_mul_f64_e32 v[190:191], v[180:181], v[178:179]
	v_mul_f64_e32 v[178:179], v[182:183], v[178:179]
	scratch_load_b128 v[164:167], off, off offset:512
	v_add_f64_e32 v[184:185], v[184:185], v[188:189]
	v_add_f64_e32 v[194:195], v[174:175], v[172:173]
	s_wait_loadcnt_dscnt 0xa00
	v_mul_f64_e32 v[188:189], v[4:5], v[162:163]
	v_mul_f64_e32 v[162:163], v[6:7], v[162:163]
	v_fmac_f64_e32 v[190:191], v[182:183], v[176:177]
	v_fma_f64 v[180:181], v[180:181], v[176:177], -v[178:179]
	ds_load_b128 v[172:175], v2 offset:1280
	scratch_load_b128 v[176:179], off, off offset:528
	v_add_f64_e32 v[184:185], v[184:185], v[186:187]
	v_add_f64_e32 v[182:183], v[194:195], v[192:193]
	v_fmac_f64_e32 v[188:189], v[6:7], v[160:161]
	v_fma_f64 v[192:193], v[4:5], v[160:161], -v[162:163]
	ds_load_b128 v[4:7], v2 offset:1296
	s_wait_loadcnt_dscnt 0xa01
	v_mul_f64_e32 v[186:187], v[172:173], v[10:11]
	v_mul_f64_e32 v[10:11], v[174:175], v[10:11]
	scratch_load_b128 v[160:163], off, off offset:544
	v_add_f64_e32 v[184:185], v[184:185], v[190:191]
	s_wait_loadcnt_dscnt 0xa00
	v_mul_f64_e32 v[190:191], v[4:5], v[130:131]
	v_add_f64_e32 v[194:195], v[182:183], v[180:181]
	v_mul_f64_e32 v[130:131], v[6:7], v[130:131]
	ds_load_b128 v[180:183], v2 offset:1312
	v_fmac_f64_e32 v[186:187], v[174:175], v[8:9]
	v_fma_f64 v[172:173], v[172:173], v[8:9], -v[10:11]
	scratch_load_b128 v[8:11], off, off offset:560
	v_add_f64_e32 v[184:185], v[184:185], v[188:189]
	v_fmac_f64_e32 v[190:191], v[6:7], v[128:129]
	v_add_f64_e32 v[174:175], v[194:195], v[192:193]
	v_fma_f64 v[192:193], v[4:5], v[128:129], -v[130:131]
	ds_load_b128 v[4:7], v2 offset:1328
	s_wait_loadcnt_dscnt 0xa01
	v_mul_f64_e32 v[188:189], v[180:181], v[134:135]
	v_mul_f64_e32 v[134:135], v[182:183], v[134:135]
	scratch_load_b128 v[128:131], off, off offset:576
	v_add_f64_e32 v[184:185], v[184:185], v[186:187]
	s_wait_loadcnt_dscnt 0xa00
	v_mul_f64_e32 v[186:187], v[4:5], v[138:139]
	v_add_f64_e32 v[194:195], v[174:175], v[172:173]
	v_mul_f64_e32 v[138:139], v[6:7], v[138:139]
	ds_load_b128 v[172:175], v2 offset:1344
	v_fmac_f64_e32 v[188:189], v[182:183], v[132:133]
	v_fma_f64 v[180:181], v[180:181], v[132:133], -v[134:135]
	scratch_load_b128 v[132:135], off, off offset:592
	v_add_f64_e32 v[184:185], v[184:185], v[190:191]
	v_fmac_f64_e32 v[186:187], v[6:7], v[136:137]
	v_add_f64_e32 v[182:183], v[194:195], v[192:193]
	;; [unrolled: 18-line block ×11, first 2 shown]
	v_fma_f64 v[192:193], v[4:5], v[164:165], -v[166:167]
	ds_load_b128 v[4:7], v2 offset:1648
	s_wait_loadcnt_dscnt 0xa01
	v_mul_f64_e32 v[190:191], v[180:181], v[178:179]
	v_mul_f64_e32 v[178:179], v[182:183], v[178:179]
	scratch_load_b128 v[164:167], off, off offset:896
	v_add_f64_e32 v[184:185], v[184:185], v[188:189]
	s_wait_loadcnt_dscnt 0xa00
	v_mul_f64_e32 v[188:189], v[4:5], v[162:163]
	v_add_f64_e32 v[194:195], v[174:175], v[172:173]
	v_mul_f64_e32 v[162:163], v[6:7], v[162:163]
	ds_load_b128 v[172:175], v2 offset:1664
	v_fmac_f64_e32 v[190:191], v[182:183], v[176:177]
	v_fma_f64 v[176:177], v[180:181], v[176:177], -v[178:179]
	s_wait_loadcnt_dscnt 0x900
	v_mul_f64_e32 v[182:183], v[172:173], v[10:11]
	v_mul_f64_e32 v[10:11], v[174:175], v[10:11]
	v_add_f64_e32 v[180:181], v[184:185], v[186:187]
	v_fmac_f64_e32 v[188:189], v[6:7], v[160:161]
	v_add_f64_e32 v[178:179], v[194:195], v[192:193]
	v_fma_f64 v[184:185], v[4:5], v[160:161], -v[162:163]
	ds_load_b128 v[4:7], v2 offset:1680
	ds_load_b128 v[160:163], v2 offset:1696
	v_fmac_f64_e32 v[182:183], v[174:175], v[8:9]
	v_fma_f64 v[8:9], v[172:173], v[8:9], -v[10:11]
	v_add_f64_e32 v[176:177], v[178:179], v[176:177]
	v_add_f64_e32 v[178:179], v[180:181], v[190:191]
	s_wait_loadcnt_dscnt 0x801
	v_mul_f64_e32 v[180:181], v[4:5], v[130:131]
	v_mul_f64_e32 v[130:131], v[6:7], v[130:131]
	s_wait_loadcnt_dscnt 0x700
	v_mul_f64_e32 v[174:175], v[160:161], v[134:135]
	v_mul_f64_e32 v[134:135], v[162:163], v[134:135]
	v_add_f64_e32 v[10:11], v[176:177], v[184:185]
	v_add_f64_e32 v[172:173], v[178:179], v[188:189]
	v_fmac_f64_e32 v[180:181], v[6:7], v[128:129]
	v_fma_f64 v[128:129], v[4:5], v[128:129], -v[130:131]
	v_fmac_f64_e32 v[174:175], v[162:163], v[132:133]
	v_fma_f64 v[132:133], v[160:161], v[132:133], -v[134:135]
	v_add_f64_e32 v[130:131], v[10:11], v[8:9]
	v_add_f64_e32 v[172:173], v[172:173], v[182:183]
	ds_load_b128 v[4:7], v2 offset:1712
	ds_load_b128 v[8:11], v2 offset:1728
	s_wait_loadcnt_dscnt 0x601
	v_mul_f64_e32 v[176:177], v[4:5], v[138:139]
	v_mul_f64_e32 v[138:139], v[6:7], v[138:139]
	s_wait_loadcnt_dscnt 0x500
	v_mul_f64_e32 v[134:135], v[8:9], v[142:143]
	v_mul_f64_e32 v[142:143], v[10:11], v[142:143]
	v_add_f64_e32 v[128:129], v[130:131], v[128:129]
	v_add_f64_e32 v[130:131], v[172:173], v[180:181]
	v_fmac_f64_e32 v[176:177], v[6:7], v[136:137]
	v_fma_f64 v[136:137], v[4:5], v[136:137], -v[138:139]
	v_fmac_f64_e32 v[134:135], v[10:11], v[140:141]
	v_fma_f64 v[8:9], v[8:9], v[140:141], -v[142:143]
	v_add_f64_e32 v[132:133], v[128:129], v[132:133]
	v_add_f64_e32 v[138:139], v[130:131], v[174:175]
	ds_load_b128 v[4:7], v2 offset:1744
	ds_load_b128 v[128:131], v2 offset:1760
	s_wait_loadcnt_dscnt 0x401
	v_mul_f64_e32 v[160:161], v[4:5], v[146:147]
	v_mul_f64_e32 v[146:147], v[6:7], v[146:147]
	v_add_f64_e32 v[10:11], v[132:133], v[136:137]
	v_add_f64_e32 v[132:133], v[138:139], v[176:177]
	s_wait_loadcnt_dscnt 0x300
	v_mul_f64_e32 v[136:137], v[128:129], v[150:151]
	v_mul_f64_e32 v[138:139], v[130:131], v[150:151]
	v_fmac_f64_e32 v[160:161], v[6:7], v[144:145]
	v_fma_f64 v[140:141], v[4:5], v[144:145], -v[146:147]
	v_add_f64_e32 v[142:143], v[10:11], v[8:9]
	v_add_f64_e32 v[132:133], v[132:133], v[134:135]
	ds_load_b128 v[4:7], v2 offset:1776
	ds_load_b128 v[8:11], v2 offset:1792
	v_fmac_f64_e32 v[136:137], v[130:131], v[148:149]
	v_fma_f64 v[128:129], v[128:129], v[148:149], -v[138:139]
	s_wait_loadcnt_dscnt 0x201
	v_mul_f64_e32 v[134:135], v[4:5], v[154:155]
	v_mul_f64_e32 v[144:145], v[6:7], v[154:155]
	s_wait_loadcnt_dscnt 0x100
	v_mul_f64_e32 v[138:139], v[8:9], v[158:159]
	v_add_f64_e32 v[130:131], v[142:143], v[140:141]
	v_add_f64_e32 v[132:133], v[132:133], v[160:161]
	v_mul_f64_e32 v[140:141], v[10:11], v[158:159]
	v_fmac_f64_e32 v[134:135], v[6:7], v[152:153]
	v_fma_f64 v[142:143], v[4:5], v[152:153], -v[144:145]
	ds_load_b128 v[4:7], v2 offset:1808
	v_fmac_f64_e32 v[138:139], v[10:11], v[156:157]
	v_add_f64_e32 v[128:129], v[130:131], v[128:129]
	v_add_f64_e32 v[130:131], v[132:133], v[136:137]
	v_fma_f64 v[8:9], v[8:9], v[156:157], -v[140:141]
	s_wait_loadcnt_dscnt 0x0
	v_mul_f64_e32 v[132:133], v[4:5], v[166:167]
	v_mul_f64_e32 v[136:137], v[6:7], v[166:167]
	v_add_f64_e32 v[10:11], v[128:129], v[142:143]
	v_add_f64_e32 v[128:129], v[130:131], v[134:135]
	s_delay_alu instid0(VALU_DEP_4) | instskip(NEXT) | instid1(VALU_DEP_4)
	v_fmac_f64_e32 v[132:133], v[6:7], v[164:165]
	v_fma_f64 v[4:5], v[4:5], v[164:165], -v[136:137]
	s_delay_alu instid0(VALU_DEP_4) | instskip(NEXT) | instid1(VALU_DEP_4)
	v_add_f64_e32 v[6:7], v[10:11], v[8:9]
	v_add_f64_e32 v[8:9], v[128:129], v[138:139]
	s_delay_alu instid0(VALU_DEP_2) | instskip(NEXT) | instid1(VALU_DEP_2)
	v_add_f64_e32 v[4:5], v[6:7], v[4:5]
	v_add_f64_e32 v[6:7], v[8:9], v[132:133]
	s_delay_alu instid0(VALU_DEP_2) | instskip(NEXT) | instid1(VALU_DEP_2)
	v_add_f64_e64 v[4:5], v[168:169], -v[4:5]
	v_add_f64_e64 v[6:7], v[170:171], -v[6:7]
	scratch_store_b128 off, v[4:7], off offset:144
	s_wait_xcnt 0x0
	v_cmpx_lt_u32_e32 8, v1
	s_cbranch_execz .LBB120_339
; %bb.338:
	scratch_load_b128 v[6:9], off, s65
	v_dual_mov_b32 v3, v2 :: v_dual_mov_b32 v4, v2
	v_mov_b32_e32 v5, v2
	scratch_store_b128 off, v[2:5], off offset:128
	s_wait_loadcnt 0x0
	ds_store_b128 v12, v[6:9]
.LBB120_339:
	s_wait_xcnt 0x0
	s_or_b32 exec_lo, exec_lo, s2
	s_wait_storecnt_dscnt 0x0
	s_barrier_signal -1
	s_barrier_wait -1
	s_clause 0x9
	scratch_load_b128 v[4:7], off, off offset:144
	scratch_load_b128 v[8:11], off, off offset:160
	;; [unrolled: 1-line block ×10, first 2 shown]
	ds_load_b128 v[160:163], v2 offset:1056
	ds_load_b128 v[168:171], v2 offset:1072
	s_clause 0x2
	scratch_load_b128 v[164:167], off, off offset:304
	scratch_load_b128 v[172:175], off, off offset:128
	;; [unrolled: 1-line block ×3, first 2 shown]
	s_mov_b32 s2, exec_lo
	s_wait_loadcnt_dscnt 0xc01
	v_mul_f64_e32 v[180:181], v[162:163], v[6:7]
	v_mul_f64_e32 v[184:185], v[160:161], v[6:7]
	s_wait_loadcnt_dscnt 0xb00
	v_mul_f64_e32 v[186:187], v[168:169], v[10:11]
	v_mul_f64_e32 v[10:11], v[170:171], v[10:11]
	s_delay_alu instid0(VALU_DEP_4) | instskip(NEXT) | instid1(VALU_DEP_4)
	v_fma_f64 v[188:189], v[160:161], v[4:5], -v[180:181]
	v_fmac_f64_e32 v[184:185], v[162:163], v[4:5]
	ds_load_b128 v[4:7], v2 offset:1088
	ds_load_b128 v[160:163], v2 offset:1104
	scratch_load_b128 v[180:183], off, off offset:336
	v_fmac_f64_e32 v[186:187], v[170:171], v[8:9]
	v_fma_f64 v[168:169], v[168:169], v[8:9], -v[10:11]
	scratch_load_b128 v[8:11], off, off offset:352
	s_wait_loadcnt_dscnt 0xc01
	v_mul_f64_e32 v[190:191], v[4:5], v[130:131]
	v_mul_f64_e32 v[130:131], v[6:7], v[130:131]
	v_add_f64_e32 v[170:171], 0, v[188:189]
	v_add_f64_e32 v[184:185], 0, v[184:185]
	s_wait_loadcnt_dscnt 0xb00
	v_mul_f64_e32 v[188:189], v[160:161], v[134:135]
	v_mul_f64_e32 v[134:135], v[162:163], v[134:135]
	v_fmac_f64_e32 v[190:191], v[6:7], v[128:129]
	v_fma_f64 v[192:193], v[4:5], v[128:129], -v[130:131]
	ds_load_b128 v[4:7], v2 offset:1120
	ds_load_b128 v[128:131], v2 offset:1136
	v_add_f64_e32 v[194:195], v[170:171], v[168:169]
	v_add_f64_e32 v[184:185], v[184:185], v[186:187]
	scratch_load_b128 v[168:171], off, off offset:368
	v_fmac_f64_e32 v[188:189], v[162:163], v[132:133]
	v_fma_f64 v[160:161], v[160:161], v[132:133], -v[134:135]
	scratch_load_b128 v[132:135], off, off offset:384
	s_wait_loadcnt_dscnt 0xc01
	v_mul_f64_e32 v[186:187], v[4:5], v[138:139]
	v_mul_f64_e32 v[138:139], v[6:7], v[138:139]
	v_add_f64_e32 v[162:163], v[194:195], v[192:193]
	v_add_f64_e32 v[184:185], v[184:185], v[190:191]
	s_wait_loadcnt_dscnt 0xb00
	v_mul_f64_e32 v[190:191], v[128:129], v[142:143]
	v_mul_f64_e32 v[142:143], v[130:131], v[142:143]
	v_fmac_f64_e32 v[186:187], v[6:7], v[136:137]
	v_fma_f64 v[192:193], v[4:5], v[136:137], -v[138:139]
	ds_load_b128 v[4:7], v2 offset:1152
	ds_load_b128 v[136:139], v2 offset:1168
	v_add_f64_e32 v[194:195], v[162:163], v[160:161]
	v_add_f64_e32 v[184:185], v[184:185], v[188:189]
	scratch_load_b128 v[160:163], off, off offset:400
	s_wait_loadcnt_dscnt 0xb01
	v_mul_f64_e32 v[188:189], v[4:5], v[146:147]
	v_mul_f64_e32 v[146:147], v[6:7], v[146:147]
	v_fmac_f64_e32 v[190:191], v[130:131], v[140:141]
	v_fma_f64 v[140:141], v[128:129], v[140:141], -v[142:143]
	scratch_load_b128 v[128:131], off, off offset:416
	v_add_f64_e32 v[142:143], v[194:195], v[192:193]
	v_add_f64_e32 v[184:185], v[184:185], v[186:187]
	s_wait_loadcnt_dscnt 0xb00
	v_mul_f64_e32 v[186:187], v[136:137], v[150:151]
	v_mul_f64_e32 v[150:151], v[138:139], v[150:151]
	v_fmac_f64_e32 v[188:189], v[6:7], v[144:145]
	v_fma_f64 v[192:193], v[4:5], v[144:145], -v[146:147]
	v_add_f64_e32 v[194:195], v[142:143], v[140:141]
	v_add_f64_e32 v[184:185], v[184:185], v[190:191]
	ds_load_b128 v[4:7], v2 offset:1184
	ds_load_b128 v[140:143], v2 offset:1200
	scratch_load_b128 v[144:147], off, off offset:432
	v_fmac_f64_e32 v[186:187], v[138:139], v[148:149]
	v_fma_f64 v[148:149], v[136:137], v[148:149], -v[150:151]
	scratch_load_b128 v[136:139], off, off offset:448
	s_wait_loadcnt_dscnt 0xc01
	v_mul_f64_e32 v[190:191], v[4:5], v[154:155]
	v_mul_f64_e32 v[154:155], v[6:7], v[154:155]
	v_add_f64_e32 v[150:151], v[194:195], v[192:193]
	v_add_f64_e32 v[184:185], v[184:185], v[188:189]
	s_wait_loadcnt_dscnt 0xb00
	v_mul_f64_e32 v[188:189], v[140:141], v[158:159]
	v_mul_f64_e32 v[158:159], v[142:143], v[158:159]
	v_fmac_f64_e32 v[190:191], v[6:7], v[152:153]
	v_fma_f64 v[192:193], v[4:5], v[152:153], -v[154:155]
	v_add_f64_e32 v[194:195], v[150:151], v[148:149]
	v_add_f64_e32 v[184:185], v[184:185], v[186:187]
	ds_load_b128 v[4:7], v2 offset:1216
	ds_load_b128 v[148:151], v2 offset:1232
	scratch_load_b128 v[152:155], off, off offset:464
	v_fmac_f64_e32 v[188:189], v[142:143], v[156:157]
	v_fma_f64 v[156:157], v[140:141], v[156:157], -v[158:159]
	scratch_load_b128 v[140:143], off, off offset:480
	s_wait_loadcnt_dscnt 0xc01
	v_mul_f64_e32 v[186:187], v[4:5], v[166:167]
	v_mul_f64_e32 v[166:167], v[6:7], v[166:167]
	;; [unrolled: 18-line block ×5, first 2 shown]
	v_add_f64_e32 v[178:179], v[194:195], v[192:193]
	v_add_f64_e32 v[184:185], v[184:185], v[190:191]
	s_wait_loadcnt_dscnt 0xa00
	v_mul_f64_e32 v[190:191], v[156:157], v[130:131]
	v_mul_f64_e32 v[130:131], v[158:159], v[130:131]
	v_fmac_f64_e32 v[186:187], v[6:7], v[160:161]
	v_fma_f64 v[192:193], v[4:5], v[160:161], -v[162:163]
	ds_load_b128 v[4:7], v2 offset:1344
	ds_load_b128 v[160:163], v2 offset:1360
	v_add_f64_e32 v[194:195], v[178:179], v[176:177]
	v_add_f64_e32 v[184:185], v[184:185], v[188:189]
	scratch_load_b128 v[176:179], off, off offset:592
	v_fmac_f64_e32 v[190:191], v[158:159], v[128:129]
	v_fma_f64 v[156:157], v[156:157], v[128:129], -v[130:131]
	scratch_load_b128 v[128:131], off, off offset:608
	s_wait_loadcnt_dscnt 0xb01
	v_mul_f64_e32 v[188:189], v[4:5], v[146:147]
	v_mul_f64_e32 v[146:147], v[6:7], v[146:147]
	v_add_f64_e32 v[158:159], v[194:195], v[192:193]
	v_add_f64_e32 v[184:185], v[184:185], v[186:187]
	s_wait_loadcnt_dscnt 0xa00
	v_mul_f64_e32 v[186:187], v[160:161], v[138:139]
	v_mul_f64_e32 v[138:139], v[162:163], v[138:139]
	v_fmac_f64_e32 v[188:189], v[6:7], v[144:145]
	v_fma_f64 v[192:193], v[4:5], v[144:145], -v[146:147]
	ds_load_b128 v[4:7], v2 offset:1376
	ds_load_b128 v[144:147], v2 offset:1392
	v_add_f64_e32 v[194:195], v[158:159], v[156:157]
	v_add_f64_e32 v[184:185], v[184:185], v[190:191]
	scratch_load_b128 v[156:159], off, off offset:624
	s_wait_loadcnt_dscnt 0xa01
	v_mul_f64_e32 v[190:191], v[4:5], v[154:155]
	v_mul_f64_e32 v[154:155], v[6:7], v[154:155]
	v_fmac_f64_e32 v[186:187], v[162:163], v[136:137]
	v_fma_f64 v[160:161], v[160:161], v[136:137], -v[138:139]
	scratch_load_b128 v[136:139], off, off offset:640
	v_add_f64_e32 v[162:163], v[194:195], v[192:193]
	v_add_f64_e32 v[184:185], v[184:185], v[188:189]
	s_wait_loadcnt_dscnt 0xa00
	v_mul_f64_e32 v[188:189], v[144:145], v[142:143]
	v_mul_f64_e32 v[142:143], v[146:147], v[142:143]
	v_fmac_f64_e32 v[190:191], v[6:7], v[152:153]
	v_fma_f64 v[192:193], v[4:5], v[152:153], -v[154:155]
	ds_load_b128 v[4:7], v2 offset:1408
	ds_load_b128 v[152:155], v2 offset:1424
	v_add_f64_e32 v[194:195], v[162:163], v[160:161]
	v_add_f64_e32 v[184:185], v[184:185], v[186:187]
	scratch_load_b128 v[160:163], off, off offset:656
	s_wait_loadcnt_dscnt 0xa01
	v_mul_f64_e32 v[186:187], v[4:5], v[166:167]
	v_mul_f64_e32 v[166:167], v[6:7], v[166:167]
	v_fmac_f64_e32 v[188:189], v[146:147], v[140:141]
	v_fma_f64 v[144:145], v[144:145], v[140:141], -v[142:143]
	scratch_load_b128 v[140:143], off, off offset:672
	v_add_f64_e32 v[146:147], v[194:195], v[192:193]
	v_add_f64_e32 v[184:185], v[184:185], v[190:191]
	s_wait_loadcnt_dscnt 0xa00
	v_mul_f64_e32 v[190:191], v[152:153], v[150:151]
	v_mul_f64_e32 v[150:151], v[154:155], v[150:151]
	v_fmac_f64_e32 v[186:187], v[6:7], v[164:165]
	v_fma_f64 v[192:193], v[4:5], v[164:165], -v[166:167]
	v_add_f64_e32 v[194:195], v[146:147], v[144:145]
	v_add_f64_e32 v[184:185], v[184:185], v[188:189]
	ds_load_b128 v[4:7], v2 offset:1440
	ds_load_b128 v[144:147], v2 offset:1456
	scratch_load_b128 v[164:167], off, off offset:688
	v_fmac_f64_e32 v[190:191], v[154:155], v[148:149]
	v_fma_f64 v[152:153], v[152:153], v[148:149], -v[150:151]
	scratch_load_b128 v[148:151], off, off offset:704
	s_wait_loadcnt_dscnt 0xb01
	v_mul_f64_e32 v[188:189], v[4:5], v[182:183]
	v_mul_f64_e32 v[182:183], v[6:7], v[182:183]
	v_add_f64_e32 v[154:155], v[194:195], v[192:193]
	v_add_f64_e32 v[184:185], v[184:185], v[186:187]
	s_wait_loadcnt_dscnt 0xa00
	v_mul_f64_e32 v[186:187], v[144:145], v[10:11]
	v_mul_f64_e32 v[10:11], v[146:147], v[10:11]
	v_fmac_f64_e32 v[188:189], v[6:7], v[180:181]
	v_fma_f64 v[192:193], v[4:5], v[180:181], -v[182:183]
	v_add_f64_e32 v[194:195], v[154:155], v[152:153]
	v_add_f64_e32 v[184:185], v[184:185], v[190:191]
	ds_load_b128 v[4:7], v2 offset:1472
	ds_load_b128 v[152:155], v2 offset:1488
	scratch_load_b128 v[180:183], off, off offset:720
	v_fmac_f64_e32 v[186:187], v[146:147], v[8:9]
	v_fma_f64 v[144:145], v[144:145], v[8:9], -v[10:11]
	scratch_load_b128 v[8:11], off, off offset:736
	s_wait_loadcnt_dscnt 0xb01
	v_mul_f64_e32 v[190:191], v[4:5], v[170:171]
	v_mul_f64_e32 v[170:171], v[6:7], v[170:171]
	;; [unrolled: 18-line block ×7, first 2 shown]
	v_add_f64_e32 v[154:155], v[194:195], v[192:193]
	v_add_f64_e32 v[184:185], v[184:185], v[186:187]
	s_wait_loadcnt_dscnt 0xa00
	v_mul_f64_e32 v[186:187], v[144:145], v[10:11]
	v_mul_f64_e32 v[10:11], v[146:147], v[10:11]
	v_fmac_f64_e32 v[188:189], v[6:7], v[180:181]
	v_fma_f64 v[180:181], v[4:5], v[180:181], -v[182:183]
	v_add_f64_e32 v[182:183], v[154:155], v[152:153]
	v_add_f64_e32 v[184:185], v[184:185], v[190:191]
	ds_load_b128 v[4:7], v2 offset:1664
	ds_load_b128 v[152:155], v2 offset:1680
	v_fmac_f64_e32 v[186:187], v[146:147], v[8:9]
	v_fma_f64 v[8:9], v[144:145], v[8:9], -v[10:11]
	s_wait_loadcnt_dscnt 0x901
	v_mul_f64_e32 v[190:191], v[4:5], v[170:171]
	v_mul_f64_e32 v[170:171], v[6:7], v[170:171]
	s_wait_loadcnt_dscnt 0x800
	v_mul_f64_e32 v[146:147], v[152:153], v[134:135]
	v_mul_f64_e32 v[134:135], v[154:155], v[134:135]
	v_add_f64_e32 v[10:11], v[182:183], v[180:181]
	v_add_f64_e32 v[144:145], v[184:185], v[188:189]
	v_fmac_f64_e32 v[190:191], v[6:7], v[168:169]
	v_fma_f64 v[168:169], v[4:5], v[168:169], -v[170:171]
	v_fmac_f64_e32 v[146:147], v[154:155], v[132:133]
	v_fma_f64 v[132:133], v[152:153], v[132:133], -v[134:135]
	v_add_f64_e32 v[170:171], v[10:11], v[8:9]
	v_add_f64_e32 v[144:145], v[144:145], v[186:187]
	ds_load_b128 v[4:7], v2 offset:1696
	ds_load_b128 v[8:11], v2 offset:1712
	s_wait_loadcnt_dscnt 0x701
	v_mul_f64_e32 v[180:181], v[4:5], v[178:179]
	v_mul_f64_e32 v[178:179], v[6:7], v[178:179]
	s_wait_loadcnt_dscnt 0x600
	v_mul_f64_e32 v[152:153], v[8:9], v[130:131]
	v_mul_f64_e32 v[154:155], v[10:11], v[130:131]
	v_add_f64_e32 v[134:135], v[170:171], v[168:169]
	v_add_f64_e32 v[144:145], v[144:145], v[190:191]
	v_fmac_f64_e32 v[180:181], v[6:7], v[176:177]
	v_fma_f64 v[168:169], v[4:5], v[176:177], -v[178:179]
	v_fmac_f64_e32 v[152:153], v[10:11], v[128:129]
	v_fma_f64 v[8:9], v[8:9], v[128:129], -v[154:155]
	v_add_f64_e32 v[134:135], v[134:135], v[132:133]
	v_add_f64_e32 v[144:145], v[144:145], v[146:147]
	ds_load_b128 v[4:7], v2 offset:1728
	ds_load_b128 v[130:133], v2 offset:1744
	s_wait_loadcnt_dscnt 0x501
	v_mul_f64_e32 v[146:147], v[4:5], v[158:159]
	v_mul_f64_e32 v[158:159], v[6:7], v[158:159]
	v_add_f64_e32 v[10:11], v[134:135], v[168:169]
	v_add_f64_e32 v[128:129], v[144:145], v[180:181]
	s_wait_loadcnt_dscnt 0x400
	v_mul_f64_e32 v[134:135], v[130:131], v[138:139]
	v_mul_f64_e32 v[138:139], v[132:133], v[138:139]
	v_fmac_f64_e32 v[146:147], v[6:7], v[156:157]
	v_fma_f64 v[144:145], v[4:5], v[156:157], -v[158:159]
	v_add_f64_e32 v[154:155], v[10:11], v[8:9]
	v_add_f64_e32 v[128:129], v[128:129], v[152:153]
	ds_load_b128 v[4:7], v2 offset:1760
	ds_load_b128 v[8:11], v2 offset:1776
	v_fmac_f64_e32 v[134:135], v[132:133], v[136:137]
	v_fma_f64 v[130:131], v[130:131], v[136:137], -v[138:139]
	s_wait_loadcnt_dscnt 0x301
	v_mul_f64_e32 v[152:153], v[4:5], v[162:163]
	v_mul_f64_e32 v[156:157], v[6:7], v[162:163]
	s_wait_loadcnt_dscnt 0x200
	v_mul_f64_e32 v[136:137], v[8:9], v[142:143]
	v_mul_f64_e32 v[138:139], v[10:11], v[142:143]
	v_add_f64_e32 v[132:133], v[154:155], v[144:145]
	v_add_f64_e32 v[128:129], v[128:129], v[146:147]
	v_fmac_f64_e32 v[152:153], v[6:7], v[160:161]
	v_fma_f64 v[142:143], v[4:5], v[160:161], -v[156:157]
	v_fmac_f64_e32 v[136:137], v[10:11], v[140:141]
	v_fma_f64 v[8:9], v[8:9], v[140:141], -v[138:139]
	v_add_f64_e32 v[132:133], v[132:133], v[130:131]
	v_add_f64_e32 v[134:135], v[128:129], v[134:135]
	ds_load_b128 v[4:7], v2 offset:1792
	ds_load_b128 v[128:131], v2 offset:1808
	s_wait_loadcnt_dscnt 0x101
	v_mul_f64_e32 v[2:3], v[4:5], v[166:167]
	v_mul_f64_e32 v[144:145], v[6:7], v[166:167]
	s_wait_loadcnt_dscnt 0x0
	v_mul_f64_e32 v[138:139], v[130:131], v[150:151]
	v_add_f64_e32 v[10:11], v[132:133], v[142:143]
	v_add_f64_e32 v[132:133], v[134:135], v[152:153]
	v_mul_f64_e32 v[134:135], v[128:129], v[150:151]
	v_fmac_f64_e32 v[2:3], v[6:7], v[164:165]
	v_fma_f64 v[4:5], v[4:5], v[164:165], -v[144:145]
	v_add_f64_e32 v[6:7], v[10:11], v[8:9]
	v_add_f64_e32 v[8:9], v[132:133], v[136:137]
	v_fmac_f64_e32 v[134:135], v[130:131], v[148:149]
	v_fma_f64 v[10:11], v[128:129], v[148:149], -v[138:139]
	s_delay_alu instid0(VALU_DEP_4) | instskip(NEXT) | instid1(VALU_DEP_4)
	v_add_f64_e32 v[4:5], v[6:7], v[4:5]
	v_add_f64_e32 v[2:3], v[8:9], v[2:3]
	s_delay_alu instid0(VALU_DEP_2) | instskip(NEXT) | instid1(VALU_DEP_2)
	v_add_f64_e32 v[4:5], v[4:5], v[10:11]
	v_add_f64_e32 v[6:7], v[2:3], v[134:135]
	s_delay_alu instid0(VALU_DEP_2) | instskip(NEXT) | instid1(VALU_DEP_2)
	v_add_f64_e64 v[2:3], v[172:173], -v[4:5]
	v_add_f64_e64 v[4:5], v[174:175], -v[6:7]
	scratch_store_b128 off, v[2:5], off offset:128
	s_wait_xcnt 0x0
	v_cmpx_lt_u32_e32 7, v1
	s_cbranch_execz .LBB120_341
; %bb.340:
	scratch_load_b128 v[2:5], off, s66
	v_mov_b32_e32 v6, 0
	s_delay_alu instid0(VALU_DEP_1)
	v_dual_mov_b32 v7, v6 :: v_dual_mov_b32 v8, v6
	v_mov_b32_e32 v9, v6
	scratch_store_b128 off, v[6:9], off offset:112
	s_wait_loadcnt 0x0
	ds_store_b128 v12, v[2:5]
.LBB120_341:
	s_wait_xcnt 0x0
	s_or_b32 exec_lo, exec_lo, s2
	s_wait_storecnt_dscnt 0x0
	s_barrier_signal -1
	s_barrier_wait -1
	s_clause 0x9
	scratch_load_b128 v[4:7], off, off offset:128
	scratch_load_b128 v[8:11], off, off offset:144
	scratch_load_b128 v[128:131], off, off offset:160
	scratch_load_b128 v[132:135], off, off offset:176
	scratch_load_b128 v[136:139], off, off offset:192
	scratch_load_b128 v[140:143], off, off offset:208
	scratch_load_b128 v[144:147], off, off offset:224
	scratch_load_b128 v[148:151], off, off offset:240
	scratch_load_b128 v[152:155], off, off offset:256
	scratch_load_b128 v[156:159], off, off offset:272
	v_mov_b32_e32 v2, 0
	s_mov_b32 s2, exec_lo
	ds_load_b128 v[160:163], v2 offset:1040
	s_clause 0x2
	scratch_load_b128 v[164:167], off, off offset:288
	scratch_load_b128 v[168:171], off, off offset:112
	;; [unrolled: 1-line block ×3, first 2 shown]
	s_wait_loadcnt_dscnt 0xc00
	v_mul_f64_e32 v[180:181], v[162:163], v[6:7]
	v_mul_f64_e32 v[184:185], v[160:161], v[6:7]
	ds_load_b128 v[172:175], v2 offset:1056
	v_fma_f64 v[188:189], v[160:161], v[4:5], -v[180:181]
	v_fmac_f64_e32 v[184:185], v[162:163], v[4:5]
	ds_load_b128 v[4:7], v2 offset:1072
	s_wait_loadcnt_dscnt 0xb01
	v_mul_f64_e32 v[186:187], v[172:173], v[10:11]
	v_mul_f64_e32 v[10:11], v[174:175], v[10:11]
	scratch_load_b128 v[160:163], off, off offset:320
	ds_load_b128 v[180:183], v2 offset:1088
	s_wait_loadcnt_dscnt 0xb01
	v_mul_f64_e32 v[190:191], v[4:5], v[130:131]
	v_mul_f64_e32 v[130:131], v[6:7], v[130:131]
	v_add_f64_e32 v[184:185], 0, v[184:185]
	v_fmac_f64_e32 v[186:187], v[174:175], v[8:9]
	v_fma_f64 v[172:173], v[172:173], v[8:9], -v[10:11]
	v_add_f64_e32 v[174:175], 0, v[188:189]
	scratch_load_b128 v[8:11], off, off offset:336
	v_fmac_f64_e32 v[190:191], v[6:7], v[128:129]
	v_fma_f64 v[192:193], v[4:5], v[128:129], -v[130:131]
	ds_load_b128 v[4:7], v2 offset:1104
	s_wait_loadcnt_dscnt 0xb01
	v_mul_f64_e32 v[188:189], v[180:181], v[134:135]
	v_mul_f64_e32 v[134:135], v[182:183], v[134:135]
	scratch_load_b128 v[128:131], off, off offset:352
	v_add_f64_e32 v[184:185], v[184:185], v[186:187]
	v_add_f64_e32 v[194:195], v[174:175], v[172:173]
	ds_load_b128 v[172:175], v2 offset:1120
	s_wait_loadcnt_dscnt 0xb01
	v_mul_f64_e32 v[186:187], v[4:5], v[138:139]
	v_mul_f64_e32 v[138:139], v[6:7], v[138:139]
	v_fmac_f64_e32 v[188:189], v[182:183], v[132:133]
	v_fma_f64 v[180:181], v[180:181], v[132:133], -v[134:135]
	scratch_load_b128 v[132:135], off, off offset:368
	v_add_f64_e32 v[184:185], v[184:185], v[190:191]
	v_add_f64_e32 v[182:183], v[194:195], v[192:193]
	v_fmac_f64_e32 v[186:187], v[6:7], v[136:137]
	v_fma_f64 v[192:193], v[4:5], v[136:137], -v[138:139]
	ds_load_b128 v[4:7], v2 offset:1136
	s_wait_loadcnt_dscnt 0xb01
	v_mul_f64_e32 v[190:191], v[172:173], v[142:143]
	v_mul_f64_e32 v[142:143], v[174:175], v[142:143]
	scratch_load_b128 v[136:139], off, off offset:384
	v_add_f64_e32 v[184:185], v[184:185], v[188:189]
	s_wait_loadcnt_dscnt 0xb00
	v_mul_f64_e32 v[188:189], v[4:5], v[146:147]
	v_add_f64_e32 v[194:195], v[182:183], v[180:181]
	v_mul_f64_e32 v[146:147], v[6:7], v[146:147]
	ds_load_b128 v[180:183], v2 offset:1152
	v_fmac_f64_e32 v[190:191], v[174:175], v[140:141]
	v_fma_f64 v[172:173], v[172:173], v[140:141], -v[142:143]
	scratch_load_b128 v[140:143], off, off offset:400
	v_add_f64_e32 v[184:185], v[184:185], v[186:187]
	v_fmac_f64_e32 v[188:189], v[6:7], v[144:145]
	v_add_f64_e32 v[174:175], v[194:195], v[192:193]
	v_fma_f64 v[192:193], v[4:5], v[144:145], -v[146:147]
	ds_load_b128 v[4:7], v2 offset:1168
	s_wait_loadcnt_dscnt 0xb01
	v_mul_f64_e32 v[186:187], v[180:181], v[150:151]
	v_mul_f64_e32 v[150:151], v[182:183], v[150:151]
	scratch_load_b128 v[144:147], off, off offset:416
	v_add_f64_e32 v[184:185], v[184:185], v[190:191]
	s_wait_loadcnt_dscnt 0xb00
	v_mul_f64_e32 v[190:191], v[4:5], v[154:155]
	v_add_f64_e32 v[194:195], v[174:175], v[172:173]
	v_mul_f64_e32 v[154:155], v[6:7], v[154:155]
	ds_load_b128 v[172:175], v2 offset:1184
	v_fmac_f64_e32 v[186:187], v[182:183], v[148:149]
	v_fma_f64 v[180:181], v[180:181], v[148:149], -v[150:151]
	scratch_load_b128 v[148:151], off, off offset:432
	v_add_f64_e32 v[184:185], v[184:185], v[188:189]
	v_fmac_f64_e32 v[190:191], v[6:7], v[152:153]
	v_add_f64_e32 v[182:183], v[194:195], v[192:193]
	;; [unrolled: 18-line block ×3, first 2 shown]
	v_fma_f64 v[192:193], v[4:5], v[164:165], -v[166:167]
	ds_load_b128 v[4:7], v2 offset:1232
	s_wait_loadcnt_dscnt 0xa01
	v_mul_f64_e32 v[190:191], v[180:181], v[178:179]
	v_mul_f64_e32 v[178:179], v[182:183], v[178:179]
	scratch_load_b128 v[164:167], off, off offset:480
	v_add_f64_e32 v[184:185], v[184:185], v[188:189]
	v_add_f64_e32 v[194:195], v[174:175], v[172:173]
	s_wait_loadcnt_dscnt 0xa00
	v_mul_f64_e32 v[188:189], v[4:5], v[162:163]
	v_mul_f64_e32 v[162:163], v[6:7], v[162:163]
	v_fmac_f64_e32 v[190:191], v[182:183], v[176:177]
	v_fma_f64 v[180:181], v[180:181], v[176:177], -v[178:179]
	ds_load_b128 v[172:175], v2 offset:1248
	scratch_load_b128 v[176:179], off, off offset:496
	v_add_f64_e32 v[184:185], v[184:185], v[186:187]
	v_add_f64_e32 v[182:183], v[194:195], v[192:193]
	v_fmac_f64_e32 v[188:189], v[6:7], v[160:161]
	v_fma_f64 v[192:193], v[4:5], v[160:161], -v[162:163]
	ds_load_b128 v[4:7], v2 offset:1264
	s_wait_loadcnt_dscnt 0xa01
	v_mul_f64_e32 v[186:187], v[172:173], v[10:11]
	v_mul_f64_e32 v[10:11], v[174:175], v[10:11]
	scratch_load_b128 v[160:163], off, off offset:512
	v_add_f64_e32 v[184:185], v[184:185], v[190:191]
	s_wait_loadcnt_dscnt 0xa00
	v_mul_f64_e32 v[190:191], v[4:5], v[130:131]
	v_add_f64_e32 v[194:195], v[182:183], v[180:181]
	v_mul_f64_e32 v[130:131], v[6:7], v[130:131]
	ds_load_b128 v[180:183], v2 offset:1280
	v_fmac_f64_e32 v[186:187], v[174:175], v[8:9]
	v_fma_f64 v[172:173], v[172:173], v[8:9], -v[10:11]
	scratch_load_b128 v[8:11], off, off offset:528
	v_add_f64_e32 v[184:185], v[184:185], v[188:189]
	v_fmac_f64_e32 v[190:191], v[6:7], v[128:129]
	v_add_f64_e32 v[174:175], v[194:195], v[192:193]
	v_fma_f64 v[192:193], v[4:5], v[128:129], -v[130:131]
	ds_load_b128 v[4:7], v2 offset:1296
	s_wait_loadcnt_dscnt 0xa01
	v_mul_f64_e32 v[188:189], v[180:181], v[134:135]
	v_mul_f64_e32 v[134:135], v[182:183], v[134:135]
	scratch_load_b128 v[128:131], off, off offset:544
	v_add_f64_e32 v[184:185], v[184:185], v[186:187]
	s_wait_loadcnt_dscnt 0xa00
	v_mul_f64_e32 v[186:187], v[4:5], v[138:139]
	v_add_f64_e32 v[194:195], v[174:175], v[172:173]
	v_mul_f64_e32 v[138:139], v[6:7], v[138:139]
	ds_load_b128 v[172:175], v2 offset:1312
	v_fmac_f64_e32 v[188:189], v[182:183], v[132:133]
	v_fma_f64 v[180:181], v[180:181], v[132:133], -v[134:135]
	scratch_load_b128 v[132:135], off, off offset:560
	v_add_f64_e32 v[184:185], v[184:185], v[190:191]
	v_fmac_f64_e32 v[186:187], v[6:7], v[136:137]
	v_add_f64_e32 v[182:183], v[194:195], v[192:193]
	;; [unrolled: 18-line block ×12, first 2 shown]
	v_fma_f64 v[192:193], v[4:5], v[160:161], -v[162:163]
	ds_load_b128 v[4:7], v2 offset:1648
	s_wait_loadcnt_dscnt 0xa01
	v_mul_f64_e32 v[186:187], v[172:173], v[10:11]
	v_mul_f64_e32 v[10:11], v[174:175], v[10:11]
	scratch_load_b128 v[160:163], off, off offset:896
	v_add_f64_e32 v[184:185], v[184:185], v[190:191]
	s_wait_loadcnt_dscnt 0xa00
	v_mul_f64_e32 v[190:191], v[4:5], v[130:131]
	v_add_f64_e32 v[194:195], v[182:183], v[180:181]
	v_mul_f64_e32 v[130:131], v[6:7], v[130:131]
	ds_load_b128 v[180:183], v2 offset:1664
	v_fmac_f64_e32 v[186:187], v[174:175], v[8:9]
	v_fma_f64 v[8:9], v[172:173], v[8:9], -v[10:11]
	s_wait_loadcnt_dscnt 0x900
	v_mul_f64_e32 v[174:175], v[180:181], v[134:135]
	v_mul_f64_e32 v[134:135], v[182:183], v[134:135]
	v_add_f64_e32 v[172:173], v[184:185], v[188:189]
	v_fmac_f64_e32 v[190:191], v[6:7], v[128:129]
	v_add_f64_e32 v[10:11], v[194:195], v[192:193]
	v_fma_f64 v[128:129], v[4:5], v[128:129], -v[130:131]
	v_fmac_f64_e32 v[174:175], v[182:183], v[132:133]
	v_fma_f64 v[132:133], v[180:181], v[132:133], -v[134:135]
	v_add_f64_e32 v[172:173], v[172:173], v[186:187]
	v_add_f64_e32 v[130:131], v[10:11], v[8:9]
	ds_load_b128 v[4:7], v2 offset:1680
	ds_load_b128 v[8:11], v2 offset:1696
	s_wait_loadcnt_dscnt 0x801
	v_mul_f64_e32 v[184:185], v[4:5], v[138:139]
	v_mul_f64_e32 v[138:139], v[6:7], v[138:139]
	s_wait_loadcnt_dscnt 0x700
	v_mul_f64_e32 v[134:135], v[8:9], v[142:143]
	v_mul_f64_e32 v[142:143], v[10:11], v[142:143]
	v_add_f64_e32 v[128:129], v[130:131], v[128:129]
	v_add_f64_e32 v[130:131], v[172:173], v[190:191]
	v_fmac_f64_e32 v[184:185], v[6:7], v[136:137]
	v_fma_f64 v[136:137], v[4:5], v[136:137], -v[138:139]
	v_fmac_f64_e32 v[134:135], v[10:11], v[140:141]
	v_fma_f64 v[8:9], v[8:9], v[140:141], -v[142:143]
	v_add_f64_e32 v[132:133], v[128:129], v[132:133]
	v_add_f64_e32 v[138:139], v[130:131], v[174:175]
	ds_load_b128 v[4:7], v2 offset:1712
	ds_load_b128 v[128:131], v2 offset:1728
	s_wait_loadcnt_dscnt 0x601
	v_mul_f64_e32 v[172:173], v[4:5], v[146:147]
	v_mul_f64_e32 v[146:147], v[6:7], v[146:147]
	v_add_f64_e32 v[10:11], v[132:133], v[136:137]
	v_add_f64_e32 v[132:133], v[138:139], v[184:185]
	s_wait_loadcnt_dscnt 0x500
	v_mul_f64_e32 v[136:137], v[128:129], v[150:151]
	v_mul_f64_e32 v[138:139], v[130:131], v[150:151]
	v_fmac_f64_e32 v[172:173], v[6:7], v[144:145]
	v_fma_f64 v[140:141], v[4:5], v[144:145], -v[146:147]
	v_add_f64_e32 v[142:143], v[10:11], v[8:9]
	v_add_f64_e32 v[132:133], v[132:133], v[134:135]
	ds_load_b128 v[4:7], v2 offset:1744
	ds_load_b128 v[8:11], v2 offset:1760
	v_fmac_f64_e32 v[136:137], v[130:131], v[148:149]
	v_fma_f64 v[128:129], v[128:129], v[148:149], -v[138:139]
	s_wait_loadcnt_dscnt 0x401
	v_mul_f64_e32 v[134:135], v[4:5], v[154:155]
	v_mul_f64_e32 v[144:145], v[6:7], v[154:155]
	s_wait_loadcnt_dscnt 0x300
	v_mul_f64_e32 v[138:139], v[8:9], v[158:159]
	v_add_f64_e32 v[130:131], v[142:143], v[140:141]
	v_add_f64_e32 v[132:133], v[132:133], v[172:173]
	v_mul_f64_e32 v[140:141], v[10:11], v[158:159]
	v_fmac_f64_e32 v[134:135], v[6:7], v[152:153]
	v_fma_f64 v[142:143], v[4:5], v[152:153], -v[144:145]
	v_fmac_f64_e32 v[138:139], v[10:11], v[156:157]
	v_add_f64_e32 v[144:145], v[130:131], v[128:129]
	v_add_f64_e32 v[132:133], v[132:133], v[136:137]
	ds_load_b128 v[4:7], v2 offset:1776
	ds_load_b128 v[128:131], v2 offset:1792
	v_fma_f64 v[8:9], v[8:9], v[156:157], -v[140:141]
	s_wait_loadcnt_dscnt 0x201
	v_mul_f64_e32 v[136:137], v[4:5], v[166:167]
	v_mul_f64_e32 v[146:147], v[6:7], v[166:167]
	s_wait_loadcnt_dscnt 0x100
	v_mul_f64_e32 v[140:141], v[130:131], v[178:179]
	v_add_f64_e32 v[10:11], v[144:145], v[142:143]
	v_add_f64_e32 v[132:133], v[132:133], v[134:135]
	v_mul_f64_e32 v[134:135], v[128:129], v[178:179]
	v_fmac_f64_e32 v[136:137], v[6:7], v[164:165]
	v_fma_f64 v[142:143], v[4:5], v[164:165], -v[146:147]
	ds_load_b128 v[4:7], v2 offset:1808
	v_fma_f64 v[128:129], v[128:129], v[176:177], -v[140:141]
	v_add_f64_e32 v[8:9], v[10:11], v[8:9]
	v_add_f64_e32 v[10:11], v[132:133], v[138:139]
	v_fmac_f64_e32 v[134:135], v[130:131], v[176:177]
	s_wait_loadcnt_dscnt 0x0
	v_mul_f64_e32 v[132:133], v[4:5], v[162:163]
	v_mul_f64_e32 v[138:139], v[6:7], v[162:163]
	v_add_f64_e32 v[8:9], v[8:9], v[142:143]
	v_add_f64_e32 v[10:11], v[10:11], v[136:137]
	s_delay_alu instid0(VALU_DEP_4) | instskip(NEXT) | instid1(VALU_DEP_4)
	v_fmac_f64_e32 v[132:133], v[6:7], v[160:161]
	v_fma_f64 v[4:5], v[4:5], v[160:161], -v[138:139]
	s_delay_alu instid0(VALU_DEP_4) | instskip(NEXT) | instid1(VALU_DEP_4)
	v_add_f64_e32 v[6:7], v[8:9], v[128:129]
	v_add_f64_e32 v[8:9], v[10:11], v[134:135]
	s_delay_alu instid0(VALU_DEP_2) | instskip(NEXT) | instid1(VALU_DEP_2)
	v_add_f64_e32 v[4:5], v[6:7], v[4:5]
	v_add_f64_e32 v[6:7], v[8:9], v[132:133]
	s_delay_alu instid0(VALU_DEP_2) | instskip(NEXT) | instid1(VALU_DEP_2)
	v_add_f64_e64 v[4:5], v[168:169], -v[4:5]
	v_add_f64_e64 v[6:7], v[170:171], -v[6:7]
	scratch_store_b128 off, v[4:7], off offset:112
	s_wait_xcnt 0x0
	v_cmpx_lt_u32_e32 6, v1
	s_cbranch_execz .LBB120_343
; %bb.342:
	scratch_load_b128 v[6:9], off, s67
	v_dual_mov_b32 v3, v2 :: v_dual_mov_b32 v4, v2
	v_mov_b32_e32 v5, v2
	scratch_store_b128 off, v[2:5], off offset:96
	s_wait_loadcnt 0x0
	ds_store_b128 v12, v[6:9]
.LBB120_343:
	s_wait_xcnt 0x0
	s_or_b32 exec_lo, exec_lo, s2
	s_wait_storecnt_dscnt 0x0
	s_barrier_signal -1
	s_barrier_wait -1
	s_clause 0x9
	scratch_load_b128 v[4:7], off, off offset:112
	scratch_load_b128 v[8:11], off, off offset:128
	;; [unrolled: 1-line block ×10, first 2 shown]
	ds_load_b128 v[160:163], v2 offset:1024
	ds_load_b128 v[168:171], v2 offset:1040
	s_clause 0x2
	scratch_load_b128 v[164:167], off, off offset:272
	scratch_load_b128 v[172:175], off, off offset:96
	;; [unrolled: 1-line block ×3, first 2 shown]
	s_mov_b32 s2, exec_lo
	s_wait_loadcnt_dscnt 0xc01
	v_mul_f64_e32 v[180:181], v[162:163], v[6:7]
	v_mul_f64_e32 v[184:185], v[160:161], v[6:7]
	s_wait_loadcnt_dscnt 0xb00
	v_mul_f64_e32 v[186:187], v[168:169], v[10:11]
	v_mul_f64_e32 v[10:11], v[170:171], v[10:11]
	s_delay_alu instid0(VALU_DEP_4) | instskip(NEXT) | instid1(VALU_DEP_4)
	v_fma_f64 v[188:189], v[160:161], v[4:5], -v[180:181]
	v_fmac_f64_e32 v[184:185], v[162:163], v[4:5]
	ds_load_b128 v[4:7], v2 offset:1056
	ds_load_b128 v[160:163], v2 offset:1072
	scratch_load_b128 v[180:183], off, off offset:304
	v_fmac_f64_e32 v[186:187], v[170:171], v[8:9]
	v_fma_f64 v[168:169], v[168:169], v[8:9], -v[10:11]
	scratch_load_b128 v[8:11], off, off offset:320
	s_wait_loadcnt_dscnt 0xc01
	v_mul_f64_e32 v[190:191], v[4:5], v[130:131]
	v_mul_f64_e32 v[130:131], v[6:7], v[130:131]
	v_add_f64_e32 v[170:171], 0, v[188:189]
	v_add_f64_e32 v[184:185], 0, v[184:185]
	s_wait_loadcnt_dscnt 0xb00
	v_mul_f64_e32 v[188:189], v[160:161], v[134:135]
	v_mul_f64_e32 v[134:135], v[162:163], v[134:135]
	v_fmac_f64_e32 v[190:191], v[6:7], v[128:129]
	v_fma_f64 v[192:193], v[4:5], v[128:129], -v[130:131]
	ds_load_b128 v[4:7], v2 offset:1088
	ds_load_b128 v[128:131], v2 offset:1104
	v_add_f64_e32 v[194:195], v[170:171], v[168:169]
	v_add_f64_e32 v[184:185], v[184:185], v[186:187]
	scratch_load_b128 v[168:171], off, off offset:336
	v_fmac_f64_e32 v[188:189], v[162:163], v[132:133]
	v_fma_f64 v[160:161], v[160:161], v[132:133], -v[134:135]
	scratch_load_b128 v[132:135], off, off offset:352
	s_wait_loadcnt_dscnt 0xc01
	v_mul_f64_e32 v[186:187], v[4:5], v[138:139]
	v_mul_f64_e32 v[138:139], v[6:7], v[138:139]
	v_add_f64_e32 v[162:163], v[194:195], v[192:193]
	v_add_f64_e32 v[184:185], v[184:185], v[190:191]
	s_wait_loadcnt_dscnt 0xb00
	v_mul_f64_e32 v[190:191], v[128:129], v[142:143]
	v_mul_f64_e32 v[142:143], v[130:131], v[142:143]
	v_fmac_f64_e32 v[186:187], v[6:7], v[136:137]
	v_fma_f64 v[192:193], v[4:5], v[136:137], -v[138:139]
	ds_load_b128 v[4:7], v2 offset:1120
	ds_load_b128 v[136:139], v2 offset:1136
	v_add_f64_e32 v[194:195], v[162:163], v[160:161]
	v_add_f64_e32 v[184:185], v[184:185], v[188:189]
	scratch_load_b128 v[160:163], off, off offset:368
	s_wait_loadcnt_dscnt 0xb01
	v_mul_f64_e32 v[188:189], v[4:5], v[146:147]
	v_mul_f64_e32 v[146:147], v[6:7], v[146:147]
	v_fmac_f64_e32 v[190:191], v[130:131], v[140:141]
	v_fma_f64 v[140:141], v[128:129], v[140:141], -v[142:143]
	scratch_load_b128 v[128:131], off, off offset:384
	v_add_f64_e32 v[142:143], v[194:195], v[192:193]
	v_add_f64_e32 v[184:185], v[184:185], v[186:187]
	s_wait_loadcnt_dscnt 0xb00
	v_mul_f64_e32 v[186:187], v[136:137], v[150:151]
	v_mul_f64_e32 v[150:151], v[138:139], v[150:151]
	v_fmac_f64_e32 v[188:189], v[6:7], v[144:145]
	v_fma_f64 v[192:193], v[4:5], v[144:145], -v[146:147]
	v_add_f64_e32 v[194:195], v[142:143], v[140:141]
	v_add_f64_e32 v[184:185], v[184:185], v[190:191]
	ds_load_b128 v[4:7], v2 offset:1152
	ds_load_b128 v[140:143], v2 offset:1168
	scratch_load_b128 v[144:147], off, off offset:400
	v_fmac_f64_e32 v[186:187], v[138:139], v[148:149]
	v_fma_f64 v[148:149], v[136:137], v[148:149], -v[150:151]
	scratch_load_b128 v[136:139], off, off offset:416
	s_wait_loadcnt_dscnt 0xc01
	v_mul_f64_e32 v[190:191], v[4:5], v[154:155]
	v_mul_f64_e32 v[154:155], v[6:7], v[154:155]
	v_add_f64_e32 v[150:151], v[194:195], v[192:193]
	v_add_f64_e32 v[184:185], v[184:185], v[188:189]
	s_wait_loadcnt_dscnt 0xb00
	v_mul_f64_e32 v[188:189], v[140:141], v[158:159]
	v_mul_f64_e32 v[158:159], v[142:143], v[158:159]
	v_fmac_f64_e32 v[190:191], v[6:7], v[152:153]
	v_fma_f64 v[192:193], v[4:5], v[152:153], -v[154:155]
	v_add_f64_e32 v[194:195], v[150:151], v[148:149]
	v_add_f64_e32 v[184:185], v[184:185], v[186:187]
	ds_load_b128 v[4:7], v2 offset:1184
	ds_load_b128 v[148:151], v2 offset:1200
	scratch_load_b128 v[152:155], off, off offset:432
	v_fmac_f64_e32 v[188:189], v[142:143], v[156:157]
	v_fma_f64 v[156:157], v[140:141], v[156:157], -v[158:159]
	scratch_load_b128 v[140:143], off, off offset:448
	s_wait_loadcnt_dscnt 0xc01
	v_mul_f64_e32 v[186:187], v[4:5], v[166:167]
	v_mul_f64_e32 v[166:167], v[6:7], v[166:167]
	;; [unrolled: 18-line block ×5, first 2 shown]
	v_add_f64_e32 v[178:179], v[194:195], v[192:193]
	v_add_f64_e32 v[184:185], v[184:185], v[190:191]
	s_wait_loadcnt_dscnt 0xa00
	v_mul_f64_e32 v[190:191], v[156:157], v[130:131]
	v_mul_f64_e32 v[130:131], v[158:159], v[130:131]
	v_fmac_f64_e32 v[186:187], v[6:7], v[160:161]
	v_fma_f64 v[192:193], v[4:5], v[160:161], -v[162:163]
	ds_load_b128 v[4:7], v2 offset:1312
	ds_load_b128 v[160:163], v2 offset:1328
	v_add_f64_e32 v[194:195], v[178:179], v[176:177]
	v_add_f64_e32 v[184:185], v[184:185], v[188:189]
	scratch_load_b128 v[176:179], off, off offset:560
	v_fmac_f64_e32 v[190:191], v[158:159], v[128:129]
	v_fma_f64 v[156:157], v[156:157], v[128:129], -v[130:131]
	scratch_load_b128 v[128:131], off, off offset:576
	s_wait_loadcnt_dscnt 0xb01
	v_mul_f64_e32 v[188:189], v[4:5], v[146:147]
	v_mul_f64_e32 v[146:147], v[6:7], v[146:147]
	v_add_f64_e32 v[158:159], v[194:195], v[192:193]
	v_add_f64_e32 v[184:185], v[184:185], v[186:187]
	s_wait_loadcnt_dscnt 0xa00
	v_mul_f64_e32 v[186:187], v[160:161], v[138:139]
	v_mul_f64_e32 v[138:139], v[162:163], v[138:139]
	v_fmac_f64_e32 v[188:189], v[6:7], v[144:145]
	v_fma_f64 v[192:193], v[4:5], v[144:145], -v[146:147]
	ds_load_b128 v[4:7], v2 offset:1344
	ds_load_b128 v[144:147], v2 offset:1360
	v_add_f64_e32 v[194:195], v[158:159], v[156:157]
	v_add_f64_e32 v[184:185], v[184:185], v[190:191]
	scratch_load_b128 v[156:159], off, off offset:592
	s_wait_loadcnt_dscnt 0xa01
	v_mul_f64_e32 v[190:191], v[4:5], v[154:155]
	v_mul_f64_e32 v[154:155], v[6:7], v[154:155]
	v_fmac_f64_e32 v[186:187], v[162:163], v[136:137]
	v_fma_f64 v[160:161], v[160:161], v[136:137], -v[138:139]
	scratch_load_b128 v[136:139], off, off offset:608
	v_add_f64_e32 v[162:163], v[194:195], v[192:193]
	v_add_f64_e32 v[184:185], v[184:185], v[188:189]
	s_wait_loadcnt_dscnt 0xa00
	v_mul_f64_e32 v[188:189], v[144:145], v[142:143]
	v_mul_f64_e32 v[142:143], v[146:147], v[142:143]
	v_fmac_f64_e32 v[190:191], v[6:7], v[152:153]
	v_fma_f64 v[192:193], v[4:5], v[152:153], -v[154:155]
	ds_load_b128 v[4:7], v2 offset:1376
	ds_load_b128 v[152:155], v2 offset:1392
	v_add_f64_e32 v[194:195], v[162:163], v[160:161]
	v_add_f64_e32 v[184:185], v[184:185], v[186:187]
	scratch_load_b128 v[160:163], off, off offset:624
	s_wait_loadcnt_dscnt 0xa01
	v_mul_f64_e32 v[186:187], v[4:5], v[166:167]
	v_mul_f64_e32 v[166:167], v[6:7], v[166:167]
	v_fmac_f64_e32 v[188:189], v[146:147], v[140:141]
	v_fma_f64 v[144:145], v[144:145], v[140:141], -v[142:143]
	scratch_load_b128 v[140:143], off, off offset:640
	v_add_f64_e32 v[146:147], v[194:195], v[192:193]
	v_add_f64_e32 v[184:185], v[184:185], v[190:191]
	s_wait_loadcnt_dscnt 0xa00
	v_mul_f64_e32 v[190:191], v[152:153], v[150:151]
	v_mul_f64_e32 v[150:151], v[154:155], v[150:151]
	v_fmac_f64_e32 v[186:187], v[6:7], v[164:165]
	v_fma_f64 v[192:193], v[4:5], v[164:165], -v[166:167]
	v_add_f64_e32 v[194:195], v[146:147], v[144:145]
	v_add_f64_e32 v[184:185], v[184:185], v[188:189]
	ds_load_b128 v[4:7], v2 offset:1408
	ds_load_b128 v[144:147], v2 offset:1424
	scratch_load_b128 v[164:167], off, off offset:656
	v_fmac_f64_e32 v[190:191], v[154:155], v[148:149]
	v_fma_f64 v[152:153], v[152:153], v[148:149], -v[150:151]
	scratch_load_b128 v[148:151], off, off offset:672
	s_wait_loadcnt_dscnt 0xb01
	v_mul_f64_e32 v[188:189], v[4:5], v[182:183]
	v_mul_f64_e32 v[182:183], v[6:7], v[182:183]
	v_add_f64_e32 v[154:155], v[194:195], v[192:193]
	v_add_f64_e32 v[184:185], v[184:185], v[186:187]
	s_wait_loadcnt_dscnt 0xa00
	v_mul_f64_e32 v[186:187], v[144:145], v[10:11]
	v_mul_f64_e32 v[10:11], v[146:147], v[10:11]
	v_fmac_f64_e32 v[188:189], v[6:7], v[180:181]
	v_fma_f64 v[192:193], v[4:5], v[180:181], -v[182:183]
	v_add_f64_e32 v[194:195], v[154:155], v[152:153]
	v_add_f64_e32 v[184:185], v[184:185], v[190:191]
	ds_load_b128 v[4:7], v2 offset:1440
	ds_load_b128 v[152:155], v2 offset:1456
	scratch_load_b128 v[180:183], off, off offset:688
	v_fmac_f64_e32 v[186:187], v[146:147], v[8:9]
	v_fma_f64 v[144:145], v[144:145], v[8:9], -v[10:11]
	scratch_load_b128 v[8:11], off, off offset:704
	s_wait_loadcnt_dscnt 0xb01
	v_mul_f64_e32 v[190:191], v[4:5], v[170:171]
	v_mul_f64_e32 v[170:171], v[6:7], v[170:171]
	v_add_f64_e32 v[146:147], v[194:195], v[192:193]
	v_add_f64_e32 v[184:185], v[184:185], v[188:189]
	s_wait_loadcnt_dscnt 0xa00
	v_mul_f64_e32 v[188:189], v[152:153], v[134:135]
	v_mul_f64_e32 v[134:135], v[154:155], v[134:135]
	v_fmac_f64_e32 v[190:191], v[6:7], v[168:169]
	v_fma_f64 v[192:193], v[4:5], v[168:169], -v[170:171]
	v_add_f64_e32 v[194:195], v[146:147], v[144:145]
	v_add_f64_e32 v[184:185], v[184:185], v[186:187]
	ds_load_b128 v[4:7], v2 offset:1472
	ds_load_b128 v[144:147], v2 offset:1488
	scratch_load_b128 v[168:171], off, off offset:720
	v_fmac_f64_e32 v[188:189], v[154:155], v[132:133]
	v_fma_f64 v[152:153], v[152:153], v[132:133], -v[134:135]
	scratch_load_b128 v[132:135], off, off offset:736
	s_wait_loadcnt_dscnt 0xb01
	v_mul_f64_e32 v[186:187], v[4:5], v[178:179]
	v_mul_f64_e32 v[178:179], v[6:7], v[178:179]
	v_add_f64_e32 v[154:155], v[194:195], v[192:193]
	v_add_f64_e32 v[184:185], v[184:185], v[190:191]
	s_wait_loadcnt_dscnt 0xa00
	v_mul_f64_e32 v[190:191], v[144:145], v[130:131]
	v_mul_f64_e32 v[130:131], v[146:147], v[130:131]
	v_fmac_f64_e32 v[186:187], v[6:7], v[176:177]
	v_fma_f64 v[192:193], v[4:5], v[176:177], -v[178:179]
	v_add_f64_e32 v[194:195], v[154:155], v[152:153]
	v_add_f64_e32 v[184:185], v[184:185], v[188:189]
	ds_load_b128 v[4:7], v2 offset:1504
	ds_load_b128 v[152:155], v2 offset:1520
	scratch_load_b128 v[176:179], off, off offset:752
	v_fmac_f64_e32 v[190:191], v[146:147], v[128:129]
	v_fma_f64 v[144:145], v[144:145], v[128:129], -v[130:131]
	scratch_load_b128 v[128:131], off, off offset:768
	s_wait_loadcnt_dscnt 0xb01
	v_mul_f64_e32 v[188:189], v[4:5], v[158:159]
	v_mul_f64_e32 v[158:159], v[6:7], v[158:159]
	v_add_f64_e32 v[146:147], v[194:195], v[192:193]
	v_add_f64_e32 v[184:185], v[184:185], v[186:187]
	s_wait_loadcnt_dscnt 0xa00
	v_mul_f64_e32 v[186:187], v[152:153], v[138:139]
	v_mul_f64_e32 v[138:139], v[154:155], v[138:139]
	v_fmac_f64_e32 v[188:189], v[6:7], v[156:157]
	v_fma_f64 v[192:193], v[4:5], v[156:157], -v[158:159]
	v_add_f64_e32 v[194:195], v[146:147], v[144:145]
	v_add_f64_e32 v[184:185], v[184:185], v[190:191]
	ds_load_b128 v[4:7], v2 offset:1536
	ds_load_b128 v[144:147], v2 offset:1552
	scratch_load_b128 v[156:159], off, off offset:784
	v_fmac_f64_e32 v[186:187], v[154:155], v[136:137]
	v_fma_f64 v[152:153], v[152:153], v[136:137], -v[138:139]
	scratch_load_b128 v[136:139], off, off offset:800
	s_wait_loadcnt_dscnt 0xb01
	v_mul_f64_e32 v[190:191], v[4:5], v[162:163]
	v_mul_f64_e32 v[162:163], v[6:7], v[162:163]
	v_add_f64_e32 v[154:155], v[194:195], v[192:193]
	v_add_f64_e32 v[184:185], v[184:185], v[188:189]
	s_wait_loadcnt_dscnt 0xa00
	v_mul_f64_e32 v[188:189], v[144:145], v[142:143]
	v_mul_f64_e32 v[142:143], v[146:147], v[142:143]
	v_fmac_f64_e32 v[190:191], v[6:7], v[160:161]
	v_fma_f64 v[192:193], v[4:5], v[160:161], -v[162:163]
	v_add_f64_e32 v[194:195], v[154:155], v[152:153]
	v_add_f64_e32 v[184:185], v[184:185], v[186:187]
	ds_load_b128 v[4:7], v2 offset:1568
	ds_load_b128 v[152:155], v2 offset:1584
	scratch_load_b128 v[160:163], off, off offset:816
	v_fmac_f64_e32 v[188:189], v[146:147], v[140:141]
	v_fma_f64 v[144:145], v[144:145], v[140:141], -v[142:143]
	scratch_load_b128 v[140:143], off, off offset:832
	s_wait_loadcnt_dscnt 0xb01
	v_mul_f64_e32 v[186:187], v[4:5], v[166:167]
	v_mul_f64_e32 v[166:167], v[6:7], v[166:167]
	v_add_f64_e32 v[146:147], v[194:195], v[192:193]
	v_add_f64_e32 v[184:185], v[184:185], v[190:191]
	s_wait_loadcnt_dscnt 0xa00
	v_mul_f64_e32 v[190:191], v[152:153], v[150:151]
	v_mul_f64_e32 v[150:151], v[154:155], v[150:151]
	v_fmac_f64_e32 v[186:187], v[6:7], v[164:165]
	v_fma_f64 v[192:193], v[4:5], v[164:165], -v[166:167]
	v_add_f64_e32 v[194:195], v[146:147], v[144:145]
	v_add_f64_e32 v[184:185], v[184:185], v[188:189]
	ds_load_b128 v[4:7], v2 offset:1600
	ds_load_b128 v[144:147], v2 offset:1616
	scratch_load_b128 v[164:167], off, off offset:848
	v_fmac_f64_e32 v[190:191], v[154:155], v[148:149]
	v_fma_f64 v[152:153], v[152:153], v[148:149], -v[150:151]
	scratch_load_b128 v[148:151], off, off offset:864
	s_wait_loadcnt_dscnt 0xb01
	v_mul_f64_e32 v[188:189], v[4:5], v[182:183]
	v_mul_f64_e32 v[182:183], v[6:7], v[182:183]
	v_add_f64_e32 v[154:155], v[194:195], v[192:193]
	v_add_f64_e32 v[184:185], v[184:185], v[186:187]
	s_wait_loadcnt_dscnt 0xa00
	v_mul_f64_e32 v[186:187], v[144:145], v[10:11]
	v_mul_f64_e32 v[10:11], v[146:147], v[10:11]
	v_fmac_f64_e32 v[188:189], v[6:7], v[180:181]
	v_fma_f64 v[192:193], v[4:5], v[180:181], -v[182:183]
	v_add_f64_e32 v[194:195], v[154:155], v[152:153]
	v_add_f64_e32 v[184:185], v[184:185], v[190:191]
	ds_load_b128 v[4:7], v2 offset:1632
	ds_load_b128 v[152:155], v2 offset:1648
	scratch_load_b128 v[180:183], off, off offset:880
	v_fmac_f64_e32 v[186:187], v[146:147], v[8:9]
	v_fma_f64 v[144:145], v[144:145], v[8:9], -v[10:11]
	scratch_load_b128 v[8:11], off, off offset:896
	s_wait_loadcnt_dscnt 0xb01
	v_mul_f64_e32 v[190:191], v[4:5], v[170:171]
	v_mul_f64_e32 v[170:171], v[6:7], v[170:171]
	v_add_f64_e32 v[146:147], v[194:195], v[192:193]
	v_add_f64_e32 v[184:185], v[184:185], v[188:189]
	s_wait_loadcnt_dscnt 0xa00
	v_mul_f64_e32 v[188:189], v[152:153], v[134:135]
	v_mul_f64_e32 v[134:135], v[154:155], v[134:135]
	v_fmac_f64_e32 v[190:191], v[6:7], v[168:169]
	v_fma_f64 v[168:169], v[4:5], v[168:169], -v[170:171]
	v_add_f64_e32 v[170:171], v[146:147], v[144:145]
	v_add_f64_e32 v[184:185], v[184:185], v[186:187]
	ds_load_b128 v[4:7], v2 offset:1664
	ds_load_b128 v[144:147], v2 offset:1680
	v_fmac_f64_e32 v[188:189], v[154:155], v[132:133]
	v_fma_f64 v[132:133], v[152:153], v[132:133], -v[134:135]
	s_wait_loadcnt_dscnt 0x901
	v_mul_f64_e32 v[186:187], v[4:5], v[178:179]
	v_mul_f64_e32 v[178:179], v[6:7], v[178:179]
	s_wait_loadcnt_dscnt 0x800
	v_mul_f64_e32 v[154:155], v[144:145], v[130:131]
	v_add_f64_e32 v[134:135], v[170:171], v[168:169]
	v_add_f64_e32 v[152:153], v[184:185], v[190:191]
	v_mul_f64_e32 v[168:169], v[146:147], v[130:131]
	v_fmac_f64_e32 v[186:187], v[6:7], v[176:177]
	v_fma_f64 v[170:171], v[4:5], v[176:177], -v[178:179]
	v_fmac_f64_e32 v[154:155], v[146:147], v[128:129]
	v_add_f64_e32 v[134:135], v[134:135], v[132:133]
	v_add_f64_e32 v[152:153], v[152:153], v[188:189]
	ds_load_b128 v[4:7], v2 offset:1696
	ds_load_b128 v[130:133], v2 offset:1712
	v_fma_f64 v[128:129], v[144:145], v[128:129], -v[168:169]
	s_wait_loadcnt_dscnt 0x701
	v_mul_f64_e32 v[176:177], v[4:5], v[158:159]
	v_mul_f64_e32 v[158:159], v[6:7], v[158:159]
	v_add_f64_e32 v[134:135], v[134:135], v[170:171]
	v_add_f64_e32 v[144:145], v[152:153], v[186:187]
	s_wait_loadcnt_dscnt 0x600
	v_mul_f64_e32 v[152:153], v[130:131], v[138:139]
	v_mul_f64_e32 v[138:139], v[132:133], v[138:139]
	v_fmac_f64_e32 v[176:177], v[6:7], v[156:157]
	v_fma_f64 v[156:157], v[4:5], v[156:157], -v[158:159]
	v_add_f64_e32 v[128:129], v[134:135], v[128:129]
	v_add_f64_e32 v[134:135], v[144:145], v[154:155]
	ds_load_b128 v[4:7], v2 offset:1728
	ds_load_b128 v[144:147], v2 offset:1744
	v_fmac_f64_e32 v[152:153], v[132:133], v[136:137]
	v_fma_f64 v[130:131], v[130:131], v[136:137], -v[138:139]
	s_wait_loadcnt_dscnt 0x501
	v_mul_f64_e32 v[154:155], v[4:5], v[162:163]
	v_mul_f64_e32 v[158:159], v[6:7], v[162:163]
	s_wait_loadcnt_dscnt 0x400
	v_mul_f64_e32 v[136:137], v[146:147], v[142:143]
	v_add_f64_e32 v[128:129], v[128:129], v[156:157]
	v_add_f64_e32 v[132:133], v[134:135], v[176:177]
	v_mul_f64_e32 v[134:135], v[144:145], v[142:143]
	v_fmac_f64_e32 v[154:155], v[6:7], v[160:161]
	v_fma_f64 v[138:139], v[4:5], v[160:161], -v[158:159]
	v_fma_f64 v[136:137], v[144:145], v[140:141], -v[136:137]
	v_add_f64_e32 v[142:143], v[128:129], v[130:131]
	v_add_f64_e32 v[132:133], v[132:133], v[152:153]
	ds_load_b128 v[4:7], v2 offset:1760
	ds_load_b128 v[128:131], v2 offset:1776
	v_fmac_f64_e32 v[134:135], v[146:147], v[140:141]
	s_wait_loadcnt_dscnt 0x301
	v_mul_f64_e32 v[152:153], v[4:5], v[166:167]
	v_mul_f64_e32 v[156:157], v[6:7], v[166:167]
	s_wait_loadcnt_dscnt 0x200
	v_mul_f64_e32 v[140:141], v[128:129], v[150:151]
	v_add_f64_e32 v[138:139], v[142:143], v[138:139]
	v_add_f64_e32 v[132:133], v[132:133], v[154:155]
	v_mul_f64_e32 v[142:143], v[130:131], v[150:151]
	v_fmac_f64_e32 v[152:153], v[6:7], v[164:165]
	v_fma_f64 v[144:145], v[4:5], v[164:165], -v[156:157]
	v_fmac_f64_e32 v[140:141], v[130:131], v[148:149]
	v_add_f64_e32 v[136:137], v[138:139], v[136:137]
	v_add_f64_e32 v[138:139], v[132:133], v[134:135]
	ds_load_b128 v[4:7], v2 offset:1792
	ds_load_b128 v[132:135], v2 offset:1808
	v_fma_f64 v[128:129], v[128:129], v[148:149], -v[142:143]
	s_wait_loadcnt_dscnt 0x101
	v_mul_f64_e32 v[2:3], v[4:5], v[182:183]
	v_mul_f64_e32 v[146:147], v[6:7], v[182:183]
	v_add_f64_e32 v[130:131], v[136:137], v[144:145]
	v_add_f64_e32 v[136:137], v[138:139], v[152:153]
	s_wait_loadcnt_dscnt 0x0
	v_mul_f64_e32 v[138:139], v[132:133], v[10:11]
	v_mul_f64_e32 v[10:11], v[134:135], v[10:11]
	v_fmac_f64_e32 v[2:3], v[6:7], v[180:181]
	v_fma_f64 v[4:5], v[4:5], v[180:181], -v[146:147]
	v_add_f64_e32 v[6:7], v[130:131], v[128:129]
	v_add_f64_e32 v[128:129], v[136:137], v[140:141]
	v_fmac_f64_e32 v[138:139], v[134:135], v[8:9]
	v_fma_f64 v[8:9], v[132:133], v[8:9], -v[10:11]
	s_delay_alu instid0(VALU_DEP_4) | instskip(NEXT) | instid1(VALU_DEP_4)
	v_add_f64_e32 v[4:5], v[6:7], v[4:5]
	v_add_f64_e32 v[2:3], v[128:129], v[2:3]
	s_delay_alu instid0(VALU_DEP_2) | instskip(NEXT) | instid1(VALU_DEP_2)
	v_add_f64_e32 v[4:5], v[4:5], v[8:9]
	v_add_f64_e32 v[6:7], v[2:3], v[138:139]
	s_delay_alu instid0(VALU_DEP_2) | instskip(NEXT) | instid1(VALU_DEP_2)
	v_add_f64_e64 v[2:3], v[172:173], -v[4:5]
	v_add_f64_e64 v[4:5], v[174:175], -v[6:7]
	scratch_store_b128 off, v[2:5], off offset:96
	s_wait_xcnt 0x0
	v_cmpx_lt_u32_e32 5, v1
	s_cbranch_execz .LBB120_345
; %bb.344:
	scratch_load_b128 v[2:5], off, s68
	v_mov_b32_e32 v6, 0
	s_delay_alu instid0(VALU_DEP_1)
	v_dual_mov_b32 v7, v6 :: v_dual_mov_b32 v8, v6
	v_mov_b32_e32 v9, v6
	scratch_store_b128 off, v[6:9], off offset:80
	s_wait_loadcnt 0x0
	ds_store_b128 v12, v[2:5]
.LBB120_345:
	s_wait_xcnt 0x0
	s_or_b32 exec_lo, exec_lo, s2
	s_wait_storecnt_dscnt 0x0
	s_barrier_signal -1
	s_barrier_wait -1
	s_clause 0x9
	scratch_load_b128 v[4:7], off, off offset:96
	scratch_load_b128 v[8:11], off, off offset:112
	;; [unrolled: 1-line block ×10, first 2 shown]
	v_mov_b32_e32 v2, 0
	s_mov_b32 s2, exec_lo
	ds_load_b128 v[160:163], v2 offset:1008
	s_clause 0x2
	scratch_load_b128 v[164:167], off, off offset:256
	scratch_load_b128 v[168:171], off, off offset:80
	;; [unrolled: 1-line block ×3, first 2 shown]
	s_wait_loadcnt_dscnt 0xc00
	v_mul_f64_e32 v[180:181], v[162:163], v[6:7]
	v_mul_f64_e32 v[184:185], v[160:161], v[6:7]
	ds_load_b128 v[172:175], v2 offset:1024
	v_fma_f64 v[188:189], v[160:161], v[4:5], -v[180:181]
	v_fmac_f64_e32 v[184:185], v[162:163], v[4:5]
	ds_load_b128 v[4:7], v2 offset:1040
	s_wait_loadcnt_dscnt 0xb01
	v_mul_f64_e32 v[186:187], v[172:173], v[10:11]
	v_mul_f64_e32 v[10:11], v[174:175], v[10:11]
	scratch_load_b128 v[160:163], off, off offset:288
	ds_load_b128 v[180:183], v2 offset:1056
	s_wait_loadcnt_dscnt 0xb01
	v_mul_f64_e32 v[190:191], v[4:5], v[130:131]
	v_mul_f64_e32 v[130:131], v[6:7], v[130:131]
	v_add_f64_e32 v[184:185], 0, v[184:185]
	v_fmac_f64_e32 v[186:187], v[174:175], v[8:9]
	v_fma_f64 v[172:173], v[172:173], v[8:9], -v[10:11]
	v_add_f64_e32 v[174:175], 0, v[188:189]
	scratch_load_b128 v[8:11], off, off offset:304
	v_fmac_f64_e32 v[190:191], v[6:7], v[128:129]
	v_fma_f64 v[192:193], v[4:5], v[128:129], -v[130:131]
	ds_load_b128 v[4:7], v2 offset:1072
	s_wait_loadcnt_dscnt 0xb01
	v_mul_f64_e32 v[188:189], v[180:181], v[134:135]
	v_mul_f64_e32 v[134:135], v[182:183], v[134:135]
	scratch_load_b128 v[128:131], off, off offset:320
	v_add_f64_e32 v[184:185], v[184:185], v[186:187]
	v_add_f64_e32 v[194:195], v[174:175], v[172:173]
	ds_load_b128 v[172:175], v2 offset:1088
	s_wait_loadcnt_dscnt 0xb01
	v_mul_f64_e32 v[186:187], v[4:5], v[138:139]
	v_mul_f64_e32 v[138:139], v[6:7], v[138:139]
	v_fmac_f64_e32 v[188:189], v[182:183], v[132:133]
	v_fma_f64 v[180:181], v[180:181], v[132:133], -v[134:135]
	scratch_load_b128 v[132:135], off, off offset:336
	v_add_f64_e32 v[184:185], v[184:185], v[190:191]
	v_add_f64_e32 v[182:183], v[194:195], v[192:193]
	v_fmac_f64_e32 v[186:187], v[6:7], v[136:137]
	v_fma_f64 v[192:193], v[4:5], v[136:137], -v[138:139]
	ds_load_b128 v[4:7], v2 offset:1104
	s_wait_loadcnt_dscnt 0xb01
	v_mul_f64_e32 v[190:191], v[172:173], v[142:143]
	v_mul_f64_e32 v[142:143], v[174:175], v[142:143]
	scratch_load_b128 v[136:139], off, off offset:352
	v_add_f64_e32 v[184:185], v[184:185], v[188:189]
	s_wait_loadcnt_dscnt 0xb00
	v_mul_f64_e32 v[188:189], v[4:5], v[146:147]
	v_add_f64_e32 v[194:195], v[182:183], v[180:181]
	v_mul_f64_e32 v[146:147], v[6:7], v[146:147]
	ds_load_b128 v[180:183], v2 offset:1120
	v_fmac_f64_e32 v[190:191], v[174:175], v[140:141]
	v_fma_f64 v[172:173], v[172:173], v[140:141], -v[142:143]
	scratch_load_b128 v[140:143], off, off offset:368
	v_add_f64_e32 v[184:185], v[184:185], v[186:187]
	v_fmac_f64_e32 v[188:189], v[6:7], v[144:145]
	v_add_f64_e32 v[174:175], v[194:195], v[192:193]
	v_fma_f64 v[192:193], v[4:5], v[144:145], -v[146:147]
	ds_load_b128 v[4:7], v2 offset:1136
	s_wait_loadcnt_dscnt 0xb01
	v_mul_f64_e32 v[186:187], v[180:181], v[150:151]
	v_mul_f64_e32 v[150:151], v[182:183], v[150:151]
	scratch_load_b128 v[144:147], off, off offset:384
	v_add_f64_e32 v[184:185], v[184:185], v[190:191]
	s_wait_loadcnt_dscnt 0xb00
	v_mul_f64_e32 v[190:191], v[4:5], v[154:155]
	v_add_f64_e32 v[194:195], v[174:175], v[172:173]
	v_mul_f64_e32 v[154:155], v[6:7], v[154:155]
	ds_load_b128 v[172:175], v2 offset:1152
	v_fmac_f64_e32 v[186:187], v[182:183], v[148:149]
	v_fma_f64 v[180:181], v[180:181], v[148:149], -v[150:151]
	scratch_load_b128 v[148:151], off, off offset:400
	v_add_f64_e32 v[184:185], v[184:185], v[188:189]
	v_fmac_f64_e32 v[190:191], v[6:7], v[152:153]
	v_add_f64_e32 v[182:183], v[194:195], v[192:193]
	;; [unrolled: 18-line block ×3, first 2 shown]
	v_fma_f64 v[192:193], v[4:5], v[164:165], -v[166:167]
	ds_load_b128 v[4:7], v2 offset:1200
	s_wait_loadcnt_dscnt 0xa01
	v_mul_f64_e32 v[190:191], v[180:181], v[178:179]
	v_mul_f64_e32 v[178:179], v[182:183], v[178:179]
	scratch_load_b128 v[164:167], off, off offset:448
	v_add_f64_e32 v[184:185], v[184:185], v[188:189]
	v_add_f64_e32 v[194:195], v[174:175], v[172:173]
	s_wait_loadcnt_dscnt 0xa00
	v_mul_f64_e32 v[188:189], v[4:5], v[162:163]
	v_mul_f64_e32 v[162:163], v[6:7], v[162:163]
	v_fmac_f64_e32 v[190:191], v[182:183], v[176:177]
	v_fma_f64 v[180:181], v[180:181], v[176:177], -v[178:179]
	ds_load_b128 v[172:175], v2 offset:1216
	scratch_load_b128 v[176:179], off, off offset:464
	v_add_f64_e32 v[184:185], v[184:185], v[186:187]
	v_add_f64_e32 v[182:183], v[194:195], v[192:193]
	v_fmac_f64_e32 v[188:189], v[6:7], v[160:161]
	v_fma_f64 v[192:193], v[4:5], v[160:161], -v[162:163]
	ds_load_b128 v[4:7], v2 offset:1232
	s_wait_loadcnt_dscnt 0xa01
	v_mul_f64_e32 v[186:187], v[172:173], v[10:11]
	v_mul_f64_e32 v[10:11], v[174:175], v[10:11]
	scratch_load_b128 v[160:163], off, off offset:480
	v_add_f64_e32 v[184:185], v[184:185], v[190:191]
	s_wait_loadcnt_dscnt 0xa00
	v_mul_f64_e32 v[190:191], v[4:5], v[130:131]
	v_add_f64_e32 v[194:195], v[182:183], v[180:181]
	v_mul_f64_e32 v[130:131], v[6:7], v[130:131]
	ds_load_b128 v[180:183], v2 offset:1248
	v_fmac_f64_e32 v[186:187], v[174:175], v[8:9]
	v_fma_f64 v[172:173], v[172:173], v[8:9], -v[10:11]
	scratch_load_b128 v[8:11], off, off offset:496
	v_add_f64_e32 v[184:185], v[184:185], v[188:189]
	v_fmac_f64_e32 v[190:191], v[6:7], v[128:129]
	v_add_f64_e32 v[174:175], v[194:195], v[192:193]
	v_fma_f64 v[192:193], v[4:5], v[128:129], -v[130:131]
	ds_load_b128 v[4:7], v2 offset:1264
	s_wait_loadcnt_dscnt 0xa01
	v_mul_f64_e32 v[188:189], v[180:181], v[134:135]
	v_mul_f64_e32 v[134:135], v[182:183], v[134:135]
	scratch_load_b128 v[128:131], off, off offset:512
	v_add_f64_e32 v[184:185], v[184:185], v[186:187]
	s_wait_loadcnt_dscnt 0xa00
	v_mul_f64_e32 v[186:187], v[4:5], v[138:139]
	v_add_f64_e32 v[194:195], v[174:175], v[172:173]
	v_mul_f64_e32 v[138:139], v[6:7], v[138:139]
	ds_load_b128 v[172:175], v2 offset:1280
	v_fmac_f64_e32 v[188:189], v[182:183], v[132:133]
	v_fma_f64 v[180:181], v[180:181], v[132:133], -v[134:135]
	scratch_load_b128 v[132:135], off, off offset:528
	v_add_f64_e32 v[184:185], v[184:185], v[190:191]
	v_fmac_f64_e32 v[186:187], v[6:7], v[136:137]
	v_add_f64_e32 v[182:183], v[194:195], v[192:193]
	;; [unrolled: 18-line block ×13, first 2 shown]
	v_fma_f64 v[192:193], v[4:5], v[128:129], -v[130:131]
	ds_load_b128 v[4:7], v2 offset:1648
	s_wait_loadcnt_dscnt 0xa01
	v_mul_f64_e32 v[188:189], v[180:181], v[134:135]
	v_mul_f64_e32 v[134:135], v[182:183], v[134:135]
	scratch_load_b128 v[128:131], off, off offset:896
	v_add_f64_e32 v[184:185], v[184:185], v[186:187]
	s_wait_loadcnt_dscnt 0xa00
	v_mul_f64_e32 v[186:187], v[4:5], v[138:139]
	v_add_f64_e32 v[194:195], v[174:175], v[172:173]
	v_mul_f64_e32 v[138:139], v[6:7], v[138:139]
	ds_load_b128 v[172:175], v2 offset:1664
	v_fmac_f64_e32 v[188:189], v[182:183], v[132:133]
	v_fma_f64 v[132:133], v[180:181], v[132:133], -v[134:135]
	s_wait_loadcnt_dscnt 0x900
	v_mul_f64_e32 v[182:183], v[172:173], v[142:143]
	v_mul_f64_e32 v[142:143], v[174:175], v[142:143]
	v_add_f64_e32 v[180:181], v[184:185], v[190:191]
	v_fmac_f64_e32 v[186:187], v[6:7], v[136:137]
	v_add_f64_e32 v[134:135], v[194:195], v[192:193]
	v_fma_f64 v[136:137], v[4:5], v[136:137], -v[138:139]
	v_fmac_f64_e32 v[182:183], v[174:175], v[140:141]
	v_fma_f64 v[140:141], v[172:173], v[140:141], -v[142:143]
	v_add_f64_e32 v[180:181], v[180:181], v[188:189]
	v_add_f64_e32 v[138:139], v[134:135], v[132:133]
	ds_load_b128 v[4:7], v2 offset:1680
	ds_load_b128 v[132:135], v2 offset:1696
	s_wait_loadcnt_dscnt 0x801
	v_mul_f64_e32 v[184:185], v[4:5], v[146:147]
	v_mul_f64_e32 v[146:147], v[6:7], v[146:147]
	s_wait_loadcnt_dscnt 0x700
	v_mul_f64_e32 v[142:143], v[132:133], v[150:151]
	v_mul_f64_e32 v[150:151], v[134:135], v[150:151]
	v_add_f64_e32 v[136:137], v[138:139], v[136:137]
	v_add_f64_e32 v[138:139], v[180:181], v[186:187]
	v_fmac_f64_e32 v[184:185], v[6:7], v[144:145]
	v_fma_f64 v[144:145], v[4:5], v[144:145], -v[146:147]
	v_fmac_f64_e32 v[142:143], v[134:135], v[148:149]
	v_fma_f64 v[132:133], v[132:133], v[148:149], -v[150:151]
	v_add_f64_e32 v[140:141], v[136:137], v[140:141]
	v_add_f64_e32 v[146:147], v[138:139], v[182:183]
	ds_load_b128 v[4:7], v2 offset:1712
	ds_load_b128 v[136:139], v2 offset:1728
	s_wait_loadcnt_dscnt 0x601
	v_mul_f64_e32 v[172:173], v[4:5], v[154:155]
	v_mul_f64_e32 v[154:155], v[6:7], v[154:155]
	v_add_f64_e32 v[134:135], v[140:141], v[144:145]
	v_add_f64_e32 v[140:141], v[146:147], v[184:185]
	s_wait_loadcnt_dscnt 0x500
	v_mul_f64_e32 v[144:145], v[136:137], v[158:159]
	v_mul_f64_e32 v[146:147], v[138:139], v[158:159]
	v_fmac_f64_e32 v[172:173], v[6:7], v[152:153]
	v_fma_f64 v[148:149], v[4:5], v[152:153], -v[154:155]
	v_add_f64_e32 v[150:151], v[134:135], v[132:133]
	v_add_f64_e32 v[140:141], v[140:141], v[142:143]
	ds_load_b128 v[4:7], v2 offset:1744
	ds_load_b128 v[132:135], v2 offset:1760
	v_fmac_f64_e32 v[144:145], v[138:139], v[156:157]
	v_fma_f64 v[136:137], v[136:137], v[156:157], -v[146:147]
	s_wait_loadcnt_dscnt 0x401
	v_mul_f64_e32 v[142:143], v[4:5], v[166:167]
	v_mul_f64_e32 v[152:153], v[6:7], v[166:167]
	s_wait_loadcnt_dscnt 0x300
	v_mul_f64_e32 v[146:147], v[132:133], v[178:179]
	v_add_f64_e32 v[138:139], v[150:151], v[148:149]
	v_add_f64_e32 v[140:141], v[140:141], v[172:173]
	v_mul_f64_e32 v[148:149], v[134:135], v[178:179]
	v_fmac_f64_e32 v[142:143], v[6:7], v[164:165]
	v_fma_f64 v[150:151], v[4:5], v[164:165], -v[152:153]
	v_fmac_f64_e32 v[146:147], v[134:135], v[176:177]
	v_add_f64_e32 v[152:153], v[138:139], v[136:137]
	v_add_f64_e32 v[140:141], v[140:141], v[144:145]
	ds_load_b128 v[4:7], v2 offset:1776
	ds_load_b128 v[136:139], v2 offset:1792
	v_fma_f64 v[132:133], v[132:133], v[176:177], -v[148:149]
	s_wait_loadcnt_dscnt 0x201
	v_mul_f64_e32 v[144:145], v[4:5], v[162:163]
	v_mul_f64_e32 v[154:155], v[6:7], v[162:163]
	v_add_f64_e32 v[134:135], v[152:153], v[150:151]
	v_add_f64_e32 v[140:141], v[140:141], v[142:143]
	s_wait_loadcnt_dscnt 0x100
	v_mul_f64_e32 v[142:143], v[136:137], v[10:11]
	v_mul_f64_e32 v[10:11], v[138:139], v[10:11]
	v_fmac_f64_e32 v[144:145], v[6:7], v[160:161]
	v_fma_f64 v[148:149], v[4:5], v[160:161], -v[154:155]
	ds_load_b128 v[4:7], v2 offset:1808
	v_add_f64_e32 v[132:133], v[134:135], v[132:133]
	v_add_f64_e32 v[134:135], v[140:141], v[146:147]
	v_fmac_f64_e32 v[142:143], v[138:139], v[8:9]
	v_fma_f64 v[8:9], v[136:137], v[8:9], -v[10:11]
	s_wait_loadcnt_dscnt 0x0
	v_mul_f64_e32 v[140:141], v[4:5], v[130:131]
	v_mul_f64_e32 v[130:131], v[6:7], v[130:131]
	v_add_f64_e32 v[10:11], v[132:133], v[148:149]
	v_add_f64_e32 v[132:133], v[134:135], v[144:145]
	s_delay_alu instid0(VALU_DEP_4) | instskip(NEXT) | instid1(VALU_DEP_4)
	v_fmac_f64_e32 v[140:141], v[6:7], v[128:129]
	v_fma_f64 v[4:5], v[4:5], v[128:129], -v[130:131]
	s_delay_alu instid0(VALU_DEP_4) | instskip(NEXT) | instid1(VALU_DEP_4)
	v_add_f64_e32 v[6:7], v[10:11], v[8:9]
	v_add_f64_e32 v[8:9], v[132:133], v[142:143]
	s_delay_alu instid0(VALU_DEP_2) | instskip(NEXT) | instid1(VALU_DEP_2)
	v_add_f64_e32 v[4:5], v[6:7], v[4:5]
	v_add_f64_e32 v[6:7], v[8:9], v[140:141]
	s_delay_alu instid0(VALU_DEP_2) | instskip(NEXT) | instid1(VALU_DEP_2)
	v_add_f64_e64 v[4:5], v[168:169], -v[4:5]
	v_add_f64_e64 v[6:7], v[170:171], -v[6:7]
	scratch_store_b128 off, v[4:7], off offset:80
	s_wait_xcnt 0x0
	v_cmpx_lt_u32_e32 4, v1
	s_cbranch_execz .LBB120_347
; %bb.346:
	scratch_load_b128 v[6:9], off, s12
	v_dual_mov_b32 v3, v2 :: v_dual_mov_b32 v4, v2
	v_mov_b32_e32 v5, v2
	scratch_store_b128 off, v[2:5], off offset:64
	s_wait_loadcnt 0x0
	ds_store_b128 v12, v[6:9]
.LBB120_347:
	s_wait_xcnt 0x0
	s_or_b32 exec_lo, exec_lo, s2
	s_wait_storecnt_dscnt 0x0
	s_barrier_signal -1
	s_barrier_wait -1
	s_clause 0x9
	scratch_load_b128 v[4:7], off, off offset:80
	scratch_load_b128 v[8:11], off, off offset:96
	;; [unrolled: 1-line block ×10, first 2 shown]
	ds_load_b128 v[160:163], v2 offset:992
	ds_load_b128 v[168:171], v2 offset:1008
	s_clause 0x2
	scratch_load_b128 v[164:167], off, off offset:240
	scratch_load_b128 v[172:175], off, off offset:64
	;; [unrolled: 1-line block ×3, first 2 shown]
	s_mov_b32 s2, exec_lo
	s_wait_loadcnt_dscnt 0xc01
	v_mul_f64_e32 v[180:181], v[162:163], v[6:7]
	v_mul_f64_e32 v[184:185], v[160:161], v[6:7]
	s_wait_loadcnt_dscnt 0xb00
	v_mul_f64_e32 v[186:187], v[168:169], v[10:11]
	v_mul_f64_e32 v[10:11], v[170:171], v[10:11]
	s_delay_alu instid0(VALU_DEP_4) | instskip(NEXT) | instid1(VALU_DEP_4)
	v_fma_f64 v[188:189], v[160:161], v[4:5], -v[180:181]
	v_fmac_f64_e32 v[184:185], v[162:163], v[4:5]
	ds_load_b128 v[4:7], v2 offset:1024
	ds_load_b128 v[160:163], v2 offset:1040
	scratch_load_b128 v[180:183], off, off offset:272
	v_fmac_f64_e32 v[186:187], v[170:171], v[8:9]
	v_fma_f64 v[168:169], v[168:169], v[8:9], -v[10:11]
	scratch_load_b128 v[8:11], off, off offset:288
	s_wait_loadcnt_dscnt 0xc01
	v_mul_f64_e32 v[190:191], v[4:5], v[130:131]
	v_mul_f64_e32 v[130:131], v[6:7], v[130:131]
	v_add_f64_e32 v[170:171], 0, v[188:189]
	v_add_f64_e32 v[184:185], 0, v[184:185]
	s_wait_loadcnt_dscnt 0xb00
	v_mul_f64_e32 v[188:189], v[160:161], v[134:135]
	v_mul_f64_e32 v[134:135], v[162:163], v[134:135]
	v_fmac_f64_e32 v[190:191], v[6:7], v[128:129]
	v_fma_f64 v[192:193], v[4:5], v[128:129], -v[130:131]
	ds_load_b128 v[4:7], v2 offset:1056
	ds_load_b128 v[128:131], v2 offset:1072
	v_add_f64_e32 v[194:195], v[170:171], v[168:169]
	v_add_f64_e32 v[184:185], v[184:185], v[186:187]
	scratch_load_b128 v[168:171], off, off offset:304
	v_fmac_f64_e32 v[188:189], v[162:163], v[132:133]
	v_fma_f64 v[160:161], v[160:161], v[132:133], -v[134:135]
	scratch_load_b128 v[132:135], off, off offset:320
	s_wait_loadcnt_dscnt 0xc01
	v_mul_f64_e32 v[186:187], v[4:5], v[138:139]
	v_mul_f64_e32 v[138:139], v[6:7], v[138:139]
	v_add_f64_e32 v[162:163], v[194:195], v[192:193]
	v_add_f64_e32 v[184:185], v[184:185], v[190:191]
	s_wait_loadcnt_dscnt 0xb00
	v_mul_f64_e32 v[190:191], v[128:129], v[142:143]
	v_mul_f64_e32 v[142:143], v[130:131], v[142:143]
	v_fmac_f64_e32 v[186:187], v[6:7], v[136:137]
	v_fma_f64 v[192:193], v[4:5], v[136:137], -v[138:139]
	ds_load_b128 v[4:7], v2 offset:1088
	ds_load_b128 v[136:139], v2 offset:1104
	v_add_f64_e32 v[194:195], v[162:163], v[160:161]
	v_add_f64_e32 v[184:185], v[184:185], v[188:189]
	scratch_load_b128 v[160:163], off, off offset:336
	s_wait_loadcnt_dscnt 0xb01
	v_mul_f64_e32 v[188:189], v[4:5], v[146:147]
	v_mul_f64_e32 v[146:147], v[6:7], v[146:147]
	v_fmac_f64_e32 v[190:191], v[130:131], v[140:141]
	v_fma_f64 v[140:141], v[128:129], v[140:141], -v[142:143]
	scratch_load_b128 v[128:131], off, off offset:352
	v_add_f64_e32 v[142:143], v[194:195], v[192:193]
	v_add_f64_e32 v[184:185], v[184:185], v[186:187]
	s_wait_loadcnt_dscnt 0xb00
	v_mul_f64_e32 v[186:187], v[136:137], v[150:151]
	v_mul_f64_e32 v[150:151], v[138:139], v[150:151]
	v_fmac_f64_e32 v[188:189], v[6:7], v[144:145]
	v_fma_f64 v[192:193], v[4:5], v[144:145], -v[146:147]
	v_add_f64_e32 v[194:195], v[142:143], v[140:141]
	v_add_f64_e32 v[184:185], v[184:185], v[190:191]
	ds_load_b128 v[4:7], v2 offset:1120
	ds_load_b128 v[140:143], v2 offset:1136
	scratch_load_b128 v[144:147], off, off offset:368
	v_fmac_f64_e32 v[186:187], v[138:139], v[148:149]
	v_fma_f64 v[148:149], v[136:137], v[148:149], -v[150:151]
	scratch_load_b128 v[136:139], off, off offset:384
	s_wait_loadcnt_dscnt 0xc01
	v_mul_f64_e32 v[190:191], v[4:5], v[154:155]
	v_mul_f64_e32 v[154:155], v[6:7], v[154:155]
	v_add_f64_e32 v[150:151], v[194:195], v[192:193]
	v_add_f64_e32 v[184:185], v[184:185], v[188:189]
	s_wait_loadcnt_dscnt 0xb00
	v_mul_f64_e32 v[188:189], v[140:141], v[158:159]
	v_mul_f64_e32 v[158:159], v[142:143], v[158:159]
	v_fmac_f64_e32 v[190:191], v[6:7], v[152:153]
	v_fma_f64 v[192:193], v[4:5], v[152:153], -v[154:155]
	v_add_f64_e32 v[194:195], v[150:151], v[148:149]
	v_add_f64_e32 v[184:185], v[184:185], v[186:187]
	ds_load_b128 v[4:7], v2 offset:1152
	ds_load_b128 v[148:151], v2 offset:1168
	scratch_load_b128 v[152:155], off, off offset:400
	v_fmac_f64_e32 v[188:189], v[142:143], v[156:157]
	v_fma_f64 v[156:157], v[140:141], v[156:157], -v[158:159]
	scratch_load_b128 v[140:143], off, off offset:416
	s_wait_loadcnt_dscnt 0xc01
	v_mul_f64_e32 v[186:187], v[4:5], v[166:167]
	v_mul_f64_e32 v[166:167], v[6:7], v[166:167]
	;; [unrolled: 18-line block ×5, first 2 shown]
	v_add_f64_e32 v[178:179], v[194:195], v[192:193]
	v_add_f64_e32 v[184:185], v[184:185], v[190:191]
	s_wait_loadcnt_dscnt 0xa00
	v_mul_f64_e32 v[190:191], v[156:157], v[130:131]
	v_mul_f64_e32 v[130:131], v[158:159], v[130:131]
	v_fmac_f64_e32 v[186:187], v[6:7], v[160:161]
	v_fma_f64 v[192:193], v[4:5], v[160:161], -v[162:163]
	ds_load_b128 v[4:7], v2 offset:1280
	ds_load_b128 v[160:163], v2 offset:1296
	v_add_f64_e32 v[194:195], v[178:179], v[176:177]
	v_add_f64_e32 v[184:185], v[184:185], v[188:189]
	scratch_load_b128 v[176:179], off, off offset:528
	v_fmac_f64_e32 v[190:191], v[158:159], v[128:129]
	v_fma_f64 v[156:157], v[156:157], v[128:129], -v[130:131]
	scratch_load_b128 v[128:131], off, off offset:544
	s_wait_loadcnt_dscnt 0xb01
	v_mul_f64_e32 v[188:189], v[4:5], v[146:147]
	v_mul_f64_e32 v[146:147], v[6:7], v[146:147]
	v_add_f64_e32 v[158:159], v[194:195], v[192:193]
	v_add_f64_e32 v[184:185], v[184:185], v[186:187]
	s_wait_loadcnt_dscnt 0xa00
	v_mul_f64_e32 v[186:187], v[160:161], v[138:139]
	v_mul_f64_e32 v[138:139], v[162:163], v[138:139]
	v_fmac_f64_e32 v[188:189], v[6:7], v[144:145]
	v_fma_f64 v[192:193], v[4:5], v[144:145], -v[146:147]
	ds_load_b128 v[4:7], v2 offset:1312
	ds_load_b128 v[144:147], v2 offset:1328
	v_add_f64_e32 v[194:195], v[158:159], v[156:157]
	v_add_f64_e32 v[184:185], v[184:185], v[190:191]
	scratch_load_b128 v[156:159], off, off offset:560
	s_wait_loadcnt_dscnt 0xa01
	v_mul_f64_e32 v[190:191], v[4:5], v[154:155]
	v_mul_f64_e32 v[154:155], v[6:7], v[154:155]
	v_fmac_f64_e32 v[186:187], v[162:163], v[136:137]
	v_fma_f64 v[160:161], v[160:161], v[136:137], -v[138:139]
	scratch_load_b128 v[136:139], off, off offset:576
	v_add_f64_e32 v[162:163], v[194:195], v[192:193]
	v_add_f64_e32 v[184:185], v[184:185], v[188:189]
	s_wait_loadcnt_dscnt 0xa00
	v_mul_f64_e32 v[188:189], v[144:145], v[142:143]
	v_mul_f64_e32 v[142:143], v[146:147], v[142:143]
	v_fmac_f64_e32 v[190:191], v[6:7], v[152:153]
	v_fma_f64 v[192:193], v[4:5], v[152:153], -v[154:155]
	ds_load_b128 v[4:7], v2 offset:1344
	ds_load_b128 v[152:155], v2 offset:1360
	v_add_f64_e32 v[194:195], v[162:163], v[160:161]
	v_add_f64_e32 v[184:185], v[184:185], v[186:187]
	scratch_load_b128 v[160:163], off, off offset:592
	s_wait_loadcnt_dscnt 0xa01
	v_mul_f64_e32 v[186:187], v[4:5], v[166:167]
	v_mul_f64_e32 v[166:167], v[6:7], v[166:167]
	v_fmac_f64_e32 v[188:189], v[146:147], v[140:141]
	v_fma_f64 v[144:145], v[144:145], v[140:141], -v[142:143]
	scratch_load_b128 v[140:143], off, off offset:608
	v_add_f64_e32 v[146:147], v[194:195], v[192:193]
	v_add_f64_e32 v[184:185], v[184:185], v[190:191]
	s_wait_loadcnt_dscnt 0xa00
	v_mul_f64_e32 v[190:191], v[152:153], v[150:151]
	v_mul_f64_e32 v[150:151], v[154:155], v[150:151]
	v_fmac_f64_e32 v[186:187], v[6:7], v[164:165]
	v_fma_f64 v[192:193], v[4:5], v[164:165], -v[166:167]
	v_add_f64_e32 v[194:195], v[146:147], v[144:145]
	v_add_f64_e32 v[184:185], v[184:185], v[188:189]
	ds_load_b128 v[4:7], v2 offset:1376
	ds_load_b128 v[144:147], v2 offset:1392
	scratch_load_b128 v[164:167], off, off offset:624
	v_fmac_f64_e32 v[190:191], v[154:155], v[148:149]
	v_fma_f64 v[152:153], v[152:153], v[148:149], -v[150:151]
	scratch_load_b128 v[148:151], off, off offset:640
	s_wait_loadcnt_dscnt 0xb01
	v_mul_f64_e32 v[188:189], v[4:5], v[182:183]
	v_mul_f64_e32 v[182:183], v[6:7], v[182:183]
	v_add_f64_e32 v[154:155], v[194:195], v[192:193]
	v_add_f64_e32 v[184:185], v[184:185], v[186:187]
	s_wait_loadcnt_dscnt 0xa00
	v_mul_f64_e32 v[186:187], v[144:145], v[10:11]
	v_mul_f64_e32 v[10:11], v[146:147], v[10:11]
	v_fmac_f64_e32 v[188:189], v[6:7], v[180:181]
	v_fma_f64 v[192:193], v[4:5], v[180:181], -v[182:183]
	v_add_f64_e32 v[194:195], v[154:155], v[152:153]
	v_add_f64_e32 v[184:185], v[184:185], v[190:191]
	ds_load_b128 v[4:7], v2 offset:1408
	ds_load_b128 v[152:155], v2 offset:1424
	scratch_load_b128 v[180:183], off, off offset:656
	v_fmac_f64_e32 v[186:187], v[146:147], v[8:9]
	v_fma_f64 v[144:145], v[144:145], v[8:9], -v[10:11]
	scratch_load_b128 v[8:11], off, off offset:672
	s_wait_loadcnt_dscnt 0xb01
	v_mul_f64_e32 v[190:191], v[4:5], v[170:171]
	v_mul_f64_e32 v[170:171], v[6:7], v[170:171]
	;; [unrolled: 18-line block ×9, first 2 shown]
	v_add_f64_e32 v[154:155], v[194:195], v[192:193]
	v_add_f64_e32 v[184:185], v[184:185], v[190:191]
	s_wait_loadcnt_dscnt 0xa00
	v_mul_f64_e32 v[190:191], v[144:145], v[130:131]
	v_mul_f64_e32 v[130:131], v[146:147], v[130:131]
	v_fmac_f64_e32 v[186:187], v[6:7], v[176:177]
	v_fma_f64 v[176:177], v[4:5], v[176:177], -v[178:179]
	v_add_f64_e32 v[178:179], v[154:155], v[152:153]
	v_add_f64_e32 v[184:185], v[184:185], v[188:189]
	ds_load_b128 v[4:7], v2 offset:1664
	ds_load_b128 v[152:155], v2 offset:1680
	v_fmac_f64_e32 v[190:191], v[146:147], v[128:129]
	v_fma_f64 v[128:129], v[144:145], v[128:129], -v[130:131]
	s_wait_loadcnt_dscnt 0x901
	v_mul_f64_e32 v[188:189], v[4:5], v[158:159]
	v_mul_f64_e32 v[158:159], v[6:7], v[158:159]
	s_wait_loadcnt_dscnt 0x800
	v_mul_f64_e32 v[146:147], v[152:153], v[138:139]
	v_mul_f64_e32 v[138:139], v[154:155], v[138:139]
	v_add_f64_e32 v[130:131], v[178:179], v[176:177]
	v_add_f64_e32 v[144:145], v[184:185], v[186:187]
	v_fmac_f64_e32 v[188:189], v[6:7], v[156:157]
	v_fma_f64 v[156:157], v[4:5], v[156:157], -v[158:159]
	v_fmac_f64_e32 v[146:147], v[154:155], v[136:137]
	v_fma_f64 v[136:137], v[152:153], v[136:137], -v[138:139]
	v_add_f64_e32 v[158:159], v[130:131], v[128:129]
	v_add_f64_e32 v[144:145], v[144:145], v[190:191]
	ds_load_b128 v[4:7], v2 offset:1696
	ds_load_b128 v[128:131], v2 offset:1712
	s_wait_loadcnt_dscnt 0x701
	v_mul_f64_e32 v[176:177], v[4:5], v[162:163]
	v_mul_f64_e32 v[162:163], v[6:7], v[162:163]
	s_wait_loadcnt_dscnt 0x600
	v_mul_f64_e32 v[152:153], v[128:129], v[142:143]
	v_mul_f64_e32 v[142:143], v[130:131], v[142:143]
	v_add_f64_e32 v[138:139], v[158:159], v[156:157]
	v_add_f64_e32 v[144:145], v[144:145], v[188:189]
	v_fmac_f64_e32 v[176:177], v[6:7], v[160:161]
	v_fma_f64 v[154:155], v[4:5], v[160:161], -v[162:163]
	v_fmac_f64_e32 v[152:153], v[130:131], v[140:141]
	v_fma_f64 v[128:129], v[128:129], v[140:141], -v[142:143]
	v_add_f64_e32 v[156:157], v[138:139], v[136:137]
	v_add_f64_e32 v[144:145], v[144:145], v[146:147]
	ds_load_b128 v[4:7], v2 offset:1728
	ds_load_b128 v[136:139], v2 offset:1744
	s_wait_loadcnt_dscnt 0x501
	v_mul_f64_e32 v[146:147], v[4:5], v[166:167]
	v_mul_f64_e32 v[158:159], v[6:7], v[166:167]
	s_wait_loadcnt_dscnt 0x400
	v_mul_f64_e32 v[142:143], v[136:137], v[150:151]
	v_add_f64_e32 v[130:131], v[156:157], v[154:155]
	v_add_f64_e32 v[140:141], v[144:145], v[176:177]
	v_mul_f64_e32 v[144:145], v[138:139], v[150:151]
	v_fmac_f64_e32 v[146:147], v[6:7], v[164:165]
	v_fma_f64 v[150:151], v[4:5], v[164:165], -v[158:159]
	v_fmac_f64_e32 v[142:143], v[138:139], v[148:149]
	v_add_f64_e32 v[154:155], v[130:131], v[128:129]
	v_add_f64_e32 v[140:141], v[140:141], v[152:153]
	ds_load_b128 v[4:7], v2 offset:1760
	ds_load_b128 v[128:131], v2 offset:1776
	v_fma_f64 v[136:137], v[136:137], v[148:149], -v[144:145]
	s_wait_loadcnt_dscnt 0x301
	v_mul_f64_e32 v[152:153], v[4:5], v[182:183]
	v_mul_f64_e32 v[156:157], v[6:7], v[182:183]
	s_wait_loadcnt_dscnt 0x200
	v_mul_f64_e32 v[144:145], v[128:129], v[10:11]
	v_mul_f64_e32 v[10:11], v[130:131], v[10:11]
	v_add_f64_e32 v[138:139], v[154:155], v[150:151]
	v_add_f64_e32 v[140:141], v[140:141], v[146:147]
	v_fmac_f64_e32 v[152:153], v[6:7], v[180:181]
	v_fma_f64 v[146:147], v[4:5], v[180:181], -v[156:157]
	v_fmac_f64_e32 v[144:145], v[130:131], v[8:9]
	v_fma_f64 v[8:9], v[128:129], v[8:9], -v[10:11]
	v_add_f64_e32 v[148:149], v[138:139], v[136:137]
	v_add_f64_e32 v[140:141], v[140:141], v[142:143]
	ds_load_b128 v[4:7], v2 offset:1792
	ds_load_b128 v[136:139], v2 offset:1808
	s_wait_loadcnt_dscnt 0x101
	v_mul_f64_e32 v[2:3], v[4:5], v[170:171]
	v_mul_f64_e32 v[142:143], v[6:7], v[170:171]
	s_wait_loadcnt_dscnt 0x0
	v_mul_f64_e32 v[130:131], v[136:137], v[134:135]
	v_mul_f64_e32 v[134:135], v[138:139], v[134:135]
	v_add_f64_e32 v[10:11], v[148:149], v[146:147]
	v_add_f64_e32 v[128:129], v[140:141], v[152:153]
	v_fmac_f64_e32 v[2:3], v[6:7], v[168:169]
	v_fma_f64 v[4:5], v[4:5], v[168:169], -v[142:143]
	v_fmac_f64_e32 v[130:131], v[138:139], v[132:133]
	v_add_f64_e32 v[6:7], v[10:11], v[8:9]
	v_add_f64_e32 v[8:9], v[128:129], v[144:145]
	v_fma_f64 v[10:11], v[136:137], v[132:133], -v[134:135]
	s_delay_alu instid0(VALU_DEP_3) | instskip(NEXT) | instid1(VALU_DEP_3)
	v_add_f64_e32 v[4:5], v[6:7], v[4:5]
	v_add_f64_e32 v[2:3], v[8:9], v[2:3]
	s_delay_alu instid0(VALU_DEP_2) | instskip(NEXT) | instid1(VALU_DEP_2)
	v_add_f64_e32 v[4:5], v[4:5], v[10:11]
	v_add_f64_e32 v[6:7], v[2:3], v[130:131]
	s_delay_alu instid0(VALU_DEP_2) | instskip(NEXT) | instid1(VALU_DEP_2)
	v_add_f64_e64 v[2:3], v[172:173], -v[4:5]
	v_add_f64_e64 v[4:5], v[174:175], -v[6:7]
	scratch_store_b128 off, v[2:5], off offset:64
	s_wait_xcnt 0x0
	v_cmpx_lt_u32_e32 3, v1
	s_cbranch_execz .LBB120_349
; %bb.348:
	scratch_load_b128 v[2:5], off, s14
	v_mov_b32_e32 v6, 0
	s_delay_alu instid0(VALU_DEP_1)
	v_dual_mov_b32 v7, v6 :: v_dual_mov_b32 v8, v6
	v_mov_b32_e32 v9, v6
	scratch_store_b128 off, v[6:9], off offset:48
	s_wait_loadcnt 0x0
	ds_store_b128 v12, v[2:5]
.LBB120_349:
	s_wait_xcnt 0x0
	s_or_b32 exec_lo, exec_lo, s2
	s_wait_storecnt_dscnt 0x0
	s_barrier_signal -1
	s_barrier_wait -1
	s_clause 0x9
	scratch_load_b128 v[4:7], off, off offset:64
	scratch_load_b128 v[8:11], off, off offset:80
	;; [unrolled: 1-line block ×10, first 2 shown]
	v_mov_b32_e32 v2, 0
	s_mov_b32 s2, exec_lo
	ds_load_b128 v[160:163], v2 offset:976
	s_clause 0x2
	scratch_load_b128 v[164:167], off, off offset:224
	scratch_load_b128 v[168:171], off, off offset:48
	;; [unrolled: 1-line block ×3, first 2 shown]
	s_wait_loadcnt_dscnt 0xc00
	v_mul_f64_e32 v[180:181], v[162:163], v[6:7]
	v_mul_f64_e32 v[184:185], v[160:161], v[6:7]
	ds_load_b128 v[172:175], v2 offset:992
	v_fma_f64 v[188:189], v[160:161], v[4:5], -v[180:181]
	v_fmac_f64_e32 v[184:185], v[162:163], v[4:5]
	ds_load_b128 v[4:7], v2 offset:1008
	s_wait_loadcnt_dscnt 0xb01
	v_mul_f64_e32 v[186:187], v[172:173], v[10:11]
	v_mul_f64_e32 v[10:11], v[174:175], v[10:11]
	scratch_load_b128 v[160:163], off, off offset:256
	ds_load_b128 v[180:183], v2 offset:1024
	s_wait_loadcnt_dscnt 0xb01
	v_mul_f64_e32 v[190:191], v[4:5], v[130:131]
	v_mul_f64_e32 v[130:131], v[6:7], v[130:131]
	v_add_f64_e32 v[184:185], 0, v[184:185]
	v_fmac_f64_e32 v[186:187], v[174:175], v[8:9]
	v_fma_f64 v[172:173], v[172:173], v[8:9], -v[10:11]
	v_add_f64_e32 v[174:175], 0, v[188:189]
	scratch_load_b128 v[8:11], off, off offset:272
	v_fmac_f64_e32 v[190:191], v[6:7], v[128:129]
	v_fma_f64 v[192:193], v[4:5], v[128:129], -v[130:131]
	ds_load_b128 v[4:7], v2 offset:1040
	s_wait_loadcnt_dscnt 0xb01
	v_mul_f64_e32 v[188:189], v[180:181], v[134:135]
	v_mul_f64_e32 v[134:135], v[182:183], v[134:135]
	scratch_load_b128 v[128:131], off, off offset:288
	v_add_f64_e32 v[184:185], v[184:185], v[186:187]
	v_add_f64_e32 v[194:195], v[174:175], v[172:173]
	ds_load_b128 v[172:175], v2 offset:1056
	s_wait_loadcnt_dscnt 0xb01
	v_mul_f64_e32 v[186:187], v[4:5], v[138:139]
	v_mul_f64_e32 v[138:139], v[6:7], v[138:139]
	v_fmac_f64_e32 v[188:189], v[182:183], v[132:133]
	v_fma_f64 v[180:181], v[180:181], v[132:133], -v[134:135]
	scratch_load_b128 v[132:135], off, off offset:304
	v_add_f64_e32 v[184:185], v[184:185], v[190:191]
	v_add_f64_e32 v[182:183], v[194:195], v[192:193]
	v_fmac_f64_e32 v[186:187], v[6:7], v[136:137]
	v_fma_f64 v[192:193], v[4:5], v[136:137], -v[138:139]
	ds_load_b128 v[4:7], v2 offset:1072
	s_wait_loadcnt_dscnt 0xb01
	v_mul_f64_e32 v[190:191], v[172:173], v[142:143]
	v_mul_f64_e32 v[142:143], v[174:175], v[142:143]
	scratch_load_b128 v[136:139], off, off offset:320
	v_add_f64_e32 v[184:185], v[184:185], v[188:189]
	s_wait_loadcnt_dscnt 0xb00
	v_mul_f64_e32 v[188:189], v[4:5], v[146:147]
	v_add_f64_e32 v[194:195], v[182:183], v[180:181]
	v_mul_f64_e32 v[146:147], v[6:7], v[146:147]
	ds_load_b128 v[180:183], v2 offset:1088
	v_fmac_f64_e32 v[190:191], v[174:175], v[140:141]
	v_fma_f64 v[172:173], v[172:173], v[140:141], -v[142:143]
	scratch_load_b128 v[140:143], off, off offset:336
	v_add_f64_e32 v[184:185], v[184:185], v[186:187]
	v_fmac_f64_e32 v[188:189], v[6:7], v[144:145]
	v_add_f64_e32 v[174:175], v[194:195], v[192:193]
	v_fma_f64 v[192:193], v[4:5], v[144:145], -v[146:147]
	ds_load_b128 v[4:7], v2 offset:1104
	s_wait_loadcnt_dscnt 0xb01
	v_mul_f64_e32 v[186:187], v[180:181], v[150:151]
	v_mul_f64_e32 v[150:151], v[182:183], v[150:151]
	scratch_load_b128 v[144:147], off, off offset:352
	v_add_f64_e32 v[184:185], v[184:185], v[190:191]
	s_wait_loadcnt_dscnt 0xb00
	v_mul_f64_e32 v[190:191], v[4:5], v[154:155]
	v_add_f64_e32 v[194:195], v[174:175], v[172:173]
	v_mul_f64_e32 v[154:155], v[6:7], v[154:155]
	ds_load_b128 v[172:175], v2 offset:1120
	v_fmac_f64_e32 v[186:187], v[182:183], v[148:149]
	v_fma_f64 v[180:181], v[180:181], v[148:149], -v[150:151]
	scratch_load_b128 v[148:151], off, off offset:368
	v_add_f64_e32 v[184:185], v[184:185], v[188:189]
	v_fmac_f64_e32 v[190:191], v[6:7], v[152:153]
	v_add_f64_e32 v[182:183], v[194:195], v[192:193]
	;; [unrolled: 18-line block ×3, first 2 shown]
	v_fma_f64 v[192:193], v[4:5], v[164:165], -v[166:167]
	ds_load_b128 v[4:7], v2 offset:1168
	s_wait_loadcnt_dscnt 0xa01
	v_mul_f64_e32 v[190:191], v[180:181], v[178:179]
	v_mul_f64_e32 v[178:179], v[182:183], v[178:179]
	scratch_load_b128 v[164:167], off, off offset:416
	v_add_f64_e32 v[184:185], v[184:185], v[188:189]
	v_add_f64_e32 v[194:195], v[174:175], v[172:173]
	s_wait_loadcnt_dscnt 0xa00
	v_mul_f64_e32 v[188:189], v[4:5], v[162:163]
	v_mul_f64_e32 v[162:163], v[6:7], v[162:163]
	v_fmac_f64_e32 v[190:191], v[182:183], v[176:177]
	v_fma_f64 v[180:181], v[180:181], v[176:177], -v[178:179]
	ds_load_b128 v[172:175], v2 offset:1184
	scratch_load_b128 v[176:179], off, off offset:432
	v_add_f64_e32 v[184:185], v[184:185], v[186:187]
	v_add_f64_e32 v[182:183], v[194:195], v[192:193]
	v_fmac_f64_e32 v[188:189], v[6:7], v[160:161]
	v_fma_f64 v[192:193], v[4:5], v[160:161], -v[162:163]
	ds_load_b128 v[4:7], v2 offset:1200
	s_wait_loadcnt_dscnt 0xa01
	v_mul_f64_e32 v[186:187], v[172:173], v[10:11]
	v_mul_f64_e32 v[10:11], v[174:175], v[10:11]
	scratch_load_b128 v[160:163], off, off offset:448
	v_add_f64_e32 v[184:185], v[184:185], v[190:191]
	s_wait_loadcnt_dscnt 0xa00
	v_mul_f64_e32 v[190:191], v[4:5], v[130:131]
	v_add_f64_e32 v[194:195], v[182:183], v[180:181]
	v_mul_f64_e32 v[130:131], v[6:7], v[130:131]
	ds_load_b128 v[180:183], v2 offset:1216
	v_fmac_f64_e32 v[186:187], v[174:175], v[8:9]
	v_fma_f64 v[172:173], v[172:173], v[8:9], -v[10:11]
	scratch_load_b128 v[8:11], off, off offset:464
	v_add_f64_e32 v[184:185], v[184:185], v[188:189]
	v_fmac_f64_e32 v[190:191], v[6:7], v[128:129]
	v_add_f64_e32 v[174:175], v[194:195], v[192:193]
	v_fma_f64 v[192:193], v[4:5], v[128:129], -v[130:131]
	ds_load_b128 v[4:7], v2 offset:1232
	s_wait_loadcnt_dscnt 0xa01
	v_mul_f64_e32 v[188:189], v[180:181], v[134:135]
	v_mul_f64_e32 v[134:135], v[182:183], v[134:135]
	scratch_load_b128 v[128:131], off, off offset:480
	v_add_f64_e32 v[184:185], v[184:185], v[186:187]
	s_wait_loadcnt_dscnt 0xa00
	v_mul_f64_e32 v[186:187], v[4:5], v[138:139]
	v_add_f64_e32 v[194:195], v[174:175], v[172:173]
	v_mul_f64_e32 v[138:139], v[6:7], v[138:139]
	ds_load_b128 v[172:175], v2 offset:1248
	v_fmac_f64_e32 v[188:189], v[182:183], v[132:133]
	v_fma_f64 v[180:181], v[180:181], v[132:133], -v[134:135]
	scratch_load_b128 v[132:135], off, off offset:496
	v_add_f64_e32 v[184:185], v[184:185], v[190:191]
	v_fmac_f64_e32 v[186:187], v[6:7], v[136:137]
	v_add_f64_e32 v[182:183], v[194:195], v[192:193]
	;; [unrolled: 18-line block ×14, first 2 shown]
	v_fma_f64 v[192:193], v[4:5], v[136:137], -v[138:139]
	ds_load_b128 v[4:7], v2 offset:1648
	s_wait_loadcnt_dscnt 0xa01
	v_mul_f64_e32 v[190:191], v[172:173], v[142:143]
	v_mul_f64_e32 v[142:143], v[174:175], v[142:143]
	scratch_load_b128 v[136:139], off, off offset:896
	v_add_f64_e32 v[184:185], v[184:185], v[188:189]
	s_wait_loadcnt_dscnt 0xa00
	v_mul_f64_e32 v[188:189], v[4:5], v[146:147]
	v_add_f64_e32 v[194:195], v[182:183], v[180:181]
	v_mul_f64_e32 v[146:147], v[6:7], v[146:147]
	ds_load_b128 v[180:183], v2 offset:1664
	v_fmac_f64_e32 v[190:191], v[174:175], v[140:141]
	v_fma_f64 v[140:141], v[172:173], v[140:141], -v[142:143]
	s_wait_loadcnt_dscnt 0x900
	v_mul_f64_e32 v[174:175], v[180:181], v[150:151]
	v_mul_f64_e32 v[150:151], v[182:183], v[150:151]
	v_add_f64_e32 v[172:173], v[184:185], v[186:187]
	v_fmac_f64_e32 v[188:189], v[6:7], v[144:145]
	v_add_f64_e32 v[142:143], v[194:195], v[192:193]
	v_fma_f64 v[144:145], v[4:5], v[144:145], -v[146:147]
	v_fmac_f64_e32 v[174:175], v[182:183], v[148:149]
	v_fma_f64 v[148:149], v[180:181], v[148:149], -v[150:151]
	v_add_f64_e32 v[172:173], v[172:173], v[190:191]
	v_add_f64_e32 v[146:147], v[142:143], v[140:141]
	ds_load_b128 v[4:7], v2 offset:1680
	ds_load_b128 v[140:143], v2 offset:1696
	s_wait_loadcnt_dscnt 0x801
	v_mul_f64_e32 v[184:185], v[4:5], v[154:155]
	v_mul_f64_e32 v[154:155], v[6:7], v[154:155]
	s_wait_loadcnt_dscnt 0x700
	v_mul_f64_e32 v[150:151], v[140:141], v[158:159]
	v_mul_f64_e32 v[158:159], v[142:143], v[158:159]
	v_add_f64_e32 v[144:145], v[146:147], v[144:145]
	v_add_f64_e32 v[146:147], v[172:173], v[188:189]
	v_fmac_f64_e32 v[184:185], v[6:7], v[152:153]
	v_fma_f64 v[152:153], v[4:5], v[152:153], -v[154:155]
	v_fmac_f64_e32 v[150:151], v[142:143], v[156:157]
	v_fma_f64 v[140:141], v[140:141], v[156:157], -v[158:159]
	v_add_f64_e32 v[148:149], v[144:145], v[148:149]
	v_add_f64_e32 v[154:155], v[146:147], v[174:175]
	ds_load_b128 v[4:7], v2 offset:1712
	ds_load_b128 v[144:147], v2 offset:1728
	s_wait_loadcnt_dscnt 0x601
	v_mul_f64_e32 v[172:173], v[4:5], v[166:167]
	v_mul_f64_e32 v[166:167], v[6:7], v[166:167]
	v_add_f64_e32 v[142:143], v[148:149], v[152:153]
	v_add_f64_e32 v[148:149], v[154:155], v[184:185]
	s_wait_loadcnt_dscnt 0x500
	v_mul_f64_e32 v[152:153], v[144:145], v[178:179]
	v_mul_f64_e32 v[154:155], v[146:147], v[178:179]
	v_fmac_f64_e32 v[172:173], v[6:7], v[164:165]
	v_fma_f64 v[156:157], v[4:5], v[164:165], -v[166:167]
	v_add_f64_e32 v[158:159], v[142:143], v[140:141]
	v_add_f64_e32 v[148:149], v[148:149], v[150:151]
	ds_load_b128 v[4:7], v2 offset:1744
	ds_load_b128 v[140:143], v2 offset:1760
	v_fmac_f64_e32 v[152:153], v[146:147], v[176:177]
	v_fma_f64 v[144:145], v[144:145], v[176:177], -v[154:155]
	s_wait_loadcnt_dscnt 0x401
	v_mul_f64_e32 v[150:151], v[4:5], v[162:163]
	v_mul_f64_e32 v[162:163], v[6:7], v[162:163]
	s_wait_loadcnt_dscnt 0x300
	v_mul_f64_e32 v[154:155], v[140:141], v[10:11]
	v_mul_f64_e32 v[10:11], v[142:143], v[10:11]
	v_add_f64_e32 v[146:147], v[158:159], v[156:157]
	v_add_f64_e32 v[148:149], v[148:149], v[172:173]
	v_fmac_f64_e32 v[150:151], v[6:7], v[160:161]
	v_fma_f64 v[156:157], v[4:5], v[160:161], -v[162:163]
	v_fmac_f64_e32 v[154:155], v[142:143], v[8:9]
	v_fma_f64 v[8:9], v[140:141], v[8:9], -v[10:11]
	v_add_f64_e32 v[158:159], v[146:147], v[144:145]
	v_add_f64_e32 v[148:149], v[148:149], v[152:153]
	ds_load_b128 v[4:7], v2 offset:1776
	ds_load_b128 v[144:147], v2 offset:1792
	s_wait_loadcnt_dscnt 0x201
	v_mul_f64_e32 v[152:153], v[4:5], v[130:131]
	v_mul_f64_e32 v[130:131], v[6:7], v[130:131]
	s_wait_loadcnt_dscnt 0x100
	v_mul_f64_e32 v[142:143], v[144:145], v[134:135]
	v_mul_f64_e32 v[134:135], v[146:147], v[134:135]
	v_add_f64_e32 v[10:11], v[158:159], v[156:157]
	v_add_f64_e32 v[140:141], v[148:149], v[150:151]
	v_fmac_f64_e32 v[152:153], v[6:7], v[128:129]
	v_fma_f64 v[128:129], v[4:5], v[128:129], -v[130:131]
	ds_load_b128 v[4:7], v2 offset:1808
	v_fmac_f64_e32 v[142:143], v[146:147], v[132:133]
	v_fma_f64 v[132:133], v[144:145], v[132:133], -v[134:135]
	v_add_f64_e32 v[8:9], v[10:11], v[8:9]
	v_add_f64_e32 v[10:11], v[140:141], v[154:155]
	s_wait_loadcnt_dscnt 0x0
	v_mul_f64_e32 v[130:131], v[4:5], v[138:139]
	v_mul_f64_e32 v[138:139], v[6:7], v[138:139]
	s_delay_alu instid0(VALU_DEP_4) | instskip(NEXT) | instid1(VALU_DEP_4)
	v_add_f64_e32 v[8:9], v[8:9], v[128:129]
	v_add_f64_e32 v[10:11], v[10:11], v[152:153]
	s_delay_alu instid0(VALU_DEP_4) | instskip(NEXT) | instid1(VALU_DEP_4)
	v_fmac_f64_e32 v[130:131], v[6:7], v[136:137]
	v_fma_f64 v[4:5], v[4:5], v[136:137], -v[138:139]
	s_delay_alu instid0(VALU_DEP_4) | instskip(NEXT) | instid1(VALU_DEP_4)
	v_add_f64_e32 v[6:7], v[8:9], v[132:133]
	v_add_f64_e32 v[8:9], v[10:11], v[142:143]
	s_delay_alu instid0(VALU_DEP_2) | instskip(NEXT) | instid1(VALU_DEP_2)
	v_add_f64_e32 v[4:5], v[6:7], v[4:5]
	v_add_f64_e32 v[6:7], v[8:9], v[130:131]
	s_delay_alu instid0(VALU_DEP_2) | instskip(NEXT) | instid1(VALU_DEP_2)
	v_add_f64_e64 v[4:5], v[168:169], -v[4:5]
	v_add_f64_e64 v[6:7], v[170:171], -v[6:7]
	scratch_store_b128 off, v[4:7], off offset:48
	s_wait_xcnt 0x0
	v_cmpx_lt_u32_e32 2, v1
	s_cbranch_execz .LBB120_351
; %bb.350:
	scratch_load_b128 v[6:9], off, s16
	v_dual_mov_b32 v3, v2 :: v_dual_mov_b32 v4, v2
	v_mov_b32_e32 v5, v2
	scratch_store_b128 off, v[2:5], off offset:32
	s_wait_loadcnt 0x0
	ds_store_b128 v12, v[6:9]
.LBB120_351:
	s_wait_xcnt 0x0
	s_or_b32 exec_lo, exec_lo, s2
	s_wait_storecnt_dscnt 0x0
	s_barrier_signal -1
	s_barrier_wait -1
	s_clause 0x9
	scratch_load_b128 v[4:7], off, off offset:48
	scratch_load_b128 v[8:11], off, off offset:64
	scratch_load_b128 v[128:131], off, off offset:80
	scratch_load_b128 v[132:135], off, off offset:96
	scratch_load_b128 v[136:139], off, off offset:112
	scratch_load_b128 v[140:143], off, off offset:128
	scratch_load_b128 v[144:147], off, off offset:144
	scratch_load_b128 v[148:151], off, off offset:160
	scratch_load_b128 v[152:155], off, off offset:176
	scratch_load_b128 v[156:159], off, off offset:192
	ds_load_b128 v[160:163], v2 offset:960
	ds_load_b128 v[168:171], v2 offset:976
	s_clause 0x2
	scratch_load_b128 v[164:167], off, off offset:208
	scratch_load_b128 v[172:175], off, off offset:32
	;; [unrolled: 1-line block ×3, first 2 shown]
	s_mov_b32 s2, exec_lo
	v_ashrrev_i32_e32 v21, 31, v20
	v_ashrrev_i32_e32 v25, 31, v24
	;; [unrolled: 1-line block ×3, first 2 shown]
	v_dual_ashrrev_i32 v33, 31, v32 :: v_dual_ashrrev_i32 v19, 31, v18
	v_dual_ashrrev_i32 v23, 31, v22 :: v_dual_ashrrev_i32 v37, 31, v36
	;; [unrolled: 1-line block ×8, first 2 shown]
	v_ashrrev_i32_e32 v65, 31, v64
	v_ashrrev_i32_e32 v69, 31, v68
	v_dual_ashrrev_i32 v73, 31, v72 :: v_dual_ashrrev_i32 v51, 31, v50
	v_ashrrev_i32_e32 v55, 31, v54
	v_ashrrev_i32_e32 v59, 31, v58
	v_dual_ashrrev_i32 v63, 31, v62 :: v_dual_ashrrev_i32 v77, 31, v76
	v_dual_ashrrev_i32 v81, 31, v80 :: v_dual_ashrrev_i32 v67, 31, v66
	;; [unrolled: 1-line block ×3, first 2 shown]
	v_ashrrev_i32_e32 v89, 31, v88
	v_dual_ashrrev_i32 v93, 31, v92 :: v_dual_ashrrev_i32 v75, 31, v74
	v_dual_ashrrev_i32 v97, 31, v96 :: v_dual_ashrrev_i32 v79, 31, v78
	v_ashrrev_i32_e32 v101, 31, v100
	v_dual_ashrrev_i32 v105, 31, v104 :: v_dual_ashrrev_i32 v83, 31, v82
	v_ashrrev_i32_e32 v87, 31, v86
	v_dual_ashrrev_i32 v91, 31, v90 :: v_dual_ashrrev_i32 v109, 31, v108
	v_dual_ashrrev_i32 v113, 31, v112 :: v_dual_ashrrev_i32 v95, 31, v94
	;; [unrolled: 1-line block ×3, first 2 shown]
	v_ashrrev_i32_e32 v121, 31, v120
	v_dual_ashrrev_i32 v125, 31, v124 :: v_dual_ashrrev_i32 v103, 31, v102
	v_ashrrev_i32_e32 v107, 31, v106
	v_ashrrev_i32_e32 v111, 31, v110
	;; [unrolled: 1-line block ×6, first 2 shown]
	s_wait_loadcnt_dscnt 0xc01
	v_mul_f64_e32 v[180:181], v[162:163], v[6:7]
	v_mul_f64_e32 v[184:185], v[160:161], v[6:7]
	s_wait_loadcnt_dscnt 0xb00
	v_mul_f64_e32 v[186:187], v[168:169], v[10:11]
	v_mul_f64_e32 v[10:11], v[170:171], v[10:11]
	s_delay_alu instid0(VALU_DEP_4) | instskip(NEXT) | instid1(VALU_DEP_4)
	v_fma_f64 v[188:189], v[160:161], v[4:5], -v[180:181]
	v_fmac_f64_e32 v[184:185], v[162:163], v[4:5]
	ds_load_b128 v[4:7], v2 offset:992
	ds_load_b128 v[180:183], v2 offset:1008
	scratch_load_b128 v[160:163], off, off offset:240
	v_fmac_f64_e32 v[186:187], v[170:171], v[8:9]
	v_fma_f64 v[168:169], v[168:169], v[8:9], -v[10:11]
	scratch_load_b128 v[8:11], off, off offset:256
	s_wait_loadcnt_dscnt 0xc01
	v_mul_f64_e32 v[190:191], v[4:5], v[130:131]
	v_mul_f64_e32 v[130:131], v[6:7], v[130:131]
	v_add_f64_e32 v[170:171], 0, v[188:189]
	v_add_f64_e32 v[184:185], 0, v[184:185]
	s_wait_loadcnt_dscnt 0xb00
	v_mul_f64_e32 v[188:189], v[180:181], v[134:135]
	v_mul_f64_e32 v[134:135], v[182:183], v[134:135]
	v_fmac_f64_e32 v[190:191], v[6:7], v[128:129]
	v_fma_f64 v[192:193], v[4:5], v[128:129], -v[130:131]
	ds_load_b128 v[4:7], v2 offset:1024
	scratch_load_b128 v[128:131], off, off offset:272
	v_add_f64_e32 v[194:195], v[170:171], v[168:169]
	v_add_f64_e32 v[184:185], v[184:185], v[186:187]
	ds_load_b128 v[168:171], v2 offset:1040
	v_fmac_f64_e32 v[188:189], v[182:183], v[132:133]
	v_fma_f64 v[180:181], v[180:181], v[132:133], -v[134:135]
	scratch_load_b128 v[132:135], off, off offset:288
	s_wait_loadcnt_dscnt 0xc01
	v_mul_f64_e32 v[186:187], v[4:5], v[138:139]
	v_mul_f64_e32 v[138:139], v[6:7], v[138:139]
	v_add_f64_e32 v[182:183], v[194:195], v[192:193]
	v_add_f64_e32 v[184:185], v[184:185], v[190:191]
	s_wait_loadcnt_dscnt 0xb00
	v_mul_f64_e32 v[190:191], v[168:169], v[142:143]
	v_mul_f64_e32 v[142:143], v[170:171], v[142:143]
	v_fmac_f64_e32 v[186:187], v[6:7], v[136:137]
	v_fma_f64 v[192:193], v[4:5], v[136:137], -v[138:139]
	ds_load_b128 v[4:7], v2 offset:1056
	scratch_load_b128 v[136:139], off, off offset:304
	v_add_f64_e32 v[194:195], v[182:183], v[180:181]
	v_add_f64_e32 v[184:185], v[184:185], v[188:189]
	ds_load_b128 v[180:183], v2 offset:1072
	s_wait_loadcnt_dscnt 0xb01
	v_mul_f64_e32 v[188:189], v[4:5], v[146:147]
	v_mul_f64_e32 v[146:147], v[6:7], v[146:147]
	v_fmac_f64_e32 v[190:191], v[170:171], v[140:141]
	v_fma_f64 v[168:169], v[168:169], v[140:141], -v[142:143]
	scratch_load_b128 v[140:143], off, off offset:320
	v_add_f64_e32 v[170:171], v[194:195], v[192:193]
	v_add_f64_e32 v[184:185], v[184:185], v[186:187]
	s_wait_loadcnt_dscnt 0xb00
	v_mul_f64_e32 v[186:187], v[180:181], v[150:151]
	v_mul_f64_e32 v[150:151], v[182:183], v[150:151]
	v_fmac_f64_e32 v[188:189], v[6:7], v[144:145]
	v_fma_f64 v[192:193], v[4:5], v[144:145], -v[146:147]
	ds_load_b128 v[4:7], v2 offset:1088
	scratch_load_b128 v[144:147], off, off offset:336
	v_add_f64_e32 v[194:195], v[170:171], v[168:169]
	v_add_f64_e32 v[184:185], v[184:185], v[190:191]
	ds_load_b128 v[168:171], v2 offset:1104
	s_wait_loadcnt_dscnt 0xb01
	v_mul_f64_e32 v[190:191], v[4:5], v[154:155]
	v_mul_f64_e32 v[154:155], v[6:7], v[154:155]
	v_fmac_f64_e32 v[186:187], v[182:183], v[148:149]
	v_fma_f64 v[180:181], v[180:181], v[148:149], -v[150:151]
	scratch_load_b128 v[148:151], off, off offset:352
	;; [unrolled: 18-line block ×3, first 2 shown]
	v_add_f64_e32 v[170:171], v[194:195], v[192:193]
	v_add_f64_e32 v[184:185], v[184:185], v[190:191]
	s_wait_loadcnt_dscnt 0xa00
	v_mul_f64_e32 v[190:191], v[180:181], v[178:179]
	v_mul_f64_e32 v[178:179], v[182:183], v[178:179]
	v_fmac_f64_e32 v[186:187], v[6:7], v[164:165]
	v_fma_f64 v[192:193], v[4:5], v[164:165], -v[166:167]
	ds_load_b128 v[4:7], v2 offset:1152
	scratch_load_b128 v[164:167], off, off offset:400
	v_add_f64_e32 v[194:195], v[170:171], v[168:169]
	v_add_f64_e32 v[184:185], v[184:185], v[188:189]
	ds_load_b128 v[168:171], v2 offset:1168
	v_fmac_f64_e32 v[190:191], v[182:183], v[176:177]
	s_wait_loadcnt_dscnt 0xa01
	v_mul_f64_e32 v[188:189], v[4:5], v[162:163]
	v_mul_f64_e32 v[162:163], v[6:7], v[162:163]
	v_fma_f64 v[180:181], v[180:181], v[176:177], -v[178:179]
	scratch_load_b128 v[176:179], off, off offset:416
	v_add_f64_e32 v[182:183], v[194:195], v[192:193]
	v_add_f64_e32 v[184:185], v[184:185], v[186:187]
	s_wait_loadcnt_dscnt 0xa00
	v_mul_f64_e32 v[186:187], v[168:169], v[10:11]
	v_mul_f64_e32 v[10:11], v[170:171], v[10:11]
	v_fmac_f64_e32 v[188:189], v[6:7], v[160:161]
	v_fma_f64 v[192:193], v[4:5], v[160:161], -v[162:163]
	ds_load_b128 v[4:7], v2 offset:1184
	scratch_load_b128 v[160:163], off, off offset:432
	v_add_f64_e32 v[194:195], v[182:183], v[180:181]
	v_add_f64_e32 v[184:185], v[184:185], v[190:191]
	ds_load_b128 v[180:183], v2 offset:1200
	s_wait_loadcnt_dscnt 0xa01
	v_mul_f64_e32 v[190:191], v[4:5], v[130:131]
	v_mul_f64_e32 v[130:131], v[6:7], v[130:131]
	v_fmac_f64_e32 v[186:187], v[170:171], v[8:9]
	v_fma_f64 v[168:169], v[168:169], v[8:9], -v[10:11]
	scratch_load_b128 v[8:11], off, off offset:448
	v_add_f64_e32 v[170:171], v[194:195], v[192:193]
	v_add_f64_e32 v[184:185], v[184:185], v[188:189]
	s_wait_loadcnt_dscnt 0xa00
	v_mul_f64_e32 v[188:189], v[180:181], v[134:135]
	v_mul_f64_e32 v[134:135], v[182:183], v[134:135]
	v_fmac_f64_e32 v[190:191], v[6:7], v[128:129]
	v_fma_f64 v[192:193], v[4:5], v[128:129], -v[130:131]
	ds_load_b128 v[4:7], v2 offset:1216
	scratch_load_b128 v[128:131], off, off offset:464
	v_add_f64_e32 v[194:195], v[170:171], v[168:169]
	v_add_f64_e32 v[184:185], v[184:185], v[186:187]
	ds_load_b128 v[168:171], v2 offset:1232
	s_wait_loadcnt_dscnt 0xa01
	v_mul_f64_e32 v[186:187], v[4:5], v[138:139]
	v_mul_f64_e32 v[138:139], v[6:7], v[138:139]
	v_fmac_f64_e32 v[188:189], v[182:183], v[132:133]
	;; [unrolled: 18-line block ×15, first 2 shown]
	v_fma_f64 v[168:169], v[168:169], v[140:141], -v[142:143]
	scratch_load_b128 v[140:143], off, off offset:896
	v_add_f64_e32 v[170:171], v[194:195], v[192:193]
	v_add_f64_e32 v[184:185], v[184:185], v[186:187]
	s_wait_loadcnt_dscnt 0xa00
	v_mul_f64_e32 v[186:187], v[180:181], v[150:151]
	v_mul_f64_e32 v[150:151], v[182:183], v[150:151]
	v_fmac_f64_e32 v[188:189], v[6:7], v[144:145]
	v_fma_f64 v[192:193], v[4:5], v[144:145], -v[146:147]
	ds_load_b128 v[4:7], v2 offset:1664
	ds_load_b128 v[144:147], v2 offset:1680
	v_add_f64_e32 v[168:169], v[170:171], v[168:169]
	v_add_f64_e32 v[170:171], v[184:185], v[190:191]
	s_wait_loadcnt_dscnt 0x901
	v_mul_f64_e32 v[184:185], v[4:5], v[154:155]
	v_mul_f64_e32 v[154:155], v[6:7], v[154:155]
	v_fmac_f64_e32 v[186:187], v[182:183], v[148:149]
	v_fma_f64 v[148:149], v[180:181], v[148:149], -v[150:151]
	v_add_f64_e32 v[150:151], v[168:169], v[192:193]
	v_add_f64_e32 v[168:169], v[170:171], v[188:189]
	s_wait_loadcnt_dscnt 0x800
	v_mul_f64_e32 v[170:171], v[144:145], v[158:159]
	v_mul_f64_e32 v[158:159], v[146:147], v[158:159]
	v_fmac_f64_e32 v[184:185], v[6:7], v[152:153]
	v_fma_f64 v[152:153], v[4:5], v[152:153], -v[154:155]
	v_add_f64_e32 v[154:155], v[150:151], v[148:149]
	v_add_f64_e32 v[168:169], v[168:169], v[186:187]
	ds_load_b128 v[4:7], v2 offset:1696
	ds_load_b128 v[148:151], v2 offset:1712
	v_fmac_f64_e32 v[170:171], v[146:147], v[156:157]
	v_fma_f64 v[144:145], v[144:145], v[156:157], -v[158:159]
	s_wait_loadcnt_dscnt 0x701
	v_mul_f64_e32 v[180:181], v[4:5], v[166:167]
	v_mul_f64_e32 v[166:167], v[6:7], v[166:167]
	s_wait_loadcnt_dscnt 0x600
	v_mul_f64_e32 v[156:157], v[150:151], v[178:179]
	v_add_f64_e32 v[146:147], v[154:155], v[152:153]
	v_add_f64_e32 v[152:153], v[168:169], v[184:185]
	v_mul_f64_e32 v[154:155], v[148:149], v[178:179]
	v_fmac_f64_e32 v[180:181], v[6:7], v[164:165]
	v_fma_f64 v[158:159], v[4:5], v[164:165], -v[166:167]
	v_fma_f64 v[148:149], v[148:149], v[176:177], -v[156:157]
	v_add_f64_e32 v[164:165], v[146:147], v[144:145]
	v_add_f64_e32 v[152:153], v[152:153], v[170:171]
	ds_load_b128 v[4:7], v2 offset:1728
	ds_load_b128 v[144:147], v2 offset:1744
	v_fmac_f64_e32 v[154:155], v[150:151], v[176:177]
	s_wait_loadcnt_dscnt 0x501
	v_mul_f64_e32 v[166:167], v[4:5], v[162:163]
	v_mul_f64_e32 v[162:163], v[6:7], v[162:163]
	s_wait_loadcnt_dscnt 0x400
	v_mul_f64_e32 v[156:157], v[144:145], v[10:11]
	v_mul_f64_e32 v[10:11], v[146:147], v[10:11]
	v_add_f64_e32 v[150:151], v[164:165], v[158:159]
	v_add_f64_e32 v[152:153], v[152:153], v[180:181]
	v_fmac_f64_e32 v[166:167], v[6:7], v[160:161]
	v_fma_f64 v[158:159], v[4:5], v[160:161], -v[162:163]
	v_fmac_f64_e32 v[156:157], v[146:147], v[8:9]
	v_fma_f64 v[8:9], v[144:145], v[8:9], -v[10:11]
	v_add_f64_e32 v[160:161], v[150:151], v[148:149]
	v_add_f64_e32 v[152:153], v[152:153], v[154:155]
	ds_load_b128 v[4:7], v2 offset:1760
	ds_load_b128 v[148:151], v2 offset:1776
	s_wait_loadcnt_dscnt 0x301
	v_mul_f64_e32 v[154:155], v[4:5], v[130:131]
	v_mul_f64_e32 v[130:131], v[6:7], v[130:131]
	s_wait_loadcnt_dscnt 0x200
	v_mul_f64_e32 v[146:147], v[148:149], v[134:135]
	v_mul_f64_e32 v[134:135], v[150:151], v[134:135]
	v_add_f64_e32 v[10:11], v[160:161], v[158:159]
	v_add_f64_e32 v[144:145], v[152:153], v[166:167]
	v_fmac_f64_e32 v[154:155], v[6:7], v[128:129]
	v_fma_f64 v[128:129], v[4:5], v[128:129], -v[130:131]
	v_fmac_f64_e32 v[146:147], v[150:151], v[132:133]
	v_fma_f64 v[132:133], v[148:149], v[132:133], -v[134:135]
	v_add_f64_e32 v[130:131], v[10:11], v[8:9]
	v_add_f64_e32 v[144:145], v[144:145], v[156:157]
	ds_load_b128 v[4:7], v2 offset:1792
	ds_load_b128 v[8:11], v2 offset:1808
	s_wait_loadcnt_dscnt 0x101
	v_mul_f64_e32 v[2:3], v[4:5], v[138:139]
	v_mul_f64_e32 v[138:139], v[6:7], v[138:139]
	s_wait_loadcnt_dscnt 0x0
	v_mul_f64_e32 v[134:135], v[8:9], v[142:143]
	v_mul_f64_e32 v[142:143], v[10:11], v[142:143]
	v_add_f64_e32 v[128:129], v[130:131], v[128:129]
	v_add_f64_e32 v[130:131], v[144:145], v[154:155]
	v_fmac_f64_e32 v[2:3], v[6:7], v[136:137]
	v_fma_f64 v[4:5], v[4:5], v[136:137], -v[138:139]
	v_fmac_f64_e32 v[134:135], v[10:11], v[140:141]
	v_fma_f64 v[8:9], v[8:9], v[140:141], -v[142:143]
	v_add_f64_e32 v[6:7], v[128:129], v[132:133]
	v_add_f64_e32 v[128:129], v[130:131], v[146:147]
	s_delay_alu instid0(VALU_DEP_2) | instskip(NEXT) | instid1(VALU_DEP_2)
	v_add_f64_e32 v[4:5], v[6:7], v[4:5]
	v_add_f64_e32 v[2:3], v[128:129], v[2:3]
	s_delay_alu instid0(VALU_DEP_2) | instskip(NEXT) | instid1(VALU_DEP_2)
	;; [unrolled: 3-line block ×3, first 2 shown]
	v_add_f64_e64 v[2:3], v[172:173], -v[4:5]
	v_add_f64_e64 v[4:5], v[174:175], -v[6:7]
	scratch_store_b128 off, v[2:5], off offset:32
	s_wait_xcnt 0x0
	v_cmpx_lt_u32_e32 1, v1
	s_cbranch_execz .LBB120_353
; %bb.352:
	scratch_load_b128 v[2:5], off, s18
	v_mov_b32_e32 v6, 0
	s_delay_alu instid0(VALU_DEP_1)
	v_dual_mov_b32 v7, v6 :: v_dual_mov_b32 v8, v6
	v_mov_b32_e32 v9, v6
	scratch_store_b128 off, v[6:9], off offset:16
	s_wait_loadcnt 0x0
	ds_store_b128 v12, v[2:5]
.LBB120_353:
	s_wait_xcnt 0x0
	s_or_b32 exec_lo, exec_lo, s2
	s_wait_storecnt_dscnt 0x0
	s_barrier_signal -1
	s_barrier_wait -1
	s_clause 0x9
	scratch_load_b128 v[4:7], off, off offset:32
	scratch_load_b128 v[8:11], off, off offset:48
	;; [unrolled: 1-line block ×10, first 2 shown]
	v_mov_b32_e32 v2, 0
	s_mov_b32 s2, exec_lo
	ds_load_b128 v[160:163], v2 offset:944
	s_clause 0x2
	scratch_load_b128 v[164:167], off, off offset:192
	scratch_load_b128 v[168:171], off, off offset:16
	;; [unrolled: 1-line block ×3, first 2 shown]
	s_wait_loadcnt_dscnt 0xc00
	v_mul_f64_e32 v[180:181], v[162:163], v[6:7]
	v_mul_f64_e32 v[184:185], v[160:161], v[6:7]
	ds_load_b128 v[172:175], v2 offset:960
	v_fma_f64 v[188:189], v[160:161], v[4:5], -v[180:181]
	v_fmac_f64_e32 v[184:185], v[162:163], v[4:5]
	ds_load_b128 v[4:7], v2 offset:976
	s_wait_loadcnt_dscnt 0xb01
	v_mul_f64_e32 v[186:187], v[172:173], v[10:11]
	v_mul_f64_e32 v[10:11], v[174:175], v[10:11]
	scratch_load_b128 v[160:163], off, off offset:224
	ds_load_b128 v[180:183], v2 offset:992
	s_wait_loadcnt_dscnt 0xb01
	v_mul_f64_e32 v[190:191], v[4:5], v[130:131]
	v_mul_f64_e32 v[130:131], v[6:7], v[130:131]
	v_add_f64_e32 v[184:185], 0, v[184:185]
	v_fmac_f64_e32 v[186:187], v[174:175], v[8:9]
	v_fma_f64 v[172:173], v[172:173], v[8:9], -v[10:11]
	v_add_f64_e32 v[174:175], 0, v[188:189]
	scratch_load_b128 v[8:11], off, off offset:240
	v_fmac_f64_e32 v[190:191], v[6:7], v[128:129]
	v_fma_f64 v[192:193], v[4:5], v[128:129], -v[130:131]
	ds_load_b128 v[4:7], v2 offset:1008
	s_wait_loadcnt_dscnt 0xb01
	v_mul_f64_e32 v[188:189], v[180:181], v[134:135]
	v_mul_f64_e32 v[134:135], v[182:183], v[134:135]
	scratch_load_b128 v[128:131], off, off offset:256
	v_add_f64_e32 v[184:185], v[184:185], v[186:187]
	v_add_f64_e32 v[194:195], v[174:175], v[172:173]
	ds_load_b128 v[172:175], v2 offset:1024
	s_wait_loadcnt_dscnt 0xb01
	v_mul_f64_e32 v[186:187], v[4:5], v[138:139]
	v_mul_f64_e32 v[138:139], v[6:7], v[138:139]
	v_fmac_f64_e32 v[188:189], v[182:183], v[132:133]
	v_fma_f64 v[180:181], v[180:181], v[132:133], -v[134:135]
	scratch_load_b128 v[132:135], off, off offset:272
	v_add_f64_e32 v[184:185], v[184:185], v[190:191]
	v_add_f64_e32 v[182:183], v[194:195], v[192:193]
	v_fmac_f64_e32 v[186:187], v[6:7], v[136:137]
	v_fma_f64 v[192:193], v[4:5], v[136:137], -v[138:139]
	ds_load_b128 v[4:7], v2 offset:1040
	s_wait_loadcnt_dscnt 0xb01
	v_mul_f64_e32 v[190:191], v[172:173], v[142:143]
	v_mul_f64_e32 v[142:143], v[174:175], v[142:143]
	scratch_load_b128 v[136:139], off, off offset:288
	v_add_f64_e32 v[184:185], v[184:185], v[188:189]
	s_wait_loadcnt_dscnt 0xb00
	v_mul_f64_e32 v[188:189], v[4:5], v[146:147]
	v_add_f64_e32 v[194:195], v[182:183], v[180:181]
	v_mul_f64_e32 v[146:147], v[6:7], v[146:147]
	ds_load_b128 v[180:183], v2 offset:1056
	v_fmac_f64_e32 v[190:191], v[174:175], v[140:141]
	v_fma_f64 v[172:173], v[172:173], v[140:141], -v[142:143]
	scratch_load_b128 v[140:143], off, off offset:304
	v_add_f64_e32 v[184:185], v[184:185], v[186:187]
	v_fmac_f64_e32 v[188:189], v[6:7], v[144:145]
	v_add_f64_e32 v[174:175], v[194:195], v[192:193]
	v_fma_f64 v[192:193], v[4:5], v[144:145], -v[146:147]
	ds_load_b128 v[4:7], v2 offset:1072
	s_wait_loadcnt_dscnt 0xb01
	v_mul_f64_e32 v[186:187], v[180:181], v[150:151]
	v_mul_f64_e32 v[150:151], v[182:183], v[150:151]
	scratch_load_b128 v[144:147], off, off offset:320
	v_add_f64_e32 v[184:185], v[184:185], v[190:191]
	s_wait_loadcnt_dscnt 0xb00
	v_mul_f64_e32 v[190:191], v[4:5], v[154:155]
	v_add_f64_e32 v[194:195], v[174:175], v[172:173]
	v_mul_f64_e32 v[154:155], v[6:7], v[154:155]
	ds_load_b128 v[172:175], v2 offset:1088
	v_fmac_f64_e32 v[186:187], v[182:183], v[148:149]
	v_fma_f64 v[180:181], v[180:181], v[148:149], -v[150:151]
	scratch_load_b128 v[148:151], off, off offset:336
	v_add_f64_e32 v[184:185], v[184:185], v[188:189]
	v_fmac_f64_e32 v[190:191], v[6:7], v[152:153]
	v_add_f64_e32 v[182:183], v[194:195], v[192:193]
	;; [unrolled: 18-line block ×3, first 2 shown]
	v_fma_f64 v[192:193], v[4:5], v[164:165], -v[166:167]
	ds_load_b128 v[4:7], v2 offset:1136
	s_wait_loadcnt_dscnt 0xa01
	v_mul_f64_e32 v[190:191], v[180:181], v[178:179]
	v_mul_f64_e32 v[178:179], v[182:183], v[178:179]
	scratch_load_b128 v[164:167], off, off offset:384
	v_add_f64_e32 v[184:185], v[184:185], v[188:189]
	v_add_f64_e32 v[194:195], v[174:175], v[172:173]
	s_wait_loadcnt_dscnt 0xa00
	v_mul_f64_e32 v[188:189], v[4:5], v[162:163]
	v_mul_f64_e32 v[162:163], v[6:7], v[162:163]
	v_fmac_f64_e32 v[190:191], v[182:183], v[176:177]
	v_fma_f64 v[180:181], v[180:181], v[176:177], -v[178:179]
	ds_load_b128 v[172:175], v2 offset:1152
	scratch_load_b128 v[176:179], off, off offset:400
	v_add_f64_e32 v[184:185], v[184:185], v[186:187]
	v_add_f64_e32 v[182:183], v[194:195], v[192:193]
	v_fmac_f64_e32 v[188:189], v[6:7], v[160:161]
	v_fma_f64 v[192:193], v[4:5], v[160:161], -v[162:163]
	ds_load_b128 v[4:7], v2 offset:1168
	s_wait_loadcnt_dscnt 0xa01
	v_mul_f64_e32 v[186:187], v[172:173], v[10:11]
	v_mul_f64_e32 v[10:11], v[174:175], v[10:11]
	scratch_load_b128 v[160:163], off, off offset:416
	v_add_f64_e32 v[184:185], v[184:185], v[190:191]
	s_wait_loadcnt_dscnt 0xa00
	v_mul_f64_e32 v[190:191], v[4:5], v[130:131]
	v_add_f64_e32 v[194:195], v[182:183], v[180:181]
	v_mul_f64_e32 v[130:131], v[6:7], v[130:131]
	ds_load_b128 v[180:183], v2 offset:1184
	v_fmac_f64_e32 v[186:187], v[174:175], v[8:9]
	v_fma_f64 v[172:173], v[172:173], v[8:9], -v[10:11]
	scratch_load_b128 v[8:11], off, off offset:432
	v_add_f64_e32 v[184:185], v[184:185], v[188:189]
	v_fmac_f64_e32 v[190:191], v[6:7], v[128:129]
	v_add_f64_e32 v[174:175], v[194:195], v[192:193]
	v_fma_f64 v[192:193], v[4:5], v[128:129], -v[130:131]
	ds_load_b128 v[4:7], v2 offset:1200
	s_wait_loadcnt_dscnt 0xa01
	v_mul_f64_e32 v[188:189], v[180:181], v[134:135]
	v_mul_f64_e32 v[134:135], v[182:183], v[134:135]
	scratch_load_b128 v[128:131], off, off offset:448
	v_add_f64_e32 v[184:185], v[184:185], v[186:187]
	s_wait_loadcnt_dscnt 0xa00
	v_mul_f64_e32 v[186:187], v[4:5], v[138:139]
	v_add_f64_e32 v[194:195], v[174:175], v[172:173]
	v_mul_f64_e32 v[138:139], v[6:7], v[138:139]
	ds_load_b128 v[172:175], v2 offset:1216
	v_fmac_f64_e32 v[188:189], v[182:183], v[132:133]
	v_fma_f64 v[180:181], v[180:181], v[132:133], -v[134:135]
	scratch_load_b128 v[132:135], off, off offset:464
	v_add_f64_e32 v[184:185], v[184:185], v[190:191]
	v_fmac_f64_e32 v[186:187], v[6:7], v[136:137]
	v_add_f64_e32 v[182:183], v[194:195], v[192:193]
	;; [unrolled: 18-line block ×15, first 2 shown]
	v_fma_f64 v[192:193], v[4:5], v[144:145], -v[146:147]
	ds_load_b128 v[4:7], v2 offset:1648
	s_wait_loadcnt_dscnt 0xa01
	v_mul_f64_e32 v[186:187], v[180:181], v[150:151]
	v_mul_f64_e32 v[150:151], v[182:183], v[150:151]
	scratch_load_b128 v[144:147], off, off offset:896
	v_add_f64_e32 v[184:185], v[184:185], v[190:191]
	s_wait_loadcnt_dscnt 0xa00
	v_mul_f64_e32 v[190:191], v[4:5], v[154:155]
	v_add_f64_e32 v[194:195], v[174:175], v[172:173]
	v_mul_f64_e32 v[154:155], v[6:7], v[154:155]
	ds_load_b128 v[172:175], v2 offset:1664
	v_fmac_f64_e32 v[186:187], v[182:183], v[148:149]
	v_fma_f64 v[148:149], v[180:181], v[148:149], -v[150:151]
	s_wait_loadcnt_dscnt 0x900
	v_mul_f64_e32 v[182:183], v[172:173], v[158:159]
	v_mul_f64_e32 v[158:159], v[174:175], v[158:159]
	v_add_f64_e32 v[180:181], v[184:185], v[188:189]
	v_fmac_f64_e32 v[190:191], v[6:7], v[152:153]
	v_add_f64_e32 v[150:151], v[194:195], v[192:193]
	v_fma_f64 v[152:153], v[4:5], v[152:153], -v[154:155]
	v_fmac_f64_e32 v[182:183], v[174:175], v[156:157]
	v_fma_f64 v[156:157], v[172:173], v[156:157], -v[158:159]
	v_add_f64_e32 v[180:181], v[180:181], v[186:187]
	v_add_f64_e32 v[154:155], v[150:151], v[148:149]
	ds_load_b128 v[4:7], v2 offset:1680
	ds_load_b128 v[148:151], v2 offset:1696
	s_wait_loadcnt_dscnt 0x801
	v_mul_f64_e32 v[184:185], v[4:5], v[166:167]
	v_mul_f64_e32 v[166:167], v[6:7], v[166:167]
	s_wait_loadcnt_dscnt 0x700
	v_mul_f64_e32 v[158:159], v[148:149], v[178:179]
	v_mul_f64_e32 v[172:173], v[150:151], v[178:179]
	v_add_f64_e32 v[152:153], v[154:155], v[152:153]
	v_add_f64_e32 v[154:155], v[180:181], v[190:191]
	v_fmac_f64_e32 v[184:185], v[6:7], v[164:165]
	v_fma_f64 v[164:165], v[4:5], v[164:165], -v[166:167]
	v_fmac_f64_e32 v[158:159], v[150:151], v[176:177]
	v_fma_f64 v[148:149], v[148:149], v[176:177], -v[172:173]
	v_add_f64_e32 v[156:157], v[152:153], v[156:157]
	v_add_f64_e32 v[166:167], v[154:155], v[182:183]
	ds_load_b128 v[4:7], v2 offset:1712
	ds_load_b128 v[152:155], v2 offset:1728
	s_wait_loadcnt_dscnt 0x601
	v_mul_f64_e32 v[174:175], v[4:5], v[162:163]
	v_mul_f64_e32 v[162:163], v[6:7], v[162:163]
	v_add_f64_e32 v[150:151], v[156:157], v[164:165]
	v_add_f64_e32 v[156:157], v[166:167], v[184:185]
	s_wait_loadcnt_dscnt 0x500
	v_mul_f64_e32 v[164:165], v[152:153], v[10:11]
	v_mul_f64_e32 v[10:11], v[154:155], v[10:11]
	v_fmac_f64_e32 v[174:175], v[6:7], v[160:161]
	v_fma_f64 v[160:161], v[4:5], v[160:161], -v[162:163]
	v_add_f64_e32 v[162:163], v[150:151], v[148:149]
	v_add_f64_e32 v[156:157], v[156:157], v[158:159]
	ds_load_b128 v[4:7], v2 offset:1744
	ds_load_b128 v[148:151], v2 offset:1760
	v_fmac_f64_e32 v[164:165], v[154:155], v[8:9]
	v_fma_f64 v[8:9], v[152:153], v[8:9], -v[10:11]
	s_wait_loadcnt_dscnt 0x401
	v_mul_f64_e32 v[158:159], v[4:5], v[130:131]
	v_mul_f64_e32 v[130:131], v[6:7], v[130:131]
	s_wait_loadcnt_dscnt 0x300
	v_mul_f64_e32 v[154:155], v[148:149], v[134:135]
	v_mul_f64_e32 v[134:135], v[150:151], v[134:135]
	v_add_f64_e32 v[10:11], v[162:163], v[160:161]
	v_add_f64_e32 v[152:153], v[156:157], v[174:175]
	v_fmac_f64_e32 v[158:159], v[6:7], v[128:129]
	v_fma_f64 v[128:129], v[4:5], v[128:129], -v[130:131]
	v_fmac_f64_e32 v[154:155], v[150:151], v[132:133]
	v_fma_f64 v[132:133], v[148:149], v[132:133], -v[134:135]
	v_add_f64_e32 v[130:131], v[10:11], v[8:9]
	v_add_f64_e32 v[152:153], v[152:153], v[164:165]
	ds_load_b128 v[4:7], v2 offset:1776
	ds_load_b128 v[8:11], v2 offset:1792
	s_wait_loadcnt_dscnt 0x201
	v_mul_f64_e32 v[156:157], v[4:5], v[138:139]
	v_mul_f64_e32 v[138:139], v[6:7], v[138:139]
	s_wait_loadcnt_dscnt 0x100
	v_mul_f64_e32 v[134:135], v[8:9], v[142:143]
	v_mul_f64_e32 v[142:143], v[10:11], v[142:143]
	v_add_f64_e32 v[128:129], v[130:131], v[128:129]
	v_add_f64_e32 v[130:131], v[152:153], v[158:159]
	v_fmac_f64_e32 v[156:157], v[6:7], v[136:137]
	v_fma_f64 v[136:137], v[4:5], v[136:137], -v[138:139]
	ds_load_b128 v[4:7], v2 offset:1808
	v_fmac_f64_e32 v[134:135], v[10:11], v[140:141]
	v_fma_f64 v[8:9], v[8:9], v[140:141], -v[142:143]
	v_add_f64_e32 v[128:129], v[128:129], v[132:133]
	v_add_f64_e32 v[130:131], v[130:131], v[154:155]
	s_wait_loadcnt_dscnt 0x0
	v_mul_f64_e32 v[132:133], v[4:5], v[146:147]
	v_mul_f64_e32 v[138:139], v[6:7], v[146:147]
	s_delay_alu instid0(VALU_DEP_4) | instskip(NEXT) | instid1(VALU_DEP_4)
	v_add_f64_e32 v[10:11], v[128:129], v[136:137]
	v_add_f64_e32 v[128:129], v[130:131], v[156:157]
	s_delay_alu instid0(VALU_DEP_4) | instskip(NEXT) | instid1(VALU_DEP_4)
	v_fmac_f64_e32 v[132:133], v[6:7], v[144:145]
	v_fma_f64 v[4:5], v[4:5], v[144:145], -v[138:139]
	s_delay_alu instid0(VALU_DEP_4) | instskip(NEXT) | instid1(VALU_DEP_4)
	v_add_f64_e32 v[6:7], v[10:11], v[8:9]
	v_add_f64_e32 v[8:9], v[128:129], v[134:135]
	s_delay_alu instid0(VALU_DEP_2) | instskip(NEXT) | instid1(VALU_DEP_2)
	v_add_f64_e32 v[4:5], v[6:7], v[4:5]
	v_add_f64_e32 v[6:7], v[8:9], v[132:133]
	s_delay_alu instid0(VALU_DEP_2) | instskip(NEXT) | instid1(VALU_DEP_2)
	v_add_f64_e64 v[4:5], v[168:169], -v[4:5]
	v_add_f64_e64 v[6:7], v[170:171], -v[6:7]
	scratch_store_b128 off, v[4:7], off offset:16
	s_wait_xcnt 0x0
	v_cmpx_ne_u32_e32 0, v1
	s_cbranch_execz .LBB120_355
; %bb.354:
	scratch_load_b128 v[6:9], off, off
	v_dual_mov_b32 v3, v2 :: v_dual_mov_b32 v4, v2
	v_mov_b32_e32 v5, v2
	scratch_store_b128 off, v[2:5], off
	s_wait_loadcnt 0x0
	ds_store_b128 v12, v[6:9]
.LBB120_355:
	s_wait_xcnt 0x0
	s_or_b32 exec_lo, exec_lo, s2
	s_wait_storecnt_dscnt 0x0
	s_barrier_signal -1
	s_barrier_wait -1
	s_clause 0x9
	scratch_load_b128 v[4:7], off, off offset:16
	scratch_load_b128 v[8:11], off, off offset:32
	;; [unrolled: 1-line block ×10, first 2 shown]
	ds_load_b128 v[160:163], v2 offset:928
	ds_load_b128 v[168:171], v2 offset:944
	s_clause 0x2
	scratch_load_b128 v[164:167], off, off offset:176
	scratch_load_b128 v[174:177], off, off
	scratch_load_b128 v[178:181], off, off offset:192
	v_lshl_add_u64 v[62:63], v[62:63], 4, s[4:5]
	s_and_b32 vcc_lo, exec_lo, s69
	s_wait_loadcnt_dscnt 0xc01
	v_mul_f64_e32 v[12:13], v[162:163], v[6:7]
	v_mul_f64_e32 v[172:173], v[160:161], v[6:7]
	s_wait_loadcnt_dscnt 0xb00
	v_mul_f64_e32 v[182:183], v[168:169], v[10:11]
	v_mul_f64_e32 v[184:185], v[170:171], v[10:11]
	s_delay_alu instid0(VALU_DEP_4) | instskip(NEXT) | instid1(VALU_DEP_4)
	v_fma_f64 v[186:187], v[160:161], v[4:5], -v[12:13]
	v_fmac_f64_e32 v[172:173], v[162:163], v[4:5]
	ds_load_b128 v[4:7], v2 offset:960
	ds_load_b128 v[10:13], v2 offset:976
	scratch_load_b128 v[160:163], off, off offset:208
	v_fmac_f64_e32 v[182:183], v[170:171], v[8:9]
	v_fma_f64 v[8:9], v[168:169], v[8:9], -v[184:185]
	scratch_load_b128 v[168:171], off, off offset:224
	s_wait_loadcnt_dscnt 0xc01
	v_mul_f64_e32 v[188:189], v[4:5], v[130:131]
	v_mul_f64_e32 v[130:131], v[6:7], v[130:131]
	v_add_f64_e32 v[184:185], 0, v[186:187]
	v_add_f64_e32 v[172:173], 0, v[172:173]
	s_wait_loadcnt_dscnt 0xb00
	v_mul_f64_e32 v[186:187], v[10:11], v[134:135]
	v_mul_f64_e32 v[134:135], v[12:13], v[134:135]
	v_fmac_f64_e32 v[188:189], v[6:7], v[128:129]
	v_fma_f64 v[190:191], v[4:5], v[128:129], -v[130:131]
	ds_load_b128 v[4:7], v2 offset:992
	ds_load_b128 v[128:131], v2 offset:1008
	v_add_f64_e32 v[8:9], v[184:185], v[8:9]
	v_add_f64_e32 v[172:173], v[172:173], v[182:183]
	scratch_load_b128 v[182:185], off, off offset:240
	v_fmac_f64_e32 v[186:187], v[12:13], v[132:133]
	v_fma_f64 v[12:13], v[10:11], v[132:133], -v[134:135]
	s_wait_loadcnt_dscnt 0xb01
	v_mul_f64_e32 v[192:193], v[4:5], v[138:139]
	v_mul_f64_e32 v[138:139], v[6:7], v[138:139]
	v_add_f64_e32 v[132:133], v[8:9], v[190:191]
	v_add_f64_e32 v[134:135], v[172:173], v[188:189]
	scratch_load_b128 v[8:11], off, off offset:256
	s_wait_loadcnt_dscnt 0xb00
	v_mul_f64_e32 v[172:173], v[128:129], v[142:143]
	v_mul_f64_e32 v[142:143], v[130:131], v[142:143]
	v_fmac_f64_e32 v[192:193], v[6:7], v[136:137]
	v_fma_f64 v[188:189], v[4:5], v[136:137], -v[138:139]
	v_add_f64_e32 v[12:13], v[132:133], v[12:13]
	v_add_f64_e32 v[186:187], v[134:135], v[186:187]
	ds_load_b128 v[4:7], v2 offset:1024
	ds_load_b128 v[132:135], v2 offset:1040
	scratch_load_b128 v[136:139], off, off offset:272
	v_fmac_f64_e32 v[172:173], v[130:131], v[140:141]
	v_fma_f64 v[140:141], v[128:129], v[140:141], -v[142:143]
	scratch_load_b128 v[128:131], off, off offset:288
	s_wait_loadcnt_dscnt 0xc01
	v_mul_f64_e32 v[190:191], v[4:5], v[146:147]
	v_mul_f64_e32 v[146:147], v[6:7], v[146:147]
	v_add_f64_e32 v[12:13], v[12:13], v[188:189]
	v_add_f64_e32 v[142:143], v[186:187], v[192:193]
	s_wait_loadcnt_dscnt 0xb00
	v_mul_f64_e32 v[186:187], v[132:133], v[150:151]
	v_mul_f64_e32 v[150:151], v[134:135], v[150:151]
	v_fmac_f64_e32 v[190:191], v[6:7], v[144:145]
	v_fma_f64 v[188:189], v[4:5], v[144:145], -v[146:147]
	v_add_f64_e32 v[12:13], v[12:13], v[140:141]
	v_add_f64_e32 v[172:173], v[142:143], v[172:173]
	ds_load_b128 v[4:7], v2 offset:1056
	ds_load_b128 v[140:143], v2 offset:1072
	scratch_load_b128 v[144:147], off, off offset:304
	v_fmac_f64_e32 v[186:187], v[134:135], v[148:149]
	v_fma_f64 v[148:149], v[132:133], v[148:149], -v[150:151]
	scratch_load_b128 v[132:135], off, off offset:320
	s_wait_loadcnt_dscnt 0xc01
	v_mul_f64_e32 v[192:193], v[4:5], v[154:155]
	v_mul_f64_e32 v[154:155], v[6:7], v[154:155]
	v_add_f64_e32 v[12:13], v[12:13], v[188:189]
	v_add_f64_e32 v[150:151], v[172:173], v[190:191]
	;; [unrolled: 18-line block ×3, first 2 shown]
	s_wait_loadcnt_dscnt 0xa00
	v_mul_f64_e32 v[186:187], v[148:149], v[180:181]
	v_mul_f64_e32 v[180:181], v[150:151], v[180:181]
	v_fmac_f64_e32 v[190:191], v[6:7], v[164:165]
	v_fma_f64 v[188:189], v[4:5], v[164:165], -v[166:167]
	v_add_f64_e32 v[12:13], v[12:13], v[156:157]
	v_add_f64_e32 v[172:173], v[158:159], v[172:173]
	ds_load_b128 v[4:7], v2 offset:1120
	ds_load_b128 v[156:159], v2 offset:1136
	scratch_load_b128 v[164:167], off, off offset:368
	v_fmac_f64_e32 v[186:187], v[150:151], v[178:179]
	v_fma_f64 v[178:179], v[148:149], v[178:179], -v[180:181]
	scratch_load_b128 v[148:151], off, off offset:384
	s_wait_loadcnt_dscnt 0xb01
	v_mul_f64_e32 v[192:193], v[4:5], v[162:163]
	v_mul_f64_e32 v[162:163], v[6:7], v[162:163]
	s_wait_loadcnt_dscnt 0xa00
	v_mul_f64_e32 v[180:181], v[156:157], v[170:171]
	v_add_f64_e32 v[12:13], v[12:13], v[188:189]
	v_add_f64_e32 v[172:173], v[172:173], v[190:191]
	v_mul_f64_e32 v[188:189], v[158:159], v[170:171]
	v_fmac_f64_e32 v[192:193], v[6:7], v[160:161]
	v_fma_f64 v[190:191], v[4:5], v[160:161], -v[162:163]
	ds_load_b128 v[4:7], v2 offset:1152
	ds_load_b128 v[160:163], v2 offset:1168
	v_fmac_f64_e32 v[180:181], v[158:159], v[168:169]
	v_add_f64_e32 v[12:13], v[12:13], v[178:179]
	v_add_f64_e32 v[178:179], v[172:173], v[186:187]
	scratch_load_b128 v[170:173], off, off offset:400
	v_fma_f64 v[168:169], v[156:157], v[168:169], -v[188:189]
	scratch_load_b128 v[156:159], off, off offset:416
	s_wait_loadcnt_dscnt 0xb01
	v_mul_f64_e32 v[186:187], v[4:5], v[184:185]
	v_mul_f64_e32 v[184:185], v[6:7], v[184:185]
	v_add_f64_e32 v[12:13], v[12:13], v[190:191]
	v_add_f64_e32 v[178:179], v[178:179], v[192:193]
	s_wait_loadcnt_dscnt 0xa00
	v_mul_f64_e32 v[188:189], v[160:161], v[10:11]
	v_mul_f64_e32 v[190:191], v[162:163], v[10:11]
	v_fmac_f64_e32 v[186:187], v[6:7], v[182:183]
	v_fma_f64 v[182:183], v[4:5], v[182:183], -v[184:185]
	v_add_f64_e32 v[168:169], v[12:13], v[168:169]
	v_add_f64_e32 v[184:185], v[178:179], v[180:181]
	ds_load_b128 v[4:7], v2 offset:1184
	ds_load_b128 v[10:13], v2 offset:1200
	scratch_load_b128 v[178:181], off, off offset:432
	v_fmac_f64_e32 v[188:189], v[162:163], v[8:9]
	v_fma_f64 v[8:9], v[160:161], v[8:9], -v[190:191]
	scratch_load_b128 v[160:163], off, off offset:448
	s_wait_loadcnt_dscnt 0xb01
	v_mul_f64_e32 v[192:193], v[4:5], v[138:139]
	v_mul_f64_e32 v[138:139], v[6:7], v[138:139]
	v_add_f64_e32 v[168:169], v[168:169], v[182:183]
	v_add_f64_e32 v[182:183], v[184:185], v[186:187]
	s_wait_loadcnt_dscnt 0xa00
	v_mul_f64_e32 v[186:187], v[10:11], v[130:131]
	v_mul_f64_e32 v[130:131], v[12:13], v[130:131]
	v_fmac_f64_e32 v[192:193], v[6:7], v[136:137]
	v_fma_f64 v[190:191], v[4:5], v[136:137], -v[138:139]
	ds_load_b128 v[4:7], v2 offset:1216
	ds_load_b128 v[136:139], v2 offset:1232
	v_add_f64_e32 v[8:9], v[168:169], v[8:9]
	v_add_f64_e32 v[168:169], v[182:183], v[188:189]
	scratch_load_b128 v[182:185], off, off offset:464
	v_fmac_f64_e32 v[186:187], v[12:13], v[128:129]
	v_fma_f64 v[12:13], v[10:11], v[128:129], -v[130:131]
	s_wait_loadcnt_dscnt 0xa01
	v_mul_f64_e32 v[188:189], v[4:5], v[146:147]
	v_mul_f64_e32 v[146:147], v[6:7], v[146:147]
	v_add_f64_e32 v[128:129], v[8:9], v[190:191]
	v_add_f64_e32 v[130:131], v[168:169], v[192:193]
	scratch_load_b128 v[8:11], off, off offset:480
	s_wait_loadcnt_dscnt 0xa00
	v_mul_f64_e32 v[168:169], v[136:137], v[134:135]
	v_mul_f64_e32 v[134:135], v[138:139], v[134:135]
	v_fmac_f64_e32 v[188:189], v[6:7], v[144:145]
	v_fma_f64 v[190:191], v[4:5], v[144:145], -v[146:147]
	v_add_f64_e32 v[12:13], v[128:129], v[12:13]
	v_add_f64_e32 v[186:187], v[130:131], v[186:187]
	ds_load_b128 v[4:7], v2 offset:1248
	ds_load_b128 v[128:131], v2 offset:1264
	scratch_load_b128 v[144:147], off, off offset:496
	v_fmac_f64_e32 v[168:169], v[138:139], v[132:133]
	v_fma_f64 v[136:137], v[136:137], v[132:133], -v[134:135]
	scratch_load_b128 v[132:135], off, off offset:512
	s_wait_loadcnt_dscnt 0xb01
	v_mul_f64_e32 v[192:193], v[4:5], v[154:155]
	v_mul_f64_e32 v[154:155], v[6:7], v[154:155]
	v_add_f64_e32 v[12:13], v[12:13], v[190:191]
	v_add_f64_e32 v[138:139], v[186:187], v[188:189]
	s_wait_loadcnt_dscnt 0xa00
	v_mul_f64_e32 v[186:187], v[128:129], v[142:143]
	v_mul_f64_e32 v[142:143], v[130:131], v[142:143]
	v_fmac_f64_e32 v[192:193], v[6:7], v[152:153]
	v_fma_f64 v[188:189], v[4:5], v[152:153], -v[154:155]
	v_add_f64_e32 v[12:13], v[12:13], v[136:137]
	v_add_f64_e32 v[168:169], v[138:139], v[168:169]
	ds_load_b128 v[4:7], v2 offset:1280
	ds_load_b128 v[136:139], v2 offset:1296
	scratch_load_b128 v[152:155], off, off offset:528
	v_fmac_f64_e32 v[186:187], v[130:131], v[140:141]
	v_fma_f64 v[140:141], v[128:129], v[140:141], -v[142:143]
	scratch_load_b128 v[128:131], off, off offset:544
	s_wait_loadcnt_dscnt 0xb01
	v_mul_f64_e32 v[190:191], v[4:5], v[166:167]
	v_mul_f64_e32 v[166:167], v[6:7], v[166:167]
	v_add_f64_e32 v[12:13], v[12:13], v[188:189]
	v_add_f64_e32 v[142:143], v[168:169], v[192:193]
	;; [unrolled: 18-line block ×5, first 2 shown]
	s_wait_loadcnt_dscnt 0xa00
	v_mul_f64_e32 v[186:187], v[156:157], v[10:11]
	v_mul_f64_e32 v[188:189], v[158:159], v[10:11]
	v_fmac_f64_e32 v[192:193], v[6:7], v[182:183]
	v_fma_f64 v[182:183], v[4:5], v[182:183], -v[184:185]
	v_add_f64_e32 v[184:185], v[12:13], v[160:161]
	v_add_f64_e32 v[172:173], v[162:163], v[172:173]
	ds_load_b128 v[4:7], v2 offset:1408
	ds_load_b128 v[10:13], v2 offset:1424
	scratch_load_b128 v[160:163], off, off offset:656
	v_fmac_f64_e32 v[186:187], v[158:159], v[8:9]
	v_fma_f64 v[8:9], v[156:157], v[8:9], -v[188:189]
	scratch_load_b128 v[156:159], off, off offset:672
	s_wait_loadcnt_dscnt 0xb01
	v_mul_f64_e32 v[190:191], v[4:5], v[146:147]
	v_mul_f64_e32 v[146:147], v[6:7], v[146:147]
	s_wait_loadcnt_dscnt 0xa00
	v_mul_f64_e32 v[188:189], v[10:11], v[134:135]
	v_mul_f64_e32 v[134:135], v[12:13], v[134:135]
	v_add_f64_e32 v[182:183], v[184:185], v[182:183]
	v_add_f64_e32 v[172:173], v[172:173], v[192:193]
	v_fmac_f64_e32 v[190:191], v[6:7], v[144:145]
	v_fma_f64 v[192:193], v[4:5], v[144:145], -v[146:147]
	ds_load_b128 v[4:7], v2 offset:1440
	ds_load_b128 v[144:147], v2 offset:1456
	v_fmac_f64_e32 v[188:189], v[12:13], v[132:133]
	v_fma_f64 v[12:13], v[10:11], v[132:133], -v[134:135]
	v_add_f64_e32 v[8:9], v[182:183], v[8:9]
	v_add_f64_e32 v[172:173], v[172:173], v[186:187]
	scratch_load_b128 v[182:185], off, off offset:688
	s_wait_loadcnt_dscnt 0xa01
	v_mul_f64_e32 v[186:187], v[4:5], v[154:155]
	v_mul_f64_e32 v[154:155], v[6:7], v[154:155]
	v_add_f64_e32 v[132:133], v[8:9], v[192:193]
	v_add_f64_e32 v[134:135], v[172:173], v[190:191]
	scratch_load_b128 v[8:11], off, off offset:704
	s_wait_loadcnt_dscnt 0xa00
	v_mul_f64_e32 v[172:173], v[144:145], v[130:131]
	v_mul_f64_e32 v[190:191], v[146:147], v[130:131]
	v_fmac_f64_e32 v[186:187], v[6:7], v[152:153]
	v_fma_f64 v[192:193], v[4:5], v[152:153], -v[154:155]
	v_add_f64_e32 v[12:13], v[132:133], v[12:13]
	v_add_f64_e32 v[134:135], v[134:135], v[188:189]
	ds_load_b128 v[4:7], v2 offset:1472
	ds_load_b128 v[130:133], v2 offset:1488
	scratch_load_b128 v[152:155], off, off offset:720
	v_fmac_f64_e32 v[172:173], v[146:147], v[128:129]
	v_fma_f64 v[128:129], v[144:145], v[128:129], -v[190:191]
	scratch_load_b128 v[144:147], off, off offset:736
	s_wait_loadcnt_dscnt 0xb01
	v_mul_f64_e32 v[194:195], v[4:5], v[166:167]
	v_mul_f64_e32 v[166:167], v[6:7], v[166:167]
	s_wait_loadcnt_dscnt 0xa00
	v_mul_f64_e32 v[190:191], v[130:131], v[138:139]
	v_mul_f64_e32 v[138:139], v[132:133], v[138:139]
	v_add_f64_e32 v[12:13], v[12:13], v[192:193]
	v_add_f64_e32 v[134:135], v[134:135], v[186:187]
	v_fmac_f64_e32 v[194:195], v[6:7], v[164:165]
	v_fma_f64 v[192:193], v[4:5], v[164:165], -v[166:167]
	ds_load_b128 v[4:7], v2 offset:1504
	ds_load_b128 v[164:167], v2 offset:1520
	scratch_load_b128 v[186:189], off, off offset:752
	v_fmac_f64_e32 v[190:191], v[132:133], v[136:137]
	v_fma_f64 v[132:133], v[130:131], v[136:137], -v[138:139]
	v_add_f64_e32 v[12:13], v[12:13], v[128:129]
	v_add_f64_e32 v[128:129], v[134:135], v[172:173]
	s_wait_loadcnt_dscnt 0xa01
	v_mul_f64_e32 v[172:173], v[4:5], v[170:171]
	v_mul_f64_e32 v[134:135], v[6:7], v[170:171]
	s_wait_loadcnt_dscnt 0x900
	v_mul_f64_e32 v[170:171], v[164:165], v[142:143]
	v_mul_f64_e32 v[142:143], v[166:167], v[142:143]
	v_add_f64_e32 v[12:13], v[12:13], v[192:193]
	v_add_f64_e32 v[136:137], v[128:129], v[194:195]
	scratch_load_b128 v[128:131], off, off offset:768
	v_fmac_f64_e32 v[172:173], v[6:7], v[168:169]
	v_fma_f64 v[168:169], v[4:5], v[168:169], -v[134:135]
	v_fmac_f64_e32 v[170:171], v[166:167], v[140:141]
	v_fma_f64 v[164:165], v[164:165], v[140:141], -v[142:143]
	v_add_f64_e32 v[12:13], v[12:13], v[132:133]
	v_add_f64_e32 v[190:191], v[136:137], v[190:191]
	ds_load_b128 v[4:7], v2 offset:1536
	ds_load_b128 v[132:135], v2 offset:1552
	s_clause 0x1
	scratch_load_b128 v[136:139], off, off offset:784
	scratch_load_b128 v[140:143], off, off offset:800
	s_wait_loadcnt_dscnt 0xb01
	v_mul_f64_e32 v[192:193], v[4:5], v[180:181]
	v_mul_f64_e32 v[180:181], v[6:7], v[180:181]
	v_add_f64_e32 v[12:13], v[12:13], v[168:169]
	v_add_f64_e32 v[166:167], v[190:191], v[172:173]
	s_wait_loadcnt_dscnt 0xa00
	v_mul_f64_e32 v[172:173], v[132:133], v[150:151]
	v_mul_f64_e32 v[150:151], v[134:135], v[150:151]
	v_fmac_f64_e32 v[192:193], v[6:7], v[178:179]
	v_fma_f64 v[178:179], v[4:5], v[178:179], -v[180:181]
	v_add_f64_e32 v[12:13], v[12:13], v[164:165]
	v_add_f64_e32 v[180:181], v[166:167], v[170:171]
	ds_load_b128 v[4:7], v2 offset:1568
	ds_load_b128 v[164:167], v2 offset:1584
	scratch_load_b128 v[168:171], off, off offset:816
	v_fmac_f64_e32 v[172:173], v[134:135], v[148:149]
	v_fma_f64 v[148:149], v[132:133], v[148:149], -v[150:151]
	scratch_load_b128 v[132:135], off, off offset:832
	s_wait_loadcnt_dscnt 0xb01
	v_mul_f64_e32 v[190:191], v[4:5], v[162:163]
	v_mul_f64_e32 v[162:163], v[6:7], v[162:163]
	v_add_f64_e32 v[12:13], v[12:13], v[178:179]
	v_add_f64_e32 v[150:151], v[180:181], v[192:193]
	s_wait_loadcnt_dscnt 0xa00
	v_mul_f64_e32 v[178:179], v[164:165], v[158:159]
	v_mul_f64_e32 v[180:181], v[166:167], v[158:159]
	v_fmac_f64_e32 v[190:191], v[6:7], v[160:161]
	v_fma_f64 v[162:163], v[4:5], v[160:161], -v[162:163]
	v_add_f64_e32 v[12:13], v[12:13], v[148:149]
	v_add_f64_e32 v[172:173], v[150:151], v[172:173]
	ds_load_b128 v[4:7], v2 offset:1600
	ds_load_b128 v[148:151], v2 offset:1616
	scratch_load_b128 v[158:161], off, off offset:848
	v_fmac_f64_e32 v[178:179], v[166:167], v[156:157]
	v_fma_f64 v[156:157], v[164:165], v[156:157], -v[180:181]
	s_wait_loadcnt_dscnt 0xa01
	v_mul_f64_e32 v[192:193], v[4:5], v[184:185]
	v_mul_f64_e32 v[184:185], v[6:7], v[184:185]
	v_add_f64_e32 v[12:13], v[12:13], v[162:163]
	v_add_f64_e32 v[166:167], v[172:173], v[190:191]
	scratch_load_b128 v[162:165], off, off offset:864
	s_wait_loadcnt_dscnt 0xa00
	v_mul_f64_e32 v[172:173], v[148:149], v[10:11]
	v_mul_f64_e32 v[190:191], v[150:151], v[10:11]
	v_fmac_f64_e32 v[192:193], v[6:7], v[182:183]
	v_fma_f64 v[182:183], v[4:5], v[182:183], -v[184:185]
	v_add_f64_e32 v[156:157], v[12:13], v[156:157]
	v_add_f64_e32 v[166:167], v[166:167], v[178:179]
	ds_load_b128 v[4:7], v2 offset:1632
	ds_load_b128 v[10:13], v2 offset:1648
	scratch_load_b128 v[178:181], off, off offset:880
	v_fmac_f64_e32 v[172:173], v[150:151], v[8:9]
	v_fma_f64 v[8:9], v[148:149], v[8:9], -v[190:191]
	scratch_load_b128 v[148:151], off, off offset:896
	s_wait_loadcnt_dscnt 0xb01
	v_mul_f64_e32 v[184:185], v[4:5], v[154:155]
	v_mul_f64_e32 v[154:155], v[6:7], v[154:155]
	v_add_f64_e32 v[156:157], v[156:157], v[182:183]
	v_add_f64_e32 v[166:167], v[166:167], v[192:193]
	s_wait_loadcnt_dscnt 0xa00
	v_mul_f64_e32 v[182:183], v[10:11], v[146:147]
	v_mul_f64_e32 v[146:147], v[12:13], v[146:147]
	v_fmac_f64_e32 v[184:185], v[6:7], v[152:153]
	v_fma_f64 v[190:191], v[4:5], v[152:153], -v[154:155]
	ds_load_b128 v[4:7], v2 offset:1664
	ds_load_b128 v[152:155], v2 offset:1680
	v_add_f64_e32 v[8:9], v[156:157], v[8:9]
	v_add_f64_e32 v[156:157], v[166:167], v[172:173]
	v_fmac_f64_e32 v[182:183], v[12:13], v[144:145]
	v_fma_f64 v[10:11], v[10:11], v[144:145], -v[146:147]
	s_wait_loadcnt_dscnt 0x901
	v_mul_f64_e32 v[166:167], v[4:5], v[188:189]
	v_mul_f64_e32 v[172:173], v[6:7], v[188:189]
	v_add_f64_e32 v[8:9], v[8:9], v[190:191]
	v_add_f64_e32 v[12:13], v[156:157], v[184:185]
	s_wait_loadcnt_dscnt 0x800
	v_mul_f64_e32 v[144:145], v[152:153], v[130:131]
	v_mul_f64_e32 v[130:131], v[154:155], v[130:131]
	v_fmac_f64_e32 v[166:167], v[6:7], v[186:187]
	v_fma_f64 v[146:147], v[4:5], v[186:187], -v[172:173]
	v_add_f64_e32 v[156:157], v[8:9], v[10:11]
	v_add_f64_e32 v[12:13], v[12:13], v[182:183]
	ds_load_b128 v[4:7], v2 offset:1696
	ds_load_b128 v[8:11], v2 offset:1712
	v_fmac_f64_e32 v[144:145], v[154:155], v[128:129]
	v_fma_f64 v[128:129], v[152:153], v[128:129], -v[130:131]
	v_lshl_add_u64 v[154:155], v[36:37], 4, s[4:5]
	v_lshl_add_u64 v[36:37], v[96:97], 4, s[4:5]
	s_wait_loadcnt_dscnt 0x701
	v_mul_f64_e32 v[172:173], v[4:5], v[138:139]
	v_mul_f64_e32 v[138:139], v[6:7], v[138:139]
	v_add_f64_e32 v[130:131], v[156:157], v[146:147]
	v_add_f64_e32 v[12:13], v[12:13], v[166:167]
	s_wait_loadcnt_dscnt 0x600
	v_mul_f64_e32 v[146:147], v[8:9], v[142:143]
	v_mul_f64_e32 v[142:143], v[10:11], v[142:143]
	v_lshl_add_u64 v[166:167], v[24:25], 4, s[4:5]
	v_lshl_add_u64 v[156:157], v[34:35], 4, s[4:5]
	;; [unrolled: 1-line block ×4, first 2 shown]
	v_fmac_f64_e32 v[172:173], v[6:7], v[136:137]
	v_fma_f64 v[136:137], v[4:5], v[136:137], -v[138:139]
	v_add_f64_e32 v[138:139], v[130:131], v[128:129]
	v_add_f64_e32 v[12:13], v[12:13], v[144:145]
	ds_load_b128 v[4:7], v2 offset:1728
	ds_load_b128 v[128:131], v2 offset:1744
	v_fmac_f64_e32 v[146:147], v[10:11], v[140:141]
	v_fma_f64 v[8:9], v[8:9], v[140:141], -v[142:143]
	s_wait_loadcnt_dscnt 0x501
	v_mul_f64_e32 v[144:145], v[4:5], v[170:171]
	v_mul_f64_e32 v[152:153], v[6:7], v[170:171]
	v_lshl_add_u64 v[170:171], v[20:21], 4, s[4:5]
	v_lshl_add_u64 v[20:21], v[112:113], 4, s[4:5]
	v_add_f64_e32 v[10:11], v[138:139], v[136:137]
	v_add_f64_e32 v[12:13], v[12:13], v[172:173]
	s_wait_loadcnt_dscnt 0x400
	v_mul_f64_e32 v[136:137], v[128:129], v[134:135]
	v_mul_f64_e32 v[134:135], v[130:131], v[134:135]
	v_lshl_add_u64 v[172:173], v[18:19], 4, s[4:5]
	v_lshl_add_u64 v[18:19], v[114:115], 4, s[4:5]
	v_fmac_f64_e32 v[144:145], v[6:7], v[168:169]
	v_fma_f64 v[138:139], v[4:5], v[168:169], -v[152:153]
	v_lshl_add_u64 v[168:169], v[22:23], 4, s[4:5]
	v_lshl_add_u64 v[152:153], v[38:39], 4, s[4:5]
	;; [unrolled: 1-line block ×4, first 2 shown]
	v_add_f64_e32 v[140:141], v[10:11], v[8:9]
	v_add_f64_e32 v[12:13], v[12:13], v[146:147]
	ds_load_b128 v[4:7], v2 offset:1760
	ds_load_b128 v[8:11], v2 offset:1776
	v_fmac_f64_e32 v[136:137], v[130:131], v[132:133]
	v_fma_f64 v[128:129], v[128:129], v[132:133], -v[134:135]
	s_wait_loadcnt_dscnt 0x301
	v_mul_f64_e32 v[142:143], v[4:5], v[160:161]
	v_mul_f64_e32 v[146:147], v[6:7], v[160:161]
	v_lshl_add_u64 v[160:161], v[30:31], 4, s[4:5]
	v_lshl_add_u64 v[30:31], v[102:103], 4, s[4:5]
	v_add_f64_e32 v[130:131], v[140:141], v[138:139]
	v_add_f64_e32 v[12:13], v[12:13], v[144:145]
	s_wait_loadcnt_dscnt 0x200
	v_mul_f64_e32 v[132:133], v[8:9], v[164:165]
	v_mul_f64_e32 v[134:135], v[10:11], v[164:165]
	v_lshl_add_u64 v[164:165], v[26:27], 4, s[4:5]
	v_lshl_add_u64 v[144:145], v[46:47], 4, s[4:5]
	;; [unrolled: 1-line block ×4, first 2 shown]
	v_fmac_f64_e32 v[142:143], v[6:7], v[158:159]
	v_fma_f64 v[138:139], v[4:5], v[158:159], -v[146:147]
	v_lshl_add_u64 v[158:159], v[32:33], 4, s[4:5]
	v_lshl_add_u64 v[146:147], v[44:45], 4, s[4:5]
	;; [unrolled: 1-line block ×4, first 2 shown]
	v_add_f64_e32 v[140:141], v[130:131], v[128:129]
	v_add_f64_e32 v[12:13], v[12:13], v[136:137]
	ds_load_b128 v[4:7], v2 offset:1792
	ds_load_b128 v[128:131], v2 offset:1808
	v_fmac_f64_e32 v[132:133], v[10:11], v[162:163]
	v_fma_f64 v[8:9], v[8:9], v[162:163], -v[134:135]
	v_lshl_add_u64 v[162:163], v[28:29], 4, s[4:5]
	v_lshl_add_u64 v[28:29], v[104:105], 4, s[4:5]
	s_wait_loadcnt_dscnt 0x101
	v_mul_f64_e32 v[2:3], v[4:5], v[180:181]
	v_mul_f64_e32 v[136:137], v[6:7], v[180:181]
	s_wait_loadcnt_dscnt 0x0
	v_mul_f64_e32 v[134:135], v[128:129], v[150:151]
	v_add_f64_e32 v[10:11], v[140:141], v[138:139]
	v_add_f64_e32 v[12:13], v[12:13], v[142:143]
	v_mul_f64_e32 v[138:139], v[130:131], v[150:151]
	v_lshl_add_u64 v[150:151], v[40:41], 4, s[4:5]
	v_lshl_add_u64 v[142:143], v[48:49], 4, s[4:5]
	;; [unrolled: 1-line block ×6, first 2 shown]
	v_fmac_f64_e32 v[2:3], v[6:7], v[178:179]
	v_fma_f64 v[4:5], v[4:5], v[178:179], -v[136:137]
	v_fmac_f64_e32 v[134:135], v[130:131], v[148:149]
	v_lshl_add_u64 v[136:137], v[54:55], 4, s[4:5]
	v_lshl_add_u64 v[130:131], v[58:59], 4, s[4:5]
	;; [unrolled: 1-line block ×6, first 2 shown]
	v_add_f64_e32 v[6:7], v[10:11], v[8:9]
	v_add_f64_e32 v[8:9], v[12:13], v[132:133]
	v_fma_f64 v[10:11], v[128:129], v[148:149], -v[138:139]
	v_lshl_add_u64 v[148:149], v[42:43], 4, s[4:5]
	v_lshl_add_u64 v[138:139], v[52:53], 4, s[4:5]
	;; [unrolled: 1-line block ×9, first 2 shown]
	v_add_f64_e32 v[4:5], v[6:7], v[4:5]
	v_add_f64_e32 v[2:3], v[8:9], v[2:3]
	v_lshl_add_u64 v[8:9], v[120:121], 4, s[4:5]
	v_lshl_add_u64 v[6:7], v[122:123], 4, s[4:5]
	s_delay_alu instid0(VALU_DEP_4) | instskip(NEXT) | instid1(VALU_DEP_4)
	v_add_f64_e32 v[4:5], v[4:5], v[10:11]
	v_add_f64_e32 v[2:3], v[2:3], v[134:135]
	v_lshl_add_u64 v[134:135], v[66:67], 4, s[4:5]
	v_lshl_add_u64 v[66:67], v[72:73], 4, s[4:5]
	;; [unrolled: 1-line block ×3, first 2 shown]
	v_add_f64_e64 v[174:175], v[174:175], -v[4:5]
	v_add_f64_e64 v[176:177], v[176:177], -v[2:3]
	v_lshl_add_u64 v[4:5], v[124:125], 4, s[4:5]
	v_lshl_add_u64 v[2:3], v[126:127], 4, s[4:5]
	scratch_store_b128 off, v[174:177], off
	s_cbranch_vccz .LBB120_468
; %bb.356:
	v_mov_b32_e32 v70, 0
	s_load_b64 s[2:3], s[0:1], 0x4
	v_bfe_u32 v72, v0, 10, 10
	v_bfe_u32 v0, v0, 20, 10
	global_load_b32 v71, v70, s[8:9] offset:220
	s_wait_kmcnt 0x0
	s_lshr_b32 s0, s2, 16
	v_mul_u32_u24_e32 v72, s3, v72
	s_mul_i32 s0, s0, s3
	s_delay_alu instid0(SALU_CYCLE_1) | instskip(NEXT) | instid1(VALU_DEP_1)
	v_mul_u32_u24_e32 v1, s0, v1
	v_add3_u32 v0, v1, v72, v0
	s_delay_alu instid0(VALU_DEP_1)
	v_lshl_add_u32 v0, v0, 4, 0x728
	s_wait_loadcnt 0x0
	v_cmp_ne_u32_e32 vcc_lo, 56, v71
	s_cbranch_vccz .LBB120_358
; %bb.357:
	v_lshlrev_b32_e32 v1, 4, v71
	s_clause 0x1
	scratch_load_b128 v[72:75], off, s15
	scratch_load_b128 v[76:79], v1, off offset:-16
	s_wait_loadcnt 0x1
	ds_store_2addr_b64 v0, v[72:73], v[74:75] offset1:1
	s_wait_loadcnt 0x0
	s_clause 0x1
	scratch_store_b128 off, v[76:79], s15
	scratch_store_b128 v1, v[72:75], off offset:-16
.LBB120_358:
	global_load_b32 v1, v70, s[8:9] offset:216
	s_wait_loadcnt 0x0
	v_cmp_eq_u32_e32 vcc_lo, 55, v1
	s_cbranch_vccnz .LBB120_360
; %bb.359:
	v_lshlrev_b32_e32 v1, 4, v1
	s_clause 0x1
	scratch_load_b128 v[70:73], off, s17
	scratch_load_b128 v[74:77], v1, off offset:-16
	s_wait_loadcnt 0x1
	ds_store_2addr_b64 v0, v[70:71], v[72:73] offset1:1
	s_wait_loadcnt 0x0
	s_clause 0x1
	scratch_store_b128 off, v[74:77], s17
	scratch_store_b128 v1, v[70:73], off offset:-16
.LBB120_360:
	s_wait_xcnt 0x0
	v_mov_b32_e32 v1, 0
	global_load_b32 v70, v1, s[8:9] offset:212
	s_wait_loadcnt 0x0
	v_cmp_eq_u32_e32 vcc_lo, 54, v70
	s_cbranch_vccnz .LBB120_362
; %bb.361:
	v_lshlrev_b32_e32 v70, 4, v70
	s_delay_alu instid0(VALU_DEP_1)
	v_mov_b32_e32 v78, v70
	s_clause 0x1
	scratch_load_b128 v[70:73], off, s19
	scratch_load_b128 v[74:77], v78, off offset:-16
	s_wait_loadcnt 0x1
	ds_store_2addr_b64 v0, v[70:71], v[72:73] offset1:1
	s_wait_loadcnt 0x0
	s_clause 0x1
	scratch_store_b128 off, v[74:77], s19
	scratch_store_b128 v78, v[70:73], off offset:-16
.LBB120_362:
	global_load_b32 v1, v1, s[8:9] offset:208
	s_wait_loadcnt 0x0
	v_cmp_eq_u32_e32 vcc_lo, 53, v1
	s_cbranch_vccnz .LBB120_364
; %bb.363:
	s_wait_xcnt 0x0
	v_lshlrev_b32_e32 v1, 4, v1
	s_clause 0x1
	scratch_load_b128 v[70:73], off, s20
	scratch_load_b128 v[74:77], v1, off offset:-16
	s_wait_loadcnt 0x1
	ds_store_2addr_b64 v0, v[70:71], v[72:73] offset1:1
	s_wait_loadcnt 0x0
	s_clause 0x1
	scratch_store_b128 off, v[74:77], s20
	scratch_store_b128 v1, v[70:73], off offset:-16
.LBB120_364:
	s_wait_xcnt 0x0
	v_mov_b32_e32 v1, 0
	global_load_b32 v70, v1, s[8:9] offset:204
	s_wait_loadcnt 0x0
	v_cmp_eq_u32_e32 vcc_lo, 52, v70
	s_cbranch_vccnz .LBB120_366
; %bb.365:
	v_lshlrev_b32_e32 v70, 4, v70
	s_delay_alu instid0(VALU_DEP_1)
	v_mov_b32_e32 v78, v70
	s_clause 0x1
	scratch_load_b128 v[70:73], off, s21
	scratch_load_b128 v[74:77], v78, off offset:-16
	s_wait_loadcnt 0x1
	ds_store_2addr_b64 v0, v[70:71], v[72:73] offset1:1
	s_wait_loadcnt 0x0
	s_clause 0x1
	scratch_store_b128 off, v[74:77], s21
	scratch_store_b128 v78, v[70:73], off offset:-16
.LBB120_366:
	global_load_b32 v1, v1, s[8:9] offset:200
	s_wait_loadcnt 0x0
	v_cmp_eq_u32_e32 vcc_lo, 51, v1
	s_cbranch_vccnz .LBB120_368
; %bb.367:
	s_wait_xcnt 0x0
	v_lshlrev_b32_e32 v1, 4, v1
	s_clause 0x1
	scratch_load_b128 v[70:73], off, s22
	scratch_load_b128 v[74:77], v1, off offset:-16
	s_wait_loadcnt 0x1
	ds_store_2addr_b64 v0, v[70:71], v[72:73] offset1:1
	s_wait_loadcnt 0x0
	s_clause 0x1
	scratch_store_b128 off, v[74:77], s22
	scratch_store_b128 v1, v[70:73], off offset:-16
.LBB120_368:
	;; [unrolled: 37-line block ×26, first 2 shown]
	s_wait_xcnt 0x0
	v_mov_b32_e32 v1, 0
	global_load_b32 v70, v1, s[8:9] offset:4
	s_wait_loadcnt 0x0
	v_cmp_eq_u32_e32 vcc_lo, 2, v70
	s_cbranch_vccnz .LBB120_466
; %bb.465:
	v_lshlrev_b32_e32 v70, 4, v70
	s_delay_alu instid0(VALU_DEP_1)
	v_mov_b32_e32 v78, v70
	s_clause 0x1
	scratch_load_b128 v[70:73], off, s18
	scratch_load_b128 v[74:77], v78, off offset:-16
	s_wait_loadcnt 0x1
	ds_store_2addr_b64 v0, v[70:71], v[72:73] offset1:1
	s_wait_loadcnt 0x0
	s_clause 0x1
	scratch_store_b128 off, v[74:77], s18
	scratch_store_b128 v78, v[70:73], off offset:-16
.LBB120_466:
	global_load_b32 v1, v1, s[8:9]
	s_wait_loadcnt 0x0
	v_cmp_eq_u32_e32 vcc_lo, 1, v1
	s_cbranch_vccnz .LBB120_468
; %bb.467:
	s_wait_xcnt 0x0
	v_lshlrev_b32_e32 v1, 4, v1
	scratch_load_b128 v[70:73], off, off
	scratch_load_b128 v[74:77], v1, off offset:-16
	s_wait_loadcnt 0x1
	ds_store_2addr_b64 v0, v[70:71], v[72:73] offset1:1
	s_wait_loadcnt 0x0
	scratch_store_b128 off, v[74:77], off
	scratch_store_b128 v1, v[70:73], off offset:-16
.LBB120_468:
	scratch_load_b128 v[70:73], off, off
	s_wait_loadcnt 0x0
	flat_store_b128 v[14:15], v[70:73]
	scratch_load_b128 v[70:73], off, s18
	s_wait_loadcnt 0x0
	flat_store_b128 v[16:17], v[70:73]
	scratch_load_b128 v[14:17], off, s16
	;; [unrolled: 3-line block ×56, first 2 shown]
	s_wait_loadcnt 0x0
	flat_store_b128 v[2:3], v[4:7]
	s_sendmsg sendmsg(MSG_DEALLOC_VGPRS)
	s_endpgm
	.section	.rodata,"a",@progbits
	.p2align	6, 0x0
	.amdhsa_kernel _ZN9rocsolver6v33100L18getri_kernel_smallILi57E19rocblas_complex_numIdEPKPS3_EEvT1_iilPiilS8_bb
		.amdhsa_group_segment_fixed_size 2856
		.amdhsa_private_segment_fixed_size 928
		.amdhsa_kernarg_size 60
		.amdhsa_user_sgpr_count 4
		.amdhsa_user_sgpr_dispatch_ptr 1
		.amdhsa_user_sgpr_queue_ptr 0
		.amdhsa_user_sgpr_kernarg_segment_ptr 1
		.amdhsa_user_sgpr_dispatch_id 0
		.amdhsa_user_sgpr_kernarg_preload_length 0
		.amdhsa_user_sgpr_kernarg_preload_offset 0
		.amdhsa_user_sgpr_private_segment_size 0
		.amdhsa_wavefront_size32 1
		.amdhsa_uses_dynamic_stack 0
		.amdhsa_enable_private_segment 1
		.amdhsa_system_sgpr_workgroup_id_x 1
		.amdhsa_system_sgpr_workgroup_id_y 0
		.amdhsa_system_sgpr_workgroup_id_z 0
		.amdhsa_system_sgpr_workgroup_info 0
		.amdhsa_system_vgpr_workitem_id 2
		.amdhsa_next_free_vgpr 196
		.amdhsa_next_free_sgpr 96
		.amdhsa_named_barrier_count 0
		.amdhsa_reserve_vcc 1
		.amdhsa_float_round_mode_32 0
		.amdhsa_float_round_mode_16_64 0
		.amdhsa_float_denorm_mode_32 3
		.amdhsa_float_denorm_mode_16_64 3
		.amdhsa_fp16_overflow 0
		.amdhsa_memory_ordered 1
		.amdhsa_forward_progress 1
		.amdhsa_inst_pref_size 255
		.amdhsa_round_robin_scheduling 0
		.amdhsa_exception_fp_ieee_invalid_op 0
		.amdhsa_exception_fp_denorm_src 0
		.amdhsa_exception_fp_ieee_div_zero 0
		.amdhsa_exception_fp_ieee_overflow 0
		.amdhsa_exception_fp_ieee_underflow 0
		.amdhsa_exception_fp_ieee_inexact 0
		.amdhsa_exception_int_div_zero 0
	.end_amdhsa_kernel
	.section	.text._ZN9rocsolver6v33100L18getri_kernel_smallILi57E19rocblas_complex_numIdEPKPS3_EEvT1_iilPiilS8_bb,"axG",@progbits,_ZN9rocsolver6v33100L18getri_kernel_smallILi57E19rocblas_complex_numIdEPKPS3_EEvT1_iilPiilS8_bb,comdat
.Lfunc_end120:
	.size	_ZN9rocsolver6v33100L18getri_kernel_smallILi57E19rocblas_complex_numIdEPKPS3_EEvT1_iilPiilS8_bb, .Lfunc_end120-_ZN9rocsolver6v33100L18getri_kernel_smallILi57E19rocblas_complex_numIdEPKPS3_EEvT1_iilPiilS8_bb
                                        ; -- End function
	.set _ZN9rocsolver6v33100L18getri_kernel_smallILi57E19rocblas_complex_numIdEPKPS3_EEvT1_iilPiilS8_bb.num_vgpr, 196
	.set _ZN9rocsolver6v33100L18getri_kernel_smallILi57E19rocblas_complex_numIdEPKPS3_EEvT1_iilPiilS8_bb.num_agpr, 0
	.set _ZN9rocsolver6v33100L18getri_kernel_smallILi57E19rocblas_complex_numIdEPKPS3_EEvT1_iilPiilS8_bb.numbered_sgpr, 96
	.set _ZN9rocsolver6v33100L18getri_kernel_smallILi57E19rocblas_complex_numIdEPKPS3_EEvT1_iilPiilS8_bb.num_named_barrier, 0
	.set _ZN9rocsolver6v33100L18getri_kernel_smallILi57E19rocblas_complex_numIdEPKPS3_EEvT1_iilPiilS8_bb.private_seg_size, 928
	.set _ZN9rocsolver6v33100L18getri_kernel_smallILi57E19rocblas_complex_numIdEPKPS3_EEvT1_iilPiilS8_bb.uses_vcc, 1
	.set _ZN9rocsolver6v33100L18getri_kernel_smallILi57E19rocblas_complex_numIdEPKPS3_EEvT1_iilPiilS8_bb.uses_flat_scratch, 1
	.set _ZN9rocsolver6v33100L18getri_kernel_smallILi57E19rocblas_complex_numIdEPKPS3_EEvT1_iilPiilS8_bb.has_dyn_sized_stack, 0
	.set _ZN9rocsolver6v33100L18getri_kernel_smallILi57E19rocblas_complex_numIdEPKPS3_EEvT1_iilPiilS8_bb.has_recursion, 0
	.set _ZN9rocsolver6v33100L18getri_kernel_smallILi57E19rocblas_complex_numIdEPKPS3_EEvT1_iilPiilS8_bb.has_indirect_call, 0
	.section	.AMDGPU.csdata,"",@progbits
; Kernel info:
; codeLenInByte = 118332
; TotalNumSgprs: 98
; NumVgprs: 196
; ScratchSize: 928
; MemoryBound: 0
; FloatMode: 240
; IeeeMode: 1
; LDSByteSize: 2856 bytes/workgroup (compile time only)
; SGPRBlocks: 0
; VGPRBlocks: 12
; NumSGPRsForWavesPerEU: 98
; NumVGPRsForWavesPerEU: 196
; NamedBarCnt: 0
; Occupancy: 4
; WaveLimiterHint : 1
; COMPUTE_PGM_RSRC2:SCRATCH_EN: 1
; COMPUTE_PGM_RSRC2:USER_SGPR: 4
; COMPUTE_PGM_RSRC2:TRAP_HANDLER: 0
; COMPUTE_PGM_RSRC2:TGID_X_EN: 1
; COMPUTE_PGM_RSRC2:TGID_Y_EN: 0
; COMPUTE_PGM_RSRC2:TGID_Z_EN: 0
; COMPUTE_PGM_RSRC2:TIDIG_COMP_CNT: 2
	.section	.text._ZN9rocsolver6v33100L18getri_kernel_smallILi58E19rocblas_complex_numIdEPKPS3_EEvT1_iilPiilS8_bb,"axG",@progbits,_ZN9rocsolver6v33100L18getri_kernel_smallILi58E19rocblas_complex_numIdEPKPS3_EEvT1_iilPiilS8_bb,comdat
	.globl	_ZN9rocsolver6v33100L18getri_kernel_smallILi58E19rocblas_complex_numIdEPKPS3_EEvT1_iilPiilS8_bb ; -- Begin function _ZN9rocsolver6v33100L18getri_kernel_smallILi58E19rocblas_complex_numIdEPKPS3_EEvT1_iilPiilS8_bb
	.p2align	8
	.type	_ZN9rocsolver6v33100L18getri_kernel_smallILi58E19rocblas_complex_numIdEPKPS3_EEvT1_iilPiilS8_bb,@function
_ZN9rocsolver6v33100L18getri_kernel_smallILi58E19rocblas_complex_numIdEPKPS3_EEvT1_iilPiilS8_bb: ; @_ZN9rocsolver6v33100L18getri_kernel_smallILi58E19rocblas_complex_numIdEPKPS3_EEvT1_iilPiilS8_bb
; %bb.0:
	v_and_b32_e32 v1, 0x3ff, v0
	s_mov_b32 s4, exec_lo
	s_delay_alu instid0(VALU_DEP_1)
	v_cmpx_gt_u32_e32 58, v1
	s_cbranch_execz .LBB121_246
; %bb.1:
	s_clause 0x1
	s_load_b32 s16, s[2:3], 0x38
	s_load_b64 s[8:9], s[2:3], 0x0
	s_getreg_b32 s6, hwreg(HW_REG_IB_STS2, 6, 4)
	s_wait_kmcnt 0x0
	s_bitcmp1_b32 s16, 8
	s_cselect_b32 s70, -1, 0
	s_bfe_u32 s4, ttmp6, 0x4000c
	s_and_b32 s5, ttmp6, 15
	s_add_co_i32 s4, s4, 1
	s_delay_alu instid0(SALU_CYCLE_1) | instskip(NEXT) | instid1(SALU_CYCLE_1)
	s_mul_i32 s4, ttmp9, s4
	s_add_co_i32 s5, s5, s4
	s_cmp_eq_u32 s6, 0
	s_cselect_b32 s10, ttmp9, s5
	s_load_b128 s[4:7], s[2:3], 0x28
	s_ashr_i32 s11, s10, 31
	s_delay_alu instid0(SALU_CYCLE_1) | instskip(NEXT) | instid1(SALU_CYCLE_1)
	s_lshl_b64 s[12:13], s[10:11], 3
	s_add_nc_u64 s[8:9], s[8:9], s[12:13]
	s_load_b64 s[14:15], s[8:9], 0x0
	s_wait_xcnt 0x0
	s_bfe_u32 s8, s16, 0x10008
	s_delay_alu instid0(SALU_CYCLE_1)
	s_cmp_eq_u32 s8, 0
                                        ; implicit-def: $sgpr8_sgpr9
	s_cbranch_scc1 .LBB121_3
; %bb.2:
	s_load_b96 s[16:18], s[2:3], 0x18
	s_wait_kmcnt 0x0
	s_mul_u64 s[4:5], s[4:5], s[10:11]
	s_delay_alu instid0(SALU_CYCLE_1) | instskip(SKIP_4) | instid1(SALU_CYCLE_1)
	s_lshl_b64 s[4:5], s[4:5], 2
	s_ashr_i32 s9, s18, 31
	s_mov_b32 s8, s18
	s_add_nc_u64 s[4:5], s[16:17], s[4:5]
	s_lshl_b64 s[8:9], s[8:9], 2
	s_add_nc_u64 s[8:9], s[4:5], s[8:9]
.LBB121_3:
	s_clause 0x1
	s_load_b64 s[12:13], s[2:3], 0x8
	s_load_b32 s71, s[2:3], 0x38
	v_dual_mov_b32 v131, 0 :: v_dual_lshlrev_b32 v130, 4, v1
	s_movk_i32 s72, 0x210
	s_movk_i32 s73, 0x220
	;; [unrolled: 1-line block ×16, first 2 shown]
	s_wait_kmcnt 0x0
	s_ashr_i32 s3, s12, 31
	s_mov_b32 s2, s12
	v_add3_u32 v18, s13, s13, v1
	s_lshl_b64 s[2:3], s[2:3], 4
	s_movk_i32 s88, 0x310
	s_add_nc_u64 s[4:5], s[14:15], s[2:3]
	s_ashr_i32 s3, s13, 31
	flat_load_b128 v[2:5], v1, s[4:5] scale_offset
	v_add_nc_u64_e32 v[14:15], s[4:5], v[130:131]
	s_mov_b32 s2, s13
	v_add_nc_u32_e32 v20, s13, v18
	s_movk_i32 s89, 0x320
	s_movk_i32 s90, 0x330
	;; [unrolled: 1-line block ×4, first 2 shown]
	v_lshl_add_u64 v[16:17], s[2:3], 4, v[14:15]
	v_add_nc_u32_e32 v22, s13, v20
	s_movk_i32 s93, 0x360
	s_movk_i32 s94, 0x370
	;; [unrolled: 1-line block ×4, first 2 shown]
	v_add_nc_u32_e32 v24, s13, v22
	s_mov_b32 s18, 16
	s_mov_b32 s16, 32
	;; [unrolled: 1-line block ×4, first 2 shown]
	v_add_nc_u32_e32 v26, s13, v24
	s_movk_i32 s69, 0x50
	s_movk_i32 s68, 0x60
	s_movk_i32 s67, 0x70
	s_movk_i32 s66, 0x80
	v_add_nc_u32_e32 v28, s13, v26
	s_movk_i32 s65, 0x90
	s_movk_i32 s64, 0xa0
	s_movk_i32 s63, 0xb0
	s_movk_i32 s62, 0xc0
	;; [unrolled: 5-line block ×7, first 2 shown]
	v_add_nc_u32_e32 v40, s13, v38
	s_mov_b32 s41, s72
	s_mov_b32 s40, s73
	s_mov_b32 s39, s74
	s_mov_b32 s38, s75
	v_add_nc_u32_e32 v42, s13, v40
	s_mov_b32 s37, s76
	s_mov_b32 s36, s77
	s_mov_b32 s35, s78
	s_mov_b32 s34, s79
	;; [unrolled: 5-line block ×6, first 2 shown]
	v_add_nc_u32_e32 v52, s13, v50
	s_bitcmp0_b32 s71, 0
	s_mov_b32 s3, -1
	s_delay_alu instid0(VALU_DEP_1) | instskip(NEXT) | instid1(VALU_DEP_1)
	v_add_nc_u32_e32 v54, s13, v52
	v_add_nc_u32_e32 v56, s13, v54
	s_delay_alu instid0(VALU_DEP_1) | instskip(NEXT) | instid1(VALU_DEP_1)
	v_add_nc_u32_e32 v58, s13, v56
	v_add_nc_u32_e32 v60, s13, v58
	s_delay_alu instid0(VALU_DEP_1) | instskip(NEXT) | instid1(VALU_DEP_1)
	v_add_nc_u32_e32 v62, s13, v60
	v_add_nc_u32_e32 v64, s13, v62
	s_delay_alu instid0(VALU_DEP_1) | instskip(NEXT) | instid1(VALU_DEP_1)
	v_add_nc_u32_e32 v66, s13, v64
	v_add_nc_u32_e32 v70, s13, v66
	s_delay_alu instid0(VALU_DEP_1) | instskip(NEXT) | instid1(VALU_DEP_1)
	v_add_nc_u32_e32 v68, s13, v70
	v_add_nc_u32_e32 v72, s13, v68
	s_delay_alu instid0(VALU_DEP_1) | instskip(NEXT) | instid1(VALU_DEP_1)
	v_add_nc_u32_e32 v74, s13, v72
	v_add_nc_u32_e32 v76, s13, v74
	s_delay_alu instid0(VALU_DEP_1) | instskip(NEXT) | instid1(VALU_DEP_1)
	v_add_nc_u32_e32 v78, s13, v76
	v_add_nc_u32_e32 v80, s13, v78
	s_delay_alu instid0(VALU_DEP_1) | instskip(NEXT) | instid1(VALU_DEP_1)
	v_add_nc_u32_e32 v82, s13, v80
	v_add_nc_u32_e32 v84, s13, v82
	s_delay_alu instid0(VALU_DEP_1) | instskip(NEXT) | instid1(VALU_DEP_1)
	v_add_nc_u32_e32 v86, s13, v84
	v_add_nc_u32_e32 v88, s13, v86
	s_delay_alu instid0(VALU_DEP_1) | instskip(NEXT) | instid1(VALU_DEP_1)
	v_add_nc_u32_e32 v90, s13, v88
	v_add_nc_u32_e32 v92, s13, v90
	s_delay_alu instid0(VALU_DEP_1) | instskip(NEXT) | instid1(VALU_DEP_1)
	v_add_nc_u32_e32 v94, s13, v92
	v_add_nc_u32_e32 v96, s13, v94
	s_delay_alu instid0(VALU_DEP_1) | instskip(NEXT) | instid1(VALU_DEP_1)
	v_add_nc_u32_e32 v98, s13, v96
	v_add_nc_u32_e32 v100, s13, v98
	s_delay_alu instid0(VALU_DEP_1) | instskip(NEXT) | instid1(VALU_DEP_1)
	v_add_nc_u32_e32 v102, s13, v100
	v_add_nc_u32_e32 v104, s13, v102
	s_delay_alu instid0(VALU_DEP_1) | instskip(NEXT) | instid1(VALU_DEP_1)
	v_add_nc_u32_e32 v106, s13, v104
	v_add_nc_u32_e32 v108, s13, v106
	s_delay_alu instid0(VALU_DEP_1) | instskip(NEXT) | instid1(VALU_DEP_1)
	v_add_nc_u32_e32 v110, s13, v108
	v_add_nc_u32_e32 v112, s13, v110
	s_delay_alu instid0(VALU_DEP_1) | instskip(NEXT) | instid1(VALU_DEP_1)
	v_add_nc_u32_e32 v114, s13, v112
	v_add_nc_u32_e32 v116, s13, v114
	s_delay_alu instid0(VALU_DEP_1) | instskip(NEXT) | instid1(VALU_DEP_1)
	v_add_nc_u32_e32 v118, s13, v116
	v_add_nc_u32_e32 v120, s13, v118
	s_delay_alu instid0(VALU_DEP_1) | instskip(NEXT) | instid1(VALU_DEP_1)
	v_add_nc_u32_e32 v122, s13, v120
	v_add_nc_u32_e32 v124, s13, v122
	s_delay_alu instid0(VALU_DEP_1) | instskip(NEXT) | instid1(VALU_DEP_1)
	v_add_nc_u32_e32 v126, s13, v124
	v_add_nc_u32_e32 v128, s13, v126
	s_mov_b32 s13, s96
	s_wait_loadcnt_dscnt 0x0
	scratch_store_b128 off, v[2:5], off
	flat_load_b128 v[2:5], v[16:17]
	s_wait_loadcnt_dscnt 0x0
	scratch_store_b128 off, v[2:5], off offset:16
	flat_load_b128 v[2:5], v18, s[4:5] scale_offset
	s_wait_loadcnt_dscnt 0x0
	scratch_store_b128 off, v[2:5], off offset:32
	flat_load_b128 v[2:5], v20, s[4:5] scale_offset
	;; [unrolled: 3-line block ×56, first 2 shown]
	s_wait_loadcnt_dscnt 0x0
	scratch_store_b128 off, v[2:5], off offset:912
	s_cbranch_scc1 .LBB121_244
; %bb.4:
	v_cmp_eq_u32_e64 s2, 0, v1
	s_wait_xcnt 0x0
	s_and_saveexec_b32 s3, s2
; %bb.5:
	v_mov_b32_e32 v2, 0
	ds_store_b32 v2, v2 offset:1856
; %bb.6:
	s_or_b32 exec_lo, exec_lo, s3
	s_wait_storecnt_dscnt 0x0
	s_barrier_signal -1
	s_barrier_wait -1
	scratch_load_b128 v[2:5], v1, off scale_offset
	s_wait_loadcnt 0x0
	v_cmp_eq_f64_e32 vcc_lo, 0, v[2:3]
	v_cmp_eq_f64_e64 s3, 0, v[4:5]
	s_and_b32 s3, vcc_lo, s3
	s_delay_alu instid0(SALU_CYCLE_1)
	s_and_saveexec_b32 s71, s3
	s_cbranch_execz .LBB121_10
; %bb.7:
	v_mov_b32_e32 v2, 0
	s_mov_b32 s72, 0
	ds_load_b32 v3, v2 offset:1856
	s_wait_dscnt 0x0
	v_readfirstlane_b32 s3, v3
	v_add_nc_u32_e32 v3, 1, v1
	s_cmp_eq_u32 s3, 0
	s_delay_alu instid0(VALU_DEP_1) | instskip(SKIP_1) | instid1(SALU_CYCLE_1)
	v_cmp_gt_i32_e32 vcc_lo, s3, v3
	s_cselect_b32 s73, -1, 0
	s_or_b32 s73, s73, vcc_lo
	s_delay_alu instid0(SALU_CYCLE_1)
	s_and_b32 exec_lo, exec_lo, s73
	s_cbranch_execz .LBB121_10
; %bb.8:
	v_mov_b32_e32 v4, s3
.LBB121_9:                              ; =>This Inner Loop Header: Depth=1
	ds_cmpstore_rtn_b32 v4, v2, v3, v4 offset:1856
	s_wait_dscnt 0x0
	v_cmp_ne_u32_e32 vcc_lo, 0, v4
	v_cmp_le_i32_e64 s3, v4, v3
	s_and_b32 s3, vcc_lo, s3
	s_delay_alu instid0(SALU_CYCLE_1) | instskip(NEXT) | instid1(SALU_CYCLE_1)
	s_and_b32 s3, exec_lo, s3
	s_or_b32 s72, s3, s72
	s_delay_alu instid0(SALU_CYCLE_1)
	s_and_not1_b32 exec_lo, exec_lo, s72
	s_cbranch_execnz .LBB121_9
.LBB121_10:
	s_or_b32 exec_lo, exec_lo, s71
	v_mov_b32_e32 v2, 0
	s_barrier_signal -1
	s_barrier_wait -1
	ds_load_b32 v3, v2 offset:1856
	s_and_saveexec_b32 s3, s2
	s_cbranch_execz .LBB121_12
; %bb.11:
	s_lshl_b64 s[72:73], s[10:11], 2
	s_delay_alu instid0(SALU_CYCLE_1)
	s_add_nc_u64 s[72:73], s[6:7], s[72:73]
	s_wait_dscnt 0x0
	global_store_b32 v2, v3, s[72:73]
.LBB121_12:
	s_wait_xcnt 0x0
	s_or_b32 exec_lo, exec_lo, s3
	s_wait_dscnt 0x0
	v_cmp_ne_u32_e32 vcc_lo, 0, v3
	s_mov_b32 s3, 0
	s_cbranch_vccnz .LBB121_244
; %bb.13:
	v_lshl_add_u32 v19, v1, 4, 0
                                        ; implicit-def: $vgpr6_vgpr7
                                        ; implicit-def: $vgpr10_vgpr11
	scratch_load_b128 v[2:5], v19, off
	s_wait_loadcnt 0x0
	v_cmp_ngt_f64_e64 s3, |v[2:3]|, |v[4:5]|
	s_wait_xcnt 0x0
	s_and_saveexec_b32 s71, s3
	s_delay_alu instid0(SALU_CYCLE_1)
	s_xor_b32 s3, exec_lo, s71
	s_cbranch_execz .LBB121_15
; %bb.14:
	v_div_scale_f64 v[6:7], null, v[4:5], v[4:5], v[2:3]
	v_div_scale_f64 v[12:13], vcc_lo, v[2:3], v[4:5], v[2:3]
	s_delay_alu instid0(VALU_DEP_2) | instskip(SKIP_1) | instid1(TRANS32_DEP_1)
	v_rcp_f64_e32 v[8:9], v[6:7]
	v_nop
	v_fma_f64 v[10:11], -v[6:7], v[8:9], 1.0
	s_delay_alu instid0(VALU_DEP_1) | instskip(NEXT) | instid1(VALU_DEP_1)
	v_fmac_f64_e32 v[8:9], v[8:9], v[10:11]
	v_fma_f64 v[10:11], -v[6:7], v[8:9], 1.0
	s_delay_alu instid0(VALU_DEP_1) | instskip(NEXT) | instid1(VALU_DEP_1)
	v_fmac_f64_e32 v[8:9], v[8:9], v[10:11]
	v_mul_f64_e32 v[10:11], v[12:13], v[8:9]
	s_delay_alu instid0(VALU_DEP_1) | instskip(NEXT) | instid1(VALU_DEP_1)
	v_fma_f64 v[6:7], -v[6:7], v[10:11], v[12:13]
	v_div_fmas_f64 v[6:7], v[6:7], v[8:9], v[10:11]
	s_delay_alu instid0(VALU_DEP_1) | instskip(NEXT) | instid1(VALU_DEP_1)
	v_div_fixup_f64 v[6:7], v[6:7], v[4:5], v[2:3]
	v_fmac_f64_e32 v[4:5], v[2:3], v[6:7]
	s_delay_alu instid0(VALU_DEP_1) | instskip(SKIP_1) | instid1(VALU_DEP_2)
	v_div_scale_f64 v[2:3], null, v[4:5], v[4:5], 1.0
	v_div_scale_f64 v[12:13], vcc_lo, 1.0, v[4:5], 1.0
	v_rcp_f64_e32 v[8:9], v[2:3]
	v_nop
	s_delay_alu instid0(TRANS32_DEP_1) | instskip(NEXT) | instid1(VALU_DEP_1)
	v_fma_f64 v[10:11], -v[2:3], v[8:9], 1.0
	v_fmac_f64_e32 v[8:9], v[8:9], v[10:11]
	s_delay_alu instid0(VALU_DEP_1) | instskip(NEXT) | instid1(VALU_DEP_1)
	v_fma_f64 v[10:11], -v[2:3], v[8:9], 1.0
	v_fmac_f64_e32 v[8:9], v[8:9], v[10:11]
	s_delay_alu instid0(VALU_DEP_1) | instskip(NEXT) | instid1(VALU_DEP_1)
	v_mul_f64_e32 v[10:11], v[12:13], v[8:9]
	v_fma_f64 v[2:3], -v[2:3], v[10:11], v[12:13]
	s_delay_alu instid0(VALU_DEP_1) | instskip(NEXT) | instid1(VALU_DEP_1)
	v_div_fmas_f64 v[2:3], v[2:3], v[8:9], v[10:11]
	v_div_fixup_f64 v[8:9], v[2:3], v[4:5], 1.0
                                        ; implicit-def: $vgpr2_vgpr3
	s_delay_alu instid0(VALU_DEP_1) | instskip(SKIP_1) | instid1(VALU_DEP_2)
	v_mul_f64_e32 v[6:7], v[6:7], v[8:9]
	v_xor_b32_e32 v9, 0x80000000, v9
	v_xor_b32_e32 v11, 0x80000000, v7
	s_delay_alu instid0(VALU_DEP_3)
	v_mov_b32_e32 v10, v6
.LBB121_15:
	s_and_not1_saveexec_b32 s3, s3
	s_cbranch_execz .LBB121_17
; %bb.16:
	v_div_scale_f64 v[6:7], null, v[2:3], v[2:3], v[4:5]
	v_div_scale_f64 v[12:13], vcc_lo, v[4:5], v[2:3], v[4:5]
	s_delay_alu instid0(VALU_DEP_2) | instskip(SKIP_1) | instid1(TRANS32_DEP_1)
	v_rcp_f64_e32 v[8:9], v[6:7]
	v_nop
	v_fma_f64 v[10:11], -v[6:7], v[8:9], 1.0
	s_delay_alu instid0(VALU_DEP_1) | instskip(NEXT) | instid1(VALU_DEP_1)
	v_fmac_f64_e32 v[8:9], v[8:9], v[10:11]
	v_fma_f64 v[10:11], -v[6:7], v[8:9], 1.0
	s_delay_alu instid0(VALU_DEP_1) | instskip(NEXT) | instid1(VALU_DEP_1)
	v_fmac_f64_e32 v[8:9], v[8:9], v[10:11]
	v_mul_f64_e32 v[10:11], v[12:13], v[8:9]
	s_delay_alu instid0(VALU_DEP_1) | instskip(NEXT) | instid1(VALU_DEP_1)
	v_fma_f64 v[6:7], -v[6:7], v[10:11], v[12:13]
	v_div_fmas_f64 v[6:7], v[6:7], v[8:9], v[10:11]
	s_delay_alu instid0(VALU_DEP_1) | instskip(NEXT) | instid1(VALU_DEP_1)
	v_div_fixup_f64 v[8:9], v[6:7], v[2:3], v[4:5]
	v_fmac_f64_e32 v[2:3], v[4:5], v[8:9]
	s_delay_alu instid0(VALU_DEP_1) | instskip(NEXT) | instid1(VALU_DEP_1)
	v_div_scale_f64 v[4:5], null, v[2:3], v[2:3], 1.0
	v_rcp_f64_e32 v[6:7], v[4:5]
	v_nop
	s_delay_alu instid0(TRANS32_DEP_1) | instskip(NEXT) | instid1(VALU_DEP_1)
	v_fma_f64 v[10:11], -v[4:5], v[6:7], 1.0
	v_fmac_f64_e32 v[6:7], v[6:7], v[10:11]
	s_delay_alu instid0(VALU_DEP_1) | instskip(NEXT) | instid1(VALU_DEP_1)
	v_fma_f64 v[10:11], -v[4:5], v[6:7], 1.0
	v_fmac_f64_e32 v[6:7], v[6:7], v[10:11]
	v_div_scale_f64 v[10:11], vcc_lo, 1.0, v[2:3], 1.0
	s_delay_alu instid0(VALU_DEP_1) | instskip(NEXT) | instid1(VALU_DEP_1)
	v_mul_f64_e32 v[12:13], v[10:11], v[6:7]
	v_fma_f64 v[4:5], -v[4:5], v[12:13], v[10:11]
	s_delay_alu instid0(VALU_DEP_1) | instskip(NEXT) | instid1(VALU_DEP_1)
	v_div_fmas_f64 v[4:5], v[4:5], v[6:7], v[12:13]
	v_div_fixup_f64 v[6:7], v[4:5], v[2:3], 1.0
	s_delay_alu instid0(VALU_DEP_1)
	v_mul_f64_e64 v[8:9], v[8:9], -v[6:7]
	v_xor_b32_e32 v11, 0x80000000, v7
	v_mov_b32_e32 v10, v6
.LBB121_17:
	s_or_b32 exec_lo, exec_lo, s3
	s_clause 0x1
	scratch_store_b128 v19, v[6:9], off
	scratch_load_b128 v[2:5], off, s18
	v_xor_b32_e32 v13, 0x80000000, v9
	v_mov_b32_e32 v12, v8
	s_wait_xcnt 0x1
	v_add_nc_u32_e32 v6, 0x3a0, v130
	ds_store_b128 v130, v[10:13]
	s_wait_loadcnt 0x0
	ds_store_b128 v130, v[2:5] offset:928
	s_wait_storecnt_dscnt 0x0
	s_barrier_signal -1
	s_barrier_wait -1
	s_wait_xcnt 0x0
	s_and_saveexec_b32 s3, s2
	s_cbranch_execz .LBB121_19
; %bb.18:
	scratch_load_b128 v[2:5], v19, off
	ds_load_b128 v[8:11], v6
	v_mov_b32_e32 v7, 0
	ds_load_b128 v[132:135], v7 offset:16
	s_wait_loadcnt_dscnt 0x1
	v_mul_f64_e32 v[12:13], v[8:9], v[4:5]
	v_mul_f64_e32 v[4:5], v[10:11], v[4:5]
	s_delay_alu instid0(VALU_DEP_2) | instskip(NEXT) | instid1(VALU_DEP_2)
	v_fmac_f64_e32 v[12:13], v[10:11], v[2:3]
	v_fma_f64 v[2:3], v[8:9], v[2:3], -v[4:5]
	s_delay_alu instid0(VALU_DEP_2) | instskip(NEXT) | instid1(VALU_DEP_2)
	v_add_f64_e32 v[8:9], 0, v[12:13]
	v_add_f64_e32 v[2:3], 0, v[2:3]
	s_wait_dscnt 0x0
	s_delay_alu instid0(VALU_DEP_2) | instskip(NEXT) | instid1(VALU_DEP_2)
	v_mul_f64_e32 v[10:11], v[8:9], v[134:135]
	v_mul_f64_e32 v[4:5], v[2:3], v[134:135]
	s_delay_alu instid0(VALU_DEP_2) | instskip(NEXT) | instid1(VALU_DEP_2)
	v_fma_f64 v[2:3], v[2:3], v[132:133], -v[10:11]
	v_fmac_f64_e32 v[4:5], v[8:9], v[132:133]
	scratch_store_b128 off, v[2:5], off offset:16
.LBB121_19:
	s_wait_xcnt 0x0
	s_or_b32 exec_lo, exec_lo, s3
	s_wait_storecnt 0x0
	s_barrier_signal -1
	s_barrier_wait -1
	scratch_load_b128 v[2:5], off, s16
	s_mov_b32 s3, exec_lo
	s_wait_loadcnt 0x0
	ds_store_b128 v6, v[2:5]
	s_wait_dscnt 0x0
	s_barrier_signal -1
	s_barrier_wait -1
	v_cmpx_gt_u32_e32 2, v1
	s_cbranch_execz .LBB121_23
; %bb.20:
	scratch_load_b128 v[2:5], v19, off
	ds_load_b128 v[8:11], v6
	s_wait_loadcnt_dscnt 0x0
	v_mul_f64_e32 v[12:13], v[10:11], v[4:5]
	v_mul_f64_e32 v[132:133], v[8:9], v[4:5]
	s_delay_alu instid0(VALU_DEP_2) | instskip(NEXT) | instid1(VALU_DEP_2)
	v_fma_f64 v[4:5], v[8:9], v[2:3], -v[12:13]
	v_fmac_f64_e32 v[132:133], v[10:11], v[2:3]
	s_delay_alu instid0(VALU_DEP_2) | instskip(NEXT) | instid1(VALU_DEP_2)
	v_add_f64_e32 v[4:5], 0, v[4:5]
	v_add_f64_e32 v[2:3], 0, v[132:133]
	s_and_saveexec_b32 s71, s2
	s_cbranch_execz .LBB121_22
; %bb.21:
	scratch_load_b128 v[8:11], off, off offset:16
	v_mov_b32_e32 v7, 0
	ds_load_b128 v[132:135], v7 offset:944
	s_wait_loadcnt_dscnt 0x0
	v_mul_f64_e32 v[12:13], v[132:133], v[10:11]
	v_mul_f64_e32 v[10:11], v[134:135], v[10:11]
	s_delay_alu instid0(VALU_DEP_2) | instskip(NEXT) | instid1(VALU_DEP_2)
	v_fmac_f64_e32 v[12:13], v[134:135], v[8:9]
	v_fma_f64 v[8:9], v[132:133], v[8:9], -v[10:11]
	s_delay_alu instid0(VALU_DEP_2) | instskip(NEXT) | instid1(VALU_DEP_2)
	v_add_f64_e32 v[2:3], v[2:3], v[12:13]
	v_add_f64_e32 v[4:5], v[4:5], v[8:9]
.LBB121_22:
	s_or_b32 exec_lo, exec_lo, s71
	v_mov_b32_e32 v7, 0
	ds_load_b128 v[8:11], v7 offset:32
	s_wait_dscnt 0x0
	v_mul_f64_e32 v[132:133], v[2:3], v[10:11]
	v_mul_f64_e32 v[12:13], v[4:5], v[10:11]
	s_delay_alu instid0(VALU_DEP_2) | instskip(NEXT) | instid1(VALU_DEP_2)
	v_fma_f64 v[10:11], v[4:5], v[8:9], -v[132:133]
	v_fmac_f64_e32 v[12:13], v[2:3], v[8:9]
	scratch_store_b128 off, v[10:13], off offset:32
.LBB121_23:
	s_wait_xcnt 0x0
	s_or_b32 exec_lo, exec_lo, s3
	s_wait_storecnt 0x0
	s_barrier_signal -1
	s_barrier_wait -1
	scratch_load_b128 v[2:5], off, s14
	v_add_nc_u32_e32 v7, -1, v1
	s_mov_b32 s2, exec_lo
	s_wait_loadcnt 0x0
	ds_store_b128 v6, v[2:5]
	s_wait_dscnt 0x0
	s_barrier_signal -1
	s_barrier_wait -1
	v_cmpx_gt_u32_e32 3, v1
	s_cbranch_execz .LBB121_27
; %bb.24:
	v_dual_mov_b32 v10, v130 :: v_dual_add_nc_u32 v8, -1, v1
	v_mov_b64_e32 v[2:3], 0
	v_mov_b64_e32 v[4:5], 0
	v_add_nc_u32_e32 v9, 0x3a0, v130
	s_delay_alu instid0(VALU_DEP_4)
	v_or_b32_e32 v10, 8, v10
	s_mov_b32 s3, 0
.LBB121_25:                             ; =>This Inner Loop Header: Depth=1
	scratch_load_b128 v[132:135], v10, off offset:-8
	ds_load_b128 v[136:139], v9
	v_dual_add_nc_u32 v8, 1, v8 :: v_dual_add_nc_u32 v9, 16, v9
	s_wait_xcnt 0x0
	v_add_nc_u32_e32 v10, 16, v10
	s_delay_alu instid0(VALU_DEP_2) | instskip(SKIP_4) | instid1(VALU_DEP_2)
	v_cmp_lt_u32_e32 vcc_lo, 1, v8
	s_or_b32 s3, vcc_lo, s3
	s_wait_loadcnt_dscnt 0x0
	v_mul_f64_e32 v[12:13], v[138:139], v[134:135]
	v_mul_f64_e32 v[134:135], v[136:137], v[134:135]
	v_fma_f64 v[12:13], v[136:137], v[132:133], -v[12:13]
	s_delay_alu instid0(VALU_DEP_2) | instskip(NEXT) | instid1(VALU_DEP_2)
	v_fmac_f64_e32 v[134:135], v[138:139], v[132:133]
	v_add_f64_e32 v[4:5], v[4:5], v[12:13]
	s_delay_alu instid0(VALU_DEP_2)
	v_add_f64_e32 v[2:3], v[2:3], v[134:135]
	s_and_not1_b32 exec_lo, exec_lo, s3
	s_cbranch_execnz .LBB121_25
; %bb.26:
	s_or_b32 exec_lo, exec_lo, s3
	v_mov_b32_e32 v8, 0
	ds_load_b128 v[8:11], v8 offset:48
	s_wait_dscnt 0x0
	v_mul_f64_e32 v[132:133], v[2:3], v[10:11]
	v_mul_f64_e32 v[12:13], v[4:5], v[10:11]
	s_delay_alu instid0(VALU_DEP_2) | instskip(NEXT) | instid1(VALU_DEP_2)
	v_fma_f64 v[10:11], v[4:5], v[8:9], -v[132:133]
	v_fmac_f64_e32 v[12:13], v[2:3], v[8:9]
	scratch_store_b128 off, v[10:13], off offset:48
.LBB121_27:
	s_wait_xcnt 0x0
	s_or_b32 exec_lo, exec_lo, s2
	s_wait_storecnt 0x0
	s_barrier_signal -1
	s_barrier_wait -1
	scratch_load_b128 v[2:5], off, s12
	s_mov_b32 s2, exec_lo
	s_wait_loadcnt 0x0
	ds_store_b128 v6, v[2:5]
	s_wait_dscnt 0x0
	s_barrier_signal -1
	s_barrier_wait -1
	v_cmpx_gt_u32_e32 4, v1
	s_cbranch_execz .LBB121_31
; %bb.28:
	v_dual_mov_b32 v10, v130 :: v_dual_add_nc_u32 v8, -1, v1
	v_mov_b64_e32 v[2:3], 0
	v_mov_b64_e32 v[4:5], 0
	v_add_nc_u32_e32 v9, 0x3a0, v130
	s_delay_alu instid0(VALU_DEP_4)
	v_or_b32_e32 v10, 8, v10
	s_mov_b32 s3, 0
.LBB121_29:                             ; =>This Inner Loop Header: Depth=1
	scratch_load_b128 v[132:135], v10, off offset:-8
	ds_load_b128 v[136:139], v9
	v_dual_add_nc_u32 v8, 1, v8 :: v_dual_add_nc_u32 v9, 16, v9
	s_wait_xcnt 0x0
	v_add_nc_u32_e32 v10, 16, v10
	s_delay_alu instid0(VALU_DEP_2) | instskip(SKIP_4) | instid1(VALU_DEP_2)
	v_cmp_lt_u32_e32 vcc_lo, 2, v8
	s_or_b32 s3, vcc_lo, s3
	s_wait_loadcnt_dscnt 0x0
	v_mul_f64_e32 v[12:13], v[138:139], v[134:135]
	v_mul_f64_e32 v[134:135], v[136:137], v[134:135]
	v_fma_f64 v[12:13], v[136:137], v[132:133], -v[12:13]
	s_delay_alu instid0(VALU_DEP_2) | instskip(NEXT) | instid1(VALU_DEP_2)
	v_fmac_f64_e32 v[134:135], v[138:139], v[132:133]
	v_add_f64_e32 v[4:5], v[4:5], v[12:13]
	s_delay_alu instid0(VALU_DEP_2)
	v_add_f64_e32 v[2:3], v[2:3], v[134:135]
	s_and_not1_b32 exec_lo, exec_lo, s3
	s_cbranch_execnz .LBB121_29
; %bb.30:
	s_or_b32 exec_lo, exec_lo, s3
	v_mov_b32_e32 v8, 0
	ds_load_b128 v[8:11], v8 offset:64
	s_wait_dscnt 0x0
	v_mul_f64_e32 v[132:133], v[2:3], v[10:11]
	v_mul_f64_e32 v[12:13], v[4:5], v[10:11]
	s_delay_alu instid0(VALU_DEP_2) | instskip(NEXT) | instid1(VALU_DEP_2)
	v_fma_f64 v[10:11], v[4:5], v[8:9], -v[132:133]
	v_fmac_f64_e32 v[12:13], v[2:3], v[8:9]
	scratch_store_b128 off, v[10:13], off offset:64
.LBB121_31:
	s_wait_xcnt 0x0
	s_or_b32 exec_lo, exec_lo, s2
	s_wait_storecnt 0x0
	s_barrier_signal -1
	s_barrier_wait -1
	scratch_load_b128 v[2:5], off, s69
	;; [unrolled: 54-line block ×19, first 2 shown]
	s_mov_b32 s2, exec_lo
	s_wait_loadcnt 0x0
	ds_store_b128 v6, v[2:5]
	s_wait_dscnt 0x0
	s_barrier_signal -1
	s_barrier_wait -1
	v_cmpx_gt_u32_e32 22, v1
	s_cbranch_execz .LBB121_103
; %bb.100:
	v_dual_mov_b32 v10, v130 :: v_dual_add_nc_u32 v8, -1, v1
	v_mov_b64_e32 v[2:3], 0
	v_mov_b64_e32 v[4:5], 0
	v_add_nc_u32_e32 v9, 0x3a0, v130
	s_delay_alu instid0(VALU_DEP_4)
	v_or_b32_e32 v10, 8, v10
	s_mov_b32 s3, 0
.LBB121_101:                            ; =>This Inner Loop Header: Depth=1
	scratch_load_b128 v[132:135], v10, off offset:-8
	ds_load_b128 v[136:139], v9
	v_dual_add_nc_u32 v8, 1, v8 :: v_dual_add_nc_u32 v9, 16, v9
	s_wait_xcnt 0x0
	v_add_nc_u32_e32 v10, 16, v10
	s_delay_alu instid0(VALU_DEP_2) | instskip(SKIP_4) | instid1(VALU_DEP_2)
	v_cmp_lt_u32_e32 vcc_lo, 20, v8
	s_or_b32 s3, vcc_lo, s3
	s_wait_loadcnt_dscnt 0x0
	v_mul_f64_e32 v[12:13], v[138:139], v[134:135]
	v_mul_f64_e32 v[134:135], v[136:137], v[134:135]
	v_fma_f64 v[12:13], v[136:137], v[132:133], -v[12:13]
	s_delay_alu instid0(VALU_DEP_2) | instskip(NEXT) | instid1(VALU_DEP_2)
	v_fmac_f64_e32 v[134:135], v[138:139], v[132:133]
	v_add_f64_e32 v[4:5], v[4:5], v[12:13]
	s_delay_alu instid0(VALU_DEP_2)
	v_add_f64_e32 v[2:3], v[2:3], v[134:135]
	s_and_not1_b32 exec_lo, exec_lo, s3
	s_cbranch_execnz .LBB121_101
; %bb.102:
	s_or_b32 exec_lo, exec_lo, s3
	v_mov_b32_e32 v8, 0
	ds_load_b128 v[8:11], v8 offset:352
	s_wait_dscnt 0x0
	v_mul_f64_e32 v[132:133], v[2:3], v[10:11]
	v_mul_f64_e32 v[12:13], v[4:5], v[10:11]
	s_delay_alu instid0(VALU_DEP_2) | instskip(NEXT) | instid1(VALU_DEP_2)
	v_fma_f64 v[10:11], v[4:5], v[8:9], -v[132:133]
	v_fmac_f64_e32 v[12:13], v[2:3], v[8:9]
	scratch_store_b128 off, v[10:13], off offset:352
.LBB121_103:
	s_wait_xcnt 0x0
	s_or_b32 exec_lo, exec_lo, s2
	s_wait_storecnt 0x0
	s_barrier_signal -1
	s_barrier_wait -1
	scratch_load_b128 v[2:5], off, s51
	s_mov_b32 s2, exec_lo
	s_wait_loadcnt 0x0
	ds_store_b128 v6, v[2:5]
	s_wait_dscnt 0x0
	s_barrier_signal -1
	s_barrier_wait -1
	v_cmpx_gt_u32_e32 23, v1
	s_cbranch_execz .LBB121_107
; %bb.104:
	v_dual_mov_b32 v10, v130 :: v_dual_add_nc_u32 v8, -1, v1
	v_mov_b64_e32 v[2:3], 0
	v_mov_b64_e32 v[4:5], 0
	v_add_nc_u32_e32 v9, 0x3a0, v130
	s_delay_alu instid0(VALU_DEP_4)
	v_or_b32_e32 v10, 8, v10
	s_mov_b32 s3, 0
.LBB121_105:                            ; =>This Inner Loop Header: Depth=1
	scratch_load_b128 v[132:135], v10, off offset:-8
	ds_load_b128 v[136:139], v9
	v_dual_add_nc_u32 v8, 1, v8 :: v_dual_add_nc_u32 v9, 16, v9
	s_wait_xcnt 0x0
	v_add_nc_u32_e32 v10, 16, v10
	s_delay_alu instid0(VALU_DEP_2) | instskip(SKIP_4) | instid1(VALU_DEP_2)
	v_cmp_lt_u32_e32 vcc_lo, 21, v8
	s_or_b32 s3, vcc_lo, s3
	s_wait_loadcnt_dscnt 0x0
	v_mul_f64_e32 v[12:13], v[138:139], v[134:135]
	v_mul_f64_e32 v[134:135], v[136:137], v[134:135]
	v_fma_f64 v[12:13], v[136:137], v[132:133], -v[12:13]
	s_delay_alu instid0(VALU_DEP_2) | instskip(NEXT) | instid1(VALU_DEP_2)
	v_fmac_f64_e32 v[134:135], v[138:139], v[132:133]
	v_add_f64_e32 v[4:5], v[4:5], v[12:13]
	s_delay_alu instid0(VALU_DEP_2)
	v_add_f64_e32 v[2:3], v[2:3], v[134:135]
	s_and_not1_b32 exec_lo, exec_lo, s3
	s_cbranch_execnz .LBB121_105
; %bb.106:
	s_or_b32 exec_lo, exec_lo, s3
	v_mov_b32_e32 v8, 0
	ds_load_b128 v[8:11], v8 offset:368
	s_wait_dscnt 0x0
	v_mul_f64_e32 v[132:133], v[2:3], v[10:11]
	v_mul_f64_e32 v[12:13], v[4:5], v[10:11]
	s_delay_alu instid0(VALU_DEP_2) | instskip(NEXT) | instid1(VALU_DEP_2)
	v_fma_f64 v[10:11], v[4:5], v[8:9], -v[132:133]
	v_fmac_f64_e32 v[12:13], v[2:3], v[8:9]
	scratch_store_b128 off, v[10:13], off offset:368
.LBB121_107:
	s_wait_xcnt 0x0
	s_or_b32 exec_lo, exec_lo, s2
	s_wait_storecnt 0x0
	s_barrier_signal -1
	s_barrier_wait -1
	scratch_load_b128 v[2:5], off, s50
	;; [unrolled: 54-line block ×35, first 2 shown]
	s_mov_b32 s2, exec_lo
	s_wait_loadcnt 0x0
	ds_store_b128 v6, v[2:5]
	s_wait_dscnt 0x0
	s_barrier_signal -1
	s_barrier_wait -1
	v_cmpx_ne_u32_e32 57, v1
	s_cbranch_execz .LBB121_243
; %bb.240:
	v_mov_b32_e32 v8, v130
	v_mov_b64_e32 v[2:3], 0
	v_mov_b64_e32 v[4:5], 0
	s_mov_b32 s3, 0
	s_delay_alu instid0(VALU_DEP_3)
	v_or_b32_e32 v8, 8, v8
.LBB121_241:                            ; =>This Inner Loop Header: Depth=1
	scratch_load_b128 v[10:13], v8, off offset:-8
	ds_load_b128 v[130:133], v6
	v_dual_add_nc_u32 v7, 1, v7 :: v_dual_add_nc_u32 v6, 16, v6
	s_wait_xcnt 0x0
	v_add_nc_u32_e32 v8, 16, v8
	s_delay_alu instid0(VALU_DEP_2) | instskip(SKIP_4) | instid1(VALU_DEP_2)
	v_cmp_lt_u32_e32 vcc_lo, 55, v7
	s_or_b32 s3, vcc_lo, s3
	s_wait_loadcnt_dscnt 0x0
	v_mul_f64_e32 v[134:135], v[132:133], v[12:13]
	v_mul_f64_e32 v[12:13], v[130:131], v[12:13]
	v_fma_f64 v[130:131], v[130:131], v[10:11], -v[134:135]
	s_delay_alu instid0(VALU_DEP_2) | instskip(NEXT) | instid1(VALU_DEP_2)
	v_fmac_f64_e32 v[12:13], v[132:133], v[10:11]
	v_add_f64_e32 v[4:5], v[4:5], v[130:131]
	s_delay_alu instid0(VALU_DEP_2)
	v_add_f64_e32 v[2:3], v[2:3], v[12:13]
	s_and_not1_b32 exec_lo, exec_lo, s3
	s_cbranch_execnz .LBB121_241
; %bb.242:
	s_or_b32 exec_lo, exec_lo, s3
	v_mov_b32_e32 v6, 0
	ds_load_b128 v[6:9], v6 offset:912
	s_wait_dscnt 0x0
	v_mul_f64_e32 v[12:13], v[2:3], v[8:9]
	v_mul_f64_e32 v[10:11], v[4:5], v[8:9]
	s_delay_alu instid0(VALU_DEP_2) | instskip(NEXT) | instid1(VALU_DEP_2)
	v_fma_f64 v[8:9], v[4:5], v[6:7], -v[12:13]
	v_fmac_f64_e32 v[10:11], v[2:3], v[6:7]
	scratch_store_b128 off, v[8:11], off offset:912
.LBB121_243:
	s_wait_xcnt 0x0
	s_or_b32 exec_lo, exec_lo, s2
	s_mov_b32 s3, -1
	s_wait_storecnt 0x0
	s_barrier_signal -1
	s_barrier_wait -1
.LBB121_244:
	s_and_b32 vcc_lo, exec_lo, s3
	s_cbranch_vccz .LBB121_246
; %bb.245:
	s_wait_xcnt 0x0
	v_mov_b32_e32 v2, 0
	s_lshl_b64 s[2:3], s[10:11], 2
	s_delay_alu instid0(SALU_CYCLE_1)
	s_add_nc_u64 s[2:3], s[6:7], s[2:3]
	global_load_b32 v2, v2, s[2:3]
	s_wait_loadcnt 0x0
	v_cmp_ne_u32_e32 vcc_lo, 0, v2
	s_cbranch_vccz .LBB121_247
.LBB121_246:
	s_sendmsg sendmsg(MSG_DEALLOC_VGPRS)
	s_endpgm
.LBB121_247:
	v_lshl_add_u32 v8, v1, 4, 0x3a0
	s_wait_xcnt 0x0
	s_mov_b32 s2, exec_lo
	v_cmpx_eq_u32_e32 57, v1
	s_cbranch_execz .LBB121_249
; %bb.248:
	scratch_load_b128 v[2:5], off, s15
	v_mov_b32_e32 v10, 0
	s_delay_alu instid0(VALU_DEP_1)
	v_dual_mov_b32 v11, v10 :: v_dual_mov_b32 v12, v10
	v_mov_b32_e32 v13, v10
	scratch_store_b128 off, v[10:13], off offset:896
	s_wait_loadcnt 0x0
	ds_store_b128 v8, v[2:5]
.LBB121_249:
	s_wait_xcnt 0x0
	s_or_b32 exec_lo, exec_lo, s2
	s_wait_storecnt_dscnt 0x0
	s_barrier_signal -1
	s_barrier_wait -1
	s_clause 0x1
	scratch_load_b128 v[4:7], off, off offset:912
	scratch_load_b128 v[10:13], off, off offset:896
	v_mov_b32_e32 v2, 0
	s_mov_b32 s2, exec_lo
	ds_load_b128 v[130:133], v2 offset:1840
	s_wait_loadcnt_dscnt 0x100
	v_mul_f64_e32 v[134:135], v[132:133], v[6:7]
	v_mul_f64_e32 v[6:7], v[130:131], v[6:7]
	s_delay_alu instid0(VALU_DEP_2) | instskip(NEXT) | instid1(VALU_DEP_2)
	v_fma_f64 v[130:131], v[130:131], v[4:5], -v[134:135]
	v_fmac_f64_e32 v[6:7], v[132:133], v[4:5]
	s_delay_alu instid0(VALU_DEP_2) | instskip(NEXT) | instid1(VALU_DEP_2)
	v_add_f64_e32 v[4:5], 0, v[130:131]
	v_add_f64_e32 v[6:7], 0, v[6:7]
	s_wait_loadcnt 0x0
	s_delay_alu instid0(VALU_DEP_2) | instskip(NEXT) | instid1(VALU_DEP_2)
	v_add_f64_e64 v[4:5], v[10:11], -v[4:5]
	v_add_f64_e64 v[6:7], v[12:13], -v[6:7]
	scratch_store_b128 off, v[4:7], off offset:896
	s_wait_xcnt 0x0
	v_cmpx_lt_u32_e32 55, v1
	s_cbranch_execz .LBB121_251
; %bb.250:
	scratch_load_b128 v[10:13], off, s17
	v_dual_mov_b32 v3, v2 :: v_dual_mov_b32 v4, v2
	v_mov_b32_e32 v5, v2
	scratch_store_b128 off, v[2:5], off offset:880
	s_wait_loadcnt 0x0
	ds_store_b128 v8, v[10:13]
.LBB121_251:
	s_wait_xcnt 0x0
	s_or_b32 exec_lo, exec_lo, s2
	s_wait_storecnt_dscnt 0x0
	s_barrier_signal -1
	s_barrier_wait -1
	s_clause 0x2
	scratch_load_b128 v[4:7], off, off offset:896
	scratch_load_b128 v[10:13], off, off offset:912
	;; [unrolled: 1-line block ×3, first 2 shown]
	ds_load_b128 v[134:137], v2 offset:1824
	ds_load_b128 v[138:141], v2 offset:1840
	s_mov_b32 s2, exec_lo
	s_wait_loadcnt_dscnt 0x201
	v_mul_f64_e32 v[2:3], v[136:137], v[6:7]
	v_mul_f64_e32 v[6:7], v[134:135], v[6:7]
	s_wait_loadcnt_dscnt 0x100
	v_mul_f64_e32 v[142:143], v[138:139], v[12:13]
	v_mul_f64_e32 v[12:13], v[140:141], v[12:13]
	s_delay_alu instid0(VALU_DEP_4) | instskip(NEXT) | instid1(VALU_DEP_4)
	v_fma_f64 v[2:3], v[134:135], v[4:5], -v[2:3]
	v_fmac_f64_e32 v[6:7], v[136:137], v[4:5]
	s_delay_alu instid0(VALU_DEP_4) | instskip(NEXT) | instid1(VALU_DEP_4)
	v_fmac_f64_e32 v[142:143], v[140:141], v[10:11]
	v_fma_f64 v[4:5], v[138:139], v[10:11], -v[12:13]
	s_delay_alu instid0(VALU_DEP_4) | instskip(NEXT) | instid1(VALU_DEP_4)
	v_add_f64_e32 v[2:3], 0, v[2:3]
	v_add_f64_e32 v[6:7], 0, v[6:7]
	s_delay_alu instid0(VALU_DEP_2) | instskip(NEXT) | instid1(VALU_DEP_2)
	v_add_f64_e32 v[2:3], v[2:3], v[4:5]
	v_add_f64_e32 v[4:5], v[6:7], v[142:143]
	s_wait_loadcnt 0x0
	s_delay_alu instid0(VALU_DEP_2) | instskip(NEXT) | instid1(VALU_DEP_2)
	v_add_f64_e64 v[2:3], v[130:131], -v[2:3]
	v_add_f64_e64 v[4:5], v[132:133], -v[4:5]
	scratch_store_b128 off, v[2:5], off offset:880
	s_wait_xcnt 0x0
	v_cmpx_lt_u32_e32 54, v1
	s_cbranch_execz .LBB121_253
; %bb.252:
	scratch_load_b128 v[2:5], off, s19
	v_mov_b32_e32 v10, 0
	s_delay_alu instid0(VALU_DEP_1)
	v_dual_mov_b32 v11, v10 :: v_dual_mov_b32 v12, v10
	v_mov_b32_e32 v13, v10
	scratch_store_b128 off, v[10:13], off offset:864
	s_wait_loadcnt 0x0
	ds_store_b128 v8, v[2:5]
.LBB121_253:
	s_wait_xcnt 0x0
	s_or_b32 exec_lo, exec_lo, s2
	s_wait_storecnt_dscnt 0x0
	s_barrier_signal -1
	s_barrier_wait -1
	s_clause 0x3
	scratch_load_b128 v[4:7], off, off offset:880
	scratch_load_b128 v[10:13], off, off offset:896
	;; [unrolled: 1-line block ×4, first 2 shown]
	v_mov_b32_e32 v2, 0
	ds_load_b128 v[138:141], v2 offset:1808
	ds_load_b128 v[142:145], v2 offset:1824
	s_mov_b32 s2, exec_lo
	s_wait_loadcnt_dscnt 0x301
	v_mul_f64_e32 v[146:147], v[140:141], v[6:7]
	v_mul_f64_e32 v[148:149], v[138:139], v[6:7]
	s_wait_loadcnt_dscnt 0x200
	v_mul_f64_e32 v[150:151], v[142:143], v[12:13]
	v_mul_f64_e32 v[12:13], v[144:145], v[12:13]
	s_delay_alu instid0(VALU_DEP_4) | instskip(NEXT) | instid1(VALU_DEP_4)
	v_fma_f64 v[138:139], v[138:139], v[4:5], -v[146:147]
	v_fmac_f64_e32 v[148:149], v[140:141], v[4:5]
	ds_load_b128 v[4:7], v2 offset:1840
	v_fmac_f64_e32 v[150:151], v[144:145], v[10:11]
	v_fma_f64 v[10:11], v[142:143], v[10:11], -v[12:13]
	s_wait_loadcnt_dscnt 0x100
	v_mul_f64_e32 v[140:141], v[4:5], v[132:133]
	v_mul_f64_e32 v[132:133], v[6:7], v[132:133]
	v_add_f64_e32 v[12:13], 0, v[138:139]
	v_add_f64_e32 v[138:139], 0, v[148:149]
	s_delay_alu instid0(VALU_DEP_4) | instskip(NEXT) | instid1(VALU_DEP_4)
	v_fmac_f64_e32 v[140:141], v[6:7], v[130:131]
	v_fma_f64 v[4:5], v[4:5], v[130:131], -v[132:133]
	s_delay_alu instid0(VALU_DEP_4) | instskip(NEXT) | instid1(VALU_DEP_4)
	v_add_f64_e32 v[6:7], v[12:13], v[10:11]
	v_add_f64_e32 v[10:11], v[138:139], v[150:151]
	s_delay_alu instid0(VALU_DEP_2) | instskip(NEXT) | instid1(VALU_DEP_2)
	v_add_f64_e32 v[4:5], v[6:7], v[4:5]
	v_add_f64_e32 v[6:7], v[10:11], v[140:141]
	s_wait_loadcnt 0x0
	s_delay_alu instid0(VALU_DEP_2) | instskip(NEXT) | instid1(VALU_DEP_2)
	v_add_f64_e64 v[4:5], v[134:135], -v[4:5]
	v_add_f64_e64 v[6:7], v[136:137], -v[6:7]
	scratch_store_b128 off, v[4:7], off offset:864
	s_wait_xcnt 0x0
	v_cmpx_lt_u32_e32 53, v1
	s_cbranch_execz .LBB121_255
; %bb.254:
	scratch_load_b128 v[10:13], off, s20
	v_dual_mov_b32 v3, v2 :: v_dual_mov_b32 v4, v2
	v_mov_b32_e32 v5, v2
	scratch_store_b128 off, v[2:5], off offset:848
	s_wait_loadcnt 0x0
	ds_store_b128 v8, v[10:13]
.LBB121_255:
	s_wait_xcnt 0x0
	s_or_b32 exec_lo, exec_lo, s2
	s_wait_storecnt_dscnt 0x0
	s_barrier_signal -1
	s_barrier_wait -1
	s_clause 0x4
	scratch_load_b128 v[4:7], off, off offset:864
	scratch_load_b128 v[10:13], off, off offset:880
	;; [unrolled: 1-line block ×5, first 2 shown]
	ds_load_b128 v[142:145], v2 offset:1792
	ds_load_b128 v[146:149], v2 offset:1808
	s_mov_b32 s2, exec_lo
	s_wait_loadcnt_dscnt 0x401
	v_mul_f64_e32 v[150:151], v[144:145], v[6:7]
	v_mul_f64_e32 v[152:153], v[142:143], v[6:7]
	s_wait_loadcnt_dscnt 0x300
	v_mul_f64_e32 v[154:155], v[146:147], v[12:13]
	v_mul_f64_e32 v[12:13], v[148:149], v[12:13]
	s_delay_alu instid0(VALU_DEP_4) | instskip(NEXT) | instid1(VALU_DEP_4)
	v_fma_f64 v[150:151], v[142:143], v[4:5], -v[150:151]
	v_fmac_f64_e32 v[152:153], v[144:145], v[4:5]
	ds_load_b128 v[4:7], v2 offset:1824
	ds_load_b128 v[142:145], v2 offset:1840
	v_fmac_f64_e32 v[154:155], v[148:149], v[10:11]
	v_fma_f64 v[10:11], v[146:147], v[10:11], -v[12:13]
	s_wait_loadcnt_dscnt 0x201
	v_mul_f64_e32 v[2:3], v[4:5], v[132:133]
	v_mul_f64_e32 v[132:133], v[6:7], v[132:133]
	s_wait_loadcnt_dscnt 0x100
	v_mul_f64_e32 v[148:149], v[142:143], v[136:137]
	v_mul_f64_e32 v[136:137], v[144:145], v[136:137]
	v_add_f64_e32 v[12:13], 0, v[150:151]
	v_add_f64_e32 v[146:147], 0, v[152:153]
	v_fmac_f64_e32 v[2:3], v[6:7], v[130:131]
	v_fma_f64 v[4:5], v[4:5], v[130:131], -v[132:133]
	v_fmac_f64_e32 v[148:149], v[144:145], v[134:135]
	v_add_f64_e32 v[6:7], v[12:13], v[10:11]
	v_add_f64_e32 v[10:11], v[146:147], v[154:155]
	v_fma_f64 v[12:13], v[142:143], v[134:135], -v[136:137]
	s_delay_alu instid0(VALU_DEP_3) | instskip(NEXT) | instid1(VALU_DEP_3)
	v_add_f64_e32 v[4:5], v[6:7], v[4:5]
	v_add_f64_e32 v[2:3], v[10:11], v[2:3]
	s_delay_alu instid0(VALU_DEP_2) | instskip(NEXT) | instid1(VALU_DEP_2)
	v_add_f64_e32 v[4:5], v[4:5], v[12:13]
	v_add_f64_e32 v[6:7], v[2:3], v[148:149]
	s_wait_loadcnt 0x0
	s_delay_alu instid0(VALU_DEP_2) | instskip(NEXT) | instid1(VALU_DEP_2)
	v_add_f64_e64 v[2:3], v[138:139], -v[4:5]
	v_add_f64_e64 v[4:5], v[140:141], -v[6:7]
	scratch_store_b128 off, v[2:5], off offset:848
	s_wait_xcnt 0x0
	v_cmpx_lt_u32_e32 52, v1
	s_cbranch_execz .LBB121_257
; %bb.256:
	scratch_load_b128 v[2:5], off, s21
	v_mov_b32_e32 v10, 0
	s_delay_alu instid0(VALU_DEP_1)
	v_dual_mov_b32 v11, v10 :: v_dual_mov_b32 v12, v10
	v_mov_b32_e32 v13, v10
	scratch_store_b128 off, v[10:13], off offset:832
	s_wait_loadcnt 0x0
	ds_store_b128 v8, v[2:5]
.LBB121_257:
	s_wait_xcnt 0x0
	s_or_b32 exec_lo, exec_lo, s2
	s_wait_storecnt_dscnt 0x0
	s_barrier_signal -1
	s_barrier_wait -1
	s_clause 0x5
	scratch_load_b128 v[4:7], off, off offset:848
	scratch_load_b128 v[10:13], off, off offset:864
	;; [unrolled: 1-line block ×6, first 2 shown]
	v_mov_b32_e32 v2, 0
	ds_load_b128 v[146:149], v2 offset:1776
	ds_load_b128 v[150:153], v2 offset:1792
	s_mov_b32 s2, exec_lo
	s_wait_loadcnt_dscnt 0x501
	v_mul_f64_e32 v[154:155], v[148:149], v[6:7]
	v_mul_f64_e32 v[156:157], v[146:147], v[6:7]
	s_wait_loadcnt_dscnt 0x400
	v_mul_f64_e32 v[158:159], v[150:151], v[12:13]
	v_mul_f64_e32 v[12:13], v[152:153], v[12:13]
	s_delay_alu instid0(VALU_DEP_4) | instskip(NEXT) | instid1(VALU_DEP_4)
	v_fma_f64 v[154:155], v[146:147], v[4:5], -v[154:155]
	v_fmac_f64_e32 v[156:157], v[148:149], v[4:5]
	ds_load_b128 v[4:7], v2 offset:1808
	ds_load_b128 v[146:149], v2 offset:1824
	v_fmac_f64_e32 v[158:159], v[152:153], v[10:11]
	v_fma_f64 v[10:11], v[150:151], v[10:11], -v[12:13]
	s_wait_loadcnt_dscnt 0x301
	v_mul_f64_e32 v[160:161], v[4:5], v[132:133]
	v_mul_f64_e32 v[132:133], v[6:7], v[132:133]
	s_wait_loadcnt_dscnt 0x200
	v_mul_f64_e32 v[152:153], v[146:147], v[136:137]
	v_mul_f64_e32 v[136:137], v[148:149], v[136:137]
	v_add_f64_e32 v[12:13], 0, v[154:155]
	v_add_f64_e32 v[150:151], 0, v[156:157]
	v_fmac_f64_e32 v[160:161], v[6:7], v[130:131]
	v_fma_f64 v[130:131], v[4:5], v[130:131], -v[132:133]
	ds_load_b128 v[4:7], v2 offset:1840
	v_fmac_f64_e32 v[152:153], v[148:149], v[134:135]
	v_fma_f64 v[134:135], v[146:147], v[134:135], -v[136:137]
	v_add_f64_e32 v[10:11], v[12:13], v[10:11]
	v_add_f64_e32 v[12:13], v[150:151], v[158:159]
	s_wait_loadcnt_dscnt 0x100
	v_mul_f64_e32 v[132:133], v[4:5], v[140:141]
	v_mul_f64_e32 v[140:141], v[6:7], v[140:141]
	s_delay_alu instid0(VALU_DEP_4) | instskip(NEXT) | instid1(VALU_DEP_4)
	v_add_f64_e32 v[10:11], v[10:11], v[130:131]
	v_add_f64_e32 v[12:13], v[12:13], v[160:161]
	s_delay_alu instid0(VALU_DEP_4) | instskip(NEXT) | instid1(VALU_DEP_4)
	v_fmac_f64_e32 v[132:133], v[6:7], v[138:139]
	v_fma_f64 v[4:5], v[4:5], v[138:139], -v[140:141]
	s_delay_alu instid0(VALU_DEP_4) | instskip(NEXT) | instid1(VALU_DEP_4)
	v_add_f64_e32 v[6:7], v[10:11], v[134:135]
	v_add_f64_e32 v[10:11], v[12:13], v[152:153]
	s_delay_alu instid0(VALU_DEP_2) | instskip(NEXT) | instid1(VALU_DEP_2)
	v_add_f64_e32 v[4:5], v[6:7], v[4:5]
	v_add_f64_e32 v[6:7], v[10:11], v[132:133]
	s_wait_loadcnt 0x0
	s_delay_alu instid0(VALU_DEP_2) | instskip(NEXT) | instid1(VALU_DEP_2)
	v_add_f64_e64 v[4:5], v[142:143], -v[4:5]
	v_add_f64_e64 v[6:7], v[144:145], -v[6:7]
	scratch_store_b128 off, v[4:7], off offset:832
	s_wait_xcnt 0x0
	v_cmpx_lt_u32_e32 51, v1
	s_cbranch_execz .LBB121_259
; %bb.258:
	scratch_load_b128 v[10:13], off, s22
	v_dual_mov_b32 v3, v2 :: v_dual_mov_b32 v4, v2
	v_mov_b32_e32 v5, v2
	scratch_store_b128 off, v[2:5], off offset:816
	s_wait_loadcnt 0x0
	ds_store_b128 v8, v[10:13]
.LBB121_259:
	s_wait_xcnt 0x0
	s_or_b32 exec_lo, exec_lo, s2
	s_wait_storecnt_dscnt 0x0
	s_barrier_signal -1
	s_barrier_wait -1
	s_clause 0x6
	scratch_load_b128 v[4:7], off, off offset:832
	scratch_load_b128 v[10:13], off, off offset:848
	;; [unrolled: 1-line block ×7, first 2 shown]
	ds_load_b128 v[150:153], v2 offset:1760
	ds_load_b128 v[154:157], v2 offset:1776
	s_mov_b32 s2, exec_lo
	s_wait_loadcnt_dscnt 0x601
	v_mul_f64_e32 v[158:159], v[152:153], v[6:7]
	v_mul_f64_e32 v[160:161], v[150:151], v[6:7]
	s_wait_loadcnt_dscnt 0x500
	v_mul_f64_e32 v[162:163], v[154:155], v[12:13]
	v_mul_f64_e32 v[12:13], v[156:157], v[12:13]
	s_delay_alu instid0(VALU_DEP_4) | instskip(NEXT) | instid1(VALU_DEP_4)
	v_fma_f64 v[158:159], v[150:151], v[4:5], -v[158:159]
	v_fmac_f64_e32 v[160:161], v[152:153], v[4:5]
	ds_load_b128 v[4:7], v2 offset:1792
	ds_load_b128 v[150:153], v2 offset:1808
	v_fmac_f64_e32 v[162:163], v[156:157], v[10:11]
	v_fma_f64 v[10:11], v[154:155], v[10:11], -v[12:13]
	s_wait_loadcnt_dscnt 0x401
	v_mul_f64_e32 v[164:165], v[4:5], v[132:133]
	v_mul_f64_e32 v[132:133], v[6:7], v[132:133]
	s_wait_loadcnt_dscnt 0x300
	v_mul_f64_e32 v[156:157], v[150:151], v[136:137]
	v_mul_f64_e32 v[136:137], v[152:153], v[136:137]
	v_add_f64_e32 v[12:13], 0, v[158:159]
	v_add_f64_e32 v[154:155], 0, v[160:161]
	v_fmac_f64_e32 v[164:165], v[6:7], v[130:131]
	v_fma_f64 v[130:131], v[4:5], v[130:131], -v[132:133]
	v_fmac_f64_e32 v[156:157], v[152:153], v[134:135]
	v_fma_f64 v[134:135], v[150:151], v[134:135], -v[136:137]
	v_add_f64_e32 v[132:133], v[12:13], v[10:11]
	v_add_f64_e32 v[154:155], v[154:155], v[162:163]
	ds_load_b128 v[4:7], v2 offset:1824
	ds_load_b128 v[10:13], v2 offset:1840
	s_wait_loadcnt_dscnt 0x201
	v_mul_f64_e32 v[2:3], v[4:5], v[140:141]
	v_mul_f64_e32 v[140:141], v[6:7], v[140:141]
	s_wait_loadcnt_dscnt 0x100
	v_mul_f64_e32 v[136:137], v[10:11], v[144:145]
	v_mul_f64_e32 v[144:145], v[12:13], v[144:145]
	v_add_f64_e32 v[130:131], v[132:133], v[130:131]
	v_add_f64_e32 v[132:133], v[154:155], v[164:165]
	v_fmac_f64_e32 v[2:3], v[6:7], v[138:139]
	v_fma_f64 v[4:5], v[4:5], v[138:139], -v[140:141]
	v_fmac_f64_e32 v[136:137], v[12:13], v[142:143]
	v_fma_f64 v[10:11], v[10:11], v[142:143], -v[144:145]
	v_add_f64_e32 v[6:7], v[130:131], v[134:135]
	v_add_f64_e32 v[130:131], v[132:133], v[156:157]
	s_delay_alu instid0(VALU_DEP_2) | instskip(NEXT) | instid1(VALU_DEP_2)
	v_add_f64_e32 v[4:5], v[6:7], v[4:5]
	v_add_f64_e32 v[2:3], v[130:131], v[2:3]
	s_delay_alu instid0(VALU_DEP_2) | instskip(NEXT) | instid1(VALU_DEP_2)
	v_add_f64_e32 v[4:5], v[4:5], v[10:11]
	v_add_f64_e32 v[6:7], v[2:3], v[136:137]
	s_wait_loadcnt 0x0
	s_delay_alu instid0(VALU_DEP_2) | instskip(NEXT) | instid1(VALU_DEP_2)
	v_add_f64_e64 v[2:3], v[146:147], -v[4:5]
	v_add_f64_e64 v[4:5], v[148:149], -v[6:7]
	scratch_store_b128 off, v[2:5], off offset:816
	s_wait_xcnt 0x0
	v_cmpx_lt_u32_e32 50, v1
	s_cbranch_execz .LBB121_261
; %bb.260:
	scratch_load_b128 v[2:5], off, s23
	v_mov_b32_e32 v10, 0
	s_delay_alu instid0(VALU_DEP_1)
	v_dual_mov_b32 v11, v10 :: v_dual_mov_b32 v12, v10
	v_mov_b32_e32 v13, v10
	scratch_store_b128 off, v[10:13], off offset:800
	s_wait_loadcnt 0x0
	ds_store_b128 v8, v[2:5]
.LBB121_261:
	s_wait_xcnt 0x0
	s_or_b32 exec_lo, exec_lo, s2
	s_wait_storecnt_dscnt 0x0
	s_barrier_signal -1
	s_barrier_wait -1
	s_clause 0x7
	scratch_load_b128 v[4:7], off, off offset:816
	scratch_load_b128 v[10:13], off, off offset:832
	;; [unrolled: 1-line block ×8, first 2 shown]
	v_mov_b32_e32 v2, 0
	ds_load_b128 v[154:157], v2 offset:1744
	ds_load_b128 v[158:161], v2 offset:1760
	s_mov_b32 s2, exec_lo
	s_wait_loadcnt_dscnt 0x701
	v_mul_f64_e32 v[162:163], v[156:157], v[6:7]
	v_mul_f64_e32 v[164:165], v[154:155], v[6:7]
	s_wait_loadcnt_dscnt 0x600
	v_mul_f64_e32 v[166:167], v[158:159], v[12:13]
	v_mul_f64_e32 v[12:13], v[160:161], v[12:13]
	s_delay_alu instid0(VALU_DEP_4) | instskip(NEXT) | instid1(VALU_DEP_4)
	v_fma_f64 v[162:163], v[154:155], v[4:5], -v[162:163]
	v_fmac_f64_e32 v[164:165], v[156:157], v[4:5]
	ds_load_b128 v[4:7], v2 offset:1776
	ds_load_b128 v[154:157], v2 offset:1792
	v_fmac_f64_e32 v[166:167], v[160:161], v[10:11]
	v_fma_f64 v[10:11], v[158:159], v[10:11], -v[12:13]
	s_wait_loadcnt_dscnt 0x501
	v_mul_f64_e32 v[168:169], v[4:5], v[132:133]
	v_mul_f64_e32 v[132:133], v[6:7], v[132:133]
	s_wait_loadcnt_dscnt 0x400
	v_mul_f64_e32 v[160:161], v[154:155], v[136:137]
	v_mul_f64_e32 v[136:137], v[156:157], v[136:137]
	v_add_f64_e32 v[12:13], 0, v[162:163]
	v_add_f64_e32 v[158:159], 0, v[164:165]
	v_fmac_f64_e32 v[168:169], v[6:7], v[130:131]
	v_fma_f64 v[130:131], v[4:5], v[130:131], -v[132:133]
	v_fmac_f64_e32 v[160:161], v[156:157], v[134:135]
	v_fma_f64 v[134:135], v[154:155], v[134:135], -v[136:137]
	v_add_f64_e32 v[132:133], v[12:13], v[10:11]
	v_add_f64_e32 v[158:159], v[158:159], v[166:167]
	ds_load_b128 v[4:7], v2 offset:1808
	ds_load_b128 v[10:13], v2 offset:1824
	s_wait_loadcnt_dscnt 0x301
	v_mul_f64_e32 v[162:163], v[4:5], v[140:141]
	v_mul_f64_e32 v[140:141], v[6:7], v[140:141]
	s_wait_loadcnt_dscnt 0x200
	v_mul_f64_e32 v[136:137], v[10:11], v[144:145]
	v_mul_f64_e32 v[144:145], v[12:13], v[144:145]
	v_add_f64_e32 v[130:131], v[132:133], v[130:131]
	v_add_f64_e32 v[132:133], v[158:159], v[168:169]
	v_fmac_f64_e32 v[162:163], v[6:7], v[138:139]
	v_fma_f64 v[138:139], v[4:5], v[138:139], -v[140:141]
	ds_load_b128 v[4:7], v2 offset:1840
	v_fmac_f64_e32 v[136:137], v[12:13], v[142:143]
	v_fma_f64 v[10:11], v[10:11], v[142:143], -v[144:145]
	v_add_f64_e32 v[130:131], v[130:131], v[134:135]
	v_add_f64_e32 v[132:133], v[132:133], v[160:161]
	s_wait_loadcnt_dscnt 0x100
	v_mul_f64_e32 v[134:135], v[4:5], v[148:149]
	v_mul_f64_e32 v[140:141], v[6:7], v[148:149]
	s_delay_alu instid0(VALU_DEP_4) | instskip(NEXT) | instid1(VALU_DEP_4)
	v_add_f64_e32 v[12:13], v[130:131], v[138:139]
	v_add_f64_e32 v[130:131], v[132:133], v[162:163]
	s_delay_alu instid0(VALU_DEP_4) | instskip(NEXT) | instid1(VALU_DEP_4)
	v_fmac_f64_e32 v[134:135], v[6:7], v[146:147]
	v_fma_f64 v[4:5], v[4:5], v[146:147], -v[140:141]
	s_delay_alu instid0(VALU_DEP_4) | instskip(NEXT) | instid1(VALU_DEP_4)
	v_add_f64_e32 v[6:7], v[12:13], v[10:11]
	v_add_f64_e32 v[10:11], v[130:131], v[136:137]
	s_delay_alu instid0(VALU_DEP_2) | instskip(NEXT) | instid1(VALU_DEP_2)
	v_add_f64_e32 v[4:5], v[6:7], v[4:5]
	v_add_f64_e32 v[6:7], v[10:11], v[134:135]
	s_wait_loadcnt 0x0
	s_delay_alu instid0(VALU_DEP_2) | instskip(NEXT) | instid1(VALU_DEP_2)
	v_add_f64_e64 v[4:5], v[150:151], -v[4:5]
	v_add_f64_e64 v[6:7], v[152:153], -v[6:7]
	scratch_store_b128 off, v[4:7], off offset:800
	s_wait_xcnt 0x0
	v_cmpx_lt_u32_e32 49, v1
	s_cbranch_execz .LBB121_263
; %bb.262:
	scratch_load_b128 v[10:13], off, s24
	v_dual_mov_b32 v3, v2 :: v_dual_mov_b32 v4, v2
	v_mov_b32_e32 v5, v2
	scratch_store_b128 off, v[2:5], off offset:784
	s_wait_loadcnt 0x0
	ds_store_b128 v8, v[10:13]
.LBB121_263:
	s_wait_xcnt 0x0
	s_or_b32 exec_lo, exec_lo, s2
	s_wait_storecnt_dscnt 0x0
	s_barrier_signal -1
	s_barrier_wait -1
	s_clause 0x7
	scratch_load_b128 v[4:7], off, off offset:800
	scratch_load_b128 v[10:13], off, off offset:816
	;; [unrolled: 1-line block ×8, first 2 shown]
	ds_load_b128 v[154:157], v2 offset:1728
	ds_load_b128 v[158:161], v2 offset:1744
	scratch_load_b128 v[162:165], off, off offset:784
	s_mov_b32 s2, exec_lo
	s_wait_loadcnt_dscnt 0x801
	v_mul_f64_e32 v[166:167], v[156:157], v[6:7]
	v_mul_f64_e32 v[168:169], v[154:155], v[6:7]
	s_wait_loadcnt_dscnt 0x700
	v_mul_f64_e32 v[170:171], v[158:159], v[12:13]
	v_mul_f64_e32 v[12:13], v[160:161], v[12:13]
	s_delay_alu instid0(VALU_DEP_4) | instskip(NEXT) | instid1(VALU_DEP_4)
	v_fma_f64 v[166:167], v[154:155], v[4:5], -v[166:167]
	v_fmac_f64_e32 v[168:169], v[156:157], v[4:5]
	ds_load_b128 v[4:7], v2 offset:1760
	ds_load_b128 v[154:157], v2 offset:1776
	v_fmac_f64_e32 v[170:171], v[160:161], v[10:11]
	v_fma_f64 v[10:11], v[158:159], v[10:11], -v[12:13]
	s_wait_loadcnt_dscnt 0x601
	v_mul_f64_e32 v[172:173], v[4:5], v[132:133]
	v_mul_f64_e32 v[132:133], v[6:7], v[132:133]
	s_wait_loadcnt_dscnt 0x500
	v_mul_f64_e32 v[160:161], v[154:155], v[136:137]
	v_mul_f64_e32 v[136:137], v[156:157], v[136:137]
	v_add_f64_e32 v[12:13], 0, v[166:167]
	v_add_f64_e32 v[158:159], 0, v[168:169]
	v_fmac_f64_e32 v[172:173], v[6:7], v[130:131]
	v_fma_f64 v[130:131], v[4:5], v[130:131], -v[132:133]
	v_fmac_f64_e32 v[160:161], v[156:157], v[134:135]
	v_fma_f64 v[134:135], v[154:155], v[134:135], -v[136:137]
	v_add_f64_e32 v[132:133], v[12:13], v[10:11]
	v_add_f64_e32 v[158:159], v[158:159], v[170:171]
	ds_load_b128 v[4:7], v2 offset:1792
	ds_load_b128 v[10:13], v2 offset:1808
	s_wait_loadcnt_dscnt 0x401
	v_mul_f64_e32 v[166:167], v[4:5], v[140:141]
	v_mul_f64_e32 v[140:141], v[6:7], v[140:141]
	s_wait_loadcnt_dscnt 0x300
	v_mul_f64_e32 v[136:137], v[10:11], v[144:145]
	v_mul_f64_e32 v[144:145], v[12:13], v[144:145]
	v_add_f64_e32 v[130:131], v[132:133], v[130:131]
	v_add_f64_e32 v[132:133], v[158:159], v[172:173]
	v_fmac_f64_e32 v[166:167], v[6:7], v[138:139]
	v_fma_f64 v[138:139], v[4:5], v[138:139], -v[140:141]
	v_fmac_f64_e32 v[136:137], v[12:13], v[142:143]
	v_fma_f64 v[10:11], v[10:11], v[142:143], -v[144:145]
	v_add_f64_e32 v[134:135], v[130:131], v[134:135]
	v_add_f64_e32 v[140:141], v[132:133], v[160:161]
	ds_load_b128 v[4:7], v2 offset:1824
	ds_load_b128 v[130:133], v2 offset:1840
	s_wait_loadcnt_dscnt 0x201
	v_mul_f64_e32 v[2:3], v[4:5], v[148:149]
	v_mul_f64_e32 v[148:149], v[6:7], v[148:149]
	v_add_f64_e32 v[12:13], v[134:135], v[138:139]
	v_add_f64_e32 v[134:135], v[140:141], v[166:167]
	s_wait_loadcnt_dscnt 0x100
	v_mul_f64_e32 v[138:139], v[130:131], v[152:153]
	v_mul_f64_e32 v[140:141], v[132:133], v[152:153]
	v_fmac_f64_e32 v[2:3], v[6:7], v[146:147]
	v_fma_f64 v[4:5], v[4:5], v[146:147], -v[148:149]
	v_add_f64_e32 v[6:7], v[12:13], v[10:11]
	v_add_f64_e32 v[10:11], v[134:135], v[136:137]
	v_fmac_f64_e32 v[138:139], v[132:133], v[150:151]
	v_fma_f64 v[12:13], v[130:131], v[150:151], -v[140:141]
	s_delay_alu instid0(VALU_DEP_4) | instskip(NEXT) | instid1(VALU_DEP_4)
	v_add_f64_e32 v[4:5], v[6:7], v[4:5]
	v_add_f64_e32 v[2:3], v[10:11], v[2:3]
	s_delay_alu instid0(VALU_DEP_2) | instskip(NEXT) | instid1(VALU_DEP_2)
	v_add_f64_e32 v[4:5], v[4:5], v[12:13]
	v_add_f64_e32 v[6:7], v[2:3], v[138:139]
	s_wait_loadcnt 0x0
	s_delay_alu instid0(VALU_DEP_2) | instskip(NEXT) | instid1(VALU_DEP_2)
	v_add_f64_e64 v[2:3], v[162:163], -v[4:5]
	v_add_f64_e64 v[4:5], v[164:165], -v[6:7]
	scratch_store_b128 off, v[2:5], off offset:784
	s_wait_xcnt 0x0
	v_cmpx_lt_u32_e32 48, v1
	s_cbranch_execz .LBB121_265
; %bb.264:
	scratch_load_b128 v[2:5], off, s25
	v_mov_b32_e32 v10, 0
	s_delay_alu instid0(VALU_DEP_1)
	v_dual_mov_b32 v11, v10 :: v_dual_mov_b32 v12, v10
	v_mov_b32_e32 v13, v10
	scratch_store_b128 off, v[10:13], off offset:768
	s_wait_loadcnt 0x0
	ds_store_b128 v8, v[2:5]
.LBB121_265:
	s_wait_xcnt 0x0
	s_or_b32 exec_lo, exec_lo, s2
	s_wait_storecnt_dscnt 0x0
	s_barrier_signal -1
	s_barrier_wait -1
	s_clause 0x8
	scratch_load_b128 v[4:7], off, off offset:784
	scratch_load_b128 v[10:13], off, off offset:800
	;; [unrolled: 1-line block ×9, first 2 shown]
	v_mov_b32_e32 v2, 0
	scratch_load_b128 v[162:165], off, off offset:768
	s_mov_b32 s2, exec_lo
	ds_load_b128 v[158:161], v2 offset:1712
	ds_load_b128 v[166:169], v2 offset:1728
	s_wait_loadcnt_dscnt 0x901
	v_mul_f64_e32 v[170:171], v[160:161], v[6:7]
	v_mul_f64_e32 v[172:173], v[158:159], v[6:7]
	s_wait_loadcnt_dscnt 0x800
	v_mul_f64_e32 v[174:175], v[166:167], v[12:13]
	v_mul_f64_e32 v[12:13], v[168:169], v[12:13]
	s_delay_alu instid0(VALU_DEP_4) | instskip(NEXT) | instid1(VALU_DEP_4)
	v_fma_f64 v[170:171], v[158:159], v[4:5], -v[170:171]
	v_fmac_f64_e32 v[172:173], v[160:161], v[4:5]
	ds_load_b128 v[4:7], v2 offset:1744
	ds_load_b128 v[158:161], v2 offset:1760
	v_fmac_f64_e32 v[174:175], v[168:169], v[10:11]
	v_fma_f64 v[10:11], v[166:167], v[10:11], -v[12:13]
	s_wait_loadcnt_dscnt 0x701
	v_mul_f64_e32 v[176:177], v[4:5], v[132:133]
	v_mul_f64_e32 v[132:133], v[6:7], v[132:133]
	s_wait_loadcnt_dscnt 0x600
	v_mul_f64_e32 v[168:169], v[158:159], v[136:137]
	v_mul_f64_e32 v[136:137], v[160:161], v[136:137]
	v_add_f64_e32 v[12:13], 0, v[170:171]
	v_add_f64_e32 v[166:167], 0, v[172:173]
	v_fmac_f64_e32 v[176:177], v[6:7], v[130:131]
	v_fma_f64 v[130:131], v[4:5], v[130:131], -v[132:133]
	v_fmac_f64_e32 v[168:169], v[160:161], v[134:135]
	v_fma_f64 v[134:135], v[158:159], v[134:135], -v[136:137]
	v_add_f64_e32 v[132:133], v[12:13], v[10:11]
	v_add_f64_e32 v[166:167], v[166:167], v[174:175]
	ds_load_b128 v[4:7], v2 offset:1776
	ds_load_b128 v[10:13], v2 offset:1792
	s_wait_loadcnt_dscnt 0x501
	v_mul_f64_e32 v[170:171], v[4:5], v[140:141]
	v_mul_f64_e32 v[140:141], v[6:7], v[140:141]
	s_wait_loadcnt_dscnt 0x400
	v_mul_f64_e32 v[136:137], v[10:11], v[144:145]
	v_mul_f64_e32 v[144:145], v[12:13], v[144:145]
	v_add_f64_e32 v[130:131], v[132:133], v[130:131]
	v_add_f64_e32 v[132:133], v[166:167], v[176:177]
	v_fmac_f64_e32 v[170:171], v[6:7], v[138:139]
	v_fma_f64 v[138:139], v[4:5], v[138:139], -v[140:141]
	v_fmac_f64_e32 v[136:137], v[12:13], v[142:143]
	v_fma_f64 v[10:11], v[10:11], v[142:143], -v[144:145]
	v_add_f64_e32 v[134:135], v[130:131], v[134:135]
	v_add_f64_e32 v[140:141], v[132:133], v[168:169]
	ds_load_b128 v[4:7], v2 offset:1808
	ds_load_b128 v[130:133], v2 offset:1824
	s_wait_loadcnt_dscnt 0x301
	v_mul_f64_e32 v[158:159], v[4:5], v[148:149]
	v_mul_f64_e32 v[148:149], v[6:7], v[148:149]
	v_add_f64_e32 v[12:13], v[134:135], v[138:139]
	v_add_f64_e32 v[134:135], v[140:141], v[170:171]
	s_wait_loadcnt_dscnt 0x200
	v_mul_f64_e32 v[138:139], v[130:131], v[152:153]
	v_mul_f64_e32 v[140:141], v[132:133], v[152:153]
	v_fmac_f64_e32 v[158:159], v[6:7], v[146:147]
	v_fma_f64 v[142:143], v[4:5], v[146:147], -v[148:149]
	ds_load_b128 v[4:7], v2 offset:1840
	v_add_f64_e32 v[10:11], v[12:13], v[10:11]
	v_add_f64_e32 v[12:13], v[134:135], v[136:137]
	v_fmac_f64_e32 v[138:139], v[132:133], v[150:151]
	v_fma_f64 v[130:131], v[130:131], v[150:151], -v[140:141]
	s_wait_loadcnt_dscnt 0x100
	v_mul_f64_e32 v[134:135], v[4:5], v[156:157]
	v_mul_f64_e32 v[136:137], v[6:7], v[156:157]
	v_add_f64_e32 v[10:11], v[10:11], v[142:143]
	v_add_f64_e32 v[12:13], v[12:13], v[158:159]
	s_delay_alu instid0(VALU_DEP_4) | instskip(NEXT) | instid1(VALU_DEP_4)
	v_fmac_f64_e32 v[134:135], v[6:7], v[154:155]
	v_fma_f64 v[4:5], v[4:5], v[154:155], -v[136:137]
	s_delay_alu instid0(VALU_DEP_4) | instskip(NEXT) | instid1(VALU_DEP_4)
	v_add_f64_e32 v[6:7], v[10:11], v[130:131]
	v_add_f64_e32 v[10:11], v[12:13], v[138:139]
	s_delay_alu instid0(VALU_DEP_2) | instskip(NEXT) | instid1(VALU_DEP_2)
	v_add_f64_e32 v[4:5], v[6:7], v[4:5]
	v_add_f64_e32 v[6:7], v[10:11], v[134:135]
	s_wait_loadcnt 0x0
	s_delay_alu instid0(VALU_DEP_2) | instskip(NEXT) | instid1(VALU_DEP_2)
	v_add_f64_e64 v[4:5], v[162:163], -v[4:5]
	v_add_f64_e64 v[6:7], v[164:165], -v[6:7]
	scratch_store_b128 off, v[4:7], off offset:768
	s_wait_xcnt 0x0
	v_cmpx_lt_u32_e32 47, v1
	s_cbranch_execz .LBB121_267
; %bb.266:
	scratch_load_b128 v[10:13], off, s26
	v_dual_mov_b32 v3, v2 :: v_dual_mov_b32 v4, v2
	v_mov_b32_e32 v5, v2
	scratch_store_b128 off, v[2:5], off offset:752
	s_wait_loadcnt 0x0
	ds_store_b128 v8, v[10:13]
.LBB121_267:
	s_wait_xcnt 0x0
	s_or_b32 exec_lo, exec_lo, s2
	s_wait_storecnt_dscnt 0x0
	s_barrier_signal -1
	s_barrier_wait -1
	s_clause 0x9
	scratch_load_b128 v[4:7], off, off offset:768
	scratch_load_b128 v[10:13], off, off offset:784
	;; [unrolled: 1-line block ×10, first 2 shown]
	ds_load_b128 v[162:165], v2 offset:1696
	ds_load_b128 v[166:169], v2 offset:1712
	scratch_load_b128 v[170:173], off, off offset:752
	s_mov_b32 s2, exec_lo
	s_wait_loadcnt_dscnt 0xa01
	v_mul_f64_e32 v[174:175], v[164:165], v[6:7]
	v_mul_f64_e32 v[176:177], v[162:163], v[6:7]
	s_wait_loadcnt_dscnt 0x900
	v_mul_f64_e32 v[178:179], v[166:167], v[12:13]
	v_mul_f64_e32 v[12:13], v[168:169], v[12:13]
	s_delay_alu instid0(VALU_DEP_4) | instskip(NEXT) | instid1(VALU_DEP_4)
	v_fma_f64 v[174:175], v[162:163], v[4:5], -v[174:175]
	v_fmac_f64_e32 v[176:177], v[164:165], v[4:5]
	ds_load_b128 v[4:7], v2 offset:1728
	ds_load_b128 v[162:165], v2 offset:1744
	v_fmac_f64_e32 v[178:179], v[168:169], v[10:11]
	v_fma_f64 v[10:11], v[166:167], v[10:11], -v[12:13]
	s_wait_loadcnt_dscnt 0x801
	v_mul_f64_e32 v[180:181], v[4:5], v[132:133]
	v_mul_f64_e32 v[132:133], v[6:7], v[132:133]
	s_wait_loadcnt_dscnt 0x700
	v_mul_f64_e32 v[168:169], v[162:163], v[136:137]
	v_mul_f64_e32 v[136:137], v[164:165], v[136:137]
	v_add_f64_e32 v[12:13], 0, v[174:175]
	v_add_f64_e32 v[166:167], 0, v[176:177]
	v_fmac_f64_e32 v[180:181], v[6:7], v[130:131]
	v_fma_f64 v[130:131], v[4:5], v[130:131], -v[132:133]
	v_fmac_f64_e32 v[168:169], v[164:165], v[134:135]
	v_fma_f64 v[134:135], v[162:163], v[134:135], -v[136:137]
	v_add_f64_e32 v[132:133], v[12:13], v[10:11]
	v_add_f64_e32 v[166:167], v[166:167], v[178:179]
	ds_load_b128 v[4:7], v2 offset:1760
	ds_load_b128 v[10:13], v2 offset:1776
	s_wait_loadcnt_dscnt 0x601
	v_mul_f64_e32 v[174:175], v[4:5], v[140:141]
	v_mul_f64_e32 v[140:141], v[6:7], v[140:141]
	s_wait_loadcnt_dscnt 0x500
	v_mul_f64_e32 v[136:137], v[10:11], v[144:145]
	v_mul_f64_e32 v[144:145], v[12:13], v[144:145]
	v_add_f64_e32 v[130:131], v[132:133], v[130:131]
	v_add_f64_e32 v[132:133], v[166:167], v[180:181]
	v_fmac_f64_e32 v[174:175], v[6:7], v[138:139]
	v_fma_f64 v[138:139], v[4:5], v[138:139], -v[140:141]
	v_fmac_f64_e32 v[136:137], v[12:13], v[142:143]
	v_fma_f64 v[10:11], v[10:11], v[142:143], -v[144:145]
	v_add_f64_e32 v[134:135], v[130:131], v[134:135]
	v_add_f64_e32 v[140:141], v[132:133], v[168:169]
	ds_load_b128 v[4:7], v2 offset:1792
	ds_load_b128 v[130:133], v2 offset:1808
	s_wait_loadcnt_dscnt 0x401
	v_mul_f64_e32 v[162:163], v[4:5], v[148:149]
	v_mul_f64_e32 v[148:149], v[6:7], v[148:149]
	v_add_f64_e32 v[12:13], v[134:135], v[138:139]
	v_add_f64_e32 v[134:135], v[140:141], v[174:175]
	s_wait_loadcnt_dscnt 0x300
	v_mul_f64_e32 v[138:139], v[130:131], v[152:153]
	v_mul_f64_e32 v[140:141], v[132:133], v[152:153]
	v_fmac_f64_e32 v[162:163], v[6:7], v[146:147]
	v_fma_f64 v[142:143], v[4:5], v[146:147], -v[148:149]
	v_add_f64_e32 v[144:145], v[12:13], v[10:11]
	v_add_f64_e32 v[134:135], v[134:135], v[136:137]
	ds_load_b128 v[4:7], v2 offset:1824
	ds_load_b128 v[10:13], v2 offset:1840
	v_fmac_f64_e32 v[138:139], v[132:133], v[150:151]
	v_fma_f64 v[130:131], v[130:131], v[150:151], -v[140:141]
	s_wait_loadcnt_dscnt 0x201
	v_mul_f64_e32 v[2:3], v[4:5], v[156:157]
	v_mul_f64_e32 v[136:137], v[6:7], v[156:157]
	s_wait_loadcnt_dscnt 0x100
	v_mul_f64_e32 v[140:141], v[10:11], v[160:161]
	v_add_f64_e32 v[132:133], v[144:145], v[142:143]
	v_add_f64_e32 v[134:135], v[134:135], v[162:163]
	v_mul_f64_e32 v[142:143], v[12:13], v[160:161]
	v_fmac_f64_e32 v[2:3], v[6:7], v[154:155]
	v_fma_f64 v[4:5], v[4:5], v[154:155], -v[136:137]
	v_fmac_f64_e32 v[140:141], v[12:13], v[158:159]
	v_add_f64_e32 v[6:7], v[132:133], v[130:131]
	v_add_f64_e32 v[130:131], v[134:135], v[138:139]
	v_fma_f64 v[10:11], v[10:11], v[158:159], -v[142:143]
	s_delay_alu instid0(VALU_DEP_3) | instskip(NEXT) | instid1(VALU_DEP_3)
	v_add_f64_e32 v[4:5], v[6:7], v[4:5]
	v_add_f64_e32 v[2:3], v[130:131], v[2:3]
	s_delay_alu instid0(VALU_DEP_2) | instskip(NEXT) | instid1(VALU_DEP_2)
	v_add_f64_e32 v[4:5], v[4:5], v[10:11]
	v_add_f64_e32 v[6:7], v[2:3], v[140:141]
	s_wait_loadcnt 0x0
	s_delay_alu instid0(VALU_DEP_2) | instskip(NEXT) | instid1(VALU_DEP_2)
	v_add_f64_e64 v[2:3], v[170:171], -v[4:5]
	v_add_f64_e64 v[4:5], v[172:173], -v[6:7]
	scratch_store_b128 off, v[2:5], off offset:752
	s_wait_xcnt 0x0
	v_cmpx_lt_u32_e32 46, v1
	s_cbranch_execz .LBB121_269
; %bb.268:
	scratch_load_b128 v[2:5], off, s27
	v_mov_b32_e32 v10, 0
	s_delay_alu instid0(VALU_DEP_1)
	v_dual_mov_b32 v11, v10 :: v_dual_mov_b32 v12, v10
	v_mov_b32_e32 v13, v10
	scratch_store_b128 off, v[10:13], off offset:736
	s_wait_loadcnt 0x0
	ds_store_b128 v8, v[2:5]
.LBB121_269:
	s_wait_xcnt 0x0
	s_or_b32 exec_lo, exec_lo, s2
	s_wait_storecnt_dscnt 0x0
	s_barrier_signal -1
	s_barrier_wait -1
	s_clause 0x9
	scratch_load_b128 v[4:7], off, off offset:752
	scratch_load_b128 v[10:13], off, off offset:768
	;; [unrolled: 1-line block ×10, first 2 shown]
	v_mov_b32_e32 v2, 0
	s_mov_b32 s2, exec_lo
	ds_load_b128 v[162:165], v2 offset:1680
	s_clause 0x1
	scratch_load_b128 v[166:169], off, off offset:912
	scratch_load_b128 v[170:173], off, off offset:736
	s_wait_loadcnt_dscnt 0xb00
	v_mul_f64_e32 v[178:179], v[164:165], v[6:7]
	v_mul_f64_e32 v[180:181], v[162:163], v[6:7]
	ds_load_b128 v[174:177], v2 offset:1696
	s_wait_loadcnt_dscnt 0xa00
	v_mul_f64_e32 v[182:183], v[174:175], v[12:13]
	v_mul_f64_e32 v[12:13], v[176:177], v[12:13]
	v_fma_f64 v[178:179], v[162:163], v[4:5], -v[178:179]
	v_fmac_f64_e32 v[180:181], v[164:165], v[4:5]
	ds_load_b128 v[4:7], v2 offset:1712
	ds_load_b128 v[162:165], v2 offset:1728
	s_wait_loadcnt_dscnt 0x901
	v_mul_f64_e32 v[184:185], v[4:5], v[132:133]
	v_mul_f64_e32 v[132:133], v[6:7], v[132:133]
	v_fmac_f64_e32 v[182:183], v[176:177], v[10:11]
	v_fma_f64 v[10:11], v[174:175], v[10:11], -v[12:13]
	s_wait_loadcnt_dscnt 0x800
	v_mul_f64_e32 v[176:177], v[162:163], v[136:137]
	v_mul_f64_e32 v[136:137], v[164:165], v[136:137]
	v_add_f64_e32 v[12:13], 0, v[178:179]
	v_add_f64_e32 v[174:175], 0, v[180:181]
	v_fmac_f64_e32 v[184:185], v[6:7], v[130:131]
	v_fma_f64 v[130:131], v[4:5], v[130:131], -v[132:133]
	v_fmac_f64_e32 v[176:177], v[164:165], v[134:135]
	v_fma_f64 v[134:135], v[162:163], v[134:135], -v[136:137]
	v_add_f64_e32 v[132:133], v[12:13], v[10:11]
	v_add_f64_e32 v[174:175], v[174:175], v[182:183]
	ds_load_b128 v[4:7], v2 offset:1744
	ds_load_b128 v[10:13], v2 offset:1760
	s_wait_loadcnt_dscnt 0x701
	v_mul_f64_e32 v[178:179], v[4:5], v[140:141]
	v_mul_f64_e32 v[140:141], v[6:7], v[140:141]
	s_wait_loadcnt_dscnt 0x600
	v_mul_f64_e32 v[136:137], v[10:11], v[144:145]
	v_mul_f64_e32 v[144:145], v[12:13], v[144:145]
	v_add_f64_e32 v[130:131], v[132:133], v[130:131]
	v_add_f64_e32 v[132:133], v[174:175], v[184:185]
	v_fmac_f64_e32 v[178:179], v[6:7], v[138:139]
	v_fma_f64 v[138:139], v[4:5], v[138:139], -v[140:141]
	v_fmac_f64_e32 v[136:137], v[12:13], v[142:143]
	v_fma_f64 v[10:11], v[10:11], v[142:143], -v[144:145]
	v_add_f64_e32 v[134:135], v[130:131], v[134:135]
	v_add_f64_e32 v[140:141], v[132:133], v[176:177]
	ds_load_b128 v[4:7], v2 offset:1776
	ds_load_b128 v[130:133], v2 offset:1792
	s_wait_loadcnt_dscnt 0x501
	v_mul_f64_e32 v[162:163], v[4:5], v[148:149]
	v_mul_f64_e32 v[148:149], v[6:7], v[148:149]
	v_add_f64_e32 v[12:13], v[134:135], v[138:139]
	v_add_f64_e32 v[134:135], v[140:141], v[178:179]
	s_wait_loadcnt_dscnt 0x400
	v_mul_f64_e32 v[138:139], v[130:131], v[152:153]
	v_mul_f64_e32 v[140:141], v[132:133], v[152:153]
	v_fmac_f64_e32 v[162:163], v[6:7], v[146:147]
	v_fma_f64 v[142:143], v[4:5], v[146:147], -v[148:149]
	v_add_f64_e32 v[144:145], v[12:13], v[10:11]
	v_add_f64_e32 v[134:135], v[134:135], v[136:137]
	ds_load_b128 v[4:7], v2 offset:1808
	ds_load_b128 v[10:13], v2 offset:1824
	v_fmac_f64_e32 v[138:139], v[132:133], v[150:151]
	v_fma_f64 v[130:131], v[130:131], v[150:151], -v[140:141]
	s_wait_loadcnt_dscnt 0x301
	v_mul_f64_e32 v[136:137], v[4:5], v[156:157]
	v_mul_f64_e32 v[146:147], v[6:7], v[156:157]
	s_wait_loadcnt_dscnt 0x200
	v_mul_f64_e32 v[140:141], v[10:11], v[160:161]
	v_add_f64_e32 v[132:133], v[144:145], v[142:143]
	v_add_f64_e32 v[134:135], v[134:135], v[162:163]
	v_mul_f64_e32 v[142:143], v[12:13], v[160:161]
	v_fmac_f64_e32 v[136:137], v[6:7], v[154:155]
	v_fma_f64 v[144:145], v[4:5], v[154:155], -v[146:147]
	ds_load_b128 v[4:7], v2 offset:1840
	v_fmac_f64_e32 v[140:141], v[12:13], v[158:159]
	v_add_f64_e32 v[130:131], v[132:133], v[130:131]
	v_add_f64_e32 v[132:133], v[134:135], v[138:139]
	v_fma_f64 v[10:11], v[10:11], v[158:159], -v[142:143]
	s_wait_loadcnt_dscnt 0x100
	v_mul_f64_e32 v[134:135], v[4:5], v[168:169]
	v_mul_f64_e32 v[138:139], v[6:7], v[168:169]
	v_add_f64_e32 v[12:13], v[130:131], v[144:145]
	v_add_f64_e32 v[130:131], v[132:133], v[136:137]
	s_delay_alu instid0(VALU_DEP_4) | instskip(NEXT) | instid1(VALU_DEP_4)
	v_fmac_f64_e32 v[134:135], v[6:7], v[166:167]
	v_fma_f64 v[4:5], v[4:5], v[166:167], -v[138:139]
	s_delay_alu instid0(VALU_DEP_4) | instskip(NEXT) | instid1(VALU_DEP_4)
	v_add_f64_e32 v[6:7], v[12:13], v[10:11]
	v_add_f64_e32 v[10:11], v[130:131], v[140:141]
	s_delay_alu instid0(VALU_DEP_2) | instskip(NEXT) | instid1(VALU_DEP_2)
	v_add_f64_e32 v[4:5], v[6:7], v[4:5]
	v_add_f64_e32 v[6:7], v[10:11], v[134:135]
	s_wait_loadcnt 0x0
	s_delay_alu instid0(VALU_DEP_2) | instskip(NEXT) | instid1(VALU_DEP_2)
	v_add_f64_e64 v[4:5], v[170:171], -v[4:5]
	v_add_f64_e64 v[6:7], v[172:173], -v[6:7]
	scratch_store_b128 off, v[4:7], off offset:736
	s_wait_xcnt 0x0
	v_cmpx_lt_u32_e32 45, v1
	s_cbranch_execz .LBB121_271
; %bb.270:
	scratch_load_b128 v[10:13], off, s28
	v_dual_mov_b32 v3, v2 :: v_dual_mov_b32 v4, v2
	v_mov_b32_e32 v5, v2
	scratch_store_b128 off, v[2:5], off offset:720
	s_wait_loadcnt 0x0
	ds_store_b128 v8, v[10:13]
.LBB121_271:
	s_wait_xcnt 0x0
	s_or_b32 exec_lo, exec_lo, s2
	s_wait_storecnt_dscnt 0x0
	s_barrier_signal -1
	s_barrier_wait -1
	s_clause 0x9
	scratch_load_b128 v[4:7], off, off offset:736
	scratch_load_b128 v[10:13], off, off offset:752
	;; [unrolled: 1-line block ×10, first 2 shown]
	ds_load_b128 v[162:165], v2 offset:1664
	ds_load_b128 v[170:173], v2 offset:1680
	s_clause 0x2
	scratch_load_b128 v[166:169], off, off offset:896
	scratch_load_b128 v[174:177], off, off offset:720
	;; [unrolled: 1-line block ×3, first 2 shown]
	s_mov_b32 s2, exec_lo
	s_wait_loadcnt_dscnt 0xc01
	v_mul_f64_e32 v[182:183], v[164:165], v[6:7]
	v_mul_f64_e32 v[184:185], v[162:163], v[6:7]
	s_wait_loadcnt_dscnt 0xb00
	v_mul_f64_e32 v[186:187], v[170:171], v[12:13]
	v_mul_f64_e32 v[12:13], v[172:173], v[12:13]
	s_delay_alu instid0(VALU_DEP_4) | instskip(NEXT) | instid1(VALU_DEP_4)
	v_fma_f64 v[182:183], v[162:163], v[4:5], -v[182:183]
	v_fmac_f64_e32 v[184:185], v[164:165], v[4:5]
	ds_load_b128 v[4:7], v2 offset:1696
	ds_load_b128 v[162:165], v2 offset:1712
	v_fmac_f64_e32 v[186:187], v[172:173], v[10:11]
	v_fma_f64 v[10:11], v[170:171], v[10:11], -v[12:13]
	s_wait_loadcnt_dscnt 0xa01
	v_mul_f64_e32 v[188:189], v[4:5], v[132:133]
	v_mul_f64_e32 v[132:133], v[6:7], v[132:133]
	s_wait_loadcnt_dscnt 0x900
	v_mul_f64_e32 v[172:173], v[162:163], v[136:137]
	v_mul_f64_e32 v[136:137], v[164:165], v[136:137]
	v_add_f64_e32 v[12:13], 0, v[182:183]
	v_add_f64_e32 v[170:171], 0, v[184:185]
	v_fmac_f64_e32 v[188:189], v[6:7], v[130:131]
	v_fma_f64 v[130:131], v[4:5], v[130:131], -v[132:133]
	v_fmac_f64_e32 v[172:173], v[164:165], v[134:135]
	v_fma_f64 v[134:135], v[162:163], v[134:135], -v[136:137]
	v_add_f64_e32 v[132:133], v[12:13], v[10:11]
	v_add_f64_e32 v[170:171], v[170:171], v[186:187]
	ds_load_b128 v[4:7], v2 offset:1728
	ds_load_b128 v[10:13], v2 offset:1744
	s_wait_loadcnt_dscnt 0x801
	v_mul_f64_e32 v[182:183], v[4:5], v[140:141]
	v_mul_f64_e32 v[140:141], v[6:7], v[140:141]
	s_wait_loadcnt_dscnt 0x700
	v_mul_f64_e32 v[136:137], v[10:11], v[144:145]
	v_mul_f64_e32 v[144:145], v[12:13], v[144:145]
	v_add_f64_e32 v[130:131], v[132:133], v[130:131]
	v_add_f64_e32 v[132:133], v[170:171], v[188:189]
	v_fmac_f64_e32 v[182:183], v[6:7], v[138:139]
	v_fma_f64 v[138:139], v[4:5], v[138:139], -v[140:141]
	v_fmac_f64_e32 v[136:137], v[12:13], v[142:143]
	v_fma_f64 v[10:11], v[10:11], v[142:143], -v[144:145]
	v_add_f64_e32 v[134:135], v[130:131], v[134:135]
	v_add_f64_e32 v[140:141], v[132:133], v[172:173]
	ds_load_b128 v[4:7], v2 offset:1760
	ds_load_b128 v[130:133], v2 offset:1776
	s_wait_loadcnt_dscnt 0x601
	v_mul_f64_e32 v[162:163], v[4:5], v[148:149]
	v_mul_f64_e32 v[148:149], v[6:7], v[148:149]
	v_add_f64_e32 v[12:13], v[134:135], v[138:139]
	v_add_f64_e32 v[134:135], v[140:141], v[182:183]
	s_wait_loadcnt_dscnt 0x500
	v_mul_f64_e32 v[138:139], v[130:131], v[152:153]
	v_mul_f64_e32 v[140:141], v[132:133], v[152:153]
	v_fmac_f64_e32 v[162:163], v[6:7], v[146:147]
	v_fma_f64 v[142:143], v[4:5], v[146:147], -v[148:149]
	v_add_f64_e32 v[144:145], v[12:13], v[10:11]
	v_add_f64_e32 v[134:135], v[134:135], v[136:137]
	ds_load_b128 v[4:7], v2 offset:1792
	ds_load_b128 v[10:13], v2 offset:1808
	v_fmac_f64_e32 v[138:139], v[132:133], v[150:151]
	v_fma_f64 v[130:131], v[130:131], v[150:151], -v[140:141]
	s_wait_loadcnt_dscnt 0x401
	v_mul_f64_e32 v[136:137], v[4:5], v[156:157]
	v_mul_f64_e32 v[146:147], v[6:7], v[156:157]
	s_wait_loadcnt_dscnt 0x300
	v_mul_f64_e32 v[140:141], v[10:11], v[160:161]
	v_add_f64_e32 v[132:133], v[144:145], v[142:143]
	v_add_f64_e32 v[134:135], v[134:135], v[162:163]
	v_mul_f64_e32 v[142:143], v[12:13], v[160:161]
	v_fmac_f64_e32 v[136:137], v[6:7], v[154:155]
	v_fma_f64 v[144:145], v[4:5], v[154:155], -v[146:147]
	v_fmac_f64_e32 v[140:141], v[12:13], v[158:159]
	v_add_f64_e32 v[146:147], v[132:133], v[130:131]
	v_add_f64_e32 v[134:135], v[134:135], v[138:139]
	ds_load_b128 v[4:7], v2 offset:1824
	ds_load_b128 v[130:133], v2 offset:1840
	v_fma_f64 v[10:11], v[10:11], v[158:159], -v[142:143]
	s_wait_loadcnt_dscnt 0x201
	v_mul_f64_e32 v[2:3], v[4:5], v[168:169]
	v_mul_f64_e32 v[138:139], v[6:7], v[168:169]
	s_wait_loadcnt_dscnt 0x0
	v_mul_f64_e32 v[142:143], v[132:133], v[180:181]
	v_add_f64_e32 v[12:13], v[146:147], v[144:145]
	v_add_f64_e32 v[134:135], v[134:135], v[136:137]
	v_mul_f64_e32 v[136:137], v[130:131], v[180:181]
	v_fmac_f64_e32 v[2:3], v[6:7], v[166:167]
	v_fma_f64 v[4:5], v[4:5], v[166:167], -v[138:139]
	v_add_f64_e32 v[6:7], v[12:13], v[10:11]
	v_add_f64_e32 v[10:11], v[134:135], v[140:141]
	v_fmac_f64_e32 v[136:137], v[132:133], v[178:179]
	v_fma_f64 v[12:13], v[130:131], v[178:179], -v[142:143]
	s_delay_alu instid0(VALU_DEP_4) | instskip(NEXT) | instid1(VALU_DEP_4)
	v_add_f64_e32 v[4:5], v[6:7], v[4:5]
	v_add_f64_e32 v[2:3], v[10:11], v[2:3]
	s_delay_alu instid0(VALU_DEP_2) | instskip(NEXT) | instid1(VALU_DEP_2)
	v_add_f64_e32 v[4:5], v[4:5], v[12:13]
	v_add_f64_e32 v[6:7], v[2:3], v[136:137]
	s_delay_alu instid0(VALU_DEP_2) | instskip(NEXT) | instid1(VALU_DEP_2)
	v_add_f64_e64 v[2:3], v[174:175], -v[4:5]
	v_add_f64_e64 v[4:5], v[176:177], -v[6:7]
	scratch_store_b128 off, v[2:5], off offset:720
	s_wait_xcnt 0x0
	v_cmpx_lt_u32_e32 44, v1
	s_cbranch_execz .LBB121_273
; %bb.272:
	scratch_load_b128 v[2:5], off, s29
	v_mov_b32_e32 v10, 0
	s_delay_alu instid0(VALU_DEP_1)
	v_dual_mov_b32 v11, v10 :: v_dual_mov_b32 v12, v10
	v_mov_b32_e32 v13, v10
	scratch_store_b128 off, v[10:13], off offset:704
	s_wait_loadcnt 0x0
	ds_store_b128 v8, v[2:5]
.LBB121_273:
	s_wait_xcnt 0x0
	s_or_b32 exec_lo, exec_lo, s2
	s_wait_storecnt_dscnt 0x0
	s_barrier_signal -1
	s_barrier_wait -1
	s_clause 0x9
	scratch_load_b128 v[4:7], off, off offset:720
	scratch_load_b128 v[10:13], off, off offset:736
	;; [unrolled: 1-line block ×10, first 2 shown]
	v_mov_b32_e32 v2, 0
	s_mov_b32 s2, exec_lo
	ds_load_b128 v[162:165], v2 offset:1648
	s_clause 0x2
	scratch_load_b128 v[166:169], off, off offset:880
	scratch_load_b128 v[170:173], off, off offset:704
	;; [unrolled: 1-line block ×3, first 2 shown]
	s_wait_loadcnt_dscnt 0xc00
	v_mul_f64_e32 v[182:183], v[164:165], v[6:7]
	v_mul_f64_e32 v[186:187], v[162:163], v[6:7]
	ds_load_b128 v[174:177], v2 offset:1664
	v_fma_f64 v[190:191], v[162:163], v[4:5], -v[182:183]
	v_fmac_f64_e32 v[186:187], v[164:165], v[4:5]
	ds_load_b128 v[4:7], v2 offset:1680
	s_wait_loadcnt_dscnt 0xb01
	v_mul_f64_e32 v[188:189], v[174:175], v[12:13]
	v_mul_f64_e32 v[12:13], v[176:177], v[12:13]
	scratch_load_b128 v[162:165], off, off offset:912
	ds_load_b128 v[182:185], v2 offset:1696
	s_wait_loadcnt_dscnt 0xb01
	v_mul_f64_e32 v[192:193], v[4:5], v[132:133]
	v_mul_f64_e32 v[132:133], v[6:7], v[132:133]
	v_fmac_f64_e32 v[188:189], v[176:177], v[10:11]
	v_fma_f64 v[10:11], v[174:175], v[10:11], -v[12:13]
	v_add_f64_e32 v[12:13], 0, v[190:191]
	v_add_f64_e32 v[174:175], 0, v[186:187]
	s_wait_loadcnt_dscnt 0xa00
	v_mul_f64_e32 v[176:177], v[182:183], v[136:137]
	v_mul_f64_e32 v[136:137], v[184:185], v[136:137]
	v_fmac_f64_e32 v[192:193], v[6:7], v[130:131]
	v_fma_f64 v[130:131], v[4:5], v[130:131], -v[132:133]
	v_add_f64_e32 v[132:133], v[12:13], v[10:11]
	v_add_f64_e32 v[174:175], v[174:175], v[188:189]
	ds_load_b128 v[4:7], v2 offset:1712
	ds_load_b128 v[10:13], v2 offset:1728
	v_fmac_f64_e32 v[176:177], v[184:185], v[134:135]
	v_fma_f64 v[134:135], v[182:183], v[134:135], -v[136:137]
	s_wait_loadcnt_dscnt 0x901
	v_mul_f64_e32 v[186:187], v[4:5], v[140:141]
	v_mul_f64_e32 v[140:141], v[6:7], v[140:141]
	s_wait_loadcnt_dscnt 0x800
	v_mul_f64_e32 v[136:137], v[10:11], v[144:145]
	v_mul_f64_e32 v[144:145], v[12:13], v[144:145]
	v_add_f64_e32 v[130:131], v[132:133], v[130:131]
	v_add_f64_e32 v[132:133], v[174:175], v[192:193]
	v_fmac_f64_e32 v[186:187], v[6:7], v[138:139]
	v_fma_f64 v[138:139], v[4:5], v[138:139], -v[140:141]
	v_fmac_f64_e32 v[136:137], v[12:13], v[142:143]
	v_fma_f64 v[10:11], v[10:11], v[142:143], -v[144:145]
	v_add_f64_e32 v[134:135], v[130:131], v[134:135]
	v_add_f64_e32 v[140:141], v[132:133], v[176:177]
	ds_load_b128 v[4:7], v2 offset:1744
	ds_load_b128 v[130:133], v2 offset:1760
	s_wait_loadcnt_dscnt 0x701
	v_mul_f64_e32 v[174:175], v[4:5], v[148:149]
	v_mul_f64_e32 v[148:149], v[6:7], v[148:149]
	v_add_f64_e32 v[12:13], v[134:135], v[138:139]
	v_add_f64_e32 v[134:135], v[140:141], v[186:187]
	s_wait_loadcnt_dscnt 0x600
	v_mul_f64_e32 v[138:139], v[130:131], v[152:153]
	v_mul_f64_e32 v[140:141], v[132:133], v[152:153]
	v_fmac_f64_e32 v[174:175], v[6:7], v[146:147]
	v_fma_f64 v[142:143], v[4:5], v[146:147], -v[148:149]
	v_add_f64_e32 v[144:145], v[12:13], v[10:11]
	v_add_f64_e32 v[134:135], v[134:135], v[136:137]
	ds_load_b128 v[4:7], v2 offset:1776
	ds_load_b128 v[10:13], v2 offset:1792
	v_fmac_f64_e32 v[138:139], v[132:133], v[150:151]
	v_fma_f64 v[130:131], v[130:131], v[150:151], -v[140:141]
	s_wait_loadcnt_dscnt 0x501
	v_mul_f64_e32 v[136:137], v[4:5], v[156:157]
	v_mul_f64_e32 v[146:147], v[6:7], v[156:157]
	s_wait_loadcnt_dscnt 0x400
	v_mul_f64_e32 v[140:141], v[10:11], v[160:161]
	v_add_f64_e32 v[132:133], v[144:145], v[142:143]
	v_add_f64_e32 v[134:135], v[134:135], v[174:175]
	v_mul_f64_e32 v[142:143], v[12:13], v[160:161]
	v_fmac_f64_e32 v[136:137], v[6:7], v[154:155]
	v_fma_f64 v[144:145], v[4:5], v[154:155], -v[146:147]
	v_fmac_f64_e32 v[140:141], v[12:13], v[158:159]
	v_add_f64_e32 v[146:147], v[132:133], v[130:131]
	v_add_f64_e32 v[134:135], v[134:135], v[138:139]
	ds_load_b128 v[4:7], v2 offset:1808
	ds_load_b128 v[130:133], v2 offset:1824
	v_fma_f64 v[10:11], v[10:11], v[158:159], -v[142:143]
	s_wait_loadcnt_dscnt 0x301
	v_mul_f64_e32 v[138:139], v[4:5], v[168:169]
	v_mul_f64_e32 v[148:149], v[6:7], v[168:169]
	s_wait_loadcnt_dscnt 0x100
	v_mul_f64_e32 v[142:143], v[132:133], v[180:181]
	v_add_f64_e32 v[12:13], v[146:147], v[144:145]
	v_add_f64_e32 v[134:135], v[134:135], v[136:137]
	v_mul_f64_e32 v[136:137], v[130:131], v[180:181]
	v_fmac_f64_e32 v[138:139], v[6:7], v[166:167]
	v_fma_f64 v[144:145], v[4:5], v[166:167], -v[148:149]
	ds_load_b128 v[4:7], v2 offset:1840
	v_fma_f64 v[130:131], v[130:131], v[178:179], -v[142:143]
	v_add_f64_e32 v[10:11], v[12:13], v[10:11]
	v_add_f64_e32 v[12:13], v[134:135], v[140:141]
	v_fmac_f64_e32 v[136:137], v[132:133], v[178:179]
	s_wait_loadcnt_dscnt 0x0
	v_mul_f64_e32 v[134:135], v[4:5], v[164:165]
	v_mul_f64_e32 v[140:141], v[6:7], v[164:165]
	v_add_f64_e32 v[10:11], v[10:11], v[144:145]
	v_add_f64_e32 v[12:13], v[12:13], v[138:139]
	s_delay_alu instid0(VALU_DEP_4) | instskip(NEXT) | instid1(VALU_DEP_4)
	v_fmac_f64_e32 v[134:135], v[6:7], v[162:163]
	v_fma_f64 v[4:5], v[4:5], v[162:163], -v[140:141]
	s_delay_alu instid0(VALU_DEP_4) | instskip(NEXT) | instid1(VALU_DEP_4)
	v_add_f64_e32 v[6:7], v[10:11], v[130:131]
	v_add_f64_e32 v[10:11], v[12:13], v[136:137]
	s_delay_alu instid0(VALU_DEP_2) | instskip(NEXT) | instid1(VALU_DEP_2)
	v_add_f64_e32 v[4:5], v[6:7], v[4:5]
	v_add_f64_e32 v[6:7], v[10:11], v[134:135]
	s_delay_alu instid0(VALU_DEP_2) | instskip(NEXT) | instid1(VALU_DEP_2)
	v_add_f64_e64 v[4:5], v[170:171], -v[4:5]
	v_add_f64_e64 v[6:7], v[172:173], -v[6:7]
	scratch_store_b128 off, v[4:7], off offset:704
	s_wait_xcnt 0x0
	v_cmpx_lt_u32_e32 43, v1
	s_cbranch_execz .LBB121_275
; %bb.274:
	scratch_load_b128 v[10:13], off, s30
	v_dual_mov_b32 v3, v2 :: v_dual_mov_b32 v4, v2
	v_mov_b32_e32 v5, v2
	scratch_store_b128 off, v[2:5], off offset:688
	s_wait_loadcnt 0x0
	ds_store_b128 v8, v[10:13]
.LBB121_275:
	s_wait_xcnt 0x0
	s_or_b32 exec_lo, exec_lo, s2
	s_wait_storecnt_dscnt 0x0
	s_barrier_signal -1
	s_barrier_wait -1
	s_clause 0x9
	scratch_load_b128 v[4:7], off, off offset:704
	scratch_load_b128 v[10:13], off, off offset:720
	;; [unrolled: 1-line block ×10, first 2 shown]
	ds_load_b128 v[162:165], v2 offset:1632
	ds_load_b128 v[170:173], v2 offset:1648
	s_clause 0x2
	scratch_load_b128 v[166:169], off, off offset:864
	scratch_load_b128 v[174:177], off, off offset:688
	;; [unrolled: 1-line block ×3, first 2 shown]
	s_mov_b32 s2, exec_lo
	s_wait_loadcnt_dscnt 0xc01
	v_mul_f64_e32 v[182:183], v[164:165], v[6:7]
	v_mul_f64_e32 v[186:187], v[162:163], v[6:7]
	s_wait_loadcnt_dscnt 0xb00
	v_mul_f64_e32 v[188:189], v[170:171], v[12:13]
	v_mul_f64_e32 v[12:13], v[172:173], v[12:13]
	s_delay_alu instid0(VALU_DEP_4) | instskip(NEXT) | instid1(VALU_DEP_4)
	v_fma_f64 v[190:191], v[162:163], v[4:5], -v[182:183]
	v_fmac_f64_e32 v[186:187], v[164:165], v[4:5]
	ds_load_b128 v[4:7], v2 offset:1664
	ds_load_b128 v[162:165], v2 offset:1680
	scratch_load_b128 v[182:185], off, off offset:896
	v_fmac_f64_e32 v[188:189], v[172:173], v[10:11]
	v_fma_f64 v[170:171], v[170:171], v[10:11], -v[12:13]
	scratch_load_b128 v[10:13], off, off offset:912
	s_wait_loadcnt_dscnt 0xc01
	v_mul_f64_e32 v[192:193], v[4:5], v[132:133]
	v_mul_f64_e32 v[132:133], v[6:7], v[132:133]
	v_add_f64_e32 v[172:173], 0, v[190:191]
	v_add_f64_e32 v[186:187], 0, v[186:187]
	s_wait_loadcnt_dscnt 0xb00
	v_mul_f64_e32 v[190:191], v[162:163], v[136:137]
	v_mul_f64_e32 v[136:137], v[164:165], v[136:137]
	v_fmac_f64_e32 v[192:193], v[6:7], v[130:131]
	v_fma_f64 v[194:195], v[4:5], v[130:131], -v[132:133]
	ds_load_b128 v[4:7], v2 offset:1696
	ds_load_b128 v[130:133], v2 offset:1712
	v_add_f64_e32 v[170:171], v[172:173], v[170:171]
	v_add_f64_e32 v[172:173], v[186:187], v[188:189]
	v_fmac_f64_e32 v[190:191], v[164:165], v[134:135]
	v_fma_f64 v[134:135], v[162:163], v[134:135], -v[136:137]
	s_wait_loadcnt_dscnt 0xa01
	v_mul_f64_e32 v[186:187], v[4:5], v[140:141]
	v_mul_f64_e32 v[140:141], v[6:7], v[140:141]
	s_wait_loadcnt_dscnt 0x900
	v_mul_f64_e32 v[164:165], v[130:131], v[144:145]
	v_mul_f64_e32 v[144:145], v[132:133], v[144:145]
	v_add_f64_e32 v[136:137], v[170:171], v[194:195]
	v_add_f64_e32 v[162:163], v[172:173], v[192:193]
	v_fmac_f64_e32 v[186:187], v[6:7], v[138:139]
	v_fma_f64 v[138:139], v[4:5], v[138:139], -v[140:141]
	v_fmac_f64_e32 v[164:165], v[132:133], v[142:143]
	v_fma_f64 v[130:131], v[130:131], v[142:143], -v[144:145]
	v_add_f64_e32 v[140:141], v[136:137], v[134:135]
	v_add_f64_e32 v[162:163], v[162:163], v[190:191]
	ds_load_b128 v[4:7], v2 offset:1728
	ds_load_b128 v[134:137], v2 offset:1744
	s_wait_loadcnt_dscnt 0x801
	v_mul_f64_e32 v[170:171], v[4:5], v[148:149]
	v_mul_f64_e32 v[148:149], v[6:7], v[148:149]
	s_wait_loadcnt_dscnt 0x700
	v_mul_f64_e32 v[142:143], v[136:137], v[152:153]
	v_add_f64_e32 v[132:133], v[140:141], v[138:139]
	v_add_f64_e32 v[138:139], v[162:163], v[186:187]
	v_mul_f64_e32 v[140:141], v[134:135], v[152:153]
	v_fmac_f64_e32 v[170:171], v[6:7], v[146:147]
	v_fma_f64 v[144:145], v[4:5], v[146:147], -v[148:149]
	v_fma_f64 v[134:135], v[134:135], v[150:151], -v[142:143]
	v_add_f64_e32 v[146:147], v[132:133], v[130:131]
	v_add_f64_e32 v[138:139], v[138:139], v[164:165]
	ds_load_b128 v[4:7], v2 offset:1760
	ds_load_b128 v[130:133], v2 offset:1776
	v_fmac_f64_e32 v[140:141], v[136:137], v[150:151]
	s_wait_loadcnt_dscnt 0x601
	v_mul_f64_e32 v[148:149], v[4:5], v[156:157]
	v_mul_f64_e32 v[152:153], v[6:7], v[156:157]
	s_wait_loadcnt_dscnt 0x500
	v_mul_f64_e32 v[142:143], v[130:131], v[160:161]
	v_add_f64_e32 v[136:137], v[146:147], v[144:145]
	v_add_f64_e32 v[138:139], v[138:139], v[170:171]
	v_mul_f64_e32 v[144:145], v[132:133], v[160:161]
	v_fmac_f64_e32 v[148:149], v[6:7], v[154:155]
	v_fma_f64 v[146:147], v[4:5], v[154:155], -v[152:153]
	v_fmac_f64_e32 v[142:143], v[132:133], v[158:159]
	v_add_f64_e32 v[150:151], v[136:137], v[134:135]
	v_add_f64_e32 v[138:139], v[138:139], v[140:141]
	ds_load_b128 v[4:7], v2 offset:1792
	ds_load_b128 v[134:137], v2 offset:1808
	v_fma_f64 v[130:131], v[130:131], v[158:159], -v[144:145]
	s_wait_loadcnt_dscnt 0x401
	v_mul_f64_e32 v[140:141], v[4:5], v[168:169]
	v_mul_f64_e32 v[152:153], v[6:7], v[168:169]
	s_wait_loadcnt_dscnt 0x200
	v_mul_f64_e32 v[144:145], v[134:135], v[180:181]
	v_add_f64_e32 v[132:133], v[150:151], v[146:147]
	v_add_f64_e32 v[138:139], v[138:139], v[148:149]
	v_mul_f64_e32 v[146:147], v[136:137], v[180:181]
	v_fmac_f64_e32 v[140:141], v[6:7], v[166:167]
	v_fma_f64 v[148:149], v[4:5], v[166:167], -v[152:153]
	v_fmac_f64_e32 v[144:145], v[136:137], v[178:179]
	v_add_f64_e32 v[150:151], v[132:133], v[130:131]
	v_add_f64_e32 v[138:139], v[138:139], v[142:143]
	ds_load_b128 v[4:7], v2 offset:1824
	ds_load_b128 v[130:133], v2 offset:1840
	v_fma_f64 v[134:135], v[134:135], v[178:179], -v[146:147]
	s_wait_loadcnt_dscnt 0x101
	v_mul_f64_e32 v[2:3], v[4:5], v[184:185]
	v_mul_f64_e32 v[142:143], v[6:7], v[184:185]
	v_add_f64_e32 v[136:137], v[150:151], v[148:149]
	v_add_f64_e32 v[138:139], v[138:139], v[140:141]
	s_wait_loadcnt_dscnt 0x0
	v_mul_f64_e32 v[140:141], v[130:131], v[12:13]
	v_mul_f64_e32 v[12:13], v[132:133], v[12:13]
	v_fmac_f64_e32 v[2:3], v[6:7], v[182:183]
	v_fma_f64 v[4:5], v[4:5], v[182:183], -v[142:143]
	v_add_f64_e32 v[6:7], v[136:137], v[134:135]
	v_add_f64_e32 v[134:135], v[138:139], v[144:145]
	v_fmac_f64_e32 v[140:141], v[132:133], v[10:11]
	v_fma_f64 v[10:11], v[130:131], v[10:11], -v[12:13]
	s_delay_alu instid0(VALU_DEP_4) | instskip(NEXT) | instid1(VALU_DEP_4)
	v_add_f64_e32 v[4:5], v[6:7], v[4:5]
	v_add_f64_e32 v[2:3], v[134:135], v[2:3]
	s_delay_alu instid0(VALU_DEP_2) | instskip(NEXT) | instid1(VALU_DEP_2)
	v_add_f64_e32 v[4:5], v[4:5], v[10:11]
	v_add_f64_e32 v[6:7], v[2:3], v[140:141]
	s_delay_alu instid0(VALU_DEP_2) | instskip(NEXT) | instid1(VALU_DEP_2)
	v_add_f64_e64 v[2:3], v[174:175], -v[4:5]
	v_add_f64_e64 v[4:5], v[176:177], -v[6:7]
	scratch_store_b128 off, v[2:5], off offset:688
	s_wait_xcnt 0x0
	v_cmpx_lt_u32_e32 42, v1
	s_cbranch_execz .LBB121_277
; %bb.276:
	scratch_load_b128 v[2:5], off, s31
	v_mov_b32_e32 v10, 0
	s_delay_alu instid0(VALU_DEP_1)
	v_dual_mov_b32 v11, v10 :: v_dual_mov_b32 v12, v10
	v_mov_b32_e32 v13, v10
	scratch_store_b128 off, v[10:13], off offset:672
	s_wait_loadcnt 0x0
	ds_store_b128 v8, v[2:5]
.LBB121_277:
	s_wait_xcnt 0x0
	s_or_b32 exec_lo, exec_lo, s2
	s_wait_storecnt_dscnt 0x0
	s_barrier_signal -1
	s_barrier_wait -1
	s_clause 0x9
	scratch_load_b128 v[4:7], off, off offset:688
	scratch_load_b128 v[10:13], off, off offset:704
	;; [unrolled: 1-line block ×10, first 2 shown]
	v_mov_b32_e32 v2, 0
	s_mov_b32 s2, exec_lo
	ds_load_b128 v[162:165], v2 offset:1616
	s_clause 0x2
	scratch_load_b128 v[166:169], off, off offset:848
	scratch_load_b128 v[170:173], off, off offset:672
	;; [unrolled: 1-line block ×3, first 2 shown]
	s_wait_loadcnt_dscnt 0xc00
	v_mul_f64_e32 v[182:183], v[164:165], v[6:7]
	v_mul_f64_e32 v[186:187], v[162:163], v[6:7]
	ds_load_b128 v[174:177], v2 offset:1632
	v_fma_f64 v[190:191], v[162:163], v[4:5], -v[182:183]
	v_fmac_f64_e32 v[186:187], v[164:165], v[4:5]
	ds_load_b128 v[4:7], v2 offset:1648
	s_wait_loadcnt_dscnt 0xb01
	v_mul_f64_e32 v[188:189], v[174:175], v[12:13]
	v_mul_f64_e32 v[12:13], v[176:177], v[12:13]
	scratch_load_b128 v[162:165], off, off offset:880
	ds_load_b128 v[182:185], v2 offset:1664
	s_wait_loadcnt_dscnt 0xb01
	v_mul_f64_e32 v[192:193], v[4:5], v[132:133]
	v_mul_f64_e32 v[132:133], v[6:7], v[132:133]
	v_add_f64_e32 v[186:187], 0, v[186:187]
	v_fmac_f64_e32 v[188:189], v[176:177], v[10:11]
	v_fma_f64 v[174:175], v[174:175], v[10:11], -v[12:13]
	v_add_f64_e32 v[176:177], 0, v[190:191]
	scratch_load_b128 v[10:13], off, off offset:896
	v_fmac_f64_e32 v[192:193], v[6:7], v[130:131]
	v_fma_f64 v[194:195], v[4:5], v[130:131], -v[132:133]
	ds_load_b128 v[4:7], v2 offset:1680
	s_wait_loadcnt_dscnt 0xb01
	v_mul_f64_e32 v[190:191], v[182:183], v[136:137]
	v_mul_f64_e32 v[136:137], v[184:185], v[136:137]
	scratch_load_b128 v[130:133], off, off offset:912
	v_add_f64_e32 v[186:187], v[186:187], v[188:189]
	v_add_f64_e32 v[196:197], v[176:177], v[174:175]
	ds_load_b128 v[174:177], v2 offset:1696
	s_wait_loadcnt_dscnt 0xb01
	v_mul_f64_e32 v[188:189], v[4:5], v[140:141]
	v_mul_f64_e32 v[140:141], v[6:7], v[140:141]
	v_fmac_f64_e32 v[190:191], v[184:185], v[134:135]
	v_fma_f64 v[134:135], v[182:183], v[134:135], -v[136:137]
	s_wait_loadcnt_dscnt 0xa00
	v_mul_f64_e32 v[184:185], v[174:175], v[144:145]
	v_mul_f64_e32 v[144:145], v[176:177], v[144:145]
	v_add_f64_e32 v[182:183], v[186:187], v[192:193]
	v_add_f64_e32 v[136:137], v[196:197], v[194:195]
	v_fmac_f64_e32 v[188:189], v[6:7], v[138:139]
	v_fma_f64 v[138:139], v[4:5], v[138:139], -v[140:141]
	v_fmac_f64_e32 v[184:185], v[176:177], v[142:143]
	v_fma_f64 v[142:143], v[174:175], v[142:143], -v[144:145]
	v_add_f64_e32 v[182:183], v[182:183], v[190:191]
	v_add_f64_e32 v[140:141], v[136:137], v[134:135]
	ds_load_b128 v[4:7], v2 offset:1712
	ds_load_b128 v[134:137], v2 offset:1728
	s_wait_loadcnt_dscnt 0x901
	v_mul_f64_e32 v[186:187], v[4:5], v[148:149]
	v_mul_f64_e32 v[148:149], v[6:7], v[148:149]
	s_wait_loadcnt_dscnt 0x800
	v_mul_f64_e32 v[144:145], v[134:135], v[152:153]
	v_mul_f64_e32 v[152:153], v[136:137], v[152:153]
	v_add_f64_e32 v[138:139], v[140:141], v[138:139]
	v_add_f64_e32 v[140:141], v[182:183], v[188:189]
	v_fmac_f64_e32 v[186:187], v[6:7], v[146:147]
	v_fma_f64 v[146:147], v[4:5], v[146:147], -v[148:149]
	v_fmac_f64_e32 v[144:145], v[136:137], v[150:151]
	v_fma_f64 v[134:135], v[134:135], v[150:151], -v[152:153]
	v_add_f64_e32 v[142:143], v[138:139], v[142:143]
	v_add_f64_e32 v[148:149], v[140:141], v[184:185]
	ds_load_b128 v[4:7], v2 offset:1744
	ds_load_b128 v[138:141], v2 offset:1760
	s_wait_loadcnt_dscnt 0x701
	v_mul_f64_e32 v[174:175], v[4:5], v[156:157]
	v_mul_f64_e32 v[156:157], v[6:7], v[156:157]
	v_add_f64_e32 v[136:137], v[142:143], v[146:147]
	v_add_f64_e32 v[142:143], v[148:149], v[186:187]
	s_wait_loadcnt_dscnt 0x600
	v_mul_f64_e32 v[146:147], v[138:139], v[160:161]
	v_mul_f64_e32 v[148:149], v[140:141], v[160:161]
	v_fmac_f64_e32 v[174:175], v[6:7], v[154:155]
	v_fma_f64 v[150:151], v[4:5], v[154:155], -v[156:157]
	v_add_f64_e32 v[152:153], v[136:137], v[134:135]
	v_add_f64_e32 v[142:143], v[142:143], v[144:145]
	ds_load_b128 v[4:7], v2 offset:1776
	ds_load_b128 v[134:137], v2 offset:1792
	v_fmac_f64_e32 v[146:147], v[140:141], v[158:159]
	v_fma_f64 v[138:139], v[138:139], v[158:159], -v[148:149]
	s_wait_loadcnt_dscnt 0x501
	v_mul_f64_e32 v[144:145], v[4:5], v[168:169]
	v_mul_f64_e32 v[154:155], v[6:7], v[168:169]
	s_wait_loadcnt_dscnt 0x300
	v_mul_f64_e32 v[148:149], v[134:135], v[180:181]
	v_add_f64_e32 v[140:141], v[152:153], v[150:151]
	v_add_f64_e32 v[142:143], v[142:143], v[174:175]
	v_mul_f64_e32 v[150:151], v[136:137], v[180:181]
	v_fmac_f64_e32 v[144:145], v[6:7], v[166:167]
	v_fma_f64 v[152:153], v[4:5], v[166:167], -v[154:155]
	v_fmac_f64_e32 v[148:149], v[136:137], v[178:179]
	v_add_f64_e32 v[154:155], v[140:141], v[138:139]
	v_add_f64_e32 v[142:143], v[142:143], v[146:147]
	ds_load_b128 v[4:7], v2 offset:1808
	ds_load_b128 v[138:141], v2 offset:1824
	v_fma_f64 v[134:135], v[134:135], v[178:179], -v[150:151]
	s_wait_loadcnt_dscnt 0x201
	v_mul_f64_e32 v[146:147], v[4:5], v[164:165]
	v_mul_f64_e32 v[156:157], v[6:7], v[164:165]
	v_add_f64_e32 v[136:137], v[154:155], v[152:153]
	v_add_f64_e32 v[142:143], v[142:143], v[144:145]
	s_wait_loadcnt_dscnt 0x100
	v_mul_f64_e32 v[144:145], v[138:139], v[12:13]
	v_mul_f64_e32 v[12:13], v[140:141], v[12:13]
	v_fmac_f64_e32 v[146:147], v[6:7], v[162:163]
	v_fma_f64 v[150:151], v[4:5], v[162:163], -v[156:157]
	ds_load_b128 v[4:7], v2 offset:1840
	v_add_f64_e32 v[134:135], v[136:137], v[134:135]
	v_add_f64_e32 v[136:137], v[142:143], v[148:149]
	v_fmac_f64_e32 v[144:145], v[140:141], v[10:11]
	v_fma_f64 v[10:11], v[138:139], v[10:11], -v[12:13]
	s_wait_loadcnt_dscnt 0x0
	v_mul_f64_e32 v[142:143], v[4:5], v[132:133]
	v_mul_f64_e32 v[132:133], v[6:7], v[132:133]
	v_add_f64_e32 v[12:13], v[134:135], v[150:151]
	v_add_f64_e32 v[134:135], v[136:137], v[146:147]
	s_delay_alu instid0(VALU_DEP_4) | instskip(NEXT) | instid1(VALU_DEP_4)
	v_fmac_f64_e32 v[142:143], v[6:7], v[130:131]
	v_fma_f64 v[4:5], v[4:5], v[130:131], -v[132:133]
	s_delay_alu instid0(VALU_DEP_4) | instskip(NEXT) | instid1(VALU_DEP_4)
	v_add_f64_e32 v[6:7], v[12:13], v[10:11]
	v_add_f64_e32 v[10:11], v[134:135], v[144:145]
	s_delay_alu instid0(VALU_DEP_2) | instskip(NEXT) | instid1(VALU_DEP_2)
	v_add_f64_e32 v[4:5], v[6:7], v[4:5]
	v_add_f64_e32 v[6:7], v[10:11], v[142:143]
	s_delay_alu instid0(VALU_DEP_2) | instskip(NEXT) | instid1(VALU_DEP_2)
	v_add_f64_e64 v[4:5], v[170:171], -v[4:5]
	v_add_f64_e64 v[6:7], v[172:173], -v[6:7]
	scratch_store_b128 off, v[4:7], off offset:672
	s_wait_xcnt 0x0
	v_cmpx_lt_u32_e32 41, v1
	s_cbranch_execz .LBB121_279
; %bb.278:
	scratch_load_b128 v[10:13], off, s33
	v_dual_mov_b32 v3, v2 :: v_dual_mov_b32 v4, v2
	v_mov_b32_e32 v5, v2
	scratch_store_b128 off, v[2:5], off offset:656
	s_wait_loadcnt 0x0
	ds_store_b128 v8, v[10:13]
.LBB121_279:
	s_wait_xcnt 0x0
	s_or_b32 exec_lo, exec_lo, s2
	s_wait_storecnt_dscnt 0x0
	s_barrier_signal -1
	s_barrier_wait -1
	s_clause 0x9
	scratch_load_b128 v[4:7], off, off offset:672
	scratch_load_b128 v[10:13], off, off offset:688
	;; [unrolled: 1-line block ×10, first 2 shown]
	ds_load_b128 v[162:165], v2 offset:1600
	ds_load_b128 v[170:173], v2 offset:1616
	s_clause 0x2
	scratch_load_b128 v[166:169], off, off offset:832
	scratch_load_b128 v[174:177], off, off offset:656
	;; [unrolled: 1-line block ×3, first 2 shown]
	s_mov_b32 s2, exec_lo
	s_wait_loadcnt_dscnt 0xc01
	v_mul_f64_e32 v[182:183], v[164:165], v[6:7]
	v_mul_f64_e32 v[186:187], v[162:163], v[6:7]
	s_wait_loadcnt_dscnt 0xb00
	v_mul_f64_e32 v[188:189], v[170:171], v[12:13]
	v_mul_f64_e32 v[12:13], v[172:173], v[12:13]
	s_delay_alu instid0(VALU_DEP_4) | instskip(NEXT) | instid1(VALU_DEP_4)
	v_fma_f64 v[190:191], v[162:163], v[4:5], -v[182:183]
	v_fmac_f64_e32 v[186:187], v[164:165], v[4:5]
	ds_load_b128 v[4:7], v2 offset:1632
	ds_load_b128 v[162:165], v2 offset:1648
	scratch_load_b128 v[182:185], off, off offset:864
	v_fmac_f64_e32 v[188:189], v[172:173], v[10:11]
	v_fma_f64 v[170:171], v[170:171], v[10:11], -v[12:13]
	scratch_load_b128 v[10:13], off, off offset:880
	s_wait_loadcnt_dscnt 0xc01
	v_mul_f64_e32 v[192:193], v[4:5], v[132:133]
	v_mul_f64_e32 v[132:133], v[6:7], v[132:133]
	v_add_f64_e32 v[172:173], 0, v[190:191]
	v_add_f64_e32 v[186:187], 0, v[186:187]
	s_wait_loadcnt_dscnt 0xb00
	v_mul_f64_e32 v[190:191], v[162:163], v[136:137]
	v_mul_f64_e32 v[136:137], v[164:165], v[136:137]
	v_fmac_f64_e32 v[192:193], v[6:7], v[130:131]
	v_fma_f64 v[194:195], v[4:5], v[130:131], -v[132:133]
	ds_load_b128 v[4:7], v2 offset:1664
	ds_load_b128 v[130:133], v2 offset:1680
	v_add_f64_e32 v[196:197], v[172:173], v[170:171]
	v_add_f64_e32 v[186:187], v[186:187], v[188:189]
	scratch_load_b128 v[170:173], off, off offset:896
	v_fmac_f64_e32 v[190:191], v[164:165], v[134:135]
	v_fma_f64 v[162:163], v[162:163], v[134:135], -v[136:137]
	scratch_load_b128 v[134:137], off, off offset:912
	s_wait_loadcnt_dscnt 0xc01
	v_mul_f64_e32 v[188:189], v[4:5], v[140:141]
	v_mul_f64_e32 v[140:141], v[6:7], v[140:141]
	v_add_f64_e32 v[164:165], v[196:197], v[194:195]
	v_add_f64_e32 v[186:187], v[186:187], v[192:193]
	s_wait_loadcnt_dscnt 0xb00
	v_mul_f64_e32 v[192:193], v[130:131], v[144:145]
	v_mul_f64_e32 v[144:145], v[132:133], v[144:145]
	v_fmac_f64_e32 v[188:189], v[6:7], v[138:139]
	v_fma_f64 v[194:195], v[4:5], v[138:139], -v[140:141]
	ds_load_b128 v[4:7], v2 offset:1696
	ds_load_b128 v[138:141], v2 offset:1712
	v_add_f64_e32 v[162:163], v[164:165], v[162:163]
	v_add_f64_e32 v[164:165], v[186:187], v[190:191]
	s_wait_loadcnt_dscnt 0xa01
	v_mul_f64_e32 v[186:187], v[4:5], v[148:149]
	v_mul_f64_e32 v[148:149], v[6:7], v[148:149]
	v_fmac_f64_e32 v[192:193], v[132:133], v[142:143]
	v_fma_f64 v[130:131], v[130:131], v[142:143], -v[144:145]
	s_wait_loadcnt_dscnt 0x900
	v_mul_f64_e32 v[144:145], v[138:139], v[152:153]
	v_mul_f64_e32 v[152:153], v[140:141], v[152:153]
	v_add_f64_e32 v[132:133], v[162:163], v[194:195]
	v_add_f64_e32 v[142:143], v[164:165], v[188:189]
	v_fmac_f64_e32 v[186:187], v[6:7], v[146:147]
	v_fma_f64 v[146:147], v[4:5], v[146:147], -v[148:149]
	v_fmac_f64_e32 v[144:145], v[140:141], v[150:151]
	v_fma_f64 v[138:139], v[138:139], v[150:151], -v[152:153]
	v_add_f64_e32 v[148:149], v[132:133], v[130:131]
	v_add_f64_e32 v[142:143], v[142:143], v[192:193]
	ds_load_b128 v[4:7], v2 offset:1728
	ds_load_b128 v[130:133], v2 offset:1744
	s_wait_loadcnt_dscnt 0x801
	v_mul_f64_e32 v[162:163], v[4:5], v[156:157]
	v_mul_f64_e32 v[156:157], v[6:7], v[156:157]
	v_add_f64_e32 v[140:141], v[148:149], v[146:147]
	v_add_f64_e32 v[142:143], v[142:143], v[186:187]
	s_wait_loadcnt_dscnt 0x700
	v_mul_f64_e32 v[146:147], v[130:131], v[160:161]
	v_mul_f64_e32 v[148:149], v[132:133], v[160:161]
	v_fmac_f64_e32 v[162:163], v[6:7], v[154:155]
	v_fma_f64 v[150:151], v[4:5], v[154:155], -v[156:157]
	v_add_f64_e32 v[152:153], v[140:141], v[138:139]
	v_add_f64_e32 v[142:143], v[142:143], v[144:145]
	ds_load_b128 v[4:7], v2 offset:1760
	ds_load_b128 v[138:141], v2 offset:1776
	v_fmac_f64_e32 v[146:147], v[132:133], v[158:159]
	v_fma_f64 v[130:131], v[130:131], v[158:159], -v[148:149]
	s_wait_loadcnt_dscnt 0x601
	v_mul_f64_e32 v[144:145], v[4:5], v[168:169]
	v_mul_f64_e32 v[154:155], v[6:7], v[168:169]
	s_wait_loadcnt_dscnt 0x400
	v_mul_f64_e32 v[148:149], v[138:139], v[180:181]
	v_add_f64_e32 v[132:133], v[152:153], v[150:151]
	v_add_f64_e32 v[142:143], v[142:143], v[162:163]
	v_mul_f64_e32 v[150:151], v[140:141], v[180:181]
	v_fmac_f64_e32 v[144:145], v[6:7], v[166:167]
	v_fma_f64 v[152:153], v[4:5], v[166:167], -v[154:155]
	v_fmac_f64_e32 v[148:149], v[140:141], v[178:179]
	v_add_f64_e32 v[154:155], v[132:133], v[130:131]
	v_add_f64_e32 v[142:143], v[142:143], v[146:147]
	ds_load_b128 v[4:7], v2 offset:1792
	ds_load_b128 v[130:133], v2 offset:1808
	v_fma_f64 v[138:139], v[138:139], v[178:179], -v[150:151]
	s_wait_loadcnt_dscnt 0x301
	v_mul_f64_e32 v[146:147], v[4:5], v[184:185]
	v_mul_f64_e32 v[156:157], v[6:7], v[184:185]
	v_add_f64_e32 v[140:141], v[154:155], v[152:153]
	v_add_f64_e32 v[142:143], v[142:143], v[144:145]
	s_wait_loadcnt_dscnt 0x200
	v_mul_f64_e32 v[144:145], v[130:131], v[12:13]
	v_mul_f64_e32 v[12:13], v[132:133], v[12:13]
	v_fmac_f64_e32 v[146:147], v[6:7], v[182:183]
	v_fma_f64 v[150:151], v[4:5], v[182:183], -v[156:157]
	v_add_f64_e32 v[152:153], v[140:141], v[138:139]
	v_add_f64_e32 v[142:143], v[142:143], v[148:149]
	ds_load_b128 v[4:7], v2 offset:1824
	ds_load_b128 v[138:141], v2 offset:1840
	v_fmac_f64_e32 v[144:145], v[132:133], v[10:11]
	v_fma_f64 v[10:11], v[130:131], v[10:11], -v[12:13]
	s_wait_loadcnt_dscnt 0x101
	v_mul_f64_e32 v[2:3], v[4:5], v[172:173]
	v_mul_f64_e32 v[148:149], v[6:7], v[172:173]
	s_wait_loadcnt_dscnt 0x0
	v_mul_f64_e32 v[132:133], v[138:139], v[136:137]
	v_mul_f64_e32 v[136:137], v[140:141], v[136:137]
	v_add_f64_e32 v[12:13], v[152:153], v[150:151]
	v_add_f64_e32 v[130:131], v[142:143], v[146:147]
	v_fmac_f64_e32 v[2:3], v[6:7], v[170:171]
	v_fma_f64 v[4:5], v[4:5], v[170:171], -v[148:149]
	v_fmac_f64_e32 v[132:133], v[140:141], v[134:135]
	v_add_f64_e32 v[6:7], v[12:13], v[10:11]
	v_add_f64_e32 v[10:11], v[130:131], v[144:145]
	v_fma_f64 v[12:13], v[138:139], v[134:135], -v[136:137]
	s_delay_alu instid0(VALU_DEP_3) | instskip(NEXT) | instid1(VALU_DEP_3)
	v_add_f64_e32 v[4:5], v[6:7], v[4:5]
	v_add_f64_e32 v[2:3], v[10:11], v[2:3]
	s_delay_alu instid0(VALU_DEP_2) | instskip(NEXT) | instid1(VALU_DEP_2)
	v_add_f64_e32 v[4:5], v[4:5], v[12:13]
	v_add_f64_e32 v[6:7], v[2:3], v[132:133]
	s_delay_alu instid0(VALU_DEP_2) | instskip(NEXT) | instid1(VALU_DEP_2)
	v_add_f64_e64 v[2:3], v[174:175], -v[4:5]
	v_add_f64_e64 v[4:5], v[176:177], -v[6:7]
	scratch_store_b128 off, v[2:5], off offset:656
	s_wait_xcnt 0x0
	v_cmpx_lt_u32_e32 40, v1
	s_cbranch_execz .LBB121_281
; %bb.280:
	scratch_load_b128 v[2:5], off, s34
	v_mov_b32_e32 v10, 0
	s_delay_alu instid0(VALU_DEP_1)
	v_dual_mov_b32 v11, v10 :: v_dual_mov_b32 v12, v10
	v_mov_b32_e32 v13, v10
	scratch_store_b128 off, v[10:13], off offset:640
	s_wait_loadcnt 0x0
	ds_store_b128 v8, v[2:5]
.LBB121_281:
	s_wait_xcnt 0x0
	s_or_b32 exec_lo, exec_lo, s2
	s_wait_storecnt_dscnt 0x0
	s_barrier_signal -1
	s_barrier_wait -1
	s_clause 0x9
	scratch_load_b128 v[4:7], off, off offset:656
	scratch_load_b128 v[10:13], off, off offset:672
	;; [unrolled: 1-line block ×10, first 2 shown]
	v_mov_b32_e32 v2, 0
	s_mov_b32 s2, exec_lo
	ds_load_b128 v[162:165], v2 offset:1584
	s_clause 0x2
	scratch_load_b128 v[166:169], off, off offset:816
	scratch_load_b128 v[170:173], off, off offset:640
	;; [unrolled: 1-line block ×3, first 2 shown]
	s_wait_loadcnt_dscnt 0xc00
	v_mul_f64_e32 v[182:183], v[164:165], v[6:7]
	v_mul_f64_e32 v[186:187], v[162:163], v[6:7]
	ds_load_b128 v[174:177], v2 offset:1600
	v_fma_f64 v[190:191], v[162:163], v[4:5], -v[182:183]
	v_fmac_f64_e32 v[186:187], v[164:165], v[4:5]
	ds_load_b128 v[4:7], v2 offset:1616
	s_wait_loadcnt_dscnt 0xb01
	v_mul_f64_e32 v[188:189], v[174:175], v[12:13]
	v_mul_f64_e32 v[12:13], v[176:177], v[12:13]
	scratch_load_b128 v[162:165], off, off offset:848
	ds_load_b128 v[182:185], v2 offset:1632
	s_wait_loadcnt_dscnt 0xb01
	v_mul_f64_e32 v[192:193], v[4:5], v[132:133]
	v_mul_f64_e32 v[132:133], v[6:7], v[132:133]
	v_add_f64_e32 v[186:187], 0, v[186:187]
	v_fmac_f64_e32 v[188:189], v[176:177], v[10:11]
	v_fma_f64 v[174:175], v[174:175], v[10:11], -v[12:13]
	v_add_f64_e32 v[176:177], 0, v[190:191]
	scratch_load_b128 v[10:13], off, off offset:864
	v_fmac_f64_e32 v[192:193], v[6:7], v[130:131]
	v_fma_f64 v[194:195], v[4:5], v[130:131], -v[132:133]
	ds_load_b128 v[4:7], v2 offset:1648
	s_wait_loadcnt_dscnt 0xb01
	v_mul_f64_e32 v[190:191], v[182:183], v[136:137]
	v_mul_f64_e32 v[136:137], v[184:185], v[136:137]
	scratch_load_b128 v[130:133], off, off offset:880
	v_add_f64_e32 v[186:187], v[186:187], v[188:189]
	v_add_f64_e32 v[196:197], v[176:177], v[174:175]
	ds_load_b128 v[174:177], v2 offset:1664
	s_wait_loadcnt_dscnt 0xb01
	v_mul_f64_e32 v[188:189], v[4:5], v[140:141]
	v_mul_f64_e32 v[140:141], v[6:7], v[140:141]
	v_fmac_f64_e32 v[190:191], v[184:185], v[134:135]
	v_fma_f64 v[182:183], v[182:183], v[134:135], -v[136:137]
	scratch_load_b128 v[134:137], off, off offset:896
	v_add_f64_e32 v[186:187], v[186:187], v[192:193]
	v_add_f64_e32 v[184:185], v[196:197], v[194:195]
	v_fmac_f64_e32 v[188:189], v[6:7], v[138:139]
	v_fma_f64 v[194:195], v[4:5], v[138:139], -v[140:141]
	ds_load_b128 v[4:7], v2 offset:1680
	s_wait_loadcnt_dscnt 0xb01
	v_mul_f64_e32 v[192:193], v[174:175], v[144:145]
	v_mul_f64_e32 v[144:145], v[176:177], v[144:145]
	scratch_load_b128 v[138:141], off, off offset:912
	v_add_f64_e32 v[186:187], v[186:187], v[190:191]
	s_wait_loadcnt_dscnt 0xb00
	v_mul_f64_e32 v[190:191], v[4:5], v[148:149]
	v_add_f64_e32 v[196:197], v[184:185], v[182:183]
	v_mul_f64_e32 v[148:149], v[6:7], v[148:149]
	ds_load_b128 v[182:185], v2 offset:1696
	v_fmac_f64_e32 v[192:193], v[176:177], v[142:143]
	v_fma_f64 v[142:143], v[174:175], v[142:143], -v[144:145]
	s_wait_loadcnt_dscnt 0xa00
	v_mul_f64_e32 v[176:177], v[182:183], v[152:153]
	v_mul_f64_e32 v[152:153], v[184:185], v[152:153]
	v_add_f64_e32 v[174:175], v[186:187], v[188:189]
	v_fmac_f64_e32 v[190:191], v[6:7], v[146:147]
	v_add_f64_e32 v[144:145], v[196:197], v[194:195]
	v_fma_f64 v[146:147], v[4:5], v[146:147], -v[148:149]
	v_fmac_f64_e32 v[176:177], v[184:185], v[150:151]
	v_fma_f64 v[150:151], v[182:183], v[150:151], -v[152:153]
	v_add_f64_e32 v[174:175], v[174:175], v[192:193]
	v_add_f64_e32 v[148:149], v[144:145], v[142:143]
	ds_load_b128 v[4:7], v2 offset:1712
	ds_load_b128 v[142:145], v2 offset:1728
	s_wait_loadcnt_dscnt 0x901
	v_mul_f64_e32 v[186:187], v[4:5], v[156:157]
	v_mul_f64_e32 v[156:157], v[6:7], v[156:157]
	s_wait_loadcnt_dscnt 0x800
	v_mul_f64_e32 v[152:153], v[142:143], v[160:161]
	v_mul_f64_e32 v[160:161], v[144:145], v[160:161]
	v_add_f64_e32 v[146:147], v[148:149], v[146:147]
	v_add_f64_e32 v[148:149], v[174:175], v[190:191]
	v_fmac_f64_e32 v[186:187], v[6:7], v[154:155]
	v_fma_f64 v[154:155], v[4:5], v[154:155], -v[156:157]
	v_fmac_f64_e32 v[152:153], v[144:145], v[158:159]
	v_fma_f64 v[142:143], v[142:143], v[158:159], -v[160:161]
	v_add_f64_e32 v[150:151], v[146:147], v[150:151]
	v_add_f64_e32 v[156:157], v[148:149], v[176:177]
	ds_load_b128 v[4:7], v2 offset:1744
	ds_load_b128 v[146:149], v2 offset:1760
	s_wait_loadcnt_dscnt 0x701
	v_mul_f64_e32 v[174:175], v[4:5], v[168:169]
	v_mul_f64_e32 v[168:169], v[6:7], v[168:169]
	v_add_f64_e32 v[144:145], v[150:151], v[154:155]
	v_add_f64_e32 v[150:151], v[156:157], v[186:187]
	s_wait_loadcnt_dscnt 0x500
	v_mul_f64_e32 v[154:155], v[146:147], v[180:181]
	v_mul_f64_e32 v[156:157], v[148:149], v[180:181]
	v_fmac_f64_e32 v[174:175], v[6:7], v[166:167]
	v_fma_f64 v[158:159], v[4:5], v[166:167], -v[168:169]
	v_add_f64_e32 v[160:161], v[144:145], v[142:143]
	v_add_f64_e32 v[150:151], v[150:151], v[152:153]
	ds_load_b128 v[4:7], v2 offset:1776
	ds_load_b128 v[142:145], v2 offset:1792
	v_fmac_f64_e32 v[154:155], v[148:149], v[178:179]
	v_fma_f64 v[146:147], v[146:147], v[178:179], -v[156:157]
	s_wait_loadcnt_dscnt 0x401
	v_mul_f64_e32 v[152:153], v[4:5], v[164:165]
	v_mul_f64_e32 v[164:165], v[6:7], v[164:165]
	v_add_f64_e32 v[148:149], v[160:161], v[158:159]
	v_add_f64_e32 v[150:151], v[150:151], v[174:175]
	s_wait_loadcnt_dscnt 0x300
	v_mul_f64_e32 v[156:157], v[142:143], v[12:13]
	v_mul_f64_e32 v[12:13], v[144:145], v[12:13]
	v_fmac_f64_e32 v[152:153], v[6:7], v[162:163]
	v_fma_f64 v[158:159], v[4:5], v[162:163], -v[164:165]
	v_add_f64_e32 v[160:161], v[148:149], v[146:147]
	v_add_f64_e32 v[150:151], v[150:151], v[154:155]
	ds_load_b128 v[4:7], v2 offset:1808
	ds_load_b128 v[146:149], v2 offset:1824
	v_fmac_f64_e32 v[156:157], v[144:145], v[10:11]
	v_fma_f64 v[10:11], v[142:143], v[10:11], -v[12:13]
	s_wait_loadcnt_dscnt 0x201
	v_mul_f64_e32 v[154:155], v[4:5], v[132:133]
	v_mul_f64_e32 v[132:133], v[6:7], v[132:133]
	s_wait_loadcnt_dscnt 0x100
	v_mul_f64_e32 v[144:145], v[146:147], v[136:137]
	v_mul_f64_e32 v[136:137], v[148:149], v[136:137]
	v_add_f64_e32 v[12:13], v[160:161], v[158:159]
	v_add_f64_e32 v[142:143], v[150:151], v[152:153]
	v_fmac_f64_e32 v[154:155], v[6:7], v[130:131]
	v_fma_f64 v[130:131], v[4:5], v[130:131], -v[132:133]
	ds_load_b128 v[4:7], v2 offset:1840
	v_fmac_f64_e32 v[144:145], v[148:149], v[134:135]
	v_fma_f64 v[134:135], v[146:147], v[134:135], -v[136:137]
	v_add_f64_e32 v[10:11], v[12:13], v[10:11]
	v_add_f64_e32 v[12:13], v[142:143], v[156:157]
	s_wait_loadcnt_dscnt 0x0
	v_mul_f64_e32 v[132:133], v[4:5], v[140:141]
	v_mul_f64_e32 v[140:141], v[6:7], v[140:141]
	s_delay_alu instid0(VALU_DEP_4) | instskip(NEXT) | instid1(VALU_DEP_4)
	v_add_f64_e32 v[10:11], v[10:11], v[130:131]
	v_add_f64_e32 v[12:13], v[12:13], v[154:155]
	s_delay_alu instid0(VALU_DEP_4) | instskip(NEXT) | instid1(VALU_DEP_4)
	v_fmac_f64_e32 v[132:133], v[6:7], v[138:139]
	v_fma_f64 v[4:5], v[4:5], v[138:139], -v[140:141]
	s_delay_alu instid0(VALU_DEP_4) | instskip(NEXT) | instid1(VALU_DEP_4)
	v_add_f64_e32 v[6:7], v[10:11], v[134:135]
	v_add_f64_e32 v[10:11], v[12:13], v[144:145]
	s_delay_alu instid0(VALU_DEP_2) | instskip(NEXT) | instid1(VALU_DEP_2)
	v_add_f64_e32 v[4:5], v[6:7], v[4:5]
	v_add_f64_e32 v[6:7], v[10:11], v[132:133]
	s_delay_alu instid0(VALU_DEP_2) | instskip(NEXT) | instid1(VALU_DEP_2)
	v_add_f64_e64 v[4:5], v[170:171], -v[4:5]
	v_add_f64_e64 v[6:7], v[172:173], -v[6:7]
	scratch_store_b128 off, v[4:7], off offset:640
	s_wait_xcnt 0x0
	v_cmpx_lt_u32_e32 39, v1
	s_cbranch_execz .LBB121_283
; %bb.282:
	scratch_load_b128 v[10:13], off, s35
	v_dual_mov_b32 v3, v2 :: v_dual_mov_b32 v4, v2
	v_mov_b32_e32 v5, v2
	scratch_store_b128 off, v[2:5], off offset:624
	s_wait_loadcnt 0x0
	ds_store_b128 v8, v[10:13]
.LBB121_283:
	s_wait_xcnt 0x0
	s_or_b32 exec_lo, exec_lo, s2
	s_wait_storecnt_dscnt 0x0
	s_barrier_signal -1
	s_barrier_wait -1
	s_clause 0x9
	scratch_load_b128 v[4:7], off, off offset:640
	scratch_load_b128 v[10:13], off, off offset:656
	scratch_load_b128 v[130:133], off, off offset:672
	scratch_load_b128 v[134:137], off, off offset:688
	scratch_load_b128 v[138:141], off, off offset:704
	scratch_load_b128 v[142:145], off, off offset:720
	scratch_load_b128 v[146:149], off, off offset:736
	scratch_load_b128 v[150:153], off, off offset:752
	scratch_load_b128 v[154:157], off, off offset:768
	scratch_load_b128 v[158:161], off, off offset:784
	ds_load_b128 v[162:165], v2 offset:1568
	ds_load_b128 v[170:173], v2 offset:1584
	s_clause 0x2
	scratch_load_b128 v[166:169], off, off offset:800
	scratch_load_b128 v[174:177], off, off offset:624
	;; [unrolled: 1-line block ×3, first 2 shown]
	s_mov_b32 s2, exec_lo
	s_wait_loadcnt_dscnt 0xc01
	v_mul_f64_e32 v[182:183], v[164:165], v[6:7]
	v_mul_f64_e32 v[186:187], v[162:163], v[6:7]
	s_wait_loadcnt_dscnt 0xb00
	v_mul_f64_e32 v[188:189], v[170:171], v[12:13]
	v_mul_f64_e32 v[12:13], v[172:173], v[12:13]
	s_delay_alu instid0(VALU_DEP_4) | instskip(NEXT) | instid1(VALU_DEP_4)
	v_fma_f64 v[190:191], v[162:163], v[4:5], -v[182:183]
	v_fmac_f64_e32 v[186:187], v[164:165], v[4:5]
	ds_load_b128 v[4:7], v2 offset:1600
	ds_load_b128 v[162:165], v2 offset:1616
	scratch_load_b128 v[182:185], off, off offset:832
	v_fmac_f64_e32 v[188:189], v[172:173], v[10:11]
	v_fma_f64 v[170:171], v[170:171], v[10:11], -v[12:13]
	scratch_load_b128 v[10:13], off, off offset:848
	s_wait_loadcnt_dscnt 0xc01
	v_mul_f64_e32 v[192:193], v[4:5], v[132:133]
	v_mul_f64_e32 v[132:133], v[6:7], v[132:133]
	v_add_f64_e32 v[172:173], 0, v[190:191]
	v_add_f64_e32 v[186:187], 0, v[186:187]
	s_wait_loadcnt_dscnt 0xb00
	v_mul_f64_e32 v[190:191], v[162:163], v[136:137]
	v_mul_f64_e32 v[136:137], v[164:165], v[136:137]
	v_fmac_f64_e32 v[192:193], v[6:7], v[130:131]
	v_fma_f64 v[194:195], v[4:5], v[130:131], -v[132:133]
	ds_load_b128 v[4:7], v2 offset:1632
	ds_load_b128 v[130:133], v2 offset:1648
	v_add_f64_e32 v[196:197], v[172:173], v[170:171]
	v_add_f64_e32 v[186:187], v[186:187], v[188:189]
	scratch_load_b128 v[170:173], off, off offset:864
	v_fmac_f64_e32 v[190:191], v[164:165], v[134:135]
	v_fma_f64 v[162:163], v[162:163], v[134:135], -v[136:137]
	scratch_load_b128 v[134:137], off, off offset:880
	s_wait_loadcnt_dscnt 0xc01
	v_mul_f64_e32 v[188:189], v[4:5], v[140:141]
	v_mul_f64_e32 v[140:141], v[6:7], v[140:141]
	v_add_f64_e32 v[164:165], v[196:197], v[194:195]
	v_add_f64_e32 v[186:187], v[186:187], v[192:193]
	s_wait_loadcnt_dscnt 0xb00
	v_mul_f64_e32 v[192:193], v[130:131], v[144:145]
	v_mul_f64_e32 v[144:145], v[132:133], v[144:145]
	v_fmac_f64_e32 v[188:189], v[6:7], v[138:139]
	v_fma_f64 v[194:195], v[4:5], v[138:139], -v[140:141]
	ds_load_b128 v[4:7], v2 offset:1664
	ds_load_b128 v[138:141], v2 offset:1680
	v_add_f64_e32 v[196:197], v[164:165], v[162:163]
	v_add_f64_e32 v[186:187], v[186:187], v[190:191]
	scratch_load_b128 v[162:165], off, off offset:896
	s_wait_loadcnt_dscnt 0xb01
	v_mul_f64_e32 v[190:191], v[4:5], v[148:149]
	v_mul_f64_e32 v[148:149], v[6:7], v[148:149]
	v_fmac_f64_e32 v[192:193], v[132:133], v[142:143]
	v_fma_f64 v[142:143], v[130:131], v[142:143], -v[144:145]
	scratch_load_b128 v[130:133], off, off offset:912
	v_add_f64_e32 v[144:145], v[196:197], v[194:195]
	v_add_f64_e32 v[186:187], v[186:187], v[188:189]
	s_wait_loadcnt_dscnt 0xb00
	v_mul_f64_e32 v[188:189], v[138:139], v[152:153]
	v_mul_f64_e32 v[152:153], v[140:141], v[152:153]
	v_fmac_f64_e32 v[190:191], v[6:7], v[146:147]
	v_fma_f64 v[146:147], v[4:5], v[146:147], -v[148:149]
	v_add_f64_e32 v[148:149], v[144:145], v[142:143]
	v_add_f64_e32 v[186:187], v[186:187], v[192:193]
	ds_load_b128 v[4:7], v2 offset:1696
	ds_load_b128 v[142:145], v2 offset:1712
	v_fmac_f64_e32 v[188:189], v[140:141], v[150:151]
	v_fma_f64 v[138:139], v[138:139], v[150:151], -v[152:153]
	s_wait_loadcnt_dscnt 0xa01
	v_mul_f64_e32 v[192:193], v[4:5], v[156:157]
	v_mul_f64_e32 v[156:157], v[6:7], v[156:157]
	s_wait_loadcnt_dscnt 0x900
	v_mul_f64_e32 v[150:151], v[144:145], v[160:161]
	v_add_f64_e32 v[140:141], v[148:149], v[146:147]
	v_add_f64_e32 v[146:147], v[186:187], v[190:191]
	v_mul_f64_e32 v[148:149], v[142:143], v[160:161]
	v_fmac_f64_e32 v[192:193], v[6:7], v[154:155]
	v_fma_f64 v[152:153], v[4:5], v[154:155], -v[156:157]
	v_fma_f64 v[142:143], v[142:143], v[158:159], -v[150:151]
	v_add_f64_e32 v[154:155], v[140:141], v[138:139]
	v_add_f64_e32 v[146:147], v[146:147], v[188:189]
	ds_load_b128 v[4:7], v2 offset:1728
	ds_load_b128 v[138:141], v2 offset:1744
	v_fmac_f64_e32 v[148:149], v[144:145], v[158:159]
	s_wait_loadcnt_dscnt 0x801
	v_mul_f64_e32 v[156:157], v[4:5], v[168:169]
	v_mul_f64_e32 v[160:161], v[6:7], v[168:169]
	s_wait_loadcnt_dscnt 0x600
	v_mul_f64_e32 v[150:151], v[138:139], v[180:181]
	v_add_f64_e32 v[144:145], v[154:155], v[152:153]
	v_add_f64_e32 v[146:147], v[146:147], v[192:193]
	v_mul_f64_e32 v[152:153], v[140:141], v[180:181]
	v_fmac_f64_e32 v[156:157], v[6:7], v[166:167]
	v_fma_f64 v[154:155], v[4:5], v[166:167], -v[160:161]
	v_fmac_f64_e32 v[150:151], v[140:141], v[178:179]
	v_add_f64_e32 v[158:159], v[144:145], v[142:143]
	v_add_f64_e32 v[146:147], v[146:147], v[148:149]
	ds_load_b128 v[4:7], v2 offset:1760
	ds_load_b128 v[142:145], v2 offset:1776
	v_fma_f64 v[138:139], v[138:139], v[178:179], -v[152:153]
	s_wait_loadcnt_dscnt 0x501
	v_mul_f64_e32 v[148:149], v[4:5], v[184:185]
	v_mul_f64_e32 v[160:161], v[6:7], v[184:185]
	s_wait_loadcnt_dscnt 0x400
	v_mul_f64_e32 v[152:153], v[142:143], v[12:13]
	v_mul_f64_e32 v[12:13], v[144:145], v[12:13]
	v_add_f64_e32 v[140:141], v[158:159], v[154:155]
	v_add_f64_e32 v[146:147], v[146:147], v[156:157]
	v_fmac_f64_e32 v[148:149], v[6:7], v[182:183]
	v_fma_f64 v[154:155], v[4:5], v[182:183], -v[160:161]
	v_fmac_f64_e32 v[152:153], v[144:145], v[10:11]
	v_fma_f64 v[10:11], v[142:143], v[10:11], -v[12:13]
	v_add_f64_e32 v[156:157], v[140:141], v[138:139]
	v_add_f64_e32 v[146:147], v[146:147], v[150:151]
	ds_load_b128 v[4:7], v2 offset:1792
	ds_load_b128 v[138:141], v2 offset:1808
	s_wait_loadcnt_dscnt 0x301
	v_mul_f64_e32 v[150:151], v[4:5], v[172:173]
	v_mul_f64_e32 v[158:159], v[6:7], v[172:173]
	s_wait_loadcnt_dscnt 0x200
	v_mul_f64_e32 v[144:145], v[138:139], v[136:137]
	v_mul_f64_e32 v[136:137], v[140:141], v[136:137]
	v_add_f64_e32 v[12:13], v[156:157], v[154:155]
	v_add_f64_e32 v[142:143], v[146:147], v[148:149]
	v_fmac_f64_e32 v[150:151], v[6:7], v[170:171]
	v_fma_f64 v[146:147], v[4:5], v[170:171], -v[158:159]
	v_fmac_f64_e32 v[144:145], v[140:141], v[134:135]
	v_fma_f64 v[134:135], v[138:139], v[134:135], -v[136:137]
	v_add_f64_e32 v[148:149], v[12:13], v[10:11]
	v_add_f64_e32 v[142:143], v[142:143], v[152:153]
	ds_load_b128 v[4:7], v2 offset:1824
	ds_load_b128 v[10:13], v2 offset:1840
	s_wait_loadcnt_dscnt 0x101
	v_mul_f64_e32 v[2:3], v[4:5], v[164:165]
	v_mul_f64_e32 v[152:153], v[6:7], v[164:165]
	s_wait_loadcnt_dscnt 0x0
	v_mul_f64_e32 v[140:141], v[10:11], v[132:133]
	v_mul_f64_e32 v[132:133], v[12:13], v[132:133]
	v_add_f64_e32 v[136:137], v[148:149], v[146:147]
	v_add_f64_e32 v[138:139], v[142:143], v[150:151]
	v_fmac_f64_e32 v[2:3], v[6:7], v[162:163]
	v_fma_f64 v[4:5], v[4:5], v[162:163], -v[152:153]
	v_fmac_f64_e32 v[140:141], v[12:13], v[130:131]
	v_fma_f64 v[10:11], v[10:11], v[130:131], -v[132:133]
	v_add_f64_e32 v[6:7], v[136:137], v[134:135]
	v_add_f64_e32 v[134:135], v[138:139], v[144:145]
	s_delay_alu instid0(VALU_DEP_2) | instskip(NEXT) | instid1(VALU_DEP_2)
	v_add_f64_e32 v[4:5], v[6:7], v[4:5]
	v_add_f64_e32 v[2:3], v[134:135], v[2:3]
	s_delay_alu instid0(VALU_DEP_2) | instskip(NEXT) | instid1(VALU_DEP_2)
	;; [unrolled: 3-line block ×3, first 2 shown]
	v_add_f64_e64 v[2:3], v[174:175], -v[4:5]
	v_add_f64_e64 v[4:5], v[176:177], -v[6:7]
	scratch_store_b128 off, v[2:5], off offset:624
	s_wait_xcnt 0x0
	v_cmpx_lt_u32_e32 38, v1
	s_cbranch_execz .LBB121_285
; %bb.284:
	scratch_load_b128 v[2:5], off, s36
	v_mov_b32_e32 v10, 0
	s_delay_alu instid0(VALU_DEP_1)
	v_dual_mov_b32 v11, v10 :: v_dual_mov_b32 v12, v10
	v_mov_b32_e32 v13, v10
	scratch_store_b128 off, v[10:13], off offset:608
	s_wait_loadcnt 0x0
	ds_store_b128 v8, v[2:5]
.LBB121_285:
	s_wait_xcnt 0x0
	s_or_b32 exec_lo, exec_lo, s2
	s_wait_storecnt_dscnt 0x0
	s_barrier_signal -1
	s_barrier_wait -1
	s_clause 0x9
	scratch_load_b128 v[4:7], off, off offset:624
	scratch_load_b128 v[10:13], off, off offset:640
	;; [unrolled: 1-line block ×10, first 2 shown]
	v_mov_b32_e32 v2, 0
	s_mov_b32 s2, exec_lo
	ds_load_b128 v[162:165], v2 offset:1552
	s_clause 0x2
	scratch_load_b128 v[166:169], off, off offset:784
	scratch_load_b128 v[170:173], off, off offset:608
	;; [unrolled: 1-line block ×3, first 2 shown]
	s_wait_loadcnt_dscnt 0xc00
	v_mul_f64_e32 v[182:183], v[164:165], v[6:7]
	v_mul_f64_e32 v[186:187], v[162:163], v[6:7]
	ds_load_b128 v[174:177], v2 offset:1568
	v_fma_f64 v[190:191], v[162:163], v[4:5], -v[182:183]
	v_fmac_f64_e32 v[186:187], v[164:165], v[4:5]
	ds_load_b128 v[4:7], v2 offset:1584
	s_wait_loadcnt_dscnt 0xb01
	v_mul_f64_e32 v[188:189], v[174:175], v[12:13]
	v_mul_f64_e32 v[12:13], v[176:177], v[12:13]
	scratch_load_b128 v[162:165], off, off offset:816
	ds_load_b128 v[182:185], v2 offset:1600
	s_wait_loadcnt_dscnt 0xb01
	v_mul_f64_e32 v[192:193], v[4:5], v[132:133]
	v_mul_f64_e32 v[132:133], v[6:7], v[132:133]
	v_add_f64_e32 v[186:187], 0, v[186:187]
	v_fmac_f64_e32 v[188:189], v[176:177], v[10:11]
	v_fma_f64 v[174:175], v[174:175], v[10:11], -v[12:13]
	v_add_f64_e32 v[176:177], 0, v[190:191]
	scratch_load_b128 v[10:13], off, off offset:832
	v_fmac_f64_e32 v[192:193], v[6:7], v[130:131]
	v_fma_f64 v[194:195], v[4:5], v[130:131], -v[132:133]
	ds_load_b128 v[4:7], v2 offset:1616
	s_wait_loadcnt_dscnt 0xb01
	v_mul_f64_e32 v[190:191], v[182:183], v[136:137]
	v_mul_f64_e32 v[136:137], v[184:185], v[136:137]
	scratch_load_b128 v[130:133], off, off offset:848
	v_add_f64_e32 v[186:187], v[186:187], v[188:189]
	v_add_f64_e32 v[196:197], v[176:177], v[174:175]
	ds_load_b128 v[174:177], v2 offset:1632
	s_wait_loadcnt_dscnt 0xb01
	v_mul_f64_e32 v[188:189], v[4:5], v[140:141]
	v_mul_f64_e32 v[140:141], v[6:7], v[140:141]
	v_fmac_f64_e32 v[190:191], v[184:185], v[134:135]
	v_fma_f64 v[182:183], v[182:183], v[134:135], -v[136:137]
	scratch_load_b128 v[134:137], off, off offset:864
	v_add_f64_e32 v[186:187], v[186:187], v[192:193]
	v_add_f64_e32 v[184:185], v[196:197], v[194:195]
	v_fmac_f64_e32 v[188:189], v[6:7], v[138:139]
	v_fma_f64 v[194:195], v[4:5], v[138:139], -v[140:141]
	ds_load_b128 v[4:7], v2 offset:1648
	s_wait_loadcnt_dscnt 0xb01
	v_mul_f64_e32 v[192:193], v[174:175], v[144:145]
	v_mul_f64_e32 v[144:145], v[176:177], v[144:145]
	scratch_load_b128 v[138:141], off, off offset:880
	v_add_f64_e32 v[186:187], v[186:187], v[190:191]
	s_wait_loadcnt_dscnt 0xb00
	v_mul_f64_e32 v[190:191], v[4:5], v[148:149]
	v_add_f64_e32 v[196:197], v[184:185], v[182:183]
	v_mul_f64_e32 v[148:149], v[6:7], v[148:149]
	ds_load_b128 v[182:185], v2 offset:1664
	v_fmac_f64_e32 v[192:193], v[176:177], v[142:143]
	v_fma_f64 v[174:175], v[174:175], v[142:143], -v[144:145]
	scratch_load_b128 v[142:145], off, off offset:896
	v_add_f64_e32 v[186:187], v[186:187], v[188:189]
	v_fmac_f64_e32 v[190:191], v[6:7], v[146:147]
	v_add_f64_e32 v[176:177], v[196:197], v[194:195]
	v_fma_f64 v[194:195], v[4:5], v[146:147], -v[148:149]
	ds_load_b128 v[4:7], v2 offset:1680
	s_wait_loadcnt_dscnt 0xb01
	v_mul_f64_e32 v[188:189], v[182:183], v[152:153]
	v_mul_f64_e32 v[152:153], v[184:185], v[152:153]
	scratch_load_b128 v[146:149], off, off offset:912
	v_add_f64_e32 v[186:187], v[186:187], v[192:193]
	s_wait_loadcnt_dscnt 0xb00
	v_mul_f64_e32 v[192:193], v[4:5], v[156:157]
	v_add_f64_e32 v[196:197], v[176:177], v[174:175]
	v_mul_f64_e32 v[156:157], v[6:7], v[156:157]
	ds_load_b128 v[174:177], v2 offset:1696
	v_fmac_f64_e32 v[188:189], v[184:185], v[150:151]
	v_fma_f64 v[150:151], v[182:183], v[150:151], -v[152:153]
	s_wait_loadcnt_dscnt 0xa00
	v_mul_f64_e32 v[184:185], v[174:175], v[160:161]
	v_mul_f64_e32 v[160:161], v[176:177], v[160:161]
	v_add_f64_e32 v[182:183], v[186:187], v[190:191]
	v_fmac_f64_e32 v[192:193], v[6:7], v[154:155]
	v_add_f64_e32 v[152:153], v[196:197], v[194:195]
	v_fma_f64 v[154:155], v[4:5], v[154:155], -v[156:157]
	v_fmac_f64_e32 v[184:185], v[176:177], v[158:159]
	v_fma_f64 v[158:159], v[174:175], v[158:159], -v[160:161]
	v_add_f64_e32 v[182:183], v[182:183], v[188:189]
	v_add_f64_e32 v[156:157], v[152:153], v[150:151]
	ds_load_b128 v[4:7], v2 offset:1712
	ds_load_b128 v[150:153], v2 offset:1728
	s_wait_loadcnt_dscnt 0x901
	v_mul_f64_e32 v[186:187], v[4:5], v[168:169]
	v_mul_f64_e32 v[168:169], v[6:7], v[168:169]
	s_wait_loadcnt_dscnt 0x700
	v_mul_f64_e32 v[160:161], v[150:151], v[180:181]
	v_mul_f64_e32 v[174:175], v[152:153], v[180:181]
	v_add_f64_e32 v[154:155], v[156:157], v[154:155]
	v_add_f64_e32 v[156:157], v[182:183], v[192:193]
	v_fmac_f64_e32 v[186:187], v[6:7], v[166:167]
	v_fma_f64 v[166:167], v[4:5], v[166:167], -v[168:169]
	v_fmac_f64_e32 v[160:161], v[152:153], v[178:179]
	v_fma_f64 v[150:151], v[150:151], v[178:179], -v[174:175]
	v_add_f64_e32 v[158:159], v[154:155], v[158:159]
	v_add_f64_e32 v[168:169], v[156:157], v[184:185]
	ds_load_b128 v[4:7], v2 offset:1744
	ds_load_b128 v[154:157], v2 offset:1760
	s_wait_loadcnt_dscnt 0x601
	v_mul_f64_e32 v[176:177], v[4:5], v[164:165]
	v_mul_f64_e32 v[164:165], v[6:7], v[164:165]
	v_add_f64_e32 v[152:153], v[158:159], v[166:167]
	v_add_f64_e32 v[158:159], v[168:169], v[186:187]
	s_wait_loadcnt_dscnt 0x500
	v_mul_f64_e32 v[166:167], v[154:155], v[12:13]
	v_mul_f64_e32 v[12:13], v[156:157], v[12:13]
	v_fmac_f64_e32 v[176:177], v[6:7], v[162:163]
	v_fma_f64 v[162:163], v[4:5], v[162:163], -v[164:165]
	v_add_f64_e32 v[164:165], v[152:153], v[150:151]
	v_add_f64_e32 v[158:159], v[158:159], v[160:161]
	ds_load_b128 v[4:7], v2 offset:1776
	ds_load_b128 v[150:153], v2 offset:1792
	v_fmac_f64_e32 v[166:167], v[156:157], v[10:11]
	v_fma_f64 v[10:11], v[154:155], v[10:11], -v[12:13]
	s_wait_loadcnt_dscnt 0x401
	v_mul_f64_e32 v[160:161], v[4:5], v[132:133]
	v_mul_f64_e32 v[132:133], v[6:7], v[132:133]
	s_wait_loadcnt_dscnt 0x300
	v_mul_f64_e32 v[156:157], v[150:151], v[136:137]
	v_mul_f64_e32 v[136:137], v[152:153], v[136:137]
	v_add_f64_e32 v[12:13], v[164:165], v[162:163]
	v_add_f64_e32 v[154:155], v[158:159], v[176:177]
	v_fmac_f64_e32 v[160:161], v[6:7], v[130:131]
	v_fma_f64 v[130:131], v[4:5], v[130:131], -v[132:133]
	v_fmac_f64_e32 v[156:157], v[152:153], v[134:135]
	v_fma_f64 v[134:135], v[150:151], v[134:135], -v[136:137]
	v_add_f64_e32 v[132:133], v[12:13], v[10:11]
	v_add_f64_e32 v[154:155], v[154:155], v[166:167]
	ds_load_b128 v[4:7], v2 offset:1808
	ds_load_b128 v[10:13], v2 offset:1824
	s_wait_loadcnt_dscnt 0x201
	v_mul_f64_e32 v[158:159], v[4:5], v[140:141]
	v_mul_f64_e32 v[140:141], v[6:7], v[140:141]
	s_wait_loadcnt_dscnt 0x100
	v_mul_f64_e32 v[136:137], v[10:11], v[144:145]
	v_mul_f64_e32 v[144:145], v[12:13], v[144:145]
	v_add_f64_e32 v[130:131], v[132:133], v[130:131]
	v_add_f64_e32 v[132:133], v[154:155], v[160:161]
	v_fmac_f64_e32 v[158:159], v[6:7], v[138:139]
	v_fma_f64 v[138:139], v[4:5], v[138:139], -v[140:141]
	ds_load_b128 v[4:7], v2 offset:1840
	v_fmac_f64_e32 v[136:137], v[12:13], v[142:143]
	v_fma_f64 v[10:11], v[10:11], v[142:143], -v[144:145]
	v_add_f64_e32 v[130:131], v[130:131], v[134:135]
	v_add_f64_e32 v[132:133], v[132:133], v[156:157]
	s_wait_loadcnt_dscnt 0x0
	v_mul_f64_e32 v[134:135], v[4:5], v[148:149]
	v_mul_f64_e32 v[140:141], v[6:7], v[148:149]
	s_delay_alu instid0(VALU_DEP_4) | instskip(NEXT) | instid1(VALU_DEP_4)
	v_add_f64_e32 v[12:13], v[130:131], v[138:139]
	v_add_f64_e32 v[130:131], v[132:133], v[158:159]
	s_delay_alu instid0(VALU_DEP_4) | instskip(NEXT) | instid1(VALU_DEP_4)
	v_fmac_f64_e32 v[134:135], v[6:7], v[146:147]
	v_fma_f64 v[4:5], v[4:5], v[146:147], -v[140:141]
	s_delay_alu instid0(VALU_DEP_4) | instskip(NEXT) | instid1(VALU_DEP_4)
	v_add_f64_e32 v[6:7], v[12:13], v[10:11]
	v_add_f64_e32 v[10:11], v[130:131], v[136:137]
	s_delay_alu instid0(VALU_DEP_2) | instskip(NEXT) | instid1(VALU_DEP_2)
	v_add_f64_e32 v[4:5], v[6:7], v[4:5]
	v_add_f64_e32 v[6:7], v[10:11], v[134:135]
	s_delay_alu instid0(VALU_DEP_2) | instskip(NEXT) | instid1(VALU_DEP_2)
	v_add_f64_e64 v[4:5], v[170:171], -v[4:5]
	v_add_f64_e64 v[6:7], v[172:173], -v[6:7]
	scratch_store_b128 off, v[4:7], off offset:608
	s_wait_xcnt 0x0
	v_cmpx_lt_u32_e32 37, v1
	s_cbranch_execz .LBB121_287
; %bb.286:
	scratch_load_b128 v[10:13], off, s37
	v_dual_mov_b32 v3, v2 :: v_dual_mov_b32 v4, v2
	v_mov_b32_e32 v5, v2
	scratch_store_b128 off, v[2:5], off offset:592
	s_wait_loadcnt 0x0
	ds_store_b128 v8, v[10:13]
.LBB121_287:
	s_wait_xcnt 0x0
	s_or_b32 exec_lo, exec_lo, s2
	s_wait_storecnt_dscnt 0x0
	s_barrier_signal -1
	s_barrier_wait -1
	s_clause 0x9
	scratch_load_b128 v[4:7], off, off offset:608
	scratch_load_b128 v[10:13], off, off offset:624
	;; [unrolled: 1-line block ×10, first 2 shown]
	ds_load_b128 v[162:165], v2 offset:1536
	ds_load_b128 v[170:173], v2 offset:1552
	s_clause 0x2
	scratch_load_b128 v[166:169], off, off offset:768
	scratch_load_b128 v[174:177], off, off offset:592
	;; [unrolled: 1-line block ×3, first 2 shown]
	s_mov_b32 s2, exec_lo
	s_wait_loadcnt_dscnt 0xc01
	v_mul_f64_e32 v[182:183], v[164:165], v[6:7]
	v_mul_f64_e32 v[186:187], v[162:163], v[6:7]
	s_wait_loadcnt_dscnt 0xb00
	v_mul_f64_e32 v[188:189], v[170:171], v[12:13]
	v_mul_f64_e32 v[12:13], v[172:173], v[12:13]
	s_delay_alu instid0(VALU_DEP_4) | instskip(NEXT) | instid1(VALU_DEP_4)
	v_fma_f64 v[190:191], v[162:163], v[4:5], -v[182:183]
	v_fmac_f64_e32 v[186:187], v[164:165], v[4:5]
	ds_load_b128 v[4:7], v2 offset:1568
	ds_load_b128 v[162:165], v2 offset:1584
	scratch_load_b128 v[182:185], off, off offset:800
	v_fmac_f64_e32 v[188:189], v[172:173], v[10:11]
	v_fma_f64 v[170:171], v[170:171], v[10:11], -v[12:13]
	scratch_load_b128 v[10:13], off, off offset:816
	s_wait_loadcnt_dscnt 0xc01
	v_mul_f64_e32 v[192:193], v[4:5], v[132:133]
	v_mul_f64_e32 v[132:133], v[6:7], v[132:133]
	v_add_f64_e32 v[172:173], 0, v[190:191]
	v_add_f64_e32 v[186:187], 0, v[186:187]
	s_wait_loadcnt_dscnt 0xb00
	v_mul_f64_e32 v[190:191], v[162:163], v[136:137]
	v_mul_f64_e32 v[136:137], v[164:165], v[136:137]
	v_fmac_f64_e32 v[192:193], v[6:7], v[130:131]
	v_fma_f64 v[194:195], v[4:5], v[130:131], -v[132:133]
	ds_load_b128 v[4:7], v2 offset:1600
	ds_load_b128 v[130:133], v2 offset:1616
	v_add_f64_e32 v[196:197], v[172:173], v[170:171]
	v_add_f64_e32 v[186:187], v[186:187], v[188:189]
	scratch_load_b128 v[170:173], off, off offset:832
	v_fmac_f64_e32 v[190:191], v[164:165], v[134:135]
	v_fma_f64 v[162:163], v[162:163], v[134:135], -v[136:137]
	scratch_load_b128 v[134:137], off, off offset:848
	s_wait_loadcnt_dscnt 0xc01
	v_mul_f64_e32 v[188:189], v[4:5], v[140:141]
	v_mul_f64_e32 v[140:141], v[6:7], v[140:141]
	v_add_f64_e32 v[164:165], v[196:197], v[194:195]
	v_add_f64_e32 v[186:187], v[186:187], v[192:193]
	s_wait_loadcnt_dscnt 0xb00
	v_mul_f64_e32 v[192:193], v[130:131], v[144:145]
	v_mul_f64_e32 v[144:145], v[132:133], v[144:145]
	v_fmac_f64_e32 v[188:189], v[6:7], v[138:139]
	v_fma_f64 v[194:195], v[4:5], v[138:139], -v[140:141]
	ds_load_b128 v[4:7], v2 offset:1632
	ds_load_b128 v[138:141], v2 offset:1648
	v_add_f64_e32 v[196:197], v[164:165], v[162:163]
	v_add_f64_e32 v[186:187], v[186:187], v[190:191]
	scratch_load_b128 v[162:165], off, off offset:864
	s_wait_loadcnt_dscnt 0xb01
	v_mul_f64_e32 v[190:191], v[4:5], v[148:149]
	v_mul_f64_e32 v[148:149], v[6:7], v[148:149]
	v_fmac_f64_e32 v[192:193], v[132:133], v[142:143]
	v_fma_f64 v[142:143], v[130:131], v[142:143], -v[144:145]
	scratch_load_b128 v[130:133], off, off offset:880
	v_add_f64_e32 v[144:145], v[196:197], v[194:195]
	v_add_f64_e32 v[186:187], v[186:187], v[188:189]
	s_wait_loadcnt_dscnt 0xb00
	v_mul_f64_e32 v[188:189], v[138:139], v[152:153]
	v_mul_f64_e32 v[152:153], v[140:141], v[152:153]
	v_fmac_f64_e32 v[190:191], v[6:7], v[146:147]
	v_fma_f64 v[194:195], v[4:5], v[146:147], -v[148:149]
	v_add_f64_e32 v[196:197], v[144:145], v[142:143]
	v_add_f64_e32 v[186:187], v[186:187], v[192:193]
	ds_load_b128 v[4:7], v2 offset:1664
	ds_load_b128 v[142:145], v2 offset:1680
	scratch_load_b128 v[146:149], off, off offset:896
	v_fmac_f64_e32 v[188:189], v[140:141], v[150:151]
	v_fma_f64 v[150:151], v[138:139], v[150:151], -v[152:153]
	scratch_load_b128 v[138:141], off, off offset:912
	s_wait_loadcnt_dscnt 0xc01
	v_mul_f64_e32 v[192:193], v[4:5], v[156:157]
	v_mul_f64_e32 v[156:157], v[6:7], v[156:157]
	v_add_f64_e32 v[152:153], v[196:197], v[194:195]
	v_add_f64_e32 v[186:187], v[186:187], v[190:191]
	s_wait_loadcnt_dscnt 0xb00
	v_mul_f64_e32 v[190:191], v[142:143], v[160:161]
	v_mul_f64_e32 v[160:161], v[144:145], v[160:161]
	v_fmac_f64_e32 v[192:193], v[6:7], v[154:155]
	v_fma_f64 v[154:155], v[4:5], v[154:155], -v[156:157]
	v_add_f64_e32 v[156:157], v[152:153], v[150:151]
	v_add_f64_e32 v[186:187], v[186:187], v[188:189]
	ds_load_b128 v[4:7], v2 offset:1696
	ds_load_b128 v[150:153], v2 offset:1712
	v_fmac_f64_e32 v[190:191], v[144:145], v[158:159]
	v_fma_f64 v[142:143], v[142:143], v[158:159], -v[160:161]
	s_wait_loadcnt_dscnt 0xa01
	v_mul_f64_e32 v[188:189], v[4:5], v[168:169]
	v_mul_f64_e32 v[168:169], v[6:7], v[168:169]
	s_wait_loadcnt_dscnt 0x800
	v_mul_f64_e32 v[158:159], v[152:153], v[180:181]
	v_add_f64_e32 v[144:145], v[156:157], v[154:155]
	v_add_f64_e32 v[154:155], v[186:187], v[192:193]
	v_mul_f64_e32 v[156:157], v[150:151], v[180:181]
	v_fmac_f64_e32 v[188:189], v[6:7], v[166:167]
	v_fma_f64 v[160:161], v[4:5], v[166:167], -v[168:169]
	v_fma_f64 v[150:151], v[150:151], v[178:179], -v[158:159]
	v_add_f64_e32 v[166:167], v[144:145], v[142:143]
	v_add_f64_e32 v[154:155], v[154:155], v[190:191]
	ds_load_b128 v[4:7], v2 offset:1728
	ds_load_b128 v[142:145], v2 offset:1744
	v_fmac_f64_e32 v[156:157], v[152:153], v[178:179]
	s_wait_loadcnt_dscnt 0x701
	v_mul_f64_e32 v[168:169], v[4:5], v[184:185]
	v_mul_f64_e32 v[180:181], v[6:7], v[184:185]
	s_wait_loadcnt_dscnt 0x600
	v_mul_f64_e32 v[158:159], v[142:143], v[12:13]
	v_mul_f64_e32 v[12:13], v[144:145], v[12:13]
	v_add_f64_e32 v[152:153], v[166:167], v[160:161]
	v_add_f64_e32 v[154:155], v[154:155], v[188:189]
	v_fmac_f64_e32 v[168:169], v[6:7], v[182:183]
	v_fma_f64 v[160:161], v[4:5], v[182:183], -v[180:181]
	v_fmac_f64_e32 v[158:159], v[144:145], v[10:11]
	v_fma_f64 v[10:11], v[142:143], v[10:11], -v[12:13]
	v_add_f64_e32 v[166:167], v[152:153], v[150:151]
	v_add_f64_e32 v[154:155], v[154:155], v[156:157]
	ds_load_b128 v[4:7], v2 offset:1760
	ds_load_b128 v[150:153], v2 offset:1776
	s_wait_loadcnt_dscnt 0x501
	v_mul_f64_e32 v[156:157], v[4:5], v[172:173]
	v_mul_f64_e32 v[172:173], v[6:7], v[172:173]
	s_wait_loadcnt_dscnt 0x400
	v_mul_f64_e32 v[144:145], v[150:151], v[136:137]
	v_mul_f64_e32 v[136:137], v[152:153], v[136:137]
	v_add_f64_e32 v[12:13], v[166:167], v[160:161]
	v_add_f64_e32 v[142:143], v[154:155], v[168:169]
	v_fmac_f64_e32 v[156:157], v[6:7], v[170:171]
	v_fma_f64 v[154:155], v[4:5], v[170:171], -v[172:173]
	v_fmac_f64_e32 v[144:145], v[152:153], v[134:135]
	v_fma_f64 v[134:135], v[150:151], v[134:135], -v[136:137]
	v_add_f64_e32 v[160:161], v[12:13], v[10:11]
	v_add_f64_e32 v[142:143], v[142:143], v[158:159]
	ds_load_b128 v[4:7], v2 offset:1792
	ds_load_b128 v[10:13], v2 offset:1808
	;; [unrolled: 16-line block ×3, first 2 shown]
	s_wait_loadcnt_dscnt 0x101
	v_mul_f64_e32 v[2:3], v[4:5], v[148:149]
	v_mul_f64_e32 v[144:145], v[6:7], v[148:149]
	v_add_f64_e32 v[12:13], v[136:137], v[154:155]
	v_add_f64_e32 v[130:131], v[142:143], v[158:159]
	s_wait_loadcnt_dscnt 0x0
	v_mul_f64_e32 v[136:137], v[132:133], v[140:141]
	v_mul_f64_e32 v[140:141], v[134:135], v[140:141]
	v_fmac_f64_e32 v[2:3], v[6:7], v[146:147]
	v_fma_f64 v[4:5], v[4:5], v[146:147], -v[144:145]
	v_add_f64_e32 v[6:7], v[12:13], v[10:11]
	v_add_f64_e32 v[10:11], v[130:131], v[150:151]
	v_fmac_f64_e32 v[136:137], v[134:135], v[138:139]
	v_fma_f64 v[12:13], v[132:133], v[138:139], -v[140:141]
	s_delay_alu instid0(VALU_DEP_4) | instskip(NEXT) | instid1(VALU_DEP_4)
	v_add_f64_e32 v[4:5], v[6:7], v[4:5]
	v_add_f64_e32 v[2:3], v[10:11], v[2:3]
	s_delay_alu instid0(VALU_DEP_2) | instskip(NEXT) | instid1(VALU_DEP_2)
	v_add_f64_e32 v[4:5], v[4:5], v[12:13]
	v_add_f64_e32 v[6:7], v[2:3], v[136:137]
	s_delay_alu instid0(VALU_DEP_2) | instskip(NEXT) | instid1(VALU_DEP_2)
	v_add_f64_e64 v[2:3], v[174:175], -v[4:5]
	v_add_f64_e64 v[4:5], v[176:177], -v[6:7]
	scratch_store_b128 off, v[2:5], off offset:592
	s_wait_xcnt 0x0
	v_cmpx_lt_u32_e32 36, v1
	s_cbranch_execz .LBB121_289
; %bb.288:
	scratch_load_b128 v[2:5], off, s38
	v_mov_b32_e32 v10, 0
	s_delay_alu instid0(VALU_DEP_1)
	v_dual_mov_b32 v11, v10 :: v_dual_mov_b32 v12, v10
	v_mov_b32_e32 v13, v10
	scratch_store_b128 off, v[10:13], off offset:576
	s_wait_loadcnt 0x0
	ds_store_b128 v8, v[2:5]
.LBB121_289:
	s_wait_xcnt 0x0
	s_or_b32 exec_lo, exec_lo, s2
	s_wait_storecnt_dscnt 0x0
	s_barrier_signal -1
	s_barrier_wait -1
	s_clause 0x9
	scratch_load_b128 v[4:7], off, off offset:592
	scratch_load_b128 v[10:13], off, off offset:608
	;; [unrolled: 1-line block ×10, first 2 shown]
	v_mov_b32_e32 v2, 0
	s_mov_b32 s2, exec_lo
	ds_load_b128 v[162:165], v2 offset:1520
	s_clause 0x2
	scratch_load_b128 v[166:169], off, off offset:752
	scratch_load_b128 v[170:173], off, off offset:576
	;; [unrolled: 1-line block ×3, first 2 shown]
	s_wait_loadcnt_dscnt 0xc00
	v_mul_f64_e32 v[182:183], v[164:165], v[6:7]
	v_mul_f64_e32 v[186:187], v[162:163], v[6:7]
	ds_load_b128 v[174:177], v2 offset:1536
	v_fma_f64 v[190:191], v[162:163], v[4:5], -v[182:183]
	v_fmac_f64_e32 v[186:187], v[164:165], v[4:5]
	ds_load_b128 v[4:7], v2 offset:1552
	s_wait_loadcnt_dscnt 0xb01
	v_mul_f64_e32 v[188:189], v[174:175], v[12:13]
	v_mul_f64_e32 v[12:13], v[176:177], v[12:13]
	scratch_load_b128 v[162:165], off, off offset:784
	ds_load_b128 v[182:185], v2 offset:1568
	s_wait_loadcnt_dscnt 0xb01
	v_mul_f64_e32 v[192:193], v[4:5], v[132:133]
	v_mul_f64_e32 v[132:133], v[6:7], v[132:133]
	v_add_f64_e32 v[186:187], 0, v[186:187]
	v_fmac_f64_e32 v[188:189], v[176:177], v[10:11]
	v_fma_f64 v[174:175], v[174:175], v[10:11], -v[12:13]
	v_add_f64_e32 v[176:177], 0, v[190:191]
	scratch_load_b128 v[10:13], off, off offset:800
	v_fmac_f64_e32 v[192:193], v[6:7], v[130:131]
	v_fma_f64 v[194:195], v[4:5], v[130:131], -v[132:133]
	ds_load_b128 v[4:7], v2 offset:1584
	s_wait_loadcnt_dscnt 0xb01
	v_mul_f64_e32 v[190:191], v[182:183], v[136:137]
	v_mul_f64_e32 v[136:137], v[184:185], v[136:137]
	scratch_load_b128 v[130:133], off, off offset:816
	v_add_f64_e32 v[186:187], v[186:187], v[188:189]
	v_add_f64_e32 v[196:197], v[176:177], v[174:175]
	ds_load_b128 v[174:177], v2 offset:1600
	s_wait_loadcnt_dscnt 0xb01
	v_mul_f64_e32 v[188:189], v[4:5], v[140:141]
	v_mul_f64_e32 v[140:141], v[6:7], v[140:141]
	v_fmac_f64_e32 v[190:191], v[184:185], v[134:135]
	v_fma_f64 v[182:183], v[182:183], v[134:135], -v[136:137]
	scratch_load_b128 v[134:137], off, off offset:832
	v_add_f64_e32 v[186:187], v[186:187], v[192:193]
	v_add_f64_e32 v[184:185], v[196:197], v[194:195]
	v_fmac_f64_e32 v[188:189], v[6:7], v[138:139]
	v_fma_f64 v[194:195], v[4:5], v[138:139], -v[140:141]
	ds_load_b128 v[4:7], v2 offset:1616
	s_wait_loadcnt_dscnt 0xb01
	v_mul_f64_e32 v[192:193], v[174:175], v[144:145]
	v_mul_f64_e32 v[144:145], v[176:177], v[144:145]
	scratch_load_b128 v[138:141], off, off offset:848
	v_add_f64_e32 v[186:187], v[186:187], v[190:191]
	s_wait_loadcnt_dscnt 0xb00
	v_mul_f64_e32 v[190:191], v[4:5], v[148:149]
	v_add_f64_e32 v[196:197], v[184:185], v[182:183]
	v_mul_f64_e32 v[148:149], v[6:7], v[148:149]
	ds_load_b128 v[182:185], v2 offset:1632
	v_fmac_f64_e32 v[192:193], v[176:177], v[142:143]
	v_fma_f64 v[174:175], v[174:175], v[142:143], -v[144:145]
	scratch_load_b128 v[142:145], off, off offset:864
	v_add_f64_e32 v[186:187], v[186:187], v[188:189]
	v_fmac_f64_e32 v[190:191], v[6:7], v[146:147]
	v_add_f64_e32 v[176:177], v[196:197], v[194:195]
	v_fma_f64 v[194:195], v[4:5], v[146:147], -v[148:149]
	ds_load_b128 v[4:7], v2 offset:1648
	s_wait_loadcnt_dscnt 0xb01
	v_mul_f64_e32 v[188:189], v[182:183], v[152:153]
	v_mul_f64_e32 v[152:153], v[184:185], v[152:153]
	scratch_load_b128 v[146:149], off, off offset:880
	v_add_f64_e32 v[186:187], v[186:187], v[192:193]
	s_wait_loadcnt_dscnt 0xb00
	v_mul_f64_e32 v[192:193], v[4:5], v[156:157]
	v_add_f64_e32 v[196:197], v[176:177], v[174:175]
	v_mul_f64_e32 v[156:157], v[6:7], v[156:157]
	ds_load_b128 v[174:177], v2 offset:1664
	v_fmac_f64_e32 v[188:189], v[184:185], v[150:151]
	v_fma_f64 v[182:183], v[182:183], v[150:151], -v[152:153]
	scratch_load_b128 v[150:153], off, off offset:896
	v_add_f64_e32 v[186:187], v[186:187], v[190:191]
	v_fmac_f64_e32 v[192:193], v[6:7], v[154:155]
	v_add_f64_e32 v[184:185], v[196:197], v[194:195]
	v_fma_f64 v[194:195], v[4:5], v[154:155], -v[156:157]
	ds_load_b128 v[4:7], v2 offset:1680
	s_wait_loadcnt_dscnt 0xb01
	v_mul_f64_e32 v[190:191], v[174:175], v[160:161]
	v_mul_f64_e32 v[160:161], v[176:177], v[160:161]
	scratch_load_b128 v[154:157], off, off offset:912
	v_add_f64_e32 v[186:187], v[186:187], v[188:189]
	s_wait_loadcnt_dscnt 0xb00
	v_mul_f64_e32 v[188:189], v[4:5], v[168:169]
	v_add_f64_e32 v[196:197], v[184:185], v[182:183]
	v_mul_f64_e32 v[168:169], v[6:7], v[168:169]
	ds_load_b128 v[182:185], v2 offset:1696
	v_fmac_f64_e32 v[190:191], v[176:177], v[158:159]
	v_fma_f64 v[158:159], v[174:175], v[158:159], -v[160:161]
	s_wait_loadcnt_dscnt 0x900
	v_mul_f64_e32 v[176:177], v[182:183], v[180:181]
	v_mul_f64_e32 v[180:181], v[184:185], v[180:181]
	v_add_f64_e32 v[174:175], v[186:187], v[192:193]
	v_fmac_f64_e32 v[188:189], v[6:7], v[166:167]
	v_add_f64_e32 v[160:161], v[196:197], v[194:195]
	v_fma_f64 v[166:167], v[4:5], v[166:167], -v[168:169]
	v_fmac_f64_e32 v[176:177], v[184:185], v[178:179]
	v_fma_f64 v[178:179], v[182:183], v[178:179], -v[180:181]
	v_add_f64_e32 v[174:175], v[174:175], v[190:191]
	v_add_f64_e32 v[168:169], v[160:161], v[158:159]
	ds_load_b128 v[4:7], v2 offset:1712
	ds_load_b128 v[158:161], v2 offset:1728
	s_wait_loadcnt_dscnt 0x801
	v_mul_f64_e32 v[186:187], v[4:5], v[164:165]
	v_mul_f64_e32 v[164:165], v[6:7], v[164:165]
	v_add_f64_e32 v[166:167], v[168:169], v[166:167]
	v_add_f64_e32 v[168:169], v[174:175], v[188:189]
	s_wait_loadcnt_dscnt 0x700
	v_mul_f64_e32 v[174:175], v[158:159], v[12:13]
	v_mul_f64_e32 v[12:13], v[160:161], v[12:13]
	v_fmac_f64_e32 v[186:187], v[6:7], v[162:163]
	v_fma_f64 v[180:181], v[4:5], v[162:163], -v[164:165]
	ds_load_b128 v[4:7], v2 offset:1744
	ds_load_b128 v[162:165], v2 offset:1760
	v_add_f64_e32 v[166:167], v[166:167], v[178:179]
	v_add_f64_e32 v[168:169], v[168:169], v[176:177]
	v_fmac_f64_e32 v[174:175], v[160:161], v[10:11]
	v_fma_f64 v[10:11], v[158:159], v[10:11], -v[12:13]
	s_wait_loadcnt_dscnt 0x601
	v_mul_f64_e32 v[176:177], v[4:5], v[132:133]
	v_mul_f64_e32 v[132:133], v[6:7], v[132:133]
	s_wait_loadcnt_dscnt 0x500
	v_mul_f64_e32 v[160:161], v[162:163], v[136:137]
	v_mul_f64_e32 v[136:137], v[164:165], v[136:137]
	v_add_f64_e32 v[12:13], v[166:167], v[180:181]
	v_add_f64_e32 v[158:159], v[168:169], v[186:187]
	v_fmac_f64_e32 v[176:177], v[6:7], v[130:131]
	v_fma_f64 v[130:131], v[4:5], v[130:131], -v[132:133]
	v_fmac_f64_e32 v[160:161], v[164:165], v[134:135]
	v_fma_f64 v[134:135], v[162:163], v[134:135], -v[136:137]
	v_add_f64_e32 v[132:133], v[12:13], v[10:11]
	v_add_f64_e32 v[158:159], v[158:159], v[174:175]
	ds_load_b128 v[4:7], v2 offset:1776
	ds_load_b128 v[10:13], v2 offset:1792
	s_wait_loadcnt_dscnt 0x401
	v_mul_f64_e32 v[166:167], v[4:5], v[140:141]
	v_mul_f64_e32 v[140:141], v[6:7], v[140:141]
	s_wait_loadcnt_dscnt 0x300
	v_mul_f64_e32 v[136:137], v[10:11], v[144:145]
	v_mul_f64_e32 v[144:145], v[12:13], v[144:145]
	v_add_f64_e32 v[130:131], v[132:133], v[130:131]
	v_add_f64_e32 v[132:133], v[158:159], v[176:177]
	v_fmac_f64_e32 v[166:167], v[6:7], v[138:139]
	v_fma_f64 v[138:139], v[4:5], v[138:139], -v[140:141]
	v_fmac_f64_e32 v[136:137], v[12:13], v[142:143]
	v_fma_f64 v[10:11], v[10:11], v[142:143], -v[144:145]
	v_add_f64_e32 v[134:135], v[130:131], v[134:135]
	v_add_f64_e32 v[140:141], v[132:133], v[160:161]
	ds_load_b128 v[4:7], v2 offset:1808
	ds_load_b128 v[130:133], v2 offset:1824
	s_wait_loadcnt_dscnt 0x201
	v_mul_f64_e32 v[158:159], v[4:5], v[148:149]
	v_mul_f64_e32 v[148:149], v[6:7], v[148:149]
	v_add_f64_e32 v[12:13], v[134:135], v[138:139]
	v_add_f64_e32 v[134:135], v[140:141], v[166:167]
	s_wait_loadcnt_dscnt 0x100
	v_mul_f64_e32 v[138:139], v[130:131], v[152:153]
	v_mul_f64_e32 v[140:141], v[132:133], v[152:153]
	v_fmac_f64_e32 v[158:159], v[6:7], v[146:147]
	v_fma_f64 v[142:143], v[4:5], v[146:147], -v[148:149]
	ds_load_b128 v[4:7], v2 offset:1840
	v_add_f64_e32 v[10:11], v[12:13], v[10:11]
	v_add_f64_e32 v[12:13], v[134:135], v[136:137]
	v_fmac_f64_e32 v[138:139], v[132:133], v[150:151]
	v_fma_f64 v[130:131], v[130:131], v[150:151], -v[140:141]
	s_wait_loadcnt_dscnt 0x0
	v_mul_f64_e32 v[134:135], v[4:5], v[156:157]
	v_mul_f64_e32 v[136:137], v[6:7], v[156:157]
	v_add_f64_e32 v[10:11], v[10:11], v[142:143]
	v_add_f64_e32 v[12:13], v[12:13], v[158:159]
	s_delay_alu instid0(VALU_DEP_4) | instskip(NEXT) | instid1(VALU_DEP_4)
	v_fmac_f64_e32 v[134:135], v[6:7], v[154:155]
	v_fma_f64 v[4:5], v[4:5], v[154:155], -v[136:137]
	s_delay_alu instid0(VALU_DEP_4) | instskip(NEXT) | instid1(VALU_DEP_4)
	v_add_f64_e32 v[6:7], v[10:11], v[130:131]
	v_add_f64_e32 v[10:11], v[12:13], v[138:139]
	s_delay_alu instid0(VALU_DEP_2) | instskip(NEXT) | instid1(VALU_DEP_2)
	v_add_f64_e32 v[4:5], v[6:7], v[4:5]
	v_add_f64_e32 v[6:7], v[10:11], v[134:135]
	s_delay_alu instid0(VALU_DEP_2) | instskip(NEXT) | instid1(VALU_DEP_2)
	v_add_f64_e64 v[4:5], v[170:171], -v[4:5]
	v_add_f64_e64 v[6:7], v[172:173], -v[6:7]
	scratch_store_b128 off, v[4:7], off offset:576
	s_wait_xcnt 0x0
	v_cmpx_lt_u32_e32 35, v1
	s_cbranch_execz .LBB121_291
; %bb.290:
	scratch_load_b128 v[10:13], off, s39
	v_dual_mov_b32 v3, v2 :: v_dual_mov_b32 v4, v2
	v_mov_b32_e32 v5, v2
	scratch_store_b128 off, v[2:5], off offset:560
	s_wait_loadcnt 0x0
	ds_store_b128 v8, v[10:13]
.LBB121_291:
	s_wait_xcnt 0x0
	s_or_b32 exec_lo, exec_lo, s2
	s_wait_storecnt_dscnt 0x0
	s_barrier_signal -1
	s_barrier_wait -1
	s_clause 0x9
	scratch_load_b128 v[4:7], off, off offset:576
	scratch_load_b128 v[10:13], off, off offset:592
	;; [unrolled: 1-line block ×10, first 2 shown]
	ds_load_b128 v[162:165], v2 offset:1504
	ds_load_b128 v[170:173], v2 offset:1520
	s_clause 0x2
	scratch_load_b128 v[166:169], off, off offset:736
	scratch_load_b128 v[174:177], off, off offset:560
	;; [unrolled: 1-line block ×3, first 2 shown]
	s_mov_b32 s2, exec_lo
	s_wait_loadcnt_dscnt 0xc01
	v_mul_f64_e32 v[182:183], v[164:165], v[6:7]
	v_mul_f64_e32 v[186:187], v[162:163], v[6:7]
	s_wait_loadcnt_dscnt 0xb00
	v_mul_f64_e32 v[188:189], v[170:171], v[12:13]
	v_mul_f64_e32 v[12:13], v[172:173], v[12:13]
	s_delay_alu instid0(VALU_DEP_4) | instskip(NEXT) | instid1(VALU_DEP_4)
	v_fma_f64 v[190:191], v[162:163], v[4:5], -v[182:183]
	v_fmac_f64_e32 v[186:187], v[164:165], v[4:5]
	ds_load_b128 v[4:7], v2 offset:1536
	ds_load_b128 v[162:165], v2 offset:1552
	scratch_load_b128 v[182:185], off, off offset:768
	v_fmac_f64_e32 v[188:189], v[172:173], v[10:11]
	v_fma_f64 v[170:171], v[170:171], v[10:11], -v[12:13]
	scratch_load_b128 v[10:13], off, off offset:784
	s_wait_loadcnt_dscnt 0xc01
	v_mul_f64_e32 v[192:193], v[4:5], v[132:133]
	v_mul_f64_e32 v[132:133], v[6:7], v[132:133]
	v_add_f64_e32 v[172:173], 0, v[190:191]
	v_add_f64_e32 v[186:187], 0, v[186:187]
	s_wait_loadcnt_dscnt 0xb00
	v_mul_f64_e32 v[190:191], v[162:163], v[136:137]
	v_mul_f64_e32 v[136:137], v[164:165], v[136:137]
	v_fmac_f64_e32 v[192:193], v[6:7], v[130:131]
	v_fma_f64 v[194:195], v[4:5], v[130:131], -v[132:133]
	ds_load_b128 v[4:7], v2 offset:1568
	ds_load_b128 v[130:133], v2 offset:1584
	v_add_f64_e32 v[196:197], v[172:173], v[170:171]
	v_add_f64_e32 v[186:187], v[186:187], v[188:189]
	scratch_load_b128 v[170:173], off, off offset:800
	v_fmac_f64_e32 v[190:191], v[164:165], v[134:135]
	v_fma_f64 v[162:163], v[162:163], v[134:135], -v[136:137]
	scratch_load_b128 v[134:137], off, off offset:816
	s_wait_loadcnt_dscnt 0xc01
	v_mul_f64_e32 v[188:189], v[4:5], v[140:141]
	v_mul_f64_e32 v[140:141], v[6:7], v[140:141]
	v_add_f64_e32 v[164:165], v[196:197], v[194:195]
	v_add_f64_e32 v[186:187], v[186:187], v[192:193]
	s_wait_loadcnt_dscnt 0xb00
	v_mul_f64_e32 v[192:193], v[130:131], v[144:145]
	v_mul_f64_e32 v[144:145], v[132:133], v[144:145]
	v_fmac_f64_e32 v[188:189], v[6:7], v[138:139]
	v_fma_f64 v[194:195], v[4:5], v[138:139], -v[140:141]
	ds_load_b128 v[4:7], v2 offset:1600
	ds_load_b128 v[138:141], v2 offset:1616
	v_add_f64_e32 v[196:197], v[164:165], v[162:163]
	v_add_f64_e32 v[186:187], v[186:187], v[190:191]
	scratch_load_b128 v[162:165], off, off offset:832
	s_wait_loadcnt_dscnt 0xb01
	v_mul_f64_e32 v[190:191], v[4:5], v[148:149]
	v_mul_f64_e32 v[148:149], v[6:7], v[148:149]
	v_fmac_f64_e32 v[192:193], v[132:133], v[142:143]
	v_fma_f64 v[142:143], v[130:131], v[142:143], -v[144:145]
	scratch_load_b128 v[130:133], off, off offset:848
	v_add_f64_e32 v[144:145], v[196:197], v[194:195]
	v_add_f64_e32 v[186:187], v[186:187], v[188:189]
	s_wait_loadcnt_dscnt 0xb00
	v_mul_f64_e32 v[188:189], v[138:139], v[152:153]
	v_mul_f64_e32 v[152:153], v[140:141], v[152:153]
	v_fmac_f64_e32 v[190:191], v[6:7], v[146:147]
	v_fma_f64 v[194:195], v[4:5], v[146:147], -v[148:149]
	v_add_f64_e32 v[196:197], v[144:145], v[142:143]
	v_add_f64_e32 v[186:187], v[186:187], v[192:193]
	ds_load_b128 v[4:7], v2 offset:1632
	ds_load_b128 v[142:145], v2 offset:1648
	scratch_load_b128 v[146:149], off, off offset:864
	v_fmac_f64_e32 v[188:189], v[140:141], v[150:151]
	v_fma_f64 v[150:151], v[138:139], v[150:151], -v[152:153]
	scratch_load_b128 v[138:141], off, off offset:880
	s_wait_loadcnt_dscnt 0xc01
	v_mul_f64_e32 v[192:193], v[4:5], v[156:157]
	v_mul_f64_e32 v[156:157], v[6:7], v[156:157]
	v_add_f64_e32 v[152:153], v[196:197], v[194:195]
	v_add_f64_e32 v[186:187], v[186:187], v[190:191]
	s_wait_loadcnt_dscnt 0xb00
	v_mul_f64_e32 v[190:191], v[142:143], v[160:161]
	v_mul_f64_e32 v[160:161], v[144:145], v[160:161]
	v_fmac_f64_e32 v[192:193], v[6:7], v[154:155]
	v_fma_f64 v[194:195], v[4:5], v[154:155], -v[156:157]
	v_add_f64_e32 v[196:197], v[152:153], v[150:151]
	v_add_f64_e32 v[186:187], v[186:187], v[188:189]
	ds_load_b128 v[4:7], v2 offset:1664
	ds_load_b128 v[150:153], v2 offset:1680
	scratch_load_b128 v[154:157], off, off offset:896
	v_fmac_f64_e32 v[190:191], v[144:145], v[158:159]
	v_fma_f64 v[158:159], v[142:143], v[158:159], -v[160:161]
	scratch_load_b128 v[142:145], off, off offset:912
	s_wait_loadcnt_dscnt 0xc01
	v_mul_f64_e32 v[188:189], v[4:5], v[168:169]
	v_mul_f64_e32 v[168:169], v[6:7], v[168:169]
	v_add_f64_e32 v[160:161], v[196:197], v[194:195]
	v_add_f64_e32 v[186:187], v[186:187], v[192:193]
	s_wait_loadcnt_dscnt 0xa00
	v_mul_f64_e32 v[192:193], v[150:151], v[180:181]
	v_mul_f64_e32 v[180:181], v[152:153], v[180:181]
	v_fmac_f64_e32 v[188:189], v[6:7], v[166:167]
	v_fma_f64 v[166:167], v[4:5], v[166:167], -v[168:169]
	v_add_f64_e32 v[168:169], v[160:161], v[158:159]
	v_add_f64_e32 v[186:187], v[186:187], v[190:191]
	ds_load_b128 v[4:7], v2 offset:1696
	ds_load_b128 v[158:161], v2 offset:1712
	v_fmac_f64_e32 v[192:193], v[152:153], v[178:179]
	v_fma_f64 v[150:151], v[150:151], v[178:179], -v[180:181]
	s_wait_loadcnt_dscnt 0x901
	v_mul_f64_e32 v[190:191], v[4:5], v[184:185]
	v_mul_f64_e32 v[184:185], v[6:7], v[184:185]
	v_add_f64_e32 v[152:153], v[168:169], v[166:167]
	v_add_f64_e32 v[166:167], v[186:187], v[188:189]
	s_wait_loadcnt_dscnt 0x800
	v_mul_f64_e32 v[168:169], v[158:159], v[12:13]
	v_mul_f64_e32 v[12:13], v[160:161], v[12:13]
	v_fmac_f64_e32 v[190:191], v[6:7], v[182:183]
	v_fma_f64 v[178:179], v[4:5], v[182:183], -v[184:185]
	v_add_f64_e32 v[180:181], v[152:153], v[150:151]
	v_add_f64_e32 v[166:167], v[166:167], v[192:193]
	ds_load_b128 v[4:7], v2 offset:1728
	ds_load_b128 v[150:153], v2 offset:1744
	v_fmac_f64_e32 v[168:169], v[160:161], v[10:11]
	v_fma_f64 v[10:11], v[158:159], v[10:11], -v[12:13]
	s_wait_loadcnt_dscnt 0x701
	v_mul_f64_e32 v[182:183], v[4:5], v[172:173]
	v_mul_f64_e32 v[172:173], v[6:7], v[172:173]
	s_wait_loadcnt_dscnt 0x600
	v_mul_f64_e32 v[160:161], v[150:151], v[136:137]
	v_mul_f64_e32 v[136:137], v[152:153], v[136:137]
	v_add_f64_e32 v[12:13], v[180:181], v[178:179]
	v_add_f64_e32 v[158:159], v[166:167], v[190:191]
	v_fmac_f64_e32 v[182:183], v[6:7], v[170:171]
	v_fma_f64 v[166:167], v[4:5], v[170:171], -v[172:173]
	v_fmac_f64_e32 v[160:161], v[152:153], v[134:135]
	v_fma_f64 v[134:135], v[150:151], v[134:135], -v[136:137]
	v_add_f64_e32 v[170:171], v[12:13], v[10:11]
	v_add_f64_e32 v[158:159], v[158:159], v[168:169]
	ds_load_b128 v[4:7], v2 offset:1760
	ds_load_b128 v[10:13], v2 offset:1776
	s_wait_loadcnt_dscnt 0x501
	v_mul_f64_e32 v[168:169], v[4:5], v[164:165]
	v_mul_f64_e32 v[164:165], v[6:7], v[164:165]
	s_wait_loadcnt_dscnt 0x400
	v_mul_f64_e32 v[152:153], v[10:11], v[132:133]
	v_add_f64_e32 v[136:137], v[170:171], v[166:167]
	v_add_f64_e32 v[150:151], v[158:159], v[182:183]
	v_mul_f64_e32 v[158:159], v[12:13], v[132:133]
	v_fmac_f64_e32 v[168:169], v[6:7], v[162:163]
	v_fma_f64 v[162:163], v[4:5], v[162:163], -v[164:165]
	v_fmac_f64_e32 v[152:153], v[12:13], v[130:131]
	v_add_f64_e32 v[136:137], v[136:137], v[134:135]
	v_add_f64_e32 v[150:151], v[150:151], v[160:161]
	ds_load_b128 v[4:7], v2 offset:1792
	ds_load_b128 v[132:135], v2 offset:1808
	v_fma_f64 v[10:11], v[10:11], v[130:131], -v[158:159]
	s_wait_loadcnt_dscnt 0x301
	v_mul_f64_e32 v[160:161], v[4:5], v[148:149]
	v_mul_f64_e32 v[148:149], v[6:7], v[148:149]
	v_add_f64_e32 v[12:13], v[136:137], v[162:163]
	v_add_f64_e32 v[130:131], v[150:151], v[168:169]
	s_wait_loadcnt_dscnt 0x200
	v_mul_f64_e32 v[136:137], v[132:133], v[140:141]
	v_mul_f64_e32 v[140:141], v[134:135], v[140:141]
	v_fmac_f64_e32 v[160:161], v[6:7], v[146:147]
	v_fma_f64 v[146:147], v[4:5], v[146:147], -v[148:149]
	v_add_f64_e32 v[148:149], v[12:13], v[10:11]
	v_add_f64_e32 v[130:131], v[130:131], v[152:153]
	ds_load_b128 v[4:7], v2 offset:1824
	ds_load_b128 v[10:13], v2 offset:1840
	v_fmac_f64_e32 v[136:137], v[134:135], v[138:139]
	v_fma_f64 v[132:133], v[132:133], v[138:139], -v[140:141]
	s_wait_loadcnt_dscnt 0x101
	v_mul_f64_e32 v[2:3], v[4:5], v[156:157]
	v_mul_f64_e32 v[150:151], v[6:7], v[156:157]
	s_wait_loadcnt_dscnt 0x0
	v_mul_f64_e32 v[138:139], v[10:11], v[144:145]
	v_mul_f64_e32 v[140:141], v[12:13], v[144:145]
	v_add_f64_e32 v[134:135], v[148:149], v[146:147]
	v_add_f64_e32 v[130:131], v[130:131], v[160:161]
	v_fmac_f64_e32 v[2:3], v[6:7], v[154:155]
	v_fma_f64 v[4:5], v[4:5], v[154:155], -v[150:151]
	v_fmac_f64_e32 v[138:139], v[12:13], v[142:143]
	v_fma_f64 v[10:11], v[10:11], v[142:143], -v[140:141]
	v_add_f64_e32 v[6:7], v[134:135], v[132:133]
	v_add_f64_e32 v[130:131], v[130:131], v[136:137]
	s_delay_alu instid0(VALU_DEP_2) | instskip(NEXT) | instid1(VALU_DEP_2)
	v_add_f64_e32 v[4:5], v[6:7], v[4:5]
	v_add_f64_e32 v[2:3], v[130:131], v[2:3]
	s_delay_alu instid0(VALU_DEP_2) | instskip(NEXT) | instid1(VALU_DEP_2)
	;; [unrolled: 3-line block ×3, first 2 shown]
	v_add_f64_e64 v[2:3], v[174:175], -v[4:5]
	v_add_f64_e64 v[4:5], v[176:177], -v[6:7]
	scratch_store_b128 off, v[2:5], off offset:560
	s_wait_xcnt 0x0
	v_cmpx_lt_u32_e32 34, v1
	s_cbranch_execz .LBB121_293
; %bb.292:
	scratch_load_b128 v[2:5], off, s40
	v_mov_b32_e32 v10, 0
	s_delay_alu instid0(VALU_DEP_1)
	v_dual_mov_b32 v11, v10 :: v_dual_mov_b32 v12, v10
	v_mov_b32_e32 v13, v10
	scratch_store_b128 off, v[10:13], off offset:544
	s_wait_loadcnt 0x0
	ds_store_b128 v8, v[2:5]
.LBB121_293:
	s_wait_xcnt 0x0
	s_or_b32 exec_lo, exec_lo, s2
	s_wait_storecnt_dscnt 0x0
	s_barrier_signal -1
	s_barrier_wait -1
	s_clause 0x9
	scratch_load_b128 v[4:7], off, off offset:560
	scratch_load_b128 v[10:13], off, off offset:576
	;; [unrolled: 1-line block ×10, first 2 shown]
	v_mov_b32_e32 v2, 0
	s_mov_b32 s2, exec_lo
	ds_load_b128 v[162:165], v2 offset:1488
	s_clause 0x2
	scratch_load_b128 v[166:169], off, off offset:720
	scratch_load_b128 v[170:173], off, off offset:544
	;; [unrolled: 1-line block ×3, first 2 shown]
	s_wait_loadcnt_dscnt 0xc00
	v_mul_f64_e32 v[182:183], v[164:165], v[6:7]
	v_mul_f64_e32 v[186:187], v[162:163], v[6:7]
	ds_load_b128 v[174:177], v2 offset:1504
	v_fma_f64 v[190:191], v[162:163], v[4:5], -v[182:183]
	v_fmac_f64_e32 v[186:187], v[164:165], v[4:5]
	ds_load_b128 v[4:7], v2 offset:1520
	s_wait_loadcnt_dscnt 0xb01
	v_mul_f64_e32 v[188:189], v[174:175], v[12:13]
	v_mul_f64_e32 v[12:13], v[176:177], v[12:13]
	scratch_load_b128 v[162:165], off, off offset:752
	ds_load_b128 v[182:185], v2 offset:1536
	s_wait_loadcnt_dscnt 0xb01
	v_mul_f64_e32 v[192:193], v[4:5], v[132:133]
	v_mul_f64_e32 v[132:133], v[6:7], v[132:133]
	v_add_f64_e32 v[186:187], 0, v[186:187]
	v_fmac_f64_e32 v[188:189], v[176:177], v[10:11]
	v_fma_f64 v[174:175], v[174:175], v[10:11], -v[12:13]
	v_add_f64_e32 v[176:177], 0, v[190:191]
	scratch_load_b128 v[10:13], off, off offset:768
	v_fmac_f64_e32 v[192:193], v[6:7], v[130:131]
	v_fma_f64 v[194:195], v[4:5], v[130:131], -v[132:133]
	ds_load_b128 v[4:7], v2 offset:1552
	s_wait_loadcnt_dscnt 0xb01
	v_mul_f64_e32 v[190:191], v[182:183], v[136:137]
	v_mul_f64_e32 v[136:137], v[184:185], v[136:137]
	scratch_load_b128 v[130:133], off, off offset:784
	v_add_f64_e32 v[186:187], v[186:187], v[188:189]
	v_add_f64_e32 v[196:197], v[176:177], v[174:175]
	ds_load_b128 v[174:177], v2 offset:1568
	s_wait_loadcnt_dscnt 0xb01
	v_mul_f64_e32 v[188:189], v[4:5], v[140:141]
	v_mul_f64_e32 v[140:141], v[6:7], v[140:141]
	v_fmac_f64_e32 v[190:191], v[184:185], v[134:135]
	v_fma_f64 v[182:183], v[182:183], v[134:135], -v[136:137]
	scratch_load_b128 v[134:137], off, off offset:800
	v_add_f64_e32 v[186:187], v[186:187], v[192:193]
	v_add_f64_e32 v[184:185], v[196:197], v[194:195]
	v_fmac_f64_e32 v[188:189], v[6:7], v[138:139]
	v_fma_f64 v[194:195], v[4:5], v[138:139], -v[140:141]
	ds_load_b128 v[4:7], v2 offset:1584
	s_wait_loadcnt_dscnt 0xb01
	v_mul_f64_e32 v[192:193], v[174:175], v[144:145]
	v_mul_f64_e32 v[144:145], v[176:177], v[144:145]
	scratch_load_b128 v[138:141], off, off offset:816
	v_add_f64_e32 v[186:187], v[186:187], v[190:191]
	s_wait_loadcnt_dscnt 0xb00
	v_mul_f64_e32 v[190:191], v[4:5], v[148:149]
	v_add_f64_e32 v[196:197], v[184:185], v[182:183]
	v_mul_f64_e32 v[148:149], v[6:7], v[148:149]
	ds_load_b128 v[182:185], v2 offset:1600
	v_fmac_f64_e32 v[192:193], v[176:177], v[142:143]
	v_fma_f64 v[174:175], v[174:175], v[142:143], -v[144:145]
	scratch_load_b128 v[142:145], off, off offset:832
	v_add_f64_e32 v[186:187], v[186:187], v[188:189]
	v_fmac_f64_e32 v[190:191], v[6:7], v[146:147]
	v_add_f64_e32 v[176:177], v[196:197], v[194:195]
	v_fma_f64 v[194:195], v[4:5], v[146:147], -v[148:149]
	ds_load_b128 v[4:7], v2 offset:1616
	s_wait_loadcnt_dscnt 0xb01
	v_mul_f64_e32 v[188:189], v[182:183], v[152:153]
	v_mul_f64_e32 v[152:153], v[184:185], v[152:153]
	scratch_load_b128 v[146:149], off, off offset:848
	v_add_f64_e32 v[186:187], v[186:187], v[192:193]
	s_wait_loadcnt_dscnt 0xb00
	v_mul_f64_e32 v[192:193], v[4:5], v[156:157]
	v_add_f64_e32 v[196:197], v[176:177], v[174:175]
	v_mul_f64_e32 v[156:157], v[6:7], v[156:157]
	ds_load_b128 v[174:177], v2 offset:1632
	v_fmac_f64_e32 v[188:189], v[184:185], v[150:151]
	v_fma_f64 v[182:183], v[182:183], v[150:151], -v[152:153]
	scratch_load_b128 v[150:153], off, off offset:864
	v_add_f64_e32 v[186:187], v[186:187], v[190:191]
	v_fmac_f64_e32 v[192:193], v[6:7], v[154:155]
	v_add_f64_e32 v[184:185], v[196:197], v[194:195]
	;; [unrolled: 18-line block ×3, first 2 shown]
	v_fma_f64 v[194:195], v[4:5], v[166:167], -v[168:169]
	ds_load_b128 v[4:7], v2 offset:1680
	s_wait_loadcnt_dscnt 0xa01
	v_mul_f64_e32 v[192:193], v[182:183], v[180:181]
	v_mul_f64_e32 v[180:181], v[184:185], v[180:181]
	scratch_load_b128 v[166:169], off, off offset:912
	v_add_f64_e32 v[186:187], v[186:187], v[190:191]
	v_add_f64_e32 v[196:197], v[176:177], v[174:175]
	s_wait_loadcnt_dscnt 0xa00
	v_mul_f64_e32 v[190:191], v[4:5], v[164:165]
	v_mul_f64_e32 v[164:165], v[6:7], v[164:165]
	v_fmac_f64_e32 v[192:193], v[184:185], v[178:179]
	v_fma_f64 v[178:179], v[182:183], v[178:179], -v[180:181]
	ds_load_b128 v[174:177], v2 offset:1696
	v_add_f64_e32 v[182:183], v[186:187], v[188:189]
	v_add_f64_e32 v[180:181], v[196:197], v[194:195]
	s_wait_loadcnt_dscnt 0x900
	v_mul_f64_e32 v[184:185], v[174:175], v[12:13]
	v_mul_f64_e32 v[12:13], v[176:177], v[12:13]
	v_fmac_f64_e32 v[190:191], v[6:7], v[162:163]
	v_fma_f64 v[186:187], v[4:5], v[162:163], -v[164:165]
	ds_load_b128 v[4:7], v2 offset:1712
	ds_load_b128 v[162:165], v2 offset:1728
	v_add_f64_e32 v[178:179], v[180:181], v[178:179]
	v_add_f64_e32 v[180:181], v[182:183], v[192:193]
	s_wait_loadcnt_dscnt 0x801
	v_mul_f64_e32 v[182:183], v[4:5], v[132:133]
	v_mul_f64_e32 v[132:133], v[6:7], v[132:133]
	v_fmac_f64_e32 v[184:185], v[176:177], v[10:11]
	v_fma_f64 v[10:11], v[174:175], v[10:11], -v[12:13]
	s_wait_loadcnt_dscnt 0x700
	v_mul_f64_e32 v[176:177], v[162:163], v[136:137]
	v_mul_f64_e32 v[136:137], v[164:165], v[136:137]
	v_add_f64_e32 v[12:13], v[178:179], v[186:187]
	v_add_f64_e32 v[174:175], v[180:181], v[190:191]
	v_fmac_f64_e32 v[182:183], v[6:7], v[130:131]
	v_fma_f64 v[130:131], v[4:5], v[130:131], -v[132:133]
	v_fmac_f64_e32 v[176:177], v[164:165], v[134:135]
	v_fma_f64 v[134:135], v[162:163], v[134:135], -v[136:137]
	v_add_f64_e32 v[132:133], v[12:13], v[10:11]
	v_add_f64_e32 v[174:175], v[174:175], v[184:185]
	ds_load_b128 v[4:7], v2 offset:1744
	ds_load_b128 v[10:13], v2 offset:1760
	s_wait_loadcnt_dscnt 0x601
	v_mul_f64_e32 v[178:179], v[4:5], v[140:141]
	v_mul_f64_e32 v[140:141], v[6:7], v[140:141]
	s_wait_loadcnt_dscnt 0x500
	v_mul_f64_e32 v[136:137], v[10:11], v[144:145]
	v_mul_f64_e32 v[144:145], v[12:13], v[144:145]
	v_add_f64_e32 v[130:131], v[132:133], v[130:131]
	v_add_f64_e32 v[132:133], v[174:175], v[182:183]
	v_fmac_f64_e32 v[178:179], v[6:7], v[138:139]
	v_fma_f64 v[138:139], v[4:5], v[138:139], -v[140:141]
	v_fmac_f64_e32 v[136:137], v[12:13], v[142:143]
	v_fma_f64 v[10:11], v[10:11], v[142:143], -v[144:145]
	v_add_f64_e32 v[134:135], v[130:131], v[134:135]
	v_add_f64_e32 v[140:141], v[132:133], v[176:177]
	ds_load_b128 v[4:7], v2 offset:1776
	ds_load_b128 v[130:133], v2 offset:1792
	s_wait_loadcnt_dscnt 0x401
	v_mul_f64_e32 v[162:163], v[4:5], v[148:149]
	v_mul_f64_e32 v[148:149], v[6:7], v[148:149]
	v_add_f64_e32 v[12:13], v[134:135], v[138:139]
	v_add_f64_e32 v[134:135], v[140:141], v[178:179]
	s_wait_loadcnt_dscnt 0x300
	v_mul_f64_e32 v[138:139], v[130:131], v[152:153]
	v_mul_f64_e32 v[140:141], v[132:133], v[152:153]
	v_fmac_f64_e32 v[162:163], v[6:7], v[146:147]
	v_fma_f64 v[142:143], v[4:5], v[146:147], -v[148:149]
	v_add_f64_e32 v[144:145], v[12:13], v[10:11]
	v_add_f64_e32 v[134:135], v[134:135], v[136:137]
	ds_load_b128 v[4:7], v2 offset:1808
	ds_load_b128 v[10:13], v2 offset:1824
	v_fmac_f64_e32 v[138:139], v[132:133], v[150:151]
	v_fma_f64 v[130:131], v[130:131], v[150:151], -v[140:141]
	s_wait_loadcnt_dscnt 0x201
	v_mul_f64_e32 v[136:137], v[4:5], v[156:157]
	v_mul_f64_e32 v[146:147], v[6:7], v[156:157]
	s_wait_loadcnt_dscnt 0x100
	v_mul_f64_e32 v[140:141], v[10:11], v[160:161]
	v_add_f64_e32 v[132:133], v[144:145], v[142:143]
	v_add_f64_e32 v[134:135], v[134:135], v[162:163]
	v_mul_f64_e32 v[142:143], v[12:13], v[160:161]
	v_fmac_f64_e32 v[136:137], v[6:7], v[154:155]
	v_fma_f64 v[144:145], v[4:5], v[154:155], -v[146:147]
	ds_load_b128 v[4:7], v2 offset:1840
	v_fmac_f64_e32 v[140:141], v[12:13], v[158:159]
	v_add_f64_e32 v[130:131], v[132:133], v[130:131]
	v_add_f64_e32 v[132:133], v[134:135], v[138:139]
	v_fma_f64 v[10:11], v[10:11], v[158:159], -v[142:143]
	s_wait_loadcnt_dscnt 0x0
	v_mul_f64_e32 v[134:135], v[4:5], v[168:169]
	v_mul_f64_e32 v[138:139], v[6:7], v[168:169]
	v_add_f64_e32 v[12:13], v[130:131], v[144:145]
	v_add_f64_e32 v[130:131], v[132:133], v[136:137]
	s_delay_alu instid0(VALU_DEP_4) | instskip(NEXT) | instid1(VALU_DEP_4)
	v_fmac_f64_e32 v[134:135], v[6:7], v[166:167]
	v_fma_f64 v[4:5], v[4:5], v[166:167], -v[138:139]
	s_delay_alu instid0(VALU_DEP_4) | instskip(NEXT) | instid1(VALU_DEP_4)
	v_add_f64_e32 v[6:7], v[12:13], v[10:11]
	v_add_f64_e32 v[10:11], v[130:131], v[140:141]
	s_delay_alu instid0(VALU_DEP_2) | instskip(NEXT) | instid1(VALU_DEP_2)
	v_add_f64_e32 v[4:5], v[6:7], v[4:5]
	v_add_f64_e32 v[6:7], v[10:11], v[134:135]
	s_delay_alu instid0(VALU_DEP_2) | instskip(NEXT) | instid1(VALU_DEP_2)
	v_add_f64_e64 v[4:5], v[170:171], -v[4:5]
	v_add_f64_e64 v[6:7], v[172:173], -v[6:7]
	scratch_store_b128 off, v[4:7], off offset:544
	s_wait_xcnt 0x0
	v_cmpx_lt_u32_e32 33, v1
	s_cbranch_execz .LBB121_295
; %bb.294:
	scratch_load_b128 v[10:13], off, s41
	v_dual_mov_b32 v3, v2 :: v_dual_mov_b32 v4, v2
	v_mov_b32_e32 v5, v2
	scratch_store_b128 off, v[2:5], off offset:528
	s_wait_loadcnt 0x0
	ds_store_b128 v8, v[10:13]
.LBB121_295:
	s_wait_xcnt 0x0
	s_or_b32 exec_lo, exec_lo, s2
	s_wait_storecnt_dscnt 0x0
	s_barrier_signal -1
	s_barrier_wait -1
	s_clause 0x9
	scratch_load_b128 v[4:7], off, off offset:544
	scratch_load_b128 v[10:13], off, off offset:560
	;; [unrolled: 1-line block ×10, first 2 shown]
	ds_load_b128 v[162:165], v2 offset:1472
	ds_load_b128 v[170:173], v2 offset:1488
	s_clause 0x2
	scratch_load_b128 v[166:169], off, off offset:704
	scratch_load_b128 v[174:177], off, off offset:528
	;; [unrolled: 1-line block ×3, first 2 shown]
	s_mov_b32 s2, exec_lo
	s_wait_loadcnt_dscnt 0xc01
	v_mul_f64_e32 v[182:183], v[164:165], v[6:7]
	v_mul_f64_e32 v[186:187], v[162:163], v[6:7]
	s_wait_loadcnt_dscnt 0xb00
	v_mul_f64_e32 v[188:189], v[170:171], v[12:13]
	v_mul_f64_e32 v[12:13], v[172:173], v[12:13]
	s_delay_alu instid0(VALU_DEP_4) | instskip(NEXT) | instid1(VALU_DEP_4)
	v_fma_f64 v[190:191], v[162:163], v[4:5], -v[182:183]
	v_fmac_f64_e32 v[186:187], v[164:165], v[4:5]
	ds_load_b128 v[4:7], v2 offset:1504
	ds_load_b128 v[162:165], v2 offset:1520
	scratch_load_b128 v[182:185], off, off offset:736
	v_fmac_f64_e32 v[188:189], v[172:173], v[10:11]
	v_fma_f64 v[170:171], v[170:171], v[10:11], -v[12:13]
	scratch_load_b128 v[10:13], off, off offset:752
	s_wait_loadcnt_dscnt 0xc01
	v_mul_f64_e32 v[192:193], v[4:5], v[132:133]
	v_mul_f64_e32 v[132:133], v[6:7], v[132:133]
	v_add_f64_e32 v[172:173], 0, v[190:191]
	v_add_f64_e32 v[186:187], 0, v[186:187]
	s_wait_loadcnt_dscnt 0xb00
	v_mul_f64_e32 v[190:191], v[162:163], v[136:137]
	v_mul_f64_e32 v[136:137], v[164:165], v[136:137]
	v_fmac_f64_e32 v[192:193], v[6:7], v[130:131]
	v_fma_f64 v[194:195], v[4:5], v[130:131], -v[132:133]
	ds_load_b128 v[4:7], v2 offset:1536
	ds_load_b128 v[130:133], v2 offset:1552
	v_add_f64_e32 v[196:197], v[172:173], v[170:171]
	v_add_f64_e32 v[186:187], v[186:187], v[188:189]
	scratch_load_b128 v[170:173], off, off offset:768
	v_fmac_f64_e32 v[190:191], v[164:165], v[134:135]
	v_fma_f64 v[162:163], v[162:163], v[134:135], -v[136:137]
	scratch_load_b128 v[134:137], off, off offset:784
	s_wait_loadcnt_dscnt 0xc01
	v_mul_f64_e32 v[188:189], v[4:5], v[140:141]
	v_mul_f64_e32 v[140:141], v[6:7], v[140:141]
	v_add_f64_e32 v[164:165], v[196:197], v[194:195]
	v_add_f64_e32 v[186:187], v[186:187], v[192:193]
	s_wait_loadcnt_dscnt 0xb00
	v_mul_f64_e32 v[192:193], v[130:131], v[144:145]
	v_mul_f64_e32 v[144:145], v[132:133], v[144:145]
	v_fmac_f64_e32 v[188:189], v[6:7], v[138:139]
	v_fma_f64 v[194:195], v[4:5], v[138:139], -v[140:141]
	ds_load_b128 v[4:7], v2 offset:1568
	ds_load_b128 v[138:141], v2 offset:1584
	v_add_f64_e32 v[196:197], v[164:165], v[162:163]
	v_add_f64_e32 v[186:187], v[186:187], v[190:191]
	scratch_load_b128 v[162:165], off, off offset:800
	s_wait_loadcnt_dscnt 0xb01
	v_mul_f64_e32 v[190:191], v[4:5], v[148:149]
	v_mul_f64_e32 v[148:149], v[6:7], v[148:149]
	v_fmac_f64_e32 v[192:193], v[132:133], v[142:143]
	v_fma_f64 v[142:143], v[130:131], v[142:143], -v[144:145]
	scratch_load_b128 v[130:133], off, off offset:816
	v_add_f64_e32 v[144:145], v[196:197], v[194:195]
	v_add_f64_e32 v[186:187], v[186:187], v[188:189]
	s_wait_loadcnt_dscnt 0xb00
	v_mul_f64_e32 v[188:189], v[138:139], v[152:153]
	v_mul_f64_e32 v[152:153], v[140:141], v[152:153]
	v_fmac_f64_e32 v[190:191], v[6:7], v[146:147]
	v_fma_f64 v[194:195], v[4:5], v[146:147], -v[148:149]
	v_add_f64_e32 v[196:197], v[144:145], v[142:143]
	v_add_f64_e32 v[186:187], v[186:187], v[192:193]
	ds_load_b128 v[4:7], v2 offset:1600
	ds_load_b128 v[142:145], v2 offset:1616
	scratch_load_b128 v[146:149], off, off offset:832
	v_fmac_f64_e32 v[188:189], v[140:141], v[150:151]
	v_fma_f64 v[150:151], v[138:139], v[150:151], -v[152:153]
	scratch_load_b128 v[138:141], off, off offset:848
	s_wait_loadcnt_dscnt 0xc01
	v_mul_f64_e32 v[192:193], v[4:5], v[156:157]
	v_mul_f64_e32 v[156:157], v[6:7], v[156:157]
	v_add_f64_e32 v[152:153], v[196:197], v[194:195]
	v_add_f64_e32 v[186:187], v[186:187], v[190:191]
	s_wait_loadcnt_dscnt 0xb00
	v_mul_f64_e32 v[190:191], v[142:143], v[160:161]
	v_mul_f64_e32 v[160:161], v[144:145], v[160:161]
	v_fmac_f64_e32 v[192:193], v[6:7], v[154:155]
	v_fma_f64 v[194:195], v[4:5], v[154:155], -v[156:157]
	v_add_f64_e32 v[196:197], v[152:153], v[150:151]
	v_add_f64_e32 v[186:187], v[186:187], v[188:189]
	ds_load_b128 v[4:7], v2 offset:1632
	ds_load_b128 v[150:153], v2 offset:1648
	scratch_load_b128 v[154:157], off, off offset:864
	v_fmac_f64_e32 v[190:191], v[144:145], v[158:159]
	v_fma_f64 v[158:159], v[142:143], v[158:159], -v[160:161]
	scratch_load_b128 v[142:145], off, off offset:880
	s_wait_loadcnt_dscnt 0xc01
	v_mul_f64_e32 v[188:189], v[4:5], v[168:169]
	v_mul_f64_e32 v[168:169], v[6:7], v[168:169]
	;; [unrolled: 18-line block ×3, first 2 shown]
	v_add_f64_e32 v[180:181], v[196:197], v[194:195]
	v_add_f64_e32 v[186:187], v[186:187], v[188:189]
	s_wait_loadcnt_dscnt 0xa00
	v_mul_f64_e32 v[188:189], v[158:159], v[12:13]
	v_mul_f64_e32 v[12:13], v[160:161], v[12:13]
	v_fmac_f64_e32 v[190:191], v[6:7], v[182:183]
	v_fma_f64 v[182:183], v[4:5], v[182:183], -v[184:185]
	v_add_f64_e32 v[184:185], v[180:181], v[178:179]
	v_add_f64_e32 v[186:187], v[186:187], v[192:193]
	ds_load_b128 v[4:7], v2 offset:1696
	ds_load_b128 v[178:181], v2 offset:1712
	v_fmac_f64_e32 v[188:189], v[160:161], v[10:11]
	v_fma_f64 v[10:11], v[158:159], v[10:11], -v[12:13]
	s_wait_loadcnt_dscnt 0x901
	v_mul_f64_e32 v[192:193], v[4:5], v[172:173]
	v_mul_f64_e32 v[172:173], v[6:7], v[172:173]
	s_wait_loadcnt_dscnt 0x800
	v_mul_f64_e32 v[160:161], v[178:179], v[136:137]
	v_mul_f64_e32 v[136:137], v[180:181], v[136:137]
	v_add_f64_e32 v[12:13], v[184:185], v[182:183]
	v_add_f64_e32 v[158:159], v[186:187], v[190:191]
	v_fmac_f64_e32 v[192:193], v[6:7], v[170:171]
	v_fma_f64 v[170:171], v[4:5], v[170:171], -v[172:173]
	v_fmac_f64_e32 v[160:161], v[180:181], v[134:135]
	v_fma_f64 v[134:135], v[178:179], v[134:135], -v[136:137]
	v_add_f64_e32 v[172:173], v[12:13], v[10:11]
	v_add_f64_e32 v[158:159], v[158:159], v[188:189]
	ds_load_b128 v[4:7], v2 offset:1728
	ds_load_b128 v[10:13], v2 offset:1744
	s_wait_loadcnt_dscnt 0x701
	v_mul_f64_e32 v[182:183], v[4:5], v[164:165]
	v_mul_f64_e32 v[164:165], v[6:7], v[164:165]
	v_add_f64_e32 v[136:137], v[172:173], v[170:171]
	v_add_f64_e32 v[158:159], v[158:159], v[192:193]
	s_wait_loadcnt_dscnt 0x600
	v_mul_f64_e32 v[170:171], v[10:11], v[132:133]
	v_mul_f64_e32 v[172:173], v[12:13], v[132:133]
	v_fmac_f64_e32 v[182:183], v[6:7], v[162:163]
	v_fma_f64 v[162:163], v[4:5], v[162:163], -v[164:165]
	v_add_f64_e32 v[136:137], v[136:137], v[134:135]
	v_add_f64_e32 v[158:159], v[158:159], v[160:161]
	ds_load_b128 v[4:7], v2 offset:1760
	ds_load_b128 v[132:135], v2 offset:1776
	v_fmac_f64_e32 v[170:171], v[12:13], v[130:131]
	v_fma_f64 v[10:11], v[10:11], v[130:131], -v[172:173]
	s_wait_loadcnt_dscnt 0x501
	v_mul_f64_e32 v[160:161], v[4:5], v[148:149]
	v_mul_f64_e32 v[148:149], v[6:7], v[148:149]
	v_add_f64_e32 v[12:13], v[136:137], v[162:163]
	v_add_f64_e32 v[130:131], v[158:159], v[182:183]
	s_wait_loadcnt_dscnt 0x400
	v_mul_f64_e32 v[136:137], v[132:133], v[140:141]
	v_mul_f64_e32 v[140:141], v[134:135], v[140:141]
	v_fmac_f64_e32 v[160:161], v[6:7], v[146:147]
	v_fma_f64 v[146:147], v[4:5], v[146:147], -v[148:149]
	v_add_f64_e32 v[148:149], v[12:13], v[10:11]
	v_add_f64_e32 v[130:131], v[130:131], v[170:171]
	ds_load_b128 v[4:7], v2 offset:1792
	ds_load_b128 v[10:13], v2 offset:1808
	v_fmac_f64_e32 v[136:137], v[134:135], v[138:139]
	v_fma_f64 v[132:133], v[132:133], v[138:139], -v[140:141]
	s_wait_loadcnt_dscnt 0x301
	v_mul_f64_e32 v[158:159], v[4:5], v[156:157]
	v_mul_f64_e32 v[156:157], v[6:7], v[156:157]
	s_wait_loadcnt_dscnt 0x200
	v_mul_f64_e32 v[138:139], v[10:11], v[144:145]
	v_mul_f64_e32 v[140:141], v[12:13], v[144:145]
	v_add_f64_e32 v[134:135], v[148:149], v[146:147]
	v_add_f64_e32 v[130:131], v[130:131], v[160:161]
	v_fmac_f64_e32 v[158:159], v[6:7], v[154:155]
	v_fma_f64 v[144:145], v[4:5], v[154:155], -v[156:157]
	v_fmac_f64_e32 v[138:139], v[12:13], v[142:143]
	v_fma_f64 v[10:11], v[10:11], v[142:143], -v[140:141]
	v_add_f64_e32 v[134:135], v[134:135], v[132:133]
	v_add_f64_e32 v[136:137], v[130:131], v[136:137]
	ds_load_b128 v[4:7], v2 offset:1824
	ds_load_b128 v[130:133], v2 offset:1840
	s_wait_loadcnt_dscnt 0x101
	v_mul_f64_e32 v[2:3], v[4:5], v[168:169]
	v_mul_f64_e32 v[146:147], v[6:7], v[168:169]
	s_wait_loadcnt_dscnt 0x0
	v_mul_f64_e32 v[140:141], v[132:133], v[152:153]
	v_add_f64_e32 v[12:13], v[134:135], v[144:145]
	v_add_f64_e32 v[134:135], v[136:137], v[158:159]
	v_mul_f64_e32 v[136:137], v[130:131], v[152:153]
	v_fmac_f64_e32 v[2:3], v[6:7], v[166:167]
	v_fma_f64 v[4:5], v[4:5], v[166:167], -v[146:147]
	v_add_f64_e32 v[6:7], v[12:13], v[10:11]
	v_add_f64_e32 v[10:11], v[134:135], v[138:139]
	v_fmac_f64_e32 v[136:137], v[132:133], v[150:151]
	v_fma_f64 v[12:13], v[130:131], v[150:151], -v[140:141]
	s_delay_alu instid0(VALU_DEP_4) | instskip(NEXT) | instid1(VALU_DEP_4)
	v_add_f64_e32 v[4:5], v[6:7], v[4:5]
	v_add_f64_e32 v[2:3], v[10:11], v[2:3]
	s_delay_alu instid0(VALU_DEP_2) | instskip(NEXT) | instid1(VALU_DEP_2)
	v_add_f64_e32 v[4:5], v[4:5], v[12:13]
	v_add_f64_e32 v[6:7], v[2:3], v[136:137]
	s_delay_alu instid0(VALU_DEP_2) | instskip(NEXT) | instid1(VALU_DEP_2)
	v_add_f64_e64 v[2:3], v[174:175], -v[4:5]
	v_add_f64_e64 v[4:5], v[176:177], -v[6:7]
	scratch_store_b128 off, v[2:5], off offset:528
	s_wait_xcnt 0x0
	v_cmpx_lt_u32_e32 32, v1
	s_cbranch_execz .LBB121_297
; %bb.296:
	scratch_load_b128 v[2:5], off, s42
	v_mov_b32_e32 v10, 0
	s_delay_alu instid0(VALU_DEP_1)
	v_dual_mov_b32 v11, v10 :: v_dual_mov_b32 v12, v10
	v_mov_b32_e32 v13, v10
	scratch_store_b128 off, v[10:13], off offset:512
	s_wait_loadcnt 0x0
	ds_store_b128 v8, v[2:5]
.LBB121_297:
	s_wait_xcnt 0x0
	s_or_b32 exec_lo, exec_lo, s2
	s_wait_storecnt_dscnt 0x0
	s_barrier_signal -1
	s_barrier_wait -1
	s_clause 0x9
	scratch_load_b128 v[4:7], off, off offset:528
	scratch_load_b128 v[10:13], off, off offset:544
	;; [unrolled: 1-line block ×10, first 2 shown]
	v_mov_b32_e32 v2, 0
	s_mov_b32 s2, exec_lo
	ds_load_b128 v[162:165], v2 offset:1456
	s_clause 0x2
	scratch_load_b128 v[166:169], off, off offset:688
	scratch_load_b128 v[170:173], off, off offset:512
	;; [unrolled: 1-line block ×3, first 2 shown]
	s_wait_loadcnt_dscnt 0xc00
	v_mul_f64_e32 v[182:183], v[164:165], v[6:7]
	v_mul_f64_e32 v[186:187], v[162:163], v[6:7]
	ds_load_b128 v[174:177], v2 offset:1472
	v_fma_f64 v[190:191], v[162:163], v[4:5], -v[182:183]
	v_fmac_f64_e32 v[186:187], v[164:165], v[4:5]
	ds_load_b128 v[4:7], v2 offset:1488
	s_wait_loadcnt_dscnt 0xb01
	v_mul_f64_e32 v[188:189], v[174:175], v[12:13]
	v_mul_f64_e32 v[12:13], v[176:177], v[12:13]
	scratch_load_b128 v[162:165], off, off offset:720
	ds_load_b128 v[182:185], v2 offset:1504
	s_wait_loadcnt_dscnt 0xb01
	v_mul_f64_e32 v[192:193], v[4:5], v[132:133]
	v_mul_f64_e32 v[132:133], v[6:7], v[132:133]
	v_add_f64_e32 v[186:187], 0, v[186:187]
	v_fmac_f64_e32 v[188:189], v[176:177], v[10:11]
	v_fma_f64 v[174:175], v[174:175], v[10:11], -v[12:13]
	v_add_f64_e32 v[176:177], 0, v[190:191]
	scratch_load_b128 v[10:13], off, off offset:736
	v_fmac_f64_e32 v[192:193], v[6:7], v[130:131]
	v_fma_f64 v[194:195], v[4:5], v[130:131], -v[132:133]
	ds_load_b128 v[4:7], v2 offset:1520
	s_wait_loadcnt_dscnt 0xb01
	v_mul_f64_e32 v[190:191], v[182:183], v[136:137]
	v_mul_f64_e32 v[136:137], v[184:185], v[136:137]
	scratch_load_b128 v[130:133], off, off offset:752
	v_add_f64_e32 v[186:187], v[186:187], v[188:189]
	v_add_f64_e32 v[196:197], v[176:177], v[174:175]
	ds_load_b128 v[174:177], v2 offset:1536
	s_wait_loadcnt_dscnt 0xb01
	v_mul_f64_e32 v[188:189], v[4:5], v[140:141]
	v_mul_f64_e32 v[140:141], v[6:7], v[140:141]
	v_fmac_f64_e32 v[190:191], v[184:185], v[134:135]
	v_fma_f64 v[182:183], v[182:183], v[134:135], -v[136:137]
	scratch_load_b128 v[134:137], off, off offset:768
	v_add_f64_e32 v[186:187], v[186:187], v[192:193]
	v_add_f64_e32 v[184:185], v[196:197], v[194:195]
	v_fmac_f64_e32 v[188:189], v[6:7], v[138:139]
	v_fma_f64 v[194:195], v[4:5], v[138:139], -v[140:141]
	ds_load_b128 v[4:7], v2 offset:1552
	s_wait_loadcnt_dscnt 0xb01
	v_mul_f64_e32 v[192:193], v[174:175], v[144:145]
	v_mul_f64_e32 v[144:145], v[176:177], v[144:145]
	scratch_load_b128 v[138:141], off, off offset:784
	v_add_f64_e32 v[186:187], v[186:187], v[190:191]
	s_wait_loadcnt_dscnt 0xb00
	v_mul_f64_e32 v[190:191], v[4:5], v[148:149]
	v_add_f64_e32 v[196:197], v[184:185], v[182:183]
	v_mul_f64_e32 v[148:149], v[6:7], v[148:149]
	ds_load_b128 v[182:185], v2 offset:1568
	v_fmac_f64_e32 v[192:193], v[176:177], v[142:143]
	v_fma_f64 v[174:175], v[174:175], v[142:143], -v[144:145]
	scratch_load_b128 v[142:145], off, off offset:800
	v_add_f64_e32 v[186:187], v[186:187], v[188:189]
	v_fmac_f64_e32 v[190:191], v[6:7], v[146:147]
	v_add_f64_e32 v[176:177], v[196:197], v[194:195]
	v_fma_f64 v[194:195], v[4:5], v[146:147], -v[148:149]
	ds_load_b128 v[4:7], v2 offset:1584
	s_wait_loadcnt_dscnt 0xb01
	v_mul_f64_e32 v[188:189], v[182:183], v[152:153]
	v_mul_f64_e32 v[152:153], v[184:185], v[152:153]
	scratch_load_b128 v[146:149], off, off offset:816
	v_add_f64_e32 v[186:187], v[186:187], v[192:193]
	s_wait_loadcnt_dscnt 0xb00
	v_mul_f64_e32 v[192:193], v[4:5], v[156:157]
	v_add_f64_e32 v[196:197], v[176:177], v[174:175]
	v_mul_f64_e32 v[156:157], v[6:7], v[156:157]
	ds_load_b128 v[174:177], v2 offset:1600
	v_fmac_f64_e32 v[188:189], v[184:185], v[150:151]
	v_fma_f64 v[182:183], v[182:183], v[150:151], -v[152:153]
	scratch_load_b128 v[150:153], off, off offset:832
	v_add_f64_e32 v[186:187], v[186:187], v[190:191]
	v_fmac_f64_e32 v[192:193], v[6:7], v[154:155]
	v_add_f64_e32 v[184:185], v[196:197], v[194:195]
	;; [unrolled: 18-line block ×3, first 2 shown]
	v_fma_f64 v[194:195], v[4:5], v[166:167], -v[168:169]
	ds_load_b128 v[4:7], v2 offset:1648
	s_wait_loadcnt_dscnt 0xa01
	v_mul_f64_e32 v[192:193], v[182:183], v[180:181]
	v_mul_f64_e32 v[180:181], v[184:185], v[180:181]
	scratch_load_b128 v[166:169], off, off offset:880
	v_add_f64_e32 v[186:187], v[186:187], v[190:191]
	v_add_f64_e32 v[196:197], v[176:177], v[174:175]
	s_wait_loadcnt_dscnt 0xa00
	v_mul_f64_e32 v[190:191], v[4:5], v[164:165]
	v_mul_f64_e32 v[164:165], v[6:7], v[164:165]
	v_fmac_f64_e32 v[192:193], v[184:185], v[178:179]
	v_fma_f64 v[182:183], v[182:183], v[178:179], -v[180:181]
	ds_load_b128 v[174:177], v2 offset:1664
	scratch_load_b128 v[178:181], off, off offset:896
	v_add_f64_e32 v[186:187], v[186:187], v[188:189]
	v_add_f64_e32 v[184:185], v[196:197], v[194:195]
	v_fmac_f64_e32 v[190:191], v[6:7], v[162:163]
	v_fma_f64 v[194:195], v[4:5], v[162:163], -v[164:165]
	ds_load_b128 v[4:7], v2 offset:1680
	s_wait_loadcnt_dscnt 0xa01
	v_mul_f64_e32 v[188:189], v[174:175], v[12:13]
	v_mul_f64_e32 v[12:13], v[176:177], v[12:13]
	scratch_load_b128 v[162:165], off, off offset:912
	v_add_f64_e32 v[186:187], v[186:187], v[192:193]
	s_wait_loadcnt_dscnt 0xa00
	v_mul_f64_e32 v[192:193], v[4:5], v[132:133]
	v_add_f64_e32 v[196:197], v[184:185], v[182:183]
	v_mul_f64_e32 v[132:133], v[6:7], v[132:133]
	ds_load_b128 v[182:185], v2 offset:1696
	v_fmac_f64_e32 v[188:189], v[176:177], v[10:11]
	v_fma_f64 v[10:11], v[174:175], v[10:11], -v[12:13]
	s_wait_loadcnt_dscnt 0x900
	v_mul_f64_e32 v[176:177], v[182:183], v[136:137]
	v_mul_f64_e32 v[136:137], v[184:185], v[136:137]
	v_add_f64_e32 v[174:175], v[186:187], v[190:191]
	v_fmac_f64_e32 v[192:193], v[6:7], v[130:131]
	v_add_f64_e32 v[12:13], v[196:197], v[194:195]
	v_fma_f64 v[130:131], v[4:5], v[130:131], -v[132:133]
	v_fmac_f64_e32 v[176:177], v[184:185], v[134:135]
	v_fma_f64 v[134:135], v[182:183], v[134:135], -v[136:137]
	v_add_f64_e32 v[174:175], v[174:175], v[188:189]
	v_add_f64_e32 v[132:133], v[12:13], v[10:11]
	ds_load_b128 v[4:7], v2 offset:1712
	ds_load_b128 v[10:13], v2 offset:1728
	s_wait_loadcnt_dscnt 0x801
	v_mul_f64_e32 v[186:187], v[4:5], v[140:141]
	v_mul_f64_e32 v[140:141], v[6:7], v[140:141]
	s_wait_loadcnt_dscnt 0x700
	v_mul_f64_e32 v[136:137], v[10:11], v[144:145]
	v_mul_f64_e32 v[144:145], v[12:13], v[144:145]
	v_add_f64_e32 v[130:131], v[132:133], v[130:131]
	v_add_f64_e32 v[132:133], v[174:175], v[192:193]
	v_fmac_f64_e32 v[186:187], v[6:7], v[138:139]
	v_fma_f64 v[138:139], v[4:5], v[138:139], -v[140:141]
	v_fmac_f64_e32 v[136:137], v[12:13], v[142:143]
	v_fma_f64 v[10:11], v[10:11], v[142:143], -v[144:145]
	v_add_f64_e32 v[134:135], v[130:131], v[134:135]
	v_add_f64_e32 v[140:141], v[132:133], v[176:177]
	ds_load_b128 v[4:7], v2 offset:1744
	ds_load_b128 v[130:133], v2 offset:1760
	s_wait_loadcnt_dscnt 0x601
	v_mul_f64_e32 v[174:175], v[4:5], v[148:149]
	v_mul_f64_e32 v[148:149], v[6:7], v[148:149]
	v_add_f64_e32 v[12:13], v[134:135], v[138:139]
	v_add_f64_e32 v[134:135], v[140:141], v[186:187]
	s_wait_loadcnt_dscnt 0x500
	v_mul_f64_e32 v[138:139], v[130:131], v[152:153]
	v_mul_f64_e32 v[140:141], v[132:133], v[152:153]
	v_fmac_f64_e32 v[174:175], v[6:7], v[146:147]
	v_fma_f64 v[142:143], v[4:5], v[146:147], -v[148:149]
	v_add_f64_e32 v[144:145], v[12:13], v[10:11]
	v_add_f64_e32 v[134:135], v[134:135], v[136:137]
	ds_load_b128 v[4:7], v2 offset:1776
	ds_load_b128 v[10:13], v2 offset:1792
	v_fmac_f64_e32 v[138:139], v[132:133], v[150:151]
	v_fma_f64 v[130:131], v[130:131], v[150:151], -v[140:141]
	s_wait_loadcnt_dscnt 0x401
	v_mul_f64_e32 v[136:137], v[4:5], v[156:157]
	v_mul_f64_e32 v[146:147], v[6:7], v[156:157]
	s_wait_loadcnt_dscnt 0x300
	v_mul_f64_e32 v[140:141], v[10:11], v[160:161]
	v_add_f64_e32 v[132:133], v[144:145], v[142:143]
	v_add_f64_e32 v[134:135], v[134:135], v[174:175]
	v_mul_f64_e32 v[142:143], v[12:13], v[160:161]
	v_fmac_f64_e32 v[136:137], v[6:7], v[154:155]
	v_fma_f64 v[144:145], v[4:5], v[154:155], -v[146:147]
	v_fmac_f64_e32 v[140:141], v[12:13], v[158:159]
	v_add_f64_e32 v[146:147], v[132:133], v[130:131]
	v_add_f64_e32 v[134:135], v[134:135], v[138:139]
	ds_load_b128 v[4:7], v2 offset:1808
	ds_load_b128 v[130:133], v2 offset:1824
	v_fma_f64 v[10:11], v[10:11], v[158:159], -v[142:143]
	s_wait_loadcnt_dscnt 0x201
	v_mul_f64_e32 v[138:139], v[4:5], v[168:169]
	v_mul_f64_e32 v[148:149], v[6:7], v[168:169]
	s_wait_loadcnt_dscnt 0x100
	v_mul_f64_e32 v[142:143], v[132:133], v[180:181]
	v_add_f64_e32 v[12:13], v[146:147], v[144:145]
	v_add_f64_e32 v[134:135], v[134:135], v[136:137]
	v_mul_f64_e32 v[136:137], v[130:131], v[180:181]
	v_fmac_f64_e32 v[138:139], v[6:7], v[166:167]
	v_fma_f64 v[144:145], v[4:5], v[166:167], -v[148:149]
	ds_load_b128 v[4:7], v2 offset:1840
	v_fma_f64 v[130:131], v[130:131], v[178:179], -v[142:143]
	v_add_f64_e32 v[10:11], v[12:13], v[10:11]
	v_add_f64_e32 v[12:13], v[134:135], v[140:141]
	v_fmac_f64_e32 v[136:137], v[132:133], v[178:179]
	s_wait_loadcnt_dscnt 0x0
	v_mul_f64_e32 v[134:135], v[4:5], v[164:165]
	v_mul_f64_e32 v[140:141], v[6:7], v[164:165]
	v_add_f64_e32 v[10:11], v[10:11], v[144:145]
	v_add_f64_e32 v[12:13], v[12:13], v[138:139]
	s_delay_alu instid0(VALU_DEP_4) | instskip(NEXT) | instid1(VALU_DEP_4)
	v_fmac_f64_e32 v[134:135], v[6:7], v[162:163]
	v_fma_f64 v[4:5], v[4:5], v[162:163], -v[140:141]
	s_delay_alu instid0(VALU_DEP_4) | instskip(NEXT) | instid1(VALU_DEP_4)
	v_add_f64_e32 v[6:7], v[10:11], v[130:131]
	v_add_f64_e32 v[10:11], v[12:13], v[136:137]
	s_delay_alu instid0(VALU_DEP_2) | instskip(NEXT) | instid1(VALU_DEP_2)
	v_add_f64_e32 v[4:5], v[6:7], v[4:5]
	v_add_f64_e32 v[6:7], v[10:11], v[134:135]
	s_delay_alu instid0(VALU_DEP_2) | instskip(NEXT) | instid1(VALU_DEP_2)
	v_add_f64_e64 v[4:5], v[170:171], -v[4:5]
	v_add_f64_e64 v[6:7], v[172:173], -v[6:7]
	scratch_store_b128 off, v[4:7], off offset:512
	s_wait_xcnt 0x0
	v_cmpx_lt_u32_e32 31, v1
	s_cbranch_execz .LBB121_299
; %bb.298:
	scratch_load_b128 v[10:13], off, s43
	v_dual_mov_b32 v3, v2 :: v_dual_mov_b32 v4, v2
	v_mov_b32_e32 v5, v2
	scratch_store_b128 off, v[2:5], off offset:496
	s_wait_loadcnt 0x0
	ds_store_b128 v8, v[10:13]
.LBB121_299:
	s_wait_xcnt 0x0
	s_or_b32 exec_lo, exec_lo, s2
	s_wait_storecnt_dscnt 0x0
	s_barrier_signal -1
	s_barrier_wait -1
	s_clause 0x9
	scratch_load_b128 v[4:7], off, off offset:512
	scratch_load_b128 v[10:13], off, off offset:528
	;; [unrolled: 1-line block ×10, first 2 shown]
	ds_load_b128 v[162:165], v2 offset:1440
	ds_load_b128 v[170:173], v2 offset:1456
	s_clause 0x2
	scratch_load_b128 v[166:169], off, off offset:672
	scratch_load_b128 v[174:177], off, off offset:496
	;; [unrolled: 1-line block ×3, first 2 shown]
	s_mov_b32 s2, exec_lo
	s_wait_loadcnt_dscnt 0xc01
	v_mul_f64_e32 v[182:183], v[164:165], v[6:7]
	v_mul_f64_e32 v[186:187], v[162:163], v[6:7]
	s_wait_loadcnt_dscnt 0xb00
	v_mul_f64_e32 v[188:189], v[170:171], v[12:13]
	v_mul_f64_e32 v[12:13], v[172:173], v[12:13]
	s_delay_alu instid0(VALU_DEP_4) | instskip(NEXT) | instid1(VALU_DEP_4)
	v_fma_f64 v[190:191], v[162:163], v[4:5], -v[182:183]
	v_fmac_f64_e32 v[186:187], v[164:165], v[4:5]
	ds_load_b128 v[4:7], v2 offset:1472
	ds_load_b128 v[162:165], v2 offset:1488
	scratch_load_b128 v[182:185], off, off offset:704
	v_fmac_f64_e32 v[188:189], v[172:173], v[10:11]
	v_fma_f64 v[170:171], v[170:171], v[10:11], -v[12:13]
	scratch_load_b128 v[10:13], off, off offset:720
	s_wait_loadcnt_dscnt 0xc01
	v_mul_f64_e32 v[192:193], v[4:5], v[132:133]
	v_mul_f64_e32 v[132:133], v[6:7], v[132:133]
	v_add_f64_e32 v[172:173], 0, v[190:191]
	v_add_f64_e32 v[186:187], 0, v[186:187]
	s_wait_loadcnt_dscnt 0xb00
	v_mul_f64_e32 v[190:191], v[162:163], v[136:137]
	v_mul_f64_e32 v[136:137], v[164:165], v[136:137]
	v_fmac_f64_e32 v[192:193], v[6:7], v[130:131]
	v_fma_f64 v[194:195], v[4:5], v[130:131], -v[132:133]
	ds_load_b128 v[4:7], v2 offset:1504
	ds_load_b128 v[130:133], v2 offset:1520
	v_add_f64_e32 v[196:197], v[172:173], v[170:171]
	v_add_f64_e32 v[186:187], v[186:187], v[188:189]
	scratch_load_b128 v[170:173], off, off offset:736
	v_fmac_f64_e32 v[190:191], v[164:165], v[134:135]
	v_fma_f64 v[162:163], v[162:163], v[134:135], -v[136:137]
	scratch_load_b128 v[134:137], off, off offset:752
	s_wait_loadcnt_dscnt 0xc01
	v_mul_f64_e32 v[188:189], v[4:5], v[140:141]
	v_mul_f64_e32 v[140:141], v[6:7], v[140:141]
	v_add_f64_e32 v[164:165], v[196:197], v[194:195]
	v_add_f64_e32 v[186:187], v[186:187], v[192:193]
	s_wait_loadcnt_dscnt 0xb00
	v_mul_f64_e32 v[192:193], v[130:131], v[144:145]
	v_mul_f64_e32 v[144:145], v[132:133], v[144:145]
	v_fmac_f64_e32 v[188:189], v[6:7], v[138:139]
	v_fma_f64 v[194:195], v[4:5], v[138:139], -v[140:141]
	ds_load_b128 v[4:7], v2 offset:1536
	ds_load_b128 v[138:141], v2 offset:1552
	v_add_f64_e32 v[196:197], v[164:165], v[162:163]
	v_add_f64_e32 v[186:187], v[186:187], v[190:191]
	scratch_load_b128 v[162:165], off, off offset:768
	s_wait_loadcnt_dscnt 0xb01
	v_mul_f64_e32 v[190:191], v[4:5], v[148:149]
	v_mul_f64_e32 v[148:149], v[6:7], v[148:149]
	v_fmac_f64_e32 v[192:193], v[132:133], v[142:143]
	v_fma_f64 v[142:143], v[130:131], v[142:143], -v[144:145]
	scratch_load_b128 v[130:133], off, off offset:784
	v_add_f64_e32 v[144:145], v[196:197], v[194:195]
	v_add_f64_e32 v[186:187], v[186:187], v[188:189]
	s_wait_loadcnt_dscnt 0xb00
	v_mul_f64_e32 v[188:189], v[138:139], v[152:153]
	v_mul_f64_e32 v[152:153], v[140:141], v[152:153]
	v_fmac_f64_e32 v[190:191], v[6:7], v[146:147]
	v_fma_f64 v[194:195], v[4:5], v[146:147], -v[148:149]
	v_add_f64_e32 v[196:197], v[144:145], v[142:143]
	v_add_f64_e32 v[186:187], v[186:187], v[192:193]
	ds_load_b128 v[4:7], v2 offset:1568
	ds_load_b128 v[142:145], v2 offset:1584
	scratch_load_b128 v[146:149], off, off offset:800
	v_fmac_f64_e32 v[188:189], v[140:141], v[150:151]
	v_fma_f64 v[150:151], v[138:139], v[150:151], -v[152:153]
	scratch_load_b128 v[138:141], off, off offset:816
	s_wait_loadcnt_dscnt 0xc01
	v_mul_f64_e32 v[192:193], v[4:5], v[156:157]
	v_mul_f64_e32 v[156:157], v[6:7], v[156:157]
	v_add_f64_e32 v[152:153], v[196:197], v[194:195]
	v_add_f64_e32 v[186:187], v[186:187], v[190:191]
	s_wait_loadcnt_dscnt 0xb00
	v_mul_f64_e32 v[190:191], v[142:143], v[160:161]
	v_mul_f64_e32 v[160:161], v[144:145], v[160:161]
	v_fmac_f64_e32 v[192:193], v[6:7], v[154:155]
	v_fma_f64 v[194:195], v[4:5], v[154:155], -v[156:157]
	v_add_f64_e32 v[196:197], v[152:153], v[150:151]
	v_add_f64_e32 v[186:187], v[186:187], v[188:189]
	ds_load_b128 v[4:7], v2 offset:1600
	ds_load_b128 v[150:153], v2 offset:1616
	scratch_load_b128 v[154:157], off, off offset:832
	v_fmac_f64_e32 v[190:191], v[144:145], v[158:159]
	v_fma_f64 v[158:159], v[142:143], v[158:159], -v[160:161]
	scratch_load_b128 v[142:145], off, off offset:848
	s_wait_loadcnt_dscnt 0xc01
	v_mul_f64_e32 v[188:189], v[4:5], v[168:169]
	v_mul_f64_e32 v[168:169], v[6:7], v[168:169]
	;; [unrolled: 18-line block ×4, first 2 shown]
	v_add_f64_e32 v[160:161], v[196:197], v[194:195]
	v_add_f64_e32 v[186:187], v[186:187], v[190:191]
	s_wait_loadcnt_dscnt 0xa00
	v_mul_f64_e32 v[190:191], v[178:179], v[136:137]
	v_mul_f64_e32 v[136:137], v[180:181], v[136:137]
	v_fmac_f64_e32 v[192:193], v[6:7], v[170:171]
	v_fma_f64 v[170:171], v[4:5], v[170:171], -v[172:173]
	v_add_f64_e32 v[172:173], v[160:161], v[158:159]
	v_add_f64_e32 v[186:187], v[186:187], v[188:189]
	ds_load_b128 v[4:7], v2 offset:1696
	ds_load_b128 v[158:161], v2 offset:1712
	v_fmac_f64_e32 v[190:191], v[180:181], v[134:135]
	v_fma_f64 v[134:135], v[178:179], v[134:135], -v[136:137]
	s_wait_loadcnt_dscnt 0x901
	v_mul_f64_e32 v[188:189], v[4:5], v[164:165]
	v_mul_f64_e32 v[164:165], v[6:7], v[164:165]
	s_wait_loadcnt_dscnt 0x800
	v_mul_f64_e32 v[178:179], v[160:161], v[132:133]
	v_add_f64_e32 v[136:137], v[172:173], v[170:171]
	v_add_f64_e32 v[170:171], v[186:187], v[192:193]
	v_mul_f64_e32 v[172:173], v[158:159], v[132:133]
	v_fmac_f64_e32 v[188:189], v[6:7], v[162:163]
	v_fma_f64 v[162:163], v[4:5], v[162:163], -v[164:165]
	v_add_f64_e32 v[136:137], v[136:137], v[134:135]
	v_add_f64_e32 v[164:165], v[170:171], v[190:191]
	ds_load_b128 v[4:7], v2 offset:1728
	ds_load_b128 v[132:135], v2 offset:1744
	v_fmac_f64_e32 v[172:173], v[160:161], v[130:131]
	v_fma_f64 v[130:131], v[158:159], v[130:131], -v[178:179]
	s_wait_loadcnt_dscnt 0x701
	v_mul_f64_e32 v[170:171], v[4:5], v[148:149]
	v_mul_f64_e32 v[148:149], v[6:7], v[148:149]
	s_wait_loadcnt_dscnt 0x600
	v_mul_f64_e32 v[160:161], v[132:133], v[140:141]
	v_mul_f64_e32 v[140:141], v[134:135], v[140:141]
	v_add_f64_e32 v[136:137], v[136:137], v[162:163]
	v_add_f64_e32 v[158:159], v[164:165], v[188:189]
	v_fmac_f64_e32 v[170:171], v[6:7], v[146:147]
	v_fma_f64 v[162:163], v[4:5], v[146:147], -v[148:149]
	ds_load_b128 v[4:7], v2 offset:1760
	ds_load_b128 v[146:149], v2 offset:1776
	v_fmac_f64_e32 v[160:161], v[134:135], v[138:139]
	v_fma_f64 v[132:133], v[132:133], v[138:139], -v[140:141]
	v_add_f64_e32 v[130:131], v[136:137], v[130:131]
	v_add_f64_e32 v[136:137], v[158:159], v[172:173]
	s_wait_loadcnt_dscnt 0x501
	v_mul_f64_e32 v[158:159], v[4:5], v[156:157]
	v_mul_f64_e32 v[156:157], v[6:7], v[156:157]
	s_wait_loadcnt_dscnt 0x400
	v_mul_f64_e32 v[138:139], v[148:149], v[144:145]
	v_add_f64_e32 v[130:131], v[130:131], v[162:163]
	v_add_f64_e32 v[134:135], v[136:137], v[170:171]
	v_mul_f64_e32 v[136:137], v[146:147], v[144:145]
	v_fmac_f64_e32 v[158:159], v[6:7], v[154:155]
	v_fma_f64 v[140:141], v[4:5], v[154:155], -v[156:157]
	v_fma_f64 v[138:139], v[146:147], v[142:143], -v[138:139]
	v_add_f64_e32 v[144:145], v[130:131], v[132:133]
	v_add_f64_e32 v[134:135], v[134:135], v[160:161]
	ds_load_b128 v[4:7], v2 offset:1792
	ds_load_b128 v[130:133], v2 offset:1808
	v_fmac_f64_e32 v[136:137], v[148:149], v[142:143]
	s_wait_loadcnt_dscnt 0x301
	v_mul_f64_e32 v[154:155], v[4:5], v[168:169]
	v_mul_f64_e32 v[156:157], v[6:7], v[168:169]
	s_wait_loadcnt_dscnt 0x200
	v_mul_f64_e32 v[142:143], v[130:131], v[152:153]
	v_add_f64_e32 v[140:141], v[144:145], v[140:141]
	v_add_f64_e32 v[134:135], v[134:135], v[158:159]
	v_mul_f64_e32 v[144:145], v[132:133], v[152:153]
	v_fmac_f64_e32 v[154:155], v[6:7], v[166:167]
	v_fma_f64 v[146:147], v[4:5], v[166:167], -v[156:157]
	v_fmac_f64_e32 v[142:143], v[132:133], v[150:151]
	v_add_f64_e32 v[138:139], v[140:141], v[138:139]
	v_add_f64_e32 v[140:141], v[134:135], v[136:137]
	ds_load_b128 v[4:7], v2 offset:1824
	ds_load_b128 v[134:137], v2 offset:1840
	v_fma_f64 v[130:131], v[130:131], v[150:151], -v[144:145]
	s_wait_loadcnt_dscnt 0x101
	v_mul_f64_e32 v[2:3], v[4:5], v[184:185]
	v_mul_f64_e32 v[148:149], v[6:7], v[184:185]
	v_add_f64_e32 v[132:133], v[138:139], v[146:147]
	v_add_f64_e32 v[138:139], v[140:141], v[154:155]
	s_wait_loadcnt_dscnt 0x0
	v_mul_f64_e32 v[140:141], v[134:135], v[12:13]
	v_mul_f64_e32 v[12:13], v[136:137], v[12:13]
	v_fmac_f64_e32 v[2:3], v[6:7], v[182:183]
	v_fma_f64 v[4:5], v[4:5], v[182:183], -v[148:149]
	v_add_f64_e32 v[6:7], v[132:133], v[130:131]
	v_add_f64_e32 v[130:131], v[138:139], v[142:143]
	v_fmac_f64_e32 v[140:141], v[136:137], v[10:11]
	v_fma_f64 v[10:11], v[134:135], v[10:11], -v[12:13]
	s_delay_alu instid0(VALU_DEP_4) | instskip(NEXT) | instid1(VALU_DEP_4)
	v_add_f64_e32 v[4:5], v[6:7], v[4:5]
	v_add_f64_e32 v[2:3], v[130:131], v[2:3]
	s_delay_alu instid0(VALU_DEP_2) | instskip(NEXT) | instid1(VALU_DEP_2)
	v_add_f64_e32 v[4:5], v[4:5], v[10:11]
	v_add_f64_e32 v[6:7], v[2:3], v[140:141]
	s_delay_alu instid0(VALU_DEP_2) | instskip(NEXT) | instid1(VALU_DEP_2)
	v_add_f64_e64 v[2:3], v[174:175], -v[4:5]
	v_add_f64_e64 v[4:5], v[176:177], -v[6:7]
	scratch_store_b128 off, v[2:5], off offset:496
	s_wait_xcnt 0x0
	v_cmpx_lt_u32_e32 30, v1
	s_cbranch_execz .LBB121_301
; %bb.300:
	scratch_load_b128 v[2:5], off, s44
	v_mov_b32_e32 v10, 0
	s_delay_alu instid0(VALU_DEP_1)
	v_dual_mov_b32 v11, v10 :: v_dual_mov_b32 v12, v10
	v_mov_b32_e32 v13, v10
	scratch_store_b128 off, v[10:13], off offset:480
	s_wait_loadcnt 0x0
	ds_store_b128 v8, v[2:5]
.LBB121_301:
	s_wait_xcnt 0x0
	s_or_b32 exec_lo, exec_lo, s2
	s_wait_storecnt_dscnt 0x0
	s_barrier_signal -1
	s_barrier_wait -1
	s_clause 0x9
	scratch_load_b128 v[4:7], off, off offset:496
	scratch_load_b128 v[10:13], off, off offset:512
	;; [unrolled: 1-line block ×10, first 2 shown]
	v_mov_b32_e32 v2, 0
	s_mov_b32 s2, exec_lo
	ds_load_b128 v[162:165], v2 offset:1424
	s_clause 0x2
	scratch_load_b128 v[166:169], off, off offset:656
	scratch_load_b128 v[170:173], off, off offset:480
	;; [unrolled: 1-line block ×3, first 2 shown]
	s_wait_loadcnt_dscnt 0xc00
	v_mul_f64_e32 v[182:183], v[164:165], v[6:7]
	v_mul_f64_e32 v[186:187], v[162:163], v[6:7]
	ds_load_b128 v[174:177], v2 offset:1440
	v_fma_f64 v[190:191], v[162:163], v[4:5], -v[182:183]
	v_fmac_f64_e32 v[186:187], v[164:165], v[4:5]
	ds_load_b128 v[4:7], v2 offset:1456
	s_wait_loadcnt_dscnt 0xb01
	v_mul_f64_e32 v[188:189], v[174:175], v[12:13]
	v_mul_f64_e32 v[12:13], v[176:177], v[12:13]
	scratch_load_b128 v[162:165], off, off offset:688
	ds_load_b128 v[182:185], v2 offset:1472
	s_wait_loadcnt_dscnt 0xb01
	v_mul_f64_e32 v[192:193], v[4:5], v[132:133]
	v_mul_f64_e32 v[132:133], v[6:7], v[132:133]
	v_add_f64_e32 v[186:187], 0, v[186:187]
	v_fmac_f64_e32 v[188:189], v[176:177], v[10:11]
	v_fma_f64 v[174:175], v[174:175], v[10:11], -v[12:13]
	v_add_f64_e32 v[176:177], 0, v[190:191]
	scratch_load_b128 v[10:13], off, off offset:704
	v_fmac_f64_e32 v[192:193], v[6:7], v[130:131]
	v_fma_f64 v[194:195], v[4:5], v[130:131], -v[132:133]
	ds_load_b128 v[4:7], v2 offset:1488
	s_wait_loadcnt_dscnt 0xb01
	v_mul_f64_e32 v[190:191], v[182:183], v[136:137]
	v_mul_f64_e32 v[136:137], v[184:185], v[136:137]
	scratch_load_b128 v[130:133], off, off offset:720
	v_add_f64_e32 v[186:187], v[186:187], v[188:189]
	v_add_f64_e32 v[196:197], v[176:177], v[174:175]
	ds_load_b128 v[174:177], v2 offset:1504
	s_wait_loadcnt_dscnt 0xb01
	v_mul_f64_e32 v[188:189], v[4:5], v[140:141]
	v_mul_f64_e32 v[140:141], v[6:7], v[140:141]
	v_fmac_f64_e32 v[190:191], v[184:185], v[134:135]
	v_fma_f64 v[182:183], v[182:183], v[134:135], -v[136:137]
	scratch_load_b128 v[134:137], off, off offset:736
	v_add_f64_e32 v[186:187], v[186:187], v[192:193]
	v_add_f64_e32 v[184:185], v[196:197], v[194:195]
	v_fmac_f64_e32 v[188:189], v[6:7], v[138:139]
	v_fma_f64 v[194:195], v[4:5], v[138:139], -v[140:141]
	ds_load_b128 v[4:7], v2 offset:1520
	s_wait_loadcnt_dscnt 0xb01
	v_mul_f64_e32 v[192:193], v[174:175], v[144:145]
	v_mul_f64_e32 v[144:145], v[176:177], v[144:145]
	scratch_load_b128 v[138:141], off, off offset:752
	v_add_f64_e32 v[186:187], v[186:187], v[190:191]
	s_wait_loadcnt_dscnt 0xb00
	v_mul_f64_e32 v[190:191], v[4:5], v[148:149]
	v_add_f64_e32 v[196:197], v[184:185], v[182:183]
	v_mul_f64_e32 v[148:149], v[6:7], v[148:149]
	ds_load_b128 v[182:185], v2 offset:1536
	v_fmac_f64_e32 v[192:193], v[176:177], v[142:143]
	v_fma_f64 v[174:175], v[174:175], v[142:143], -v[144:145]
	scratch_load_b128 v[142:145], off, off offset:768
	v_add_f64_e32 v[186:187], v[186:187], v[188:189]
	v_fmac_f64_e32 v[190:191], v[6:7], v[146:147]
	v_add_f64_e32 v[176:177], v[196:197], v[194:195]
	v_fma_f64 v[194:195], v[4:5], v[146:147], -v[148:149]
	ds_load_b128 v[4:7], v2 offset:1552
	s_wait_loadcnt_dscnt 0xb01
	v_mul_f64_e32 v[188:189], v[182:183], v[152:153]
	v_mul_f64_e32 v[152:153], v[184:185], v[152:153]
	scratch_load_b128 v[146:149], off, off offset:784
	v_add_f64_e32 v[186:187], v[186:187], v[192:193]
	s_wait_loadcnt_dscnt 0xb00
	v_mul_f64_e32 v[192:193], v[4:5], v[156:157]
	v_add_f64_e32 v[196:197], v[176:177], v[174:175]
	v_mul_f64_e32 v[156:157], v[6:7], v[156:157]
	ds_load_b128 v[174:177], v2 offset:1568
	v_fmac_f64_e32 v[188:189], v[184:185], v[150:151]
	v_fma_f64 v[182:183], v[182:183], v[150:151], -v[152:153]
	scratch_load_b128 v[150:153], off, off offset:800
	v_add_f64_e32 v[186:187], v[186:187], v[190:191]
	v_fmac_f64_e32 v[192:193], v[6:7], v[154:155]
	v_add_f64_e32 v[184:185], v[196:197], v[194:195]
	;; [unrolled: 18-line block ×3, first 2 shown]
	v_fma_f64 v[194:195], v[4:5], v[166:167], -v[168:169]
	ds_load_b128 v[4:7], v2 offset:1616
	s_wait_loadcnt_dscnt 0xa01
	v_mul_f64_e32 v[192:193], v[182:183], v[180:181]
	v_mul_f64_e32 v[180:181], v[184:185], v[180:181]
	scratch_load_b128 v[166:169], off, off offset:848
	v_add_f64_e32 v[186:187], v[186:187], v[190:191]
	v_add_f64_e32 v[196:197], v[176:177], v[174:175]
	s_wait_loadcnt_dscnt 0xa00
	v_mul_f64_e32 v[190:191], v[4:5], v[164:165]
	v_mul_f64_e32 v[164:165], v[6:7], v[164:165]
	v_fmac_f64_e32 v[192:193], v[184:185], v[178:179]
	v_fma_f64 v[182:183], v[182:183], v[178:179], -v[180:181]
	ds_load_b128 v[174:177], v2 offset:1632
	scratch_load_b128 v[178:181], off, off offset:864
	v_add_f64_e32 v[186:187], v[186:187], v[188:189]
	v_add_f64_e32 v[184:185], v[196:197], v[194:195]
	v_fmac_f64_e32 v[190:191], v[6:7], v[162:163]
	v_fma_f64 v[194:195], v[4:5], v[162:163], -v[164:165]
	ds_load_b128 v[4:7], v2 offset:1648
	s_wait_loadcnt_dscnt 0xa01
	v_mul_f64_e32 v[188:189], v[174:175], v[12:13]
	v_mul_f64_e32 v[12:13], v[176:177], v[12:13]
	scratch_load_b128 v[162:165], off, off offset:880
	v_add_f64_e32 v[186:187], v[186:187], v[192:193]
	s_wait_loadcnt_dscnt 0xa00
	v_mul_f64_e32 v[192:193], v[4:5], v[132:133]
	v_add_f64_e32 v[196:197], v[184:185], v[182:183]
	v_mul_f64_e32 v[132:133], v[6:7], v[132:133]
	ds_load_b128 v[182:185], v2 offset:1664
	v_fmac_f64_e32 v[188:189], v[176:177], v[10:11]
	v_fma_f64 v[174:175], v[174:175], v[10:11], -v[12:13]
	scratch_load_b128 v[10:13], off, off offset:896
	v_add_f64_e32 v[186:187], v[186:187], v[190:191]
	v_fmac_f64_e32 v[192:193], v[6:7], v[130:131]
	v_add_f64_e32 v[176:177], v[196:197], v[194:195]
	v_fma_f64 v[194:195], v[4:5], v[130:131], -v[132:133]
	ds_load_b128 v[4:7], v2 offset:1680
	s_wait_loadcnt_dscnt 0xa01
	v_mul_f64_e32 v[190:191], v[182:183], v[136:137]
	v_mul_f64_e32 v[136:137], v[184:185], v[136:137]
	scratch_load_b128 v[130:133], off, off offset:912
	v_add_f64_e32 v[186:187], v[186:187], v[188:189]
	s_wait_loadcnt_dscnt 0xa00
	v_mul_f64_e32 v[188:189], v[4:5], v[140:141]
	v_add_f64_e32 v[196:197], v[176:177], v[174:175]
	v_mul_f64_e32 v[140:141], v[6:7], v[140:141]
	ds_load_b128 v[174:177], v2 offset:1696
	v_fmac_f64_e32 v[190:191], v[184:185], v[134:135]
	v_fma_f64 v[134:135], v[182:183], v[134:135], -v[136:137]
	s_wait_loadcnt_dscnt 0x900
	v_mul_f64_e32 v[184:185], v[174:175], v[144:145]
	v_mul_f64_e32 v[144:145], v[176:177], v[144:145]
	v_add_f64_e32 v[182:183], v[186:187], v[192:193]
	v_fmac_f64_e32 v[188:189], v[6:7], v[138:139]
	v_add_f64_e32 v[136:137], v[196:197], v[194:195]
	v_fma_f64 v[138:139], v[4:5], v[138:139], -v[140:141]
	v_fmac_f64_e32 v[184:185], v[176:177], v[142:143]
	v_fma_f64 v[142:143], v[174:175], v[142:143], -v[144:145]
	v_add_f64_e32 v[182:183], v[182:183], v[190:191]
	v_add_f64_e32 v[140:141], v[136:137], v[134:135]
	ds_load_b128 v[4:7], v2 offset:1712
	ds_load_b128 v[134:137], v2 offset:1728
	s_wait_loadcnt_dscnt 0x801
	v_mul_f64_e32 v[186:187], v[4:5], v[148:149]
	v_mul_f64_e32 v[148:149], v[6:7], v[148:149]
	s_wait_loadcnt_dscnt 0x700
	v_mul_f64_e32 v[144:145], v[134:135], v[152:153]
	v_mul_f64_e32 v[152:153], v[136:137], v[152:153]
	v_add_f64_e32 v[138:139], v[140:141], v[138:139]
	v_add_f64_e32 v[140:141], v[182:183], v[188:189]
	v_fmac_f64_e32 v[186:187], v[6:7], v[146:147]
	v_fma_f64 v[146:147], v[4:5], v[146:147], -v[148:149]
	v_fmac_f64_e32 v[144:145], v[136:137], v[150:151]
	v_fma_f64 v[134:135], v[134:135], v[150:151], -v[152:153]
	v_add_f64_e32 v[142:143], v[138:139], v[142:143]
	v_add_f64_e32 v[148:149], v[140:141], v[184:185]
	ds_load_b128 v[4:7], v2 offset:1744
	ds_load_b128 v[138:141], v2 offset:1760
	s_wait_loadcnt_dscnt 0x601
	v_mul_f64_e32 v[174:175], v[4:5], v[156:157]
	v_mul_f64_e32 v[156:157], v[6:7], v[156:157]
	v_add_f64_e32 v[136:137], v[142:143], v[146:147]
	v_add_f64_e32 v[142:143], v[148:149], v[186:187]
	s_wait_loadcnt_dscnt 0x500
	v_mul_f64_e32 v[146:147], v[138:139], v[160:161]
	v_mul_f64_e32 v[148:149], v[140:141], v[160:161]
	v_fmac_f64_e32 v[174:175], v[6:7], v[154:155]
	v_fma_f64 v[150:151], v[4:5], v[154:155], -v[156:157]
	v_add_f64_e32 v[152:153], v[136:137], v[134:135]
	v_add_f64_e32 v[142:143], v[142:143], v[144:145]
	ds_load_b128 v[4:7], v2 offset:1776
	ds_load_b128 v[134:137], v2 offset:1792
	v_fmac_f64_e32 v[146:147], v[140:141], v[158:159]
	v_fma_f64 v[138:139], v[138:139], v[158:159], -v[148:149]
	s_wait_loadcnt_dscnt 0x401
	v_mul_f64_e32 v[144:145], v[4:5], v[168:169]
	v_mul_f64_e32 v[154:155], v[6:7], v[168:169]
	s_wait_loadcnt_dscnt 0x300
	v_mul_f64_e32 v[148:149], v[134:135], v[180:181]
	v_add_f64_e32 v[140:141], v[152:153], v[150:151]
	v_add_f64_e32 v[142:143], v[142:143], v[174:175]
	v_mul_f64_e32 v[150:151], v[136:137], v[180:181]
	v_fmac_f64_e32 v[144:145], v[6:7], v[166:167]
	v_fma_f64 v[152:153], v[4:5], v[166:167], -v[154:155]
	v_fmac_f64_e32 v[148:149], v[136:137], v[178:179]
	v_add_f64_e32 v[154:155], v[140:141], v[138:139]
	v_add_f64_e32 v[142:143], v[142:143], v[146:147]
	ds_load_b128 v[4:7], v2 offset:1808
	ds_load_b128 v[138:141], v2 offset:1824
	v_fma_f64 v[134:135], v[134:135], v[178:179], -v[150:151]
	s_wait_loadcnt_dscnt 0x201
	v_mul_f64_e32 v[146:147], v[4:5], v[164:165]
	v_mul_f64_e32 v[156:157], v[6:7], v[164:165]
	v_add_f64_e32 v[136:137], v[154:155], v[152:153]
	v_add_f64_e32 v[142:143], v[142:143], v[144:145]
	s_wait_loadcnt_dscnt 0x100
	v_mul_f64_e32 v[144:145], v[138:139], v[12:13]
	v_mul_f64_e32 v[12:13], v[140:141], v[12:13]
	v_fmac_f64_e32 v[146:147], v[6:7], v[162:163]
	v_fma_f64 v[150:151], v[4:5], v[162:163], -v[156:157]
	ds_load_b128 v[4:7], v2 offset:1840
	v_add_f64_e32 v[134:135], v[136:137], v[134:135]
	v_add_f64_e32 v[136:137], v[142:143], v[148:149]
	v_fmac_f64_e32 v[144:145], v[140:141], v[10:11]
	v_fma_f64 v[10:11], v[138:139], v[10:11], -v[12:13]
	s_wait_loadcnt_dscnt 0x0
	v_mul_f64_e32 v[142:143], v[4:5], v[132:133]
	v_mul_f64_e32 v[132:133], v[6:7], v[132:133]
	v_add_f64_e32 v[12:13], v[134:135], v[150:151]
	v_add_f64_e32 v[134:135], v[136:137], v[146:147]
	s_delay_alu instid0(VALU_DEP_4) | instskip(NEXT) | instid1(VALU_DEP_4)
	v_fmac_f64_e32 v[142:143], v[6:7], v[130:131]
	v_fma_f64 v[4:5], v[4:5], v[130:131], -v[132:133]
	s_delay_alu instid0(VALU_DEP_4) | instskip(NEXT) | instid1(VALU_DEP_4)
	v_add_f64_e32 v[6:7], v[12:13], v[10:11]
	v_add_f64_e32 v[10:11], v[134:135], v[144:145]
	s_delay_alu instid0(VALU_DEP_2) | instskip(NEXT) | instid1(VALU_DEP_2)
	v_add_f64_e32 v[4:5], v[6:7], v[4:5]
	v_add_f64_e32 v[6:7], v[10:11], v[142:143]
	s_delay_alu instid0(VALU_DEP_2) | instskip(NEXT) | instid1(VALU_DEP_2)
	v_add_f64_e64 v[4:5], v[170:171], -v[4:5]
	v_add_f64_e64 v[6:7], v[172:173], -v[6:7]
	scratch_store_b128 off, v[4:7], off offset:480
	s_wait_xcnt 0x0
	v_cmpx_lt_u32_e32 29, v1
	s_cbranch_execz .LBB121_303
; %bb.302:
	scratch_load_b128 v[10:13], off, s45
	v_dual_mov_b32 v3, v2 :: v_dual_mov_b32 v4, v2
	v_mov_b32_e32 v5, v2
	scratch_store_b128 off, v[2:5], off offset:464
	s_wait_loadcnt 0x0
	ds_store_b128 v8, v[10:13]
.LBB121_303:
	s_wait_xcnt 0x0
	s_or_b32 exec_lo, exec_lo, s2
	s_wait_storecnt_dscnt 0x0
	s_barrier_signal -1
	s_barrier_wait -1
	s_clause 0x9
	scratch_load_b128 v[4:7], off, off offset:480
	scratch_load_b128 v[10:13], off, off offset:496
	;; [unrolled: 1-line block ×10, first 2 shown]
	ds_load_b128 v[162:165], v2 offset:1408
	ds_load_b128 v[170:173], v2 offset:1424
	s_clause 0x2
	scratch_load_b128 v[166:169], off, off offset:640
	scratch_load_b128 v[174:177], off, off offset:464
	;; [unrolled: 1-line block ×3, first 2 shown]
	s_mov_b32 s2, exec_lo
	s_wait_loadcnt_dscnt 0xc01
	v_mul_f64_e32 v[182:183], v[164:165], v[6:7]
	v_mul_f64_e32 v[186:187], v[162:163], v[6:7]
	s_wait_loadcnt_dscnt 0xb00
	v_mul_f64_e32 v[188:189], v[170:171], v[12:13]
	v_mul_f64_e32 v[12:13], v[172:173], v[12:13]
	s_delay_alu instid0(VALU_DEP_4) | instskip(NEXT) | instid1(VALU_DEP_4)
	v_fma_f64 v[190:191], v[162:163], v[4:5], -v[182:183]
	v_fmac_f64_e32 v[186:187], v[164:165], v[4:5]
	ds_load_b128 v[4:7], v2 offset:1440
	ds_load_b128 v[162:165], v2 offset:1456
	scratch_load_b128 v[182:185], off, off offset:672
	v_fmac_f64_e32 v[188:189], v[172:173], v[10:11]
	v_fma_f64 v[170:171], v[170:171], v[10:11], -v[12:13]
	scratch_load_b128 v[10:13], off, off offset:688
	s_wait_loadcnt_dscnt 0xc01
	v_mul_f64_e32 v[192:193], v[4:5], v[132:133]
	v_mul_f64_e32 v[132:133], v[6:7], v[132:133]
	v_add_f64_e32 v[172:173], 0, v[190:191]
	v_add_f64_e32 v[186:187], 0, v[186:187]
	s_wait_loadcnt_dscnt 0xb00
	v_mul_f64_e32 v[190:191], v[162:163], v[136:137]
	v_mul_f64_e32 v[136:137], v[164:165], v[136:137]
	v_fmac_f64_e32 v[192:193], v[6:7], v[130:131]
	v_fma_f64 v[194:195], v[4:5], v[130:131], -v[132:133]
	ds_load_b128 v[4:7], v2 offset:1472
	ds_load_b128 v[130:133], v2 offset:1488
	v_add_f64_e32 v[196:197], v[172:173], v[170:171]
	v_add_f64_e32 v[186:187], v[186:187], v[188:189]
	scratch_load_b128 v[170:173], off, off offset:704
	v_fmac_f64_e32 v[190:191], v[164:165], v[134:135]
	v_fma_f64 v[162:163], v[162:163], v[134:135], -v[136:137]
	scratch_load_b128 v[134:137], off, off offset:720
	s_wait_loadcnt_dscnt 0xc01
	v_mul_f64_e32 v[188:189], v[4:5], v[140:141]
	v_mul_f64_e32 v[140:141], v[6:7], v[140:141]
	v_add_f64_e32 v[164:165], v[196:197], v[194:195]
	v_add_f64_e32 v[186:187], v[186:187], v[192:193]
	s_wait_loadcnt_dscnt 0xb00
	v_mul_f64_e32 v[192:193], v[130:131], v[144:145]
	v_mul_f64_e32 v[144:145], v[132:133], v[144:145]
	v_fmac_f64_e32 v[188:189], v[6:7], v[138:139]
	v_fma_f64 v[194:195], v[4:5], v[138:139], -v[140:141]
	ds_load_b128 v[4:7], v2 offset:1504
	ds_load_b128 v[138:141], v2 offset:1520
	v_add_f64_e32 v[196:197], v[164:165], v[162:163]
	v_add_f64_e32 v[186:187], v[186:187], v[190:191]
	scratch_load_b128 v[162:165], off, off offset:736
	s_wait_loadcnt_dscnt 0xb01
	v_mul_f64_e32 v[190:191], v[4:5], v[148:149]
	v_mul_f64_e32 v[148:149], v[6:7], v[148:149]
	v_fmac_f64_e32 v[192:193], v[132:133], v[142:143]
	v_fma_f64 v[142:143], v[130:131], v[142:143], -v[144:145]
	scratch_load_b128 v[130:133], off, off offset:752
	v_add_f64_e32 v[144:145], v[196:197], v[194:195]
	v_add_f64_e32 v[186:187], v[186:187], v[188:189]
	s_wait_loadcnt_dscnt 0xb00
	v_mul_f64_e32 v[188:189], v[138:139], v[152:153]
	v_mul_f64_e32 v[152:153], v[140:141], v[152:153]
	v_fmac_f64_e32 v[190:191], v[6:7], v[146:147]
	v_fma_f64 v[194:195], v[4:5], v[146:147], -v[148:149]
	v_add_f64_e32 v[196:197], v[144:145], v[142:143]
	v_add_f64_e32 v[186:187], v[186:187], v[192:193]
	ds_load_b128 v[4:7], v2 offset:1536
	ds_load_b128 v[142:145], v2 offset:1552
	scratch_load_b128 v[146:149], off, off offset:768
	v_fmac_f64_e32 v[188:189], v[140:141], v[150:151]
	v_fma_f64 v[150:151], v[138:139], v[150:151], -v[152:153]
	scratch_load_b128 v[138:141], off, off offset:784
	s_wait_loadcnt_dscnt 0xc01
	v_mul_f64_e32 v[192:193], v[4:5], v[156:157]
	v_mul_f64_e32 v[156:157], v[6:7], v[156:157]
	v_add_f64_e32 v[152:153], v[196:197], v[194:195]
	v_add_f64_e32 v[186:187], v[186:187], v[190:191]
	s_wait_loadcnt_dscnt 0xb00
	v_mul_f64_e32 v[190:191], v[142:143], v[160:161]
	v_mul_f64_e32 v[160:161], v[144:145], v[160:161]
	v_fmac_f64_e32 v[192:193], v[6:7], v[154:155]
	v_fma_f64 v[194:195], v[4:5], v[154:155], -v[156:157]
	v_add_f64_e32 v[196:197], v[152:153], v[150:151]
	v_add_f64_e32 v[186:187], v[186:187], v[188:189]
	ds_load_b128 v[4:7], v2 offset:1568
	ds_load_b128 v[150:153], v2 offset:1584
	scratch_load_b128 v[154:157], off, off offset:800
	v_fmac_f64_e32 v[190:191], v[144:145], v[158:159]
	v_fma_f64 v[158:159], v[142:143], v[158:159], -v[160:161]
	scratch_load_b128 v[142:145], off, off offset:816
	s_wait_loadcnt_dscnt 0xc01
	v_mul_f64_e32 v[188:189], v[4:5], v[168:169]
	v_mul_f64_e32 v[168:169], v[6:7], v[168:169]
	;; [unrolled: 18-line block ×5, first 2 shown]
	v_add_f64_e32 v[180:181], v[196:197], v[194:195]
	v_add_f64_e32 v[186:187], v[186:187], v[192:193]
	s_wait_loadcnt_dscnt 0xa00
	v_mul_f64_e32 v[192:193], v[158:159], v[132:133]
	v_mul_f64_e32 v[132:133], v[160:161], v[132:133]
	v_fmac_f64_e32 v[188:189], v[6:7], v[162:163]
	v_fma_f64 v[194:195], v[4:5], v[162:163], -v[164:165]
	ds_load_b128 v[4:7], v2 offset:1696
	ds_load_b128 v[162:165], v2 offset:1712
	v_add_f64_e32 v[178:179], v[180:181], v[178:179]
	v_add_f64_e32 v[180:181], v[186:187], v[190:191]
	v_fmac_f64_e32 v[192:193], v[160:161], v[130:131]
	v_fma_f64 v[130:131], v[158:159], v[130:131], -v[132:133]
	s_wait_loadcnt_dscnt 0x901
	v_mul_f64_e32 v[186:187], v[4:5], v[148:149]
	v_mul_f64_e32 v[148:149], v[6:7], v[148:149]
	s_wait_loadcnt_dscnt 0x800
	v_mul_f64_e32 v[160:161], v[162:163], v[140:141]
	v_mul_f64_e32 v[140:141], v[164:165], v[140:141]
	v_add_f64_e32 v[132:133], v[178:179], v[194:195]
	v_add_f64_e32 v[158:159], v[180:181], v[188:189]
	v_fmac_f64_e32 v[186:187], v[6:7], v[146:147]
	v_fma_f64 v[146:147], v[4:5], v[146:147], -v[148:149]
	v_fmac_f64_e32 v[160:161], v[164:165], v[138:139]
	v_fma_f64 v[138:139], v[162:163], v[138:139], -v[140:141]
	v_add_f64_e32 v[148:149], v[132:133], v[130:131]
	v_add_f64_e32 v[158:159], v[158:159], v[192:193]
	ds_load_b128 v[4:7], v2 offset:1728
	ds_load_b128 v[130:133], v2 offset:1744
	s_wait_loadcnt_dscnt 0x701
	v_mul_f64_e32 v[178:179], v[4:5], v[156:157]
	v_mul_f64_e32 v[156:157], v[6:7], v[156:157]
	v_add_f64_e32 v[140:141], v[148:149], v[146:147]
	v_add_f64_e32 v[146:147], v[158:159], v[186:187]
	s_wait_loadcnt_dscnt 0x600
	v_mul_f64_e32 v[148:149], v[130:131], v[144:145]
	v_mul_f64_e32 v[144:145], v[132:133], v[144:145]
	v_fmac_f64_e32 v[178:179], v[6:7], v[154:155]
	v_fma_f64 v[154:155], v[4:5], v[154:155], -v[156:157]
	v_add_f64_e32 v[156:157], v[140:141], v[138:139]
	v_add_f64_e32 v[146:147], v[146:147], v[160:161]
	ds_load_b128 v[4:7], v2 offset:1760
	ds_load_b128 v[138:141], v2 offset:1776
	v_fmac_f64_e32 v[148:149], v[132:133], v[142:143]
	v_fma_f64 v[130:131], v[130:131], v[142:143], -v[144:145]
	s_wait_loadcnt_dscnt 0x501
	v_mul_f64_e32 v[158:159], v[4:5], v[168:169]
	v_mul_f64_e32 v[160:161], v[6:7], v[168:169]
	s_wait_loadcnt_dscnt 0x400
	v_mul_f64_e32 v[144:145], v[138:139], v[152:153]
	v_add_f64_e32 v[132:133], v[156:157], v[154:155]
	v_add_f64_e32 v[142:143], v[146:147], v[178:179]
	v_mul_f64_e32 v[146:147], v[140:141], v[152:153]
	v_fmac_f64_e32 v[158:159], v[6:7], v[166:167]
	v_fma_f64 v[152:153], v[4:5], v[166:167], -v[160:161]
	v_fmac_f64_e32 v[144:145], v[140:141], v[150:151]
	v_add_f64_e32 v[154:155], v[132:133], v[130:131]
	v_add_f64_e32 v[142:143], v[142:143], v[148:149]
	ds_load_b128 v[4:7], v2 offset:1792
	ds_load_b128 v[130:133], v2 offset:1808
	v_fma_f64 v[138:139], v[138:139], v[150:151], -v[146:147]
	s_wait_loadcnt_dscnt 0x301
	v_mul_f64_e32 v[148:149], v[4:5], v[184:185]
	v_mul_f64_e32 v[156:157], v[6:7], v[184:185]
	s_wait_loadcnt_dscnt 0x200
	v_mul_f64_e32 v[146:147], v[130:131], v[12:13]
	v_mul_f64_e32 v[12:13], v[132:133], v[12:13]
	v_add_f64_e32 v[140:141], v[154:155], v[152:153]
	v_add_f64_e32 v[142:143], v[142:143], v[158:159]
	v_fmac_f64_e32 v[148:149], v[6:7], v[182:183]
	v_fma_f64 v[150:151], v[4:5], v[182:183], -v[156:157]
	v_fmac_f64_e32 v[146:147], v[132:133], v[10:11]
	v_fma_f64 v[10:11], v[130:131], v[10:11], -v[12:13]
	v_add_f64_e32 v[152:153], v[140:141], v[138:139]
	v_add_f64_e32 v[142:143], v[142:143], v[144:145]
	ds_load_b128 v[4:7], v2 offset:1824
	ds_load_b128 v[138:141], v2 offset:1840
	s_wait_loadcnt_dscnt 0x101
	v_mul_f64_e32 v[2:3], v[4:5], v[172:173]
	v_mul_f64_e32 v[144:145], v[6:7], v[172:173]
	s_wait_loadcnt_dscnt 0x0
	v_mul_f64_e32 v[132:133], v[138:139], v[136:137]
	v_mul_f64_e32 v[136:137], v[140:141], v[136:137]
	v_add_f64_e32 v[12:13], v[152:153], v[150:151]
	v_add_f64_e32 v[130:131], v[142:143], v[148:149]
	v_fmac_f64_e32 v[2:3], v[6:7], v[170:171]
	v_fma_f64 v[4:5], v[4:5], v[170:171], -v[144:145]
	v_fmac_f64_e32 v[132:133], v[140:141], v[134:135]
	v_add_f64_e32 v[6:7], v[12:13], v[10:11]
	v_add_f64_e32 v[10:11], v[130:131], v[146:147]
	v_fma_f64 v[12:13], v[138:139], v[134:135], -v[136:137]
	s_delay_alu instid0(VALU_DEP_3) | instskip(NEXT) | instid1(VALU_DEP_3)
	v_add_f64_e32 v[4:5], v[6:7], v[4:5]
	v_add_f64_e32 v[2:3], v[10:11], v[2:3]
	s_delay_alu instid0(VALU_DEP_2) | instskip(NEXT) | instid1(VALU_DEP_2)
	v_add_f64_e32 v[4:5], v[4:5], v[12:13]
	v_add_f64_e32 v[6:7], v[2:3], v[132:133]
	s_delay_alu instid0(VALU_DEP_2) | instskip(NEXT) | instid1(VALU_DEP_2)
	v_add_f64_e64 v[2:3], v[174:175], -v[4:5]
	v_add_f64_e64 v[4:5], v[176:177], -v[6:7]
	scratch_store_b128 off, v[2:5], off offset:464
	s_wait_xcnt 0x0
	v_cmpx_lt_u32_e32 28, v1
	s_cbranch_execz .LBB121_305
; %bb.304:
	scratch_load_b128 v[2:5], off, s46
	v_mov_b32_e32 v10, 0
	s_delay_alu instid0(VALU_DEP_1)
	v_dual_mov_b32 v11, v10 :: v_dual_mov_b32 v12, v10
	v_mov_b32_e32 v13, v10
	scratch_store_b128 off, v[10:13], off offset:448
	s_wait_loadcnt 0x0
	ds_store_b128 v8, v[2:5]
.LBB121_305:
	s_wait_xcnt 0x0
	s_or_b32 exec_lo, exec_lo, s2
	s_wait_storecnt_dscnt 0x0
	s_barrier_signal -1
	s_barrier_wait -1
	s_clause 0x9
	scratch_load_b128 v[4:7], off, off offset:464
	scratch_load_b128 v[10:13], off, off offset:480
	;; [unrolled: 1-line block ×10, first 2 shown]
	v_mov_b32_e32 v2, 0
	s_mov_b32 s2, exec_lo
	ds_load_b128 v[162:165], v2 offset:1392
	s_clause 0x2
	scratch_load_b128 v[166:169], off, off offset:624
	scratch_load_b128 v[170:173], off, off offset:448
	;; [unrolled: 1-line block ×3, first 2 shown]
	s_wait_loadcnt_dscnt 0xc00
	v_mul_f64_e32 v[182:183], v[164:165], v[6:7]
	v_mul_f64_e32 v[186:187], v[162:163], v[6:7]
	ds_load_b128 v[174:177], v2 offset:1408
	v_fma_f64 v[190:191], v[162:163], v[4:5], -v[182:183]
	v_fmac_f64_e32 v[186:187], v[164:165], v[4:5]
	ds_load_b128 v[4:7], v2 offset:1424
	s_wait_loadcnt_dscnt 0xb01
	v_mul_f64_e32 v[188:189], v[174:175], v[12:13]
	v_mul_f64_e32 v[12:13], v[176:177], v[12:13]
	scratch_load_b128 v[162:165], off, off offset:656
	ds_load_b128 v[182:185], v2 offset:1440
	s_wait_loadcnt_dscnt 0xb01
	v_mul_f64_e32 v[192:193], v[4:5], v[132:133]
	v_mul_f64_e32 v[132:133], v[6:7], v[132:133]
	v_add_f64_e32 v[186:187], 0, v[186:187]
	v_fmac_f64_e32 v[188:189], v[176:177], v[10:11]
	v_fma_f64 v[174:175], v[174:175], v[10:11], -v[12:13]
	v_add_f64_e32 v[176:177], 0, v[190:191]
	scratch_load_b128 v[10:13], off, off offset:672
	v_fmac_f64_e32 v[192:193], v[6:7], v[130:131]
	v_fma_f64 v[194:195], v[4:5], v[130:131], -v[132:133]
	ds_load_b128 v[4:7], v2 offset:1456
	s_wait_loadcnt_dscnt 0xb01
	v_mul_f64_e32 v[190:191], v[182:183], v[136:137]
	v_mul_f64_e32 v[136:137], v[184:185], v[136:137]
	scratch_load_b128 v[130:133], off, off offset:688
	v_add_f64_e32 v[186:187], v[186:187], v[188:189]
	v_add_f64_e32 v[196:197], v[176:177], v[174:175]
	ds_load_b128 v[174:177], v2 offset:1472
	s_wait_loadcnt_dscnt 0xb01
	v_mul_f64_e32 v[188:189], v[4:5], v[140:141]
	v_mul_f64_e32 v[140:141], v[6:7], v[140:141]
	v_fmac_f64_e32 v[190:191], v[184:185], v[134:135]
	v_fma_f64 v[182:183], v[182:183], v[134:135], -v[136:137]
	scratch_load_b128 v[134:137], off, off offset:704
	v_add_f64_e32 v[186:187], v[186:187], v[192:193]
	v_add_f64_e32 v[184:185], v[196:197], v[194:195]
	v_fmac_f64_e32 v[188:189], v[6:7], v[138:139]
	v_fma_f64 v[194:195], v[4:5], v[138:139], -v[140:141]
	ds_load_b128 v[4:7], v2 offset:1488
	s_wait_loadcnt_dscnt 0xb01
	v_mul_f64_e32 v[192:193], v[174:175], v[144:145]
	v_mul_f64_e32 v[144:145], v[176:177], v[144:145]
	scratch_load_b128 v[138:141], off, off offset:720
	v_add_f64_e32 v[186:187], v[186:187], v[190:191]
	s_wait_loadcnt_dscnt 0xb00
	v_mul_f64_e32 v[190:191], v[4:5], v[148:149]
	v_add_f64_e32 v[196:197], v[184:185], v[182:183]
	v_mul_f64_e32 v[148:149], v[6:7], v[148:149]
	ds_load_b128 v[182:185], v2 offset:1504
	v_fmac_f64_e32 v[192:193], v[176:177], v[142:143]
	v_fma_f64 v[174:175], v[174:175], v[142:143], -v[144:145]
	scratch_load_b128 v[142:145], off, off offset:736
	v_add_f64_e32 v[186:187], v[186:187], v[188:189]
	v_fmac_f64_e32 v[190:191], v[6:7], v[146:147]
	v_add_f64_e32 v[176:177], v[196:197], v[194:195]
	v_fma_f64 v[194:195], v[4:5], v[146:147], -v[148:149]
	ds_load_b128 v[4:7], v2 offset:1520
	s_wait_loadcnt_dscnt 0xb01
	v_mul_f64_e32 v[188:189], v[182:183], v[152:153]
	v_mul_f64_e32 v[152:153], v[184:185], v[152:153]
	scratch_load_b128 v[146:149], off, off offset:752
	v_add_f64_e32 v[186:187], v[186:187], v[192:193]
	s_wait_loadcnt_dscnt 0xb00
	v_mul_f64_e32 v[192:193], v[4:5], v[156:157]
	v_add_f64_e32 v[196:197], v[176:177], v[174:175]
	v_mul_f64_e32 v[156:157], v[6:7], v[156:157]
	ds_load_b128 v[174:177], v2 offset:1536
	v_fmac_f64_e32 v[188:189], v[184:185], v[150:151]
	v_fma_f64 v[182:183], v[182:183], v[150:151], -v[152:153]
	scratch_load_b128 v[150:153], off, off offset:768
	v_add_f64_e32 v[186:187], v[186:187], v[190:191]
	v_fmac_f64_e32 v[192:193], v[6:7], v[154:155]
	v_add_f64_e32 v[184:185], v[196:197], v[194:195]
	;; [unrolled: 18-line block ×3, first 2 shown]
	v_fma_f64 v[194:195], v[4:5], v[166:167], -v[168:169]
	ds_load_b128 v[4:7], v2 offset:1584
	s_wait_loadcnt_dscnt 0xa01
	v_mul_f64_e32 v[192:193], v[182:183], v[180:181]
	v_mul_f64_e32 v[180:181], v[184:185], v[180:181]
	scratch_load_b128 v[166:169], off, off offset:816
	v_add_f64_e32 v[186:187], v[186:187], v[190:191]
	v_add_f64_e32 v[196:197], v[176:177], v[174:175]
	s_wait_loadcnt_dscnt 0xa00
	v_mul_f64_e32 v[190:191], v[4:5], v[164:165]
	v_mul_f64_e32 v[164:165], v[6:7], v[164:165]
	v_fmac_f64_e32 v[192:193], v[184:185], v[178:179]
	v_fma_f64 v[182:183], v[182:183], v[178:179], -v[180:181]
	ds_load_b128 v[174:177], v2 offset:1600
	scratch_load_b128 v[178:181], off, off offset:832
	v_add_f64_e32 v[186:187], v[186:187], v[188:189]
	v_add_f64_e32 v[184:185], v[196:197], v[194:195]
	v_fmac_f64_e32 v[190:191], v[6:7], v[162:163]
	v_fma_f64 v[194:195], v[4:5], v[162:163], -v[164:165]
	ds_load_b128 v[4:7], v2 offset:1616
	s_wait_loadcnt_dscnt 0xa01
	v_mul_f64_e32 v[188:189], v[174:175], v[12:13]
	v_mul_f64_e32 v[12:13], v[176:177], v[12:13]
	scratch_load_b128 v[162:165], off, off offset:848
	v_add_f64_e32 v[186:187], v[186:187], v[192:193]
	s_wait_loadcnt_dscnt 0xa00
	v_mul_f64_e32 v[192:193], v[4:5], v[132:133]
	v_add_f64_e32 v[196:197], v[184:185], v[182:183]
	v_mul_f64_e32 v[132:133], v[6:7], v[132:133]
	ds_load_b128 v[182:185], v2 offset:1632
	v_fmac_f64_e32 v[188:189], v[176:177], v[10:11]
	v_fma_f64 v[174:175], v[174:175], v[10:11], -v[12:13]
	scratch_load_b128 v[10:13], off, off offset:864
	v_add_f64_e32 v[186:187], v[186:187], v[190:191]
	v_fmac_f64_e32 v[192:193], v[6:7], v[130:131]
	v_add_f64_e32 v[176:177], v[196:197], v[194:195]
	v_fma_f64 v[194:195], v[4:5], v[130:131], -v[132:133]
	ds_load_b128 v[4:7], v2 offset:1648
	s_wait_loadcnt_dscnt 0xa01
	v_mul_f64_e32 v[190:191], v[182:183], v[136:137]
	v_mul_f64_e32 v[136:137], v[184:185], v[136:137]
	scratch_load_b128 v[130:133], off, off offset:880
	v_add_f64_e32 v[186:187], v[186:187], v[188:189]
	s_wait_loadcnt_dscnt 0xa00
	v_mul_f64_e32 v[188:189], v[4:5], v[140:141]
	v_add_f64_e32 v[196:197], v[176:177], v[174:175]
	v_mul_f64_e32 v[140:141], v[6:7], v[140:141]
	ds_load_b128 v[174:177], v2 offset:1664
	v_fmac_f64_e32 v[190:191], v[184:185], v[134:135]
	v_fma_f64 v[182:183], v[182:183], v[134:135], -v[136:137]
	scratch_load_b128 v[134:137], off, off offset:896
	v_add_f64_e32 v[186:187], v[186:187], v[192:193]
	v_fmac_f64_e32 v[188:189], v[6:7], v[138:139]
	v_add_f64_e32 v[184:185], v[196:197], v[194:195]
	v_fma_f64 v[194:195], v[4:5], v[138:139], -v[140:141]
	ds_load_b128 v[4:7], v2 offset:1680
	s_wait_loadcnt_dscnt 0xa01
	v_mul_f64_e32 v[192:193], v[174:175], v[144:145]
	v_mul_f64_e32 v[144:145], v[176:177], v[144:145]
	scratch_load_b128 v[138:141], off, off offset:912
	v_add_f64_e32 v[186:187], v[186:187], v[190:191]
	s_wait_loadcnt_dscnt 0xa00
	v_mul_f64_e32 v[190:191], v[4:5], v[148:149]
	v_add_f64_e32 v[196:197], v[184:185], v[182:183]
	v_mul_f64_e32 v[148:149], v[6:7], v[148:149]
	ds_load_b128 v[182:185], v2 offset:1696
	v_fmac_f64_e32 v[192:193], v[176:177], v[142:143]
	v_fma_f64 v[142:143], v[174:175], v[142:143], -v[144:145]
	s_wait_loadcnt_dscnt 0x900
	v_mul_f64_e32 v[176:177], v[182:183], v[152:153]
	v_mul_f64_e32 v[152:153], v[184:185], v[152:153]
	v_add_f64_e32 v[174:175], v[186:187], v[188:189]
	v_fmac_f64_e32 v[190:191], v[6:7], v[146:147]
	v_add_f64_e32 v[144:145], v[196:197], v[194:195]
	v_fma_f64 v[146:147], v[4:5], v[146:147], -v[148:149]
	v_fmac_f64_e32 v[176:177], v[184:185], v[150:151]
	v_fma_f64 v[150:151], v[182:183], v[150:151], -v[152:153]
	v_add_f64_e32 v[174:175], v[174:175], v[192:193]
	v_add_f64_e32 v[148:149], v[144:145], v[142:143]
	ds_load_b128 v[4:7], v2 offset:1712
	ds_load_b128 v[142:145], v2 offset:1728
	s_wait_loadcnt_dscnt 0x801
	v_mul_f64_e32 v[186:187], v[4:5], v[156:157]
	v_mul_f64_e32 v[156:157], v[6:7], v[156:157]
	s_wait_loadcnt_dscnt 0x700
	v_mul_f64_e32 v[152:153], v[142:143], v[160:161]
	v_mul_f64_e32 v[160:161], v[144:145], v[160:161]
	v_add_f64_e32 v[146:147], v[148:149], v[146:147]
	v_add_f64_e32 v[148:149], v[174:175], v[190:191]
	v_fmac_f64_e32 v[186:187], v[6:7], v[154:155]
	v_fma_f64 v[154:155], v[4:5], v[154:155], -v[156:157]
	v_fmac_f64_e32 v[152:153], v[144:145], v[158:159]
	v_fma_f64 v[142:143], v[142:143], v[158:159], -v[160:161]
	v_add_f64_e32 v[150:151], v[146:147], v[150:151]
	v_add_f64_e32 v[156:157], v[148:149], v[176:177]
	ds_load_b128 v[4:7], v2 offset:1744
	ds_load_b128 v[146:149], v2 offset:1760
	s_wait_loadcnt_dscnt 0x601
	v_mul_f64_e32 v[174:175], v[4:5], v[168:169]
	v_mul_f64_e32 v[168:169], v[6:7], v[168:169]
	v_add_f64_e32 v[144:145], v[150:151], v[154:155]
	v_add_f64_e32 v[150:151], v[156:157], v[186:187]
	s_wait_loadcnt_dscnt 0x500
	v_mul_f64_e32 v[154:155], v[146:147], v[180:181]
	v_mul_f64_e32 v[156:157], v[148:149], v[180:181]
	v_fmac_f64_e32 v[174:175], v[6:7], v[166:167]
	v_fma_f64 v[158:159], v[4:5], v[166:167], -v[168:169]
	v_add_f64_e32 v[160:161], v[144:145], v[142:143]
	v_add_f64_e32 v[150:151], v[150:151], v[152:153]
	ds_load_b128 v[4:7], v2 offset:1776
	ds_load_b128 v[142:145], v2 offset:1792
	v_fmac_f64_e32 v[154:155], v[148:149], v[178:179]
	v_fma_f64 v[146:147], v[146:147], v[178:179], -v[156:157]
	s_wait_loadcnt_dscnt 0x401
	v_mul_f64_e32 v[152:153], v[4:5], v[164:165]
	v_mul_f64_e32 v[164:165], v[6:7], v[164:165]
	s_wait_loadcnt_dscnt 0x300
	v_mul_f64_e32 v[156:157], v[142:143], v[12:13]
	v_mul_f64_e32 v[12:13], v[144:145], v[12:13]
	v_add_f64_e32 v[148:149], v[160:161], v[158:159]
	v_add_f64_e32 v[150:151], v[150:151], v[174:175]
	v_fmac_f64_e32 v[152:153], v[6:7], v[162:163]
	v_fma_f64 v[158:159], v[4:5], v[162:163], -v[164:165]
	v_fmac_f64_e32 v[156:157], v[144:145], v[10:11]
	v_fma_f64 v[10:11], v[142:143], v[10:11], -v[12:13]
	v_add_f64_e32 v[160:161], v[148:149], v[146:147]
	v_add_f64_e32 v[150:151], v[150:151], v[154:155]
	ds_load_b128 v[4:7], v2 offset:1808
	ds_load_b128 v[146:149], v2 offset:1824
	s_wait_loadcnt_dscnt 0x201
	v_mul_f64_e32 v[154:155], v[4:5], v[132:133]
	v_mul_f64_e32 v[132:133], v[6:7], v[132:133]
	s_wait_loadcnt_dscnt 0x100
	v_mul_f64_e32 v[144:145], v[146:147], v[136:137]
	v_mul_f64_e32 v[136:137], v[148:149], v[136:137]
	v_add_f64_e32 v[12:13], v[160:161], v[158:159]
	v_add_f64_e32 v[142:143], v[150:151], v[152:153]
	v_fmac_f64_e32 v[154:155], v[6:7], v[130:131]
	v_fma_f64 v[130:131], v[4:5], v[130:131], -v[132:133]
	ds_load_b128 v[4:7], v2 offset:1840
	v_fmac_f64_e32 v[144:145], v[148:149], v[134:135]
	v_fma_f64 v[134:135], v[146:147], v[134:135], -v[136:137]
	v_add_f64_e32 v[10:11], v[12:13], v[10:11]
	v_add_f64_e32 v[12:13], v[142:143], v[156:157]
	s_wait_loadcnt_dscnt 0x0
	v_mul_f64_e32 v[132:133], v[4:5], v[140:141]
	v_mul_f64_e32 v[140:141], v[6:7], v[140:141]
	s_delay_alu instid0(VALU_DEP_4) | instskip(NEXT) | instid1(VALU_DEP_4)
	v_add_f64_e32 v[10:11], v[10:11], v[130:131]
	v_add_f64_e32 v[12:13], v[12:13], v[154:155]
	s_delay_alu instid0(VALU_DEP_4) | instskip(NEXT) | instid1(VALU_DEP_4)
	v_fmac_f64_e32 v[132:133], v[6:7], v[138:139]
	v_fma_f64 v[4:5], v[4:5], v[138:139], -v[140:141]
	s_delay_alu instid0(VALU_DEP_4) | instskip(NEXT) | instid1(VALU_DEP_4)
	v_add_f64_e32 v[6:7], v[10:11], v[134:135]
	v_add_f64_e32 v[10:11], v[12:13], v[144:145]
	s_delay_alu instid0(VALU_DEP_2) | instskip(NEXT) | instid1(VALU_DEP_2)
	v_add_f64_e32 v[4:5], v[6:7], v[4:5]
	v_add_f64_e32 v[6:7], v[10:11], v[132:133]
	s_delay_alu instid0(VALU_DEP_2) | instskip(NEXT) | instid1(VALU_DEP_2)
	v_add_f64_e64 v[4:5], v[170:171], -v[4:5]
	v_add_f64_e64 v[6:7], v[172:173], -v[6:7]
	scratch_store_b128 off, v[4:7], off offset:448
	s_wait_xcnt 0x0
	v_cmpx_lt_u32_e32 27, v1
	s_cbranch_execz .LBB121_307
; %bb.306:
	scratch_load_b128 v[10:13], off, s47
	v_dual_mov_b32 v3, v2 :: v_dual_mov_b32 v4, v2
	v_mov_b32_e32 v5, v2
	scratch_store_b128 off, v[2:5], off offset:432
	s_wait_loadcnt 0x0
	ds_store_b128 v8, v[10:13]
.LBB121_307:
	s_wait_xcnt 0x0
	s_or_b32 exec_lo, exec_lo, s2
	s_wait_storecnt_dscnt 0x0
	s_barrier_signal -1
	s_barrier_wait -1
	s_clause 0x9
	scratch_load_b128 v[4:7], off, off offset:448
	scratch_load_b128 v[10:13], off, off offset:464
	;; [unrolled: 1-line block ×10, first 2 shown]
	ds_load_b128 v[162:165], v2 offset:1376
	ds_load_b128 v[170:173], v2 offset:1392
	s_clause 0x2
	scratch_load_b128 v[166:169], off, off offset:608
	scratch_load_b128 v[174:177], off, off offset:432
	;; [unrolled: 1-line block ×3, first 2 shown]
	s_mov_b32 s2, exec_lo
	s_wait_loadcnt_dscnt 0xc01
	v_mul_f64_e32 v[182:183], v[164:165], v[6:7]
	v_mul_f64_e32 v[186:187], v[162:163], v[6:7]
	s_wait_loadcnt_dscnt 0xb00
	v_mul_f64_e32 v[188:189], v[170:171], v[12:13]
	v_mul_f64_e32 v[12:13], v[172:173], v[12:13]
	s_delay_alu instid0(VALU_DEP_4) | instskip(NEXT) | instid1(VALU_DEP_4)
	v_fma_f64 v[190:191], v[162:163], v[4:5], -v[182:183]
	v_fmac_f64_e32 v[186:187], v[164:165], v[4:5]
	ds_load_b128 v[4:7], v2 offset:1408
	ds_load_b128 v[162:165], v2 offset:1424
	scratch_load_b128 v[182:185], off, off offset:640
	v_fmac_f64_e32 v[188:189], v[172:173], v[10:11]
	v_fma_f64 v[170:171], v[170:171], v[10:11], -v[12:13]
	scratch_load_b128 v[10:13], off, off offset:656
	s_wait_loadcnt_dscnt 0xc01
	v_mul_f64_e32 v[192:193], v[4:5], v[132:133]
	v_mul_f64_e32 v[132:133], v[6:7], v[132:133]
	v_add_f64_e32 v[172:173], 0, v[190:191]
	v_add_f64_e32 v[186:187], 0, v[186:187]
	s_wait_loadcnt_dscnt 0xb00
	v_mul_f64_e32 v[190:191], v[162:163], v[136:137]
	v_mul_f64_e32 v[136:137], v[164:165], v[136:137]
	v_fmac_f64_e32 v[192:193], v[6:7], v[130:131]
	v_fma_f64 v[194:195], v[4:5], v[130:131], -v[132:133]
	ds_load_b128 v[4:7], v2 offset:1440
	ds_load_b128 v[130:133], v2 offset:1456
	v_add_f64_e32 v[196:197], v[172:173], v[170:171]
	v_add_f64_e32 v[186:187], v[186:187], v[188:189]
	scratch_load_b128 v[170:173], off, off offset:672
	v_fmac_f64_e32 v[190:191], v[164:165], v[134:135]
	v_fma_f64 v[162:163], v[162:163], v[134:135], -v[136:137]
	scratch_load_b128 v[134:137], off, off offset:688
	s_wait_loadcnt_dscnt 0xc01
	v_mul_f64_e32 v[188:189], v[4:5], v[140:141]
	v_mul_f64_e32 v[140:141], v[6:7], v[140:141]
	v_add_f64_e32 v[164:165], v[196:197], v[194:195]
	v_add_f64_e32 v[186:187], v[186:187], v[192:193]
	s_wait_loadcnt_dscnt 0xb00
	v_mul_f64_e32 v[192:193], v[130:131], v[144:145]
	v_mul_f64_e32 v[144:145], v[132:133], v[144:145]
	v_fmac_f64_e32 v[188:189], v[6:7], v[138:139]
	v_fma_f64 v[194:195], v[4:5], v[138:139], -v[140:141]
	ds_load_b128 v[4:7], v2 offset:1472
	ds_load_b128 v[138:141], v2 offset:1488
	v_add_f64_e32 v[196:197], v[164:165], v[162:163]
	v_add_f64_e32 v[186:187], v[186:187], v[190:191]
	scratch_load_b128 v[162:165], off, off offset:704
	s_wait_loadcnt_dscnt 0xb01
	v_mul_f64_e32 v[190:191], v[4:5], v[148:149]
	v_mul_f64_e32 v[148:149], v[6:7], v[148:149]
	v_fmac_f64_e32 v[192:193], v[132:133], v[142:143]
	v_fma_f64 v[142:143], v[130:131], v[142:143], -v[144:145]
	scratch_load_b128 v[130:133], off, off offset:720
	v_add_f64_e32 v[144:145], v[196:197], v[194:195]
	v_add_f64_e32 v[186:187], v[186:187], v[188:189]
	s_wait_loadcnt_dscnt 0xb00
	v_mul_f64_e32 v[188:189], v[138:139], v[152:153]
	v_mul_f64_e32 v[152:153], v[140:141], v[152:153]
	v_fmac_f64_e32 v[190:191], v[6:7], v[146:147]
	v_fma_f64 v[194:195], v[4:5], v[146:147], -v[148:149]
	v_add_f64_e32 v[196:197], v[144:145], v[142:143]
	v_add_f64_e32 v[186:187], v[186:187], v[192:193]
	ds_load_b128 v[4:7], v2 offset:1504
	ds_load_b128 v[142:145], v2 offset:1520
	scratch_load_b128 v[146:149], off, off offset:736
	v_fmac_f64_e32 v[188:189], v[140:141], v[150:151]
	v_fma_f64 v[150:151], v[138:139], v[150:151], -v[152:153]
	scratch_load_b128 v[138:141], off, off offset:752
	s_wait_loadcnt_dscnt 0xc01
	v_mul_f64_e32 v[192:193], v[4:5], v[156:157]
	v_mul_f64_e32 v[156:157], v[6:7], v[156:157]
	v_add_f64_e32 v[152:153], v[196:197], v[194:195]
	v_add_f64_e32 v[186:187], v[186:187], v[190:191]
	s_wait_loadcnt_dscnt 0xb00
	v_mul_f64_e32 v[190:191], v[142:143], v[160:161]
	v_mul_f64_e32 v[160:161], v[144:145], v[160:161]
	v_fmac_f64_e32 v[192:193], v[6:7], v[154:155]
	v_fma_f64 v[194:195], v[4:5], v[154:155], -v[156:157]
	v_add_f64_e32 v[196:197], v[152:153], v[150:151]
	v_add_f64_e32 v[186:187], v[186:187], v[188:189]
	ds_load_b128 v[4:7], v2 offset:1536
	ds_load_b128 v[150:153], v2 offset:1552
	scratch_load_b128 v[154:157], off, off offset:768
	v_fmac_f64_e32 v[190:191], v[144:145], v[158:159]
	v_fma_f64 v[158:159], v[142:143], v[158:159], -v[160:161]
	scratch_load_b128 v[142:145], off, off offset:784
	s_wait_loadcnt_dscnt 0xc01
	v_mul_f64_e32 v[188:189], v[4:5], v[168:169]
	v_mul_f64_e32 v[168:169], v[6:7], v[168:169]
	;; [unrolled: 18-line block ×5, first 2 shown]
	v_add_f64_e32 v[180:181], v[196:197], v[194:195]
	v_add_f64_e32 v[186:187], v[186:187], v[192:193]
	s_wait_loadcnt_dscnt 0xa00
	v_mul_f64_e32 v[192:193], v[158:159], v[132:133]
	v_mul_f64_e32 v[132:133], v[160:161], v[132:133]
	v_fmac_f64_e32 v[188:189], v[6:7], v[162:163]
	v_fma_f64 v[194:195], v[4:5], v[162:163], -v[164:165]
	ds_load_b128 v[4:7], v2 offset:1664
	ds_load_b128 v[162:165], v2 offset:1680
	v_add_f64_e32 v[196:197], v[180:181], v[178:179]
	v_add_f64_e32 v[186:187], v[186:187], v[190:191]
	scratch_load_b128 v[178:181], off, off offset:896
	v_fmac_f64_e32 v[192:193], v[160:161], v[130:131]
	v_fma_f64 v[158:159], v[158:159], v[130:131], -v[132:133]
	scratch_load_b128 v[130:133], off, off offset:912
	s_wait_loadcnt_dscnt 0xb01
	v_mul_f64_e32 v[190:191], v[4:5], v[148:149]
	v_mul_f64_e32 v[148:149], v[6:7], v[148:149]
	v_add_f64_e32 v[160:161], v[196:197], v[194:195]
	v_add_f64_e32 v[186:187], v[186:187], v[188:189]
	s_wait_loadcnt_dscnt 0xa00
	v_mul_f64_e32 v[188:189], v[162:163], v[140:141]
	v_mul_f64_e32 v[140:141], v[164:165], v[140:141]
	v_fmac_f64_e32 v[190:191], v[6:7], v[146:147]
	v_fma_f64 v[194:195], v[4:5], v[146:147], -v[148:149]
	ds_load_b128 v[4:7], v2 offset:1696
	ds_load_b128 v[146:149], v2 offset:1712
	v_add_f64_e32 v[158:159], v[160:161], v[158:159]
	v_add_f64_e32 v[160:161], v[186:187], v[192:193]
	v_fmac_f64_e32 v[188:189], v[164:165], v[138:139]
	s_wait_loadcnt_dscnt 0x901
	v_mul_f64_e32 v[186:187], v[4:5], v[156:157]
	v_mul_f64_e32 v[156:157], v[6:7], v[156:157]
	v_fma_f64 v[138:139], v[162:163], v[138:139], -v[140:141]
	v_add_f64_e32 v[140:141], v[158:159], v[194:195]
	v_add_f64_e32 v[158:159], v[160:161], v[190:191]
	s_wait_loadcnt_dscnt 0x800
	v_mul_f64_e32 v[160:161], v[146:147], v[144:145]
	v_mul_f64_e32 v[144:145], v[148:149], v[144:145]
	v_fmac_f64_e32 v[186:187], v[6:7], v[154:155]
	v_fma_f64 v[154:155], v[4:5], v[154:155], -v[156:157]
	v_add_f64_e32 v[156:157], v[140:141], v[138:139]
	v_add_f64_e32 v[158:159], v[158:159], v[188:189]
	ds_load_b128 v[4:7], v2 offset:1728
	ds_load_b128 v[138:141], v2 offset:1744
	v_fmac_f64_e32 v[160:161], v[148:149], v[142:143]
	v_fma_f64 v[142:143], v[146:147], v[142:143], -v[144:145]
	s_wait_loadcnt_dscnt 0x701
	v_mul_f64_e32 v[162:163], v[4:5], v[168:169]
	v_mul_f64_e32 v[164:165], v[6:7], v[168:169]
	s_wait_loadcnt_dscnt 0x600
	v_mul_f64_e32 v[148:149], v[138:139], v[152:153]
	v_mul_f64_e32 v[152:153], v[140:141], v[152:153]
	v_add_f64_e32 v[144:145], v[156:157], v[154:155]
	v_add_f64_e32 v[146:147], v[158:159], v[186:187]
	v_fmac_f64_e32 v[162:163], v[6:7], v[166:167]
	v_fma_f64 v[154:155], v[4:5], v[166:167], -v[164:165]
	v_fmac_f64_e32 v[148:149], v[140:141], v[150:151]
	v_fma_f64 v[138:139], v[138:139], v[150:151], -v[152:153]
	v_add_f64_e32 v[156:157], v[144:145], v[142:143]
	v_add_f64_e32 v[146:147], v[146:147], v[160:161]
	ds_load_b128 v[4:7], v2 offset:1760
	ds_load_b128 v[142:145], v2 offset:1776
	s_wait_loadcnt_dscnt 0x501
	v_mul_f64_e32 v[158:159], v[4:5], v[184:185]
	v_mul_f64_e32 v[160:161], v[6:7], v[184:185]
	s_wait_loadcnt_dscnt 0x400
	v_mul_f64_e32 v[150:151], v[142:143], v[12:13]
	v_mul_f64_e32 v[12:13], v[144:145], v[12:13]
	v_add_f64_e32 v[140:141], v[156:157], v[154:155]
	v_add_f64_e32 v[146:147], v[146:147], v[162:163]
	v_fmac_f64_e32 v[158:159], v[6:7], v[182:183]
	v_fma_f64 v[152:153], v[4:5], v[182:183], -v[160:161]
	v_fmac_f64_e32 v[150:151], v[144:145], v[10:11]
	v_fma_f64 v[10:11], v[142:143], v[10:11], -v[12:13]
	v_add_f64_e32 v[154:155], v[140:141], v[138:139]
	v_add_f64_e32 v[146:147], v[146:147], v[148:149]
	ds_load_b128 v[4:7], v2 offset:1792
	ds_load_b128 v[138:141], v2 offset:1808
	;; [unrolled: 16-line block ×3, first 2 shown]
	s_wait_loadcnt_dscnt 0x101
	v_mul_f64_e32 v[2:3], v[4:5], v[180:181]
	v_mul_f64_e32 v[150:151], v[6:7], v[180:181]
	s_wait_loadcnt_dscnt 0x0
	v_mul_f64_e32 v[140:141], v[10:11], v[132:133]
	v_mul_f64_e32 v[132:133], v[12:13], v[132:133]
	v_add_f64_e32 v[136:137], v[152:153], v[146:147]
	v_add_f64_e32 v[138:139], v[142:143], v[148:149]
	v_fmac_f64_e32 v[2:3], v[6:7], v[178:179]
	v_fma_f64 v[4:5], v[4:5], v[178:179], -v[150:151]
	v_fmac_f64_e32 v[140:141], v[12:13], v[130:131]
	v_fma_f64 v[10:11], v[10:11], v[130:131], -v[132:133]
	v_add_f64_e32 v[6:7], v[136:137], v[134:135]
	v_add_f64_e32 v[134:135], v[138:139], v[144:145]
	s_delay_alu instid0(VALU_DEP_2) | instskip(NEXT) | instid1(VALU_DEP_2)
	v_add_f64_e32 v[4:5], v[6:7], v[4:5]
	v_add_f64_e32 v[2:3], v[134:135], v[2:3]
	s_delay_alu instid0(VALU_DEP_2) | instskip(NEXT) | instid1(VALU_DEP_2)
	;; [unrolled: 3-line block ×3, first 2 shown]
	v_add_f64_e64 v[2:3], v[174:175], -v[4:5]
	v_add_f64_e64 v[4:5], v[176:177], -v[6:7]
	scratch_store_b128 off, v[2:5], off offset:432
	s_wait_xcnt 0x0
	v_cmpx_lt_u32_e32 26, v1
	s_cbranch_execz .LBB121_309
; %bb.308:
	scratch_load_b128 v[2:5], off, s48
	v_mov_b32_e32 v10, 0
	s_delay_alu instid0(VALU_DEP_1)
	v_dual_mov_b32 v11, v10 :: v_dual_mov_b32 v12, v10
	v_mov_b32_e32 v13, v10
	scratch_store_b128 off, v[10:13], off offset:416
	s_wait_loadcnt 0x0
	ds_store_b128 v8, v[2:5]
.LBB121_309:
	s_wait_xcnt 0x0
	s_or_b32 exec_lo, exec_lo, s2
	s_wait_storecnt_dscnt 0x0
	s_barrier_signal -1
	s_barrier_wait -1
	s_clause 0x9
	scratch_load_b128 v[4:7], off, off offset:432
	scratch_load_b128 v[10:13], off, off offset:448
	;; [unrolled: 1-line block ×10, first 2 shown]
	v_mov_b32_e32 v2, 0
	s_mov_b32 s2, exec_lo
	ds_load_b128 v[162:165], v2 offset:1360
	s_clause 0x2
	scratch_load_b128 v[166:169], off, off offset:592
	scratch_load_b128 v[170:173], off, off offset:416
	;; [unrolled: 1-line block ×3, first 2 shown]
	s_wait_loadcnt_dscnt 0xc00
	v_mul_f64_e32 v[182:183], v[164:165], v[6:7]
	v_mul_f64_e32 v[186:187], v[162:163], v[6:7]
	ds_load_b128 v[174:177], v2 offset:1376
	v_fma_f64 v[190:191], v[162:163], v[4:5], -v[182:183]
	v_fmac_f64_e32 v[186:187], v[164:165], v[4:5]
	ds_load_b128 v[4:7], v2 offset:1392
	s_wait_loadcnt_dscnt 0xb01
	v_mul_f64_e32 v[188:189], v[174:175], v[12:13]
	v_mul_f64_e32 v[12:13], v[176:177], v[12:13]
	scratch_load_b128 v[162:165], off, off offset:624
	ds_load_b128 v[182:185], v2 offset:1408
	s_wait_loadcnt_dscnt 0xb01
	v_mul_f64_e32 v[192:193], v[4:5], v[132:133]
	v_mul_f64_e32 v[132:133], v[6:7], v[132:133]
	v_add_f64_e32 v[186:187], 0, v[186:187]
	v_fmac_f64_e32 v[188:189], v[176:177], v[10:11]
	v_fma_f64 v[174:175], v[174:175], v[10:11], -v[12:13]
	v_add_f64_e32 v[176:177], 0, v[190:191]
	scratch_load_b128 v[10:13], off, off offset:640
	v_fmac_f64_e32 v[192:193], v[6:7], v[130:131]
	v_fma_f64 v[194:195], v[4:5], v[130:131], -v[132:133]
	ds_load_b128 v[4:7], v2 offset:1424
	s_wait_loadcnt_dscnt 0xb01
	v_mul_f64_e32 v[190:191], v[182:183], v[136:137]
	v_mul_f64_e32 v[136:137], v[184:185], v[136:137]
	scratch_load_b128 v[130:133], off, off offset:656
	v_add_f64_e32 v[186:187], v[186:187], v[188:189]
	v_add_f64_e32 v[196:197], v[176:177], v[174:175]
	ds_load_b128 v[174:177], v2 offset:1440
	s_wait_loadcnt_dscnt 0xb01
	v_mul_f64_e32 v[188:189], v[4:5], v[140:141]
	v_mul_f64_e32 v[140:141], v[6:7], v[140:141]
	v_fmac_f64_e32 v[190:191], v[184:185], v[134:135]
	v_fma_f64 v[182:183], v[182:183], v[134:135], -v[136:137]
	scratch_load_b128 v[134:137], off, off offset:672
	v_add_f64_e32 v[186:187], v[186:187], v[192:193]
	v_add_f64_e32 v[184:185], v[196:197], v[194:195]
	v_fmac_f64_e32 v[188:189], v[6:7], v[138:139]
	v_fma_f64 v[194:195], v[4:5], v[138:139], -v[140:141]
	ds_load_b128 v[4:7], v2 offset:1456
	s_wait_loadcnt_dscnt 0xb01
	v_mul_f64_e32 v[192:193], v[174:175], v[144:145]
	v_mul_f64_e32 v[144:145], v[176:177], v[144:145]
	scratch_load_b128 v[138:141], off, off offset:688
	v_add_f64_e32 v[186:187], v[186:187], v[190:191]
	s_wait_loadcnt_dscnt 0xb00
	v_mul_f64_e32 v[190:191], v[4:5], v[148:149]
	v_add_f64_e32 v[196:197], v[184:185], v[182:183]
	v_mul_f64_e32 v[148:149], v[6:7], v[148:149]
	ds_load_b128 v[182:185], v2 offset:1472
	v_fmac_f64_e32 v[192:193], v[176:177], v[142:143]
	v_fma_f64 v[174:175], v[174:175], v[142:143], -v[144:145]
	scratch_load_b128 v[142:145], off, off offset:704
	v_add_f64_e32 v[186:187], v[186:187], v[188:189]
	v_fmac_f64_e32 v[190:191], v[6:7], v[146:147]
	v_add_f64_e32 v[176:177], v[196:197], v[194:195]
	v_fma_f64 v[194:195], v[4:5], v[146:147], -v[148:149]
	ds_load_b128 v[4:7], v2 offset:1488
	s_wait_loadcnt_dscnt 0xb01
	v_mul_f64_e32 v[188:189], v[182:183], v[152:153]
	v_mul_f64_e32 v[152:153], v[184:185], v[152:153]
	scratch_load_b128 v[146:149], off, off offset:720
	v_add_f64_e32 v[186:187], v[186:187], v[192:193]
	s_wait_loadcnt_dscnt 0xb00
	v_mul_f64_e32 v[192:193], v[4:5], v[156:157]
	v_add_f64_e32 v[196:197], v[176:177], v[174:175]
	v_mul_f64_e32 v[156:157], v[6:7], v[156:157]
	ds_load_b128 v[174:177], v2 offset:1504
	v_fmac_f64_e32 v[188:189], v[184:185], v[150:151]
	v_fma_f64 v[182:183], v[182:183], v[150:151], -v[152:153]
	scratch_load_b128 v[150:153], off, off offset:736
	v_add_f64_e32 v[186:187], v[186:187], v[190:191]
	v_fmac_f64_e32 v[192:193], v[6:7], v[154:155]
	v_add_f64_e32 v[184:185], v[196:197], v[194:195]
	;; [unrolled: 18-line block ×3, first 2 shown]
	v_fma_f64 v[194:195], v[4:5], v[166:167], -v[168:169]
	ds_load_b128 v[4:7], v2 offset:1552
	s_wait_loadcnt_dscnt 0xa01
	v_mul_f64_e32 v[192:193], v[182:183], v[180:181]
	v_mul_f64_e32 v[180:181], v[184:185], v[180:181]
	scratch_load_b128 v[166:169], off, off offset:784
	v_add_f64_e32 v[186:187], v[186:187], v[190:191]
	v_add_f64_e32 v[196:197], v[176:177], v[174:175]
	s_wait_loadcnt_dscnt 0xa00
	v_mul_f64_e32 v[190:191], v[4:5], v[164:165]
	v_mul_f64_e32 v[164:165], v[6:7], v[164:165]
	v_fmac_f64_e32 v[192:193], v[184:185], v[178:179]
	v_fma_f64 v[182:183], v[182:183], v[178:179], -v[180:181]
	ds_load_b128 v[174:177], v2 offset:1568
	scratch_load_b128 v[178:181], off, off offset:800
	v_add_f64_e32 v[186:187], v[186:187], v[188:189]
	v_add_f64_e32 v[184:185], v[196:197], v[194:195]
	v_fmac_f64_e32 v[190:191], v[6:7], v[162:163]
	v_fma_f64 v[194:195], v[4:5], v[162:163], -v[164:165]
	ds_load_b128 v[4:7], v2 offset:1584
	s_wait_loadcnt_dscnt 0xa01
	v_mul_f64_e32 v[188:189], v[174:175], v[12:13]
	v_mul_f64_e32 v[12:13], v[176:177], v[12:13]
	scratch_load_b128 v[162:165], off, off offset:816
	v_add_f64_e32 v[186:187], v[186:187], v[192:193]
	s_wait_loadcnt_dscnt 0xa00
	v_mul_f64_e32 v[192:193], v[4:5], v[132:133]
	v_add_f64_e32 v[196:197], v[184:185], v[182:183]
	v_mul_f64_e32 v[132:133], v[6:7], v[132:133]
	ds_load_b128 v[182:185], v2 offset:1600
	v_fmac_f64_e32 v[188:189], v[176:177], v[10:11]
	v_fma_f64 v[174:175], v[174:175], v[10:11], -v[12:13]
	scratch_load_b128 v[10:13], off, off offset:832
	v_add_f64_e32 v[186:187], v[186:187], v[190:191]
	v_fmac_f64_e32 v[192:193], v[6:7], v[130:131]
	v_add_f64_e32 v[176:177], v[196:197], v[194:195]
	v_fma_f64 v[194:195], v[4:5], v[130:131], -v[132:133]
	ds_load_b128 v[4:7], v2 offset:1616
	s_wait_loadcnt_dscnt 0xa01
	v_mul_f64_e32 v[190:191], v[182:183], v[136:137]
	v_mul_f64_e32 v[136:137], v[184:185], v[136:137]
	scratch_load_b128 v[130:133], off, off offset:848
	v_add_f64_e32 v[186:187], v[186:187], v[188:189]
	s_wait_loadcnt_dscnt 0xa00
	v_mul_f64_e32 v[188:189], v[4:5], v[140:141]
	v_add_f64_e32 v[196:197], v[176:177], v[174:175]
	v_mul_f64_e32 v[140:141], v[6:7], v[140:141]
	ds_load_b128 v[174:177], v2 offset:1632
	v_fmac_f64_e32 v[190:191], v[184:185], v[134:135]
	v_fma_f64 v[182:183], v[182:183], v[134:135], -v[136:137]
	scratch_load_b128 v[134:137], off, off offset:864
	v_add_f64_e32 v[186:187], v[186:187], v[192:193]
	v_fmac_f64_e32 v[188:189], v[6:7], v[138:139]
	v_add_f64_e32 v[184:185], v[196:197], v[194:195]
	;; [unrolled: 18-line block ×3, first 2 shown]
	v_fma_f64 v[194:195], v[4:5], v[146:147], -v[148:149]
	ds_load_b128 v[4:7], v2 offset:1680
	s_wait_loadcnt_dscnt 0xa01
	v_mul_f64_e32 v[188:189], v[182:183], v[152:153]
	v_mul_f64_e32 v[152:153], v[184:185], v[152:153]
	scratch_load_b128 v[146:149], off, off offset:912
	v_add_f64_e32 v[186:187], v[186:187], v[192:193]
	s_wait_loadcnt_dscnt 0xa00
	v_mul_f64_e32 v[192:193], v[4:5], v[156:157]
	v_add_f64_e32 v[196:197], v[176:177], v[174:175]
	v_mul_f64_e32 v[156:157], v[6:7], v[156:157]
	ds_load_b128 v[174:177], v2 offset:1696
	v_fmac_f64_e32 v[188:189], v[184:185], v[150:151]
	v_fma_f64 v[150:151], v[182:183], v[150:151], -v[152:153]
	s_wait_loadcnt_dscnt 0x900
	v_mul_f64_e32 v[184:185], v[174:175], v[160:161]
	v_mul_f64_e32 v[160:161], v[176:177], v[160:161]
	v_add_f64_e32 v[182:183], v[186:187], v[190:191]
	v_fmac_f64_e32 v[192:193], v[6:7], v[154:155]
	v_add_f64_e32 v[152:153], v[196:197], v[194:195]
	v_fma_f64 v[154:155], v[4:5], v[154:155], -v[156:157]
	v_fmac_f64_e32 v[184:185], v[176:177], v[158:159]
	v_fma_f64 v[158:159], v[174:175], v[158:159], -v[160:161]
	v_add_f64_e32 v[182:183], v[182:183], v[188:189]
	v_add_f64_e32 v[156:157], v[152:153], v[150:151]
	ds_load_b128 v[4:7], v2 offset:1712
	ds_load_b128 v[150:153], v2 offset:1728
	s_wait_loadcnt_dscnt 0x801
	v_mul_f64_e32 v[186:187], v[4:5], v[168:169]
	v_mul_f64_e32 v[168:169], v[6:7], v[168:169]
	s_wait_loadcnt_dscnt 0x700
	v_mul_f64_e32 v[160:161], v[150:151], v[180:181]
	v_mul_f64_e32 v[174:175], v[152:153], v[180:181]
	v_add_f64_e32 v[154:155], v[156:157], v[154:155]
	v_add_f64_e32 v[156:157], v[182:183], v[192:193]
	v_fmac_f64_e32 v[186:187], v[6:7], v[166:167]
	v_fma_f64 v[166:167], v[4:5], v[166:167], -v[168:169]
	v_fmac_f64_e32 v[160:161], v[152:153], v[178:179]
	v_fma_f64 v[150:151], v[150:151], v[178:179], -v[174:175]
	v_add_f64_e32 v[158:159], v[154:155], v[158:159]
	v_add_f64_e32 v[168:169], v[156:157], v[184:185]
	ds_load_b128 v[4:7], v2 offset:1744
	ds_load_b128 v[154:157], v2 offset:1760
	s_wait_loadcnt_dscnt 0x601
	v_mul_f64_e32 v[176:177], v[4:5], v[164:165]
	v_mul_f64_e32 v[164:165], v[6:7], v[164:165]
	v_add_f64_e32 v[152:153], v[158:159], v[166:167]
	v_add_f64_e32 v[158:159], v[168:169], v[186:187]
	s_wait_loadcnt_dscnt 0x500
	v_mul_f64_e32 v[166:167], v[154:155], v[12:13]
	v_mul_f64_e32 v[12:13], v[156:157], v[12:13]
	v_fmac_f64_e32 v[176:177], v[6:7], v[162:163]
	v_fma_f64 v[162:163], v[4:5], v[162:163], -v[164:165]
	v_add_f64_e32 v[164:165], v[152:153], v[150:151]
	v_add_f64_e32 v[158:159], v[158:159], v[160:161]
	ds_load_b128 v[4:7], v2 offset:1776
	ds_load_b128 v[150:153], v2 offset:1792
	v_fmac_f64_e32 v[166:167], v[156:157], v[10:11]
	v_fma_f64 v[10:11], v[154:155], v[10:11], -v[12:13]
	s_wait_loadcnt_dscnt 0x401
	v_mul_f64_e32 v[160:161], v[4:5], v[132:133]
	v_mul_f64_e32 v[132:133], v[6:7], v[132:133]
	s_wait_loadcnt_dscnt 0x300
	v_mul_f64_e32 v[156:157], v[150:151], v[136:137]
	v_mul_f64_e32 v[136:137], v[152:153], v[136:137]
	v_add_f64_e32 v[12:13], v[164:165], v[162:163]
	v_add_f64_e32 v[154:155], v[158:159], v[176:177]
	v_fmac_f64_e32 v[160:161], v[6:7], v[130:131]
	v_fma_f64 v[130:131], v[4:5], v[130:131], -v[132:133]
	v_fmac_f64_e32 v[156:157], v[152:153], v[134:135]
	v_fma_f64 v[134:135], v[150:151], v[134:135], -v[136:137]
	v_add_f64_e32 v[132:133], v[12:13], v[10:11]
	v_add_f64_e32 v[154:155], v[154:155], v[166:167]
	ds_load_b128 v[4:7], v2 offset:1808
	ds_load_b128 v[10:13], v2 offset:1824
	s_wait_loadcnt_dscnt 0x201
	v_mul_f64_e32 v[158:159], v[4:5], v[140:141]
	v_mul_f64_e32 v[140:141], v[6:7], v[140:141]
	s_wait_loadcnt_dscnt 0x100
	v_mul_f64_e32 v[136:137], v[10:11], v[144:145]
	v_mul_f64_e32 v[144:145], v[12:13], v[144:145]
	v_add_f64_e32 v[130:131], v[132:133], v[130:131]
	v_add_f64_e32 v[132:133], v[154:155], v[160:161]
	v_fmac_f64_e32 v[158:159], v[6:7], v[138:139]
	v_fma_f64 v[138:139], v[4:5], v[138:139], -v[140:141]
	ds_load_b128 v[4:7], v2 offset:1840
	v_fmac_f64_e32 v[136:137], v[12:13], v[142:143]
	v_fma_f64 v[10:11], v[10:11], v[142:143], -v[144:145]
	v_add_f64_e32 v[130:131], v[130:131], v[134:135]
	v_add_f64_e32 v[132:133], v[132:133], v[156:157]
	s_wait_loadcnt_dscnt 0x0
	v_mul_f64_e32 v[134:135], v[4:5], v[148:149]
	v_mul_f64_e32 v[140:141], v[6:7], v[148:149]
	s_delay_alu instid0(VALU_DEP_4) | instskip(NEXT) | instid1(VALU_DEP_4)
	v_add_f64_e32 v[12:13], v[130:131], v[138:139]
	v_add_f64_e32 v[130:131], v[132:133], v[158:159]
	s_delay_alu instid0(VALU_DEP_4) | instskip(NEXT) | instid1(VALU_DEP_4)
	v_fmac_f64_e32 v[134:135], v[6:7], v[146:147]
	v_fma_f64 v[4:5], v[4:5], v[146:147], -v[140:141]
	s_delay_alu instid0(VALU_DEP_4) | instskip(NEXT) | instid1(VALU_DEP_4)
	v_add_f64_e32 v[6:7], v[12:13], v[10:11]
	v_add_f64_e32 v[10:11], v[130:131], v[136:137]
	s_delay_alu instid0(VALU_DEP_2) | instskip(NEXT) | instid1(VALU_DEP_2)
	v_add_f64_e32 v[4:5], v[6:7], v[4:5]
	v_add_f64_e32 v[6:7], v[10:11], v[134:135]
	s_delay_alu instid0(VALU_DEP_2) | instskip(NEXT) | instid1(VALU_DEP_2)
	v_add_f64_e64 v[4:5], v[170:171], -v[4:5]
	v_add_f64_e64 v[6:7], v[172:173], -v[6:7]
	scratch_store_b128 off, v[4:7], off offset:416
	s_wait_xcnt 0x0
	v_cmpx_lt_u32_e32 25, v1
	s_cbranch_execz .LBB121_311
; %bb.310:
	scratch_load_b128 v[10:13], off, s49
	v_dual_mov_b32 v3, v2 :: v_dual_mov_b32 v4, v2
	v_mov_b32_e32 v5, v2
	scratch_store_b128 off, v[2:5], off offset:400
	s_wait_loadcnt 0x0
	ds_store_b128 v8, v[10:13]
.LBB121_311:
	s_wait_xcnt 0x0
	s_or_b32 exec_lo, exec_lo, s2
	s_wait_storecnt_dscnt 0x0
	s_barrier_signal -1
	s_barrier_wait -1
	s_clause 0x9
	scratch_load_b128 v[4:7], off, off offset:416
	scratch_load_b128 v[10:13], off, off offset:432
	;; [unrolled: 1-line block ×10, first 2 shown]
	ds_load_b128 v[162:165], v2 offset:1344
	ds_load_b128 v[170:173], v2 offset:1360
	s_clause 0x2
	scratch_load_b128 v[166:169], off, off offset:576
	scratch_load_b128 v[174:177], off, off offset:400
	;; [unrolled: 1-line block ×3, first 2 shown]
	s_mov_b32 s2, exec_lo
	s_wait_loadcnt_dscnt 0xc01
	v_mul_f64_e32 v[182:183], v[164:165], v[6:7]
	v_mul_f64_e32 v[186:187], v[162:163], v[6:7]
	s_wait_loadcnt_dscnt 0xb00
	v_mul_f64_e32 v[188:189], v[170:171], v[12:13]
	v_mul_f64_e32 v[12:13], v[172:173], v[12:13]
	s_delay_alu instid0(VALU_DEP_4) | instskip(NEXT) | instid1(VALU_DEP_4)
	v_fma_f64 v[190:191], v[162:163], v[4:5], -v[182:183]
	v_fmac_f64_e32 v[186:187], v[164:165], v[4:5]
	ds_load_b128 v[4:7], v2 offset:1376
	ds_load_b128 v[162:165], v2 offset:1392
	scratch_load_b128 v[182:185], off, off offset:608
	v_fmac_f64_e32 v[188:189], v[172:173], v[10:11]
	v_fma_f64 v[170:171], v[170:171], v[10:11], -v[12:13]
	scratch_load_b128 v[10:13], off, off offset:624
	s_wait_loadcnt_dscnt 0xc01
	v_mul_f64_e32 v[192:193], v[4:5], v[132:133]
	v_mul_f64_e32 v[132:133], v[6:7], v[132:133]
	v_add_f64_e32 v[172:173], 0, v[190:191]
	v_add_f64_e32 v[186:187], 0, v[186:187]
	s_wait_loadcnt_dscnt 0xb00
	v_mul_f64_e32 v[190:191], v[162:163], v[136:137]
	v_mul_f64_e32 v[136:137], v[164:165], v[136:137]
	v_fmac_f64_e32 v[192:193], v[6:7], v[130:131]
	v_fma_f64 v[194:195], v[4:5], v[130:131], -v[132:133]
	ds_load_b128 v[4:7], v2 offset:1408
	ds_load_b128 v[130:133], v2 offset:1424
	v_add_f64_e32 v[196:197], v[172:173], v[170:171]
	v_add_f64_e32 v[186:187], v[186:187], v[188:189]
	scratch_load_b128 v[170:173], off, off offset:640
	v_fmac_f64_e32 v[190:191], v[164:165], v[134:135]
	v_fma_f64 v[162:163], v[162:163], v[134:135], -v[136:137]
	scratch_load_b128 v[134:137], off, off offset:656
	s_wait_loadcnt_dscnt 0xc01
	v_mul_f64_e32 v[188:189], v[4:5], v[140:141]
	v_mul_f64_e32 v[140:141], v[6:7], v[140:141]
	v_add_f64_e32 v[164:165], v[196:197], v[194:195]
	v_add_f64_e32 v[186:187], v[186:187], v[192:193]
	s_wait_loadcnt_dscnt 0xb00
	v_mul_f64_e32 v[192:193], v[130:131], v[144:145]
	v_mul_f64_e32 v[144:145], v[132:133], v[144:145]
	v_fmac_f64_e32 v[188:189], v[6:7], v[138:139]
	v_fma_f64 v[194:195], v[4:5], v[138:139], -v[140:141]
	ds_load_b128 v[4:7], v2 offset:1440
	ds_load_b128 v[138:141], v2 offset:1456
	v_add_f64_e32 v[196:197], v[164:165], v[162:163]
	v_add_f64_e32 v[186:187], v[186:187], v[190:191]
	scratch_load_b128 v[162:165], off, off offset:672
	s_wait_loadcnt_dscnt 0xb01
	v_mul_f64_e32 v[190:191], v[4:5], v[148:149]
	v_mul_f64_e32 v[148:149], v[6:7], v[148:149]
	v_fmac_f64_e32 v[192:193], v[132:133], v[142:143]
	v_fma_f64 v[142:143], v[130:131], v[142:143], -v[144:145]
	scratch_load_b128 v[130:133], off, off offset:688
	v_add_f64_e32 v[144:145], v[196:197], v[194:195]
	v_add_f64_e32 v[186:187], v[186:187], v[188:189]
	s_wait_loadcnt_dscnt 0xb00
	v_mul_f64_e32 v[188:189], v[138:139], v[152:153]
	v_mul_f64_e32 v[152:153], v[140:141], v[152:153]
	v_fmac_f64_e32 v[190:191], v[6:7], v[146:147]
	v_fma_f64 v[194:195], v[4:5], v[146:147], -v[148:149]
	v_add_f64_e32 v[196:197], v[144:145], v[142:143]
	v_add_f64_e32 v[186:187], v[186:187], v[192:193]
	ds_load_b128 v[4:7], v2 offset:1472
	ds_load_b128 v[142:145], v2 offset:1488
	scratch_load_b128 v[146:149], off, off offset:704
	v_fmac_f64_e32 v[188:189], v[140:141], v[150:151]
	v_fma_f64 v[150:151], v[138:139], v[150:151], -v[152:153]
	scratch_load_b128 v[138:141], off, off offset:720
	s_wait_loadcnt_dscnt 0xc01
	v_mul_f64_e32 v[192:193], v[4:5], v[156:157]
	v_mul_f64_e32 v[156:157], v[6:7], v[156:157]
	v_add_f64_e32 v[152:153], v[196:197], v[194:195]
	v_add_f64_e32 v[186:187], v[186:187], v[190:191]
	s_wait_loadcnt_dscnt 0xb00
	v_mul_f64_e32 v[190:191], v[142:143], v[160:161]
	v_mul_f64_e32 v[160:161], v[144:145], v[160:161]
	v_fmac_f64_e32 v[192:193], v[6:7], v[154:155]
	v_fma_f64 v[194:195], v[4:5], v[154:155], -v[156:157]
	v_add_f64_e32 v[196:197], v[152:153], v[150:151]
	v_add_f64_e32 v[186:187], v[186:187], v[188:189]
	ds_load_b128 v[4:7], v2 offset:1504
	ds_load_b128 v[150:153], v2 offset:1520
	scratch_load_b128 v[154:157], off, off offset:736
	v_fmac_f64_e32 v[190:191], v[144:145], v[158:159]
	v_fma_f64 v[158:159], v[142:143], v[158:159], -v[160:161]
	scratch_load_b128 v[142:145], off, off offset:752
	s_wait_loadcnt_dscnt 0xc01
	v_mul_f64_e32 v[188:189], v[4:5], v[168:169]
	v_mul_f64_e32 v[168:169], v[6:7], v[168:169]
	;; [unrolled: 18-line block ×5, first 2 shown]
	v_add_f64_e32 v[180:181], v[196:197], v[194:195]
	v_add_f64_e32 v[186:187], v[186:187], v[192:193]
	s_wait_loadcnt_dscnt 0xa00
	v_mul_f64_e32 v[192:193], v[158:159], v[132:133]
	v_mul_f64_e32 v[132:133], v[160:161], v[132:133]
	v_fmac_f64_e32 v[188:189], v[6:7], v[162:163]
	v_fma_f64 v[194:195], v[4:5], v[162:163], -v[164:165]
	ds_load_b128 v[4:7], v2 offset:1632
	ds_load_b128 v[162:165], v2 offset:1648
	v_add_f64_e32 v[196:197], v[180:181], v[178:179]
	v_add_f64_e32 v[186:187], v[186:187], v[190:191]
	scratch_load_b128 v[178:181], off, off offset:864
	v_fmac_f64_e32 v[192:193], v[160:161], v[130:131]
	v_fma_f64 v[158:159], v[158:159], v[130:131], -v[132:133]
	scratch_load_b128 v[130:133], off, off offset:880
	s_wait_loadcnt_dscnt 0xb01
	v_mul_f64_e32 v[190:191], v[4:5], v[148:149]
	v_mul_f64_e32 v[148:149], v[6:7], v[148:149]
	v_add_f64_e32 v[160:161], v[196:197], v[194:195]
	v_add_f64_e32 v[186:187], v[186:187], v[188:189]
	s_wait_loadcnt_dscnt 0xa00
	v_mul_f64_e32 v[188:189], v[162:163], v[140:141]
	v_mul_f64_e32 v[140:141], v[164:165], v[140:141]
	v_fmac_f64_e32 v[190:191], v[6:7], v[146:147]
	v_fma_f64 v[194:195], v[4:5], v[146:147], -v[148:149]
	ds_load_b128 v[4:7], v2 offset:1664
	ds_load_b128 v[146:149], v2 offset:1680
	v_add_f64_e32 v[196:197], v[160:161], v[158:159]
	v_add_f64_e32 v[186:187], v[186:187], v[192:193]
	scratch_load_b128 v[158:161], off, off offset:896
	s_wait_loadcnt_dscnt 0xa01
	v_mul_f64_e32 v[192:193], v[4:5], v[156:157]
	v_mul_f64_e32 v[156:157], v[6:7], v[156:157]
	v_fmac_f64_e32 v[188:189], v[164:165], v[138:139]
	v_fma_f64 v[162:163], v[162:163], v[138:139], -v[140:141]
	scratch_load_b128 v[138:141], off, off offset:912
	v_add_f64_e32 v[164:165], v[196:197], v[194:195]
	v_add_f64_e32 v[186:187], v[186:187], v[190:191]
	s_wait_loadcnt_dscnt 0xa00
	v_mul_f64_e32 v[190:191], v[146:147], v[144:145]
	v_mul_f64_e32 v[144:145], v[148:149], v[144:145]
	v_fmac_f64_e32 v[192:193], v[6:7], v[154:155]
	v_fma_f64 v[194:195], v[4:5], v[154:155], -v[156:157]
	ds_load_b128 v[4:7], v2 offset:1696
	ds_load_b128 v[154:157], v2 offset:1712
	v_add_f64_e32 v[162:163], v[164:165], v[162:163]
	v_add_f64_e32 v[164:165], v[186:187], v[188:189]
	v_fmac_f64_e32 v[190:191], v[148:149], v[142:143]
	s_wait_loadcnt_dscnt 0x901
	v_mul_f64_e32 v[186:187], v[4:5], v[168:169]
	v_mul_f64_e32 v[168:169], v[6:7], v[168:169]
	v_fma_f64 v[142:143], v[146:147], v[142:143], -v[144:145]
	s_wait_loadcnt_dscnt 0x800
	v_mul_f64_e32 v[148:149], v[154:155], v[152:153]
	v_mul_f64_e32 v[152:153], v[156:157], v[152:153]
	v_add_f64_e32 v[144:145], v[162:163], v[194:195]
	v_add_f64_e32 v[146:147], v[164:165], v[192:193]
	v_fmac_f64_e32 v[186:187], v[6:7], v[166:167]
	v_fma_f64 v[162:163], v[4:5], v[166:167], -v[168:169]
	v_fmac_f64_e32 v[148:149], v[156:157], v[150:151]
	v_fma_f64 v[150:151], v[154:155], v[150:151], -v[152:153]
	v_add_f64_e32 v[164:165], v[144:145], v[142:143]
	v_add_f64_e32 v[146:147], v[146:147], v[190:191]
	ds_load_b128 v[4:7], v2 offset:1728
	ds_load_b128 v[142:145], v2 offset:1744
	s_wait_loadcnt_dscnt 0x701
	v_mul_f64_e32 v[166:167], v[4:5], v[184:185]
	v_mul_f64_e32 v[168:169], v[6:7], v[184:185]
	s_wait_loadcnt_dscnt 0x600
	v_mul_f64_e32 v[154:155], v[142:143], v[12:13]
	v_mul_f64_e32 v[12:13], v[144:145], v[12:13]
	v_add_f64_e32 v[152:153], v[164:165], v[162:163]
	v_add_f64_e32 v[146:147], v[146:147], v[186:187]
	v_fmac_f64_e32 v[166:167], v[6:7], v[182:183]
	v_fma_f64 v[156:157], v[4:5], v[182:183], -v[168:169]
	v_fmac_f64_e32 v[154:155], v[144:145], v[10:11]
	v_fma_f64 v[10:11], v[142:143], v[10:11], -v[12:13]
	v_add_f64_e32 v[150:151], v[152:153], v[150:151]
	v_add_f64_e32 v[152:153], v[146:147], v[148:149]
	ds_load_b128 v[4:7], v2 offset:1760
	ds_load_b128 v[146:149], v2 offset:1776
	s_wait_loadcnt_dscnt 0x501
	v_mul_f64_e32 v[162:163], v[4:5], v[172:173]
	v_mul_f64_e32 v[164:165], v[6:7], v[172:173]
	;; [unrolled: 16-line block ×4, first 2 shown]
	v_add_f64_e32 v[12:13], v[136:137], v[150:151]
	v_add_f64_e32 v[130:131], v[142:143], v[154:155]
	s_wait_loadcnt_dscnt 0x0
	v_mul_f64_e32 v[136:137], v[132:133], v[140:141]
	v_mul_f64_e32 v[140:141], v[134:135], v[140:141]
	v_fmac_f64_e32 v[2:3], v[6:7], v[158:159]
	v_fma_f64 v[4:5], v[4:5], v[158:159], -v[144:145]
	v_add_f64_e32 v[6:7], v[12:13], v[10:11]
	v_add_f64_e32 v[10:11], v[130:131], v[146:147]
	v_fmac_f64_e32 v[136:137], v[134:135], v[138:139]
	v_fma_f64 v[12:13], v[132:133], v[138:139], -v[140:141]
	s_delay_alu instid0(VALU_DEP_4) | instskip(NEXT) | instid1(VALU_DEP_4)
	v_add_f64_e32 v[4:5], v[6:7], v[4:5]
	v_add_f64_e32 v[2:3], v[10:11], v[2:3]
	s_delay_alu instid0(VALU_DEP_2) | instskip(NEXT) | instid1(VALU_DEP_2)
	v_add_f64_e32 v[4:5], v[4:5], v[12:13]
	v_add_f64_e32 v[6:7], v[2:3], v[136:137]
	s_delay_alu instid0(VALU_DEP_2) | instskip(NEXT) | instid1(VALU_DEP_2)
	v_add_f64_e64 v[2:3], v[174:175], -v[4:5]
	v_add_f64_e64 v[4:5], v[176:177], -v[6:7]
	scratch_store_b128 off, v[2:5], off offset:400
	s_wait_xcnt 0x0
	v_cmpx_lt_u32_e32 24, v1
	s_cbranch_execz .LBB121_313
; %bb.312:
	scratch_load_b128 v[2:5], off, s50
	v_mov_b32_e32 v10, 0
	s_delay_alu instid0(VALU_DEP_1)
	v_dual_mov_b32 v11, v10 :: v_dual_mov_b32 v12, v10
	v_mov_b32_e32 v13, v10
	scratch_store_b128 off, v[10:13], off offset:384
	s_wait_loadcnt 0x0
	ds_store_b128 v8, v[2:5]
.LBB121_313:
	s_wait_xcnt 0x0
	s_or_b32 exec_lo, exec_lo, s2
	s_wait_storecnt_dscnt 0x0
	s_barrier_signal -1
	s_barrier_wait -1
	s_clause 0x9
	scratch_load_b128 v[4:7], off, off offset:400
	scratch_load_b128 v[10:13], off, off offset:416
	;; [unrolled: 1-line block ×10, first 2 shown]
	v_mov_b32_e32 v2, 0
	s_mov_b32 s2, exec_lo
	ds_load_b128 v[162:165], v2 offset:1328
	s_clause 0x2
	scratch_load_b128 v[166:169], off, off offset:560
	scratch_load_b128 v[170:173], off, off offset:384
	scratch_load_b128 v[178:181], off, off offset:576
	s_wait_loadcnt_dscnt 0xc00
	v_mul_f64_e32 v[182:183], v[164:165], v[6:7]
	v_mul_f64_e32 v[186:187], v[162:163], v[6:7]
	ds_load_b128 v[174:177], v2 offset:1344
	v_fma_f64 v[190:191], v[162:163], v[4:5], -v[182:183]
	v_fmac_f64_e32 v[186:187], v[164:165], v[4:5]
	ds_load_b128 v[4:7], v2 offset:1360
	s_wait_loadcnt_dscnt 0xb01
	v_mul_f64_e32 v[188:189], v[174:175], v[12:13]
	v_mul_f64_e32 v[12:13], v[176:177], v[12:13]
	scratch_load_b128 v[162:165], off, off offset:592
	ds_load_b128 v[182:185], v2 offset:1376
	s_wait_loadcnt_dscnt 0xb01
	v_mul_f64_e32 v[192:193], v[4:5], v[132:133]
	v_mul_f64_e32 v[132:133], v[6:7], v[132:133]
	v_add_f64_e32 v[186:187], 0, v[186:187]
	v_fmac_f64_e32 v[188:189], v[176:177], v[10:11]
	v_fma_f64 v[174:175], v[174:175], v[10:11], -v[12:13]
	v_add_f64_e32 v[176:177], 0, v[190:191]
	scratch_load_b128 v[10:13], off, off offset:608
	v_fmac_f64_e32 v[192:193], v[6:7], v[130:131]
	v_fma_f64 v[194:195], v[4:5], v[130:131], -v[132:133]
	ds_load_b128 v[4:7], v2 offset:1392
	s_wait_loadcnt_dscnt 0xb01
	v_mul_f64_e32 v[190:191], v[182:183], v[136:137]
	v_mul_f64_e32 v[136:137], v[184:185], v[136:137]
	scratch_load_b128 v[130:133], off, off offset:624
	v_add_f64_e32 v[186:187], v[186:187], v[188:189]
	v_add_f64_e32 v[196:197], v[176:177], v[174:175]
	ds_load_b128 v[174:177], v2 offset:1408
	s_wait_loadcnt_dscnt 0xb01
	v_mul_f64_e32 v[188:189], v[4:5], v[140:141]
	v_mul_f64_e32 v[140:141], v[6:7], v[140:141]
	v_fmac_f64_e32 v[190:191], v[184:185], v[134:135]
	v_fma_f64 v[182:183], v[182:183], v[134:135], -v[136:137]
	scratch_load_b128 v[134:137], off, off offset:640
	v_add_f64_e32 v[186:187], v[186:187], v[192:193]
	v_add_f64_e32 v[184:185], v[196:197], v[194:195]
	v_fmac_f64_e32 v[188:189], v[6:7], v[138:139]
	v_fma_f64 v[194:195], v[4:5], v[138:139], -v[140:141]
	ds_load_b128 v[4:7], v2 offset:1424
	s_wait_loadcnt_dscnt 0xb01
	v_mul_f64_e32 v[192:193], v[174:175], v[144:145]
	v_mul_f64_e32 v[144:145], v[176:177], v[144:145]
	scratch_load_b128 v[138:141], off, off offset:656
	v_add_f64_e32 v[186:187], v[186:187], v[190:191]
	s_wait_loadcnt_dscnt 0xb00
	v_mul_f64_e32 v[190:191], v[4:5], v[148:149]
	v_add_f64_e32 v[196:197], v[184:185], v[182:183]
	v_mul_f64_e32 v[148:149], v[6:7], v[148:149]
	ds_load_b128 v[182:185], v2 offset:1440
	v_fmac_f64_e32 v[192:193], v[176:177], v[142:143]
	v_fma_f64 v[174:175], v[174:175], v[142:143], -v[144:145]
	scratch_load_b128 v[142:145], off, off offset:672
	v_add_f64_e32 v[186:187], v[186:187], v[188:189]
	v_fmac_f64_e32 v[190:191], v[6:7], v[146:147]
	v_add_f64_e32 v[176:177], v[196:197], v[194:195]
	v_fma_f64 v[194:195], v[4:5], v[146:147], -v[148:149]
	ds_load_b128 v[4:7], v2 offset:1456
	s_wait_loadcnt_dscnt 0xb01
	v_mul_f64_e32 v[188:189], v[182:183], v[152:153]
	v_mul_f64_e32 v[152:153], v[184:185], v[152:153]
	scratch_load_b128 v[146:149], off, off offset:688
	v_add_f64_e32 v[186:187], v[186:187], v[192:193]
	s_wait_loadcnt_dscnt 0xb00
	v_mul_f64_e32 v[192:193], v[4:5], v[156:157]
	v_add_f64_e32 v[196:197], v[176:177], v[174:175]
	v_mul_f64_e32 v[156:157], v[6:7], v[156:157]
	ds_load_b128 v[174:177], v2 offset:1472
	v_fmac_f64_e32 v[188:189], v[184:185], v[150:151]
	v_fma_f64 v[182:183], v[182:183], v[150:151], -v[152:153]
	scratch_load_b128 v[150:153], off, off offset:704
	v_add_f64_e32 v[186:187], v[186:187], v[190:191]
	v_fmac_f64_e32 v[192:193], v[6:7], v[154:155]
	v_add_f64_e32 v[184:185], v[196:197], v[194:195]
	;; [unrolled: 18-line block ×3, first 2 shown]
	v_fma_f64 v[194:195], v[4:5], v[166:167], -v[168:169]
	ds_load_b128 v[4:7], v2 offset:1520
	s_wait_loadcnt_dscnt 0xa01
	v_mul_f64_e32 v[192:193], v[182:183], v[180:181]
	v_mul_f64_e32 v[180:181], v[184:185], v[180:181]
	scratch_load_b128 v[166:169], off, off offset:752
	v_add_f64_e32 v[186:187], v[186:187], v[190:191]
	v_add_f64_e32 v[196:197], v[176:177], v[174:175]
	s_wait_loadcnt_dscnt 0xa00
	v_mul_f64_e32 v[190:191], v[4:5], v[164:165]
	v_mul_f64_e32 v[164:165], v[6:7], v[164:165]
	v_fmac_f64_e32 v[192:193], v[184:185], v[178:179]
	v_fma_f64 v[182:183], v[182:183], v[178:179], -v[180:181]
	ds_load_b128 v[174:177], v2 offset:1536
	scratch_load_b128 v[178:181], off, off offset:768
	v_add_f64_e32 v[186:187], v[186:187], v[188:189]
	v_add_f64_e32 v[184:185], v[196:197], v[194:195]
	v_fmac_f64_e32 v[190:191], v[6:7], v[162:163]
	v_fma_f64 v[194:195], v[4:5], v[162:163], -v[164:165]
	ds_load_b128 v[4:7], v2 offset:1552
	s_wait_loadcnt_dscnt 0xa01
	v_mul_f64_e32 v[188:189], v[174:175], v[12:13]
	v_mul_f64_e32 v[12:13], v[176:177], v[12:13]
	scratch_load_b128 v[162:165], off, off offset:784
	v_add_f64_e32 v[186:187], v[186:187], v[192:193]
	s_wait_loadcnt_dscnt 0xa00
	v_mul_f64_e32 v[192:193], v[4:5], v[132:133]
	v_add_f64_e32 v[196:197], v[184:185], v[182:183]
	v_mul_f64_e32 v[132:133], v[6:7], v[132:133]
	ds_load_b128 v[182:185], v2 offset:1568
	v_fmac_f64_e32 v[188:189], v[176:177], v[10:11]
	v_fma_f64 v[174:175], v[174:175], v[10:11], -v[12:13]
	scratch_load_b128 v[10:13], off, off offset:800
	v_add_f64_e32 v[186:187], v[186:187], v[190:191]
	v_fmac_f64_e32 v[192:193], v[6:7], v[130:131]
	v_add_f64_e32 v[176:177], v[196:197], v[194:195]
	v_fma_f64 v[194:195], v[4:5], v[130:131], -v[132:133]
	ds_load_b128 v[4:7], v2 offset:1584
	s_wait_loadcnt_dscnt 0xa01
	v_mul_f64_e32 v[190:191], v[182:183], v[136:137]
	v_mul_f64_e32 v[136:137], v[184:185], v[136:137]
	scratch_load_b128 v[130:133], off, off offset:816
	v_add_f64_e32 v[186:187], v[186:187], v[188:189]
	s_wait_loadcnt_dscnt 0xa00
	v_mul_f64_e32 v[188:189], v[4:5], v[140:141]
	v_add_f64_e32 v[196:197], v[176:177], v[174:175]
	v_mul_f64_e32 v[140:141], v[6:7], v[140:141]
	ds_load_b128 v[174:177], v2 offset:1600
	v_fmac_f64_e32 v[190:191], v[184:185], v[134:135]
	v_fma_f64 v[182:183], v[182:183], v[134:135], -v[136:137]
	scratch_load_b128 v[134:137], off, off offset:832
	v_add_f64_e32 v[186:187], v[186:187], v[192:193]
	v_fmac_f64_e32 v[188:189], v[6:7], v[138:139]
	v_add_f64_e32 v[184:185], v[196:197], v[194:195]
	;; [unrolled: 18-line block ×4, first 2 shown]
	v_fma_f64 v[194:195], v[4:5], v[154:155], -v[156:157]
	ds_load_b128 v[4:7], v2 offset:1680
	s_wait_loadcnt_dscnt 0xa01
	v_mul_f64_e32 v[190:191], v[174:175], v[160:161]
	v_mul_f64_e32 v[160:161], v[176:177], v[160:161]
	scratch_load_b128 v[154:157], off, off offset:912
	v_add_f64_e32 v[186:187], v[186:187], v[188:189]
	s_wait_loadcnt_dscnt 0xa00
	v_mul_f64_e32 v[188:189], v[4:5], v[168:169]
	v_add_f64_e32 v[196:197], v[184:185], v[182:183]
	v_mul_f64_e32 v[168:169], v[6:7], v[168:169]
	ds_load_b128 v[182:185], v2 offset:1696
	v_fmac_f64_e32 v[190:191], v[176:177], v[158:159]
	v_fma_f64 v[158:159], v[174:175], v[158:159], -v[160:161]
	s_wait_loadcnt_dscnt 0x900
	v_mul_f64_e32 v[176:177], v[182:183], v[180:181]
	v_mul_f64_e32 v[180:181], v[184:185], v[180:181]
	v_add_f64_e32 v[174:175], v[186:187], v[192:193]
	v_fmac_f64_e32 v[188:189], v[6:7], v[166:167]
	v_add_f64_e32 v[160:161], v[196:197], v[194:195]
	v_fma_f64 v[166:167], v[4:5], v[166:167], -v[168:169]
	v_fmac_f64_e32 v[176:177], v[184:185], v[178:179]
	v_fma_f64 v[178:179], v[182:183], v[178:179], -v[180:181]
	v_add_f64_e32 v[174:175], v[174:175], v[190:191]
	v_add_f64_e32 v[168:169], v[160:161], v[158:159]
	ds_load_b128 v[4:7], v2 offset:1712
	ds_load_b128 v[158:161], v2 offset:1728
	s_wait_loadcnt_dscnt 0x801
	v_mul_f64_e32 v[186:187], v[4:5], v[164:165]
	v_mul_f64_e32 v[164:165], v[6:7], v[164:165]
	v_add_f64_e32 v[166:167], v[168:169], v[166:167]
	v_add_f64_e32 v[168:169], v[174:175], v[188:189]
	s_wait_loadcnt_dscnt 0x700
	v_mul_f64_e32 v[174:175], v[158:159], v[12:13]
	v_mul_f64_e32 v[12:13], v[160:161], v[12:13]
	v_fmac_f64_e32 v[186:187], v[6:7], v[162:163]
	v_fma_f64 v[180:181], v[4:5], v[162:163], -v[164:165]
	ds_load_b128 v[4:7], v2 offset:1744
	ds_load_b128 v[162:165], v2 offset:1760
	v_add_f64_e32 v[166:167], v[166:167], v[178:179]
	v_add_f64_e32 v[168:169], v[168:169], v[176:177]
	v_fmac_f64_e32 v[174:175], v[160:161], v[10:11]
	v_fma_f64 v[10:11], v[158:159], v[10:11], -v[12:13]
	s_wait_loadcnt_dscnt 0x601
	v_mul_f64_e32 v[176:177], v[4:5], v[132:133]
	v_mul_f64_e32 v[132:133], v[6:7], v[132:133]
	s_wait_loadcnt_dscnt 0x500
	v_mul_f64_e32 v[160:161], v[162:163], v[136:137]
	v_mul_f64_e32 v[136:137], v[164:165], v[136:137]
	v_add_f64_e32 v[12:13], v[166:167], v[180:181]
	v_add_f64_e32 v[158:159], v[168:169], v[186:187]
	v_fmac_f64_e32 v[176:177], v[6:7], v[130:131]
	v_fma_f64 v[130:131], v[4:5], v[130:131], -v[132:133]
	v_fmac_f64_e32 v[160:161], v[164:165], v[134:135]
	v_fma_f64 v[134:135], v[162:163], v[134:135], -v[136:137]
	v_add_f64_e32 v[132:133], v[12:13], v[10:11]
	v_add_f64_e32 v[158:159], v[158:159], v[174:175]
	ds_load_b128 v[4:7], v2 offset:1776
	ds_load_b128 v[10:13], v2 offset:1792
	s_wait_loadcnt_dscnt 0x401
	v_mul_f64_e32 v[166:167], v[4:5], v[140:141]
	v_mul_f64_e32 v[140:141], v[6:7], v[140:141]
	s_wait_loadcnt_dscnt 0x300
	v_mul_f64_e32 v[136:137], v[10:11], v[144:145]
	v_mul_f64_e32 v[144:145], v[12:13], v[144:145]
	v_add_f64_e32 v[130:131], v[132:133], v[130:131]
	v_add_f64_e32 v[132:133], v[158:159], v[176:177]
	v_fmac_f64_e32 v[166:167], v[6:7], v[138:139]
	v_fma_f64 v[138:139], v[4:5], v[138:139], -v[140:141]
	v_fmac_f64_e32 v[136:137], v[12:13], v[142:143]
	v_fma_f64 v[10:11], v[10:11], v[142:143], -v[144:145]
	v_add_f64_e32 v[134:135], v[130:131], v[134:135]
	v_add_f64_e32 v[140:141], v[132:133], v[160:161]
	ds_load_b128 v[4:7], v2 offset:1808
	ds_load_b128 v[130:133], v2 offset:1824
	s_wait_loadcnt_dscnt 0x201
	v_mul_f64_e32 v[158:159], v[4:5], v[148:149]
	v_mul_f64_e32 v[148:149], v[6:7], v[148:149]
	v_add_f64_e32 v[12:13], v[134:135], v[138:139]
	v_add_f64_e32 v[134:135], v[140:141], v[166:167]
	s_wait_loadcnt_dscnt 0x100
	v_mul_f64_e32 v[138:139], v[130:131], v[152:153]
	v_mul_f64_e32 v[140:141], v[132:133], v[152:153]
	v_fmac_f64_e32 v[158:159], v[6:7], v[146:147]
	v_fma_f64 v[142:143], v[4:5], v[146:147], -v[148:149]
	ds_load_b128 v[4:7], v2 offset:1840
	v_add_f64_e32 v[10:11], v[12:13], v[10:11]
	v_add_f64_e32 v[12:13], v[134:135], v[136:137]
	v_fmac_f64_e32 v[138:139], v[132:133], v[150:151]
	v_fma_f64 v[130:131], v[130:131], v[150:151], -v[140:141]
	s_wait_loadcnt_dscnt 0x0
	v_mul_f64_e32 v[134:135], v[4:5], v[156:157]
	v_mul_f64_e32 v[136:137], v[6:7], v[156:157]
	v_add_f64_e32 v[10:11], v[10:11], v[142:143]
	v_add_f64_e32 v[12:13], v[12:13], v[158:159]
	s_delay_alu instid0(VALU_DEP_4) | instskip(NEXT) | instid1(VALU_DEP_4)
	v_fmac_f64_e32 v[134:135], v[6:7], v[154:155]
	v_fma_f64 v[4:5], v[4:5], v[154:155], -v[136:137]
	s_delay_alu instid0(VALU_DEP_4) | instskip(NEXT) | instid1(VALU_DEP_4)
	v_add_f64_e32 v[6:7], v[10:11], v[130:131]
	v_add_f64_e32 v[10:11], v[12:13], v[138:139]
	s_delay_alu instid0(VALU_DEP_2) | instskip(NEXT) | instid1(VALU_DEP_2)
	v_add_f64_e32 v[4:5], v[6:7], v[4:5]
	v_add_f64_e32 v[6:7], v[10:11], v[134:135]
	s_delay_alu instid0(VALU_DEP_2) | instskip(NEXT) | instid1(VALU_DEP_2)
	v_add_f64_e64 v[4:5], v[170:171], -v[4:5]
	v_add_f64_e64 v[6:7], v[172:173], -v[6:7]
	scratch_store_b128 off, v[4:7], off offset:384
	s_wait_xcnt 0x0
	v_cmpx_lt_u32_e32 23, v1
	s_cbranch_execz .LBB121_315
; %bb.314:
	scratch_load_b128 v[10:13], off, s51
	v_dual_mov_b32 v3, v2 :: v_dual_mov_b32 v4, v2
	v_mov_b32_e32 v5, v2
	scratch_store_b128 off, v[2:5], off offset:368
	s_wait_loadcnt 0x0
	ds_store_b128 v8, v[10:13]
.LBB121_315:
	s_wait_xcnt 0x0
	s_or_b32 exec_lo, exec_lo, s2
	s_wait_storecnt_dscnt 0x0
	s_barrier_signal -1
	s_barrier_wait -1
	s_clause 0x9
	scratch_load_b128 v[4:7], off, off offset:384
	scratch_load_b128 v[10:13], off, off offset:400
	;; [unrolled: 1-line block ×10, first 2 shown]
	ds_load_b128 v[162:165], v2 offset:1312
	ds_load_b128 v[170:173], v2 offset:1328
	s_clause 0x2
	scratch_load_b128 v[166:169], off, off offset:544
	scratch_load_b128 v[174:177], off, off offset:368
	scratch_load_b128 v[178:181], off, off offset:560
	s_mov_b32 s2, exec_lo
	s_wait_loadcnt_dscnt 0xc01
	v_mul_f64_e32 v[182:183], v[164:165], v[6:7]
	v_mul_f64_e32 v[186:187], v[162:163], v[6:7]
	s_wait_loadcnt_dscnt 0xb00
	v_mul_f64_e32 v[188:189], v[170:171], v[12:13]
	v_mul_f64_e32 v[12:13], v[172:173], v[12:13]
	s_delay_alu instid0(VALU_DEP_4) | instskip(NEXT) | instid1(VALU_DEP_4)
	v_fma_f64 v[190:191], v[162:163], v[4:5], -v[182:183]
	v_fmac_f64_e32 v[186:187], v[164:165], v[4:5]
	ds_load_b128 v[4:7], v2 offset:1344
	ds_load_b128 v[162:165], v2 offset:1360
	scratch_load_b128 v[182:185], off, off offset:576
	v_fmac_f64_e32 v[188:189], v[172:173], v[10:11]
	v_fma_f64 v[170:171], v[170:171], v[10:11], -v[12:13]
	scratch_load_b128 v[10:13], off, off offset:592
	s_wait_loadcnt_dscnt 0xc01
	v_mul_f64_e32 v[192:193], v[4:5], v[132:133]
	v_mul_f64_e32 v[132:133], v[6:7], v[132:133]
	v_add_f64_e32 v[172:173], 0, v[190:191]
	v_add_f64_e32 v[186:187], 0, v[186:187]
	s_wait_loadcnt_dscnt 0xb00
	v_mul_f64_e32 v[190:191], v[162:163], v[136:137]
	v_mul_f64_e32 v[136:137], v[164:165], v[136:137]
	v_fmac_f64_e32 v[192:193], v[6:7], v[130:131]
	v_fma_f64 v[194:195], v[4:5], v[130:131], -v[132:133]
	ds_load_b128 v[4:7], v2 offset:1376
	ds_load_b128 v[130:133], v2 offset:1392
	v_add_f64_e32 v[196:197], v[172:173], v[170:171]
	v_add_f64_e32 v[186:187], v[186:187], v[188:189]
	scratch_load_b128 v[170:173], off, off offset:608
	v_fmac_f64_e32 v[190:191], v[164:165], v[134:135]
	v_fma_f64 v[162:163], v[162:163], v[134:135], -v[136:137]
	scratch_load_b128 v[134:137], off, off offset:624
	s_wait_loadcnt_dscnt 0xc01
	v_mul_f64_e32 v[188:189], v[4:5], v[140:141]
	v_mul_f64_e32 v[140:141], v[6:7], v[140:141]
	v_add_f64_e32 v[164:165], v[196:197], v[194:195]
	v_add_f64_e32 v[186:187], v[186:187], v[192:193]
	s_wait_loadcnt_dscnt 0xb00
	v_mul_f64_e32 v[192:193], v[130:131], v[144:145]
	v_mul_f64_e32 v[144:145], v[132:133], v[144:145]
	v_fmac_f64_e32 v[188:189], v[6:7], v[138:139]
	v_fma_f64 v[194:195], v[4:5], v[138:139], -v[140:141]
	ds_load_b128 v[4:7], v2 offset:1408
	ds_load_b128 v[138:141], v2 offset:1424
	v_add_f64_e32 v[196:197], v[164:165], v[162:163]
	v_add_f64_e32 v[186:187], v[186:187], v[190:191]
	scratch_load_b128 v[162:165], off, off offset:640
	s_wait_loadcnt_dscnt 0xb01
	v_mul_f64_e32 v[190:191], v[4:5], v[148:149]
	v_mul_f64_e32 v[148:149], v[6:7], v[148:149]
	v_fmac_f64_e32 v[192:193], v[132:133], v[142:143]
	v_fma_f64 v[142:143], v[130:131], v[142:143], -v[144:145]
	scratch_load_b128 v[130:133], off, off offset:656
	v_add_f64_e32 v[144:145], v[196:197], v[194:195]
	v_add_f64_e32 v[186:187], v[186:187], v[188:189]
	s_wait_loadcnt_dscnt 0xb00
	v_mul_f64_e32 v[188:189], v[138:139], v[152:153]
	v_mul_f64_e32 v[152:153], v[140:141], v[152:153]
	v_fmac_f64_e32 v[190:191], v[6:7], v[146:147]
	v_fma_f64 v[194:195], v[4:5], v[146:147], -v[148:149]
	v_add_f64_e32 v[196:197], v[144:145], v[142:143]
	v_add_f64_e32 v[186:187], v[186:187], v[192:193]
	ds_load_b128 v[4:7], v2 offset:1440
	ds_load_b128 v[142:145], v2 offset:1456
	scratch_load_b128 v[146:149], off, off offset:672
	v_fmac_f64_e32 v[188:189], v[140:141], v[150:151]
	v_fma_f64 v[150:151], v[138:139], v[150:151], -v[152:153]
	scratch_load_b128 v[138:141], off, off offset:688
	s_wait_loadcnt_dscnt 0xc01
	v_mul_f64_e32 v[192:193], v[4:5], v[156:157]
	v_mul_f64_e32 v[156:157], v[6:7], v[156:157]
	v_add_f64_e32 v[152:153], v[196:197], v[194:195]
	v_add_f64_e32 v[186:187], v[186:187], v[190:191]
	s_wait_loadcnt_dscnt 0xb00
	v_mul_f64_e32 v[190:191], v[142:143], v[160:161]
	v_mul_f64_e32 v[160:161], v[144:145], v[160:161]
	v_fmac_f64_e32 v[192:193], v[6:7], v[154:155]
	v_fma_f64 v[194:195], v[4:5], v[154:155], -v[156:157]
	v_add_f64_e32 v[196:197], v[152:153], v[150:151]
	v_add_f64_e32 v[186:187], v[186:187], v[188:189]
	ds_load_b128 v[4:7], v2 offset:1472
	ds_load_b128 v[150:153], v2 offset:1488
	scratch_load_b128 v[154:157], off, off offset:704
	v_fmac_f64_e32 v[190:191], v[144:145], v[158:159]
	v_fma_f64 v[158:159], v[142:143], v[158:159], -v[160:161]
	scratch_load_b128 v[142:145], off, off offset:720
	s_wait_loadcnt_dscnt 0xc01
	v_mul_f64_e32 v[188:189], v[4:5], v[168:169]
	v_mul_f64_e32 v[168:169], v[6:7], v[168:169]
	;; [unrolled: 18-line block ×5, first 2 shown]
	v_add_f64_e32 v[180:181], v[196:197], v[194:195]
	v_add_f64_e32 v[186:187], v[186:187], v[192:193]
	s_wait_loadcnt_dscnt 0xa00
	v_mul_f64_e32 v[192:193], v[158:159], v[132:133]
	v_mul_f64_e32 v[132:133], v[160:161], v[132:133]
	v_fmac_f64_e32 v[188:189], v[6:7], v[162:163]
	v_fma_f64 v[194:195], v[4:5], v[162:163], -v[164:165]
	ds_load_b128 v[4:7], v2 offset:1600
	ds_load_b128 v[162:165], v2 offset:1616
	v_add_f64_e32 v[196:197], v[180:181], v[178:179]
	v_add_f64_e32 v[186:187], v[186:187], v[190:191]
	scratch_load_b128 v[178:181], off, off offset:832
	v_fmac_f64_e32 v[192:193], v[160:161], v[130:131]
	v_fma_f64 v[158:159], v[158:159], v[130:131], -v[132:133]
	scratch_load_b128 v[130:133], off, off offset:848
	s_wait_loadcnt_dscnt 0xb01
	v_mul_f64_e32 v[190:191], v[4:5], v[148:149]
	v_mul_f64_e32 v[148:149], v[6:7], v[148:149]
	v_add_f64_e32 v[160:161], v[196:197], v[194:195]
	v_add_f64_e32 v[186:187], v[186:187], v[188:189]
	s_wait_loadcnt_dscnt 0xa00
	v_mul_f64_e32 v[188:189], v[162:163], v[140:141]
	v_mul_f64_e32 v[140:141], v[164:165], v[140:141]
	v_fmac_f64_e32 v[190:191], v[6:7], v[146:147]
	v_fma_f64 v[194:195], v[4:5], v[146:147], -v[148:149]
	ds_load_b128 v[4:7], v2 offset:1632
	ds_load_b128 v[146:149], v2 offset:1648
	v_add_f64_e32 v[196:197], v[160:161], v[158:159]
	v_add_f64_e32 v[186:187], v[186:187], v[192:193]
	scratch_load_b128 v[158:161], off, off offset:864
	s_wait_loadcnt_dscnt 0xa01
	v_mul_f64_e32 v[192:193], v[4:5], v[156:157]
	v_mul_f64_e32 v[156:157], v[6:7], v[156:157]
	v_fmac_f64_e32 v[188:189], v[164:165], v[138:139]
	v_fma_f64 v[162:163], v[162:163], v[138:139], -v[140:141]
	scratch_load_b128 v[138:141], off, off offset:880
	v_add_f64_e32 v[164:165], v[196:197], v[194:195]
	v_add_f64_e32 v[186:187], v[186:187], v[190:191]
	s_wait_loadcnt_dscnt 0xa00
	v_mul_f64_e32 v[190:191], v[146:147], v[144:145]
	v_mul_f64_e32 v[144:145], v[148:149], v[144:145]
	v_fmac_f64_e32 v[192:193], v[6:7], v[154:155]
	v_fma_f64 v[194:195], v[4:5], v[154:155], -v[156:157]
	ds_load_b128 v[4:7], v2 offset:1664
	ds_load_b128 v[154:157], v2 offset:1680
	v_add_f64_e32 v[196:197], v[164:165], v[162:163]
	v_add_f64_e32 v[186:187], v[186:187], v[188:189]
	scratch_load_b128 v[162:165], off, off offset:896
	s_wait_loadcnt_dscnt 0xa01
	v_mul_f64_e32 v[188:189], v[4:5], v[168:169]
	v_mul_f64_e32 v[168:169], v[6:7], v[168:169]
	v_fmac_f64_e32 v[190:191], v[148:149], v[142:143]
	v_fma_f64 v[146:147], v[146:147], v[142:143], -v[144:145]
	scratch_load_b128 v[142:145], off, off offset:912
	v_add_f64_e32 v[148:149], v[196:197], v[194:195]
	v_add_f64_e32 v[186:187], v[186:187], v[192:193]
	s_wait_loadcnt_dscnt 0xa00
	v_mul_f64_e32 v[192:193], v[154:155], v[152:153]
	v_mul_f64_e32 v[152:153], v[156:157], v[152:153]
	v_fmac_f64_e32 v[188:189], v[6:7], v[166:167]
	v_fma_f64 v[166:167], v[4:5], v[166:167], -v[168:169]
	v_add_f64_e32 v[168:169], v[148:149], v[146:147]
	v_add_f64_e32 v[186:187], v[186:187], v[190:191]
	ds_load_b128 v[4:7], v2 offset:1696
	ds_load_b128 v[146:149], v2 offset:1712
	v_fmac_f64_e32 v[192:193], v[156:157], v[150:151]
	v_fma_f64 v[150:151], v[154:155], v[150:151], -v[152:153]
	s_wait_loadcnt_dscnt 0x901
	v_mul_f64_e32 v[190:191], v[4:5], v[184:185]
	v_mul_f64_e32 v[184:185], v[6:7], v[184:185]
	s_wait_loadcnt_dscnt 0x800
	v_mul_f64_e32 v[156:157], v[146:147], v[12:13]
	v_mul_f64_e32 v[12:13], v[148:149], v[12:13]
	v_add_f64_e32 v[152:153], v[168:169], v[166:167]
	v_add_f64_e32 v[154:155], v[186:187], v[188:189]
	v_fmac_f64_e32 v[190:191], v[6:7], v[182:183]
	v_fma_f64 v[166:167], v[4:5], v[182:183], -v[184:185]
	v_fmac_f64_e32 v[156:157], v[148:149], v[10:11]
	v_fma_f64 v[10:11], v[146:147], v[10:11], -v[12:13]
	v_add_f64_e32 v[168:169], v[152:153], v[150:151]
	v_add_f64_e32 v[154:155], v[154:155], v[192:193]
	ds_load_b128 v[4:7], v2 offset:1728
	ds_load_b128 v[150:153], v2 offset:1744
	s_wait_loadcnt_dscnt 0x701
	v_mul_f64_e32 v[182:183], v[4:5], v[172:173]
	v_mul_f64_e32 v[172:173], v[6:7], v[172:173]
	s_wait_loadcnt_dscnt 0x600
	v_mul_f64_e32 v[148:149], v[150:151], v[136:137]
	v_mul_f64_e32 v[136:137], v[152:153], v[136:137]
	v_add_f64_e32 v[12:13], v[168:169], v[166:167]
	v_add_f64_e32 v[146:147], v[154:155], v[190:191]
	v_fmac_f64_e32 v[182:183], v[6:7], v[170:171]
	v_fma_f64 v[154:155], v[4:5], v[170:171], -v[172:173]
	v_fmac_f64_e32 v[148:149], v[152:153], v[134:135]
	v_fma_f64 v[134:135], v[150:151], v[134:135], -v[136:137]
	v_add_f64_e32 v[166:167], v[12:13], v[10:11]
	v_add_f64_e32 v[146:147], v[146:147], v[156:157]
	ds_load_b128 v[4:7], v2 offset:1760
	ds_load_b128 v[10:13], v2 offset:1776
	;; [unrolled: 16-line block ×3, first 2 shown]
	s_wait_loadcnt_dscnt 0x301
	v_mul_f64_e32 v[148:149], v[4:5], v[160:161]
	v_mul_f64_e32 v[160:161], v[6:7], v[160:161]
	v_add_f64_e32 v[12:13], v[136:137], v[154:155]
	v_add_f64_e32 v[130:131], v[146:147], v[156:157]
	s_wait_loadcnt_dscnt 0x200
	v_mul_f64_e32 v[136:137], v[132:133], v[140:141]
	v_mul_f64_e32 v[140:141], v[134:135], v[140:141]
	v_fmac_f64_e32 v[148:149], v[6:7], v[158:159]
	v_fma_f64 v[146:147], v[4:5], v[158:159], -v[160:161]
	v_add_f64_e32 v[152:153], v[12:13], v[10:11]
	v_add_f64_e32 v[130:131], v[130:131], v[150:151]
	ds_load_b128 v[4:7], v2 offset:1824
	ds_load_b128 v[10:13], v2 offset:1840
	v_fmac_f64_e32 v[136:137], v[134:135], v[138:139]
	v_fma_f64 v[132:133], v[132:133], v[138:139], -v[140:141]
	s_wait_loadcnt_dscnt 0x101
	v_mul_f64_e32 v[2:3], v[4:5], v[164:165]
	v_mul_f64_e32 v[150:151], v[6:7], v[164:165]
	s_wait_loadcnt_dscnt 0x0
	v_mul_f64_e32 v[138:139], v[10:11], v[144:145]
	v_mul_f64_e32 v[140:141], v[12:13], v[144:145]
	v_add_f64_e32 v[134:135], v[152:153], v[146:147]
	v_add_f64_e32 v[130:131], v[130:131], v[148:149]
	v_fmac_f64_e32 v[2:3], v[6:7], v[162:163]
	v_fma_f64 v[4:5], v[4:5], v[162:163], -v[150:151]
	v_fmac_f64_e32 v[138:139], v[12:13], v[142:143]
	v_fma_f64 v[10:11], v[10:11], v[142:143], -v[140:141]
	v_add_f64_e32 v[6:7], v[134:135], v[132:133]
	v_add_f64_e32 v[130:131], v[130:131], v[136:137]
	s_delay_alu instid0(VALU_DEP_2) | instskip(NEXT) | instid1(VALU_DEP_2)
	v_add_f64_e32 v[4:5], v[6:7], v[4:5]
	v_add_f64_e32 v[2:3], v[130:131], v[2:3]
	s_delay_alu instid0(VALU_DEP_2) | instskip(NEXT) | instid1(VALU_DEP_2)
	;; [unrolled: 3-line block ×3, first 2 shown]
	v_add_f64_e64 v[2:3], v[174:175], -v[4:5]
	v_add_f64_e64 v[4:5], v[176:177], -v[6:7]
	scratch_store_b128 off, v[2:5], off offset:368
	s_wait_xcnt 0x0
	v_cmpx_lt_u32_e32 22, v1
	s_cbranch_execz .LBB121_317
; %bb.316:
	scratch_load_b128 v[2:5], off, s52
	v_mov_b32_e32 v10, 0
	s_delay_alu instid0(VALU_DEP_1)
	v_dual_mov_b32 v11, v10 :: v_dual_mov_b32 v12, v10
	v_mov_b32_e32 v13, v10
	scratch_store_b128 off, v[10:13], off offset:352
	s_wait_loadcnt 0x0
	ds_store_b128 v8, v[2:5]
.LBB121_317:
	s_wait_xcnt 0x0
	s_or_b32 exec_lo, exec_lo, s2
	s_wait_storecnt_dscnt 0x0
	s_barrier_signal -1
	s_barrier_wait -1
	s_clause 0x9
	scratch_load_b128 v[4:7], off, off offset:368
	scratch_load_b128 v[10:13], off, off offset:384
	;; [unrolled: 1-line block ×10, first 2 shown]
	v_mov_b32_e32 v2, 0
	s_mov_b32 s2, exec_lo
	ds_load_b128 v[162:165], v2 offset:1296
	s_clause 0x2
	scratch_load_b128 v[166:169], off, off offset:528
	scratch_load_b128 v[170:173], off, off offset:352
	;; [unrolled: 1-line block ×3, first 2 shown]
	s_wait_loadcnt_dscnt 0xc00
	v_mul_f64_e32 v[182:183], v[164:165], v[6:7]
	v_mul_f64_e32 v[186:187], v[162:163], v[6:7]
	ds_load_b128 v[174:177], v2 offset:1312
	v_fma_f64 v[190:191], v[162:163], v[4:5], -v[182:183]
	v_fmac_f64_e32 v[186:187], v[164:165], v[4:5]
	ds_load_b128 v[4:7], v2 offset:1328
	s_wait_loadcnt_dscnt 0xb01
	v_mul_f64_e32 v[188:189], v[174:175], v[12:13]
	v_mul_f64_e32 v[12:13], v[176:177], v[12:13]
	scratch_load_b128 v[162:165], off, off offset:560
	ds_load_b128 v[182:185], v2 offset:1344
	s_wait_loadcnt_dscnt 0xb01
	v_mul_f64_e32 v[192:193], v[4:5], v[132:133]
	v_mul_f64_e32 v[132:133], v[6:7], v[132:133]
	v_add_f64_e32 v[186:187], 0, v[186:187]
	v_fmac_f64_e32 v[188:189], v[176:177], v[10:11]
	v_fma_f64 v[174:175], v[174:175], v[10:11], -v[12:13]
	v_add_f64_e32 v[176:177], 0, v[190:191]
	scratch_load_b128 v[10:13], off, off offset:576
	v_fmac_f64_e32 v[192:193], v[6:7], v[130:131]
	v_fma_f64 v[194:195], v[4:5], v[130:131], -v[132:133]
	ds_load_b128 v[4:7], v2 offset:1360
	s_wait_loadcnt_dscnt 0xb01
	v_mul_f64_e32 v[190:191], v[182:183], v[136:137]
	v_mul_f64_e32 v[136:137], v[184:185], v[136:137]
	scratch_load_b128 v[130:133], off, off offset:592
	v_add_f64_e32 v[186:187], v[186:187], v[188:189]
	v_add_f64_e32 v[196:197], v[176:177], v[174:175]
	ds_load_b128 v[174:177], v2 offset:1376
	s_wait_loadcnt_dscnt 0xb01
	v_mul_f64_e32 v[188:189], v[4:5], v[140:141]
	v_mul_f64_e32 v[140:141], v[6:7], v[140:141]
	v_fmac_f64_e32 v[190:191], v[184:185], v[134:135]
	v_fma_f64 v[182:183], v[182:183], v[134:135], -v[136:137]
	scratch_load_b128 v[134:137], off, off offset:608
	v_add_f64_e32 v[186:187], v[186:187], v[192:193]
	v_add_f64_e32 v[184:185], v[196:197], v[194:195]
	v_fmac_f64_e32 v[188:189], v[6:7], v[138:139]
	v_fma_f64 v[194:195], v[4:5], v[138:139], -v[140:141]
	ds_load_b128 v[4:7], v2 offset:1392
	s_wait_loadcnt_dscnt 0xb01
	v_mul_f64_e32 v[192:193], v[174:175], v[144:145]
	v_mul_f64_e32 v[144:145], v[176:177], v[144:145]
	scratch_load_b128 v[138:141], off, off offset:624
	v_add_f64_e32 v[186:187], v[186:187], v[190:191]
	s_wait_loadcnt_dscnt 0xb00
	v_mul_f64_e32 v[190:191], v[4:5], v[148:149]
	v_add_f64_e32 v[196:197], v[184:185], v[182:183]
	v_mul_f64_e32 v[148:149], v[6:7], v[148:149]
	ds_load_b128 v[182:185], v2 offset:1408
	v_fmac_f64_e32 v[192:193], v[176:177], v[142:143]
	v_fma_f64 v[174:175], v[174:175], v[142:143], -v[144:145]
	scratch_load_b128 v[142:145], off, off offset:640
	v_add_f64_e32 v[186:187], v[186:187], v[188:189]
	v_fmac_f64_e32 v[190:191], v[6:7], v[146:147]
	v_add_f64_e32 v[176:177], v[196:197], v[194:195]
	v_fma_f64 v[194:195], v[4:5], v[146:147], -v[148:149]
	ds_load_b128 v[4:7], v2 offset:1424
	s_wait_loadcnt_dscnt 0xb01
	v_mul_f64_e32 v[188:189], v[182:183], v[152:153]
	v_mul_f64_e32 v[152:153], v[184:185], v[152:153]
	scratch_load_b128 v[146:149], off, off offset:656
	v_add_f64_e32 v[186:187], v[186:187], v[192:193]
	s_wait_loadcnt_dscnt 0xb00
	v_mul_f64_e32 v[192:193], v[4:5], v[156:157]
	v_add_f64_e32 v[196:197], v[176:177], v[174:175]
	v_mul_f64_e32 v[156:157], v[6:7], v[156:157]
	ds_load_b128 v[174:177], v2 offset:1440
	v_fmac_f64_e32 v[188:189], v[184:185], v[150:151]
	v_fma_f64 v[182:183], v[182:183], v[150:151], -v[152:153]
	scratch_load_b128 v[150:153], off, off offset:672
	v_add_f64_e32 v[186:187], v[186:187], v[190:191]
	v_fmac_f64_e32 v[192:193], v[6:7], v[154:155]
	v_add_f64_e32 v[184:185], v[196:197], v[194:195]
	;; [unrolled: 18-line block ×3, first 2 shown]
	v_fma_f64 v[194:195], v[4:5], v[166:167], -v[168:169]
	ds_load_b128 v[4:7], v2 offset:1488
	s_wait_loadcnt_dscnt 0xa01
	v_mul_f64_e32 v[192:193], v[182:183], v[180:181]
	v_mul_f64_e32 v[180:181], v[184:185], v[180:181]
	scratch_load_b128 v[166:169], off, off offset:720
	v_add_f64_e32 v[186:187], v[186:187], v[190:191]
	v_add_f64_e32 v[196:197], v[176:177], v[174:175]
	s_wait_loadcnt_dscnt 0xa00
	v_mul_f64_e32 v[190:191], v[4:5], v[164:165]
	v_mul_f64_e32 v[164:165], v[6:7], v[164:165]
	v_fmac_f64_e32 v[192:193], v[184:185], v[178:179]
	v_fma_f64 v[182:183], v[182:183], v[178:179], -v[180:181]
	ds_load_b128 v[174:177], v2 offset:1504
	scratch_load_b128 v[178:181], off, off offset:736
	v_add_f64_e32 v[186:187], v[186:187], v[188:189]
	v_add_f64_e32 v[184:185], v[196:197], v[194:195]
	v_fmac_f64_e32 v[190:191], v[6:7], v[162:163]
	v_fma_f64 v[194:195], v[4:5], v[162:163], -v[164:165]
	ds_load_b128 v[4:7], v2 offset:1520
	s_wait_loadcnt_dscnt 0xa01
	v_mul_f64_e32 v[188:189], v[174:175], v[12:13]
	v_mul_f64_e32 v[12:13], v[176:177], v[12:13]
	scratch_load_b128 v[162:165], off, off offset:752
	v_add_f64_e32 v[186:187], v[186:187], v[192:193]
	s_wait_loadcnt_dscnt 0xa00
	v_mul_f64_e32 v[192:193], v[4:5], v[132:133]
	v_add_f64_e32 v[196:197], v[184:185], v[182:183]
	v_mul_f64_e32 v[132:133], v[6:7], v[132:133]
	ds_load_b128 v[182:185], v2 offset:1536
	v_fmac_f64_e32 v[188:189], v[176:177], v[10:11]
	v_fma_f64 v[174:175], v[174:175], v[10:11], -v[12:13]
	scratch_load_b128 v[10:13], off, off offset:768
	v_add_f64_e32 v[186:187], v[186:187], v[190:191]
	v_fmac_f64_e32 v[192:193], v[6:7], v[130:131]
	v_add_f64_e32 v[176:177], v[196:197], v[194:195]
	v_fma_f64 v[194:195], v[4:5], v[130:131], -v[132:133]
	ds_load_b128 v[4:7], v2 offset:1552
	s_wait_loadcnt_dscnt 0xa01
	v_mul_f64_e32 v[190:191], v[182:183], v[136:137]
	v_mul_f64_e32 v[136:137], v[184:185], v[136:137]
	scratch_load_b128 v[130:133], off, off offset:784
	v_add_f64_e32 v[186:187], v[186:187], v[188:189]
	s_wait_loadcnt_dscnt 0xa00
	v_mul_f64_e32 v[188:189], v[4:5], v[140:141]
	v_add_f64_e32 v[196:197], v[176:177], v[174:175]
	v_mul_f64_e32 v[140:141], v[6:7], v[140:141]
	ds_load_b128 v[174:177], v2 offset:1568
	v_fmac_f64_e32 v[190:191], v[184:185], v[134:135]
	v_fma_f64 v[182:183], v[182:183], v[134:135], -v[136:137]
	scratch_load_b128 v[134:137], off, off offset:800
	v_add_f64_e32 v[186:187], v[186:187], v[192:193]
	v_fmac_f64_e32 v[188:189], v[6:7], v[138:139]
	v_add_f64_e32 v[184:185], v[196:197], v[194:195]
	;; [unrolled: 18-line block ×5, first 2 shown]
	v_fma_f64 v[194:195], v[4:5], v[166:167], -v[168:169]
	ds_load_b128 v[4:7], v2 offset:1680
	s_wait_loadcnt_dscnt 0xa01
	v_mul_f64_e32 v[192:193], v[182:183], v[180:181]
	v_mul_f64_e32 v[180:181], v[184:185], v[180:181]
	scratch_load_b128 v[166:169], off, off offset:912
	v_add_f64_e32 v[186:187], v[186:187], v[190:191]
	s_wait_loadcnt_dscnt 0xa00
	v_mul_f64_e32 v[190:191], v[4:5], v[164:165]
	v_add_f64_e32 v[196:197], v[176:177], v[174:175]
	v_mul_f64_e32 v[164:165], v[6:7], v[164:165]
	ds_load_b128 v[174:177], v2 offset:1696
	v_fmac_f64_e32 v[192:193], v[184:185], v[178:179]
	v_fma_f64 v[178:179], v[182:183], v[178:179], -v[180:181]
	s_wait_loadcnt_dscnt 0x900
	v_mul_f64_e32 v[184:185], v[174:175], v[12:13]
	v_mul_f64_e32 v[12:13], v[176:177], v[12:13]
	v_add_f64_e32 v[182:183], v[186:187], v[188:189]
	v_fmac_f64_e32 v[190:191], v[6:7], v[162:163]
	v_add_f64_e32 v[180:181], v[196:197], v[194:195]
	v_fma_f64 v[186:187], v[4:5], v[162:163], -v[164:165]
	ds_load_b128 v[4:7], v2 offset:1712
	ds_load_b128 v[162:165], v2 offset:1728
	v_fmac_f64_e32 v[184:185], v[176:177], v[10:11]
	v_fma_f64 v[10:11], v[174:175], v[10:11], -v[12:13]
	v_add_f64_e32 v[178:179], v[180:181], v[178:179]
	v_add_f64_e32 v[180:181], v[182:183], v[192:193]
	s_wait_loadcnt_dscnt 0x801
	v_mul_f64_e32 v[182:183], v[4:5], v[132:133]
	v_mul_f64_e32 v[132:133], v[6:7], v[132:133]
	s_wait_loadcnt_dscnt 0x700
	v_mul_f64_e32 v[176:177], v[162:163], v[136:137]
	v_mul_f64_e32 v[136:137], v[164:165], v[136:137]
	v_add_f64_e32 v[12:13], v[178:179], v[186:187]
	v_add_f64_e32 v[174:175], v[180:181], v[190:191]
	v_fmac_f64_e32 v[182:183], v[6:7], v[130:131]
	v_fma_f64 v[130:131], v[4:5], v[130:131], -v[132:133]
	v_fmac_f64_e32 v[176:177], v[164:165], v[134:135]
	v_fma_f64 v[134:135], v[162:163], v[134:135], -v[136:137]
	v_add_f64_e32 v[132:133], v[12:13], v[10:11]
	v_add_f64_e32 v[174:175], v[174:175], v[184:185]
	ds_load_b128 v[4:7], v2 offset:1744
	ds_load_b128 v[10:13], v2 offset:1760
	s_wait_loadcnt_dscnt 0x601
	v_mul_f64_e32 v[178:179], v[4:5], v[140:141]
	v_mul_f64_e32 v[140:141], v[6:7], v[140:141]
	s_wait_loadcnt_dscnt 0x500
	v_mul_f64_e32 v[136:137], v[10:11], v[144:145]
	v_mul_f64_e32 v[144:145], v[12:13], v[144:145]
	v_add_f64_e32 v[130:131], v[132:133], v[130:131]
	v_add_f64_e32 v[132:133], v[174:175], v[182:183]
	v_fmac_f64_e32 v[178:179], v[6:7], v[138:139]
	v_fma_f64 v[138:139], v[4:5], v[138:139], -v[140:141]
	v_fmac_f64_e32 v[136:137], v[12:13], v[142:143]
	v_fma_f64 v[10:11], v[10:11], v[142:143], -v[144:145]
	v_add_f64_e32 v[134:135], v[130:131], v[134:135]
	v_add_f64_e32 v[140:141], v[132:133], v[176:177]
	ds_load_b128 v[4:7], v2 offset:1776
	ds_load_b128 v[130:133], v2 offset:1792
	s_wait_loadcnt_dscnt 0x401
	v_mul_f64_e32 v[162:163], v[4:5], v[148:149]
	v_mul_f64_e32 v[148:149], v[6:7], v[148:149]
	v_add_f64_e32 v[12:13], v[134:135], v[138:139]
	v_add_f64_e32 v[134:135], v[140:141], v[178:179]
	s_wait_loadcnt_dscnt 0x300
	v_mul_f64_e32 v[138:139], v[130:131], v[152:153]
	v_mul_f64_e32 v[140:141], v[132:133], v[152:153]
	v_fmac_f64_e32 v[162:163], v[6:7], v[146:147]
	v_fma_f64 v[142:143], v[4:5], v[146:147], -v[148:149]
	v_add_f64_e32 v[144:145], v[12:13], v[10:11]
	v_add_f64_e32 v[134:135], v[134:135], v[136:137]
	ds_load_b128 v[4:7], v2 offset:1808
	ds_load_b128 v[10:13], v2 offset:1824
	v_fmac_f64_e32 v[138:139], v[132:133], v[150:151]
	v_fma_f64 v[130:131], v[130:131], v[150:151], -v[140:141]
	s_wait_loadcnt_dscnt 0x201
	v_mul_f64_e32 v[136:137], v[4:5], v[156:157]
	v_mul_f64_e32 v[146:147], v[6:7], v[156:157]
	s_wait_loadcnt_dscnt 0x100
	v_mul_f64_e32 v[140:141], v[10:11], v[160:161]
	v_add_f64_e32 v[132:133], v[144:145], v[142:143]
	v_add_f64_e32 v[134:135], v[134:135], v[162:163]
	v_mul_f64_e32 v[142:143], v[12:13], v[160:161]
	v_fmac_f64_e32 v[136:137], v[6:7], v[154:155]
	v_fma_f64 v[144:145], v[4:5], v[154:155], -v[146:147]
	ds_load_b128 v[4:7], v2 offset:1840
	v_fmac_f64_e32 v[140:141], v[12:13], v[158:159]
	v_add_f64_e32 v[130:131], v[132:133], v[130:131]
	v_add_f64_e32 v[132:133], v[134:135], v[138:139]
	v_fma_f64 v[10:11], v[10:11], v[158:159], -v[142:143]
	s_wait_loadcnt_dscnt 0x0
	v_mul_f64_e32 v[134:135], v[4:5], v[168:169]
	v_mul_f64_e32 v[138:139], v[6:7], v[168:169]
	v_add_f64_e32 v[12:13], v[130:131], v[144:145]
	v_add_f64_e32 v[130:131], v[132:133], v[136:137]
	s_delay_alu instid0(VALU_DEP_4) | instskip(NEXT) | instid1(VALU_DEP_4)
	v_fmac_f64_e32 v[134:135], v[6:7], v[166:167]
	v_fma_f64 v[4:5], v[4:5], v[166:167], -v[138:139]
	s_delay_alu instid0(VALU_DEP_4) | instskip(NEXT) | instid1(VALU_DEP_4)
	v_add_f64_e32 v[6:7], v[12:13], v[10:11]
	v_add_f64_e32 v[10:11], v[130:131], v[140:141]
	s_delay_alu instid0(VALU_DEP_2) | instskip(NEXT) | instid1(VALU_DEP_2)
	v_add_f64_e32 v[4:5], v[6:7], v[4:5]
	v_add_f64_e32 v[6:7], v[10:11], v[134:135]
	s_delay_alu instid0(VALU_DEP_2) | instskip(NEXT) | instid1(VALU_DEP_2)
	v_add_f64_e64 v[4:5], v[170:171], -v[4:5]
	v_add_f64_e64 v[6:7], v[172:173], -v[6:7]
	scratch_store_b128 off, v[4:7], off offset:352
	s_wait_xcnt 0x0
	v_cmpx_lt_u32_e32 21, v1
	s_cbranch_execz .LBB121_319
; %bb.318:
	scratch_load_b128 v[10:13], off, s53
	v_dual_mov_b32 v3, v2 :: v_dual_mov_b32 v4, v2
	v_mov_b32_e32 v5, v2
	scratch_store_b128 off, v[2:5], off offset:336
	s_wait_loadcnt 0x0
	ds_store_b128 v8, v[10:13]
.LBB121_319:
	s_wait_xcnt 0x0
	s_or_b32 exec_lo, exec_lo, s2
	s_wait_storecnt_dscnt 0x0
	s_barrier_signal -1
	s_barrier_wait -1
	s_clause 0x9
	scratch_load_b128 v[4:7], off, off offset:352
	scratch_load_b128 v[10:13], off, off offset:368
	;; [unrolled: 1-line block ×10, first 2 shown]
	ds_load_b128 v[162:165], v2 offset:1280
	ds_load_b128 v[170:173], v2 offset:1296
	s_clause 0x2
	scratch_load_b128 v[166:169], off, off offset:512
	scratch_load_b128 v[174:177], off, off offset:336
	;; [unrolled: 1-line block ×3, first 2 shown]
	s_mov_b32 s2, exec_lo
	s_wait_loadcnt_dscnt 0xc01
	v_mul_f64_e32 v[182:183], v[164:165], v[6:7]
	v_mul_f64_e32 v[186:187], v[162:163], v[6:7]
	s_wait_loadcnt_dscnt 0xb00
	v_mul_f64_e32 v[188:189], v[170:171], v[12:13]
	v_mul_f64_e32 v[12:13], v[172:173], v[12:13]
	s_delay_alu instid0(VALU_DEP_4) | instskip(NEXT) | instid1(VALU_DEP_4)
	v_fma_f64 v[190:191], v[162:163], v[4:5], -v[182:183]
	v_fmac_f64_e32 v[186:187], v[164:165], v[4:5]
	ds_load_b128 v[4:7], v2 offset:1312
	ds_load_b128 v[162:165], v2 offset:1328
	scratch_load_b128 v[182:185], off, off offset:544
	v_fmac_f64_e32 v[188:189], v[172:173], v[10:11]
	v_fma_f64 v[170:171], v[170:171], v[10:11], -v[12:13]
	scratch_load_b128 v[10:13], off, off offset:560
	s_wait_loadcnt_dscnt 0xc01
	v_mul_f64_e32 v[192:193], v[4:5], v[132:133]
	v_mul_f64_e32 v[132:133], v[6:7], v[132:133]
	v_add_f64_e32 v[172:173], 0, v[190:191]
	v_add_f64_e32 v[186:187], 0, v[186:187]
	s_wait_loadcnt_dscnt 0xb00
	v_mul_f64_e32 v[190:191], v[162:163], v[136:137]
	v_mul_f64_e32 v[136:137], v[164:165], v[136:137]
	v_fmac_f64_e32 v[192:193], v[6:7], v[130:131]
	v_fma_f64 v[194:195], v[4:5], v[130:131], -v[132:133]
	ds_load_b128 v[4:7], v2 offset:1344
	ds_load_b128 v[130:133], v2 offset:1360
	v_add_f64_e32 v[196:197], v[172:173], v[170:171]
	v_add_f64_e32 v[186:187], v[186:187], v[188:189]
	scratch_load_b128 v[170:173], off, off offset:576
	v_fmac_f64_e32 v[190:191], v[164:165], v[134:135]
	v_fma_f64 v[162:163], v[162:163], v[134:135], -v[136:137]
	scratch_load_b128 v[134:137], off, off offset:592
	s_wait_loadcnt_dscnt 0xc01
	v_mul_f64_e32 v[188:189], v[4:5], v[140:141]
	v_mul_f64_e32 v[140:141], v[6:7], v[140:141]
	v_add_f64_e32 v[164:165], v[196:197], v[194:195]
	v_add_f64_e32 v[186:187], v[186:187], v[192:193]
	s_wait_loadcnt_dscnt 0xb00
	v_mul_f64_e32 v[192:193], v[130:131], v[144:145]
	v_mul_f64_e32 v[144:145], v[132:133], v[144:145]
	v_fmac_f64_e32 v[188:189], v[6:7], v[138:139]
	v_fma_f64 v[194:195], v[4:5], v[138:139], -v[140:141]
	ds_load_b128 v[4:7], v2 offset:1376
	ds_load_b128 v[138:141], v2 offset:1392
	v_add_f64_e32 v[196:197], v[164:165], v[162:163]
	v_add_f64_e32 v[186:187], v[186:187], v[190:191]
	scratch_load_b128 v[162:165], off, off offset:608
	s_wait_loadcnt_dscnt 0xb01
	v_mul_f64_e32 v[190:191], v[4:5], v[148:149]
	v_mul_f64_e32 v[148:149], v[6:7], v[148:149]
	v_fmac_f64_e32 v[192:193], v[132:133], v[142:143]
	v_fma_f64 v[142:143], v[130:131], v[142:143], -v[144:145]
	scratch_load_b128 v[130:133], off, off offset:624
	v_add_f64_e32 v[144:145], v[196:197], v[194:195]
	v_add_f64_e32 v[186:187], v[186:187], v[188:189]
	s_wait_loadcnt_dscnt 0xb00
	v_mul_f64_e32 v[188:189], v[138:139], v[152:153]
	v_mul_f64_e32 v[152:153], v[140:141], v[152:153]
	v_fmac_f64_e32 v[190:191], v[6:7], v[146:147]
	v_fma_f64 v[194:195], v[4:5], v[146:147], -v[148:149]
	v_add_f64_e32 v[196:197], v[144:145], v[142:143]
	v_add_f64_e32 v[186:187], v[186:187], v[192:193]
	ds_load_b128 v[4:7], v2 offset:1408
	ds_load_b128 v[142:145], v2 offset:1424
	scratch_load_b128 v[146:149], off, off offset:640
	v_fmac_f64_e32 v[188:189], v[140:141], v[150:151]
	v_fma_f64 v[150:151], v[138:139], v[150:151], -v[152:153]
	scratch_load_b128 v[138:141], off, off offset:656
	s_wait_loadcnt_dscnt 0xc01
	v_mul_f64_e32 v[192:193], v[4:5], v[156:157]
	v_mul_f64_e32 v[156:157], v[6:7], v[156:157]
	v_add_f64_e32 v[152:153], v[196:197], v[194:195]
	v_add_f64_e32 v[186:187], v[186:187], v[190:191]
	s_wait_loadcnt_dscnt 0xb00
	v_mul_f64_e32 v[190:191], v[142:143], v[160:161]
	v_mul_f64_e32 v[160:161], v[144:145], v[160:161]
	v_fmac_f64_e32 v[192:193], v[6:7], v[154:155]
	v_fma_f64 v[194:195], v[4:5], v[154:155], -v[156:157]
	v_add_f64_e32 v[196:197], v[152:153], v[150:151]
	v_add_f64_e32 v[186:187], v[186:187], v[188:189]
	ds_load_b128 v[4:7], v2 offset:1440
	ds_load_b128 v[150:153], v2 offset:1456
	scratch_load_b128 v[154:157], off, off offset:672
	v_fmac_f64_e32 v[190:191], v[144:145], v[158:159]
	v_fma_f64 v[158:159], v[142:143], v[158:159], -v[160:161]
	scratch_load_b128 v[142:145], off, off offset:688
	s_wait_loadcnt_dscnt 0xc01
	v_mul_f64_e32 v[188:189], v[4:5], v[168:169]
	v_mul_f64_e32 v[168:169], v[6:7], v[168:169]
	;; [unrolled: 18-line block ×5, first 2 shown]
	v_add_f64_e32 v[180:181], v[196:197], v[194:195]
	v_add_f64_e32 v[186:187], v[186:187], v[192:193]
	s_wait_loadcnt_dscnt 0xa00
	v_mul_f64_e32 v[192:193], v[158:159], v[132:133]
	v_mul_f64_e32 v[132:133], v[160:161], v[132:133]
	v_fmac_f64_e32 v[188:189], v[6:7], v[162:163]
	v_fma_f64 v[194:195], v[4:5], v[162:163], -v[164:165]
	ds_load_b128 v[4:7], v2 offset:1568
	ds_load_b128 v[162:165], v2 offset:1584
	v_add_f64_e32 v[196:197], v[180:181], v[178:179]
	v_add_f64_e32 v[186:187], v[186:187], v[190:191]
	scratch_load_b128 v[178:181], off, off offset:800
	v_fmac_f64_e32 v[192:193], v[160:161], v[130:131]
	v_fma_f64 v[158:159], v[158:159], v[130:131], -v[132:133]
	scratch_load_b128 v[130:133], off, off offset:816
	s_wait_loadcnt_dscnt 0xb01
	v_mul_f64_e32 v[190:191], v[4:5], v[148:149]
	v_mul_f64_e32 v[148:149], v[6:7], v[148:149]
	v_add_f64_e32 v[160:161], v[196:197], v[194:195]
	v_add_f64_e32 v[186:187], v[186:187], v[188:189]
	s_wait_loadcnt_dscnt 0xa00
	v_mul_f64_e32 v[188:189], v[162:163], v[140:141]
	v_mul_f64_e32 v[140:141], v[164:165], v[140:141]
	v_fmac_f64_e32 v[190:191], v[6:7], v[146:147]
	v_fma_f64 v[194:195], v[4:5], v[146:147], -v[148:149]
	ds_load_b128 v[4:7], v2 offset:1600
	ds_load_b128 v[146:149], v2 offset:1616
	v_add_f64_e32 v[196:197], v[160:161], v[158:159]
	v_add_f64_e32 v[186:187], v[186:187], v[192:193]
	scratch_load_b128 v[158:161], off, off offset:832
	s_wait_loadcnt_dscnt 0xa01
	v_mul_f64_e32 v[192:193], v[4:5], v[156:157]
	v_mul_f64_e32 v[156:157], v[6:7], v[156:157]
	v_fmac_f64_e32 v[188:189], v[164:165], v[138:139]
	v_fma_f64 v[162:163], v[162:163], v[138:139], -v[140:141]
	scratch_load_b128 v[138:141], off, off offset:848
	v_add_f64_e32 v[164:165], v[196:197], v[194:195]
	v_add_f64_e32 v[186:187], v[186:187], v[190:191]
	s_wait_loadcnt_dscnt 0xa00
	v_mul_f64_e32 v[190:191], v[146:147], v[144:145]
	v_mul_f64_e32 v[144:145], v[148:149], v[144:145]
	v_fmac_f64_e32 v[192:193], v[6:7], v[154:155]
	v_fma_f64 v[194:195], v[4:5], v[154:155], -v[156:157]
	ds_load_b128 v[4:7], v2 offset:1632
	ds_load_b128 v[154:157], v2 offset:1648
	v_add_f64_e32 v[196:197], v[164:165], v[162:163]
	v_add_f64_e32 v[186:187], v[186:187], v[188:189]
	scratch_load_b128 v[162:165], off, off offset:864
	s_wait_loadcnt_dscnt 0xa01
	v_mul_f64_e32 v[188:189], v[4:5], v[168:169]
	v_mul_f64_e32 v[168:169], v[6:7], v[168:169]
	v_fmac_f64_e32 v[190:191], v[148:149], v[142:143]
	v_fma_f64 v[146:147], v[146:147], v[142:143], -v[144:145]
	scratch_load_b128 v[142:145], off, off offset:880
	v_add_f64_e32 v[148:149], v[196:197], v[194:195]
	v_add_f64_e32 v[186:187], v[186:187], v[192:193]
	s_wait_loadcnt_dscnt 0xa00
	v_mul_f64_e32 v[192:193], v[154:155], v[152:153]
	v_mul_f64_e32 v[152:153], v[156:157], v[152:153]
	v_fmac_f64_e32 v[188:189], v[6:7], v[166:167]
	v_fma_f64 v[194:195], v[4:5], v[166:167], -v[168:169]
	v_add_f64_e32 v[196:197], v[148:149], v[146:147]
	v_add_f64_e32 v[186:187], v[186:187], v[190:191]
	ds_load_b128 v[4:7], v2 offset:1664
	ds_load_b128 v[146:149], v2 offset:1680
	scratch_load_b128 v[166:169], off, off offset:896
	v_fmac_f64_e32 v[192:193], v[156:157], v[150:151]
	v_fma_f64 v[154:155], v[154:155], v[150:151], -v[152:153]
	scratch_load_b128 v[150:153], off, off offset:912
	s_wait_loadcnt_dscnt 0xb01
	v_mul_f64_e32 v[190:191], v[4:5], v[184:185]
	v_mul_f64_e32 v[184:185], v[6:7], v[184:185]
	v_add_f64_e32 v[156:157], v[196:197], v[194:195]
	v_add_f64_e32 v[186:187], v[186:187], v[188:189]
	s_wait_loadcnt_dscnt 0xa00
	v_mul_f64_e32 v[188:189], v[146:147], v[12:13]
	v_mul_f64_e32 v[12:13], v[148:149], v[12:13]
	v_fmac_f64_e32 v[190:191], v[6:7], v[182:183]
	v_fma_f64 v[182:183], v[4:5], v[182:183], -v[184:185]
	v_add_f64_e32 v[184:185], v[156:157], v[154:155]
	v_add_f64_e32 v[186:187], v[186:187], v[192:193]
	ds_load_b128 v[4:7], v2 offset:1696
	ds_load_b128 v[154:157], v2 offset:1712
	v_fmac_f64_e32 v[188:189], v[148:149], v[10:11]
	v_fma_f64 v[10:11], v[146:147], v[10:11], -v[12:13]
	s_wait_loadcnt_dscnt 0x901
	v_mul_f64_e32 v[192:193], v[4:5], v[172:173]
	v_mul_f64_e32 v[172:173], v[6:7], v[172:173]
	s_wait_loadcnt_dscnt 0x800
	v_mul_f64_e32 v[148:149], v[154:155], v[136:137]
	v_mul_f64_e32 v[136:137], v[156:157], v[136:137]
	v_add_f64_e32 v[12:13], v[184:185], v[182:183]
	v_add_f64_e32 v[146:147], v[186:187], v[190:191]
	v_fmac_f64_e32 v[192:193], v[6:7], v[170:171]
	v_fma_f64 v[170:171], v[4:5], v[170:171], -v[172:173]
	v_fmac_f64_e32 v[148:149], v[156:157], v[134:135]
	v_fma_f64 v[134:135], v[154:155], v[134:135], -v[136:137]
	v_add_f64_e32 v[172:173], v[12:13], v[10:11]
	v_add_f64_e32 v[146:147], v[146:147], v[188:189]
	ds_load_b128 v[4:7], v2 offset:1728
	ds_load_b128 v[10:13], v2 offset:1744
	s_wait_loadcnt_dscnt 0x701
	v_mul_f64_e32 v[182:183], v[4:5], v[180:181]
	v_mul_f64_e32 v[180:181], v[6:7], v[180:181]
	s_wait_loadcnt_dscnt 0x600
	v_mul_f64_e32 v[154:155], v[10:11], v[132:133]
	v_mul_f64_e32 v[156:157], v[12:13], v[132:133]
	v_add_f64_e32 v[136:137], v[172:173], v[170:171]
	v_add_f64_e32 v[146:147], v[146:147], v[192:193]
	v_fmac_f64_e32 v[182:183], v[6:7], v[178:179]
	v_fma_f64 v[170:171], v[4:5], v[178:179], -v[180:181]
	v_fmac_f64_e32 v[154:155], v[12:13], v[130:131]
	v_fma_f64 v[10:11], v[10:11], v[130:131], -v[156:157]
	v_add_f64_e32 v[136:137], v[136:137], v[134:135]
	v_add_f64_e32 v[146:147], v[146:147], v[148:149]
	ds_load_b128 v[4:7], v2 offset:1760
	ds_load_b128 v[132:135], v2 offset:1776
	s_wait_loadcnt_dscnt 0x501
	v_mul_f64_e32 v[148:149], v[4:5], v[160:161]
	v_mul_f64_e32 v[160:161], v[6:7], v[160:161]
	v_add_f64_e32 v[12:13], v[136:137], v[170:171]
	v_add_f64_e32 v[130:131], v[146:147], v[182:183]
	s_wait_loadcnt_dscnt 0x400
	v_mul_f64_e32 v[136:137], v[132:133], v[140:141]
	v_mul_f64_e32 v[140:141], v[134:135], v[140:141]
	v_fmac_f64_e32 v[148:149], v[6:7], v[158:159]
	v_fma_f64 v[146:147], v[4:5], v[158:159], -v[160:161]
	v_add_f64_e32 v[156:157], v[12:13], v[10:11]
	v_add_f64_e32 v[130:131], v[130:131], v[154:155]
	ds_load_b128 v[4:7], v2 offset:1792
	ds_load_b128 v[10:13], v2 offset:1808
	v_fmac_f64_e32 v[136:137], v[134:135], v[138:139]
	v_fma_f64 v[132:133], v[132:133], v[138:139], -v[140:141]
	s_wait_loadcnt_dscnt 0x301
	v_mul_f64_e32 v[154:155], v[4:5], v[164:165]
	v_mul_f64_e32 v[158:159], v[6:7], v[164:165]
	s_wait_loadcnt_dscnt 0x200
	v_mul_f64_e32 v[138:139], v[10:11], v[144:145]
	v_mul_f64_e32 v[140:141], v[12:13], v[144:145]
	v_add_f64_e32 v[134:135], v[156:157], v[146:147]
	v_add_f64_e32 v[130:131], v[130:131], v[148:149]
	v_fmac_f64_e32 v[154:155], v[6:7], v[162:163]
	v_fma_f64 v[144:145], v[4:5], v[162:163], -v[158:159]
	v_fmac_f64_e32 v[138:139], v[12:13], v[142:143]
	v_fma_f64 v[10:11], v[10:11], v[142:143], -v[140:141]
	v_add_f64_e32 v[134:135], v[134:135], v[132:133]
	v_add_f64_e32 v[136:137], v[130:131], v[136:137]
	ds_load_b128 v[4:7], v2 offset:1824
	ds_load_b128 v[130:133], v2 offset:1840
	s_wait_loadcnt_dscnt 0x101
	v_mul_f64_e32 v[2:3], v[4:5], v[168:169]
	v_mul_f64_e32 v[146:147], v[6:7], v[168:169]
	s_wait_loadcnt_dscnt 0x0
	v_mul_f64_e32 v[140:141], v[132:133], v[152:153]
	v_add_f64_e32 v[12:13], v[134:135], v[144:145]
	v_add_f64_e32 v[134:135], v[136:137], v[154:155]
	v_mul_f64_e32 v[136:137], v[130:131], v[152:153]
	v_fmac_f64_e32 v[2:3], v[6:7], v[166:167]
	v_fma_f64 v[4:5], v[4:5], v[166:167], -v[146:147]
	v_add_f64_e32 v[6:7], v[12:13], v[10:11]
	v_add_f64_e32 v[10:11], v[134:135], v[138:139]
	v_fmac_f64_e32 v[136:137], v[132:133], v[150:151]
	v_fma_f64 v[12:13], v[130:131], v[150:151], -v[140:141]
	s_delay_alu instid0(VALU_DEP_4) | instskip(NEXT) | instid1(VALU_DEP_4)
	v_add_f64_e32 v[4:5], v[6:7], v[4:5]
	v_add_f64_e32 v[2:3], v[10:11], v[2:3]
	s_delay_alu instid0(VALU_DEP_2) | instskip(NEXT) | instid1(VALU_DEP_2)
	v_add_f64_e32 v[4:5], v[4:5], v[12:13]
	v_add_f64_e32 v[6:7], v[2:3], v[136:137]
	s_delay_alu instid0(VALU_DEP_2) | instskip(NEXT) | instid1(VALU_DEP_2)
	v_add_f64_e64 v[2:3], v[174:175], -v[4:5]
	v_add_f64_e64 v[4:5], v[176:177], -v[6:7]
	scratch_store_b128 off, v[2:5], off offset:336
	s_wait_xcnt 0x0
	v_cmpx_lt_u32_e32 20, v1
	s_cbranch_execz .LBB121_321
; %bb.320:
	scratch_load_b128 v[2:5], off, s54
	v_mov_b32_e32 v10, 0
	s_delay_alu instid0(VALU_DEP_1)
	v_dual_mov_b32 v11, v10 :: v_dual_mov_b32 v12, v10
	v_mov_b32_e32 v13, v10
	scratch_store_b128 off, v[10:13], off offset:320
	s_wait_loadcnt 0x0
	ds_store_b128 v8, v[2:5]
.LBB121_321:
	s_wait_xcnt 0x0
	s_or_b32 exec_lo, exec_lo, s2
	s_wait_storecnt_dscnt 0x0
	s_barrier_signal -1
	s_barrier_wait -1
	s_clause 0x9
	scratch_load_b128 v[4:7], off, off offset:336
	scratch_load_b128 v[10:13], off, off offset:352
	;; [unrolled: 1-line block ×10, first 2 shown]
	v_mov_b32_e32 v2, 0
	s_mov_b32 s2, exec_lo
	ds_load_b128 v[162:165], v2 offset:1264
	s_clause 0x2
	scratch_load_b128 v[166:169], off, off offset:496
	scratch_load_b128 v[170:173], off, off offset:320
	;; [unrolled: 1-line block ×3, first 2 shown]
	s_wait_loadcnt_dscnt 0xc00
	v_mul_f64_e32 v[182:183], v[164:165], v[6:7]
	v_mul_f64_e32 v[186:187], v[162:163], v[6:7]
	ds_load_b128 v[174:177], v2 offset:1280
	v_fma_f64 v[190:191], v[162:163], v[4:5], -v[182:183]
	v_fmac_f64_e32 v[186:187], v[164:165], v[4:5]
	ds_load_b128 v[4:7], v2 offset:1296
	s_wait_loadcnt_dscnt 0xb01
	v_mul_f64_e32 v[188:189], v[174:175], v[12:13]
	v_mul_f64_e32 v[12:13], v[176:177], v[12:13]
	scratch_load_b128 v[162:165], off, off offset:528
	ds_load_b128 v[182:185], v2 offset:1312
	s_wait_loadcnt_dscnt 0xb01
	v_mul_f64_e32 v[192:193], v[4:5], v[132:133]
	v_mul_f64_e32 v[132:133], v[6:7], v[132:133]
	v_add_f64_e32 v[186:187], 0, v[186:187]
	v_fmac_f64_e32 v[188:189], v[176:177], v[10:11]
	v_fma_f64 v[174:175], v[174:175], v[10:11], -v[12:13]
	v_add_f64_e32 v[176:177], 0, v[190:191]
	scratch_load_b128 v[10:13], off, off offset:544
	v_fmac_f64_e32 v[192:193], v[6:7], v[130:131]
	v_fma_f64 v[194:195], v[4:5], v[130:131], -v[132:133]
	ds_load_b128 v[4:7], v2 offset:1328
	s_wait_loadcnt_dscnt 0xb01
	v_mul_f64_e32 v[190:191], v[182:183], v[136:137]
	v_mul_f64_e32 v[136:137], v[184:185], v[136:137]
	scratch_load_b128 v[130:133], off, off offset:560
	v_add_f64_e32 v[186:187], v[186:187], v[188:189]
	v_add_f64_e32 v[196:197], v[176:177], v[174:175]
	ds_load_b128 v[174:177], v2 offset:1344
	s_wait_loadcnt_dscnt 0xb01
	v_mul_f64_e32 v[188:189], v[4:5], v[140:141]
	v_mul_f64_e32 v[140:141], v[6:7], v[140:141]
	v_fmac_f64_e32 v[190:191], v[184:185], v[134:135]
	v_fma_f64 v[182:183], v[182:183], v[134:135], -v[136:137]
	scratch_load_b128 v[134:137], off, off offset:576
	v_add_f64_e32 v[186:187], v[186:187], v[192:193]
	v_add_f64_e32 v[184:185], v[196:197], v[194:195]
	v_fmac_f64_e32 v[188:189], v[6:7], v[138:139]
	v_fma_f64 v[194:195], v[4:5], v[138:139], -v[140:141]
	ds_load_b128 v[4:7], v2 offset:1360
	s_wait_loadcnt_dscnt 0xb01
	v_mul_f64_e32 v[192:193], v[174:175], v[144:145]
	v_mul_f64_e32 v[144:145], v[176:177], v[144:145]
	scratch_load_b128 v[138:141], off, off offset:592
	v_add_f64_e32 v[186:187], v[186:187], v[190:191]
	s_wait_loadcnt_dscnt 0xb00
	v_mul_f64_e32 v[190:191], v[4:5], v[148:149]
	v_add_f64_e32 v[196:197], v[184:185], v[182:183]
	v_mul_f64_e32 v[148:149], v[6:7], v[148:149]
	ds_load_b128 v[182:185], v2 offset:1376
	v_fmac_f64_e32 v[192:193], v[176:177], v[142:143]
	v_fma_f64 v[174:175], v[174:175], v[142:143], -v[144:145]
	scratch_load_b128 v[142:145], off, off offset:608
	v_add_f64_e32 v[186:187], v[186:187], v[188:189]
	v_fmac_f64_e32 v[190:191], v[6:7], v[146:147]
	v_add_f64_e32 v[176:177], v[196:197], v[194:195]
	v_fma_f64 v[194:195], v[4:5], v[146:147], -v[148:149]
	ds_load_b128 v[4:7], v2 offset:1392
	s_wait_loadcnt_dscnt 0xb01
	v_mul_f64_e32 v[188:189], v[182:183], v[152:153]
	v_mul_f64_e32 v[152:153], v[184:185], v[152:153]
	scratch_load_b128 v[146:149], off, off offset:624
	v_add_f64_e32 v[186:187], v[186:187], v[192:193]
	s_wait_loadcnt_dscnt 0xb00
	v_mul_f64_e32 v[192:193], v[4:5], v[156:157]
	v_add_f64_e32 v[196:197], v[176:177], v[174:175]
	v_mul_f64_e32 v[156:157], v[6:7], v[156:157]
	ds_load_b128 v[174:177], v2 offset:1408
	v_fmac_f64_e32 v[188:189], v[184:185], v[150:151]
	v_fma_f64 v[182:183], v[182:183], v[150:151], -v[152:153]
	scratch_load_b128 v[150:153], off, off offset:640
	v_add_f64_e32 v[186:187], v[186:187], v[190:191]
	v_fmac_f64_e32 v[192:193], v[6:7], v[154:155]
	v_add_f64_e32 v[184:185], v[196:197], v[194:195]
	;; [unrolled: 18-line block ×3, first 2 shown]
	v_fma_f64 v[194:195], v[4:5], v[166:167], -v[168:169]
	ds_load_b128 v[4:7], v2 offset:1456
	s_wait_loadcnt_dscnt 0xa01
	v_mul_f64_e32 v[192:193], v[182:183], v[180:181]
	v_mul_f64_e32 v[180:181], v[184:185], v[180:181]
	scratch_load_b128 v[166:169], off, off offset:688
	v_add_f64_e32 v[186:187], v[186:187], v[190:191]
	v_add_f64_e32 v[196:197], v[176:177], v[174:175]
	s_wait_loadcnt_dscnt 0xa00
	v_mul_f64_e32 v[190:191], v[4:5], v[164:165]
	v_mul_f64_e32 v[164:165], v[6:7], v[164:165]
	v_fmac_f64_e32 v[192:193], v[184:185], v[178:179]
	v_fma_f64 v[182:183], v[182:183], v[178:179], -v[180:181]
	ds_load_b128 v[174:177], v2 offset:1472
	scratch_load_b128 v[178:181], off, off offset:704
	v_add_f64_e32 v[186:187], v[186:187], v[188:189]
	v_add_f64_e32 v[184:185], v[196:197], v[194:195]
	v_fmac_f64_e32 v[190:191], v[6:7], v[162:163]
	v_fma_f64 v[194:195], v[4:5], v[162:163], -v[164:165]
	ds_load_b128 v[4:7], v2 offset:1488
	s_wait_loadcnt_dscnt 0xa01
	v_mul_f64_e32 v[188:189], v[174:175], v[12:13]
	v_mul_f64_e32 v[12:13], v[176:177], v[12:13]
	scratch_load_b128 v[162:165], off, off offset:720
	v_add_f64_e32 v[186:187], v[186:187], v[192:193]
	s_wait_loadcnt_dscnt 0xa00
	v_mul_f64_e32 v[192:193], v[4:5], v[132:133]
	v_add_f64_e32 v[196:197], v[184:185], v[182:183]
	v_mul_f64_e32 v[132:133], v[6:7], v[132:133]
	ds_load_b128 v[182:185], v2 offset:1504
	v_fmac_f64_e32 v[188:189], v[176:177], v[10:11]
	v_fma_f64 v[174:175], v[174:175], v[10:11], -v[12:13]
	scratch_load_b128 v[10:13], off, off offset:736
	v_add_f64_e32 v[186:187], v[186:187], v[190:191]
	v_fmac_f64_e32 v[192:193], v[6:7], v[130:131]
	v_add_f64_e32 v[176:177], v[196:197], v[194:195]
	v_fma_f64 v[194:195], v[4:5], v[130:131], -v[132:133]
	ds_load_b128 v[4:7], v2 offset:1520
	s_wait_loadcnt_dscnt 0xa01
	v_mul_f64_e32 v[190:191], v[182:183], v[136:137]
	v_mul_f64_e32 v[136:137], v[184:185], v[136:137]
	scratch_load_b128 v[130:133], off, off offset:752
	v_add_f64_e32 v[186:187], v[186:187], v[188:189]
	s_wait_loadcnt_dscnt 0xa00
	v_mul_f64_e32 v[188:189], v[4:5], v[140:141]
	v_add_f64_e32 v[196:197], v[176:177], v[174:175]
	v_mul_f64_e32 v[140:141], v[6:7], v[140:141]
	ds_load_b128 v[174:177], v2 offset:1536
	v_fmac_f64_e32 v[190:191], v[184:185], v[134:135]
	v_fma_f64 v[182:183], v[182:183], v[134:135], -v[136:137]
	scratch_load_b128 v[134:137], off, off offset:768
	v_add_f64_e32 v[186:187], v[186:187], v[192:193]
	v_fmac_f64_e32 v[188:189], v[6:7], v[138:139]
	v_add_f64_e32 v[184:185], v[196:197], v[194:195]
	;; [unrolled: 18-line block ×6, first 2 shown]
	v_fma_f64 v[194:195], v[4:5], v[162:163], -v[164:165]
	ds_load_b128 v[4:7], v2 offset:1680
	s_wait_loadcnt_dscnt 0xa01
	v_mul_f64_e32 v[188:189], v[174:175], v[12:13]
	v_mul_f64_e32 v[12:13], v[176:177], v[12:13]
	scratch_load_b128 v[162:165], off, off offset:912
	v_add_f64_e32 v[186:187], v[186:187], v[192:193]
	s_wait_loadcnt_dscnt 0xa00
	v_mul_f64_e32 v[192:193], v[4:5], v[132:133]
	v_add_f64_e32 v[196:197], v[184:185], v[182:183]
	v_mul_f64_e32 v[132:133], v[6:7], v[132:133]
	ds_load_b128 v[182:185], v2 offset:1696
	v_fmac_f64_e32 v[188:189], v[176:177], v[10:11]
	v_fma_f64 v[10:11], v[174:175], v[10:11], -v[12:13]
	s_wait_loadcnt_dscnt 0x900
	v_mul_f64_e32 v[176:177], v[182:183], v[136:137]
	v_mul_f64_e32 v[136:137], v[184:185], v[136:137]
	v_add_f64_e32 v[174:175], v[186:187], v[190:191]
	v_fmac_f64_e32 v[192:193], v[6:7], v[130:131]
	v_add_f64_e32 v[12:13], v[196:197], v[194:195]
	v_fma_f64 v[130:131], v[4:5], v[130:131], -v[132:133]
	v_fmac_f64_e32 v[176:177], v[184:185], v[134:135]
	v_fma_f64 v[134:135], v[182:183], v[134:135], -v[136:137]
	v_add_f64_e32 v[174:175], v[174:175], v[188:189]
	v_add_f64_e32 v[132:133], v[12:13], v[10:11]
	ds_load_b128 v[4:7], v2 offset:1712
	ds_load_b128 v[10:13], v2 offset:1728
	s_wait_loadcnt_dscnt 0x801
	v_mul_f64_e32 v[186:187], v[4:5], v[140:141]
	v_mul_f64_e32 v[140:141], v[6:7], v[140:141]
	s_wait_loadcnt_dscnt 0x700
	v_mul_f64_e32 v[136:137], v[10:11], v[144:145]
	v_mul_f64_e32 v[144:145], v[12:13], v[144:145]
	v_add_f64_e32 v[130:131], v[132:133], v[130:131]
	v_add_f64_e32 v[132:133], v[174:175], v[192:193]
	v_fmac_f64_e32 v[186:187], v[6:7], v[138:139]
	v_fma_f64 v[138:139], v[4:5], v[138:139], -v[140:141]
	v_fmac_f64_e32 v[136:137], v[12:13], v[142:143]
	v_fma_f64 v[10:11], v[10:11], v[142:143], -v[144:145]
	v_add_f64_e32 v[134:135], v[130:131], v[134:135]
	v_add_f64_e32 v[140:141], v[132:133], v[176:177]
	ds_load_b128 v[4:7], v2 offset:1744
	ds_load_b128 v[130:133], v2 offset:1760
	s_wait_loadcnt_dscnt 0x601
	v_mul_f64_e32 v[174:175], v[4:5], v[148:149]
	v_mul_f64_e32 v[148:149], v[6:7], v[148:149]
	v_add_f64_e32 v[12:13], v[134:135], v[138:139]
	v_add_f64_e32 v[134:135], v[140:141], v[186:187]
	s_wait_loadcnt_dscnt 0x500
	v_mul_f64_e32 v[138:139], v[130:131], v[152:153]
	v_mul_f64_e32 v[140:141], v[132:133], v[152:153]
	v_fmac_f64_e32 v[174:175], v[6:7], v[146:147]
	v_fma_f64 v[142:143], v[4:5], v[146:147], -v[148:149]
	v_add_f64_e32 v[144:145], v[12:13], v[10:11]
	v_add_f64_e32 v[134:135], v[134:135], v[136:137]
	ds_load_b128 v[4:7], v2 offset:1776
	ds_load_b128 v[10:13], v2 offset:1792
	v_fmac_f64_e32 v[138:139], v[132:133], v[150:151]
	v_fma_f64 v[130:131], v[130:131], v[150:151], -v[140:141]
	s_wait_loadcnt_dscnt 0x401
	v_mul_f64_e32 v[136:137], v[4:5], v[156:157]
	v_mul_f64_e32 v[146:147], v[6:7], v[156:157]
	s_wait_loadcnt_dscnt 0x300
	v_mul_f64_e32 v[140:141], v[10:11], v[160:161]
	v_add_f64_e32 v[132:133], v[144:145], v[142:143]
	v_add_f64_e32 v[134:135], v[134:135], v[174:175]
	v_mul_f64_e32 v[142:143], v[12:13], v[160:161]
	v_fmac_f64_e32 v[136:137], v[6:7], v[154:155]
	v_fma_f64 v[144:145], v[4:5], v[154:155], -v[146:147]
	v_fmac_f64_e32 v[140:141], v[12:13], v[158:159]
	v_add_f64_e32 v[146:147], v[132:133], v[130:131]
	v_add_f64_e32 v[134:135], v[134:135], v[138:139]
	ds_load_b128 v[4:7], v2 offset:1808
	ds_load_b128 v[130:133], v2 offset:1824
	v_fma_f64 v[10:11], v[10:11], v[158:159], -v[142:143]
	s_wait_loadcnt_dscnt 0x201
	v_mul_f64_e32 v[138:139], v[4:5], v[168:169]
	v_mul_f64_e32 v[148:149], v[6:7], v[168:169]
	s_wait_loadcnt_dscnt 0x100
	v_mul_f64_e32 v[142:143], v[132:133], v[180:181]
	v_add_f64_e32 v[12:13], v[146:147], v[144:145]
	v_add_f64_e32 v[134:135], v[134:135], v[136:137]
	v_mul_f64_e32 v[136:137], v[130:131], v[180:181]
	v_fmac_f64_e32 v[138:139], v[6:7], v[166:167]
	v_fma_f64 v[144:145], v[4:5], v[166:167], -v[148:149]
	ds_load_b128 v[4:7], v2 offset:1840
	v_fma_f64 v[130:131], v[130:131], v[178:179], -v[142:143]
	v_add_f64_e32 v[10:11], v[12:13], v[10:11]
	v_add_f64_e32 v[12:13], v[134:135], v[140:141]
	v_fmac_f64_e32 v[136:137], v[132:133], v[178:179]
	s_wait_loadcnt_dscnt 0x0
	v_mul_f64_e32 v[134:135], v[4:5], v[164:165]
	v_mul_f64_e32 v[140:141], v[6:7], v[164:165]
	v_add_f64_e32 v[10:11], v[10:11], v[144:145]
	v_add_f64_e32 v[12:13], v[12:13], v[138:139]
	s_delay_alu instid0(VALU_DEP_4) | instskip(NEXT) | instid1(VALU_DEP_4)
	v_fmac_f64_e32 v[134:135], v[6:7], v[162:163]
	v_fma_f64 v[4:5], v[4:5], v[162:163], -v[140:141]
	s_delay_alu instid0(VALU_DEP_4) | instskip(NEXT) | instid1(VALU_DEP_4)
	v_add_f64_e32 v[6:7], v[10:11], v[130:131]
	v_add_f64_e32 v[10:11], v[12:13], v[136:137]
	s_delay_alu instid0(VALU_DEP_2) | instskip(NEXT) | instid1(VALU_DEP_2)
	v_add_f64_e32 v[4:5], v[6:7], v[4:5]
	v_add_f64_e32 v[6:7], v[10:11], v[134:135]
	s_delay_alu instid0(VALU_DEP_2) | instskip(NEXT) | instid1(VALU_DEP_2)
	v_add_f64_e64 v[4:5], v[170:171], -v[4:5]
	v_add_f64_e64 v[6:7], v[172:173], -v[6:7]
	scratch_store_b128 off, v[4:7], off offset:320
	s_wait_xcnt 0x0
	v_cmpx_lt_u32_e32 19, v1
	s_cbranch_execz .LBB121_323
; %bb.322:
	scratch_load_b128 v[10:13], off, s55
	v_dual_mov_b32 v3, v2 :: v_dual_mov_b32 v4, v2
	v_mov_b32_e32 v5, v2
	scratch_store_b128 off, v[2:5], off offset:304
	s_wait_loadcnt 0x0
	ds_store_b128 v8, v[10:13]
.LBB121_323:
	s_wait_xcnt 0x0
	s_or_b32 exec_lo, exec_lo, s2
	s_wait_storecnt_dscnt 0x0
	s_barrier_signal -1
	s_barrier_wait -1
	s_clause 0x9
	scratch_load_b128 v[4:7], off, off offset:320
	scratch_load_b128 v[10:13], off, off offset:336
	scratch_load_b128 v[130:133], off, off offset:352
	scratch_load_b128 v[134:137], off, off offset:368
	scratch_load_b128 v[138:141], off, off offset:384
	scratch_load_b128 v[142:145], off, off offset:400
	scratch_load_b128 v[146:149], off, off offset:416
	scratch_load_b128 v[150:153], off, off offset:432
	scratch_load_b128 v[154:157], off, off offset:448
	scratch_load_b128 v[158:161], off, off offset:464
	ds_load_b128 v[162:165], v2 offset:1248
	ds_load_b128 v[170:173], v2 offset:1264
	s_clause 0x2
	scratch_load_b128 v[166:169], off, off offset:480
	scratch_load_b128 v[174:177], off, off offset:304
	;; [unrolled: 1-line block ×3, first 2 shown]
	s_mov_b32 s2, exec_lo
	s_wait_loadcnt_dscnt 0xc01
	v_mul_f64_e32 v[182:183], v[164:165], v[6:7]
	v_mul_f64_e32 v[186:187], v[162:163], v[6:7]
	s_wait_loadcnt_dscnt 0xb00
	v_mul_f64_e32 v[188:189], v[170:171], v[12:13]
	v_mul_f64_e32 v[12:13], v[172:173], v[12:13]
	s_delay_alu instid0(VALU_DEP_4) | instskip(NEXT) | instid1(VALU_DEP_4)
	v_fma_f64 v[190:191], v[162:163], v[4:5], -v[182:183]
	v_fmac_f64_e32 v[186:187], v[164:165], v[4:5]
	ds_load_b128 v[4:7], v2 offset:1280
	ds_load_b128 v[162:165], v2 offset:1296
	scratch_load_b128 v[182:185], off, off offset:512
	v_fmac_f64_e32 v[188:189], v[172:173], v[10:11]
	v_fma_f64 v[170:171], v[170:171], v[10:11], -v[12:13]
	scratch_load_b128 v[10:13], off, off offset:528
	s_wait_loadcnt_dscnt 0xc01
	v_mul_f64_e32 v[192:193], v[4:5], v[132:133]
	v_mul_f64_e32 v[132:133], v[6:7], v[132:133]
	v_add_f64_e32 v[172:173], 0, v[190:191]
	v_add_f64_e32 v[186:187], 0, v[186:187]
	s_wait_loadcnt_dscnt 0xb00
	v_mul_f64_e32 v[190:191], v[162:163], v[136:137]
	v_mul_f64_e32 v[136:137], v[164:165], v[136:137]
	v_fmac_f64_e32 v[192:193], v[6:7], v[130:131]
	v_fma_f64 v[194:195], v[4:5], v[130:131], -v[132:133]
	ds_load_b128 v[4:7], v2 offset:1312
	ds_load_b128 v[130:133], v2 offset:1328
	v_add_f64_e32 v[196:197], v[172:173], v[170:171]
	v_add_f64_e32 v[186:187], v[186:187], v[188:189]
	scratch_load_b128 v[170:173], off, off offset:544
	v_fmac_f64_e32 v[190:191], v[164:165], v[134:135]
	v_fma_f64 v[162:163], v[162:163], v[134:135], -v[136:137]
	scratch_load_b128 v[134:137], off, off offset:560
	s_wait_loadcnt_dscnt 0xc01
	v_mul_f64_e32 v[188:189], v[4:5], v[140:141]
	v_mul_f64_e32 v[140:141], v[6:7], v[140:141]
	v_add_f64_e32 v[164:165], v[196:197], v[194:195]
	v_add_f64_e32 v[186:187], v[186:187], v[192:193]
	s_wait_loadcnt_dscnt 0xb00
	v_mul_f64_e32 v[192:193], v[130:131], v[144:145]
	v_mul_f64_e32 v[144:145], v[132:133], v[144:145]
	v_fmac_f64_e32 v[188:189], v[6:7], v[138:139]
	v_fma_f64 v[194:195], v[4:5], v[138:139], -v[140:141]
	ds_load_b128 v[4:7], v2 offset:1344
	ds_load_b128 v[138:141], v2 offset:1360
	v_add_f64_e32 v[196:197], v[164:165], v[162:163]
	v_add_f64_e32 v[186:187], v[186:187], v[190:191]
	scratch_load_b128 v[162:165], off, off offset:576
	s_wait_loadcnt_dscnt 0xb01
	v_mul_f64_e32 v[190:191], v[4:5], v[148:149]
	v_mul_f64_e32 v[148:149], v[6:7], v[148:149]
	v_fmac_f64_e32 v[192:193], v[132:133], v[142:143]
	v_fma_f64 v[142:143], v[130:131], v[142:143], -v[144:145]
	scratch_load_b128 v[130:133], off, off offset:592
	v_add_f64_e32 v[144:145], v[196:197], v[194:195]
	v_add_f64_e32 v[186:187], v[186:187], v[188:189]
	s_wait_loadcnt_dscnt 0xb00
	v_mul_f64_e32 v[188:189], v[138:139], v[152:153]
	v_mul_f64_e32 v[152:153], v[140:141], v[152:153]
	v_fmac_f64_e32 v[190:191], v[6:7], v[146:147]
	v_fma_f64 v[194:195], v[4:5], v[146:147], -v[148:149]
	v_add_f64_e32 v[196:197], v[144:145], v[142:143]
	v_add_f64_e32 v[186:187], v[186:187], v[192:193]
	ds_load_b128 v[4:7], v2 offset:1376
	ds_load_b128 v[142:145], v2 offset:1392
	scratch_load_b128 v[146:149], off, off offset:608
	v_fmac_f64_e32 v[188:189], v[140:141], v[150:151]
	v_fma_f64 v[150:151], v[138:139], v[150:151], -v[152:153]
	scratch_load_b128 v[138:141], off, off offset:624
	s_wait_loadcnt_dscnt 0xc01
	v_mul_f64_e32 v[192:193], v[4:5], v[156:157]
	v_mul_f64_e32 v[156:157], v[6:7], v[156:157]
	v_add_f64_e32 v[152:153], v[196:197], v[194:195]
	v_add_f64_e32 v[186:187], v[186:187], v[190:191]
	s_wait_loadcnt_dscnt 0xb00
	v_mul_f64_e32 v[190:191], v[142:143], v[160:161]
	v_mul_f64_e32 v[160:161], v[144:145], v[160:161]
	v_fmac_f64_e32 v[192:193], v[6:7], v[154:155]
	v_fma_f64 v[194:195], v[4:5], v[154:155], -v[156:157]
	v_add_f64_e32 v[196:197], v[152:153], v[150:151]
	v_add_f64_e32 v[186:187], v[186:187], v[188:189]
	ds_load_b128 v[4:7], v2 offset:1408
	ds_load_b128 v[150:153], v2 offset:1424
	scratch_load_b128 v[154:157], off, off offset:640
	v_fmac_f64_e32 v[190:191], v[144:145], v[158:159]
	v_fma_f64 v[158:159], v[142:143], v[158:159], -v[160:161]
	scratch_load_b128 v[142:145], off, off offset:656
	s_wait_loadcnt_dscnt 0xc01
	v_mul_f64_e32 v[188:189], v[4:5], v[168:169]
	v_mul_f64_e32 v[168:169], v[6:7], v[168:169]
	;; [unrolled: 18-line block ×5, first 2 shown]
	v_add_f64_e32 v[180:181], v[196:197], v[194:195]
	v_add_f64_e32 v[186:187], v[186:187], v[192:193]
	s_wait_loadcnt_dscnt 0xa00
	v_mul_f64_e32 v[192:193], v[158:159], v[132:133]
	v_mul_f64_e32 v[132:133], v[160:161], v[132:133]
	v_fmac_f64_e32 v[188:189], v[6:7], v[162:163]
	v_fma_f64 v[194:195], v[4:5], v[162:163], -v[164:165]
	ds_load_b128 v[4:7], v2 offset:1536
	ds_load_b128 v[162:165], v2 offset:1552
	v_add_f64_e32 v[196:197], v[180:181], v[178:179]
	v_add_f64_e32 v[186:187], v[186:187], v[190:191]
	scratch_load_b128 v[178:181], off, off offset:768
	v_fmac_f64_e32 v[192:193], v[160:161], v[130:131]
	v_fma_f64 v[158:159], v[158:159], v[130:131], -v[132:133]
	scratch_load_b128 v[130:133], off, off offset:784
	s_wait_loadcnt_dscnt 0xb01
	v_mul_f64_e32 v[190:191], v[4:5], v[148:149]
	v_mul_f64_e32 v[148:149], v[6:7], v[148:149]
	v_add_f64_e32 v[160:161], v[196:197], v[194:195]
	v_add_f64_e32 v[186:187], v[186:187], v[188:189]
	s_wait_loadcnt_dscnt 0xa00
	v_mul_f64_e32 v[188:189], v[162:163], v[140:141]
	v_mul_f64_e32 v[140:141], v[164:165], v[140:141]
	v_fmac_f64_e32 v[190:191], v[6:7], v[146:147]
	v_fma_f64 v[194:195], v[4:5], v[146:147], -v[148:149]
	ds_load_b128 v[4:7], v2 offset:1568
	ds_load_b128 v[146:149], v2 offset:1584
	v_add_f64_e32 v[196:197], v[160:161], v[158:159]
	v_add_f64_e32 v[186:187], v[186:187], v[192:193]
	scratch_load_b128 v[158:161], off, off offset:800
	s_wait_loadcnt_dscnt 0xa01
	v_mul_f64_e32 v[192:193], v[4:5], v[156:157]
	v_mul_f64_e32 v[156:157], v[6:7], v[156:157]
	v_fmac_f64_e32 v[188:189], v[164:165], v[138:139]
	v_fma_f64 v[162:163], v[162:163], v[138:139], -v[140:141]
	scratch_load_b128 v[138:141], off, off offset:816
	v_add_f64_e32 v[164:165], v[196:197], v[194:195]
	v_add_f64_e32 v[186:187], v[186:187], v[190:191]
	s_wait_loadcnt_dscnt 0xa00
	v_mul_f64_e32 v[190:191], v[146:147], v[144:145]
	v_mul_f64_e32 v[144:145], v[148:149], v[144:145]
	v_fmac_f64_e32 v[192:193], v[6:7], v[154:155]
	v_fma_f64 v[194:195], v[4:5], v[154:155], -v[156:157]
	ds_load_b128 v[4:7], v2 offset:1600
	ds_load_b128 v[154:157], v2 offset:1616
	v_add_f64_e32 v[196:197], v[164:165], v[162:163]
	v_add_f64_e32 v[186:187], v[186:187], v[188:189]
	scratch_load_b128 v[162:165], off, off offset:832
	s_wait_loadcnt_dscnt 0xa01
	v_mul_f64_e32 v[188:189], v[4:5], v[168:169]
	v_mul_f64_e32 v[168:169], v[6:7], v[168:169]
	v_fmac_f64_e32 v[190:191], v[148:149], v[142:143]
	v_fma_f64 v[146:147], v[146:147], v[142:143], -v[144:145]
	scratch_load_b128 v[142:145], off, off offset:848
	v_add_f64_e32 v[148:149], v[196:197], v[194:195]
	v_add_f64_e32 v[186:187], v[186:187], v[192:193]
	s_wait_loadcnt_dscnt 0xa00
	v_mul_f64_e32 v[192:193], v[154:155], v[152:153]
	v_mul_f64_e32 v[152:153], v[156:157], v[152:153]
	v_fmac_f64_e32 v[188:189], v[6:7], v[166:167]
	v_fma_f64 v[194:195], v[4:5], v[166:167], -v[168:169]
	v_add_f64_e32 v[196:197], v[148:149], v[146:147]
	v_add_f64_e32 v[186:187], v[186:187], v[190:191]
	ds_load_b128 v[4:7], v2 offset:1632
	ds_load_b128 v[146:149], v2 offset:1648
	scratch_load_b128 v[166:169], off, off offset:864
	v_fmac_f64_e32 v[192:193], v[156:157], v[150:151]
	v_fma_f64 v[154:155], v[154:155], v[150:151], -v[152:153]
	scratch_load_b128 v[150:153], off, off offset:880
	s_wait_loadcnt_dscnt 0xb01
	v_mul_f64_e32 v[190:191], v[4:5], v[184:185]
	v_mul_f64_e32 v[184:185], v[6:7], v[184:185]
	v_add_f64_e32 v[156:157], v[196:197], v[194:195]
	v_add_f64_e32 v[186:187], v[186:187], v[188:189]
	s_wait_loadcnt_dscnt 0xa00
	v_mul_f64_e32 v[188:189], v[146:147], v[12:13]
	v_mul_f64_e32 v[12:13], v[148:149], v[12:13]
	v_fmac_f64_e32 v[190:191], v[6:7], v[182:183]
	v_fma_f64 v[194:195], v[4:5], v[182:183], -v[184:185]
	v_add_f64_e32 v[196:197], v[156:157], v[154:155]
	v_add_f64_e32 v[186:187], v[186:187], v[192:193]
	ds_load_b128 v[4:7], v2 offset:1664
	ds_load_b128 v[154:157], v2 offset:1680
	scratch_load_b128 v[182:185], off, off offset:896
	v_fmac_f64_e32 v[188:189], v[148:149], v[10:11]
	v_fma_f64 v[146:147], v[146:147], v[10:11], -v[12:13]
	scratch_load_b128 v[10:13], off, off offset:912
	s_wait_loadcnt_dscnt 0xb01
	v_mul_f64_e32 v[192:193], v[4:5], v[172:173]
	v_mul_f64_e32 v[172:173], v[6:7], v[172:173]
	v_add_f64_e32 v[148:149], v[196:197], v[194:195]
	v_add_f64_e32 v[186:187], v[186:187], v[190:191]
	s_wait_loadcnt_dscnt 0xa00
	v_mul_f64_e32 v[190:191], v[154:155], v[136:137]
	v_mul_f64_e32 v[136:137], v[156:157], v[136:137]
	v_fmac_f64_e32 v[192:193], v[6:7], v[170:171]
	v_fma_f64 v[170:171], v[4:5], v[170:171], -v[172:173]
	v_add_f64_e32 v[172:173], v[148:149], v[146:147]
	v_add_f64_e32 v[186:187], v[186:187], v[188:189]
	ds_load_b128 v[4:7], v2 offset:1696
	ds_load_b128 v[146:149], v2 offset:1712
	v_fmac_f64_e32 v[190:191], v[156:157], v[134:135]
	v_fma_f64 v[134:135], v[154:155], v[134:135], -v[136:137]
	s_wait_loadcnt_dscnt 0x901
	v_mul_f64_e32 v[188:189], v[4:5], v[180:181]
	v_mul_f64_e32 v[180:181], v[6:7], v[180:181]
	s_wait_loadcnt_dscnt 0x800
	v_mul_f64_e32 v[156:157], v[146:147], v[132:133]
	v_add_f64_e32 v[136:137], v[172:173], v[170:171]
	v_add_f64_e32 v[154:155], v[186:187], v[192:193]
	v_mul_f64_e32 v[170:171], v[148:149], v[132:133]
	v_fmac_f64_e32 v[188:189], v[6:7], v[178:179]
	v_fma_f64 v[172:173], v[4:5], v[178:179], -v[180:181]
	v_fmac_f64_e32 v[156:157], v[148:149], v[130:131]
	v_add_f64_e32 v[136:137], v[136:137], v[134:135]
	v_add_f64_e32 v[154:155], v[154:155], v[190:191]
	ds_load_b128 v[4:7], v2 offset:1728
	ds_load_b128 v[132:135], v2 offset:1744
	v_fma_f64 v[130:131], v[146:147], v[130:131], -v[170:171]
	s_wait_loadcnt_dscnt 0x701
	v_mul_f64_e32 v[178:179], v[4:5], v[160:161]
	v_mul_f64_e32 v[160:161], v[6:7], v[160:161]
	v_add_f64_e32 v[136:137], v[136:137], v[172:173]
	v_add_f64_e32 v[146:147], v[154:155], v[188:189]
	s_wait_loadcnt_dscnt 0x600
	v_mul_f64_e32 v[154:155], v[132:133], v[140:141]
	v_mul_f64_e32 v[140:141], v[134:135], v[140:141]
	v_fmac_f64_e32 v[178:179], v[6:7], v[158:159]
	v_fma_f64 v[158:159], v[4:5], v[158:159], -v[160:161]
	v_add_f64_e32 v[130:131], v[136:137], v[130:131]
	v_add_f64_e32 v[136:137], v[146:147], v[156:157]
	ds_load_b128 v[4:7], v2 offset:1760
	ds_load_b128 v[146:149], v2 offset:1776
	v_fmac_f64_e32 v[154:155], v[134:135], v[138:139]
	v_fma_f64 v[132:133], v[132:133], v[138:139], -v[140:141]
	s_wait_loadcnt_dscnt 0x501
	v_mul_f64_e32 v[156:157], v[4:5], v[164:165]
	v_mul_f64_e32 v[160:161], v[6:7], v[164:165]
	s_wait_loadcnt_dscnt 0x400
	v_mul_f64_e32 v[138:139], v[148:149], v[144:145]
	v_add_f64_e32 v[130:131], v[130:131], v[158:159]
	v_add_f64_e32 v[134:135], v[136:137], v[178:179]
	v_mul_f64_e32 v[136:137], v[146:147], v[144:145]
	v_fmac_f64_e32 v[156:157], v[6:7], v[162:163]
	v_fma_f64 v[140:141], v[4:5], v[162:163], -v[160:161]
	v_fma_f64 v[138:139], v[146:147], v[142:143], -v[138:139]
	v_add_f64_e32 v[144:145], v[130:131], v[132:133]
	v_add_f64_e32 v[134:135], v[134:135], v[154:155]
	ds_load_b128 v[4:7], v2 offset:1792
	ds_load_b128 v[130:133], v2 offset:1808
	v_fmac_f64_e32 v[136:137], v[148:149], v[142:143]
	s_wait_loadcnt_dscnt 0x301
	v_mul_f64_e32 v[154:155], v[4:5], v[168:169]
	v_mul_f64_e32 v[158:159], v[6:7], v[168:169]
	s_wait_loadcnt_dscnt 0x200
	v_mul_f64_e32 v[142:143], v[130:131], v[152:153]
	v_add_f64_e32 v[140:141], v[144:145], v[140:141]
	v_add_f64_e32 v[134:135], v[134:135], v[156:157]
	v_mul_f64_e32 v[144:145], v[132:133], v[152:153]
	v_fmac_f64_e32 v[154:155], v[6:7], v[166:167]
	v_fma_f64 v[146:147], v[4:5], v[166:167], -v[158:159]
	v_fmac_f64_e32 v[142:143], v[132:133], v[150:151]
	v_add_f64_e32 v[138:139], v[140:141], v[138:139]
	v_add_f64_e32 v[140:141], v[134:135], v[136:137]
	ds_load_b128 v[4:7], v2 offset:1824
	ds_load_b128 v[134:137], v2 offset:1840
	v_fma_f64 v[130:131], v[130:131], v[150:151], -v[144:145]
	s_wait_loadcnt_dscnt 0x101
	v_mul_f64_e32 v[2:3], v[4:5], v[184:185]
	v_mul_f64_e32 v[148:149], v[6:7], v[184:185]
	v_add_f64_e32 v[132:133], v[138:139], v[146:147]
	v_add_f64_e32 v[138:139], v[140:141], v[154:155]
	s_wait_loadcnt_dscnt 0x0
	v_mul_f64_e32 v[140:141], v[134:135], v[12:13]
	v_mul_f64_e32 v[12:13], v[136:137], v[12:13]
	v_fmac_f64_e32 v[2:3], v[6:7], v[182:183]
	v_fma_f64 v[4:5], v[4:5], v[182:183], -v[148:149]
	v_add_f64_e32 v[6:7], v[132:133], v[130:131]
	v_add_f64_e32 v[130:131], v[138:139], v[142:143]
	v_fmac_f64_e32 v[140:141], v[136:137], v[10:11]
	v_fma_f64 v[10:11], v[134:135], v[10:11], -v[12:13]
	s_delay_alu instid0(VALU_DEP_4) | instskip(NEXT) | instid1(VALU_DEP_4)
	v_add_f64_e32 v[4:5], v[6:7], v[4:5]
	v_add_f64_e32 v[2:3], v[130:131], v[2:3]
	s_delay_alu instid0(VALU_DEP_2) | instskip(NEXT) | instid1(VALU_DEP_2)
	v_add_f64_e32 v[4:5], v[4:5], v[10:11]
	v_add_f64_e32 v[6:7], v[2:3], v[140:141]
	s_delay_alu instid0(VALU_DEP_2) | instskip(NEXT) | instid1(VALU_DEP_2)
	v_add_f64_e64 v[2:3], v[174:175], -v[4:5]
	v_add_f64_e64 v[4:5], v[176:177], -v[6:7]
	scratch_store_b128 off, v[2:5], off offset:304
	s_wait_xcnt 0x0
	v_cmpx_lt_u32_e32 18, v1
	s_cbranch_execz .LBB121_325
; %bb.324:
	scratch_load_b128 v[2:5], off, s56
	v_mov_b32_e32 v10, 0
	s_delay_alu instid0(VALU_DEP_1)
	v_dual_mov_b32 v11, v10 :: v_dual_mov_b32 v12, v10
	v_mov_b32_e32 v13, v10
	scratch_store_b128 off, v[10:13], off offset:288
	s_wait_loadcnt 0x0
	ds_store_b128 v8, v[2:5]
.LBB121_325:
	s_wait_xcnt 0x0
	s_or_b32 exec_lo, exec_lo, s2
	s_wait_storecnt_dscnt 0x0
	s_barrier_signal -1
	s_barrier_wait -1
	s_clause 0x9
	scratch_load_b128 v[4:7], off, off offset:304
	scratch_load_b128 v[10:13], off, off offset:320
	;; [unrolled: 1-line block ×10, first 2 shown]
	v_mov_b32_e32 v2, 0
	s_mov_b32 s2, exec_lo
	ds_load_b128 v[162:165], v2 offset:1232
	s_clause 0x2
	scratch_load_b128 v[166:169], off, off offset:464
	scratch_load_b128 v[170:173], off, off offset:288
	;; [unrolled: 1-line block ×3, first 2 shown]
	s_wait_loadcnt_dscnt 0xc00
	v_mul_f64_e32 v[182:183], v[164:165], v[6:7]
	v_mul_f64_e32 v[186:187], v[162:163], v[6:7]
	ds_load_b128 v[174:177], v2 offset:1248
	v_fma_f64 v[190:191], v[162:163], v[4:5], -v[182:183]
	v_fmac_f64_e32 v[186:187], v[164:165], v[4:5]
	ds_load_b128 v[4:7], v2 offset:1264
	s_wait_loadcnt_dscnt 0xb01
	v_mul_f64_e32 v[188:189], v[174:175], v[12:13]
	v_mul_f64_e32 v[12:13], v[176:177], v[12:13]
	scratch_load_b128 v[162:165], off, off offset:496
	ds_load_b128 v[182:185], v2 offset:1280
	s_wait_loadcnt_dscnt 0xb01
	v_mul_f64_e32 v[192:193], v[4:5], v[132:133]
	v_mul_f64_e32 v[132:133], v[6:7], v[132:133]
	v_add_f64_e32 v[186:187], 0, v[186:187]
	v_fmac_f64_e32 v[188:189], v[176:177], v[10:11]
	v_fma_f64 v[174:175], v[174:175], v[10:11], -v[12:13]
	v_add_f64_e32 v[176:177], 0, v[190:191]
	scratch_load_b128 v[10:13], off, off offset:512
	v_fmac_f64_e32 v[192:193], v[6:7], v[130:131]
	v_fma_f64 v[194:195], v[4:5], v[130:131], -v[132:133]
	ds_load_b128 v[4:7], v2 offset:1296
	s_wait_loadcnt_dscnt 0xb01
	v_mul_f64_e32 v[190:191], v[182:183], v[136:137]
	v_mul_f64_e32 v[136:137], v[184:185], v[136:137]
	scratch_load_b128 v[130:133], off, off offset:528
	v_add_f64_e32 v[186:187], v[186:187], v[188:189]
	v_add_f64_e32 v[196:197], v[176:177], v[174:175]
	ds_load_b128 v[174:177], v2 offset:1312
	s_wait_loadcnt_dscnt 0xb01
	v_mul_f64_e32 v[188:189], v[4:5], v[140:141]
	v_mul_f64_e32 v[140:141], v[6:7], v[140:141]
	v_fmac_f64_e32 v[190:191], v[184:185], v[134:135]
	v_fma_f64 v[182:183], v[182:183], v[134:135], -v[136:137]
	scratch_load_b128 v[134:137], off, off offset:544
	v_add_f64_e32 v[186:187], v[186:187], v[192:193]
	v_add_f64_e32 v[184:185], v[196:197], v[194:195]
	v_fmac_f64_e32 v[188:189], v[6:7], v[138:139]
	v_fma_f64 v[194:195], v[4:5], v[138:139], -v[140:141]
	ds_load_b128 v[4:7], v2 offset:1328
	s_wait_loadcnt_dscnt 0xb01
	v_mul_f64_e32 v[192:193], v[174:175], v[144:145]
	v_mul_f64_e32 v[144:145], v[176:177], v[144:145]
	scratch_load_b128 v[138:141], off, off offset:560
	v_add_f64_e32 v[186:187], v[186:187], v[190:191]
	s_wait_loadcnt_dscnt 0xb00
	v_mul_f64_e32 v[190:191], v[4:5], v[148:149]
	v_add_f64_e32 v[196:197], v[184:185], v[182:183]
	v_mul_f64_e32 v[148:149], v[6:7], v[148:149]
	ds_load_b128 v[182:185], v2 offset:1344
	v_fmac_f64_e32 v[192:193], v[176:177], v[142:143]
	v_fma_f64 v[174:175], v[174:175], v[142:143], -v[144:145]
	scratch_load_b128 v[142:145], off, off offset:576
	v_add_f64_e32 v[186:187], v[186:187], v[188:189]
	v_fmac_f64_e32 v[190:191], v[6:7], v[146:147]
	v_add_f64_e32 v[176:177], v[196:197], v[194:195]
	v_fma_f64 v[194:195], v[4:5], v[146:147], -v[148:149]
	ds_load_b128 v[4:7], v2 offset:1360
	s_wait_loadcnt_dscnt 0xb01
	v_mul_f64_e32 v[188:189], v[182:183], v[152:153]
	v_mul_f64_e32 v[152:153], v[184:185], v[152:153]
	scratch_load_b128 v[146:149], off, off offset:592
	v_add_f64_e32 v[186:187], v[186:187], v[192:193]
	s_wait_loadcnt_dscnt 0xb00
	v_mul_f64_e32 v[192:193], v[4:5], v[156:157]
	v_add_f64_e32 v[196:197], v[176:177], v[174:175]
	v_mul_f64_e32 v[156:157], v[6:7], v[156:157]
	ds_load_b128 v[174:177], v2 offset:1376
	v_fmac_f64_e32 v[188:189], v[184:185], v[150:151]
	v_fma_f64 v[182:183], v[182:183], v[150:151], -v[152:153]
	scratch_load_b128 v[150:153], off, off offset:608
	v_add_f64_e32 v[186:187], v[186:187], v[190:191]
	v_fmac_f64_e32 v[192:193], v[6:7], v[154:155]
	v_add_f64_e32 v[184:185], v[196:197], v[194:195]
	;; [unrolled: 18-line block ×3, first 2 shown]
	v_fma_f64 v[194:195], v[4:5], v[166:167], -v[168:169]
	ds_load_b128 v[4:7], v2 offset:1424
	s_wait_loadcnt_dscnt 0xa01
	v_mul_f64_e32 v[192:193], v[182:183], v[180:181]
	v_mul_f64_e32 v[180:181], v[184:185], v[180:181]
	scratch_load_b128 v[166:169], off, off offset:656
	v_add_f64_e32 v[186:187], v[186:187], v[190:191]
	v_add_f64_e32 v[196:197], v[176:177], v[174:175]
	s_wait_loadcnt_dscnt 0xa00
	v_mul_f64_e32 v[190:191], v[4:5], v[164:165]
	v_mul_f64_e32 v[164:165], v[6:7], v[164:165]
	v_fmac_f64_e32 v[192:193], v[184:185], v[178:179]
	v_fma_f64 v[182:183], v[182:183], v[178:179], -v[180:181]
	ds_load_b128 v[174:177], v2 offset:1440
	scratch_load_b128 v[178:181], off, off offset:672
	v_add_f64_e32 v[186:187], v[186:187], v[188:189]
	v_add_f64_e32 v[184:185], v[196:197], v[194:195]
	v_fmac_f64_e32 v[190:191], v[6:7], v[162:163]
	v_fma_f64 v[194:195], v[4:5], v[162:163], -v[164:165]
	ds_load_b128 v[4:7], v2 offset:1456
	s_wait_loadcnt_dscnt 0xa01
	v_mul_f64_e32 v[188:189], v[174:175], v[12:13]
	v_mul_f64_e32 v[12:13], v[176:177], v[12:13]
	scratch_load_b128 v[162:165], off, off offset:688
	v_add_f64_e32 v[186:187], v[186:187], v[192:193]
	s_wait_loadcnt_dscnt 0xa00
	v_mul_f64_e32 v[192:193], v[4:5], v[132:133]
	v_add_f64_e32 v[196:197], v[184:185], v[182:183]
	v_mul_f64_e32 v[132:133], v[6:7], v[132:133]
	ds_load_b128 v[182:185], v2 offset:1472
	v_fmac_f64_e32 v[188:189], v[176:177], v[10:11]
	v_fma_f64 v[174:175], v[174:175], v[10:11], -v[12:13]
	scratch_load_b128 v[10:13], off, off offset:704
	v_add_f64_e32 v[186:187], v[186:187], v[190:191]
	v_fmac_f64_e32 v[192:193], v[6:7], v[130:131]
	v_add_f64_e32 v[176:177], v[196:197], v[194:195]
	v_fma_f64 v[194:195], v[4:5], v[130:131], -v[132:133]
	ds_load_b128 v[4:7], v2 offset:1488
	s_wait_loadcnt_dscnt 0xa01
	v_mul_f64_e32 v[190:191], v[182:183], v[136:137]
	v_mul_f64_e32 v[136:137], v[184:185], v[136:137]
	scratch_load_b128 v[130:133], off, off offset:720
	v_add_f64_e32 v[186:187], v[186:187], v[188:189]
	s_wait_loadcnt_dscnt 0xa00
	v_mul_f64_e32 v[188:189], v[4:5], v[140:141]
	v_add_f64_e32 v[196:197], v[176:177], v[174:175]
	v_mul_f64_e32 v[140:141], v[6:7], v[140:141]
	ds_load_b128 v[174:177], v2 offset:1504
	v_fmac_f64_e32 v[190:191], v[184:185], v[134:135]
	v_fma_f64 v[182:183], v[182:183], v[134:135], -v[136:137]
	scratch_load_b128 v[134:137], off, off offset:736
	v_add_f64_e32 v[186:187], v[186:187], v[192:193]
	v_fmac_f64_e32 v[188:189], v[6:7], v[138:139]
	v_add_f64_e32 v[184:185], v[196:197], v[194:195]
	;; [unrolled: 18-line block ×7, first 2 shown]
	v_fma_f64 v[194:195], v[4:5], v[130:131], -v[132:133]
	ds_load_b128 v[4:7], v2 offset:1680
	s_wait_loadcnt_dscnt 0xa01
	v_mul_f64_e32 v[190:191], v[182:183], v[136:137]
	v_mul_f64_e32 v[136:137], v[184:185], v[136:137]
	scratch_load_b128 v[130:133], off, off offset:912
	v_add_f64_e32 v[186:187], v[186:187], v[188:189]
	s_wait_loadcnt_dscnt 0xa00
	v_mul_f64_e32 v[188:189], v[4:5], v[140:141]
	v_add_f64_e32 v[196:197], v[176:177], v[174:175]
	v_mul_f64_e32 v[140:141], v[6:7], v[140:141]
	ds_load_b128 v[174:177], v2 offset:1696
	v_fmac_f64_e32 v[190:191], v[184:185], v[134:135]
	v_fma_f64 v[134:135], v[182:183], v[134:135], -v[136:137]
	s_wait_loadcnt_dscnt 0x900
	v_mul_f64_e32 v[184:185], v[174:175], v[144:145]
	v_mul_f64_e32 v[144:145], v[176:177], v[144:145]
	v_add_f64_e32 v[182:183], v[186:187], v[192:193]
	v_fmac_f64_e32 v[188:189], v[6:7], v[138:139]
	v_add_f64_e32 v[136:137], v[196:197], v[194:195]
	v_fma_f64 v[138:139], v[4:5], v[138:139], -v[140:141]
	v_fmac_f64_e32 v[184:185], v[176:177], v[142:143]
	v_fma_f64 v[142:143], v[174:175], v[142:143], -v[144:145]
	v_add_f64_e32 v[182:183], v[182:183], v[190:191]
	v_add_f64_e32 v[140:141], v[136:137], v[134:135]
	ds_load_b128 v[4:7], v2 offset:1712
	ds_load_b128 v[134:137], v2 offset:1728
	s_wait_loadcnt_dscnt 0x801
	v_mul_f64_e32 v[186:187], v[4:5], v[148:149]
	v_mul_f64_e32 v[148:149], v[6:7], v[148:149]
	s_wait_loadcnt_dscnt 0x700
	v_mul_f64_e32 v[144:145], v[134:135], v[152:153]
	v_mul_f64_e32 v[152:153], v[136:137], v[152:153]
	v_add_f64_e32 v[138:139], v[140:141], v[138:139]
	v_add_f64_e32 v[140:141], v[182:183], v[188:189]
	v_fmac_f64_e32 v[186:187], v[6:7], v[146:147]
	v_fma_f64 v[146:147], v[4:5], v[146:147], -v[148:149]
	v_fmac_f64_e32 v[144:145], v[136:137], v[150:151]
	v_fma_f64 v[134:135], v[134:135], v[150:151], -v[152:153]
	v_add_f64_e32 v[142:143], v[138:139], v[142:143]
	v_add_f64_e32 v[148:149], v[140:141], v[184:185]
	ds_load_b128 v[4:7], v2 offset:1744
	ds_load_b128 v[138:141], v2 offset:1760
	s_wait_loadcnt_dscnt 0x601
	v_mul_f64_e32 v[174:175], v[4:5], v[156:157]
	v_mul_f64_e32 v[156:157], v[6:7], v[156:157]
	v_add_f64_e32 v[136:137], v[142:143], v[146:147]
	v_add_f64_e32 v[142:143], v[148:149], v[186:187]
	s_wait_loadcnt_dscnt 0x500
	v_mul_f64_e32 v[146:147], v[138:139], v[160:161]
	v_mul_f64_e32 v[148:149], v[140:141], v[160:161]
	v_fmac_f64_e32 v[174:175], v[6:7], v[154:155]
	v_fma_f64 v[150:151], v[4:5], v[154:155], -v[156:157]
	v_add_f64_e32 v[152:153], v[136:137], v[134:135]
	v_add_f64_e32 v[142:143], v[142:143], v[144:145]
	ds_load_b128 v[4:7], v2 offset:1776
	ds_load_b128 v[134:137], v2 offset:1792
	v_fmac_f64_e32 v[146:147], v[140:141], v[158:159]
	v_fma_f64 v[138:139], v[138:139], v[158:159], -v[148:149]
	s_wait_loadcnt_dscnt 0x401
	v_mul_f64_e32 v[144:145], v[4:5], v[168:169]
	v_mul_f64_e32 v[154:155], v[6:7], v[168:169]
	s_wait_loadcnt_dscnt 0x300
	v_mul_f64_e32 v[148:149], v[134:135], v[180:181]
	v_add_f64_e32 v[140:141], v[152:153], v[150:151]
	v_add_f64_e32 v[142:143], v[142:143], v[174:175]
	v_mul_f64_e32 v[150:151], v[136:137], v[180:181]
	v_fmac_f64_e32 v[144:145], v[6:7], v[166:167]
	v_fma_f64 v[152:153], v[4:5], v[166:167], -v[154:155]
	v_fmac_f64_e32 v[148:149], v[136:137], v[178:179]
	v_add_f64_e32 v[154:155], v[140:141], v[138:139]
	v_add_f64_e32 v[142:143], v[142:143], v[146:147]
	ds_load_b128 v[4:7], v2 offset:1808
	ds_load_b128 v[138:141], v2 offset:1824
	v_fma_f64 v[134:135], v[134:135], v[178:179], -v[150:151]
	s_wait_loadcnt_dscnt 0x201
	v_mul_f64_e32 v[146:147], v[4:5], v[164:165]
	v_mul_f64_e32 v[156:157], v[6:7], v[164:165]
	v_add_f64_e32 v[136:137], v[154:155], v[152:153]
	v_add_f64_e32 v[142:143], v[142:143], v[144:145]
	s_wait_loadcnt_dscnt 0x100
	v_mul_f64_e32 v[144:145], v[138:139], v[12:13]
	v_mul_f64_e32 v[12:13], v[140:141], v[12:13]
	v_fmac_f64_e32 v[146:147], v[6:7], v[162:163]
	v_fma_f64 v[150:151], v[4:5], v[162:163], -v[156:157]
	ds_load_b128 v[4:7], v2 offset:1840
	v_add_f64_e32 v[134:135], v[136:137], v[134:135]
	v_add_f64_e32 v[136:137], v[142:143], v[148:149]
	v_fmac_f64_e32 v[144:145], v[140:141], v[10:11]
	v_fma_f64 v[10:11], v[138:139], v[10:11], -v[12:13]
	s_wait_loadcnt_dscnt 0x0
	v_mul_f64_e32 v[142:143], v[4:5], v[132:133]
	v_mul_f64_e32 v[132:133], v[6:7], v[132:133]
	v_add_f64_e32 v[12:13], v[134:135], v[150:151]
	v_add_f64_e32 v[134:135], v[136:137], v[146:147]
	s_delay_alu instid0(VALU_DEP_4) | instskip(NEXT) | instid1(VALU_DEP_4)
	v_fmac_f64_e32 v[142:143], v[6:7], v[130:131]
	v_fma_f64 v[4:5], v[4:5], v[130:131], -v[132:133]
	s_delay_alu instid0(VALU_DEP_4) | instskip(NEXT) | instid1(VALU_DEP_4)
	v_add_f64_e32 v[6:7], v[12:13], v[10:11]
	v_add_f64_e32 v[10:11], v[134:135], v[144:145]
	s_delay_alu instid0(VALU_DEP_2) | instskip(NEXT) | instid1(VALU_DEP_2)
	v_add_f64_e32 v[4:5], v[6:7], v[4:5]
	v_add_f64_e32 v[6:7], v[10:11], v[142:143]
	s_delay_alu instid0(VALU_DEP_2) | instskip(NEXT) | instid1(VALU_DEP_2)
	v_add_f64_e64 v[4:5], v[170:171], -v[4:5]
	v_add_f64_e64 v[6:7], v[172:173], -v[6:7]
	scratch_store_b128 off, v[4:7], off offset:288
	s_wait_xcnt 0x0
	v_cmpx_lt_u32_e32 17, v1
	s_cbranch_execz .LBB121_327
; %bb.326:
	scratch_load_b128 v[10:13], off, s57
	v_dual_mov_b32 v3, v2 :: v_dual_mov_b32 v4, v2
	v_mov_b32_e32 v5, v2
	scratch_store_b128 off, v[2:5], off offset:272
	s_wait_loadcnt 0x0
	ds_store_b128 v8, v[10:13]
.LBB121_327:
	s_wait_xcnt 0x0
	s_or_b32 exec_lo, exec_lo, s2
	s_wait_storecnt_dscnt 0x0
	s_barrier_signal -1
	s_barrier_wait -1
	s_clause 0x9
	scratch_load_b128 v[4:7], off, off offset:288
	scratch_load_b128 v[10:13], off, off offset:304
	;; [unrolled: 1-line block ×10, first 2 shown]
	ds_load_b128 v[162:165], v2 offset:1216
	ds_load_b128 v[170:173], v2 offset:1232
	s_clause 0x2
	scratch_load_b128 v[166:169], off, off offset:448
	scratch_load_b128 v[174:177], off, off offset:272
	;; [unrolled: 1-line block ×3, first 2 shown]
	s_mov_b32 s2, exec_lo
	s_wait_loadcnt_dscnt 0xc01
	v_mul_f64_e32 v[182:183], v[164:165], v[6:7]
	v_mul_f64_e32 v[186:187], v[162:163], v[6:7]
	s_wait_loadcnt_dscnt 0xb00
	v_mul_f64_e32 v[188:189], v[170:171], v[12:13]
	v_mul_f64_e32 v[12:13], v[172:173], v[12:13]
	s_delay_alu instid0(VALU_DEP_4) | instskip(NEXT) | instid1(VALU_DEP_4)
	v_fma_f64 v[190:191], v[162:163], v[4:5], -v[182:183]
	v_fmac_f64_e32 v[186:187], v[164:165], v[4:5]
	ds_load_b128 v[4:7], v2 offset:1248
	ds_load_b128 v[162:165], v2 offset:1264
	scratch_load_b128 v[182:185], off, off offset:480
	v_fmac_f64_e32 v[188:189], v[172:173], v[10:11]
	v_fma_f64 v[170:171], v[170:171], v[10:11], -v[12:13]
	scratch_load_b128 v[10:13], off, off offset:496
	s_wait_loadcnt_dscnt 0xc01
	v_mul_f64_e32 v[192:193], v[4:5], v[132:133]
	v_mul_f64_e32 v[132:133], v[6:7], v[132:133]
	v_add_f64_e32 v[172:173], 0, v[190:191]
	v_add_f64_e32 v[186:187], 0, v[186:187]
	s_wait_loadcnt_dscnt 0xb00
	v_mul_f64_e32 v[190:191], v[162:163], v[136:137]
	v_mul_f64_e32 v[136:137], v[164:165], v[136:137]
	v_fmac_f64_e32 v[192:193], v[6:7], v[130:131]
	v_fma_f64 v[194:195], v[4:5], v[130:131], -v[132:133]
	ds_load_b128 v[4:7], v2 offset:1280
	ds_load_b128 v[130:133], v2 offset:1296
	v_add_f64_e32 v[196:197], v[172:173], v[170:171]
	v_add_f64_e32 v[186:187], v[186:187], v[188:189]
	scratch_load_b128 v[170:173], off, off offset:512
	v_fmac_f64_e32 v[190:191], v[164:165], v[134:135]
	v_fma_f64 v[162:163], v[162:163], v[134:135], -v[136:137]
	scratch_load_b128 v[134:137], off, off offset:528
	s_wait_loadcnt_dscnt 0xc01
	v_mul_f64_e32 v[188:189], v[4:5], v[140:141]
	v_mul_f64_e32 v[140:141], v[6:7], v[140:141]
	v_add_f64_e32 v[164:165], v[196:197], v[194:195]
	v_add_f64_e32 v[186:187], v[186:187], v[192:193]
	s_wait_loadcnt_dscnt 0xb00
	v_mul_f64_e32 v[192:193], v[130:131], v[144:145]
	v_mul_f64_e32 v[144:145], v[132:133], v[144:145]
	v_fmac_f64_e32 v[188:189], v[6:7], v[138:139]
	v_fma_f64 v[194:195], v[4:5], v[138:139], -v[140:141]
	ds_load_b128 v[4:7], v2 offset:1312
	ds_load_b128 v[138:141], v2 offset:1328
	v_add_f64_e32 v[196:197], v[164:165], v[162:163]
	v_add_f64_e32 v[186:187], v[186:187], v[190:191]
	scratch_load_b128 v[162:165], off, off offset:544
	s_wait_loadcnt_dscnt 0xb01
	v_mul_f64_e32 v[190:191], v[4:5], v[148:149]
	v_mul_f64_e32 v[148:149], v[6:7], v[148:149]
	v_fmac_f64_e32 v[192:193], v[132:133], v[142:143]
	v_fma_f64 v[142:143], v[130:131], v[142:143], -v[144:145]
	scratch_load_b128 v[130:133], off, off offset:560
	v_add_f64_e32 v[144:145], v[196:197], v[194:195]
	v_add_f64_e32 v[186:187], v[186:187], v[188:189]
	s_wait_loadcnt_dscnt 0xb00
	v_mul_f64_e32 v[188:189], v[138:139], v[152:153]
	v_mul_f64_e32 v[152:153], v[140:141], v[152:153]
	v_fmac_f64_e32 v[190:191], v[6:7], v[146:147]
	v_fma_f64 v[194:195], v[4:5], v[146:147], -v[148:149]
	v_add_f64_e32 v[196:197], v[144:145], v[142:143]
	v_add_f64_e32 v[186:187], v[186:187], v[192:193]
	ds_load_b128 v[4:7], v2 offset:1344
	ds_load_b128 v[142:145], v2 offset:1360
	scratch_load_b128 v[146:149], off, off offset:576
	v_fmac_f64_e32 v[188:189], v[140:141], v[150:151]
	v_fma_f64 v[150:151], v[138:139], v[150:151], -v[152:153]
	scratch_load_b128 v[138:141], off, off offset:592
	s_wait_loadcnt_dscnt 0xc01
	v_mul_f64_e32 v[192:193], v[4:5], v[156:157]
	v_mul_f64_e32 v[156:157], v[6:7], v[156:157]
	v_add_f64_e32 v[152:153], v[196:197], v[194:195]
	v_add_f64_e32 v[186:187], v[186:187], v[190:191]
	s_wait_loadcnt_dscnt 0xb00
	v_mul_f64_e32 v[190:191], v[142:143], v[160:161]
	v_mul_f64_e32 v[160:161], v[144:145], v[160:161]
	v_fmac_f64_e32 v[192:193], v[6:7], v[154:155]
	v_fma_f64 v[194:195], v[4:5], v[154:155], -v[156:157]
	v_add_f64_e32 v[196:197], v[152:153], v[150:151]
	v_add_f64_e32 v[186:187], v[186:187], v[188:189]
	ds_load_b128 v[4:7], v2 offset:1376
	ds_load_b128 v[150:153], v2 offset:1392
	scratch_load_b128 v[154:157], off, off offset:608
	v_fmac_f64_e32 v[190:191], v[144:145], v[158:159]
	v_fma_f64 v[158:159], v[142:143], v[158:159], -v[160:161]
	scratch_load_b128 v[142:145], off, off offset:624
	s_wait_loadcnt_dscnt 0xc01
	v_mul_f64_e32 v[188:189], v[4:5], v[168:169]
	v_mul_f64_e32 v[168:169], v[6:7], v[168:169]
	;; [unrolled: 18-line block ×5, first 2 shown]
	v_add_f64_e32 v[180:181], v[196:197], v[194:195]
	v_add_f64_e32 v[186:187], v[186:187], v[192:193]
	s_wait_loadcnt_dscnt 0xa00
	v_mul_f64_e32 v[192:193], v[158:159], v[132:133]
	v_mul_f64_e32 v[132:133], v[160:161], v[132:133]
	v_fmac_f64_e32 v[188:189], v[6:7], v[162:163]
	v_fma_f64 v[194:195], v[4:5], v[162:163], -v[164:165]
	ds_load_b128 v[4:7], v2 offset:1504
	ds_load_b128 v[162:165], v2 offset:1520
	v_add_f64_e32 v[196:197], v[180:181], v[178:179]
	v_add_f64_e32 v[186:187], v[186:187], v[190:191]
	scratch_load_b128 v[178:181], off, off offset:736
	v_fmac_f64_e32 v[192:193], v[160:161], v[130:131]
	v_fma_f64 v[158:159], v[158:159], v[130:131], -v[132:133]
	scratch_load_b128 v[130:133], off, off offset:752
	s_wait_loadcnt_dscnt 0xb01
	v_mul_f64_e32 v[190:191], v[4:5], v[148:149]
	v_mul_f64_e32 v[148:149], v[6:7], v[148:149]
	v_add_f64_e32 v[160:161], v[196:197], v[194:195]
	v_add_f64_e32 v[186:187], v[186:187], v[188:189]
	s_wait_loadcnt_dscnt 0xa00
	v_mul_f64_e32 v[188:189], v[162:163], v[140:141]
	v_mul_f64_e32 v[140:141], v[164:165], v[140:141]
	v_fmac_f64_e32 v[190:191], v[6:7], v[146:147]
	v_fma_f64 v[194:195], v[4:5], v[146:147], -v[148:149]
	ds_load_b128 v[4:7], v2 offset:1536
	ds_load_b128 v[146:149], v2 offset:1552
	v_add_f64_e32 v[196:197], v[160:161], v[158:159]
	v_add_f64_e32 v[186:187], v[186:187], v[192:193]
	scratch_load_b128 v[158:161], off, off offset:768
	s_wait_loadcnt_dscnt 0xa01
	v_mul_f64_e32 v[192:193], v[4:5], v[156:157]
	v_mul_f64_e32 v[156:157], v[6:7], v[156:157]
	v_fmac_f64_e32 v[188:189], v[164:165], v[138:139]
	v_fma_f64 v[162:163], v[162:163], v[138:139], -v[140:141]
	scratch_load_b128 v[138:141], off, off offset:784
	v_add_f64_e32 v[164:165], v[196:197], v[194:195]
	v_add_f64_e32 v[186:187], v[186:187], v[190:191]
	s_wait_loadcnt_dscnt 0xa00
	v_mul_f64_e32 v[190:191], v[146:147], v[144:145]
	v_mul_f64_e32 v[144:145], v[148:149], v[144:145]
	v_fmac_f64_e32 v[192:193], v[6:7], v[154:155]
	v_fma_f64 v[194:195], v[4:5], v[154:155], -v[156:157]
	ds_load_b128 v[4:7], v2 offset:1568
	ds_load_b128 v[154:157], v2 offset:1584
	v_add_f64_e32 v[196:197], v[164:165], v[162:163]
	v_add_f64_e32 v[186:187], v[186:187], v[188:189]
	scratch_load_b128 v[162:165], off, off offset:800
	s_wait_loadcnt_dscnt 0xa01
	v_mul_f64_e32 v[188:189], v[4:5], v[168:169]
	v_mul_f64_e32 v[168:169], v[6:7], v[168:169]
	v_fmac_f64_e32 v[190:191], v[148:149], v[142:143]
	v_fma_f64 v[146:147], v[146:147], v[142:143], -v[144:145]
	scratch_load_b128 v[142:145], off, off offset:816
	v_add_f64_e32 v[148:149], v[196:197], v[194:195]
	v_add_f64_e32 v[186:187], v[186:187], v[192:193]
	s_wait_loadcnt_dscnt 0xa00
	v_mul_f64_e32 v[192:193], v[154:155], v[152:153]
	v_mul_f64_e32 v[152:153], v[156:157], v[152:153]
	v_fmac_f64_e32 v[188:189], v[6:7], v[166:167]
	v_fma_f64 v[194:195], v[4:5], v[166:167], -v[168:169]
	v_add_f64_e32 v[196:197], v[148:149], v[146:147]
	v_add_f64_e32 v[186:187], v[186:187], v[190:191]
	ds_load_b128 v[4:7], v2 offset:1600
	ds_load_b128 v[146:149], v2 offset:1616
	scratch_load_b128 v[166:169], off, off offset:832
	v_fmac_f64_e32 v[192:193], v[156:157], v[150:151]
	v_fma_f64 v[154:155], v[154:155], v[150:151], -v[152:153]
	scratch_load_b128 v[150:153], off, off offset:848
	s_wait_loadcnt_dscnt 0xb01
	v_mul_f64_e32 v[190:191], v[4:5], v[184:185]
	v_mul_f64_e32 v[184:185], v[6:7], v[184:185]
	v_add_f64_e32 v[156:157], v[196:197], v[194:195]
	v_add_f64_e32 v[186:187], v[186:187], v[188:189]
	s_wait_loadcnt_dscnt 0xa00
	v_mul_f64_e32 v[188:189], v[146:147], v[12:13]
	v_mul_f64_e32 v[12:13], v[148:149], v[12:13]
	v_fmac_f64_e32 v[190:191], v[6:7], v[182:183]
	v_fma_f64 v[194:195], v[4:5], v[182:183], -v[184:185]
	v_add_f64_e32 v[196:197], v[156:157], v[154:155]
	v_add_f64_e32 v[186:187], v[186:187], v[192:193]
	ds_load_b128 v[4:7], v2 offset:1632
	ds_load_b128 v[154:157], v2 offset:1648
	scratch_load_b128 v[182:185], off, off offset:864
	v_fmac_f64_e32 v[188:189], v[148:149], v[10:11]
	v_fma_f64 v[146:147], v[146:147], v[10:11], -v[12:13]
	scratch_load_b128 v[10:13], off, off offset:880
	s_wait_loadcnt_dscnt 0xb01
	v_mul_f64_e32 v[192:193], v[4:5], v[172:173]
	v_mul_f64_e32 v[172:173], v[6:7], v[172:173]
	;; [unrolled: 18-line block ×3, first 2 shown]
	v_add_f64_e32 v[156:157], v[196:197], v[194:195]
	v_add_f64_e32 v[186:187], v[186:187], v[192:193]
	s_wait_loadcnt_dscnt 0xa00
	v_mul_f64_e32 v[192:193], v[146:147], v[132:133]
	v_mul_f64_e32 v[132:133], v[148:149], v[132:133]
	v_fmac_f64_e32 v[188:189], v[6:7], v[178:179]
	v_fma_f64 v[178:179], v[4:5], v[178:179], -v[180:181]
	v_add_f64_e32 v[180:181], v[156:157], v[154:155]
	v_add_f64_e32 v[186:187], v[186:187], v[190:191]
	ds_load_b128 v[4:7], v2 offset:1696
	ds_load_b128 v[154:157], v2 offset:1712
	v_fmac_f64_e32 v[192:193], v[148:149], v[130:131]
	v_fma_f64 v[130:131], v[146:147], v[130:131], -v[132:133]
	s_wait_loadcnt_dscnt 0x901
	v_mul_f64_e32 v[190:191], v[4:5], v[160:161]
	v_mul_f64_e32 v[160:161], v[6:7], v[160:161]
	s_wait_loadcnt_dscnt 0x800
	v_mul_f64_e32 v[148:149], v[154:155], v[140:141]
	v_mul_f64_e32 v[140:141], v[156:157], v[140:141]
	v_add_f64_e32 v[132:133], v[180:181], v[178:179]
	v_add_f64_e32 v[146:147], v[186:187], v[188:189]
	v_fmac_f64_e32 v[190:191], v[6:7], v[158:159]
	v_fma_f64 v[158:159], v[4:5], v[158:159], -v[160:161]
	v_fmac_f64_e32 v[148:149], v[156:157], v[138:139]
	v_fma_f64 v[138:139], v[154:155], v[138:139], -v[140:141]
	v_add_f64_e32 v[160:161], v[132:133], v[130:131]
	v_add_f64_e32 v[146:147], v[146:147], v[192:193]
	ds_load_b128 v[4:7], v2 offset:1728
	ds_load_b128 v[130:133], v2 offset:1744
	s_wait_loadcnt_dscnt 0x701
	v_mul_f64_e32 v[178:179], v[4:5], v[164:165]
	v_mul_f64_e32 v[164:165], v[6:7], v[164:165]
	s_wait_loadcnt_dscnt 0x600
	v_mul_f64_e32 v[154:155], v[130:131], v[144:145]
	v_mul_f64_e32 v[144:145], v[132:133], v[144:145]
	v_add_f64_e32 v[140:141], v[160:161], v[158:159]
	v_add_f64_e32 v[146:147], v[146:147], v[190:191]
	v_fmac_f64_e32 v[178:179], v[6:7], v[162:163]
	v_fma_f64 v[156:157], v[4:5], v[162:163], -v[164:165]
	v_fmac_f64_e32 v[154:155], v[132:133], v[142:143]
	v_fma_f64 v[130:131], v[130:131], v[142:143], -v[144:145]
	v_add_f64_e32 v[158:159], v[140:141], v[138:139]
	v_add_f64_e32 v[146:147], v[146:147], v[148:149]
	ds_load_b128 v[4:7], v2 offset:1760
	ds_load_b128 v[138:141], v2 offset:1776
	s_wait_loadcnt_dscnt 0x501
	v_mul_f64_e32 v[148:149], v[4:5], v[168:169]
	v_mul_f64_e32 v[160:161], v[6:7], v[168:169]
	s_wait_loadcnt_dscnt 0x400
	v_mul_f64_e32 v[144:145], v[138:139], v[152:153]
	v_add_f64_e32 v[132:133], v[158:159], v[156:157]
	v_add_f64_e32 v[142:143], v[146:147], v[178:179]
	v_mul_f64_e32 v[146:147], v[140:141], v[152:153]
	v_fmac_f64_e32 v[148:149], v[6:7], v[166:167]
	v_fma_f64 v[152:153], v[4:5], v[166:167], -v[160:161]
	v_fmac_f64_e32 v[144:145], v[140:141], v[150:151]
	v_add_f64_e32 v[156:157], v[132:133], v[130:131]
	v_add_f64_e32 v[142:143], v[142:143], v[154:155]
	ds_load_b128 v[4:7], v2 offset:1792
	ds_load_b128 v[130:133], v2 offset:1808
	v_fma_f64 v[138:139], v[138:139], v[150:151], -v[146:147]
	s_wait_loadcnt_dscnt 0x301
	v_mul_f64_e32 v[154:155], v[4:5], v[184:185]
	v_mul_f64_e32 v[158:159], v[6:7], v[184:185]
	s_wait_loadcnt_dscnt 0x200
	v_mul_f64_e32 v[146:147], v[130:131], v[12:13]
	v_mul_f64_e32 v[12:13], v[132:133], v[12:13]
	v_add_f64_e32 v[140:141], v[156:157], v[152:153]
	v_add_f64_e32 v[142:143], v[142:143], v[148:149]
	v_fmac_f64_e32 v[154:155], v[6:7], v[182:183]
	v_fma_f64 v[148:149], v[4:5], v[182:183], -v[158:159]
	v_fmac_f64_e32 v[146:147], v[132:133], v[10:11]
	v_fma_f64 v[10:11], v[130:131], v[10:11], -v[12:13]
	v_add_f64_e32 v[150:151], v[140:141], v[138:139]
	v_add_f64_e32 v[142:143], v[142:143], v[144:145]
	ds_load_b128 v[4:7], v2 offset:1824
	ds_load_b128 v[138:141], v2 offset:1840
	s_wait_loadcnt_dscnt 0x101
	v_mul_f64_e32 v[2:3], v[4:5], v[172:173]
	v_mul_f64_e32 v[144:145], v[6:7], v[172:173]
	s_wait_loadcnt_dscnt 0x0
	v_mul_f64_e32 v[132:133], v[138:139], v[136:137]
	v_mul_f64_e32 v[136:137], v[140:141], v[136:137]
	v_add_f64_e32 v[12:13], v[150:151], v[148:149]
	v_add_f64_e32 v[130:131], v[142:143], v[154:155]
	v_fmac_f64_e32 v[2:3], v[6:7], v[170:171]
	v_fma_f64 v[4:5], v[4:5], v[170:171], -v[144:145]
	v_fmac_f64_e32 v[132:133], v[140:141], v[134:135]
	v_add_f64_e32 v[6:7], v[12:13], v[10:11]
	v_add_f64_e32 v[10:11], v[130:131], v[146:147]
	v_fma_f64 v[12:13], v[138:139], v[134:135], -v[136:137]
	s_delay_alu instid0(VALU_DEP_3) | instskip(NEXT) | instid1(VALU_DEP_3)
	v_add_f64_e32 v[4:5], v[6:7], v[4:5]
	v_add_f64_e32 v[2:3], v[10:11], v[2:3]
	s_delay_alu instid0(VALU_DEP_2) | instskip(NEXT) | instid1(VALU_DEP_2)
	v_add_f64_e32 v[4:5], v[4:5], v[12:13]
	v_add_f64_e32 v[6:7], v[2:3], v[132:133]
	s_delay_alu instid0(VALU_DEP_2) | instskip(NEXT) | instid1(VALU_DEP_2)
	v_add_f64_e64 v[2:3], v[174:175], -v[4:5]
	v_add_f64_e64 v[4:5], v[176:177], -v[6:7]
	scratch_store_b128 off, v[2:5], off offset:272
	s_wait_xcnt 0x0
	v_cmpx_lt_u32_e32 16, v1
	s_cbranch_execz .LBB121_329
; %bb.328:
	scratch_load_b128 v[2:5], off, s58
	v_mov_b32_e32 v10, 0
	s_delay_alu instid0(VALU_DEP_1)
	v_dual_mov_b32 v11, v10 :: v_dual_mov_b32 v12, v10
	v_mov_b32_e32 v13, v10
	scratch_store_b128 off, v[10:13], off offset:256
	s_wait_loadcnt 0x0
	ds_store_b128 v8, v[2:5]
.LBB121_329:
	s_wait_xcnt 0x0
	s_or_b32 exec_lo, exec_lo, s2
	s_wait_storecnt_dscnt 0x0
	s_barrier_signal -1
	s_barrier_wait -1
	s_clause 0x9
	scratch_load_b128 v[4:7], off, off offset:272
	scratch_load_b128 v[10:13], off, off offset:288
	;; [unrolled: 1-line block ×10, first 2 shown]
	v_mov_b32_e32 v2, 0
	s_mov_b32 s2, exec_lo
	ds_load_b128 v[162:165], v2 offset:1200
	s_clause 0x2
	scratch_load_b128 v[166:169], off, off offset:432
	scratch_load_b128 v[170:173], off, off offset:256
	;; [unrolled: 1-line block ×3, first 2 shown]
	s_wait_loadcnt_dscnt 0xc00
	v_mul_f64_e32 v[182:183], v[164:165], v[6:7]
	v_mul_f64_e32 v[186:187], v[162:163], v[6:7]
	ds_load_b128 v[174:177], v2 offset:1216
	v_fma_f64 v[190:191], v[162:163], v[4:5], -v[182:183]
	v_fmac_f64_e32 v[186:187], v[164:165], v[4:5]
	ds_load_b128 v[4:7], v2 offset:1232
	s_wait_loadcnt_dscnt 0xb01
	v_mul_f64_e32 v[188:189], v[174:175], v[12:13]
	v_mul_f64_e32 v[12:13], v[176:177], v[12:13]
	scratch_load_b128 v[162:165], off, off offset:464
	ds_load_b128 v[182:185], v2 offset:1248
	s_wait_loadcnt_dscnt 0xb01
	v_mul_f64_e32 v[192:193], v[4:5], v[132:133]
	v_mul_f64_e32 v[132:133], v[6:7], v[132:133]
	v_add_f64_e32 v[186:187], 0, v[186:187]
	v_fmac_f64_e32 v[188:189], v[176:177], v[10:11]
	v_fma_f64 v[174:175], v[174:175], v[10:11], -v[12:13]
	v_add_f64_e32 v[176:177], 0, v[190:191]
	scratch_load_b128 v[10:13], off, off offset:480
	v_fmac_f64_e32 v[192:193], v[6:7], v[130:131]
	v_fma_f64 v[194:195], v[4:5], v[130:131], -v[132:133]
	ds_load_b128 v[4:7], v2 offset:1264
	s_wait_loadcnt_dscnt 0xb01
	v_mul_f64_e32 v[190:191], v[182:183], v[136:137]
	v_mul_f64_e32 v[136:137], v[184:185], v[136:137]
	scratch_load_b128 v[130:133], off, off offset:496
	v_add_f64_e32 v[186:187], v[186:187], v[188:189]
	v_add_f64_e32 v[196:197], v[176:177], v[174:175]
	ds_load_b128 v[174:177], v2 offset:1280
	s_wait_loadcnt_dscnt 0xb01
	v_mul_f64_e32 v[188:189], v[4:5], v[140:141]
	v_mul_f64_e32 v[140:141], v[6:7], v[140:141]
	v_fmac_f64_e32 v[190:191], v[184:185], v[134:135]
	v_fma_f64 v[182:183], v[182:183], v[134:135], -v[136:137]
	scratch_load_b128 v[134:137], off, off offset:512
	v_add_f64_e32 v[186:187], v[186:187], v[192:193]
	v_add_f64_e32 v[184:185], v[196:197], v[194:195]
	v_fmac_f64_e32 v[188:189], v[6:7], v[138:139]
	v_fma_f64 v[194:195], v[4:5], v[138:139], -v[140:141]
	ds_load_b128 v[4:7], v2 offset:1296
	s_wait_loadcnt_dscnt 0xb01
	v_mul_f64_e32 v[192:193], v[174:175], v[144:145]
	v_mul_f64_e32 v[144:145], v[176:177], v[144:145]
	scratch_load_b128 v[138:141], off, off offset:528
	v_add_f64_e32 v[186:187], v[186:187], v[190:191]
	s_wait_loadcnt_dscnt 0xb00
	v_mul_f64_e32 v[190:191], v[4:5], v[148:149]
	v_add_f64_e32 v[196:197], v[184:185], v[182:183]
	v_mul_f64_e32 v[148:149], v[6:7], v[148:149]
	ds_load_b128 v[182:185], v2 offset:1312
	v_fmac_f64_e32 v[192:193], v[176:177], v[142:143]
	v_fma_f64 v[174:175], v[174:175], v[142:143], -v[144:145]
	scratch_load_b128 v[142:145], off, off offset:544
	v_add_f64_e32 v[186:187], v[186:187], v[188:189]
	v_fmac_f64_e32 v[190:191], v[6:7], v[146:147]
	v_add_f64_e32 v[176:177], v[196:197], v[194:195]
	v_fma_f64 v[194:195], v[4:5], v[146:147], -v[148:149]
	ds_load_b128 v[4:7], v2 offset:1328
	s_wait_loadcnt_dscnt 0xb01
	v_mul_f64_e32 v[188:189], v[182:183], v[152:153]
	v_mul_f64_e32 v[152:153], v[184:185], v[152:153]
	scratch_load_b128 v[146:149], off, off offset:560
	v_add_f64_e32 v[186:187], v[186:187], v[192:193]
	s_wait_loadcnt_dscnt 0xb00
	v_mul_f64_e32 v[192:193], v[4:5], v[156:157]
	v_add_f64_e32 v[196:197], v[176:177], v[174:175]
	v_mul_f64_e32 v[156:157], v[6:7], v[156:157]
	ds_load_b128 v[174:177], v2 offset:1344
	v_fmac_f64_e32 v[188:189], v[184:185], v[150:151]
	v_fma_f64 v[182:183], v[182:183], v[150:151], -v[152:153]
	scratch_load_b128 v[150:153], off, off offset:576
	v_add_f64_e32 v[186:187], v[186:187], v[190:191]
	v_fmac_f64_e32 v[192:193], v[6:7], v[154:155]
	v_add_f64_e32 v[184:185], v[196:197], v[194:195]
	v_fma_f64 v[194:195], v[4:5], v[154:155], -v[156:157]
	ds_load_b128 v[4:7], v2 offset:1360
	s_wait_loadcnt_dscnt 0xb01
	v_mul_f64_e32 v[190:191], v[174:175], v[160:161]
	v_mul_f64_e32 v[160:161], v[176:177], v[160:161]
	scratch_load_b128 v[154:157], off, off offset:592
	v_add_f64_e32 v[186:187], v[186:187], v[188:189]
	s_wait_loadcnt_dscnt 0xb00
	v_mul_f64_e32 v[188:189], v[4:5], v[168:169]
	v_add_f64_e32 v[196:197], v[184:185], v[182:183]
	v_mul_f64_e32 v[168:169], v[6:7], v[168:169]
	ds_load_b128 v[182:185], v2 offset:1376
	v_fmac_f64_e32 v[190:191], v[176:177], v[158:159]
	v_fma_f64 v[174:175], v[174:175], v[158:159], -v[160:161]
	scratch_load_b128 v[158:161], off, off offset:608
	v_add_f64_e32 v[186:187], v[186:187], v[192:193]
	v_fmac_f64_e32 v[188:189], v[6:7], v[166:167]
	v_add_f64_e32 v[176:177], v[196:197], v[194:195]
	v_fma_f64 v[194:195], v[4:5], v[166:167], -v[168:169]
	ds_load_b128 v[4:7], v2 offset:1392
	s_wait_loadcnt_dscnt 0xa01
	v_mul_f64_e32 v[192:193], v[182:183], v[180:181]
	v_mul_f64_e32 v[180:181], v[184:185], v[180:181]
	scratch_load_b128 v[166:169], off, off offset:624
	v_add_f64_e32 v[186:187], v[186:187], v[190:191]
	v_add_f64_e32 v[196:197], v[176:177], v[174:175]
	s_wait_loadcnt_dscnt 0xa00
	v_mul_f64_e32 v[190:191], v[4:5], v[164:165]
	v_mul_f64_e32 v[164:165], v[6:7], v[164:165]
	v_fmac_f64_e32 v[192:193], v[184:185], v[178:179]
	v_fma_f64 v[182:183], v[182:183], v[178:179], -v[180:181]
	ds_load_b128 v[174:177], v2 offset:1408
	scratch_load_b128 v[178:181], off, off offset:640
	v_add_f64_e32 v[186:187], v[186:187], v[188:189]
	v_add_f64_e32 v[184:185], v[196:197], v[194:195]
	v_fmac_f64_e32 v[190:191], v[6:7], v[162:163]
	v_fma_f64 v[194:195], v[4:5], v[162:163], -v[164:165]
	ds_load_b128 v[4:7], v2 offset:1424
	s_wait_loadcnt_dscnt 0xa01
	v_mul_f64_e32 v[188:189], v[174:175], v[12:13]
	v_mul_f64_e32 v[12:13], v[176:177], v[12:13]
	scratch_load_b128 v[162:165], off, off offset:656
	v_add_f64_e32 v[186:187], v[186:187], v[192:193]
	s_wait_loadcnt_dscnt 0xa00
	v_mul_f64_e32 v[192:193], v[4:5], v[132:133]
	v_add_f64_e32 v[196:197], v[184:185], v[182:183]
	v_mul_f64_e32 v[132:133], v[6:7], v[132:133]
	ds_load_b128 v[182:185], v2 offset:1440
	v_fmac_f64_e32 v[188:189], v[176:177], v[10:11]
	v_fma_f64 v[174:175], v[174:175], v[10:11], -v[12:13]
	scratch_load_b128 v[10:13], off, off offset:672
	v_add_f64_e32 v[186:187], v[186:187], v[190:191]
	v_fmac_f64_e32 v[192:193], v[6:7], v[130:131]
	v_add_f64_e32 v[176:177], v[196:197], v[194:195]
	v_fma_f64 v[194:195], v[4:5], v[130:131], -v[132:133]
	ds_load_b128 v[4:7], v2 offset:1456
	s_wait_loadcnt_dscnt 0xa01
	v_mul_f64_e32 v[190:191], v[182:183], v[136:137]
	v_mul_f64_e32 v[136:137], v[184:185], v[136:137]
	scratch_load_b128 v[130:133], off, off offset:688
	v_add_f64_e32 v[186:187], v[186:187], v[188:189]
	s_wait_loadcnt_dscnt 0xa00
	v_mul_f64_e32 v[188:189], v[4:5], v[140:141]
	v_add_f64_e32 v[196:197], v[176:177], v[174:175]
	v_mul_f64_e32 v[140:141], v[6:7], v[140:141]
	ds_load_b128 v[174:177], v2 offset:1472
	v_fmac_f64_e32 v[190:191], v[184:185], v[134:135]
	v_fma_f64 v[182:183], v[182:183], v[134:135], -v[136:137]
	scratch_load_b128 v[134:137], off, off offset:704
	v_add_f64_e32 v[186:187], v[186:187], v[192:193]
	v_fmac_f64_e32 v[188:189], v[6:7], v[138:139]
	v_add_f64_e32 v[184:185], v[196:197], v[194:195]
	v_fma_f64 v[194:195], v[4:5], v[138:139], -v[140:141]
	ds_load_b128 v[4:7], v2 offset:1488
	s_wait_loadcnt_dscnt 0xa01
	v_mul_f64_e32 v[192:193], v[174:175], v[144:145]
	v_mul_f64_e32 v[144:145], v[176:177], v[144:145]
	scratch_load_b128 v[138:141], off, off offset:720
	v_add_f64_e32 v[186:187], v[186:187], v[190:191]
	s_wait_loadcnt_dscnt 0xa00
	v_mul_f64_e32 v[190:191], v[4:5], v[148:149]
	v_add_f64_e32 v[196:197], v[184:185], v[182:183]
	v_mul_f64_e32 v[148:149], v[6:7], v[148:149]
	ds_load_b128 v[182:185], v2 offset:1504
	v_fmac_f64_e32 v[192:193], v[176:177], v[142:143]
	v_fma_f64 v[174:175], v[174:175], v[142:143], -v[144:145]
	scratch_load_b128 v[142:145], off, off offset:736
	v_add_f64_e32 v[186:187], v[186:187], v[188:189]
	v_fmac_f64_e32 v[190:191], v[6:7], v[146:147]
	v_add_f64_e32 v[176:177], v[196:197], v[194:195]
	v_fma_f64 v[194:195], v[4:5], v[146:147], -v[148:149]
	ds_load_b128 v[4:7], v2 offset:1520
	s_wait_loadcnt_dscnt 0xa01
	v_mul_f64_e32 v[188:189], v[182:183], v[152:153]
	v_mul_f64_e32 v[152:153], v[184:185], v[152:153]
	scratch_load_b128 v[146:149], off, off offset:752
	v_add_f64_e32 v[186:187], v[186:187], v[192:193]
	s_wait_loadcnt_dscnt 0xa00
	v_mul_f64_e32 v[192:193], v[4:5], v[156:157]
	v_add_f64_e32 v[196:197], v[176:177], v[174:175]
	v_mul_f64_e32 v[156:157], v[6:7], v[156:157]
	ds_load_b128 v[174:177], v2 offset:1536
	v_fmac_f64_e32 v[188:189], v[184:185], v[150:151]
	v_fma_f64 v[182:183], v[182:183], v[150:151], -v[152:153]
	scratch_load_b128 v[150:153], off, off offset:768
	v_add_f64_e32 v[186:187], v[186:187], v[190:191]
	v_fmac_f64_e32 v[192:193], v[6:7], v[154:155]
	v_add_f64_e32 v[184:185], v[196:197], v[194:195]
	v_fma_f64 v[194:195], v[4:5], v[154:155], -v[156:157]
	ds_load_b128 v[4:7], v2 offset:1552
	s_wait_loadcnt_dscnt 0xa01
	v_mul_f64_e32 v[190:191], v[174:175], v[160:161]
	v_mul_f64_e32 v[160:161], v[176:177], v[160:161]
	scratch_load_b128 v[154:157], off, off offset:784
	v_add_f64_e32 v[186:187], v[186:187], v[188:189]
	s_wait_loadcnt_dscnt 0xa00
	v_mul_f64_e32 v[188:189], v[4:5], v[168:169]
	v_add_f64_e32 v[196:197], v[184:185], v[182:183]
	v_mul_f64_e32 v[168:169], v[6:7], v[168:169]
	ds_load_b128 v[182:185], v2 offset:1568
	v_fmac_f64_e32 v[190:191], v[176:177], v[158:159]
	v_fma_f64 v[174:175], v[174:175], v[158:159], -v[160:161]
	scratch_load_b128 v[158:161], off, off offset:800
	v_add_f64_e32 v[186:187], v[186:187], v[192:193]
	v_fmac_f64_e32 v[188:189], v[6:7], v[166:167]
	v_add_f64_e32 v[176:177], v[196:197], v[194:195]
	v_fma_f64 v[194:195], v[4:5], v[166:167], -v[168:169]
	ds_load_b128 v[4:7], v2 offset:1584
	s_wait_loadcnt_dscnt 0xa01
	v_mul_f64_e32 v[192:193], v[182:183], v[180:181]
	v_mul_f64_e32 v[180:181], v[184:185], v[180:181]
	scratch_load_b128 v[166:169], off, off offset:816
	v_add_f64_e32 v[186:187], v[186:187], v[190:191]
	s_wait_loadcnt_dscnt 0xa00
	v_mul_f64_e32 v[190:191], v[4:5], v[164:165]
	v_add_f64_e32 v[196:197], v[176:177], v[174:175]
	v_mul_f64_e32 v[164:165], v[6:7], v[164:165]
	ds_load_b128 v[174:177], v2 offset:1600
	v_fmac_f64_e32 v[192:193], v[184:185], v[178:179]
	v_fma_f64 v[182:183], v[182:183], v[178:179], -v[180:181]
	scratch_load_b128 v[178:181], off, off offset:832
	v_add_f64_e32 v[186:187], v[186:187], v[188:189]
	v_fmac_f64_e32 v[190:191], v[6:7], v[162:163]
	v_add_f64_e32 v[184:185], v[196:197], v[194:195]
	v_fma_f64 v[194:195], v[4:5], v[162:163], -v[164:165]
	ds_load_b128 v[4:7], v2 offset:1616
	s_wait_loadcnt_dscnt 0xa01
	v_mul_f64_e32 v[188:189], v[174:175], v[12:13]
	v_mul_f64_e32 v[12:13], v[176:177], v[12:13]
	scratch_load_b128 v[162:165], off, off offset:848
	v_add_f64_e32 v[186:187], v[186:187], v[192:193]
	s_wait_loadcnt_dscnt 0xa00
	v_mul_f64_e32 v[192:193], v[4:5], v[132:133]
	v_add_f64_e32 v[196:197], v[184:185], v[182:183]
	v_mul_f64_e32 v[132:133], v[6:7], v[132:133]
	ds_load_b128 v[182:185], v2 offset:1632
	v_fmac_f64_e32 v[188:189], v[176:177], v[10:11]
	v_fma_f64 v[174:175], v[174:175], v[10:11], -v[12:13]
	scratch_load_b128 v[10:13], off, off offset:864
	v_add_f64_e32 v[186:187], v[186:187], v[190:191]
	v_fmac_f64_e32 v[192:193], v[6:7], v[130:131]
	v_add_f64_e32 v[176:177], v[196:197], v[194:195]
	v_fma_f64 v[194:195], v[4:5], v[130:131], -v[132:133]
	ds_load_b128 v[4:7], v2 offset:1648
	s_wait_loadcnt_dscnt 0xa01
	v_mul_f64_e32 v[190:191], v[182:183], v[136:137]
	v_mul_f64_e32 v[136:137], v[184:185], v[136:137]
	scratch_load_b128 v[130:133], off, off offset:880
	v_add_f64_e32 v[186:187], v[186:187], v[188:189]
	s_wait_loadcnt_dscnt 0xa00
	v_mul_f64_e32 v[188:189], v[4:5], v[140:141]
	v_add_f64_e32 v[196:197], v[176:177], v[174:175]
	v_mul_f64_e32 v[140:141], v[6:7], v[140:141]
	ds_load_b128 v[174:177], v2 offset:1664
	v_fmac_f64_e32 v[190:191], v[184:185], v[134:135]
	v_fma_f64 v[182:183], v[182:183], v[134:135], -v[136:137]
	scratch_load_b128 v[134:137], off, off offset:896
	v_add_f64_e32 v[186:187], v[186:187], v[192:193]
	v_fmac_f64_e32 v[188:189], v[6:7], v[138:139]
	v_add_f64_e32 v[184:185], v[196:197], v[194:195]
	v_fma_f64 v[194:195], v[4:5], v[138:139], -v[140:141]
	ds_load_b128 v[4:7], v2 offset:1680
	s_wait_loadcnt_dscnt 0xa01
	v_mul_f64_e32 v[192:193], v[174:175], v[144:145]
	v_mul_f64_e32 v[144:145], v[176:177], v[144:145]
	scratch_load_b128 v[138:141], off, off offset:912
	v_add_f64_e32 v[186:187], v[186:187], v[190:191]
	s_wait_loadcnt_dscnt 0xa00
	v_mul_f64_e32 v[190:191], v[4:5], v[148:149]
	v_add_f64_e32 v[196:197], v[184:185], v[182:183]
	v_mul_f64_e32 v[148:149], v[6:7], v[148:149]
	ds_load_b128 v[182:185], v2 offset:1696
	v_fmac_f64_e32 v[192:193], v[176:177], v[142:143]
	v_fma_f64 v[142:143], v[174:175], v[142:143], -v[144:145]
	s_wait_loadcnt_dscnt 0x900
	v_mul_f64_e32 v[176:177], v[182:183], v[152:153]
	v_mul_f64_e32 v[152:153], v[184:185], v[152:153]
	v_add_f64_e32 v[174:175], v[186:187], v[188:189]
	v_fmac_f64_e32 v[190:191], v[6:7], v[146:147]
	v_add_f64_e32 v[144:145], v[196:197], v[194:195]
	v_fma_f64 v[146:147], v[4:5], v[146:147], -v[148:149]
	v_fmac_f64_e32 v[176:177], v[184:185], v[150:151]
	v_fma_f64 v[150:151], v[182:183], v[150:151], -v[152:153]
	v_add_f64_e32 v[174:175], v[174:175], v[192:193]
	v_add_f64_e32 v[148:149], v[144:145], v[142:143]
	ds_load_b128 v[4:7], v2 offset:1712
	ds_load_b128 v[142:145], v2 offset:1728
	s_wait_loadcnt_dscnt 0x801
	v_mul_f64_e32 v[186:187], v[4:5], v[156:157]
	v_mul_f64_e32 v[156:157], v[6:7], v[156:157]
	s_wait_loadcnt_dscnt 0x700
	v_mul_f64_e32 v[152:153], v[142:143], v[160:161]
	v_mul_f64_e32 v[160:161], v[144:145], v[160:161]
	v_add_f64_e32 v[146:147], v[148:149], v[146:147]
	v_add_f64_e32 v[148:149], v[174:175], v[190:191]
	v_fmac_f64_e32 v[186:187], v[6:7], v[154:155]
	v_fma_f64 v[154:155], v[4:5], v[154:155], -v[156:157]
	v_fmac_f64_e32 v[152:153], v[144:145], v[158:159]
	v_fma_f64 v[142:143], v[142:143], v[158:159], -v[160:161]
	v_add_f64_e32 v[150:151], v[146:147], v[150:151]
	v_add_f64_e32 v[156:157], v[148:149], v[176:177]
	ds_load_b128 v[4:7], v2 offset:1744
	ds_load_b128 v[146:149], v2 offset:1760
	s_wait_loadcnt_dscnt 0x601
	v_mul_f64_e32 v[174:175], v[4:5], v[168:169]
	v_mul_f64_e32 v[168:169], v[6:7], v[168:169]
	v_add_f64_e32 v[144:145], v[150:151], v[154:155]
	v_add_f64_e32 v[150:151], v[156:157], v[186:187]
	s_wait_loadcnt_dscnt 0x500
	v_mul_f64_e32 v[154:155], v[146:147], v[180:181]
	v_mul_f64_e32 v[156:157], v[148:149], v[180:181]
	v_fmac_f64_e32 v[174:175], v[6:7], v[166:167]
	v_fma_f64 v[158:159], v[4:5], v[166:167], -v[168:169]
	v_add_f64_e32 v[160:161], v[144:145], v[142:143]
	v_add_f64_e32 v[150:151], v[150:151], v[152:153]
	ds_load_b128 v[4:7], v2 offset:1776
	ds_load_b128 v[142:145], v2 offset:1792
	v_fmac_f64_e32 v[154:155], v[148:149], v[178:179]
	v_fma_f64 v[146:147], v[146:147], v[178:179], -v[156:157]
	s_wait_loadcnt_dscnt 0x401
	v_mul_f64_e32 v[152:153], v[4:5], v[164:165]
	v_mul_f64_e32 v[164:165], v[6:7], v[164:165]
	s_wait_loadcnt_dscnt 0x300
	v_mul_f64_e32 v[156:157], v[142:143], v[12:13]
	v_mul_f64_e32 v[12:13], v[144:145], v[12:13]
	v_add_f64_e32 v[148:149], v[160:161], v[158:159]
	v_add_f64_e32 v[150:151], v[150:151], v[174:175]
	v_fmac_f64_e32 v[152:153], v[6:7], v[162:163]
	v_fma_f64 v[158:159], v[4:5], v[162:163], -v[164:165]
	v_fmac_f64_e32 v[156:157], v[144:145], v[10:11]
	v_fma_f64 v[10:11], v[142:143], v[10:11], -v[12:13]
	v_add_f64_e32 v[160:161], v[148:149], v[146:147]
	v_add_f64_e32 v[150:151], v[150:151], v[154:155]
	ds_load_b128 v[4:7], v2 offset:1808
	ds_load_b128 v[146:149], v2 offset:1824
	s_wait_loadcnt_dscnt 0x201
	v_mul_f64_e32 v[154:155], v[4:5], v[132:133]
	v_mul_f64_e32 v[132:133], v[6:7], v[132:133]
	s_wait_loadcnt_dscnt 0x100
	v_mul_f64_e32 v[144:145], v[146:147], v[136:137]
	v_mul_f64_e32 v[136:137], v[148:149], v[136:137]
	v_add_f64_e32 v[12:13], v[160:161], v[158:159]
	v_add_f64_e32 v[142:143], v[150:151], v[152:153]
	v_fmac_f64_e32 v[154:155], v[6:7], v[130:131]
	v_fma_f64 v[130:131], v[4:5], v[130:131], -v[132:133]
	ds_load_b128 v[4:7], v2 offset:1840
	v_fmac_f64_e32 v[144:145], v[148:149], v[134:135]
	v_fma_f64 v[134:135], v[146:147], v[134:135], -v[136:137]
	v_add_f64_e32 v[10:11], v[12:13], v[10:11]
	v_add_f64_e32 v[12:13], v[142:143], v[156:157]
	s_wait_loadcnt_dscnt 0x0
	v_mul_f64_e32 v[132:133], v[4:5], v[140:141]
	v_mul_f64_e32 v[140:141], v[6:7], v[140:141]
	s_delay_alu instid0(VALU_DEP_4) | instskip(NEXT) | instid1(VALU_DEP_4)
	v_add_f64_e32 v[10:11], v[10:11], v[130:131]
	v_add_f64_e32 v[12:13], v[12:13], v[154:155]
	s_delay_alu instid0(VALU_DEP_4) | instskip(NEXT) | instid1(VALU_DEP_4)
	v_fmac_f64_e32 v[132:133], v[6:7], v[138:139]
	v_fma_f64 v[4:5], v[4:5], v[138:139], -v[140:141]
	s_delay_alu instid0(VALU_DEP_4) | instskip(NEXT) | instid1(VALU_DEP_4)
	v_add_f64_e32 v[6:7], v[10:11], v[134:135]
	v_add_f64_e32 v[10:11], v[12:13], v[144:145]
	s_delay_alu instid0(VALU_DEP_2) | instskip(NEXT) | instid1(VALU_DEP_2)
	v_add_f64_e32 v[4:5], v[6:7], v[4:5]
	v_add_f64_e32 v[6:7], v[10:11], v[132:133]
	s_delay_alu instid0(VALU_DEP_2) | instskip(NEXT) | instid1(VALU_DEP_2)
	v_add_f64_e64 v[4:5], v[170:171], -v[4:5]
	v_add_f64_e64 v[6:7], v[172:173], -v[6:7]
	scratch_store_b128 off, v[4:7], off offset:256
	s_wait_xcnt 0x0
	v_cmpx_lt_u32_e32 15, v1
	s_cbranch_execz .LBB121_331
; %bb.330:
	scratch_load_b128 v[10:13], off, s59
	v_dual_mov_b32 v3, v2 :: v_dual_mov_b32 v4, v2
	v_mov_b32_e32 v5, v2
	scratch_store_b128 off, v[2:5], off offset:240
	s_wait_loadcnt 0x0
	ds_store_b128 v8, v[10:13]
.LBB121_331:
	s_wait_xcnt 0x0
	s_or_b32 exec_lo, exec_lo, s2
	s_wait_storecnt_dscnt 0x0
	s_barrier_signal -1
	s_barrier_wait -1
	s_clause 0x9
	scratch_load_b128 v[4:7], off, off offset:256
	scratch_load_b128 v[10:13], off, off offset:272
	;; [unrolled: 1-line block ×10, first 2 shown]
	ds_load_b128 v[162:165], v2 offset:1184
	ds_load_b128 v[170:173], v2 offset:1200
	s_clause 0x2
	scratch_load_b128 v[166:169], off, off offset:416
	scratch_load_b128 v[174:177], off, off offset:240
	scratch_load_b128 v[178:181], off, off offset:432
	s_mov_b32 s2, exec_lo
	s_wait_loadcnt_dscnt 0xc01
	v_mul_f64_e32 v[182:183], v[164:165], v[6:7]
	v_mul_f64_e32 v[186:187], v[162:163], v[6:7]
	s_wait_loadcnt_dscnt 0xb00
	v_mul_f64_e32 v[188:189], v[170:171], v[12:13]
	v_mul_f64_e32 v[12:13], v[172:173], v[12:13]
	s_delay_alu instid0(VALU_DEP_4) | instskip(NEXT) | instid1(VALU_DEP_4)
	v_fma_f64 v[190:191], v[162:163], v[4:5], -v[182:183]
	v_fmac_f64_e32 v[186:187], v[164:165], v[4:5]
	ds_load_b128 v[4:7], v2 offset:1216
	ds_load_b128 v[162:165], v2 offset:1232
	scratch_load_b128 v[182:185], off, off offset:448
	v_fmac_f64_e32 v[188:189], v[172:173], v[10:11]
	v_fma_f64 v[170:171], v[170:171], v[10:11], -v[12:13]
	scratch_load_b128 v[10:13], off, off offset:464
	s_wait_loadcnt_dscnt 0xc01
	v_mul_f64_e32 v[192:193], v[4:5], v[132:133]
	v_mul_f64_e32 v[132:133], v[6:7], v[132:133]
	v_add_f64_e32 v[172:173], 0, v[190:191]
	v_add_f64_e32 v[186:187], 0, v[186:187]
	s_wait_loadcnt_dscnt 0xb00
	v_mul_f64_e32 v[190:191], v[162:163], v[136:137]
	v_mul_f64_e32 v[136:137], v[164:165], v[136:137]
	v_fmac_f64_e32 v[192:193], v[6:7], v[130:131]
	v_fma_f64 v[194:195], v[4:5], v[130:131], -v[132:133]
	ds_load_b128 v[4:7], v2 offset:1248
	ds_load_b128 v[130:133], v2 offset:1264
	v_add_f64_e32 v[196:197], v[172:173], v[170:171]
	v_add_f64_e32 v[186:187], v[186:187], v[188:189]
	scratch_load_b128 v[170:173], off, off offset:480
	v_fmac_f64_e32 v[190:191], v[164:165], v[134:135]
	v_fma_f64 v[162:163], v[162:163], v[134:135], -v[136:137]
	scratch_load_b128 v[134:137], off, off offset:496
	s_wait_loadcnt_dscnt 0xc01
	v_mul_f64_e32 v[188:189], v[4:5], v[140:141]
	v_mul_f64_e32 v[140:141], v[6:7], v[140:141]
	v_add_f64_e32 v[164:165], v[196:197], v[194:195]
	v_add_f64_e32 v[186:187], v[186:187], v[192:193]
	s_wait_loadcnt_dscnt 0xb00
	v_mul_f64_e32 v[192:193], v[130:131], v[144:145]
	v_mul_f64_e32 v[144:145], v[132:133], v[144:145]
	v_fmac_f64_e32 v[188:189], v[6:7], v[138:139]
	v_fma_f64 v[194:195], v[4:5], v[138:139], -v[140:141]
	ds_load_b128 v[4:7], v2 offset:1280
	ds_load_b128 v[138:141], v2 offset:1296
	v_add_f64_e32 v[196:197], v[164:165], v[162:163]
	v_add_f64_e32 v[186:187], v[186:187], v[190:191]
	scratch_load_b128 v[162:165], off, off offset:512
	s_wait_loadcnt_dscnt 0xb01
	v_mul_f64_e32 v[190:191], v[4:5], v[148:149]
	v_mul_f64_e32 v[148:149], v[6:7], v[148:149]
	v_fmac_f64_e32 v[192:193], v[132:133], v[142:143]
	v_fma_f64 v[142:143], v[130:131], v[142:143], -v[144:145]
	scratch_load_b128 v[130:133], off, off offset:528
	v_add_f64_e32 v[144:145], v[196:197], v[194:195]
	v_add_f64_e32 v[186:187], v[186:187], v[188:189]
	s_wait_loadcnt_dscnt 0xb00
	v_mul_f64_e32 v[188:189], v[138:139], v[152:153]
	v_mul_f64_e32 v[152:153], v[140:141], v[152:153]
	v_fmac_f64_e32 v[190:191], v[6:7], v[146:147]
	v_fma_f64 v[194:195], v[4:5], v[146:147], -v[148:149]
	v_add_f64_e32 v[196:197], v[144:145], v[142:143]
	v_add_f64_e32 v[186:187], v[186:187], v[192:193]
	ds_load_b128 v[4:7], v2 offset:1312
	ds_load_b128 v[142:145], v2 offset:1328
	scratch_load_b128 v[146:149], off, off offset:544
	v_fmac_f64_e32 v[188:189], v[140:141], v[150:151]
	v_fma_f64 v[150:151], v[138:139], v[150:151], -v[152:153]
	scratch_load_b128 v[138:141], off, off offset:560
	s_wait_loadcnt_dscnt 0xc01
	v_mul_f64_e32 v[192:193], v[4:5], v[156:157]
	v_mul_f64_e32 v[156:157], v[6:7], v[156:157]
	v_add_f64_e32 v[152:153], v[196:197], v[194:195]
	v_add_f64_e32 v[186:187], v[186:187], v[190:191]
	s_wait_loadcnt_dscnt 0xb00
	v_mul_f64_e32 v[190:191], v[142:143], v[160:161]
	v_mul_f64_e32 v[160:161], v[144:145], v[160:161]
	v_fmac_f64_e32 v[192:193], v[6:7], v[154:155]
	v_fma_f64 v[194:195], v[4:5], v[154:155], -v[156:157]
	v_add_f64_e32 v[196:197], v[152:153], v[150:151]
	v_add_f64_e32 v[186:187], v[186:187], v[188:189]
	ds_load_b128 v[4:7], v2 offset:1344
	ds_load_b128 v[150:153], v2 offset:1360
	scratch_load_b128 v[154:157], off, off offset:576
	v_fmac_f64_e32 v[190:191], v[144:145], v[158:159]
	v_fma_f64 v[158:159], v[142:143], v[158:159], -v[160:161]
	scratch_load_b128 v[142:145], off, off offset:592
	s_wait_loadcnt_dscnt 0xc01
	v_mul_f64_e32 v[188:189], v[4:5], v[168:169]
	v_mul_f64_e32 v[168:169], v[6:7], v[168:169]
	;; [unrolled: 18-line block ×5, first 2 shown]
	v_add_f64_e32 v[180:181], v[196:197], v[194:195]
	v_add_f64_e32 v[186:187], v[186:187], v[192:193]
	s_wait_loadcnt_dscnt 0xa00
	v_mul_f64_e32 v[192:193], v[158:159], v[132:133]
	v_mul_f64_e32 v[132:133], v[160:161], v[132:133]
	v_fmac_f64_e32 v[188:189], v[6:7], v[162:163]
	v_fma_f64 v[194:195], v[4:5], v[162:163], -v[164:165]
	ds_load_b128 v[4:7], v2 offset:1472
	ds_load_b128 v[162:165], v2 offset:1488
	v_add_f64_e32 v[196:197], v[180:181], v[178:179]
	v_add_f64_e32 v[186:187], v[186:187], v[190:191]
	scratch_load_b128 v[178:181], off, off offset:704
	v_fmac_f64_e32 v[192:193], v[160:161], v[130:131]
	v_fma_f64 v[158:159], v[158:159], v[130:131], -v[132:133]
	scratch_load_b128 v[130:133], off, off offset:720
	s_wait_loadcnt_dscnt 0xb01
	v_mul_f64_e32 v[190:191], v[4:5], v[148:149]
	v_mul_f64_e32 v[148:149], v[6:7], v[148:149]
	v_add_f64_e32 v[160:161], v[196:197], v[194:195]
	v_add_f64_e32 v[186:187], v[186:187], v[188:189]
	s_wait_loadcnt_dscnt 0xa00
	v_mul_f64_e32 v[188:189], v[162:163], v[140:141]
	v_mul_f64_e32 v[140:141], v[164:165], v[140:141]
	v_fmac_f64_e32 v[190:191], v[6:7], v[146:147]
	v_fma_f64 v[194:195], v[4:5], v[146:147], -v[148:149]
	ds_load_b128 v[4:7], v2 offset:1504
	ds_load_b128 v[146:149], v2 offset:1520
	v_add_f64_e32 v[196:197], v[160:161], v[158:159]
	v_add_f64_e32 v[186:187], v[186:187], v[192:193]
	scratch_load_b128 v[158:161], off, off offset:736
	s_wait_loadcnt_dscnt 0xa01
	v_mul_f64_e32 v[192:193], v[4:5], v[156:157]
	v_mul_f64_e32 v[156:157], v[6:7], v[156:157]
	v_fmac_f64_e32 v[188:189], v[164:165], v[138:139]
	v_fma_f64 v[162:163], v[162:163], v[138:139], -v[140:141]
	scratch_load_b128 v[138:141], off, off offset:752
	v_add_f64_e32 v[164:165], v[196:197], v[194:195]
	v_add_f64_e32 v[186:187], v[186:187], v[190:191]
	s_wait_loadcnt_dscnt 0xa00
	v_mul_f64_e32 v[190:191], v[146:147], v[144:145]
	v_mul_f64_e32 v[144:145], v[148:149], v[144:145]
	v_fmac_f64_e32 v[192:193], v[6:7], v[154:155]
	v_fma_f64 v[194:195], v[4:5], v[154:155], -v[156:157]
	ds_load_b128 v[4:7], v2 offset:1536
	ds_load_b128 v[154:157], v2 offset:1552
	v_add_f64_e32 v[196:197], v[164:165], v[162:163]
	v_add_f64_e32 v[186:187], v[186:187], v[188:189]
	scratch_load_b128 v[162:165], off, off offset:768
	s_wait_loadcnt_dscnt 0xa01
	v_mul_f64_e32 v[188:189], v[4:5], v[168:169]
	v_mul_f64_e32 v[168:169], v[6:7], v[168:169]
	v_fmac_f64_e32 v[190:191], v[148:149], v[142:143]
	v_fma_f64 v[146:147], v[146:147], v[142:143], -v[144:145]
	scratch_load_b128 v[142:145], off, off offset:784
	v_add_f64_e32 v[148:149], v[196:197], v[194:195]
	v_add_f64_e32 v[186:187], v[186:187], v[192:193]
	s_wait_loadcnt_dscnt 0xa00
	v_mul_f64_e32 v[192:193], v[154:155], v[152:153]
	v_mul_f64_e32 v[152:153], v[156:157], v[152:153]
	v_fmac_f64_e32 v[188:189], v[6:7], v[166:167]
	v_fma_f64 v[194:195], v[4:5], v[166:167], -v[168:169]
	v_add_f64_e32 v[196:197], v[148:149], v[146:147]
	v_add_f64_e32 v[186:187], v[186:187], v[190:191]
	ds_load_b128 v[4:7], v2 offset:1568
	ds_load_b128 v[146:149], v2 offset:1584
	scratch_load_b128 v[166:169], off, off offset:800
	v_fmac_f64_e32 v[192:193], v[156:157], v[150:151]
	v_fma_f64 v[154:155], v[154:155], v[150:151], -v[152:153]
	scratch_load_b128 v[150:153], off, off offset:816
	s_wait_loadcnt_dscnt 0xb01
	v_mul_f64_e32 v[190:191], v[4:5], v[184:185]
	v_mul_f64_e32 v[184:185], v[6:7], v[184:185]
	v_add_f64_e32 v[156:157], v[196:197], v[194:195]
	v_add_f64_e32 v[186:187], v[186:187], v[188:189]
	s_wait_loadcnt_dscnt 0xa00
	v_mul_f64_e32 v[188:189], v[146:147], v[12:13]
	v_mul_f64_e32 v[12:13], v[148:149], v[12:13]
	v_fmac_f64_e32 v[190:191], v[6:7], v[182:183]
	v_fma_f64 v[194:195], v[4:5], v[182:183], -v[184:185]
	v_add_f64_e32 v[196:197], v[156:157], v[154:155]
	v_add_f64_e32 v[186:187], v[186:187], v[192:193]
	ds_load_b128 v[4:7], v2 offset:1600
	ds_load_b128 v[154:157], v2 offset:1616
	scratch_load_b128 v[182:185], off, off offset:832
	v_fmac_f64_e32 v[188:189], v[148:149], v[10:11]
	v_fma_f64 v[146:147], v[146:147], v[10:11], -v[12:13]
	scratch_load_b128 v[10:13], off, off offset:848
	s_wait_loadcnt_dscnt 0xb01
	v_mul_f64_e32 v[192:193], v[4:5], v[172:173]
	v_mul_f64_e32 v[172:173], v[6:7], v[172:173]
	;; [unrolled: 18-line block ×4, first 2 shown]
	v_add_f64_e32 v[148:149], v[196:197], v[194:195]
	v_add_f64_e32 v[186:187], v[186:187], v[188:189]
	s_wait_loadcnt_dscnt 0xa00
	v_mul_f64_e32 v[188:189], v[154:155], v[140:141]
	v_mul_f64_e32 v[140:141], v[156:157], v[140:141]
	v_fmac_f64_e32 v[190:191], v[6:7], v[158:159]
	v_fma_f64 v[158:159], v[4:5], v[158:159], -v[160:161]
	v_add_f64_e32 v[160:161], v[148:149], v[146:147]
	v_add_f64_e32 v[186:187], v[186:187], v[192:193]
	ds_load_b128 v[4:7], v2 offset:1696
	ds_load_b128 v[146:149], v2 offset:1712
	v_fmac_f64_e32 v[188:189], v[156:157], v[138:139]
	v_fma_f64 v[138:139], v[154:155], v[138:139], -v[140:141]
	s_wait_loadcnt_dscnt 0x901
	v_mul_f64_e32 v[192:193], v[4:5], v[164:165]
	v_mul_f64_e32 v[164:165], v[6:7], v[164:165]
	s_wait_loadcnt_dscnt 0x800
	v_mul_f64_e32 v[156:157], v[146:147], v[144:145]
	v_mul_f64_e32 v[144:145], v[148:149], v[144:145]
	v_add_f64_e32 v[140:141], v[160:161], v[158:159]
	v_add_f64_e32 v[154:155], v[186:187], v[190:191]
	v_fmac_f64_e32 v[192:193], v[6:7], v[162:163]
	v_fma_f64 v[158:159], v[4:5], v[162:163], -v[164:165]
	v_fmac_f64_e32 v[156:157], v[148:149], v[142:143]
	v_fma_f64 v[142:143], v[146:147], v[142:143], -v[144:145]
	v_add_f64_e32 v[160:161], v[140:141], v[138:139]
	v_add_f64_e32 v[154:155], v[154:155], v[188:189]
	ds_load_b128 v[4:7], v2 offset:1728
	ds_load_b128 v[138:141], v2 offset:1744
	s_wait_loadcnt_dscnt 0x701
	v_mul_f64_e32 v[162:163], v[4:5], v[168:169]
	v_mul_f64_e32 v[164:165], v[6:7], v[168:169]
	s_wait_loadcnt_dscnt 0x600
	v_mul_f64_e32 v[148:149], v[138:139], v[152:153]
	v_mul_f64_e32 v[152:153], v[140:141], v[152:153]
	v_add_f64_e32 v[144:145], v[160:161], v[158:159]
	v_add_f64_e32 v[146:147], v[154:155], v[192:193]
	v_fmac_f64_e32 v[162:163], v[6:7], v[166:167]
	v_fma_f64 v[154:155], v[4:5], v[166:167], -v[164:165]
	v_fmac_f64_e32 v[148:149], v[140:141], v[150:151]
	v_fma_f64 v[138:139], v[138:139], v[150:151], -v[152:153]
	v_add_f64_e32 v[158:159], v[144:145], v[142:143]
	v_add_f64_e32 v[146:147], v[146:147], v[156:157]
	ds_load_b128 v[4:7], v2 offset:1760
	ds_load_b128 v[142:145], v2 offset:1776
	s_wait_loadcnt_dscnt 0x501
	v_mul_f64_e32 v[156:157], v[4:5], v[184:185]
	v_mul_f64_e32 v[160:161], v[6:7], v[184:185]
	s_wait_loadcnt_dscnt 0x400
	v_mul_f64_e32 v[150:151], v[142:143], v[12:13]
	v_mul_f64_e32 v[12:13], v[144:145], v[12:13]
	v_add_f64_e32 v[140:141], v[158:159], v[154:155]
	v_add_f64_e32 v[146:147], v[146:147], v[162:163]
	v_fmac_f64_e32 v[156:157], v[6:7], v[182:183]
	v_fma_f64 v[152:153], v[4:5], v[182:183], -v[160:161]
	v_fmac_f64_e32 v[150:151], v[144:145], v[10:11]
	v_fma_f64 v[10:11], v[142:143], v[10:11], -v[12:13]
	v_add_f64_e32 v[154:155], v[140:141], v[138:139]
	v_add_f64_e32 v[146:147], v[146:147], v[148:149]
	ds_load_b128 v[4:7], v2 offset:1792
	ds_load_b128 v[138:141], v2 offset:1808
	s_wait_loadcnt_dscnt 0x301
	v_mul_f64_e32 v[148:149], v[4:5], v[172:173]
	v_mul_f64_e32 v[158:159], v[6:7], v[172:173]
	s_wait_loadcnt_dscnt 0x200
	v_mul_f64_e32 v[144:145], v[138:139], v[136:137]
	v_mul_f64_e32 v[136:137], v[140:141], v[136:137]
	v_add_f64_e32 v[12:13], v[154:155], v[152:153]
	v_add_f64_e32 v[142:143], v[146:147], v[156:157]
	v_fmac_f64_e32 v[148:149], v[6:7], v[170:171]
	v_fma_f64 v[146:147], v[4:5], v[170:171], -v[158:159]
	v_fmac_f64_e32 v[144:145], v[140:141], v[134:135]
	v_fma_f64 v[134:135], v[138:139], v[134:135], -v[136:137]
	v_add_f64_e32 v[152:153], v[12:13], v[10:11]
	v_add_f64_e32 v[142:143], v[142:143], v[150:151]
	ds_load_b128 v[4:7], v2 offset:1824
	ds_load_b128 v[10:13], v2 offset:1840
	s_wait_loadcnt_dscnt 0x101
	v_mul_f64_e32 v[2:3], v[4:5], v[180:181]
	v_mul_f64_e32 v[150:151], v[6:7], v[180:181]
	s_wait_loadcnt_dscnt 0x0
	v_mul_f64_e32 v[140:141], v[10:11], v[132:133]
	v_mul_f64_e32 v[132:133], v[12:13], v[132:133]
	v_add_f64_e32 v[136:137], v[152:153], v[146:147]
	v_add_f64_e32 v[138:139], v[142:143], v[148:149]
	v_fmac_f64_e32 v[2:3], v[6:7], v[178:179]
	v_fma_f64 v[4:5], v[4:5], v[178:179], -v[150:151]
	v_fmac_f64_e32 v[140:141], v[12:13], v[130:131]
	v_fma_f64 v[10:11], v[10:11], v[130:131], -v[132:133]
	v_add_f64_e32 v[6:7], v[136:137], v[134:135]
	v_add_f64_e32 v[134:135], v[138:139], v[144:145]
	s_delay_alu instid0(VALU_DEP_2) | instskip(NEXT) | instid1(VALU_DEP_2)
	v_add_f64_e32 v[4:5], v[6:7], v[4:5]
	v_add_f64_e32 v[2:3], v[134:135], v[2:3]
	s_delay_alu instid0(VALU_DEP_2) | instskip(NEXT) | instid1(VALU_DEP_2)
	;; [unrolled: 3-line block ×3, first 2 shown]
	v_add_f64_e64 v[2:3], v[174:175], -v[4:5]
	v_add_f64_e64 v[4:5], v[176:177], -v[6:7]
	scratch_store_b128 off, v[2:5], off offset:240
	s_wait_xcnt 0x0
	v_cmpx_lt_u32_e32 14, v1
	s_cbranch_execz .LBB121_333
; %bb.332:
	scratch_load_b128 v[2:5], off, s60
	v_mov_b32_e32 v10, 0
	s_delay_alu instid0(VALU_DEP_1)
	v_dual_mov_b32 v11, v10 :: v_dual_mov_b32 v12, v10
	v_mov_b32_e32 v13, v10
	scratch_store_b128 off, v[10:13], off offset:224
	s_wait_loadcnt 0x0
	ds_store_b128 v8, v[2:5]
.LBB121_333:
	s_wait_xcnt 0x0
	s_or_b32 exec_lo, exec_lo, s2
	s_wait_storecnt_dscnt 0x0
	s_barrier_signal -1
	s_barrier_wait -1
	s_clause 0x9
	scratch_load_b128 v[4:7], off, off offset:240
	scratch_load_b128 v[10:13], off, off offset:256
	;; [unrolled: 1-line block ×10, first 2 shown]
	v_mov_b32_e32 v2, 0
	s_mov_b32 s2, exec_lo
	ds_load_b128 v[162:165], v2 offset:1168
	s_clause 0x2
	scratch_load_b128 v[166:169], off, off offset:400
	scratch_load_b128 v[170:173], off, off offset:224
	;; [unrolled: 1-line block ×3, first 2 shown]
	s_wait_loadcnt_dscnt 0xc00
	v_mul_f64_e32 v[182:183], v[164:165], v[6:7]
	v_mul_f64_e32 v[186:187], v[162:163], v[6:7]
	ds_load_b128 v[174:177], v2 offset:1184
	v_fma_f64 v[190:191], v[162:163], v[4:5], -v[182:183]
	v_fmac_f64_e32 v[186:187], v[164:165], v[4:5]
	ds_load_b128 v[4:7], v2 offset:1200
	s_wait_loadcnt_dscnt 0xb01
	v_mul_f64_e32 v[188:189], v[174:175], v[12:13]
	v_mul_f64_e32 v[12:13], v[176:177], v[12:13]
	scratch_load_b128 v[162:165], off, off offset:432
	ds_load_b128 v[182:185], v2 offset:1216
	s_wait_loadcnt_dscnt 0xb01
	v_mul_f64_e32 v[192:193], v[4:5], v[132:133]
	v_mul_f64_e32 v[132:133], v[6:7], v[132:133]
	v_add_f64_e32 v[186:187], 0, v[186:187]
	v_fmac_f64_e32 v[188:189], v[176:177], v[10:11]
	v_fma_f64 v[174:175], v[174:175], v[10:11], -v[12:13]
	v_add_f64_e32 v[176:177], 0, v[190:191]
	scratch_load_b128 v[10:13], off, off offset:448
	v_fmac_f64_e32 v[192:193], v[6:7], v[130:131]
	v_fma_f64 v[194:195], v[4:5], v[130:131], -v[132:133]
	ds_load_b128 v[4:7], v2 offset:1232
	s_wait_loadcnt_dscnt 0xb01
	v_mul_f64_e32 v[190:191], v[182:183], v[136:137]
	v_mul_f64_e32 v[136:137], v[184:185], v[136:137]
	scratch_load_b128 v[130:133], off, off offset:464
	v_add_f64_e32 v[186:187], v[186:187], v[188:189]
	v_add_f64_e32 v[196:197], v[176:177], v[174:175]
	ds_load_b128 v[174:177], v2 offset:1248
	s_wait_loadcnt_dscnt 0xb01
	v_mul_f64_e32 v[188:189], v[4:5], v[140:141]
	v_mul_f64_e32 v[140:141], v[6:7], v[140:141]
	v_fmac_f64_e32 v[190:191], v[184:185], v[134:135]
	v_fma_f64 v[182:183], v[182:183], v[134:135], -v[136:137]
	scratch_load_b128 v[134:137], off, off offset:480
	v_add_f64_e32 v[186:187], v[186:187], v[192:193]
	v_add_f64_e32 v[184:185], v[196:197], v[194:195]
	v_fmac_f64_e32 v[188:189], v[6:7], v[138:139]
	v_fma_f64 v[194:195], v[4:5], v[138:139], -v[140:141]
	ds_load_b128 v[4:7], v2 offset:1264
	s_wait_loadcnt_dscnt 0xb01
	v_mul_f64_e32 v[192:193], v[174:175], v[144:145]
	v_mul_f64_e32 v[144:145], v[176:177], v[144:145]
	scratch_load_b128 v[138:141], off, off offset:496
	v_add_f64_e32 v[186:187], v[186:187], v[190:191]
	s_wait_loadcnt_dscnt 0xb00
	v_mul_f64_e32 v[190:191], v[4:5], v[148:149]
	v_add_f64_e32 v[196:197], v[184:185], v[182:183]
	v_mul_f64_e32 v[148:149], v[6:7], v[148:149]
	ds_load_b128 v[182:185], v2 offset:1280
	v_fmac_f64_e32 v[192:193], v[176:177], v[142:143]
	v_fma_f64 v[174:175], v[174:175], v[142:143], -v[144:145]
	scratch_load_b128 v[142:145], off, off offset:512
	v_add_f64_e32 v[186:187], v[186:187], v[188:189]
	v_fmac_f64_e32 v[190:191], v[6:7], v[146:147]
	v_add_f64_e32 v[176:177], v[196:197], v[194:195]
	v_fma_f64 v[194:195], v[4:5], v[146:147], -v[148:149]
	ds_load_b128 v[4:7], v2 offset:1296
	s_wait_loadcnt_dscnt 0xb01
	v_mul_f64_e32 v[188:189], v[182:183], v[152:153]
	v_mul_f64_e32 v[152:153], v[184:185], v[152:153]
	scratch_load_b128 v[146:149], off, off offset:528
	v_add_f64_e32 v[186:187], v[186:187], v[192:193]
	s_wait_loadcnt_dscnt 0xb00
	v_mul_f64_e32 v[192:193], v[4:5], v[156:157]
	v_add_f64_e32 v[196:197], v[176:177], v[174:175]
	v_mul_f64_e32 v[156:157], v[6:7], v[156:157]
	ds_load_b128 v[174:177], v2 offset:1312
	v_fmac_f64_e32 v[188:189], v[184:185], v[150:151]
	v_fma_f64 v[182:183], v[182:183], v[150:151], -v[152:153]
	scratch_load_b128 v[150:153], off, off offset:544
	v_add_f64_e32 v[186:187], v[186:187], v[190:191]
	v_fmac_f64_e32 v[192:193], v[6:7], v[154:155]
	v_add_f64_e32 v[184:185], v[196:197], v[194:195]
	v_fma_f64 v[194:195], v[4:5], v[154:155], -v[156:157]
	ds_load_b128 v[4:7], v2 offset:1328
	s_wait_loadcnt_dscnt 0xb01
	v_mul_f64_e32 v[190:191], v[174:175], v[160:161]
	v_mul_f64_e32 v[160:161], v[176:177], v[160:161]
	scratch_load_b128 v[154:157], off, off offset:560
	v_add_f64_e32 v[186:187], v[186:187], v[188:189]
	s_wait_loadcnt_dscnt 0xb00
	v_mul_f64_e32 v[188:189], v[4:5], v[168:169]
	v_add_f64_e32 v[196:197], v[184:185], v[182:183]
	v_mul_f64_e32 v[168:169], v[6:7], v[168:169]
	ds_load_b128 v[182:185], v2 offset:1344
	v_fmac_f64_e32 v[190:191], v[176:177], v[158:159]
	v_fma_f64 v[174:175], v[174:175], v[158:159], -v[160:161]
	scratch_load_b128 v[158:161], off, off offset:576
	v_add_f64_e32 v[186:187], v[186:187], v[192:193]
	v_fmac_f64_e32 v[188:189], v[6:7], v[166:167]
	v_add_f64_e32 v[176:177], v[196:197], v[194:195]
	v_fma_f64 v[194:195], v[4:5], v[166:167], -v[168:169]
	ds_load_b128 v[4:7], v2 offset:1360
	s_wait_loadcnt_dscnt 0xa01
	v_mul_f64_e32 v[192:193], v[182:183], v[180:181]
	v_mul_f64_e32 v[180:181], v[184:185], v[180:181]
	scratch_load_b128 v[166:169], off, off offset:592
	v_add_f64_e32 v[186:187], v[186:187], v[190:191]
	v_add_f64_e32 v[196:197], v[176:177], v[174:175]
	s_wait_loadcnt_dscnt 0xa00
	v_mul_f64_e32 v[190:191], v[4:5], v[164:165]
	v_mul_f64_e32 v[164:165], v[6:7], v[164:165]
	v_fmac_f64_e32 v[192:193], v[184:185], v[178:179]
	v_fma_f64 v[182:183], v[182:183], v[178:179], -v[180:181]
	ds_load_b128 v[174:177], v2 offset:1376
	scratch_load_b128 v[178:181], off, off offset:608
	v_add_f64_e32 v[186:187], v[186:187], v[188:189]
	v_add_f64_e32 v[184:185], v[196:197], v[194:195]
	v_fmac_f64_e32 v[190:191], v[6:7], v[162:163]
	v_fma_f64 v[194:195], v[4:5], v[162:163], -v[164:165]
	ds_load_b128 v[4:7], v2 offset:1392
	s_wait_loadcnt_dscnt 0xa01
	v_mul_f64_e32 v[188:189], v[174:175], v[12:13]
	v_mul_f64_e32 v[12:13], v[176:177], v[12:13]
	scratch_load_b128 v[162:165], off, off offset:624
	v_add_f64_e32 v[186:187], v[186:187], v[192:193]
	s_wait_loadcnt_dscnt 0xa00
	v_mul_f64_e32 v[192:193], v[4:5], v[132:133]
	v_add_f64_e32 v[196:197], v[184:185], v[182:183]
	v_mul_f64_e32 v[132:133], v[6:7], v[132:133]
	ds_load_b128 v[182:185], v2 offset:1408
	v_fmac_f64_e32 v[188:189], v[176:177], v[10:11]
	v_fma_f64 v[174:175], v[174:175], v[10:11], -v[12:13]
	scratch_load_b128 v[10:13], off, off offset:640
	v_add_f64_e32 v[186:187], v[186:187], v[190:191]
	v_fmac_f64_e32 v[192:193], v[6:7], v[130:131]
	v_add_f64_e32 v[176:177], v[196:197], v[194:195]
	v_fma_f64 v[194:195], v[4:5], v[130:131], -v[132:133]
	ds_load_b128 v[4:7], v2 offset:1424
	s_wait_loadcnt_dscnt 0xa01
	v_mul_f64_e32 v[190:191], v[182:183], v[136:137]
	v_mul_f64_e32 v[136:137], v[184:185], v[136:137]
	scratch_load_b128 v[130:133], off, off offset:656
	v_add_f64_e32 v[186:187], v[186:187], v[188:189]
	s_wait_loadcnt_dscnt 0xa00
	v_mul_f64_e32 v[188:189], v[4:5], v[140:141]
	v_add_f64_e32 v[196:197], v[176:177], v[174:175]
	v_mul_f64_e32 v[140:141], v[6:7], v[140:141]
	ds_load_b128 v[174:177], v2 offset:1440
	v_fmac_f64_e32 v[190:191], v[184:185], v[134:135]
	v_fma_f64 v[182:183], v[182:183], v[134:135], -v[136:137]
	scratch_load_b128 v[134:137], off, off offset:672
	v_add_f64_e32 v[186:187], v[186:187], v[192:193]
	v_fmac_f64_e32 v[188:189], v[6:7], v[138:139]
	v_add_f64_e32 v[184:185], v[196:197], v[194:195]
	;; [unrolled: 18-line block ×9, first 2 shown]
	v_fma_f64 v[194:195], v[4:5], v[146:147], -v[148:149]
	ds_load_b128 v[4:7], v2 offset:1680
	s_wait_loadcnt_dscnt 0xa01
	v_mul_f64_e32 v[188:189], v[182:183], v[152:153]
	v_mul_f64_e32 v[152:153], v[184:185], v[152:153]
	scratch_load_b128 v[146:149], off, off offset:912
	v_add_f64_e32 v[186:187], v[186:187], v[192:193]
	s_wait_loadcnt_dscnt 0xa00
	v_mul_f64_e32 v[192:193], v[4:5], v[156:157]
	v_add_f64_e32 v[196:197], v[176:177], v[174:175]
	v_mul_f64_e32 v[156:157], v[6:7], v[156:157]
	ds_load_b128 v[174:177], v2 offset:1696
	v_fmac_f64_e32 v[188:189], v[184:185], v[150:151]
	v_fma_f64 v[150:151], v[182:183], v[150:151], -v[152:153]
	s_wait_loadcnt_dscnt 0x900
	v_mul_f64_e32 v[184:185], v[174:175], v[160:161]
	v_mul_f64_e32 v[160:161], v[176:177], v[160:161]
	v_add_f64_e32 v[182:183], v[186:187], v[190:191]
	v_fmac_f64_e32 v[192:193], v[6:7], v[154:155]
	v_add_f64_e32 v[152:153], v[196:197], v[194:195]
	v_fma_f64 v[154:155], v[4:5], v[154:155], -v[156:157]
	v_fmac_f64_e32 v[184:185], v[176:177], v[158:159]
	v_fma_f64 v[158:159], v[174:175], v[158:159], -v[160:161]
	v_add_f64_e32 v[182:183], v[182:183], v[188:189]
	v_add_f64_e32 v[156:157], v[152:153], v[150:151]
	ds_load_b128 v[4:7], v2 offset:1712
	ds_load_b128 v[150:153], v2 offset:1728
	s_wait_loadcnt_dscnt 0x801
	v_mul_f64_e32 v[186:187], v[4:5], v[168:169]
	v_mul_f64_e32 v[168:169], v[6:7], v[168:169]
	s_wait_loadcnt_dscnt 0x700
	v_mul_f64_e32 v[160:161], v[150:151], v[180:181]
	v_mul_f64_e32 v[174:175], v[152:153], v[180:181]
	v_add_f64_e32 v[154:155], v[156:157], v[154:155]
	v_add_f64_e32 v[156:157], v[182:183], v[192:193]
	v_fmac_f64_e32 v[186:187], v[6:7], v[166:167]
	v_fma_f64 v[166:167], v[4:5], v[166:167], -v[168:169]
	v_fmac_f64_e32 v[160:161], v[152:153], v[178:179]
	v_fma_f64 v[150:151], v[150:151], v[178:179], -v[174:175]
	v_add_f64_e32 v[158:159], v[154:155], v[158:159]
	v_add_f64_e32 v[168:169], v[156:157], v[184:185]
	ds_load_b128 v[4:7], v2 offset:1744
	ds_load_b128 v[154:157], v2 offset:1760
	s_wait_loadcnt_dscnt 0x601
	v_mul_f64_e32 v[176:177], v[4:5], v[164:165]
	v_mul_f64_e32 v[164:165], v[6:7], v[164:165]
	v_add_f64_e32 v[152:153], v[158:159], v[166:167]
	v_add_f64_e32 v[158:159], v[168:169], v[186:187]
	s_wait_loadcnt_dscnt 0x500
	v_mul_f64_e32 v[166:167], v[154:155], v[12:13]
	v_mul_f64_e32 v[12:13], v[156:157], v[12:13]
	v_fmac_f64_e32 v[176:177], v[6:7], v[162:163]
	v_fma_f64 v[162:163], v[4:5], v[162:163], -v[164:165]
	v_add_f64_e32 v[164:165], v[152:153], v[150:151]
	v_add_f64_e32 v[158:159], v[158:159], v[160:161]
	ds_load_b128 v[4:7], v2 offset:1776
	ds_load_b128 v[150:153], v2 offset:1792
	v_fmac_f64_e32 v[166:167], v[156:157], v[10:11]
	v_fma_f64 v[10:11], v[154:155], v[10:11], -v[12:13]
	s_wait_loadcnt_dscnt 0x401
	v_mul_f64_e32 v[160:161], v[4:5], v[132:133]
	v_mul_f64_e32 v[132:133], v[6:7], v[132:133]
	s_wait_loadcnt_dscnt 0x300
	v_mul_f64_e32 v[156:157], v[150:151], v[136:137]
	v_mul_f64_e32 v[136:137], v[152:153], v[136:137]
	v_add_f64_e32 v[12:13], v[164:165], v[162:163]
	v_add_f64_e32 v[154:155], v[158:159], v[176:177]
	v_fmac_f64_e32 v[160:161], v[6:7], v[130:131]
	v_fma_f64 v[130:131], v[4:5], v[130:131], -v[132:133]
	v_fmac_f64_e32 v[156:157], v[152:153], v[134:135]
	v_fma_f64 v[134:135], v[150:151], v[134:135], -v[136:137]
	v_add_f64_e32 v[132:133], v[12:13], v[10:11]
	v_add_f64_e32 v[154:155], v[154:155], v[166:167]
	ds_load_b128 v[4:7], v2 offset:1808
	ds_load_b128 v[10:13], v2 offset:1824
	s_wait_loadcnt_dscnt 0x201
	v_mul_f64_e32 v[158:159], v[4:5], v[140:141]
	v_mul_f64_e32 v[140:141], v[6:7], v[140:141]
	s_wait_loadcnt_dscnt 0x100
	v_mul_f64_e32 v[136:137], v[10:11], v[144:145]
	v_mul_f64_e32 v[144:145], v[12:13], v[144:145]
	v_add_f64_e32 v[130:131], v[132:133], v[130:131]
	v_add_f64_e32 v[132:133], v[154:155], v[160:161]
	v_fmac_f64_e32 v[158:159], v[6:7], v[138:139]
	v_fma_f64 v[138:139], v[4:5], v[138:139], -v[140:141]
	ds_load_b128 v[4:7], v2 offset:1840
	v_fmac_f64_e32 v[136:137], v[12:13], v[142:143]
	v_fma_f64 v[10:11], v[10:11], v[142:143], -v[144:145]
	v_add_f64_e32 v[130:131], v[130:131], v[134:135]
	v_add_f64_e32 v[132:133], v[132:133], v[156:157]
	s_wait_loadcnt_dscnt 0x0
	v_mul_f64_e32 v[134:135], v[4:5], v[148:149]
	v_mul_f64_e32 v[140:141], v[6:7], v[148:149]
	s_delay_alu instid0(VALU_DEP_4) | instskip(NEXT) | instid1(VALU_DEP_4)
	v_add_f64_e32 v[12:13], v[130:131], v[138:139]
	v_add_f64_e32 v[130:131], v[132:133], v[158:159]
	s_delay_alu instid0(VALU_DEP_4) | instskip(NEXT) | instid1(VALU_DEP_4)
	v_fmac_f64_e32 v[134:135], v[6:7], v[146:147]
	v_fma_f64 v[4:5], v[4:5], v[146:147], -v[140:141]
	s_delay_alu instid0(VALU_DEP_4) | instskip(NEXT) | instid1(VALU_DEP_4)
	v_add_f64_e32 v[6:7], v[12:13], v[10:11]
	v_add_f64_e32 v[10:11], v[130:131], v[136:137]
	s_delay_alu instid0(VALU_DEP_2) | instskip(NEXT) | instid1(VALU_DEP_2)
	v_add_f64_e32 v[4:5], v[6:7], v[4:5]
	v_add_f64_e32 v[6:7], v[10:11], v[134:135]
	s_delay_alu instid0(VALU_DEP_2) | instskip(NEXT) | instid1(VALU_DEP_2)
	v_add_f64_e64 v[4:5], v[170:171], -v[4:5]
	v_add_f64_e64 v[6:7], v[172:173], -v[6:7]
	scratch_store_b128 off, v[4:7], off offset:224
	s_wait_xcnt 0x0
	v_cmpx_lt_u32_e32 13, v1
	s_cbranch_execz .LBB121_335
; %bb.334:
	scratch_load_b128 v[10:13], off, s61
	v_dual_mov_b32 v3, v2 :: v_dual_mov_b32 v4, v2
	v_mov_b32_e32 v5, v2
	scratch_store_b128 off, v[2:5], off offset:208
	s_wait_loadcnt 0x0
	ds_store_b128 v8, v[10:13]
.LBB121_335:
	s_wait_xcnt 0x0
	s_or_b32 exec_lo, exec_lo, s2
	s_wait_storecnt_dscnt 0x0
	s_barrier_signal -1
	s_barrier_wait -1
	s_clause 0x9
	scratch_load_b128 v[4:7], off, off offset:224
	scratch_load_b128 v[10:13], off, off offset:240
	;; [unrolled: 1-line block ×10, first 2 shown]
	ds_load_b128 v[162:165], v2 offset:1152
	ds_load_b128 v[170:173], v2 offset:1168
	s_clause 0x2
	scratch_load_b128 v[166:169], off, off offset:384
	scratch_load_b128 v[174:177], off, off offset:208
	;; [unrolled: 1-line block ×3, first 2 shown]
	s_mov_b32 s2, exec_lo
	s_wait_loadcnt_dscnt 0xc01
	v_mul_f64_e32 v[182:183], v[164:165], v[6:7]
	v_mul_f64_e32 v[186:187], v[162:163], v[6:7]
	s_wait_loadcnt_dscnt 0xb00
	v_mul_f64_e32 v[188:189], v[170:171], v[12:13]
	v_mul_f64_e32 v[12:13], v[172:173], v[12:13]
	s_delay_alu instid0(VALU_DEP_4) | instskip(NEXT) | instid1(VALU_DEP_4)
	v_fma_f64 v[190:191], v[162:163], v[4:5], -v[182:183]
	v_fmac_f64_e32 v[186:187], v[164:165], v[4:5]
	ds_load_b128 v[4:7], v2 offset:1184
	ds_load_b128 v[162:165], v2 offset:1200
	scratch_load_b128 v[182:185], off, off offset:416
	v_fmac_f64_e32 v[188:189], v[172:173], v[10:11]
	v_fma_f64 v[170:171], v[170:171], v[10:11], -v[12:13]
	scratch_load_b128 v[10:13], off, off offset:432
	s_wait_loadcnt_dscnt 0xc01
	v_mul_f64_e32 v[192:193], v[4:5], v[132:133]
	v_mul_f64_e32 v[132:133], v[6:7], v[132:133]
	v_add_f64_e32 v[172:173], 0, v[190:191]
	v_add_f64_e32 v[186:187], 0, v[186:187]
	s_wait_loadcnt_dscnt 0xb00
	v_mul_f64_e32 v[190:191], v[162:163], v[136:137]
	v_mul_f64_e32 v[136:137], v[164:165], v[136:137]
	v_fmac_f64_e32 v[192:193], v[6:7], v[130:131]
	v_fma_f64 v[194:195], v[4:5], v[130:131], -v[132:133]
	ds_load_b128 v[4:7], v2 offset:1216
	ds_load_b128 v[130:133], v2 offset:1232
	v_add_f64_e32 v[196:197], v[172:173], v[170:171]
	v_add_f64_e32 v[186:187], v[186:187], v[188:189]
	scratch_load_b128 v[170:173], off, off offset:448
	v_fmac_f64_e32 v[190:191], v[164:165], v[134:135]
	v_fma_f64 v[162:163], v[162:163], v[134:135], -v[136:137]
	scratch_load_b128 v[134:137], off, off offset:464
	s_wait_loadcnt_dscnt 0xc01
	v_mul_f64_e32 v[188:189], v[4:5], v[140:141]
	v_mul_f64_e32 v[140:141], v[6:7], v[140:141]
	v_add_f64_e32 v[164:165], v[196:197], v[194:195]
	v_add_f64_e32 v[186:187], v[186:187], v[192:193]
	s_wait_loadcnt_dscnt 0xb00
	v_mul_f64_e32 v[192:193], v[130:131], v[144:145]
	v_mul_f64_e32 v[144:145], v[132:133], v[144:145]
	v_fmac_f64_e32 v[188:189], v[6:7], v[138:139]
	v_fma_f64 v[194:195], v[4:5], v[138:139], -v[140:141]
	ds_load_b128 v[4:7], v2 offset:1248
	ds_load_b128 v[138:141], v2 offset:1264
	v_add_f64_e32 v[196:197], v[164:165], v[162:163]
	v_add_f64_e32 v[186:187], v[186:187], v[190:191]
	scratch_load_b128 v[162:165], off, off offset:480
	s_wait_loadcnt_dscnt 0xb01
	v_mul_f64_e32 v[190:191], v[4:5], v[148:149]
	v_mul_f64_e32 v[148:149], v[6:7], v[148:149]
	v_fmac_f64_e32 v[192:193], v[132:133], v[142:143]
	v_fma_f64 v[142:143], v[130:131], v[142:143], -v[144:145]
	scratch_load_b128 v[130:133], off, off offset:496
	v_add_f64_e32 v[144:145], v[196:197], v[194:195]
	v_add_f64_e32 v[186:187], v[186:187], v[188:189]
	s_wait_loadcnt_dscnt 0xb00
	v_mul_f64_e32 v[188:189], v[138:139], v[152:153]
	v_mul_f64_e32 v[152:153], v[140:141], v[152:153]
	v_fmac_f64_e32 v[190:191], v[6:7], v[146:147]
	v_fma_f64 v[194:195], v[4:5], v[146:147], -v[148:149]
	v_add_f64_e32 v[196:197], v[144:145], v[142:143]
	v_add_f64_e32 v[186:187], v[186:187], v[192:193]
	ds_load_b128 v[4:7], v2 offset:1280
	ds_load_b128 v[142:145], v2 offset:1296
	scratch_load_b128 v[146:149], off, off offset:512
	v_fmac_f64_e32 v[188:189], v[140:141], v[150:151]
	v_fma_f64 v[150:151], v[138:139], v[150:151], -v[152:153]
	scratch_load_b128 v[138:141], off, off offset:528
	s_wait_loadcnt_dscnt 0xc01
	v_mul_f64_e32 v[192:193], v[4:5], v[156:157]
	v_mul_f64_e32 v[156:157], v[6:7], v[156:157]
	v_add_f64_e32 v[152:153], v[196:197], v[194:195]
	v_add_f64_e32 v[186:187], v[186:187], v[190:191]
	s_wait_loadcnt_dscnt 0xb00
	v_mul_f64_e32 v[190:191], v[142:143], v[160:161]
	v_mul_f64_e32 v[160:161], v[144:145], v[160:161]
	v_fmac_f64_e32 v[192:193], v[6:7], v[154:155]
	v_fma_f64 v[194:195], v[4:5], v[154:155], -v[156:157]
	v_add_f64_e32 v[196:197], v[152:153], v[150:151]
	v_add_f64_e32 v[186:187], v[186:187], v[188:189]
	ds_load_b128 v[4:7], v2 offset:1312
	ds_load_b128 v[150:153], v2 offset:1328
	scratch_load_b128 v[154:157], off, off offset:544
	v_fmac_f64_e32 v[190:191], v[144:145], v[158:159]
	v_fma_f64 v[158:159], v[142:143], v[158:159], -v[160:161]
	scratch_load_b128 v[142:145], off, off offset:560
	s_wait_loadcnt_dscnt 0xc01
	v_mul_f64_e32 v[188:189], v[4:5], v[168:169]
	v_mul_f64_e32 v[168:169], v[6:7], v[168:169]
	;; [unrolled: 18-line block ×5, first 2 shown]
	v_add_f64_e32 v[180:181], v[196:197], v[194:195]
	v_add_f64_e32 v[186:187], v[186:187], v[192:193]
	s_wait_loadcnt_dscnt 0xa00
	v_mul_f64_e32 v[192:193], v[158:159], v[132:133]
	v_mul_f64_e32 v[132:133], v[160:161], v[132:133]
	v_fmac_f64_e32 v[188:189], v[6:7], v[162:163]
	v_fma_f64 v[194:195], v[4:5], v[162:163], -v[164:165]
	ds_load_b128 v[4:7], v2 offset:1440
	ds_load_b128 v[162:165], v2 offset:1456
	v_add_f64_e32 v[196:197], v[180:181], v[178:179]
	v_add_f64_e32 v[186:187], v[186:187], v[190:191]
	scratch_load_b128 v[178:181], off, off offset:672
	v_fmac_f64_e32 v[192:193], v[160:161], v[130:131]
	v_fma_f64 v[158:159], v[158:159], v[130:131], -v[132:133]
	scratch_load_b128 v[130:133], off, off offset:688
	s_wait_loadcnt_dscnt 0xb01
	v_mul_f64_e32 v[190:191], v[4:5], v[148:149]
	v_mul_f64_e32 v[148:149], v[6:7], v[148:149]
	v_add_f64_e32 v[160:161], v[196:197], v[194:195]
	v_add_f64_e32 v[186:187], v[186:187], v[188:189]
	s_wait_loadcnt_dscnt 0xa00
	v_mul_f64_e32 v[188:189], v[162:163], v[140:141]
	v_mul_f64_e32 v[140:141], v[164:165], v[140:141]
	v_fmac_f64_e32 v[190:191], v[6:7], v[146:147]
	v_fma_f64 v[194:195], v[4:5], v[146:147], -v[148:149]
	ds_load_b128 v[4:7], v2 offset:1472
	ds_load_b128 v[146:149], v2 offset:1488
	v_add_f64_e32 v[196:197], v[160:161], v[158:159]
	v_add_f64_e32 v[186:187], v[186:187], v[192:193]
	scratch_load_b128 v[158:161], off, off offset:704
	s_wait_loadcnt_dscnt 0xa01
	v_mul_f64_e32 v[192:193], v[4:5], v[156:157]
	v_mul_f64_e32 v[156:157], v[6:7], v[156:157]
	v_fmac_f64_e32 v[188:189], v[164:165], v[138:139]
	v_fma_f64 v[162:163], v[162:163], v[138:139], -v[140:141]
	scratch_load_b128 v[138:141], off, off offset:720
	v_add_f64_e32 v[164:165], v[196:197], v[194:195]
	v_add_f64_e32 v[186:187], v[186:187], v[190:191]
	s_wait_loadcnt_dscnt 0xa00
	v_mul_f64_e32 v[190:191], v[146:147], v[144:145]
	v_mul_f64_e32 v[144:145], v[148:149], v[144:145]
	v_fmac_f64_e32 v[192:193], v[6:7], v[154:155]
	v_fma_f64 v[194:195], v[4:5], v[154:155], -v[156:157]
	ds_load_b128 v[4:7], v2 offset:1504
	ds_load_b128 v[154:157], v2 offset:1520
	v_add_f64_e32 v[196:197], v[164:165], v[162:163]
	v_add_f64_e32 v[186:187], v[186:187], v[188:189]
	scratch_load_b128 v[162:165], off, off offset:736
	s_wait_loadcnt_dscnt 0xa01
	v_mul_f64_e32 v[188:189], v[4:5], v[168:169]
	v_mul_f64_e32 v[168:169], v[6:7], v[168:169]
	v_fmac_f64_e32 v[190:191], v[148:149], v[142:143]
	v_fma_f64 v[146:147], v[146:147], v[142:143], -v[144:145]
	scratch_load_b128 v[142:145], off, off offset:752
	v_add_f64_e32 v[148:149], v[196:197], v[194:195]
	v_add_f64_e32 v[186:187], v[186:187], v[192:193]
	s_wait_loadcnt_dscnt 0xa00
	v_mul_f64_e32 v[192:193], v[154:155], v[152:153]
	v_mul_f64_e32 v[152:153], v[156:157], v[152:153]
	v_fmac_f64_e32 v[188:189], v[6:7], v[166:167]
	v_fma_f64 v[194:195], v[4:5], v[166:167], -v[168:169]
	v_add_f64_e32 v[196:197], v[148:149], v[146:147]
	v_add_f64_e32 v[186:187], v[186:187], v[190:191]
	ds_load_b128 v[4:7], v2 offset:1536
	ds_load_b128 v[146:149], v2 offset:1552
	scratch_load_b128 v[166:169], off, off offset:768
	v_fmac_f64_e32 v[192:193], v[156:157], v[150:151]
	v_fma_f64 v[154:155], v[154:155], v[150:151], -v[152:153]
	scratch_load_b128 v[150:153], off, off offset:784
	s_wait_loadcnt_dscnt 0xb01
	v_mul_f64_e32 v[190:191], v[4:5], v[184:185]
	v_mul_f64_e32 v[184:185], v[6:7], v[184:185]
	v_add_f64_e32 v[156:157], v[196:197], v[194:195]
	v_add_f64_e32 v[186:187], v[186:187], v[188:189]
	s_wait_loadcnt_dscnt 0xa00
	v_mul_f64_e32 v[188:189], v[146:147], v[12:13]
	v_mul_f64_e32 v[12:13], v[148:149], v[12:13]
	v_fmac_f64_e32 v[190:191], v[6:7], v[182:183]
	v_fma_f64 v[194:195], v[4:5], v[182:183], -v[184:185]
	v_add_f64_e32 v[196:197], v[156:157], v[154:155]
	v_add_f64_e32 v[186:187], v[186:187], v[192:193]
	ds_load_b128 v[4:7], v2 offset:1568
	ds_load_b128 v[154:157], v2 offset:1584
	scratch_load_b128 v[182:185], off, off offset:800
	v_fmac_f64_e32 v[188:189], v[148:149], v[10:11]
	v_fma_f64 v[146:147], v[146:147], v[10:11], -v[12:13]
	scratch_load_b128 v[10:13], off, off offset:816
	s_wait_loadcnt_dscnt 0xb01
	v_mul_f64_e32 v[192:193], v[4:5], v[172:173]
	v_mul_f64_e32 v[172:173], v[6:7], v[172:173]
	;; [unrolled: 18-line block ×5, first 2 shown]
	v_add_f64_e32 v[156:157], v[196:197], v[194:195]
	v_add_f64_e32 v[186:187], v[186:187], v[190:191]
	s_wait_loadcnt_dscnt 0xa00
	v_mul_f64_e32 v[190:191], v[146:147], v[144:145]
	v_mul_f64_e32 v[144:145], v[148:149], v[144:145]
	v_fmac_f64_e32 v[192:193], v[6:7], v[162:163]
	v_fma_f64 v[162:163], v[4:5], v[162:163], -v[164:165]
	v_add_f64_e32 v[164:165], v[156:157], v[154:155]
	v_add_f64_e32 v[186:187], v[186:187], v[188:189]
	ds_load_b128 v[4:7], v2 offset:1696
	ds_load_b128 v[154:157], v2 offset:1712
	v_fmac_f64_e32 v[190:191], v[148:149], v[142:143]
	v_fma_f64 v[142:143], v[146:147], v[142:143], -v[144:145]
	s_wait_loadcnt_dscnt 0x901
	v_mul_f64_e32 v[188:189], v[4:5], v[168:169]
	v_mul_f64_e32 v[168:169], v[6:7], v[168:169]
	s_wait_loadcnt_dscnt 0x800
	v_mul_f64_e32 v[148:149], v[154:155], v[152:153]
	v_mul_f64_e32 v[152:153], v[156:157], v[152:153]
	v_add_f64_e32 v[144:145], v[164:165], v[162:163]
	v_add_f64_e32 v[146:147], v[186:187], v[192:193]
	v_fmac_f64_e32 v[188:189], v[6:7], v[166:167]
	v_fma_f64 v[162:163], v[4:5], v[166:167], -v[168:169]
	v_fmac_f64_e32 v[148:149], v[156:157], v[150:151]
	v_fma_f64 v[150:151], v[154:155], v[150:151], -v[152:153]
	v_add_f64_e32 v[164:165], v[144:145], v[142:143]
	v_add_f64_e32 v[146:147], v[146:147], v[190:191]
	ds_load_b128 v[4:7], v2 offset:1728
	ds_load_b128 v[142:145], v2 offset:1744
	s_wait_loadcnt_dscnt 0x701
	v_mul_f64_e32 v[166:167], v[4:5], v[184:185]
	v_mul_f64_e32 v[168:169], v[6:7], v[184:185]
	s_wait_loadcnt_dscnt 0x600
	v_mul_f64_e32 v[154:155], v[142:143], v[12:13]
	v_mul_f64_e32 v[12:13], v[144:145], v[12:13]
	v_add_f64_e32 v[152:153], v[164:165], v[162:163]
	v_add_f64_e32 v[146:147], v[146:147], v[188:189]
	v_fmac_f64_e32 v[166:167], v[6:7], v[182:183]
	v_fma_f64 v[156:157], v[4:5], v[182:183], -v[168:169]
	v_fmac_f64_e32 v[154:155], v[144:145], v[10:11]
	v_fma_f64 v[10:11], v[142:143], v[10:11], -v[12:13]
	v_add_f64_e32 v[150:151], v[152:153], v[150:151]
	v_add_f64_e32 v[152:153], v[146:147], v[148:149]
	ds_load_b128 v[4:7], v2 offset:1760
	ds_load_b128 v[146:149], v2 offset:1776
	;; [unrolled: 16-line block ×4, first 2 shown]
	s_wait_loadcnt_dscnt 0x101
	v_mul_f64_e32 v[2:3], v[4:5], v[160:161]
	v_mul_f64_e32 v[144:145], v[6:7], v[160:161]
	v_add_f64_e32 v[12:13], v[136:137], v[150:151]
	v_add_f64_e32 v[130:131], v[142:143], v[154:155]
	s_wait_loadcnt_dscnt 0x0
	v_mul_f64_e32 v[136:137], v[132:133], v[140:141]
	v_mul_f64_e32 v[140:141], v[134:135], v[140:141]
	v_fmac_f64_e32 v[2:3], v[6:7], v[158:159]
	v_fma_f64 v[4:5], v[4:5], v[158:159], -v[144:145]
	v_add_f64_e32 v[6:7], v[12:13], v[10:11]
	v_add_f64_e32 v[10:11], v[130:131], v[146:147]
	v_fmac_f64_e32 v[136:137], v[134:135], v[138:139]
	v_fma_f64 v[12:13], v[132:133], v[138:139], -v[140:141]
	s_delay_alu instid0(VALU_DEP_4) | instskip(NEXT) | instid1(VALU_DEP_4)
	v_add_f64_e32 v[4:5], v[6:7], v[4:5]
	v_add_f64_e32 v[2:3], v[10:11], v[2:3]
	s_delay_alu instid0(VALU_DEP_2) | instskip(NEXT) | instid1(VALU_DEP_2)
	v_add_f64_e32 v[4:5], v[4:5], v[12:13]
	v_add_f64_e32 v[6:7], v[2:3], v[136:137]
	s_delay_alu instid0(VALU_DEP_2) | instskip(NEXT) | instid1(VALU_DEP_2)
	v_add_f64_e64 v[2:3], v[174:175], -v[4:5]
	v_add_f64_e64 v[4:5], v[176:177], -v[6:7]
	scratch_store_b128 off, v[2:5], off offset:208
	s_wait_xcnt 0x0
	v_cmpx_lt_u32_e32 12, v1
	s_cbranch_execz .LBB121_337
; %bb.336:
	scratch_load_b128 v[2:5], off, s62
	v_mov_b32_e32 v10, 0
	s_delay_alu instid0(VALU_DEP_1)
	v_dual_mov_b32 v11, v10 :: v_dual_mov_b32 v12, v10
	v_mov_b32_e32 v13, v10
	scratch_store_b128 off, v[10:13], off offset:192
	s_wait_loadcnt 0x0
	ds_store_b128 v8, v[2:5]
.LBB121_337:
	s_wait_xcnt 0x0
	s_or_b32 exec_lo, exec_lo, s2
	s_wait_storecnt_dscnt 0x0
	s_barrier_signal -1
	s_barrier_wait -1
	s_clause 0x9
	scratch_load_b128 v[4:7], off, off offset:208
	scratch_load_b128 v[10:13], off, off offset:224
	;; [unrolled: 1-line block ×10, first 2 shown]
	v_mov_b32_e32 v2, 0
	s_mov_b32 s2, exec_lo
	ds_load_b128 v[162:165], v2 offset:1136
	s_clause 0x2
	scratch_load_b128 v[166:169], off, off offset:368
	scratch_load_b128 v[170:173], off, off offset:192
	;; [unrolled: 1-line block ×3, first 2 shown]
	s_wait_loadcnt_dscnt 0xc00
	v_mul_f64_e32 v[182:183], v[164:165], v[6:7]
	v_mul_f64_e32 v[186:187], v[162:163], v[6:7]
	ds_load_b128 v[174:177], v2 offset:1152
	v_fma_f64 v[190:191], v[162:163], v[4:5], -v[182:183]
	v_fmac_f64_e32 v[186:187], v[164:165], v[4:5]
	ds_load_b128 v[4:7], v2 offset:1168
	s_wait_loadcnt_dscnt 0xb01
	v_mul_f64_e32 v[188:189], v[174:175], v[12:13]
	v_mul_f64_e32 v[12:13], v[176:177], v[12:13]
	scratch_load_b128 v[162:165], off, off offset:400
	ds_load_b128 v[182:185], v2 offset:1184
	s_wait_loadcnt_dscnt 0xb01
	v_mul_f64_e32 v[192:193], v[4:5], v[132:133]
	v_mul_f64_e32 v[132:133], v[6:7], v[132:133]
	v_add_f64_e32 v[186:187], 0, v[186:187]
	v_fmac_f64_e32 v[188:189], v[176:177], v[10:11]
	v_fma_f64 v[174:175], v[174:175], v[10:11], -v[12:13]
	v_add_f64_e32 v[176:177], 0, v[190:191]
	scratch_load_b128 v[10:13], off, off offset:416
	v_fmac_f64_e32 v[192:193], v[6:7], v[130:131]
	v_fma_f64 v[194:195], v[4:5], v[130:131], -v[132:133]
	ds_load_b128 v[4:7], v2 offset:1200
	s_wait_loadcnt_dscnt 0xb01
	v_mul_f64_e32 v[190:191], v[182:183], v[136:137]
	v_mul_f64_e32 v[136:137], v[184:185], v[136:137]
	scratch_load_b128 v[130:133], off, off offset:432
	v_add_f64_e32 v[186:187], v[186:187], v[188:189]
	v_add_f64_e32 v[196:197], v[176:177], v[174:175]
	ds_load_b128 v[174:177], v2 offset:1216
	s_wait_loadcnt_dscnt 0xb01
	v_mul_f64_e32 v[188:189], v[4:5], v[140:141]
	v_mul_f64_e32 v[140:141], v[6:7], v[140:141]
	v_fmac_f64_e32 v[190:191], v[184:185], v[134:135]
	v_fma_f64 v[182:183], v[182:183], v[134:135], -v[136:137]
	scratch_load_b128 v[134:137], off, off offset:448
	v_add_f64_e32 v[186:187], v[186:187], v[192:193]
	v_add_f64_e32 v[184:185], v[196:197], v[194:195]
	v_fmac_f64_e32 v[188:189], v[6:7], v[138:139]
	v_fma_f64 v[194:195], v[4:5], v[138:139], -v[140:141]
	ds_load_b128 v[4:7], v2 offset:1232
	s_wait_loadcnt_dscnt 0xb01
	v_mul_f64_e32 v[192:193], v[174:175], v[144:145]
	v_mul_f64_e32 v[144:145], v[176:177], v[144:145]
	scratch_load_b128 v[138:141], off, off offset:464
	v_add_f64_e32 v[186:187], v[186:187], v[190:191]
	s_wait_loadcnt_dscnt 0xb00
	v_mul_f64_e32 v[190:191], v[4:5], v[148:149]
	v_add_f64_e32 v[196:197], v[184:185], v[182:183]
	v_mul_f64_e32 v[148:149], v[6:7], v[148:149]
	ds_load_b128 v[182:185], v2 offset:1248
	v_fmac_f64_e32 v[192:193], v[176:177], v[142:143]
	v_fma_f64 v[174:175], v[174:175], v[142:143], -v[144:145]
	scratch_load_b128 v[142:145], off, off offset:480
	v_add_f64_e32 v[186:187], v[186:187], v[188:189]
	v_fmac_f64_e32 v[190:191], v[6:7], v[146:147]
	v_add_f64_e32 v[176:177], v[196:197], v[194:195]
	v_fma_f64 v[194:195], v[4:5], v[146:147], -v[148:149]
	ds_load_b128 v[4:7], v2 offset:1264
	s_wait_loadcnt_dscnt 0xb01
	v_mul_f64_e32 v[188:189], v[182:183], v[152:153]
	v_mul_f64_e32 v[152:153], v[184:185], v[152:153]
	scratch_load_b128 v[146:149], off, off offset:496
	v_add_f64_e32 v[186:187], v[186:187], v[192:193]
	s_wait_loadcnt_dscnt 0xb00
	v_mul_f64_e32 v[192:193], v[4:5], v[156:157]
	v_add_f64_e32 v[196:197], v[176:177], v[174:175]
	v_mul_f64_e32 v[156:157], v[6:7], v[156:157]
	ds_load_b128 v[174:177], v2 offset:1280
	v_fmac_f64_e32 v[188:189], v[184:185], v[150:151]
	v_fma_f64 v[182:183], v[182:183], v[150:151], -v[152:153]
	scratch_load_b128 v[150:153], off, off offset:512
	v_add_f64_e32 v[186:187], v[186:187], v[190:191]
	v_fmac_f64_e32 v[192:193], v[6:7], v[154:155]
	v_add_f64_e32 v[184:185], v[196:197], v[194:195]
	;; [unrolled: 18-line block ×3, first 2 shown]
	v_fma_f64 v[194:195], v[4:5], v[166:167], -v[168:169]
	ds_load_b128 v[4:7], v2 offset:1328
	s_wait_loadcnt_dscnt 0xa01
	v_mul_f64_e32 v[192:193], v[182:183], v[180:181]
	v_mul_f64_e32 v[180:181], v[184:185], v[180:181]
	scratch_load_b128 v[166:169], off, off offset:560
	v_add_f64_e32 v[186:187], v[186:187], v[190:191]
	v_add_f64_e32 v[196:197], v[176:177], v[174:175]
	s_wait_loadcnt_dscnt 0xa00
	v_mul_f64_e32 v[190:191], v[4:5], v[164:165]
	v_mul_f64_e32 v[164:165], v[6:7], v[164:165]
	v_fmac_f64_e32 v[192:193], v[184:185], v[178:179]
	v_fma_f64 v[182:183], v[182:183], v[178:179], -v[180:181]
	ds_load_b128 v[174:177], v2 offset:1344
	scratch_load_b128 v[178:181], off, off offset:576
	v_add_f64_e32 v[186:187], v[186:187], v[188:189]
	v_add_f64_e32 v[184:185], v[196:197], v[194:195]
	v_fmac_f64_e32 v[190:191], v[6:7], v[162:163]
	v_fma_f64 v[194:195], v[4:5], v[162:163], -v[164:165]
	ds_load_b128 v[4:7], v2 offset:1360
	s_wait_loadcnt_dscnt 0xa01
	v_mul_f64_e32 v[188:189], v[174:175], v[12:13]
	v_mul_f64_e32 v[12:13], v[176:177], v[12:13]
	scratch_load_b128 v[162:165], off, off offset:592
	v_add_f64_e32 v[186:187], v[186:187], v[192:193]
	s_wait_loadcnt_dscnt 0xa00
	v_mul_f64_e32 v[192:193], v[4:5], v[132:133]
	v_add_f64_e32 v[196:197], v[184:185], v[182:183]
	v_mul_f64_e32 v[132:133], v[6:7], v[132:133]
	ds_load_b128 v[182:185], v2 offset:1376
	v_fmac_f64_e32 v[188:189], v[176:177], v[10:11]
	v_fma_f64 v[174:175], v[174:175], v[10:11], -v[12:13]
	scratch_load_b128 v[10:13], off, off offset:608
	v_add_f64_e32 v[186:187], v[186:187], v[190:191]
	v_fmac_f64_e32 v[192:193], v[6:7], v[130:131]
	v_add_f64_e32 v[176:177], v[196:197], v[194:195]
	v_fma_f64 v[194:195], v[4:5], v[130:131], -v[132:133]
	ds_load_b128 v[4:7], v2 offset:1392
	s_wait_loadcnt_dscnt 0xa01
	v_mul_f64_e32 v[190:191], v[182:183], v[136:137]
	v_mul_f64_e32 v[136:137], v[184:185], v[136:137]
	scratch_load_b128 v[130:133], off, off offset:624
	v_add_f64_e32 v[186:187], v[186:187], v[188:189]
	s_wait_loadcnt_dscnt 0xa00
	v_mul_f64_e32 v[188:189], v[4:5], v[140:141]
	v_add_f64_e32 v[196:197], v[176:177], v[174:175]
	v_mul_f64_e32 v[140:141], v[6:7], v[140:141]
	ds_load_b128 v[174:177], v2 offset:1408
	v_fmac_f64_e32 v[190:191], v[184:185], v[134:135]
	v_fma_f64 v[182:183], v[182:183], v[134:135], -v[136:137]
	scratch_load_b128 v[134:137], off, off offset:640
	v_add_f64_e32 v[186:187], v[186:187], v[192:193]
	v_fmac_f64_e32 v[188:189], v[6:7], v[138:139]
	v_add_f64_e32 v[184:185], v[196:197], v[194:195]
	;; [unrolled: 18-line block ×10, first 2 shown]
	v_fma_f64 v[194:195], v[4:5], v[154:155], -v[156:157]
	ds_load_b128 v[4:7], v2 offset:1680
	s_wait_loadcnt_dscnt 0xa01
	v_mul_f64_e32 v[190:191], v[174:175], v[160:161]
	v_mul_f64_e32 v[160:161], v[176:177], v[160:161]
	scratch_load_b128 v[154:157], off, off offset:912
	v_add_f64_e32 v[186:187], v[186:187], v[188:189]
	s_wait_loadcnt_dscnt 0xa00
	v_mul_f64_e32 v[188:189], v[4:5], v[168:169]
	v_add_f64_e32 v[196:197], v[184:185], v[182:183]
	v_mul_f64_e32 v[168:169], v[6:7], v[168:169]
	ds_load_b128 v[182:185], v2 offset:1696
	v_fmac_f64_e32 v[190:191], v[176:177], v[158:159]
	v_fma_f64 v[158:159], v[174:175], v[158:159], -v[160:161]
	s_wait_loadcnt_dscnt 0x900
	v_mul_f64_e32 v[176:177], v[182:183], v[180:181]
	v_mul_f64_e32 v[180:181], v[184:185], v[180:181]
	v_add_f64_e32 v[174:175], v[186:187], v[192:193]
	v_fmac_f64_e32 v[188:189], v[6:7], v[166:167]
	v_add_f64_e32 v[160:161], v[196:197], v[194:195]
	v_fma_f64 v[166:167], v[4:5], v[166:167], -v[168:169]
	v_fmac_f64_e32 v[176:177], v[184:185], v[178:179]
	v_fma_f64 v[178:179], v[182:183], v[178:179], -v[180:181]
	v_add_f64_e32 v[174:175], v[174:175], v[190:191]
	v_add_f64_e32 v[168:169], v[160:161], v[158:159]
	ds_load_b128 v[4:7], v2 offset:1712
	ds_load_b128 v[158:161], v2 offset:1728
	s_wait_loadcnt_dscnt 0x801
	v_mul_f64_e32 v[186:187], v[4:5], v[164:165]
	v_mul_f64_e32 v[164:165], v[6:7], v[164:165]
	v_add_f64_e32 v[166:167], v[168:169], v[166:167]
	v_add_f64_e32 v[168:169], v[174:175], v[188:189]
	s_wait_loadcnt_dscnt 0x700
	v_mul_f64_e32 v[174:175], v[158:159], v[12:13]
	v_mul_f64_e32 v[12:13], v[160:161], v[12:13]
	v_fmac_f64_e32 v[186:187], v[6:7], v[162:163]
	v_fma_f64 v[180:181], v[4:5], v[162:163], -v[164:165]
	ds_load_b128 v[4:7], v2 offset:1744
	ds_load_b128 v[162:165], v2 offset:1760
	v_add_f64_e32 v[166:167], v[166:167], v[178:179]
	v_add_f64_e32 v[168:169], v[168:169], v[176:177]
	v_fmac_f64_e32 v[174:175], v[160:161], v[10:11]
	v_fma_f64 v[10:11], v[158:159], v[10:11], -v[12:13]
	s_wait_loadcnt_dscnt 0x601
	v_mul_f64_e32 v[176:177], v[4:5], v[132:133]
	v_mul_f64_e32 v[132:133], v[6:7], v[132:133]
	s_wait_loadcnt_dscnt 0x500
	v_mul_f64_e32 v[160:161], v[162:163], v[136:137]
	v_mul_f64_e32 v[136:137], v[164:165], v[136:137]
	v_add_f64_e32 v[12:13], v[166:167], v[180:181]
	v_add_f64_e32 v[158:159], v[168:169], v[186:187]
	v_fmac_f64_e32 v[176:177], v[6:7], v[130:131]
	v_fma_f64 v[130:131], v[4:5], v[130:131], -v[132:133]
	v_fmac_f64_e32 v[160:161], v[164:165], v[134:135]
	v_fma_f64 v[134:135], v[162:163], v[134:135], -v[136:137]
	v_add_f64_e32 v[132:133], v[12:13], v[10:11]
	v_add_f64_e32 v[158:159], v[158:159], v[174:175]
	ds_load_b128 v[4:7], v2 offset:1776
	ds_load_b128 v[10:13], v2 offset:1792
	s_wait_loadcnt_dscnt 0x401
	v_mul_f64_e32 v[166:167], v[4:5], v[140:141]
	v_mul_f64_e32 v[140:141], v[6:7], v[140:141]
	s_wait_loadcnt_dscnt 0x300
	v_mul_f64_e32 v[136:137], v[10:11], v[144:145]
	v_mul_f64_e32 v[144:145], v[12:13], v[144:145]
	v_add_f64_e32 v[130:131], v[132:133], v[130:131]
	v_add_f64_e32 v[132:133], v[158:159], v[176:177]
	v_fmac_f64_e32 v[166:167], v[6:7], v[138:139]
	v_fma_f64 v[138:139], v[4:5], v[138:139], -v[140:141]
	v_fmac_f64_e32 v[136:137], v[12:13], v[142:143]
	v_fma_f64 v[10:11], v[10:11], v[142:143], -v[144:145]
	v_add_f64_e32 v[134:135], v[130:131], v[134:135]
	v_add_f64_e32 v[140:141], v[132:133], v[160:161]
	ds_load_b128 v[4:7], v2 offset:1808
	ds_load_b128 v[130:133], v2 offset:1824
	s_wait_loadcnt_dscnt 0x201
	v_mul_f64_e32 v[158:159], v[4:5], v[148:149]
	v_mul_f64_e32 v[148:149], v[6:7], v[148:149]
	v_add_f64_e32 v[12:13], v[134:135], v[138:139]
	v_add_f64_e32 v[134:135], v[140:141], v[166:167]
	s_wait_loadcnt_dscnt 0x100
	v_mul_f64_e32 v[138:139], v[130:131], v[152:153]
	v_mul_f64_e32 v[140:141], v[132:133], v[152:153]
	v_fmac_f64_e32 v[158:159], v[6:7], v[146:147]
	v_fma_f64 v[142:143], v[4:5], v[146:147], -v[148:149]
	ds_load_b128 v[4:7], v2 offset:1840
	v_add_f64_e32 v[10:11], v[12:13], v[10:11]
	v_add_f64_e32 v[12:13], v[134:135], v[136:137]
	v_fmac_f64_e32 v[138:139], v[132:133], v[150:151]
	v_fma_f64 v[130:131], v[130:131], v[150:151], -v[140:141]
	s_wait_loadcnt_dscnt 0x0
	v_mul_f64_e32 v[134:135], v[4:5], v[156:157]
	v_mul_f64_e32 v[136:137], v[6:7], v[156:157]
	v_add_f64_e32 v[10:11], v[10:11], v[142:143]
	v_add_f64_e32 v[12:13], v[12:13], v[158:159]
	s_delay_alu instid0(VALU_DEP_4) | instskip(NEXT) | instid1(VALU_DEP_4)
	v_fmac_f64_e32 v[134:135], v[6:7], v[154:155]
	v_fma_f64 v[4:5], v[4:5], v[154:155], -v[136:137]
	s_delay_alu instid0(VALU_DEP_4) | instskip(NEXT) | instid1(VALU_DEP_4)
	v_add_f64_e32 v[6:7], v[10:11], v[130:131]
	v_add_f64_e32 v[10:11], v[12:13], v[138:139]
	s_delay_alu instid0(VALU_DEP_2) | instskip(NEXT) | instid1(VALU_DEP_2)
	v_add_f64_e32 v[4:5], v[6:7], v[4:5]
	v_add_f64_e32 v[6:7], v[10:11], v[134:135]
	s_delay_alu instid0(VALU_DEP_2) | instskip(NEXT) | instid1(VALU_DEP_2)
	v_add_f64_e64 v[4:5], v[170:171], -v[4:5]
	v_add_f64_e64 v[6:7], v[172:173], -v[6:7]
	scratch_store_b128 off, v[4:7], off offset:192
	s_wait_xcnt 0x0
	v_cmpx_lt_u32_e32 11, v1
	s_cbranch_execz .LBB121_339
; %bb.338:
	scratch_load_b128 v[10:13], off, s63
	v_dual_mov_b32 v3, v2 :: v_dual_mov_b32 v4, v2
	v_mov_b32_e32 v5, v2
	scratch_store_b128 off, v[2:5], off offset:176
	s_wait_loadcnt 0x0
	ds_store_b128 v8, v[10:13]
.LBB121_339:
	s_wait_xcnt 0x0
	s_or_b32 exec_lo, exec_lo, s2
	s_wait_storecnt_dscnt 0x0
	s_barrier_signal -1
	s_barrier_wait -1
	s_clause 0x9
	scratch_load_b128 v[4:7], off, off offset:192
	scratch_load_b128 v[10:13], off, off offset:208
	;; [unrolled: 1-line block ×10, first 2 shown]
	ds_load_b128 v[162:165], v2 offset:1120
	ds_load_b128 v[170:173], v2 offset:1136
	s_clause 0x2
	scratch_load_b128 v[166:169], off, off offset:352
	scratch_load_b128 v[174:177], off, off offset:176
	;; [unrolled: 1-line block ×3, first 2 shown]
	s_mov_b32 s2, exec_lo
	s_wait_loadcnt_dscnt 0xc01
	v_mul_f64_e32 v[182:183], v[164:165], v[6:7]
	v_mul_f64_e32 v[186:187], v[162:163], v[6:7]
	s_wait_loadcnt_dscnt 0xb00
	v_mul_f64_e32 v[188:189], v[170:171], v[12:13]
	v_mul_f64_e32 v[12:13], v[172:173], v[12:13]
	s_delay_alu instid0(VALU_DEP_4) | instskip(NEXT) | instid1(VALU_DEP_4)
	v_fma_f64 v[190:191], v[162:163], v[4:5], -v[182:183]
	v_fmac_f64_e32 v[186:187], v[164:165], v[4:5]
	ds_load_b128 v[4:7], v2 offset:1152
	ds_load_b128 v[162:165], v2 offset:1168
	scratch_load_b128 v[182:185], off, off offset:384
	v_fmac_f64_e32 v[188:189], v[172:173], v[10:11]
	v_fma_f64 v[170:171], v[170:171], v[10:11], -v[12:13]
	scratch_load_b128 v[10:13], off, off offset:400
	s_wait_loadcnt_dscnt 0xc01
	v_mul_f64_e32 v[192:193], v[4:5], v[132:133]
	v_mul_f64_e32 v[132:133], v[6:7], v[132:133]
	v_add_f64_e32 v[172:173], 0, v[190:191]
	v_add_f64_e32 v[186:187], 0, v[186:187]
	s_wait_loadcnt_dscnt 0xb00
	v_mul_f64_e32 v[190:191], v[162:163], v[136:137]
	v_mul_f64_e32 v[136:137], v[164:165], v[136:137]
	v_fmac_f64_e32 v[192:193], v[6:7], v[130:131]
	v_fma_f64 v[194:195], v[4:5], v[130:131], -v[132:133]
	ds_load_b128 v[4:7], v2 offset:1184
	ds_load_b128 v[130:133], v2 offset:1200
	v_add_f64_e32 v[196:197], v[172:173], v[170:171]
	v_add_f64_e32 v[186:187], v[186:187], v[188:189]
	scratch_load_b128 v[170:173], off, off offset:416
	v_fmac_f64_e32 v[190:191], v[164:165], v[134:135]
	v_fma_f64 v[162:163], v[162:163], v[134:135], -v[136:137]
	scratch_load_b128 v[134:137], off, off offset:432
	s_wait_loadcnt_dscnt 0xc01
	v_mul_f64_e32 v[188:189], v[4:5], v[140:141]
	v_mul_f64_e32 v[140:141], v[6:7], v[140:141]
	v_add_f64_e32 v[164:165], v[196:197], v[194:195]
	v_add_f64_e32 v[186:187], v[186:187], v[192:193]
	s_wait_loadcnt_dscnt 0xb00
	v_mul_f64_e32 v[192:193], v[130:131], v[144:145]
	v_mul_f64_e32 v[144:145], v[132:133], v[144:145]
	v_fmac_f64_e32 v[188:189], v[6:7], v[138:139]
	v_fma_f64 v[194:195], v[4:5], v[138:139], -v[140:141]
	ds_load_b128 v[4:7], v2 offset:1216
	ds_load_b128 v[138:141], v2 offset:1232
	v_add_f64_e32 v[196:197], v[164:165], v[162:163]
	v_add_f64_e32 v[186:187], v[186:187], v[190:191]
	scratch_load_b128 v[162:165], off, off offset:448
	s_wait_loadcnt_dscnt 0xb01
	v_mul_f64_e32 v[190:191], v[4:5], v[148:149]
	v_mul_f64_e32 v[148:149], v[6:7], v[148:149]
	v_fmac_f64_e32 v[192:193], v[132:133], v[142:143]
	v_fma_f64 v[142:143], v[130:131], v[142:143], -v[144:145]
	scratch_load_b128 v[130:133], off, off offset:464
	v_add_f64_e32 v[144:145], v[196:197], v[194:195]
	v_add_f64_e32 v[186:187], v[186:187], v[188:189]
	s_wait_loadcnt_dscnt 0xb00
	v_mul_f64_e32 v[188:189], v[138:139], v[152:153]
	v_mul_f64_e32 v[152:153], v[140:141], v[152:153]
	v_fmac_f64_e32 v[190:191], v[6:7], v[146:147]
	v_fma_f64 v[194:195], v[4:5], v[146:147], -v[148:149]
	v_add_f64_e32 v[196:197], v[144:145], v[142:143]
	v_add_f64_e32 v[186:187], v[186:187], v[192:193]
	ds_load_b128 v[4:7], v2 offset:1248
	ds_load_b128 v[142:145], v2 offset:1264
	scratch_load_b128 v[146:149], off, off offset:480
	v_fmac_f64_e32 v[188:189], v[140:141], v[150:151]
	v_fma_f64 v[150:151], v[138:139], v[150:151], -v[152:153]
	scratch_load_b128 v[138:141], off, off offset:496
	s_wait_loadcnt_dscnt 0xc01
	v_mul_f64_e32 v[192:193], v[4:5], v[156:157]
	v_mul_f64_e32 v[156:157], v[6:7], v[156:157]
	v_add_f64_e32 v[152:153], v[196:197], v[194:195]
	v_add_f64_e32 v[186:187], v[186:187], v[190:191]
	s_wait_loadcnt_dscnt 0xb00
	v_mul_f64_e32 v[190:191], v[142:143], v[160:161]
	v_mul_f64_e32 v[160:161], v[144:145], v[160:161]
	v_fmac_f64_e32 v[192:193], v[6:7], v[154:155]
	v_fma_f64 v[194:195], v[4:5], v[154:155], -v[156:157]
	v_add_f64_e32 v[196:197], v[152:153], v[150:151]
	v_add_f64_e32 v[186:187], v[186:187], v[188:189]
	ds_load_b128 v[4:7], v2 offset:1280
	ds_load_b128 v[150:153], v2 offset:1296
	scratch_load_b128 v[154:157], off, off offset:512
	v_fmac_f64_e32 v[190:191], v[144:145], v[158:159]
	v_fma_f64 v[158:159], v[142:143], v[158:159], -v[160:161]
	scratch_load_b128 v[142:145], off, off offset:528
	s_wait_loadcnt_dscnt 0xc01
	v_mul_f64_e32 v[188:189], v[4:5], v[168:169]
	v_mul_f64_e32 v[168:169], v[6:7], v[168:169]
	;; [unrolled: 18-line block ×5, first 2 shown]
	v_add_f64_e32 v[180:181], v[196:197], v[194:195]
	v_add_f64_e32 v[186:187], v[186:187], v[192:193]
	s_wait_loadcnt_dscnt 0xa00
	v_mul_f64_e32 v[192:193], v[158:159], v[132:133]
	v_mul_f64_e32 v[132:133], v[160:161], v[132:133]
	v_fmac_f64_e32 v[188:189], v[6:7], v[162:163]
	v_fma_f64 v[194:195], v[4:5], v[162:163], -v[164:165]
	ds_load_b128 v[4:7], v2 offset:1408
	ds_load_b128 v[162:165], v2 offset:1424
	v_add_f64_e32 v[196:197], v[180:181], v[178:179]
	v_add_f64_e32 v[186:187], v[186:187], v[190:191]
	scratch_load_b128 v[178:181], off, off offset:640
	v_fmac_f64_e32 v[192:193], v[160:161], v[130:131]
	v_fma_f64 v[158:159], v[158:159], v[130:131], -v[132:133]
	scratch_load_b128 v[130:133], off, off offset:656
	s_wait_loadcnt_dscnt 0xb01
	v_mul_f64_e32 v[190:191], v[4:5], v[148:149]
	v_mul_f64_e32 v[148:149], v[6:7], v[148:149]
	v_add_f64_e32 v[160:161], v[196:197], v[194:195]
	v_add_f64_e32 v[186:187], v[186:187], v[188:189]
	s_wait_loadcnt_dscnt 0xa00
	v_mul_f64_e32 v[188:189], v[162:163], v[140:141]
	v_mul_f64_e32 v[140:141], v[164:165], v[140:141]
	v_fmac_f64_e32 v[190:191], v[6:7], v[146:147]
	v_fma_f64 v[194:195], v[4:5], v[146:147], -v[148:149]
	ds_load_b128 v[4:7], v2 offset:1440
	ds_load_b128 v[146:149], v2 offset:1456
	v_add_f64_e32 v[196:197], v[160:161], v[158:159]
	v_add_f64_e32 v[186:187], v[186:187], v[192:193]
	scratch_load_b128 v[158:161], off, off offset:672
	s_wait_loadcnt_dscnt 0xa01
	v_mul_f64_e32 v[192:193], v[4:5], v[156:157]
	v_mul_f64_e32 v[156:157], v[6:7], v[156:157]
	v_fmac_f64_e32 v[188:189], v[164:165], v[138:139]
	v_fma_f64 v[162:163], v[162:163], v[138:139], -v[140:141]
	scratch_load_b128 v[138:141], off, off offset:688
	v_add_f64_e32 v[164:165], v[196:197], v[194:195]
	v_add_f64_e32 v[186:187], v[186:187], v[190:191]
	s_wait_loadcnt_dscnt 0xa00
	v_mul_f64_e32 v[190:191], v[146:147], v[144:145]
	v_mul_f64_e32 v[144:145], v[148:149], v[144:145]
	v_fmac_f64_e32 v[192:193], v[6:7], v[154:155]
	v_fma_f64 v[194:195], v[4:5], v[154:155], -v[156:157]
	ds_load_b128 v[4:7], v2 offset:1472
	ds_load_b128 v[154:157], v2 offset:1488
	v_add_f64_e32 v[196:197], v[164:165], v[162:163]
	v_add_f64_e32 v[186:187], v[186:187], v[188:189]
	scratch_load_b128 v[162:165], off, off offset:704
	s_wait_loadcnt_dscnt 0xa01
	v_mul_f64_e32 v[188:189], v[4:5], v[168:169]
	v_mul_f64_e32 v[168:169], v[6:7], v[168:169]
	v_fmac_f64_e32 v[190:191], v[148:149], v[142:143]
	v_fma_f64 v[146:147], v[146:147], v[142:143], -v[144:145]
	scratch_load_b128 v[142:145], off, off offset:720
	v_add_f64_e32 v[148:149], v[196:197], v[194:195]
	v_add_f64_e32 v[186:187], v[186:187], v[192:193]
	s_wait_loadcnt_dscnt 0xa00
	v_mul_f64_e32 v[192:193], v[154:155], v[152:153]
	v_mul_f64_e32 v[152:153], v[156:157], v[152:153]
	v_fmac_f64_e32 v[188:189], v[6:7], v[166:167]
	v_fma_f64 v[194:195], v[4:5], v[166:167], -v[168:169]
	v_add_f64_e32 v[196:197], v[148:149], v[146:147]
	v_add_f64_e32 v[186:187], v[186:187], v[190:191]
	ds_load_b128 v[4:7], v2 offset:1504
	ds_load_b128 v[146:149], v2 offset:1520
	scratch_load_b128 v[166:169], off, off offset:736
	v_fmac_f64_e32 v[192:193], v[156:157], v[150:151]
	v_fma_f64 v[154:155], v[154:155], v[150:151], -v[152:153]
	scratch_load_b128 v[150:153], off, off offset:752
	s_wait_loadcnt_dscnt 0xb01
	v_mul_f64_e32 v[190:191], v[4:5], v[184:185]
	v_mul_f64_e32 v[184:185], v[6:7], v[184:185]
	v_add_f64_e32 v[156:157], v[196:197], v[194:195]
	v_add_f64_e32 v[186:187], v[186:187], v[188:189]
	s_wait_loadcnt_dscnt 0xa00
	v_mul_f64_e32 v[188:189], v[146:147], v[12:13]
	v_mul_f64_e32 v[12:13], v[148:149], v[12:13]
	v_fmac_f64_e32 v[190:191], v[6:7], v[182:183]
	v_fma_f64 v[194:195], v[4:5], v[182:183], -v[184:185]
	v_add_f64_e32 v[196:197], v[156:157], v[154:155]
	v_add_f64_e32 v[186:187], v[186:187], v[192:193]
	ds_load_b128 v[4:7], v2 offset:1536
	ds_load_b128 v[154:157], v2 offset:1552
	scratch_load_b128 v[182:185], off, off offset:768
	v_fmac_f64_e32 v[188:189], v[148:149], v[10:11]
	v_fma_f64 v[146:147], v[146:147], v[10:11], -v[12:13]
	scratch_load_b128 v[10:13], off, off offset:784
	s_wait_loadcnt_dscnt 0xb01
	v_mul_f64_e32 v[192:193], v[4:5], v[172:173]
	v_mul_f64_e32 v[172:173], v[6:7], v[172:173]
	;; [unrolled: 18-line block ×6, first 2 shown]
	v_add_f64_e32 v[148:149], v[196:197], v[194:195]
	v_add_f64_e32 v[186:187], v[186:187], v[192:193]
	s_wait_loadcnt_dscnt 0xa00
	v_mul_f64_e32 v[192:193], v[154:155], v[152:153]
	v_mul_f64_e32 v[152:153], v[156:157], v[152:153]
	v_fmac_f64_e32 v[188:189], v[6:7], v[166:167]
	v_fma_f64 v[166:167], v[4:5], v[166:167], -v[168:169]
	v_add_f64_e32 v[168:169], v[148:149], v[146:147]
	v_add_f64_e32 v[186:187], v[186:187], v[190:191]
	ds_load_b128 v[4:7], v2 offset:1696
	ds_load_b128 v[146:149], v2 offset:1712
	v_fmac_f64_e32 v[192:193], v[156:157], v[150:151]
	v_fma_f64 v[150:151], v[154:155], v[150:151], -v[152:153]
	s_wait_loadcnt_dscnt 0x901
	v_mul_f64_e32 v[190:191], v[4:5], v[184:185]
	v_mul_f64_e32 v[184:185], v[6:7], v[184:185]
	s_wait_loadcnt_dscnt 0x800
	v_mul_f64_e32 v[156:157], v[146:147], v[12:13]
	v_mul_f64_e32 v[12:13], v[148:149], v[12:13]
	v_add_f64_e32 v[152:153], v[168:169], v[166:167]
	v_add_f64_e32 v[154:155], v[186:187], v[188:189]
	v_fmac_f64_e32 v[190:191], v[6:7], v[182:183]
	v_fma_f64 v[166:167], v[4:5], v[182:183], -v[184:185]
	v_fmac_f64_e32 v[156:157], v[148:149], v[10:11]
	v_fma_f64 v[10:11], v[146:147], v[10:11], -v[12:13]
	v_add_f64_e32 v[168:169], v[152:153], v[150:151]
	v_add_f64_e32 v[154:155], v[154:155], v[192:193]
	ds_load_b128 v[4:7], v2 offset:1728
	ds_load_b128 v[150:153], v2 offset:1744
	s_wait_loadcnt_dscnt 0x701
	v_mul_f64_e32 v[182:183], v[4:5], v[172:173]
	v_mul_f64_e32 v[172:173], v[6:7], v[172:173]
	s_wait_loadcnt_dscnt 0x600
	v_mul_f64_e32 v[148:149], v[150:151], v[136:137]
	v_mul_f64_e32 v[136:137], v[152:153], v[136:137]
	v_add_f64_e32 v[12:13], v[168:169], v[166:167]
	v_add_f64_e32 v[146:147], v[154:155], v[190:191]
	v_fmac_f64_e32 v[182:183], v[6:7], v[170:171]
	v_fma_f64 v[154:155], v[4:5], v[170:171], -v[172:173]
	v_fmac_f64_e32 v[148:149], v[152:153], v[134:135]
	v_fma_f64 v[134:135], v[150:151], v[134:135], -v[136:137]
	v_add_f64_e32 v[166:167], v[12:13], v[10:11]
	v_add_f64_e32 v[146:147], v[146:147], v[156:157]
	ds_load_b128 v[4:7], v2 offset:1760
	ds_load_b128 v[10:13], v2 offset:1776
	;; [unrolled: 16-line block ×3, first 2 shown]
	s_wait_loadcnt_dscnt 0x301
	v_mul_f64_e32 v[148:149], v[4:5], v[160:161]
	v_mul_f64_e32 v[160:161], v[6:7], v[160:161]
	v_add_f64_e32 v[12:13], v[136:137], v[154:155]
	v_add_f64_e32 v[130:131], v[146:147], v[156:157]
	s_wait_loadcnt_dscnt 0x200
	v_mul_f64_e32 v[136:137], v[132:133], v[140:141]
	v_mul_f64_e32 v[140:141], v[134:135], v[140:141]
	v_fmac_f64_e32 v[148:149], v[6:7], v[158:159]
	v_fma_f64 v[146:147], v[4:5], v[158:159], -v[160:161]
	v_add_f64_e32 v[152:153], v[12:13], v[10:11]
	v_add_f64_e32 v[130:131], v[130:131], v[150:151]
	ds_load_b128 v[4:7], v2 offset:1824
	ds_load_b128 v[10:13], v2 offset:1840
	v_fmac_f64_e32 v[136:137], v[134:135], v[138:139]
	v_fma_f64 v[132:133], v[132:133], v[138:139], -v[140:141]
	s_wait_loadcnt_dscnt 0x101
	v_mul_f64_e32 v[2:3], v[4:5], v[164:165]
	v_mul_f64_e32 v[150:151], v[6:7], v[164:165]
	s_wait_loadcnt_dscnt 0x0
	v_mul_f64_e32 v[138:139], v[10:11], v[144:145]
	v_mul_f64_e32 v[140:141], v[12:13], v[144:145]
	v_add_f64_e32 v[134:135], v[152:153], v[146:147]
	v_add_f64_e32 v[130:131], v[130:131], v[148:149]
	v_fmac_f64_e32 v[2:3], v[6:7], v[162:163]
	v_fma_f64 v[4:5], v[4:5], v[162:163], -v[150:151]
	v_fmac_f64_e32 v[138:139], v[12:13], v[142:143]
	v_fma_f64 v[10:11], v[10:11], v[142:143], -v[140:141]
	v_add_f64_e32 v[6:7], v[134:135], v[132:133]
	v_add_f64_e32 v[130:131], v[130:131], v[136:137]
	s_delay_alu instid0(VALU_DEP_2) | instskip(NEXT) | instid1(VALU_DEP_2)
	v_add_f64_e32 v[4:5], v[6:7], v[4:5]
	v_add_f64_e32 v[2:3], v[130:131], v[2:3]
	s_delay_alu instid0(VALU_DEP_2) | instskip(NEXT) | instid1(VALU_DEP_2)
	;; [unrolled: 3-line block ×3, first 2 shown]
	v_add_f64_e64 v[2:3], v[174:175], -v[4:5]
	v_add_f64_e64 v[4:5], v[176:177], -v[6:7]
	scratch_store_b128 off, v[2:5], off offset:176
	s_wait_xcnt 0x0
	v_cmpx_lt_u32_e32 10, v1
	s_cbranch_execz .LBB121_341
; %bb.340:
	scratch_load_b128 v[2:5], off, s64
	v_mov_b32_e32 v10, 0
	s_delay_alu instid0(VALU_DEP_1)
	v_dual_mov_b32 v11, v10 :: v_dual_mov_b32 v12, v10
	v_mov_b32_e32 v13, v10
	scratch_store_b128 off, v[10:13], off offset:160
	s_wait_loadcnt 0x0
	ds_store_b128 v8, v[2:5]
.LBB121_341:
	s_wait_xcnt 0x0
	s_or_b32 exec_lo, exec_lo, s2
	s_wait_storecnt_dscnt 0x0
	s_barrier_signal -1
	s_barrier_wait -1
	s_clause 0x9
	scratch_load_b128 v[4:7], off, off offset:176
	scratch_load_b128 v[10:13], off, off offset:192
	;; [unrolled: 1-line block ×10, first 2 shown]
	v_mov_b32_e32 v2, 0
	s_mov_b32 s2, exec_lo
	ds_load_b128 v[162:165], v2 offset:1104
	s_clause 0x2
	scratch_load_b128 v[166:169], off, off offset:336
	scratch_load_b128 v[170:173], off, off offset:160
	;; [unrolled: 1-line block ×3, first 2 shown]
	s_wait_loadcnt_dscnt 0xc00
	v_mul_f64_e32 v[182:183], v[164:165], v[6:7]
	v_mul_f64_e32 v[186:187], v[162:163], v[6:7]
	ds_load_b128 v[174:177], v2 offset:1120
	v_fma_f64 v[190:191], v[162:163], v[4:5], -v[182:183]
	v_fmac_f64_e32 v[186:187], v[164:165], v[4:5]
	ds_load_b128 v[4:7], v2 offset:1136
	s_wait_loadcnt_dscnt 0xb01
	v_mul_f64_e32 v[188:189], v[174:175], v[12:13]
	v_mul_f64_e32 v[12:13], v[176:177], v[12:13]
	scratch_load_b128 v[162:165], off, off offset:368
	ds_load_b128 v[182:185], v2 offset:1152
	s_wait_loadcnt_dscnt 0xb01
	v_mul_f64_e32 v[192:193], v[4:5], v[132:133]
	v_mul_f64_e32 v[132:133], v[6:7], v[132:133]
	v_add_f64_e32 v[186:187], 0, v[186:187]
	v_fmac_f64_e32 v[188:189], v[176:177], v[10:11]
	v_fma_f64 v[174:175], v[174:175], v[10:11], -v[12:13]
	v_add_f64_e32 v[176:177], 0, v[190:191]
	scratch_load_b128 v[10:13], off, off offset:384
	v_fmac_f64_e32 v[192:193], v[6:7], v[130:131]
	v_fma_f64 v[194:195], v[4:5], v[130:131], -v[132:133]
	ds_load_b128 v[4:7], v2 offset:1168
	s_wait_loadcnt_dscnt 0xb01
	v_mul_f64_e32 v[190:191], v[182:183], v[136:137]
	v_mul_f64_e32 v[136:137], v[184:185], v[136:137]
	scratch_load_b128 v[130:133], off, off offset:400
	v_add_f64_e32 v[186:187], v[186:187], v[188:189]
	v_add_f64_e32 v[196:197], v[176:177], v[174:175]
	ds_load_b128 v[174:177], v2 offset:1184
	s_wait_loadcnt_dscnt 0xb01
	v_mul_f64_e32 v[188:189], v[4:5], v[140:141]
	v_mul_f64_e32 v[140:141], v[6:7], v[140:141]
	v_fmac_f64_e32 v[190:191], v[184:185], v[134:135]
	v_fma_f64 v[182:183], v[182:183], v[134:135], -v[136:137]
	scratch_load_b128 v[134:137], off, off offset:416
	v_add_f64_e32 v[186:187], v[186:187], v[192:193]
	v_add_f64_e32 v[184:185], v[196:197], v[194:195]
	v_fmac_f64_e32 v[188:189], v[6:7], v[138:139]
	v_fma_f64 v[194:195], v[4:5], v[138:139], -v[140:141]
	ds_load_b128 v[4:7], v2 offset:1200
	s_wait_loadcnt_dscnt 0xb01
	v_mul_f64_e32 v[192:193], v[174:175], v[144:145]
	v_mul_f64_e32 v[144:145], v[176:177], v[144:145]
	scratch_load_b128 v[138:141], off, off offset:432
	v_add_f64_e32 v[186:187], v[186:187], v[190:191]
	s_wait_loadcnt_dscnt 0xb00
	v_mul_f64_e32 v[190:191], v[4:5], v[148:149]
	v_add_f64_e32 v[196:197], v[184:185], v[182:183]
	v_mul_f64_e32 v[148:149], v[6:7], v[148:149]
	ds_load_b128 v[182:185], v2 offset:1216
	v_fmac_f64_e32 v[192:193], v[176:177], v[142:143]
	v_fma_f64 v[174:175], v[174:175], v[142:143], -v[144:145]
	scratch_load_b128 v[142:145], off, off offset:448
	v_add_f64_e32 v[186:187], v[186:187], v[188:189]
	v_fmac_f64_e32 v[190:191], v[6:7], v[146:147]
	v_add_f64_e32 v[176:177], v[196:197], v[194:195]
	v_fma_f64 v[194:195], v[4:5], v[146:147], -v[148:149]
	ds_load_b128 v[4:7], v2 offset:1232
	s_wait_loadcnt_dscnt 0xb01
	v_mul_f64_e32 v[188:189], v[182:183], v[152:153]
	v_mul_f64_e32 v[152:153], v[184:185], v[152:153]
	scratch_load_b128 v[146:149], off, off offset:464
	v_add_f64_e32 v[186:187], v[186:187], v[192:193]
	s_wait_loadcnt_dscnt 0xb00
	v_mul_f64_e32 v[192:193], v[4:5], v[156:157]
	v_add_f64_e32 v[196:197], v[176:177], v[174:175]
	v_mul_f64_e32 v[156:157], v[6:7], v[156:157]
	ds_load_b128 v[174:177], v2 offset:1248
	v_fmac_f64_e32 v[188:189], v[184:185], v[150:151]
	v_fma_f64 v[182:183], v[182:183], v[150:151], -v[152:153]
	scratch_load_b128 v[150:153], off, off offset:480
	v_add_f64_e32 v[186:187], v[186:187], v[190:191]
	v_fmac_f64_e32 v[192:193], v[6:7], v[154:155]
	v_add_f64_e32 v[184:185], v[196:197], v[194:195]
	;; [unrolled: 18-line block ×3, first 2 shown]
	v_fma_f64 v[194:195], v[4:5], v[166:167], -v[168:169]
	ds_load_b128 v[4:7], v2 offset:1296
	s_wait_loadcnt_dscnt 0xa01
	v_mul_f64_e32 v[192:193], v[182:183], v[180:181]
	v_mul_f64_e32 v[180:181], v[184:185], v[180:181]
	scratch_load_b128 v[166:169], off, off offset:528
	v_add_f64_e32 v[186:187], v[186:187], v[190:191]
	v_add_f64_e32 v[196:197], v[176:177], v[174:175]
	s_wait_loadcnt_dscnt 0xa00
	v_mul_f64_e32 v[190:191], v[4:5], v[164:165]
	v_mul_f64_e32 v[164:165], v[6:7], v[164:165]
	v_fmac_f64_e32 v[192:193], v[184:185], v[178:179]
	v_fma_f64 v[182:183], v[182:183], v[178:179], -v[180:181]
	ds_load_b128 v[174:177], v2 offset:1312
	scratch_load_b128 v[178:181], off, off offset:544
	v_add_f64_e32 v[186:187], v[186:187], v[188:189]
	v_add_f64_e32 v[184:185], v[196:197], v[194:195]
	v_fmac_f64_e32 v[190:191], v[6:7], v[162:163]
	v_fma_f64 v[194:195], v[4:5], v[162:163], -v[164:165]
	ds_load_b128 v[4:7], v2 offset:1328
	s_wait_loadcnt_dscnt 0xa01
	v_mul_f64_e32 v[188:189], v[174:175], v[12:13]
	v_mul_f64_e32 v[12:13], v[176:177], v[12:13]
	scratch_load_b128 v[162:165], off, off offset:560
	v_add_f64_e32 v[186:187], v[186:187], v[192:193]
	s_wait_loadcnt_dscnt 0xa00
	v_mul_f64_e32 v[192:193], v[4:5], v[132:133]
	v_add_f64_e32 v[196:197], v[184:185], v[182:183]
	v_mul_f64_e32 v[132:133], v[6:7], v[132:133]
	ds_load_b128 v[182:185], v2 offset:1344
	v_fmac_f64_e32 v[188:189], v[176:177], v[10:11]
	v_fma_f64 v[174:175], v[174:175], v[10:11], -v[12:13]
	scratch_load_b128 v[10:13], off, off offset:576
	v_add_f64_e32 v[186:187], v[186:187], v[190:191]
	v_fmac_f64_e32 v[192:193], v[6:7], v[130:131]
	v_add_f64_e32 v[176:177], v[196:197], v[194:195]
	v_fma_f64 v[194:195], v[4:5], v[130:131], -v[132:133]
	ds_load_b128 v[4:7], v2 offset:1360
	s_wait_loadcnt_dscnt 0xa01
	v_mul_f64_e32 v[190:191], v[182:183], v[136:137]
	v_mul_f64_e32 v[136:137], v[184:185], v[136:137]
	scratch_load_b128 v[130:133], off, off offset:592
	v_add_f64_e32 v[186:187], v[186:187], v[188:189]
	s_wait_loadcnt_dscnt 0xa00
	v_mul_f64_e32 v[188:189], v[4:5], v[140:141]
	v_add_f64_e32 v[196:197], v[176:177], v[174:175]
	v_mul_f64_e32 v[140:141], v[6:7], v[140:141]
	ds_load_b128 v[174:177], v2 offset:1376
	v_fmac_f64_e32 v[190:191], v[184:185], v[134:135]
	v_fma_f64 v[182:183], v[182:183], v[134:135], -v[136:137]
	scratch_load_b128 v[134:137], off, off offset:608
	v_add_f64_e32 v[186:187], v[186:187], v[192:193]
	v_fmac_f64_e32 v[188:189], v[6:7], v[138:139]
	v_add_f64_e32 v[184:185], v[196:197], v[194:195]
	;; [unrolled: 18-line block ×11, first 2 shown]
	v_fma_f64 v[194:195], v[4:5], v[166:167], -v[168:169]
	ds_load_b128 v[4:7], v2 offset:1680
	s_wait_loadcnt_dscnt 0xa01
	v_mul_f64_e32 v[192:193], v[182:183], v[180:181]
	v_mul_f64_e32 v[180:181], v[184:185], v[180:181]
	scratch_load_b128 v[166:169], off, off offset:912
	v_add_f64_e32 v[186:187], v[186:187], v[190:191]
	s_wait_loadcnt_dscnt 0xa00
	v_mul_f64_e32 v[190:191], v[4:5], v[164:165]
	v_add_f64_e32 v[196:197], v[176:177], v[174:175]
	v_mul_f64_e32 v[164:165], v[6:7], v[164:165]
	ds_load_b128 v[174:177], v2 offset:1696
	v_fmac_f64_e32 v[192:193], v[184:185], v[178:179]
	v_fma_f64 v[178:179], v[182:183], v[178:179], -v[180:181]
	s_wait_loadcnt_dscnt 0x900
	v_mul_f64_e32 v[184:185], v[174:175], v[12:13]
	v_mul_f64_e32 v[12:13], v[176:177], v[12:13]
	v_add_f64_e32 v[182:183], v[186:187], v[188:189]
	v_fmac_f64_e32 v[190:191], v[6:7], v[162:163]
	v_add_f64_e32 v[180:181], v[196:197], v[194:195]
	v_fma_f64 v[186:187], v[4:5], v[162:163], -v[164:165]
	ds_load_b128 v[4:7], v2 offset:1712
	ds_load_b128 v[162:165], v2 offset:1728
	v_fmac_f64_e32 v[184:185], v[176:177], v[10:11]
	v_fma_f64 v[10:11], v[174:175], v[10:11], -v[12:13]
	v_add_f64_e32 v[178:179], v[180:181], v[178:179]
	v_add_f64_e32 v[180:181], v[182:183], v[192:193]
	s_wait_loadcnt_dscnt 0x801
	v_mul_f64_e32 v[182:183], v[4:5], v[132:133]
	v_mul_f64_e32 v[132:133], v[6:7], v[132:133]
	s_wait_loadcnt_dscnt 0x700
	v_mul_f64_e32 v[176:177], v[162:163], v[136:137]
	v_mul_f64_e32 v[136:137], v[164:165], v[136:137]
	v_add_f64_e32 v[12:13], v[178:179], v[186:187]
	v_add_f64_e32 v[174:175], v[180:181], v[190:191]
	v_fmac_f64_e32 v[182:183], v[6:7], v[130:131]
	v_fma_f64 v[130:131], v[4:5], v[130:131], -v[132:133]
	v_fmac_f64_e32 v[176:177], v[164:165], v[134:135]
	v_fma_f64 v[134:135], v[162:163], v[134:135], -v[136:137]
	v_add_f64_e32 v[132:133], v[12:13], v[10:11]
	v_add_f64_e32 v[174:175], v[174:175], v[184:185]
	ds_load_b128 v[4:7], v2 offset:1744
	ds_load_b128 v[10:13], v2 offset:1760
	s_wait_loadcnt_dscnt 0x601
	v_mul_f64_e32 v[178:179], v[4:5], v[140:141]
	v_mul_f64_e32 v[140:141], v[6:7], v[140:141]
	s_wait_loadcnt_dscnt 0x500
	v_mul_f64_e32 v[136:137], v[10:11], v[144:145]
	v_mul_f64_e32 v[144:145], v[12:13], v[144:145]
	v_add_f64_e32 v[130:131], v[132:133], v[130:131]
	v_add_f64_e32 v[132:133], v[174:175], v[182:183]
	v_fmac_f64_e32 v[178:179], v[6:7], v[138:139]
	v_fma_f64 v[138:139], v[4:5], v[138:139], -v[140:141]
	v_fmac_f64_e32 v[136:137], v[12:13], v[142:143]
	v_fma_f64 v[10:11], v[10:11], v[142:143], -v[144:145]
	v_add_f64_e32 v[134:135], v[130:131], v[134:135]
	v_add_f64_e32 v[140:141], v[132:133], v[176:177]
	ds_load_b128 v[4:7], v2 offset:1776
	ds_load_b128 v[130:133], v2 offset:1792
	s_wait_loadcnt_dscnt 0x401
	v_mul_f64_e32 v[162:163], v[4:5], v[148:149]
	v_mul_f64_e32 v[148:149], v[6:7], v[148:149]
	v_add_f64_e32 v[12:13], v[134:135], v[138:139]
	v_add_f64_e32 v[134:135], v[140:141], v[178:179]
	s_wait_loadcnt_dscnt 0x300
	v_mul_f64_e32 v[138:139], v[130:131], v[152:153]
	v_mul_f64_e32 v[140:141], v[132:133], v[152:153]
	v_fmac_f64_e32 v[162:163], v[6:7], v[146:147]
	v_fma_f64 v[142:143], v[4:5], v[146:147], -v[148:149]
	v_add_f64_e32 v[144:145], v[12:13], v[10:11]
	v_add_f64_e32 v[134:135], v[134:135], v[136:137]
	ds_load_b128 v[4:7], v2 offset:1808
	ds_load_b128 v[10:13], v2 offset:1824
	v_fmac_f64_e32 v[138:139], v[132:133], v[150:151]
	v_fma_f64 v[130:131], v[130:131], v[150:151], -v[140:141]
	s_wait_loadcnt_dscnt 0x201
	v_mul_f64_e32 v[136:137], v[4:5], v[156:157]
	v_mul_f64_e32 v[146:147], v[6:7], v[156:157]
	s_wait_loadcnt_dscnt 0x100
	v_mul_f64_e32 v[140:141], v[10:11], v[160:161]
	v_add_f64_e32 v[132:133], v[144:145], v[142:143]
	v_add_f64_e32 v[134:135], v[134:135], v[162:163]
	v_mul_f64_e32 v[142:143], v[12:13], v[160:161]
	v_fmac_f64_e32 v[136:137], v[6:7], v[154:155]
	v_fma_f64 v[144:145], v[4:5], v[154:155], -v[146:147]
	ds_load_b128 v[4:7], v2 offset:1840
	v_fmac_f64_e32 v[140:141], v[12:13], v[158:159]
	v_add_f64_e32 v[130:131], v[132:133], v[130:131]
	v_add_f64_e32 v[132:133], v[134:135], v[138:139]
	v_fma_f64 v[10:11], v[10:11], v[158:159], -v[142:143]
	s_wait_loadcnt_dscnt 0x0
	v_mul_f64_e32 v[134:135], v[4:5], v[168:169]
	v_mul_f64_e32 v[138:139], v[6:7], v[168:169]
	v_add_f64_e32 v[12:13], v[130:131], v[144:145]
	v_add_f64_e32 v[130:131], v[132:133], v[136:137]
	s_delay_alu instid0(VALU_DEP_4) | instskip(NEXT) | instid1(VALU_DEP_4)
	v_fmac_f64_e32 v[134:135], v[6:7], v[166:167]
	v_fma_f64 v[4:5], v[4:5], v[166:167], -v[138:139]
	s_delay_alu instid0(VALU_DEP_4) | instskip(NEXT) | instid1(VALU_DEP_4)
	v_add_f64_e32 v[6:7], v[12:13], v[10:11]
	v_add_f64_e32 v[10:11], v[130:131], v[140:141]
	s_delay_alu instid0(VALU_DEP_2) | instskip(NEXT) | instid1(VALU_DEP_2)
	v_add_f64_e32 v[4:5], v[6:7], v[4:5]
	v_add_f64_e32 v[6:7], v[10:11], v[134:135]
	s_delay_alu instid0(VALU_DEP_2) | instskip(NEXT) | instid1(VALU_DEP_2)
	v_add_f64_e64 v[4:5], v[170:171], -v[4:5]
	v_add_f64_e64 v[6:7], v[172:173], -v[6:7]
	scratch_store_b128 off, v[4:7], off offset:160
	s_wait_xcnt 0x0
	v_cmpx_lt_u32_e32 9, v1
	s_cbranch_execz .LBB121_343
; %bb.342:
	scratch_load_b128 v[10:13], off, s65
	v_dual_mov_b32 v3, v2 :: v_dual_mov_b32 v4, v2
	v_mov_b32_e32 v5, v2
	scratch_store_b128 off, v[2:5], off offset:144
	s_wait_loadcnt 0x0
	ds_store_b128 v8, v[10:13]
.LBB121_343:
	s_wait_xcnt 0x0
	s_or_b32 exec_lo, exec_lo, s2
	s_wait_storecnt_dscnt 0x0
	s_barrier_signal -1
	s_barrier_wait -1
	s_clause 0x9
	scratch_load_b128 v[4:7], off, off offset:160
	scratch_load_b128 v[10:13], off, off offset:176
	;; [unrolled: 1-line block ×10, first 2 shown]
	ds_load_b128 v[162:165], v2 offset:1088
	ds_load_b128 v[170:173], v2 offset:1104
	s_clause 0x2
	scratch_load_b128 v[166:169], off, off offset:320
	scratch_load_b128 v[174:177], off, off offset:144
	;; [unrolled: 1-line block ×3, first 2 shown]
	s_mov_b32 s2, exec_lo
	s_wait_loadcnt_dscnt 0xc01
	v_mul_f64_e32 v[182:183], v[164:165], v[6:7]
	v_mul_f64_e32 v[186:187], v[162:163], v[6:7]
	s_wait_loadcnt_dscnt 0xb00
	v_mul_f64_e32 v[188:189], v[170:171], v[12:13]
	v_mul_f64_e32 v[12:13], v[172:173], v[12:13]
	s_delay_alu instid0(VALU_DEP_4) | instskip(NEXT) | instid1(VALU_DEP_4)
	v_fma_f64 v[190:191], v[162:163], v[4:5], -v[182:183]
	v_fmac_f64_e32 v[186:187], v[164:165], v[4:5]
	ds_load_b128 v[4:7], v2 offset:1120
	ds_load_b128 v[162:165], v2 offset:1136
	scratch_load_b128 v[182:185], off, off offset:352
	v_fmac_f64_e32 v[188:189], v[172:173], v[10:11]
	v_fma_f64 v[170:171], v[170:171], v[10:11], -v[12:13]
	scratch_load_b128 v[10:13], off, off offset:368
	s_wait_loadcnt_dscnt 0xc01
	v_mul_f64_e32 v[192:193], v[4:5], v[132:133]
	v_mul_f64_e32 v[132:133], v[6:7], v[132:133]
	v_add_f64_e32 v[172:173], 0, v[190:191]
	v_add_f64_e32 v[186:187], 0, v[186:187]
	s_wait_loadcnt_dscnt 0xb00
	v_mul_f64_e32 v[190:191], v[162:163], v[136:137]
	v_mul_f64_e32 v[136:137], v[164:165], v[136:137]
	v_fmac_f64_e32 v[192:193], v[6:7], v[130:131]
	v_fma_f64 v[194:195], v[4:5], v[130:131], -v[132:133]
	ds_load_b128 v[4:7], v2 offset:1152
	ds_load_b128 v[130:133], v2 offset:1168
	v_add_f64_e32 v[196:197], v[172:173], v[170:171]
	v_add_f64_e32 v[186:187], v[186:187], v[188:189]
	scratch_load_b128 v[170:173], off, off offset:384
	v_fmac_f64_e32 v[190:191], v[164:165], v[134:135]
	v_fma_f64 v[162:163], v[162:163], v[134:135], -v[136:137]
	scratch_load_b128 v[134:137], off, off offset:400
	s_wait_loadcnt_dscnt 0xc01
	v_mul_f64_e32 v[188:189], v[4:5], v[140:141]
	v_mul_f64_e32 v[140:141], v[6:7], v[140:141]
	v_add_f64_e32 v[164:165], v[196:197], v[194:195]
	v_add_f64_e32 v[186:187], v[186:187], v[192:193]
	s_wait_loadcnt_dscnt 0xb00
	v_mul_f64_e32 v[192:193], v[130:131], v[144:145]
	v_mul_f64_e32 v[144:145], v[132:133], v[144:145]
	v_fmac_f64_e32 v[188:189], v[6:7], v[138:139]
	v_fma_f64 v[194:195], v[4:5], v[138:139], -v[140:141]
	ds_load_b128 v[4:7], v2 offset:1184
	ds_load_b128 v[138:141], v2 offset:1200
	v_add_f64_e32 v[196:197], v[164:165], v[162:163]
	v_add_f64_e32 v[186:187], v[186:187], v[190:191]
	scratch_load_b128 v[162:165], off, off offset:416
	s_wait_loadcnt_dscnt 0xb01
	v_mul_f64_e32 v[190:191], v[4:5], v[148:149]
	v_mul_f64_e32 v[148:149], v[6:7], v[148:149]
	v_fmac_f64_e32 v[192:193], v[132:133], v[142:143]
	v_fma_f64 v[142:143], v[130:131], v[142:143], -v[144:145]
	scratch_load_b128 v[130:133], off, off offset:432
	v_add_f64_e32 v[144:145], v[196:197], v[194:195]
	v_add_f64_e32 v[186:187], v[186:187], v[188:189]
	s_wait_loadcnt_dscnt 0xb00
	v_mul_f64_e32 v[188:189], v[138:139], v[152:153]
	v_mul_f64_e32 v[152:153], v[140:141], v[152:153]
	v_fmac_f64_e32 v[190:191], v[6:7], v[146:147]
	v_fma_f64 v[194:195], v[4:5], v[146:147], -v[148:149]
	v_add_f64_e32 v[196:197], v[144:145], v[142:143]
	v_add_f64_e32 v[186:187], v[186:187], v[192:193]
	ds_load_b128 v[4:7], v2 offset:1216
	ds_load_b128 v[142:145], v2 offset:1232
	scratch_load_b128 v[146:149], off, off offset:448
	v_fmac_f64_e32 v[188:189], v[140:141], v[150:151]
	v_fma_f64 v[150:151], v[138:139], v[150:151], -v[152:153]
	scratch_load_b128 v[138:141], off, off offset:464
	s_wait_loadcnt_dscnt 0xc01
	v_mul_f64_e32 v[192:193], v[4:5], v[156:157]
	v_mul_f64_e32 v[156:157], v[6:7], v[156:157]
	v_add_f64_e32 v[152:153], v[196:197], v[194:195]
	v_add_f64_e32 v[186:187], v[186:187], v[190:191]
	s_wait_loadcnt_dscnt 0xb00
	v_mul_f64_e32 v[190:191], v[142:143], v[160:161]
	v_mul_f64_e32 v[160:161], v[144:145], v[160:161]
	v_fmac_f64_e32 v[192:193], v[6:7], v[154:155]
	v_fma_f64 v[194:195], v[4:5], v[154:155], -v[156:157]
	v_add_f64_e32 v[196:197], v[152:153], v[150:151]
	v_add_f64_e32 v[186:187], v[186:187], v[188:189]
	ds_load_b128 v[4:7], v2 offset:1248
	ds_load_b128 v[150:153], v2 offset:1264
	scratch_load_b128 v[154:157], off, off offset:480
	v_fmac_f64_e32 v[190:191], v[144:145], v[158:159]
	v_fma_f64 v[158:159], v[142:143], v[158:159], -v[160:161]
	scratch_load_b128 v[142:145], off, off offset:496
	s_wait_loadcnt_dscnt 0xc01
	v_mul_f64_e32 v[188:189], v[4:5], v[168:169]
	v_mul_f64_e32 v[168:169], v[6:7], v[168:169]
	v_add_f64_e32 v[160:161], v[196:197], v[194:195]
	v_add_f64_e32 v[186:187], v[186:187], v[192:193]
	s_wait_loadcnt_dscnt 0xa00
	v_mul_f64_e32 v[192:193], v[150:151], v[180:181]
	v_mul_f64_e32 v[180:181], v[152:153], v[180:181]
	v_fmac_f64_e32 v[188:189], v[6:7], v[166:167]
	v_fma_f64 v[194:195], v[4:5], v[166:167], -v[168:169]
	v_add_f64_e32 v[196:197], v[160:161], v[158:159]
	v_add_f64_e32 v[186:187], v[186:187], v[190:191]
	ds_load_b128 v[4:7], v2 offset:1280
	ds_load_b128 v[158:161], v2 offset:1296
	scratch_load_b128 v[166:169], off, off offset:512
	v_fmac_f64_e32 v[192:193], v[152:153], v[178:179]
	v_fma_f64 v[178:179], v[150:151], v[178:179], -v[180:181]
	scratch_load_b128 v[150:153], off, off offset:528
	s_wait_loadcnt_dscnt 0xb01
	v_mul_f64_e32 v[190:191], v[4:5], v[184:185]
	v_mul_f64_e32 v[184:185], v[6:7], v[184:185]
	v_add_f64_e32 v[180:181], v[196:197], v[194:195]
	v_add_f64_e32 v[186:187], v[186:187], v[188:189]
	s_wait_loadcnt_dscnt 0xa00
	v_mul_f64_e32 v[188:189], v[158:159], v[12:13]
	v_mul_f64_e32 v[12:13], v[160:161], v[12:13]
	v_fmac_f64_e32 v[190:191], v[6:7], v[182:183]
	v_fma_f64 v[194:195], v[4:5], v[182:183], -v[184:185]
	v_add_f64_e32 v[196:197], v[180:181], v[178:179]
	v_add_f64_e32 v[186:187], v[186:187], v[192:193]
	ds_load_b128 v[4:7], v2 offset:1312
	ds_load_b128 v[178:181], v2 offset:1328
	scratch_load_b128 v[182:185], off, off offset:544
	v_fmac_f64_e32 v[188:189], v[160:161], v[10:11]
	v_fma_f64 v[158:159], v[158:159], v[10:11], -v[12:13]
	scratch_load_b128 v[10:13], off, off offset:560
	s_wait_loadcnt_dscnt 0xb01
	v_mul_f64_e32 v[192:193], v[4:5], v[172:173]
	v_mul_f64_e32 v[172:173], v[6:7], v[172:173]
	v_add_f64_e32 v[160:161], v[196:197], v[194:195]
	v_add_f64_e32 v[186:187], v[186:187], v[190:191]
	s_wait_loadcnt_dscnt 0xa00
	v_mul_f64_e32 v[190:191], v[178:179], v[136:137]
	v_mul_f64_e32 v[136:137], v[180:181], v[136:137]
	v_fmac_f64_e32 v[192:193], v[6:7], v[170:171]
	v_fma_f64 v[194:195], v[4:5], v[170:171], -v[172:173]
	v_add_f64_e32 v[196:197], v[160:161], v[158:159]
	v_add_f64_e32 v[186:187], v[186:187], v[188:189]
	ds_load_b128 v[4:7], v2 offset:1344
	ds_load_b128 v[158:161], v2 offset:1360
	scratch_load_b128 v[170:173], off, off offset:576
	v_fmac_f64_e32 v[190:191], v[180:181], v[134:135]
	v_fma_f64 v[178:179], v[178:179], v[134:135], -v[136:137]
	scratch_load_b128 v[134:137], off, off offset:592
	s_wait_loadcnt_dscnt 0xb01
	v_mul_f64_e32 v[188:189], v[4:5], v[164:165]
	v_mul_f64_e32 v[164:165], v[6:7], v[164:165]
	v_add_f64_e32 v[180:181], v[196:197], v[194:195]
	v_add_f64_e32 v[186:187], v[186:187], v[192:193]
	s_wait_loadcnt_dscnt 0xa00
	v_mul_f64_e32 v[192:193], v[158:159], v[132:133]
	v_mul_f64_e32 v[132:133], v[160:161], v[132:133]
	v_fmac_f64_e32 v[188:189], v[6:7], v[162:163]
	v_fma_f64 v[194:195], v[4:5], v[162:163], -v[164:165]
	ds_load_b128 v[4:7], v2 offset:1376
	ds_load_b128 v[162:165], v2 offset:1392
	v_add_f64_e32 v[196:197], v[180:181], v[178:179]
	v_add_f64_e32 v[186:187], v[186:187], v[190:191]
	scratch_load_b128 v[178:181], off, off offset:608
	v_fmac_f64_e32 v[192:193], v[160:161], v[130:131]
	v_fma_f64 v[158:159], v[158:159], v[130:131], -v[132:133]
	scratch_load_b128 v[130:133], off, off offset:624
	s_wait_loadcnt_dscnt 0xb01
	v_mul_f64_e32 v[190:191], v[4:5], v[148:149]
	v_mul_f64_e32 v[148:149], v[6:7], v[148:149]
	v_add_f64_e32 v[160:161], v[196:197], v[194:195]
	v_add_f64_e32 v[186:187], v[186:187], v[188:189]
	s_wait_loadcnt_dscnt 0xa00
	v_mul_f64_e32 v[188:189], v[162:163], v[140:141]
	v_mul_f64_e32 v[140:141], v[164:165], v[140:141]
	v_fmac_f64_e32 v[190:191], v[6:7], v[146:147]
	v_fma_f64 v[194:195], v[4:5], v[146:147], -v[148:149]
	ds_load_b128 v[4:7], v2 offset:1408
	ds_load_b128 v[146:149], v2 offset:1424
	v_add_f64_e32 v[196:197], v[160:161], v[158:159]
	v_add_f64_e32 v[186:187], v[186:187], v[192:193]
	scratch_load_b128 v[158:161], off, off offset:640
	s_wait_loadcnt_dscnt 0xa01
	v_mul_f64_e32 v[192:193], v[4:5], v[156:157]
	v_mul_f64_e32 v[156:157], v[6:7], v[156:157]
	v_fmac_f64_e32 v[188:189], v[164:165], v[138:139]
	v_fma_f64 v[162:163], v[162:163], v[138:139], -v[140:141]
	scratch_load_b128 v[138:141], off, off offset:656
	v_add_f64_e32 v[164:165], v[196:197], v[194:195]
	v_add_f64_e32 v[186:187], v[186:187], v[190:191]
	s_wait_loadcnt_dscnt 0xa00
	v_mul_f64_e32 v[190:191], v[146:147], v[144:145]
	v_mul_f64_e32 v[144:145], v[148:149], v[144:145]
	v_fmac_f64_e32 v[192:193], v[6:7], v[154:155]
	v_fma_f64 v[194:195], v[4:5], v[154:155], -v[156:157]
	ds_load_b128 v[4:7], v2 offset:1440
	ds_load_b128 v[154:157], v2 offset:1456
	v_add_f64_e32 v[196:197], v[164:165], v[162:163]
	v_add_f64_e32 v[186:187], v[186:187], v[188:189]
	scratch_load_b128 v[162:165], off, off offset:672
	s_wait_loadcnt_dscnt 0xa01
	v_mul_f64_e32 v[188:189], v[4:5], v[168:169]
	v_mul_f64_e32 v[168:169], v[6:7], v[168:169]
	v_fmac_f64_e32 v[190:191], v[148:149], v[142:143]
	v_fma_f64 v[146:147], v[146:147], v[142:143], -v[144:145]
	scratch_load_b128 v[142:145], off, off offset:688
	v_add_f64_e32 v[148:149], v[196:197], v[194:195]
	v_add_f64_e32 v[186:187], v[186:187], v[192:193]
	s_wait_loadcnt_dscnt 0xa00
	v_mul_f64_e32 v[192:193], v[154:155], v[152:153]
	v_mul_f64_e32 v[152:153], v[156:157], v[152:153]
	v_fmac_f64_e32 v[188:189], v[6:7], v[166:167]
	v_fma_f64 v[194:195], v[4:5], v[166:167], -v[168:169]
	v_add_f64_e32 v[196:197], v[148:149], v[146:147]
	v_add_f64_e32 v[186:187], v[186:187], v[190:191]
	ds_load_b128 v[4:7], v2 offset:1472
	ds_load_b128 v[146:149], v2 offset:1488
	scratch_load_b128 v[166:169], off, off offset:704
	v_fmac_f64_e32 v[192:193], v[156:157], v[150:151]
	v_fma_f64 v[154:155], v[154:155], v[150:151], -v[152:153]
	scratch_load_b128 v[150:153], off, off offset:720
	s_wait_loadcnt_dscnt 0xb01
	v_mul_f64_e32 v[190:191], v[4:5], v[184:185]
	v_mul_f64_e32 v[184:185], v[6:7], v[184:185]
	v_add_f64_e32 v[156:157], v[196:197], v[194:195]
	v_add_f64_e32 v[186:187], v[186:187], v[188:189]
	s_wait_loadcnt_dscnt 0xa00
	v_mul_f64_e32 v[188:189], v[146:147], v[12:13]
	v_mul_f64_e32 v[12:13], v[148:149], v[12:13]
	v_fmac_f64_e32 v[190:191], v[6:7], v[182:183]
	v_fma_f64 v[194:195], v[4:5], v[182:183], -v[184:185]
	v_add_f64_e32 v[196:197], v[156:157], v[154:155]
	v_add_f64_e32 v[186:187], v[186:187], v[192:193]
	ds_load_b128 v[4:7], v2 offset:1504
	ds_load_b128 v[154:157], v2 offset:1520
	scratch_load_b128 v[182:185], off, off offset:736
	v_fmac_f64_e32 v[188:189], v[148:149], v[10:11]
	v_fma_f64 v[146:147], v[146:147], v[10:11], -v[12:13]
	scratch_load_b128 v[10:13], off, off offset:752
	s_wait_loadcnt_dscnt 0xb01
	v_mul_f64_e32 v[192:193], v[4:5], v[172:173]
	v_mul_f64_e32 v[172:173], v[6:7], v[172:173]
	;; [unrolled: 18-line block ×7, first 2 shown]
	v_add_f64_e32 v[156:157], v[196:197], v[194:195]
	v_add_f64_e32 v[186:187], v[186:187], v[188:189]
	s_wait_loadcnt_dscnt 0xa00
	v_mul_f64_e32 v[188:189], v[146:147], v[12:13]
	v_mul_f64_e32 v[12:13], v[148:149], v[12:13]
	v_fmac_f64_e32 v[190:191], v[6:7], v[182:183]
	v_fma_f64 v[182:183], v[4:5], v[182:183], -v[184:185]
	v_add_f64_e32 v[184:185], v[156:157], v[154:155]
	v_add_f64_e32 v[186:187], v[186:187], v[192:193]
	ds_load_b128 v[4:7], v2 offset:1696
	ds_load_b128 v[154:157], v2 offset:1712
	v_fmac_f64_e32 v[188:189], v[148:149], v[10:11]
	v_fma_f64 v[10:11], v[146:147], v[10:11], -v[12:13]
	s_wait_loadcnt_dscnt 0x901
	v_mul_f64_e32 v[192:193], v[4:5], v[172:173]
	v_mul_f64_e32 v[172:173], v[6:7], v[172:173]
	s_wait_loadcnt_dscnt 0x800
	v_mul_f64_e32 v[148:149], v[154:155], v[136:137]
	v_mul_f64_e32 v[136:137], v[156:157], v[136:137]
	v_add_f64_e32 v[12:13], v[184:185], v[182:183]
	v_add_f64_e32 v[146:147], v[186:187], v[190:191]
	v_fmac_f64_e32 v[192:193], v[6:7], v[170:171]
	v_fma_f64 v[170:171], v[4:5], v[170:171], -v[172:173]
	v_fmac_f64_e32 v[148:149], v[156:157], v[134:135]
	v_fma_f64 v[134:135], v[154:155], v[134:135], -v[136:137]
	v_add_f64_e32 v[172:173], v[12:13], v[10:11]
	v_add_f64_e32 v[146:147], v[146:147], v[188:189]
	ds_load_b128 v[4:7], v2 offset:1728
	ds_load_b128 v[10:13], v2 offset:1744
	s_wait_loadcnt_dscnt 0x701
	v_mul_f64_e32 v[182:183], v[4:5], v[180:181]
	v_mul_f64_e32 v[180:181], v[6:7], v[180:181]
	s_wait_loadcnt_dscnt 0x600
	v_mul_f64_e32 v[154:155], v[10:11], v[132:133]
	v_mul_f64_e32 v[156:157], v[12:13], v[132:133]
	v_add_f64_e32 v[136:137], v[172:173], v[170:171]
	v_add_f64_e32 v[146:147], v[146:147], v[192:193]
	v_fmac_f64_e32 v[182:183], v[6:7], v[178:179]
	v_fma_f64 v[170:171], v[4:5], v[178:179], -v[180:181]
	v_fmac_f64_e32 v[154:155], v[12:13], v[130:131]
	v_fma_f64 v[10:11], v[10:11], v[130:131], -v[156:157]
	v_add_f64_e32 v[136:137], v[136:137], v[134:135]
	v_add_f64_e32 v[146:147], v[146:147], v[148:149]
	ds_load_b128 v[4:7], v2 offset:1760
	ds_load_b128 v[132:135], v2 offset:1776
	s_wait_loadcnt_dscnt 0x501
	v_mul_f64_e32 v[148:149], v[4:5], v[160:161]
	v_mul_f64_e32 v[160:161], v[6:7], v[160:161]
	v_add_f64_e32 v[12:13], v[136:137], v[170:171]
	v_add_f64_e32 v[130:131], v[146:147], v[182:183]
	s_wait_loadcnt_dscnt 0x400
	v_mul_f64_e32 v[136:137], v[132:133], v[140:141]
	v_mul_f64_e32 v[140:141], v[134:135], v[140:141]
	v_fmac_f64_e32 v[148:149], v[6:7], v[158:159]
	v_fma_f64 v[146:147], v[4:5], v[158:159], -v[160:161]
	v_add_f64_e32 v[156:157], v[12:13], v[10:11]
	v_add_f64_e32 v[130:131], v[130:131], v[154:155]
	ds_load_b128 v[4:7], v2 offset:1792
	ds_load_b128 v[10:13], v2 offset:1808
	v_fmac_f64_e32 v[136:137], v[134:135], v[138:139]
	v_fma_f64 v[132:133], v[132:133], v[138:139], -v[140:141]
	s_wait_loadcnt_dscnt 0x301
	v_mul_f64_e32 v[154:155], v[4:5], v[164:165]
	v_mul_f64_e32 v[158:159], v[6:7], v[164:165]
	s_wait_loadcnt_dscnt 0x200
	v_mul_f64_e32 v[138:139], v[10:11], v[144:145]
	v_mul_f64_e32 v[140:141], v[12:13], v[144:145]
	v_add_f64_e32 v[134:135], v[156:157], v[146:147]
	v_add_f64_e32 v[130:131], v[130:131], v[148:149]
	v_fmac_f64_e32 v[154:155], v[6:7], v[162:163]
	v_fma_f64 v[144:145], v[4:5], v[162:163], -v[158:159]
	v_fmac_f64_e32 v[138:139], v[12:13], v[142:143]
	v_fma_f64 v[10:11], v[10:11], v[142:143], -v[140:141]
	v_add_f64_e32 v[134:135], v[134:135], v[132:133]
	v_add_f64_e32 v[136:137], v[130:131], v[136:137]
	ds_load_b128 v[4:7], v2 offset:1824
	ds_load_b128 v[130:133], v2 offset:1840
	s_wait_loadcnt_dscnt 0x101
	v_mul_f64_e32 v[2:3], v[4:5], v[168:169]
	v_mul_f64_e32 v[146:147], v[6:7], v[168:169]
	s_wait_loadcnt_dscnt 0x0
	v_mul_f64_e32 v[140:141], v[132:133], v[152:153]
	v_add_f64_e32 v[12:13], v[134:135], v[144:145]
	v_add_f64_e32 v[134:135], v[136:137], v[154:155]
	v_mul_f64_e32 v[136:137], v[130:131], v[152:153]
	v_fmac_f64_e32 v[2:3], v[6:7], v[166:167]
	v_fma_f64 v[4:5], v[4:5], v[166:167], -v[146:147]
	v_add_f64_e32 v[6:7], v[12:13], v[10:11]
	v_add_f64_e32 v[10:11], v[134:135], v[138:139]
	v_fmac_f64_e32 v[136:137], v[132:133], v[150:151]
	v_fma_f64 v[12:13], v[130:131], v[150:151], -v[140:141]
	s_delay_alu instid0(VALU_DEP_4) | instskip(NEXT) | instid1(VALU_DEP_4)
	v_add_f64_e32 v[4:5], v[6:7], v[4:5]
	v_add_f64_e32 v[2:3], v[10:11], v[2:3]
	s_delay_alu instid0(VALU_DEP_2) | instskip(NEXT) | instid1(VALU_DEP_2)
	v_add_f64_e32 v[4:5], v[4:5], v[12:13]
	v_add_f64_e32 v[6:7], v[2:3], v[136:137]
	s_delay_alu instid0(VALU_DEP_2) | instskip(NEXT) | instid1(VALU_DEP_2)
	v_add_f64_e64 v[2:3], v[174:175], -v[4:5]
	v_add_f64_e64 v[4:5], v[176:177], -v[6:7]
	scratch_store_b128 off, v[2:5], off offset:144
	s_wait_xcnt 0x0
	v_cmpx_lt_u32_e32 8, v1
	s_cbranch_execz .LBB121_345
; %bb.344:
	scratch_load_b128 v[2:5], off, s66
	v_mov_b32_e32 v10, 0
	s_delay_alu instid0(VALU_DEP_1)
	v_dual_mov_b32 v11, v10 :: v_dual_mov_b32 v12, v10
	v_mov_b32_e32 v13, v10
	scratch_store_b128 off, v[10:13], off offset:128
	s_wait_loadcnt 0x0
	ds_store_b128 v8, v[2:5]
.LBB121_345:
	s_wait_xcnt 0x0
	s_or_b32 exec_lo, exec_lo, s2
	s_wait_storecnt_dscnt 0x0
	s_barrier_signal -1
	s_barrier_wait -1
	s_clause 0x9
	scratch_load_b128 v[4:7], off, off offset:144
	scratch_load_b128 v[10:13], off, off offset:160
	;; [unrolled: 1-line block ×10, first 2 shown]
	v_mov_b32_e32 v2, 0
	s_mov_b32 s2, exec_lo
	ds_load_b128 v[162:165], v2 offset:1072
	s_clause 0x2
	scratch_load_b128 v[166:169], off, off offset:304
	scratch_load_b128 v[170:173], off, off offset:128
	;; [unrolled: 1-line block ×3, first 2 shown]
	s_wait_loadcnt_dscnt 0xc00
	v_mul_f64_e32 v[182:183], v[164:165], v[6:7]
	v_mul_f64_e32 v[186:187], v[162:163], v[6:7]
	ds_load_b128 v[174:177], v2 offset:1088
	v_fma_f64 v[190:191], v[162:163], v[4:5], -v[182:183]
	v_fmac_f64_e32 v[186:187], v[164:165], v[4:5]
	ds_load_b128 v[4:7], v2 offset:1104
	s_wait_loadcnt_dscnt 0xb01
	v_mul_f64_e32 v[188:189], v[174:175], v[12:13]
	v_mul_f64_e32 v[12:13], v[176:177], v[12:13]
	scratch_load_b128 v[162:165], off, off offset:336
	ds_load_b128 v[182:185], v2 offset:1120
	s_wait_loadcnt_dscnt 0xb01
	v_mul_f64_e32 v[192:193], v[4:5], v[132:133]
	v_mul_f64_e32 v[132:133], v[6:7], v[132:133]
	v_add_f64_e32 v[186:187], 0, v[186:187]
	v_fmac_f64_e32 v[188:189], v[176:177], v[10:11]
	v_fma_f64 v[174:175], v[174:175], v[10:11], -v[12:13]
	v_add_f64_e32 v[176:177], 0, v[190:191]
	scratch_load_b128 v[10:13], off, off offset:352
	v_fmac_f64_e32 v[192:193], v[6:7], v[130:131]
	v_fma_f64 v[194:195], v[4:5], v[130:131], -v[132:133]
	ds_load_b128 v[4:7], v2 offset:1136
	s_wait_loadcnt_dscnt 0xb01
	v_mul_f64_e32 v[190:191], v[182:183], v[136:137]
	v_mul_f64_e32 v[136:137], v[184:185], v[136:137]
	scratch_load_b128 v[130:133], off, off offset:368
	v_add_f64_e32 v[186:187], v[186:187], v[188:189]
	v_add_f64_e32 v[196:197], v[176:177], v[174:175]
	ds_load_b128 v[174:177], v2 offset:1152
	s_wait_loadcnt_dscnt 0xb01
	v_mul_f64_e32 v[188:189], v[4:5], v[140:141]
	v_mul_f64_e32 v[140:141], v[6:7], v[140:141]
	v_fmac_f64_e32 v[190:191], v[184:185], v[134:135]
	v_fma_f64 v[182:183], v[182:183], v[134:135], -v[136:137]
	scratch_load_b128 v[134:137], off, off offset:384
	v_add_f64_e32 v[186:187], v[186:187], v[192:193]
	v_add_f64_e32 v[184:185], v[196:197], v[194:195]
	v_fmac_f64_e32 v[188:189], v[6:7], v[138:139]
	v_fma_f64 v[194:195], v[4:5], v[138:139], -v[140:141]
	ds_load_b128 v[4:7], v2 offset:1168
	s_wait_loadcnt_dscnt 0xb01
	v_mul_f64_e32 v[192:193], v[174:175], v[144:145]
	v_mul_f64_e32 v[144:145], v[176:177], v[144:145]
	scratch_load_b128 v[138:141], off, off offset:400
	v_add_f64_e32 v[186:187], v[186:187], v[190:191]
	s_wait_loadcnt_dscnt 0xb00
	v_mul_f64_e32 v[190:191], v[4:5], v[148:149]
	v_add_f64_e32 v[196:197], v[184:185], v[182:183]
	v_mul_f64_e32 v[148:149], v[6:7], v[148:149]
	ds_load_b128 v[182:185], v2 offset:1184
	v_fmac_f64_e32 v[192:193], v[176:177], v[142:143]
	v_fma_f64 v[174:175], v[174:175], v[142:143], -v[144:145]
	scratch_load_b128 v[142:145], off, off offset:416
	v_add_f64_e32 v[186:187], v[186:187], v[188:189]
	v_fmac_f64_e32 v[190:191], v[6:7], v[146:147]
	v_add_f64_e32 v[176:177], v[196:197], v[194:195]
	v_fma_f64 v[194:195], v[4:5], v[146:147], -v[148:149]
	ds_load_b128 v[4:7], v2 offset:1200
	s_wait_loadcnt_dscnt 0xb01
	v_mul_f64_e32 v[188:189], v[182:183], v[152:153]
	v_mul_f64_e32 v[152:153], v[184:185], v[152:153]
	scratch_load_b128 v[146:149], off, off offset:432
	v_add_f64_e32 v[186:187], v[186:187], v[192:193]
	s_wait_loadcnt_dscnt 0xb00
	v_mul_f64_e32 v[192:193], v[4:5], v[156:157]
	v_add_f64_e32 v[196:197], v[176:177], v[174:175]
	v_mul_f64_e32 v[156:157], v[6:7], v[156:157]
	ds_load_b128 v[174:177], v2 offset:1216
	v_fmac_f64_e32 v[188:189], v[184:185], v[150:151]
	v_fma_f64 v[182:183], v[182:183], v[150:151], -v[152:153]
	scratch_load_b128 v[150:153], off, off offset:448
	v_add_f64_e32 v[186:187], v[186:187], v[190:191]
	v_fmac_f64_e32 v[192:193], v[6:7], v[154:155]
	v_add_f64_e32 v[184:185], v[196:197], v[194:195]
	;; [unrolled: 18-line block ×3, first 2 shown]
	v_fma_f64 v[194:195], v[4:5], v[166:167], -v[168:169]
	ds_load_b128 v[4:7], v2 offset:1264
	s_wait_loadcnt_dscnt 0xa01
	v_mul_f64_e32 v[192:193], v[182:183], v[180:181]
	v_mul_f64_e32 v[180:181], v[184:185], v[180:181]
	scratch_load_b128 v[166:169], off, off offset:496
	v_add_f64_e32 v[186:187], v[186:187], v[190:191]
	v_add_f64_e32 v[196:197], v[176:177], v[174:175]
	s_wait_loadcnt_dscnt 0xa00
	v_mul_f64_e32 v[190:191], v[4:5], v[164:165]
	v_mul_f64_e32 v[164:165], v[6:7], v[164:165]
	v_fmac_f64_e32 v[192:193], v[184:185], v[178:179]
	v_fma_f64 v[182:183], v[182:183], v[178:179], -v[180:181]
	ds_load_b128 v[174:177], v2 offset:1280
	scratch_load_b128 v[178:181], off, off offset:512
	v_add_f64_e32 v[186:187], v[186:187], v[188:189]
	v_add_f64_e32 v[184:185], v[196:197], v[194:195]
	v_fmac_f64_e32 v[190:191], v[6:7], v[162:163]
	v_fma_f64 v[194:195], v[4:5], v[162:163], -v[164:165]
	ds_load_b128 v[4:7], v2 offset:1296
	s_wait_loadcnt_dscnt 0xa01
	v_mul_f64_e32 v[188:189], v[174:175], v[12:13]
	v_mul_f64_e32 v[12:13], v[176:177], v[12:13]
	scratch_load_b128 v[162:165], off, off offset:528
	v_add_f64_e32 v[186:187], v[186:187], v[192:193]
	s_wait_loadcnt_dscnt 0xa00
	v_mul_f64_e32 v[192:193], v[4:5], v[132:133]
	v_add_f64_e32 v[196:197], v[184:185], v[182:183]
	v_mul_f64_e32 v[132:133], v[6:7], v[132:133]
	ds_load_b128 v[182:185], v2 offset:1312
	v_fmac_f64_e32 v[188:189], v[176:177], v[10:11]
	v_fma_f64 v[174:175], v[174:175], v[10:11], -v[12:13]
	scratch_load_b128 v[10:13], off, off offset:544
	v_add_f64_e32 v[186:187], v[186:187], v[190:191]
	v_fmac_f64_e32 v[192:193], v[6:7], v[130:131]
	v_add_f64_e32 v[176:177], v[196:197], v[194:195]
	v_fma_f64 v[194:195], v[4:5], v[130:131], -v[132:133]
	ds_load_b128 v[4:7], v2 offset:1328
	s_wait_loadcnt_dscnt 0xa01
	v_mul_f64_e32 v[190:191], v[182:183], v[136:137]
	v_mul_f64_e32 v[136:137], v[184:185], v[136:137]
	scratch_load_b128 v[130:133], off, off offset:560
	v_add_f64_e32 v[186:187], v[186:187], v[188:189]
	s_wait_loadcnt_dscnt 0xa00
	v_mul_f64_e32 v[188:189], v[4:5], v[140:141]
	v_add_f64_e32 v[196:197], v[176:177], v[174:175]
	v_mul_f64_e32 v[140:141], v[6:7], v[140:141]
	ds_load_b128 v[174:177], v2 offset:1344
	v_fmac_f64_e32 v[190:191], v[184:185], v[134:135]
	v_fma_f64 v[182:183], v[182:183], v[134:135], -v[136:137]
	scratch_load_b128 v[134:137], off, off offset:576
	v_add_f64_e32 v[186:187], v[186:187], v[192:193]
	v_fmac_f64_e32 v[188:189], v[6:7], v[138:139]
	v_add_f64_e32 v[184:185], v[196:197], v[194:195]
	;; [unrolled: 18-line block ×12, first 2 shown]
	v_fma_f64 v[194:195], v[4:5], v[162:163], -v[164:165]
	ds_load_b128 v[4:7], v2 offset:1680
	s_wait_loadcnt_dscnt 0xa01
	v_mul_f64_e32 v[188:189], v[174:175], v[12:13]
	v_mul_f64_e32 v[12:13], v[176:177], v[12:13]
	scratch_load_b128 v[162:165], off, off offset:912
	v_add_f64_e32 v[186:187], v[186:187], v[192:193]
	s_wait_loadcnt_dscnt 0xa00
	v_mul_f64_e32 v[192:193], v[4:5], v[132:133]
	v_add_f64_e32 v[196:197], v[184:185], v[182:183]
	v_mul_f64_e32 v[132:133], v[6:7], v[132:133]
	ds_load_b128 v[182:185], v2 offset:1696
	v_fmac_f64_e32 v[188:189], v[176:177], v[10:11]
	v_fma_f64 v[10:11], v[174:175], v[10:11], -v[12:13]
	s_wait_loadcnt_dscnt 0x900
	v_mul_f64_e32 v[176:177], v[182:183], v[136:137]
	v_mul_f64_e32 v[136:137], v[184:185], v[136:137]
	v_add_f64_e32 v[174:175], v[186:187], v[190:191]
	v_fmac_f64_e32 v[192:193], v[6:7], v[130:131]
	v_add_f64_e32 v[12:13], v[196:197], v[194:195]
	v_fma_f64 v[130:131], v[4:5], v[130:131], -v[132:133]
	v_fmac_f64_e32 v[176:177], v[184:185], v[134:135]
	v_fma_f64 v[134:135], v[182:183], v[134:135], -v[136:137]
	v_add_f64_e32 v[174:175], v[174:175], v[188:189]
	v_add_f64_e32 v[132:133], v[12:13], v[10:11]
	ds_load_b128 v[4:7], v2 offset:1712
	ds_load_b128 v[10:13], v2 offset:1728
	s_wait_loadcnt_dscnt 0x801
	v_mul_f64_e32 v[186:187], v[4:5], v[140:141]
	v_mul_f64_e32 v[140:141], v[6:7], v[140:141]
	s_wait_loadcnt_dscnt 0x700
	v_mul_f64_e32 v[136:137], v[10:11], v[144:145]
	v_mul_f64_e32 v[144:145], v[12:13], v[144:145]
	v_add_f64_e32 v[130:131], v[132:133], v[130:131]
	v_add_f64_e32 v[132:133], v[174:175], v[192:193]
	v_fmac_f64_e32 v[186:187], v[6:7], v[138:139]
	v_fma_f64 v[138:139], v[4:5], v[138:139], -v[140:141]
	v_fmac_f64_e32 v[136:137], v[12:13], v[142:143]
	v_fma_f64 v[10:11], v[10:11], v[142:143], -v[144:145]
	v_add_f64_e32 v[134:135], v[130:131], v[134:135]
	v_add_f64_e32 v[140:141], v[132:133], v[176:177]
	ds_load_b128 v[4:7], v2 offset:1744
	ds_load_b128 v[130:133], v2 offset:1760
	s_wait_loadcnt_dscnt 0x601
	v_mul_f64_e32 v[174:175], v[4:5], v[148:149]
	v_mul_f64_e32 v[148:149], v[6:7], v[148:149]
	v_add_f64_e32 v[12:13], v[134:135], v[138:139]
	v_add_f64_e32 v[134:135], v[140:141], v[186:187]
	s_wait_loadcnt_dscnt 0x500
	v_mul_f64_e32 v[138:139], v[130:131], v[152:153]
	v_mul_f64_e32 v[140:141], v[132:133], v[152:153]
	v_fmac_f64_e32 v[174:175], v[6:7], v[146:147]
	v_fma_f64 v[142:143], v[4:5], v[146:147], -v[148:149]
	v_add_f64_e32 v[144:145], v[12:13], v[10:11]
	v_add_f64_e32 v[134:135], v[134:135], v[136:137]
	ds_load_b128 v[4:7], v2 offset:1776
	ds_load_b128 v[10:13], v2 offset:1792
	v_fmac_f64_e32 v[138:139], v[132:133], v[150:151]
	v_fma_f64 v[130:131], v[130:131], v[150:151], -v[140:141]
	s_wait_loadcnt_dscnt 0x401
	v_mul_f64_e32 v[136:137], v[4:5], v[156:157]
	v_mul_f64_e32 v[146:147], v[6:7], v[156:157]
	s_wait_loadcnt_dscnt 0x300
	v_mul_f64_e32 v[140:141], v[10:11], v[160:161]
	v_add_f64_e32 v[132:133], v[144:145], v[142:143]
	v_add_f64_e32 v[134:135], v[134:135], v[174:175]
	v_mul_f64_e32 v[142:143], v[12:13], v[160:161]
	v_fmac_f64_e32 v[136:137], v[6:7], v[154:155]
	v_fma_f64 v[144:145], v[4:5], v[154:155], -v[146:147]
	v_fmac_f64_e32 v[140:141], v[12:13], v[158:159]
	v_add_f64_e32 v[146:147], v[132:133], v[130:131]
	v_add_f64_e32 v[134:135], v[134:135], v[138:139]
	ds_load_b128 v[4:7], v2 offset:1808
	ds_load_b128 v[130:133], v2 offset:1824
	v_fma_f64 v[10:11], v[10:11], v[158:159], -v[142:143]
	s_wait_loadcnt_dscnt 0x201
	v_mul_f64_e32 v[138:139], v[4:5], v[168:169]
	v_mul_f64_e32 v[148:149], v[6:7], v[168:169]
	s_wait_loadcnt_dscnt 0x100
	v_mul_f64_e32 v[142:143], v[132:133], v[180:181]
	v_add_f64_e32 v[12:13], v[146:147], v[144:145]
	v_add_f64_e32 v[134:135], v[134:135], v[136:137]
	v_mul_f64_e32 v[136:137], v[130:131], v[180:181]
	v_fmac_f64_e32 v[138:139], v[6:7], v[166:167]
	v_fma_f64 v[144:145], v[4:5], v[166:167], -v[148:149]
	ds_load_b128 v[4:7], v2 offset:1840
	v_fma_f64 v[130:131], v[130:131], v[178:179], -v[142:143]
	v_add_f64_e32 v[10:11], v[12:13], v[10:11]
	v_add_f64_e32 v[12:13], v[134:135], v[140:141]
	v_fmac_f64_e32 v[136:137], v[132:133], v[178:179]
	s_wait_loadcnt_dscnt 0x0
	v_mul_f64_e32 v[134:135], v[4:5], v[164:165]
	v_mul_f64_e32 v[140:141], v[6:7], v[164:165]
	v_add_f64_e32 v[10:11], v[10:11], v[144:145]
	v_add_f64_e32 v[12:13], v[12:13], v[138:139]
	s_delay_alu instid0(VALU_DEP_4) | instskip(NEXT) | instid1(VALU_DEP_4)
	v_fmac_f64_e32 v[134:135], v[6:7], v[162:163]
	v_fma_f64 v[4:5], v[4:5], v[162:163], -v[140:141]
	s_delay_alu instid0(VALU_DEP_4) | instskip(NEXT) | instid1(VALU_DEP_4)
	v_add_f64_e32 v[6:7], v[10:11], v[130:131]
	v_add_f64_e32 v[10:11], v[12:13], v[136:137]
	s_delay_alu instid0(VALU_DEP_2) | instskip(NEXT) | instid1(VALU_DEP_2)
	v_add_f64_e32 v[4:5], v[6:7], v[4:5]
	v_add_f64_e32 v[6:7], v[10:11], v[134:135]
	s_delay_alu instid0(VALU_DEP_2) | instskip(NEXT) | instid1(VALU_DEP_2)
	v_add_f64_e64 v[4:5], v[170:171], -v[4:5]
	v_add_f64_e64 v[6:7], v[172:173], -v[6:7]
	scratch_store_b128 off, v[4:7], off offset:128
	s_wait_xcnt 0x0
	v_cmpx_lt_u32_e32 7, v1
	s_cbranch_execz .LBB121_347
; %bb.346:
	scratch_load_b128 v[10:13], off, s67
	v_dual_mov_b32 v3, v2 :: v_dual_mov_b32 v4, v2
	v_mov_b32_e32 v5, v2
	scratch_store_b128 off, v[2:5], off offset:112
	s_wait_loadcnt 0x0
	ds_store_b128 v8, v[10:13]
.LBB121_347:
	s_wait_xcnt 0x0
	s_or_b32 exec_lo, exec_lo, s2
	s_wait_storecnt_dscnt 0x0
	s_barrier_signal -1
	s_barrier_wait -1
	s_clause 0x9
	scratch_load_b128 v[4:7], off, off offset:128
	scratch_load_b128 v[10:13], off, off offset:144
	;; [unrolled: 1-line block ×10, first 2 shown]
	ds_load_b128 v[162:165], v2 offset:1056
	ds_load_b128 v[170:173], v2 offset:1072
	s_clause 0x2
	scratch_load_b128 v[166:169], off, off offset:288
	scratch_load_b128 v[174:177], off, off offset:112
	;; [unrolled: 1-line block ×3, first 2 shown]
	s_mov_b32 s2, exec_lo
	s_wait_loadcnt_dscnt 0xc01
	v_mul_f64_e32 v[182:183], v[164:165], v[6:7]
	v_mul_f64_e32 v[186:187], v[162:163], v[6:7]
	s_wait_loadcnt_dscnt 0xb00
	v_mul_f64_e32 v[188:189], v[170:171], v[12:13]
	v_mul_f64_e32 v[12:13], v[172:173], v[12:13]
	s_delay_alu instid0(VALU_DEP_4) | instskip(NEXT) | instid1(VALU_DEP_4)
	v_fma_f64 v[190:191], v[162:163], v[4:5], -v[182:183]
	v_fmac_f64_e32 v[186:187], v[164:165], v[4:5]
	ds_load_b128 v[4:7], v2 offset:1088
	ds_load_b128 v[162:165], v2 offset:1104
	scratch_load_b128 v[182:185], off, off offset:320
	v_fmac_f64_e32 v[188:189], v[172:173], v[10:11]
	v_fma_f64 v[170:171], v[170:171], v[10:11], -v[12:13]
	scratch_load_b128 v[10:13], off, off offset:336
	s_wait_loadcnt_dscnt 0xc01
	v_mul_f64_e32 v[192:193], v[4:5], v[132:133]
	v_mul_f64_e32 v[132:133], v[6:7], v[132:133]
	v_add_f64_e32 v[172:173], 0, v[190:191]
	v_add_f64_e32 v[186:187], 0, v[186:187]
	s_wait_loadcnt_dscnt 0xb00
	v_mul_f64_e32 v[190:191], v[162:163], v[136:137]
	v_mul_f64_e32 v[136:137], v[164:165], v[136:137]
	v_fmac_f64_e32 v[192:193], v[6:7], v[130:131]
	v_fma_f64 v[194:195], v[4:5], v[130:131], -v[132:133]
	ds_load_b128 v[4:7], v2 offset:1120
	ds_load_b128 v[130:133], v2 offset:1136
	v_add_f64_e32 v[196:197], v[172:173], v[170:171]
	v_add_f64_e32 v[186:187], v[186:187], v[188:189]
	scratch_load_b128 v[170:173], off, off offset:352
	v_fmac_f64_e32 v[190:191], v[164:165], v[134:135]
	v_fma_f64 v[162:163], v[162:163], v[134:135], -v[136:137]
	scratch_load_b128 v[134:137], off, off offset:368
	s_wait_loadcnt_dscnt 0xc01
	v_mul_f64_e32 v[188:189], v[4:5], v[140:141]
	v_mul_f64_e32 v[140:141], v[6:7], v[140:141]
	v_add_f64_e32 v[164:165], v[196:197], v[194:195]
	v_add_f64_e32 v[186:187], v[186:187], v[192:193]
	s_wait_loadcnt_dscnt 0xb00
	v_mul_f64_e32 v[192:193], v[130:131], v[144:145]
	v_mul_f64_e32 v[144:145], v[132:133], v[144:145]
	v_fmac_f64_e32 v[188:189], v[6:7], v[138:139]
	v_fma_f64 v[194:195], v[4:5], v[138:139], -v[140:141]
	ds_load_b128 v[4:7], v2 offset:1152
	ds_load_b128 v[138:141], v2 offset:1168
	v_add_f64_e32 v[196:197], v[164:165], v[162:163]
	v_add_f64_e32 v[186:187], v[186:187], v[190:191]
	scratch_load_b128 v[162:165], off, off offset:384
	s_wait_loadcnt_dscnt 0xb01
	v_mul_f64_e32 v[190:191], v[4:5], v[148:149]
	v_mul_f64_e32 v[148:149], v[6:7], v[148:149]
	v_fmac_f64_e32 v[192:193], v[132:133], v[142:143]
	v_fma_f64 v[142:143], v[130:131], v[142:143], -v[144:145]
	scratch_load_b128 v[130:133], off, off offset:400
	v_add_f64_e32 v[144:145], v[196:197], v[194:195]
	v_add_f64_e32 v[186:187], v[186:187], v[188:189]
	s_wait_loadcnt_dscnt 0xb00
	v_mul_f64_e32 v[188:189], v[138:139], v[152:153]
	v_mul_f64_e32 v[152:153], v[140:141], v[152:153]
	v_fmac_f64_e32 v[190:191], v[6:7], v[146:147]
	v_fma_f64 v[194:195], v[4:5], v[146:147], -v[148:149]
	v_add_f64_e32 v[196:197], v[144:145], v[142:143]
	v_add_f64_e32 v[186:187], v[186:187], v[192:193]
	ds_load_b128 v[4:7], v2 offset:1184
	ds_load_b128 v[142:145], v2 offset:1200
	scratch_load_b128 v[146:149], off, off offset:416
	v_fmac_f64_e32 v[188:189], v[140:141], v[150:151]
	v_fma_f64 v[150:151], v[138:139], v[150:151], -v[152:153]
	scratch_load_b128 v[138:141], off, off offset:432
	s_wait_loadcnt_dscnt 0xc01
	v_mul_f64_e32 v[192:193], v[4:5], v[156:157]
	v_mul_f64_e32 v[156:157], v[6:7], v[156:157]
	v_add_f64_e32 v[152:153], v[196:197], v[194:195]
	v_add_f64_e32 v[186:187], v[186:187], v[190:191]
	s_wait_loadcnt_dscnt 0xb00
	v_mul_f64_e32 v[190:191], v[142:143], v[160:161]
	v_mul_f64_e32 v[160:161], v[144:145], v[160:161]
	v_fmac_f64_e32 v[192:193], v[6:7], v[154:155]
	v_fma_f64 v[194:195], v[4:5], v[154:155], -v[156:157]
	v_add_f64_e32 v[196:197], v[152:153], v[150:151]
	v_add_f64_e32 v[186:187], v[186:187], v[188:189]
	ds_load_b128 v[4:7], v2 offset:1216
	ds_load_b128 v[150:153], v2 offset:1232
	scratch_load_b128 v[154:157], off, off offset:448
	v_fmac_f64_e32 v[190:191], v[144:145], v[158:159]
	v_fma_f64 v[158:159], v[142:143], v[158:159], -v[160:161]
	scratch_load_b128 v[142:145], off, off offset:464
	s_wait_loadcnt_dscnt 0xc01
	v_mul_f64_e32 v[188:189], v[4:5], v[168:169]
	v_mul_f64_e32 v[168:169], v[6:7], v[168:169]
	;; [unrolled: 18-line block ×5, first 2 shown]
	v_add_f64_e32 v[180:181], v[196:197], v[194:195]
	v_add_f64_e32 v[186:187], v[186:187], v[192:193]
	s_wait_loadcnt_dscnt 0xa00
	v_mul_f64_e32 v[192:193], v[158:159], v[132:133]
	v_mul_f64_e32 v[132:133], v[160:161], v[132:133]
	v_fmac_f64_e32 v[188:189], v[6:7], v[162:163]
	v_fma_f64 v[194:195], v[4:5], v[162:163], -v[164:165]
	ds_load_b128 v[4:7], v2 offset:1344
	ds_load_b128 v[162:165], v2 offset:1360
	v_add_f64_e32 v[196:197], v[180:181], v[178:179]
	v_add_f64_e32 v[186:187], v[186:187], v[190:191]
	scratch_load_b128 v[178:181], off, off offset:576
	v_fmac_f64_e32 v[192:193], v[160:161], v[130:131]
	v_fma_f64 v[158:159], v[158:159], v[130:131], -v[132:133]
	scratch_load_b128 v[130:133], off, off offset:592
	s_wait_loadcnt_dscnt 0xb01
	v_mul_f64_e32 v[190:191], v[4:5], v[148:149]
	v_mul_f64_e32 v[148:149], v[6:7], v[148:149]
	v_add_f64_e32 v[160:161], v[196:197], v[194:195]
	v_add_f64_e32 v[186:187], v[186:187], v[188:189]
	s_wait_loadcnt_dscnt 0xa00
	v_mul_f64_e32 v[188:189], v[162:163], v[140:141]
	v_mul_f64_e32 v[140:141], v[164:165], v[140:141]
	v_fmac_f64_e32 v[190:191], v[6:7], v[146:147]
	v_fma_f64 v[194:195], v[4:5], v[146:147], -v[148:149]
	ds_load_b128 v[4:7], v2 offset:1376
	ds_load_b128 v[146:149], v2 offset:1392
	v_add_f64_e32 v[196:197], v[160:161], v[158:159]
	v_add_f64_e32 v[186:187], v[186:187], v[192:193]
	scratch_load_b128 v[158:161], off, off offset:608
	s_wait_loadcnt_dscnt 0xa01
	v_mul_f64_e32 v[192:193], v[4:5], v[156:157]
	v_mul_f64_e32 v[156:157], v[6:7], v[156:157]
	v_fmac_f64_e32 v[188:189], v[164:165], v[138:139]
	v_fma_f64 v[162:163], v[162:163], v[138:139], -v[140:141]
	scratch_load_b128 v[138:141], off, off offset:624
	v_add_f64_e32 v[164:165], v[196:197], v[194:195]
	v_add_f64_e32 v[186:187], v[186:187], v[190:191]
	s_wait_loadcnt_dscnt 0xa00
	v_mul_f64_e32 v[190:191], v[146:147], v[144:145]
	v_mul_f64_e32 v[144:145], v[148:149], v[144:145]
	v_fmac_f64_e32 v[192:193], v[6:7], v[154:155]
	v_fma_f64 v[194:195], v[4:5], v[154:155], -v[156:157]
	ds_load_b128 v[4:7], v2 offset:1408
	ds_load_b128 v[154:157], v2 offset:1424
	v_add_f64_e32 v[196:197], v[164:165], v[162:163]
	v_add_f64_e32 v[186:187], v[186:187], v[188:189]
	scratch_load_b128 v[162:165], off, off offset:640
	s_wait_loadcnt_dscnt 0xa01
	v_mul_f64_e32 v[188:189], v[4:5], v[168:169]
	v_mul_f64_e32 v[168:169], v[6:7], v[168:169]
	v_fmac_f64_e32 v[190:191], v[148:149], v[142:143]
	v_fma_f64 v[146:147], v[146:147], v[142:143], -v[144:145]
	scratch_load_b128 v[142:145], off, off offset:656
	v_add_f64_e32 v[148:149], v[196:197], v[194:195]
	v_add_f64_e32 v[186:187], v[186:187], v[192:193]
	s_wait_loadcnt_dscnt 0xa00
	v_mul_f64_e32 v[192:193], v[154:155], v[152:153]
	v_mul_f64_e32 v[152:153], v[156:157], v[152:153]
	v_fmac_f64_e32 v[188:189], v[6:7], v[166:167]
	v_fma_f64 v[194:195], v[4:5], v[166:167], -v[168:169]
	v_add_f64_e32 v[196:197], v[148:149], v[146:147]
	v_add_f64_e32 v[186:187], v[186:187], v[190:191]
	ds_load_b128 v[4:7], v2 offset:1440
	ds_load_b128 v[146:149], v2 offset:1456
	scratch_load_b128 v[166:169], off, off offset:672
	v_fmac_f64_e32 v[192:193], v[156:157], v[150:151]
	v_fma_f64 v[154:155], v[154:155], v[150:151], -v[152:153]
	scratch_load_b128 v[150:153], off, off offset:688
	s_wait_loadcnt_dscnt 0xb01
	v_mul_f64_e32 v[190:191], v[4:5], v[184:185]
	v_mul_f64_e32 v[184:185], v[6:7], v[184:185]
	v_add_f64_e32 v[156:157], v[196:197], v[194:195]
	v_add_f64_e32 v[186:187], v[186:187], v[188:189]
	s_wait_loadcnt_dscnt 0xa00
	v_mul_f64_e32 v[188:189], v[146:147], v[12:13]
	v_mul_f64_e32 v[12:13], v[148:149], v[12:13]
	v_fmac_f64_e32 v[190:191], v[6:7], v[182:183]
	v_fma_f64 v[194:195], v[4:5], v[182:183], -v[184:185]
	v_add_f64_e32 v[196:197], v[156:157], v[154:155]
	v_add_f64_e32 v[186:187], v[186:187], v[192:193]
	ds_load_b128 v[4:7], v2 offset:1472
	ds_load_b128 v[154:157], v2 offset:1488
	scratch_load_b128 v[182:185], off, off offset:704
	v_fmac_f64_e32 v[188:189], v[148:149], v[10:11]
	v_fma_f64 v[146:147], v[146:147], v[10:11], -v[12:13]
	scratch_load_b128 v[10:13], off, off offset:720
	s_wait_loadcnt_dscnt 0xb01
	v_mul_f64_e32 v[192:193], v[4:5], v[172:173]
	v_mul_f64_e32 v[172:173], v[6:7], v[172:173]
	;; [unrolled: 18-line block ×8, first 2 shown]
	v_add_f64_e32 v[148:149], v[196:197], v[194:195]
	v_add_f64_e32 v[186:187], v[186:187], v[190:191]
	s_wait_loadcnt_dscnt 0xa00
	v_mul_f64_e32 v[190:191], v[154:155], v[136:137]
	v_mul_f64_e32 v[136:137], v[156:157], v[136:137]
	v_fmac_f64_e32 v[192:193], v[6:7], v[170:171]
	v_fma_f64 v[170:171], v[4:5], v[170:171], -v[172:173]
	v_add_f64_e32 v[172:173], v[148:149], v[146:147]
	v_add_f64_e32 v[186:187], v[186:187], v[188:189]
	ds_load_b128 v[4:7], v2 offset:1696
	ds_load_b128 v[146:149], v2 offset:1712
	v_fmac_f64_e32 v[190:191], v[156:157], v[134:135]
	v_fma_f64 v[134:135], v[154:155], v[134:135], -v[136:137]
	s_wait_loadcnt_dscnt 0x901
	v_mul_f64_e32 v[188:189], v[4:5], v[180:181]
	v_mul_f64_e32 v[180:181], v[6:7], v[180:181]
	s_wait_loadcnt_dscnt 0x800
	v_mul_f64_e32 v[156:157], v[146:147], v[132:133]
	v_add_f64_e32 v[136:137], v[172:173], v[170:171]
	v_add_f64_e32 v[154:155], v[186:187], v[192:193]
	v_mul_f64_e32 v[170:171], v[148:149], v[132:133]
	v_fmac_f64_e32 v[188:189], v[6:7], v[178:179]
	v_fma_f64 v[172:173], v[4:5], v[178:179], -v[180:181]
	v_fmac_f64_e32 v[156:157], v[148:149], v[130:131]
	v_add_f64_e32 v[136:137], v[136:137], v[134:135]
	v_add_f64_e32 v[154:155], v[154:155], v[190:191]
	ds_load_b128 v[4:7], v2 offset:1728
	ds_load_b128 v[132:135], v2 offset:1744
	v_fma_f64 v[130:131], v[146:147], v[130:131], -v[170:171]
	s_wait_loadcnt_dscnt 0x701
	v_mul_f64_e32 v[178:179], v[4:5], v[160:161]
	v_mul_f64_e32 v[160:161], v[6:7], v[160:161]
	v_add_f64_e32 v[136:137], v[136:137], v[172:173]
	v_add_f64_e32 v[146:147], v[154:155], v[188:189]
	s_wait_loadcnt_dscnt 0x600
	v_mul_f64_e32 v[154:155], v[132:133], v[140:141]
	v_mul_f64_e32 v[140:141], v[134:135], v[140:141]
	v_fmac_f64_e32 v[178:179], v[6:7], v[158:159]
	v_fma_f64 v[158:159], v[4:5], v[158:159], -v[160:161]
	v_add_f64_e32 v[130:131], v[136:137], v[130:131]
	v_add_f64_e32 v[136:137], v[146:147], v[156:157]
	ds_load_b128 v[4:7], v2 offset:1760
	ds_load_b128 v[146:149], v2 offset:1776
	v_fmac_f64_e32 v[154:155], v[134:135], v[138:139]
	v_fma_f64 v[132:133], v[132:133], v[138:139], -v[140:141]
	s_wait_loadcnt_dscnt 0x501
	v_mul_f64_e32 v[156:157], v[4:5], v[164:165]
	v_mul_f64_e32 v[160:161], v[6:7], v[164:165]
	s_wait_loadcnt_dscnt 0x400
	v_mul_f64_e32 v[138:139], v[148:149], v[144:145]
	v_add_f64_e32 v[130:131], v[130:131], v[158:159]
	v_add_f64_e32 v[134:135], v[136:137], v[178:179]
	v_mul_f64_e32 v[136:137], v[146:147], v[144:145]
	v_fmac_f64_e32 v[156:157], v[6:7], v[162:163]
	v_fma_f64 v[140:141], v[4:5], v[162:163], -v[160:161]
	v_fma_f64 v[138:139], v[146:147], v[142:143], -v[138:139]
	v_add_f64_e32 v[144:145], v[130:131], v[132:133]
	v_add_f64_e32 v[134:135], v[134:135], v[154:155]
	ds_load_b128 v[4:7], v2 offset:1792
	ds_load_b128 v[130:133], v2 offset:1808
	v_fmac_f64_e32 v[136:137], v[148:149], v[142:143]
	s_wait_loadcnt_dscnt 0x301
	v_mul_f64_e32 v[154:155], v[4:5], v[168:169]
	v_mul_f64_e32 v[158:159], v[6:7], v[168:169]
	s_wait_loadcnt_dscnt 0x200
	v_mul_f64_e32 v[142:143], v[130:131], v[152:153]
	v_add_f64_e32 v[140:141], v[144:145], v[140:141]
	v_add_f64_e32 v[134:135], v[134:135], v[156:157]
	v_mul_f64_e32 v[144:145], v[132:133], v[152:153]
	v_fmac_f64_e32 v[154:155], v[6:7], v[166:167]
	v_fma_f64 v[146:147], v[4:5], v[166:167], -v[158:159]
	v_fmac_f64_e32 v[142:143], v[132:133], v[150:151]
	v_add_f64_e32 v[138:139], v[140:141], v[138:139]
	v_add_f64_e32 v[140:141], v[134:135], v[136:137]
	ds_load_b128 v[4:7], v2 offset:1824
	ds_load_b128 v[134:137], v2 offset:1840
	v_fma_f64 v[130:131], v[130:131], v[150:151], -v[144:145]
	s_wait_loadcnt_dscnt 0x101
	v_mul_f64_e32 v[2:3], v[4:5], v[184:185]
	v_mul_f64_e32 v[148:149], v[6:7], v[184:185]
	v_add_f64_e32 v[132:133], v[138:139], v[146:147]
	v_add_f64_e32 v[138:139], v[140:141], v[154:155]
	s_wait_loadcnt_dscnt 0x0
	v_mul_f64_e32 v[140:141], v[134:135], v[12:13]
	v_mul_f64_e32 v[12:13], v[136:137], v[12:13]
	v_fmac_f64_e32 v[2:3], v[6:7], v[182:183]
	v_fma_f64 v[4:5], v[4:5], v[182:183], -v[148:149]
	v_add_f64_e32 v[6:7], v[132:133], v[130:131]
	v_add_f64_e32 v[130:131], v[138:139], v[142:143]
	v_fmac_f64_e32 v[140:141], v[136:137], v[10:11]
	v_fma_f64 v[10:11], v[134:135], v[10:11], -v[12:13]
	s_delay_alu instid0(VALU_DEP_4) | instskip(NEXT) | instid1(VALU_DEP_4)
	v_add_f64_e32 v[4:5], v[6:7], v[4:5]
	v_add_f64_e32 v[2:3], v[130:131], v[2:3]
	s_delay_alu instid0(VALU_DEP_2) | instskip(NEXT) | instid1(VALU_DEP_2)
	v_add_f64_e32 v[4:5], v[4:5], v[10:11]
	v_add_f64_e32 v[6:7], v[2:3], v[140:141]
	s_delay_alu instid0(VALU_DEP_2) | instskip(NEXT) | instid1(VALU_DEP_2)
	v_add_f64_e64 v[2:3], v[174:175], -v[4:5]
	v_add_f64_e64 v[4:5], v[176:177], -v[6:7]
	scratch_store_b128 off, v[2:5], off offset:112
	s_wait_xcnt 0x0
	v_cmpx_lt_u32_e32 6, v1
	s_cbranch_execz .LBB121_349
; %bb.348:
	scratch_load_b128 v[2:5], off, s68
	v_mov_b32_e32 v10, 0
	s_delay_alu instid0(VALU_DEP_1)
	v_dual_mov_b32 v11, v10 :: v_dual_mov_b32 v12, v10
	v_mov_b32_e32 v13, v10
	scratch_store_b128 off, v[10:13], off offset:96
	s_wait_loadcnt 0x0
	ds_store_b128 v8, v[2:5]
.LBB121_349:
	s_wait_xcnt 0x0
	s_or_b32 exec_lo, exec_lo, s2
	s_wait_storecnt_dscnt 0x0
	s_barrier_signal -1
	s_barrier_wait -1
	s_clause 0x9
	scratch_load_b128 v[4:7], off, off offset:112
	scratch_load_b128 v[10:13], off, off offset:128
	;; [unrolled: 1-line block ×10, first 2 shown]
	v_mov_b32_e32 v2, 0
	s_mov_b32 s2, exec_lo
	ds_load_b128 v[162:165], v2 offset:1040
	s_clause 0x2
	scratch_load_b128 v[166:169], off, off offset:272
	scratch_load_b128 v[170:173], off, off offset:96
	;; [unrolled: 1-line block ×3, first 2 shown]
	s_wait_loadcnt_dscnt 0xc00
	v_mul_f64_e32 v[182:183], v[164:165], v[6:7]
	v_mul_f64_e32 v[186:187], v[162:163], v[6:7]
	ds_load_b128 v[174:177], v2 offset:1056
	v_fma_f64 v[190:191], v[162:163], v[4:5], -v[182:183]
	v_fmac_f64_e32 v[186:187], v[164:165], v[4:5]
	ds_load_b128 v[4:7], v2 offset:1072
	s_wait_loadcnt_dscnt 0xb01
	v_mul_f64_e32 v[188:189], v[174:175], v[12:13]
	v_mul_f64_e32 v[12:13], v[176:177], v[12:13]
	scratch_load_b128 v[162:165], off, off offset:304
	ds_load_b128 v[182:185], v2 offset:1088
	s_wait_loadcnt_dscnt 0xb01
	v_mul_f64_e32 v[192:193], v[4:5], v[132:133]
	v_mul_f64_e32 v[132:133], v[6:7], v[132:133]
	v_add_f64_e32 v[186:187], 0, v[186:187]
	v_fmac_f64_e32 v[188:189], v[176:177], v[10:11]
	v_fma_f64 v[174:175], v[174:175], v[10:11], -v[12:13]
	v_add_f64_e32 v[176:177], 0, v[190:191]
	scratch_load_b128 v[10:13], off, off offset:320
	v_fmac_f64_e32 v[192:193], v[6:7], v[130:131]
	v_fma_f64 v[194:195], v[4:5], v[130:131], -v[132:133]
	ds_load_b128 v[4:7], v2 offset:1104
	s_wait_loadcnt_dscnt 0xb01
	v_mul_f64_e32 v[190:191], v[182:183], v[136:137]
	v_mul_f64_e32 v[136:137], v[184:185], v[136:137]
	scratch_load_b128 v[130:133], off, off offset:336
	v_add_f64_e32 v[186:187], v[186:187], v[188:189]
	v_add_f64_e32 v[196:197], v[176:177], v[174:175]
	ds_load_b128 v[174:177], v2 offset:1120
	s_wait_loadcnt_dscnt 0xb01
	v_mul_f64_e32 v[188:189], v[4:5], v[140:141]
	v_mul_f64_e32 v[140:141], v[6:7], v[140:141]
	v_fmac_f64_e32 v[190:191], v[184:185], v[134:135]
	v_fma_f64 v[182:183], v[182:183], v[134:135], -v[136:137]
	scratch_load_b128 v[134:137], off, off offset:352
	v_add_f64_e32 v[186:187], v[186:187], v[192:193]
	v_add_f64_e32 v[184:185], v[196:197], v[194:195]
	v_fmac_f64_e32 v[188:189], v[6:7], v[138:139]
	v_fma_f64 v[194:195], v[4:5], v[138:139], -v[140:141]
	ds_load_b128 v[4:7], v2 offset:1136
	s_wait_loadcnt_dscnt 0xb01
	v_mul_f64_e32 v[192:193], v[174:175], v[144:145]
	v_mul_f64_e32 v[144:145], v[176:177], v[144:145]
	scratch_load_b128 v[138:141], off, off offset:368
	v_add_f64_e32 v[186:187], v[186:187], v[190:191]
	s_wait_loadcnt_dscnt 0xb00
	v_mul_f64_e32 v[190:191], v[4:5], v[148:149]
	v_add_f64_e32 v[196:197], v[184:185], v[182:183]
	v_mul_f64_e32 v[148:149], v[6:7], v[148:149]
	ds_load_b128 v[182:185], v2 offset:1152
	v_fmac_f64_e32 v[192:193], v[176:177], v[142:143]
	v_fma_f64 v[174:175], v[174:175], v[142:143], -v[144:145]
	scratch_load_b128 v[142:145], off, off offset:384
	v_add_f64_e32 v[186:187], v[186:187], v[188:189]
	v_fmac_f64_e32 v[190:191], v[6:7], v[146:147]
	v_add_f64_e32 v[176:177], v[196:197], v[194:195]
	v_fma_f64 v[194:195], v[4:5], v[146:147], -v[148:149]
	ds_load_b128 v[4:7], v2 offset:1168
	s_wait_loadcnt_dscnt 0xb01
	v_mul_f64_e32 v[188:189], v[182:183], v[152:153]
	v_mul_f64_e32 v[152:153], v[184:185], v[152:153]
	scratch_load_b128 v[146:149], off, off offset:400
	v_add_f64_e32 v[186:187], v[186:187], v[192:193]
	s_wait_loadcnt_dscnt 0xb00
	v_mul_f64_e32 v[192:193], v[4:5], v[156:157]
	v_add_f64_e32 v[196:197], v[176:177], v[174:175]
	v_mul_f64_e32 v[156:157], v[6:7], v[156:157]
	ds_load_b128 v[174:177], v2 offset:1184
	v_fmac_f64_e32 v[188:189], v[184:185], v[150:151]
	v_fma_f64 v[182:183], v[182:183], v[150:151], -v[152:153]
	scratch_load_b128 v[150:153], off, off offset:416
	v_add_f64_e32 v[186:187], v[186:187], v[190:191]
	v_fmac_f64_e32 v[192:193], v[6:7], v[154:155]
	v_add_f64_e32 v[184:185], v[196:197], v[194:195]
	;; [unrolled: 18-line block ×3, first 2 shown]
	v_fma_f64 v[194:195], v[4:5], v[166:167], -v[168:169]
	ds_load_b128 v[4:7], v2 offset:1232
	s_wait_loadcnt_dscnt 0xa01
	v_mul_f64_e32 v[192:193], v[182:183], v[180:181]
	v_mul_f64_e32 v[180:181], v[184:185], v[180:181]
	scratch_load_b128 v[166:169], off, off offset:464
	v_add_f64_e32 v[186:187], v[186:187], v[190:191]
	v_add_f64_e32 v[196:197], v[176:177], v[174:175]
	s_wait_loadcnt_dscnt 0xa00
	v_mul_f64_e32 v[190:191], v[4:5], v[164:165]
	v_mul_f64_e32 v[164:165], v[6:7], v[164:165]
	v_fmac_f64_e32 v[192:193], v[184:185], v[178:179]
	v_fma_f64 v[182:183], v[182:183], v[178:179], -v[180:181]
	ds_load_b128 v[174:177], v2 offset:1248
	scratch_load_b128 v[178:181], off, off offset:480
	v_add_f64_e32 v[186:187], v[186:187], v[188:189]
	v_add_f64_e32 v[184:185], v[196:197], v[194:195]
	v_fmac_f64_e32 v[190:191], v[6:7], v[162:163]
	v_fma_f64 v[194:195], v[4:5], v[162:163], -v[164:165]
	ds_load_b128 v[4:7], v2 offset:1264
	s_wait_loadcnt_dscnt 0xa01
	v_mul_f64_e32 v[188:189], v[174:175], v[12:13]
	v_mul_f64_e32 v[12:13], v[176:177], v[12:13]
	scratch_load_b128 v[162:165], off, off offset:496
	v_add_f64_e32 v[186:187], v[186:187], v[192:193]
	s_wait_loadcnt_dscnt 0xa00
	v_mul_f64_e32 v[192:193], v[4:5], v[132:133]
	v_add_f64_e32 v[196:197], v[184:185], v[182:183]
	v_mul_f64_e32 v[132:133], v[6:7], v[132:133]
	ds_load_b128 v[182:185], v2 offset:1280
	v_fmac_f64_e32 v[188:189], v[176:177], v[10:11]
	v_fma_f64 v[174:175], v[174:175], v[10:11], -v[12:13]
	scratch_load_b128 v[10:13], off, off offset:512
	v_add_f64_e32 v[186:187], v[186:187], v[190:191]
	v_fmac_f64_e32 v[192:193], v[6:7], v[130:131]
	v_add_f64_e32 v[176:177], v[196:197], v[194:195]
	v_fma_f64 v[194:195], v[4:5], v[130:131], -v[132:133]
	ds_load_b128 v[4:7], v2 offset:1296
	s_wait_loadcnt_dscnt 0xa01
	v_mul_f64_e32 v[190:191], v[182:183], v[136:137]
	v_mul_f64_e32 v[136:137], v[184:185], v[136:137]
	scratch_load_b128 v[130:133], off, off offset:528
	v_add_f64_e32 v[186:187], v[186:187], v[188:189]
	s_wait_loadcnt_dscnt 0xa00
	v_mul_f64_e32 v[188:189], v[4:5], v[140:141]
	v_add_f64_e32 v[196:197], v[176:177], v[174:175]
	v_mul_f64_e32 v[140:141], v[6:7], v[140:141]
	ds_load_b128 v[174:177], v2 offset:1312
	v_fmac_f64_e32 v[190:191], v[184:185], v[134:135]
	v_fma_f64 v[182:183], v[182:183], v[134:135], -v[136:137]
	scratch_load_b128 v[134:137], off, off offset:544
	v_add_f64_e32 v[186:187], v[186:187], v[192:193]
	v_fmac_f64_e32 v[188:189], v[6:7], v[138:139]
	v_add_f64_e32 v[184:185], v[196:197], v[194:195]
	;; [unrolled: 18-line block ×13, first 2 shown]
	v_fma_f64 v[194:195], v[4:5], v[130:131], -v[132:133]
	ds_load_b128 v[4:7], v2 offset:1680
	s_wait_loadcnt_dscnt 0xa01
	v_mul_f64_e32 v[190:191], v[182:183], v[136:137]
	v_mul_f64_e32 v[136:137], v[184:185], v[136:137]
	scratch_load_b128 v[130:133], off, off offset:912
	v_add_f64_e32 v[186:187], v[186:187], v[188:189]
	s_wait_loadcnt_dscnt 0xa00
	v_mul_f64_e32 v[188:189], v[4:5], v[140:141]
	v_add_f64_e32 v[196:197], v[176:177], v[174:175]
	v_mul_f64_e32 v[140:141], v[6:7], v[140:141]
	ds_load_b128 v[174:177], v2 offset:1696
	v_fmac_f64_e32 v[190:191], v[184:185], v[134:135]
	v_fma_f64 v[134:135], v[182:183], v[134:135], -v[136:137]
	s_wait_loadcnt_dscnt 0x900
	v_mul_f64_e32 v[184:185], v[174:175], v[144:145]
	v_mul_f64_e32 v[144:145], v[176:177], v[144:145]
	v_add_f64_e32 v[182:183], v[186:187], v[192:193]
	v_fmac_f64_e32 v[188:189], v[6:7], v[138:139]
	v_add_f64_e32 v[136:137], v[196:197], v[194:195]
	v_fma_f64 v[138:139], v[4:5], v[138:139], -v[140:141]
	v_fmac_f64_e32 v[184:185], v[176:177], v[142:143]
	v_fma_f64 v[142:143], v[174:175], v[142:143], -v[144:145]
	v_add_f64_e32 v[182:183], v[182:183], v[190:191]
	v_add_f64_e32 v[140:141], v[136:137], v[134:135]
	ds_load_b128 v[4:7], v2 offset:1712
	ds_load_b128 v[134:137], v2 offset:1728
	s_wait_loadcnt_dscnt 0x801
	v_mul_f64_e32 v[186:187], v[4:5], v[148:149]
	v_mul_f64_e32 v[148:149], v[6:7], v[148:149]
	s_wait_loadcnt_dscnt 0x700
	v_mul_f64_e32 v[144:145], v[134:135], v[152:153]
	v_mul_f64_e32 v[152:153], v[136:137], v[152:153]
	v_add_f64_e32 v[138:139], v[140:141], v[138:139]
	v_add_f64_e32 v[140:141], v[182:183], v[188:189]
	v_fmac_f64_e32 v[186:187], v[6:7], v[146:147]
	v_fma_f64 v[146:147], v[4:5], v[146:147], -v[148:149]
	v_fmac_f64_e32 v[144:145], v[136:137], v[150:151]
	v_fma_f64 v[134:135], v[134:135], v[150:151], -v[152:153]
	v_add_f64_e32 v[142:143], v[138:139], v[142:143]
	v_add_f64_e32 v[148:149], v[140:141], v[184:185]
	ds_load_b128 v[4:7], v2 offset:1744
	ds_load_b128 v[138:141], v2 offset:1760
	s_wait_loadcnt_dscnt 0x601
	v_mul_f64_e32 v[174:175], v[4:5], v[156:157]
	v_mul_f64_e32 v[156:157], v[6:7], v[156:157]
	v_add_f64_e32 v[136:137], v[142:143], v[146:147]
	v_add_f64_e32 v[142:143], v[148:149], v[186:187]
	s_wait_loadcnt_dscnt 0x500
	v_mul_f64_e32 v[146:147], v[138:139], v[160:161]
	v_mul_f64_e32 v[148:149], v[140:141], v[160:161]
	v_fmac_f64_e32 v[174:175], v[6:7], v[154:155]
	v_fma_f64 v[150:151], v[4:5], v[154:155], -v[156:157]
	v_add_f64_e32 v[152:153], v[136:137], v[134:135]
	v_add_f64_e32 v[142:143], v[142:143], v[144:145]
	ds_load_b128 v[4:7], v2 offset:1776
	ds_load_b128 v[134:137], v2 offset:1792
	v_fmac_f64_e32 v[146:147], v[140:141], v[158:159]
	v_fma_f64 v[138:139], v[138:139], v[158:159], -v[148:149]
	s_wait_loadcnt_dscnt 0x401
	v_mul_f64_e32 v[144:145], v[4:5], v[168:169]
	v_mul_f64_e32 v[154:155], v[6:7], v[168:169]
	s_wait_loadcnt_dscnt 0x300
	v_mul_f64_e32 v[148:149], v[134:135], v[180:181]
	v_add_f64_e32 v[140:141], v[152:153], v[150:151]
	v_add_f64_e32 v[142:143], v[142:143], v[174:175]
	v_mul_f64_e32 v[150:151], v[136:137], v[180:181]
	v_fmac_f64_e32 v[144:145], v[6:7], v[166:167]
	v_fma_f64 v[152:153], v[4:5], v[166:167], -v[154:155]
	v_fmac_f64_e32 v[148:149], v[136:137], v[178:179]
	v_add_f64_e32 v[154:155], v[140:141], v[138:139]
	v_add_f64_e32 v[142:143], v[142:143], v[146:147]
	ds_load_b128 v[4:7], v2 offset:1808
	ds_load_b128 v[138:141], v2 offset:1824
	v_fma_f64 v[134:135], v[134:135], v[178:179], -v[150:151]
	s_wait_loadcnt_dscnt 0x201
	v_mul_f64_e32 v[146:147], v[4:5], v[164:165]
	v_mul_f64_e32 v[156:157], v[6:7], v[164:165]
	v_add_f64_e32 v[136:137], v[154:155], v[152:153]
	v_add_f64_e32 v[142:143], v[142:143], v[144:145]
	s_wait_loadcnt_dscnt 0x100
	v_mul_f64_e32 v[144:145], v[138:139], v[12:13]
	v_mul_f64_e32 v[12:13], v[140:141], v[12:13]
	v_fmac_f64_e32 v[146:147], v[6:7], v[162:163]
	v_fma_f64 v[150:151], v[4:5], v[162:163], -v[156:157]
	ds_load_b128 v[4:7], v2 offset:1840
	v_add_f64_e32 v[134:135], v[136:137], v[134:135]
	v_add_f64_e32 v[136:137], v[142:143], v[148:149]
	v_fmac_f64_e32 v[144:145], v[140:141], v[10:11]
	v_fma_f64 v[10:11], v[138:139], v[10:11], -v[12:13]
	s_wait_loadcnt_dscnt 0x0
	v_mul_f64_e32 v[142:143], v[4:5], v[132:133]
	v_mul_f64_e32 v[132:133], v[6:7], v[132:133]
	v_add_f64_e32 v[12:13], v[134:135], v[150:151]
	v_add_f64_e32 v[134:135], v[136:137], v[146:147]
	s_delay_alu instid0(VALU_DEP_4) | instskip(NEXT) | instid1(VALU_DEP_4)
	v_fmac_f64_e32 v[142:143], v[6:7], v[130:131]
	v_fma_f64 v[4:5], v[4:5], v[130:131], -v[132:133]
	s_delay_alu instid0(VALU_DEP_4) | instskip(NEXT) | instid1(VALU_DEP_4)
	v_add_f64_e32 v[6:7], v[12:13], v[10:11]
	v_add_f64_e32 v[10:11], v[134:135], v[144:145]
	s_delay_alu instid0(VALU_DEP_2) | instskip(NEXT) | instid1(VALU_DEP_2)
	v_add_f64_e32 v[4:5], v[6:7], v[4:5]
	v_add_f64_e32 v[6:7], v[10:11], v[142:143]
	s_delay_alu instid0(VALU_DEP_2) | instskip(NEXT) | instid1(VALU_DEP_2)
	v_add_f64_e64 v[4:5], v[170:171], -v[4:5]
	v_add_f64_e64 v[6:7], v[172:173], -v[6:7]
	scratch_store_b128 off, v[4:7], off offset:96
	s_wait_xcnt 0x0
	v_cmpx_lt_u32_e32 5, v1
	s_cbranch_execz .LBB121_351
; %bb.350:
	scratch_load_b128 v[10:13], off, s69
	v_dual_mov_b32 v3, v2 :: v_dual_mov_b32 v4, v2
	v_mov_b32_e32 v5, v2
	scratch_store_b128 off, v[2:5], off offset:80
	s_wait_loadcnt 0x0
	ds_store_b128 v8, v[10:13]
.LBB121_351:
	s_wait_xcnt 0x0
	s_or_b32 exec_lo, exec_lo, s2
	s_wait_storecnt_dscnt 0x0
	s_barrier_signal -1
	s_barrier_wait -1
	s_clause 0x9
	scratch_load_b128 v[4:7], off, off offset:96
	scratch_load_b128 v[10:13], off, off offset:112
	;; [unrolled: 1-line block ×10, first 2 shown]
	ds_load_b128 v[162:165], v2 offset:1024
	ds_load_b128 v[170:173], v2 offset:1040
	s_clause 0x2
	scratch_load_b128 v[166:169], off, off offset:256
	scratch_load_b128 v[174:177], off, off offset:80
	;; [unrolled: 1-line block ×3, first 2 shown]
	s_mov_b32 s2, exec_lo
	s_wait_loadcnt_dscnt 0xc01
	v_mul_f64_e32 v[182:183], v[164:165], v[6:7]
	v_mul_f64_e32 v[186:187], v[162:163], v[6:7]
	s_wait_loadcnt_dscnt 0xb00
	v_mul_f64_e32 v[188:189], v[170:171], v[12:13]
	v_mul_f64_e32 v[12:13], v[172:173], v[12:13]
	s_delay_alu instid0(VALU_DEP_4) | instskip(NEXT) | instid1(VALU_DEP_4)
	v_fma_f64 v[190:191], v[162:163], v[4:5], -v[182:183]
	v_fmac_f64_e32 v[186:187], v[164:165], v[4:5]
	ds_load_b128 v[4:7], v2 offset:1056
	ds_load_b128 v[162:165], v2 offset:1072
	scratch_load_b128 v[182:185], off, off offset:288
	v_fmac_f64_e32 v[188:189], v[172:173], v[10:11]
	v_fma_f64 v[170:171], v[170:171], v[10:11], -v[12:13]
	scratch_load_b128 v[10:13], off, off offset:304
	s_wait_loadcnt_dscnt 0xc01
	v_mul_f64_e32 v[192:193], v[4:5], v[132:133]
	v_mul_f64_e32 v[132:133], v[6:7], v[132:133]
	v_add_f64_e32 v[172:173], 0, v[190:191]
	v_add_f64_e32 v[186:187], 0, v[186:187]
	s_wait_loadcnt_dscnt 0xb00
	v_mul_f64_e32 v[190:191], v[162:163], v[136:137]
	v_mul_f64_e32 v[136:137], v[164:165], v[136:137]
	v_fmac_f64_e32 v[192:193], v[6:7], v[130:131]
	v_fma_f64 v[194:195], v[4:5], v[130:131], -v[132:133]
	ds_load_b128 v[4:7], v2 offset:1088
	ds_load_b128 v[130:133], v2 offset:1104
	v_add_f64_e32 v[196:197], v[172:173], v[170:171]
	v_add_f64_e32 v[186:187], v[186:187], v[188:189]
	scratch_load_b128 v[170:173], off, off offset:320
	v_fmac_f64_e32 v[190:191], v[164:165], v[134:135]
	v_fma_f64 v[162:163], v[162:163], v[134:135], -v[136:137]
	scratch_load_b128 v[134:137], off, off offset:336
	s_wait_loadcnt_dscnt 0xc01
	v_mul_f64_e32 v[188:189], v[4:5], v[140:141]
	v_mul_f64_e32 v[140:141], v[6:7], v[140:141]
	v_add_f64_e32 v[164:165], v[196:197], v[194:195]
	v_add_f64_e32 v[186:187], v[186:187], v[192:193]
	s_wait_loadcnt_dscnt 0xb00
	v_mul_f64_e32 v[192:193], v[130:131], v[144:145]
	v_mul_f64_e32 v[144:145], v[132:133], v[144:145]
	v_fmac_f64_e32 v[188:189], v[6:7], v[138:139]
	v_fma_f64 v[194:195], v[4:5], v[138:139], -v[140:141]
	ds_load_b128 v[4:7], v2 offset:1120
	ds_load_b128 v[138:141], v2 offset:1136
	v_add_f64_e32 v[196:197], v[164:165], v[162:163]
	v_add_f64_e32 v[186:187], v[186:187], v[190:191]
	scratch_load_b128 v[162:165], off, off offset:352
	s_wait_loadcnt_dscnt 0xb01
	v_mul_f64_e32 v[190:191], v[4:5], v[148:149]
	v_mul_f64_e32 v[148:149], v[6:7], v[148:149]
	v_fmac_f64_e32 v[192:193], v[132:133], v[142:143]
	v_fma_f64 v[142:143], v[130:131], v[142:143], -v[144:145]
	scratch_load_b128 v[130:133], off, off offset:368
	v_add_f64_e32 v[144:145], v[196:197], v[194:195]
	v_add_f64_e32 v[186:187], v[186:187], v[188:189]
	s_wait_loadcnt_dscnt 0xb00
	v_mul_f64_e32 v[188:189], v[138:139], v[152:153]
	v_mul_f64_e32 v[152:153], v[140:141], v[152:153]
	v_fmac_f64_e32 v[190:191], v[6:7], v[146:147]
	v_fma_f64 v[194:195], v[4:5], v[146:147], -v[148:149]
	v_add_f64_e32 v[196:197], v[144:145], v[142:143]
	v_add_f64_e32 v[186:187], v[186:187], v[192:193]
	ds_load_b128 v[4:7], v2 offset:1152
	ds_load_b128 v[142:145], v2 offset:1168
	scratch_load_b128 v[146:149], off, off offset:384
	v_fmac_f64_e32 v[188:189], v[140:141], v[150:151]
	v_fma_f64 v[150:151], v[138:139], v[150:151], -v[152:153]
	scratch_load_b128 v[138:141], off, off offset:400
	s_wait_loadcnt_dscnt 0xc01
	v_mul_f64_e32 v[192:193], v[4:5], v[156:157]
	v_mul_f64_e32 v[156:157], v[6:7], v[156:157]
	v_add_f64_e32 v[152:153], v[196:197], v[194:195]
	v_add_f64_e32 v[186:187], v[186:187], v[190:191]
	s_wait_loadcnt_dscnt 0xb00
	v_mul_f64_e32 v[190:191], v[142:143], v[160:161]
	v_mul_f64_e32 v[160:161], v[144:145], v[160:161]
	v_fmac_f64_e32 v[192:193], v[6:7], v[154:155]
	v_fma_f64 v[194:195], v[4:5], v[154:155], -v[156:157]
	v_add_f64_e32 v[196:197], v[152:153], v[150:151]
	v_add_f64_e32 v[186:187], v[186:187], v[188:189]
	ds_load_b128 v[4:7], v2 offset:1184
	ds_load_b128 v[150:153], v2 offset:1200
	scratch_load_b128 v[154:157], off, off offset:416
	v_fmac_f64_e32 v[190:191], v[144:145], v[158:159]
	v_fma_f64 v[158:159], v[142:143], v[158:159], -v[160:161]
	scratch_load_b128 v[142:145], off, off offset:432
	s_wait_loadcnt_dscnt 0xc01
	v_mul_f64_e32 v[188:189], v[4:5], v[168:169]
	v_mul_f64_e32 v[168:169], v[6:7], v[168:169]
	;; [unrolled: 18-line block ×5, first 2 shown]
	v_add_f64_e32 v[180:181], v[196:197], v[194:195]
	v_add_f64_e32 v[186:187], v[186:187], v[192:193]
	s_wait_loadcnt_dscnt 0xa00
	v_mul_f64_e32 v[192:193], v[158:159], v[132:133]
	v_mul_f64_e32 v[132:133], v[160:161], v[132:133]
	v_fmac_f64_e32 v[188:189], v[6:7], v[162:163]
	v_fma_f64 v[194:195], v[4:5], v[162:163], -v[164:165]
	ds_load_b128 v[4:7], v2 offset:1312
	ds_load_b128 v[162:165], v2 offset:1328
	v_add_f64_e32 v[196:197], v[180:181], v[178:179]
	v_add_f64_e32 v[186:187], v[186:187], v[190:191]
	scratch_load_b128 v[178:181], off, off offset:544
	v_fmac_f64_e32 v[192:193], v[160:161], v[130:131]
	v_fma_f64 v[158:159], v[158:159], v[130:131], -v[132:133]
	scratch_load_b128 v[130:133], off, off offset:560
	s_wait_loadcnt_dscnt 0xb01
	v_mul_f64_e32 v[190:191], v[4:5], v[148:149]
	v_mul_f64_e32 v[148:149], v[6:7], v[148:149]
	v_add_f64_e32 v[160:161], v[196:197], v[194:195]
	v_add_f64_e32 v[186:187], v[186:187], v[188:189]
	s_wait_loadcnt_dscnt 0xa00
	v_mul_f64_e32 v[188:189], v[162:163], v[140:141]
	v_mul_f64_e32 v[140:141], v[164:165], v[140:141]
	v_fmac_f64_e32 v[190:191], v[6:7], v[146:147]
	v_fma_f64 v[194:195], v[4:5], v[146:147], -v[148:149]
	ds_load_b128 v[4:7], v2 offset:1344
	ds_load_b128 v[146:149], v2 offset:1360
	v_add_f64_e32 v[196:197], v[160:161], v[158:159]
	v_add_f64_e32 v[186:187], v[186:187], v[192:193]
	scratch_load_b128 v[158:161], off, off offset:576
	s_wait_loadcnt_dscnt 0xa01
	v_mul_f64_e32 v[192:193], v[4:5], v[156:157]
	v_mul_f64_e32 v[156:157], v[6:7], v[156:157]
	v_fmac_f64_e32 v[188:189], v[164:165], v[138:139]
	v_fma_f64 v[162:163], v[162:163], v[138:139], -v[140:141]
	scratch_load_b128 v[138:141], off, off offset:592
	v_add_f64_e32 v[164:165], v[196:197], v[194:195]
	v_add_f64_e32 v[186:187], v[186:187], v[190:191]
	s_wait_loadcnt_dscnt 0xa00
	v_mul_f64_e32 v[190:191], v[146:147], v[144:145]
	v_mul_f64_e32 v[144:145], v[148:149], v[144:145]
	v_fmac_f64_e32 v[192:193], v[6:7], v[154:155]
	v_fma_f64 v[194:195], v[4:5], v[154:155], -v[156:157]
	ds_load_b128 v[4:7], v2 offset:1376
	ds_load_b128 v[154:157], v2 offset:1392
	v_add_f64_e32 v[196:197], v[164:165], v[162:163]
	v_add_f64_e32 v[186:187], v[186:187], v[188:189]
	scratch_load_b128 v[162:165], off, off offset:608
	s_wait_loadcnt_dscnt 0xa01
	v_mul_f64_e32 v[188:189], v[4:5], v[168:169]
	v_mul_f64_e32 v[168:169], v[6:7], v[168:169]
	v_fmac_f64_e32 v[190:191], v[148:149], v[142:143]
	v_fma_f64 v[146:147], v[146:147], v[142:143], -v[144:145]
	scratch_load_b128 v[142:145], off, off offset:624
	v_add_f64_e32 v[148:149], v[196:197], v[194:195]
	v_add_f64_e32 v[186:187], v[186:187], v[192:193]
	s_wait_loadcnt_dscnt 0xa00
	v_mul_f64_e32 v[192:193], v[154:155], v[152:153]
	v_mul_f64_e32 v[152:153], v[156:157], v[152:153]
	v_fmac_f64_e32 v[188:189], v[6:7], v[166:167]
	v_fma_f64 v[194:195], v[4:5], v[166:167], -v[168:169]
	v_add_f64_e32 v[196:197], v[148:149], v[146:147]
	v_add_f64_e32 v[186:187], v[186:187], v[190:191]
	ds_load_b128 v[4:7], v2 offset:1408
	ds_load_b128 v[146:149], v2 offset:1424
	scratch_load_b128 v[166:169], off, off offset:640
	v_fmac_f64_e32 v[192:193], v[156:157], v[150:151]
	v_fma_f64 v[154:155], v[154:155], v[150:151], -v[152:153]
	scratch_load_b128 v[150:153], off, off offset:656
	s_wait_loadcnt_dscnt 0xb01
	v_mul_f64_e32 v[190:191], v[4:5], v[184:185]
	v_mul_f64_e32 v[184:185], v[6:7], v[184:185]
	v_add_f64_e32 v[156:157], v[196:197], v[194:195]
	v_add_f64_e32 v[186:187], v[186:187], v[188:189]
	s_wait_loadcnt_dscnt 0xa00
	v_mul_f64_e32 v[188:189], v[146:147], v[12:13]
	v_mul_f64_e32 v[12:13], v[148:149], v[12:13]
	v_fmac_f64_e32 v[190:191], v[6:7], v[182:183]
	v_fma_f64 v[194:195], v[4:5], v[182:183], -v[184:185]
	v_add_f64_e32 v[196:197], v[156:157], v[154:155]
	v_add_f64_e32 v[186:187], v[186:187], v[192:193]
	ds_load_b128 v[4:7], v2 offset:1440
	ds_load_b128 v[154:157], v2 offset:1456
	scratch_load_b128 v[182:185], off, off offset:672
	v_fmac_f64_e32 v[188:189], v[148:149], v[10:11]
	v_fma_f64 v[146:147], v[146:147], v[10:11], -v[12:13]
	scratch_load_b128 v[10:13], off, off offset:688
	s_wait_loadcnt_dscnt 0xb01
	v_mul_f64_e32 v[192:193], v[4:5], v[172:173]
	v_mul_f64_e32 v[172:173], v[6:7], v[172:173]
	;; [unrolled: 18-line block ×9, first 2 shown]
	v_add_f64_e32 v[156:157], v[196:197], v[194:195]
	v_add_f64_e32 v[186:187], v[186:187], v[192:193]
	s_wait_loadcnt_dscnt 0xa00
	v_mul_f64_e32 v[192:193], v[146:147], v[132:133]
	v_mul_f64_e32 v[132:133], v[148:149], v[132:133]
	v_fmac_f64_e32 v[188:189], v[6:7], v[178:179]
	v_fma_f64 v[178:179], v[4:5], v[178:179], -v[180:181]
	v_add_f64_e32 v[180:181], v[156:157], v[154:155]
	v_add_f64_e32 v[186:187], v[186:187], v[190:191]
	ds_load_b128 v[4:7], v2 offset:1696
	ds_load_b128 v[154:157], v2 offset:1712
	v_fmac_f64_e32 v[192:193], v[148:149], v[130:131]
	v_fma_f64 v[130:131], v[146:147], v[130:131], -v[132:133]
	s_wait_loadcnt_dscnt 0x901
	v_mul_f64_e32 v[190:191], v[4:5], v[160:161]
	v_mul_f64_e32 v[160:161], v[6:7], v[160:161]
	s_wait_loadcnt_dscnt 0x800
	v_mul_f64_e32 v[148:149], v[154:155], v[140:141]
	v_mul_f64_e32 v[140:141], v[156:157], v[140:141]
	v_add_f64_e32 v[132:133], v[180:181], v[178:179]
	v_add_f64_e32 v[146:147], v[186:187], v[188:189]
	v_fmac_f64_e32 v[190:191], v[6:7], v[158:159]
	v_fma_f64 v[158:159], v[4:5], v[158:159], -v[160:161]
	v_fmac_f64_e32 v[148:149], v[156:157], v[138:139]
	v_fma_f64 v[138:139], v[154:155], v[138:139], -v[140:141]
	v_add_f64_e32 v[160:161], v[132:133], v[130:131]
	v_add_f64_e32 v[146:147], v[146:147], v[192:193]
	ds_load_b128 v[4:7], v2 offset:1728
	ds_load_b128 v[130:133], v2 offset:1744
	s_wait_loadcnt_dscnt 0x701
	v_mul_f64_e32 v[178:179], v[4:5], v[164:165]
	v_mul_f64_e32 v[164:165], v[6:7], v[164:165]
	s_wait_loadcnt_dscnt 0x600
	v_mul_f64_e32 v[154:155], v[130:131], v[144:145]
	v_mul_f64_e32 v[144:145], v[132:133], v[144:145]
	v_add_f64_e32 v[140:141], v[160:161], v[158:159]
	v_add_f64_e32 v[146:147], v[146:147], v[190:191]
	v_fmac_f64_e32 v[178:179], v[6:7], v[162:163]
	v_fma_f64 v[156:157], v[4:5], v[162:163], -v[164:165]
	v_fmac_f64_e32 v[154:155], v[132:133], v[142:143]
	v_fma_f64 v[130:131], v[130:131], v[142:143], -v[144:145]
	v_add_f64_e32 v[158:159], v[140:141], v[138:139]
	v_add_f64_e32 v[146:147], v[146:147], v[148:149]
	ds_load_b128 v[4:7], v2 offset:1760
	ds_load_b128 v[138:141], v2 offset:1776
	s_wait_loadcnt_dscnt 0x501
	v_mul_f64_e32 v[148:149], v[4:5], v[168:169]
	v_mul_f64_e32 v[160:161], v[6:7], v[168:169]
	s_wait_loadcnt_dscnt 0x400
	v_mul_f64_e32 v[144:145], v[138:139], v[152:153]
	v_add_f64_e32 v[132:133], v[158:159], v[156:157]
	v_add_f64_e32 v[142:143], v[146:147], v[178:179]
	v_mul_f64_e32 v[146:147], v[140:141], v[152:153]
	v_fmac_f64_e32 v[148:149], v[6:7], v[166:167]
	v_fma_f64 v[152:153], v[4:5], v[166:167], -v[160:161]
	v_fmac_f64_e32 v[144:145], v[140:141], v[150:151]
	v_add_f64_e32 v[156:157], v[132:133], v[130:131]
	v_add_f64_e32 v[142:143], v[142:143], v[154:155]
	ds_load_b128 v[4:7], v2 offset:1792
	ds_load_b128 v[130:133], v2 offset:1808
	v_fma_f64 v[138:139], v[138:139], v[150:151], -v[146:147]
	s_wait_loadcnt_dscnt 0x301
	v_mul_f64_e32 v[154:155], v[4:5], v[184:185]
	v_mul_f64_e32 v[158:159], v[6:7], v[184:185]
	s_wait_loadcnt_dscnt 0x200
	v_mul_f64_e32 v[146:147], v[130:131], v[12:13]
	v_mul_f64_e32 v[12:13], v[132:133], v[12:13]
	v_add_f64_e32 v[140:141], v[156:157], v[152:153]
	v_add_f64_e32 v[142:143], v[142:143], v[148:149]
	v_fmac_f64_e32 v[154:155], v[6:7], v[182:183]
	v_fma_f64 v[148:149], v[4:5], v[182:183], -v[158:159]
	v_fmac_f64_e32 v[146:147], v[132:133], v[10:11]
	v_fma_f64 v[10:11], v[130:131], v[10:11], -v[12:13]
	v_add_f64_e32 v[150:151], v[140:141], v[138:139]
	v_add_f64_e32 v[142:143], v[142:143], v[144:145]
	ds_load_b128 v[4:7], v2 offset:1824
	ds_load_b128 v[138:141], v2 offset:1840
	s_wait_loadcnt_dscnt 0x101
	v_mul_f64_e32 v[2:3], v[4:5], v[172:173]
	v_mul_f64_e32 v[144:145], v[6:7], v[172:173]
	s_wait_loadcnt_dscnt 0x0
	v_mul_f64_e32 v[132:133], v[138:139], v[136:137]
	v_mul_f64_e32 v[136:137], v[140:141], v[136:137]
	v_add_f64_e32 v[12:13], v[150:151], v[148:149]
	v_add_f64_e32 v[130:131], v[142:143], v[154:155]
	v_fmac_f64_e32 v[2:3], v[6:7], v[170:171]
	v_fma_f64 v[4:5], v[4:5], v[170:171], -v[144:145]
	v_fmac_f64_e32 v[132:133], v[140:141], v[134:135]
	v_add_f64_e32 v[6:7], v[12:13], v[10:11]
	v_add_f64_e32 v[10:11], v[130:131], v[146:147]
	v_fma_f64 v[12:13], v[138:139], v[134:135], -v[136:137]
	s_delay_alu instid0(VALU_DEP_3) | instskip(NEXT) | instid1(VALU_DEP_3)
	v_add_f64_e32 v[4:5], v[6:7], v[4:5]
	v_add_f64_e32 v[2:3], v[10:11], v[2:3]
	s_delay_alu instid0(VALU_DEP_2) | instskip(NEXT) | instid1(VALU_DEP_2)
	v_add_f64_e32 v[4:5], v[4:5], v[12:13]
	v_add_f64_e32 v[6:7], v[2:3], v[132:133]
	s_delay_alu instid0(VALU_DEP_2) | instskip(NEXT) | instid1(VALU_DEP_2)
	v_add_f64_e64 v[2:3], v[174:175], -v[4:5]
	v_add_f64_e64 v[4:5], v[176:177], -v[6:7]
	scratch_store_b128 off, v[2:5], off offset:80
	s_wait_xcnt 0x0
	v_cmpx_lt_u32_e32 4, v1
	s_cbranch_execz .LBB121_353
; %bb.352:
	scratch_load_b128 v[2:5], off, s12
	v_mov_b32_e32 v10, 0
	s_delay_alu instid0(VALU_DEP_1)
	v_dual_mov_b32 v11, v10 :: v_dual_mov_b32 v12, v10
	v_mov_b32_e32 v13, v10
	scratch_store_b128 off, v[10:13], off offset:64
	s_wait_loadcnt 0x0
	ds_store_b128 v8, v[2:5]
.LBB121_353:
	s_wait_xcnt 0x0
	s_or_b32 exec_lo, exec_lo, s2
	s_wait_storecnt_dscnt 0x0
	s_barrier_signal -1
	s_barrier_wait -1
	s_clause 0x9
	scratch_load_b128 v[4:7], off, off offset:80
	scratch_load_b128 v[10:13], off, off offset:96
	;; [unrolled: 1-line block ×10, first 2 shown]
	v_mov_b32_e32 v2, 0
	s_mov_b32 s2, exec_lo
	ds_load_b128 v[162:165], v2 offset:1008
	s_clause 0x2
	scratch_load_b128 v[166:169], off, off offset:240
	scratch_load_b128 v[170:173], off, off offset:64
	;; [unrolled: 1-line block ×3, first 2 shown]
	s_wait_loadcnt_dscnt 0xc00
	v_mul_f64_e32 v[182:183], v[164:165], v[6:7]
	v_mul_f64_e32 v[186:187], v[162:163], v[6:7]
	ds_load_b128 v[174:177], v2 offset:1024
	v_fma_f64 v[190:191], v[162:163], v[4:5], -v[182:183]
	v_fmac_f64_e32 v[186:187], v[164:165], v[4:5]
	ds_load_b128 v[4:7], v2 offset:1040
	s_wait_loadcnt_dscnt 0xb01
	v_mul_f64_e32 v[188:189], v[174:175], v[12:13]
	v_mul_f64_e32 v[12:13], v[176:177], v[12:13]
	scratch_load_b128 v[162:165], off, off offset:272
	ds_load_b128 v[182:185], v2 offset:1056
	s_wait_loadcnt_dscnt 0xb01
	v_mul_f64_e32 v[192:193], v[4:5], v[132:133]
	v_mul_f64_e32 v[132:133], v[6:7], v[132:133]
	v_add_f64_e32 v[186:187], 0, v[186:187]
	v_fmac_f64_e32 v[188:189], v[176:177], v[10:11]
	v_fma_f64 v[174:175], v[174:175], v[10:11], -v[12:13]
	v_add_f64_e32 v[176:177], 0, v[190:191]
	scratch_load_b128 v[10:13], off, off offset:288
	v_fmac_f64_e32 v[192:193], v[6:7], v[130:131]
	v_fma_f64 v[194:195], v[4:5], v[130:131], -v[132:133]
	ds_load_b128 v[4:7], v2 offset:1072
	s_wait_loadcnt_dscnt 0xb01
	v_mul_f64_e32 v[190:191], v[182:183], v[136:137]
	v_mul_f64_e32 v[136:137], v[184:185], v[136:137]
	scratch_load_b128 v[130:133], off, off offset:304
	v_add_f64_e32 v[186:187], v[186:187], v[188:189]
	v_add_f64_e32 v[196:197], v[176:177], v[174:175]
	ds_load_b128 v[174:177], v2 offset:1088
	s_wait_loadcnt_dscnt 0xb01
	v_mul_f64_e32 v[188:189], v[4:5], v[140:141]
	v_mul_f64_e32 v[140:141], v[6:7], v[140:141]
	v_fmac_f64_e32 v[190:191], v[184:185], v[134:135]
	v_fma_f64 v[182:183], v[182:183], v[134:135], -v[136:137]
	scratch_load_b128 v[134:137], off, off offset:320
	v_add_f64_e32 v[186:187], v[186:187], v[192:193]
	v_add_f64_e32 v[184:185], v[196:197], v[194:195]
	v_fmac_f64_e32 v[188:189], v[6:7], v[138:139]
	v_fma_f64 v[194:195], v[4:5], v[138:139], -v[140:141]
	ds_load_b128 v[4:7], v2 offset:1104
	s_wait_loadcnt_dscnt 0xb01
	v_mul_f64_e32 v[192:193], v[174:175], v[144:145]
	v_mul_f64_e32 v[144:145], v[176:177], v[144:145]
	scratch_load_b128 v[138:141], off, off offset:336
	v_add_f64_e32 v[186:187], v[186:187], v[190:191]
	s_wait_loadcnt_dscnt 0xb00
	v_mul_f64_e32 v[190:191], v[4:5], v[148:149]
	v_add_f64_e32 v[196:197], v[184:185], v[182:183]
	v_mul_f64_e32 v[148:149], v[6:7], v[148:149]
	ds_load_b128 v[182:185], v2 offset:1120
	v_fmac_f64_e32 v[192:193], v[176:177], v[142:143]
	v_fma_f64 v[174:175], v[174:175], v[142:143], -v[144:145]
	scratch_load_b128 v[142:145], off, off offset:352
	v_add_f64_e32 v[186:187], v[186:187], v[188:189]
	v_fmac_f64_e32 v[190:191], v[6:7], v[146:147]
	v_add_f64_e32 v[176:177], v[196:197], v[194:195]
	v_fma_f64 v[194:195], v[4:5], v[146:147], -v[148:149]
	ds_load_b128 v[4:7], v2 offset:1136
	s_wait_loadcnt_dscnt 0xb01
	v_mul_f64_e32 v[188:189], v[182:183], v[152:153]
	v_mul_f64_e32 v[152:153], v[184:185], v[152:153]
	scratch_load_b128 v[146:149], off, off offset:368
	v_add_f64_e32 v[186:187], v[186:187], v[192:193]
	s_wait_loadcnt_dscnt 0xb00
	v_mul_f64_e32 v[192:193], v[4:5], v[156:157]
	v_add_f64_e32 v[196:197], v[176:177], v[174:175]
	v_mul_f64_e32 v[156:157], v[6:7], v[156:157]
	ds_load_b128 v[174:177], v2 offset:1152
	v_fmac_f64_e32 v[188:189], v[184:185], v[150:151]
	v_fma_f64 v[182:183], v[182:183], v[150:151], -v[152:153]
	scratch_load_b128 v[150:153], off, off offset:384
	v_add_f64_e32 v[186:187], v[186:187], v[190:191]
	v_fmac_f64_e32 v[192:193], v[6:7], v[154:155]
	v_add_f64_e32 v[184:185], v[196:197], v[194:195]
	;; [unrolled: 18-line block ×3, first 2 shown]
	v_fma_f64 v[194:195], v[4:5], v[166:167], -v[168:169]
	ds_load_b128 v[4:7], v2 offset:1200
	s_wait_loadcnt_dscnt 0xa01
	v_mul_f64_e32 v[192:193], v[182:183], v[180:181]
	v_mul_f64_e32 v[180:181], v[184:185], v[180:181]
	scratch_load_b128 v[166:169], off, off offset:432
	v_add_f64_e32 v[186:187], v[186:187], v[190:191]
	v_add_f64_e32 v[196:197], v[176:177], v[174:175]
	s_wait_loadcnt_dscnt 0xa00
	v_mul_f64_e32 v[190:191], v[4:5], v[164:165]
	v_mul_f64_e32 v[164:165], v[6:7], v[164:165]
	v_fmac_f64_e32 v[192:193], v[184:185], v[178:179]
	v_fma_f64 v[182:183], v[182:183], v[178:179], -v[180:181]
	ds_load_b128 v[174:177], v2 offset:1216
	scratch_load_b128 v[178:181], off, off offset:448
	v_add_f64_e32 v[186:187], v[186:187], v[188:189]
	v_add_f64_e32 v[184:185], v[196:197], v[194:195]
	v_fmac_f64_e32 v[190:191], v[6:7], v[162:163]
	v_fma_f64 v[194:195], v[4:5], v[162:163], -v[164:165]
	ds_load_b128 v[4:7], v2 offset:1232
	s_wait_loadcnt_dscnt 0xa01
	v_mul_f64_e32 v[188:189], v[174:175], v[12:13]
	v_mul_f64_e32 v[12:13], v[176:177], v[12:13]
	scratch_load_b128 v[162:165], off, off offset:464
	v_add_f64_e32 v[186:187], v[186:187], v[192:193]
	s_wait_loadcnt_dscnt 0xa00
	v_mul_f64_e32 v[192:193], v[4:5], v[132:133]
	v_add_f64_e32 v[196:197], v[184:185], v[182:183]
	v_mul_f64_e32 v[132:133], v[6:7], v[132:133]
	ds_load_b128 v[182:185], v2 offset:1248
	v_fmac_f64_e32 v[188:189], v[176:177], v[10:11]
	v_fma_f64 v[174:175], v[174:175], v[10:11], -v[12:13]
	scratch_load_b128 v[10:13], off, off offset:480
	v_add_f64_e32 v[186:187], v[186:187], v[190:191]
	v_fmac_f64_e32 v[192:193], v[6:7], v[130:131]
	v_add_f64_e32 v[176:177], v[196:197], v[194:195]
	v_fma_f64 v[194:195], v[4:5], v[130:131], -v[132:133]
	ds_load_b128 v[4:7], v2 offset:1264
	s_wait_loadcnt_dscnt 0xa01
	v_mul_f64_e32 v[190:191], v[182:183], v[136:137]
	v_mul_f64_e32 v[136:137], v[184:185], v[136:137]
	scratch_load_b128 v[130:133], off, off offset:496
	v_add_f64_e32 v[186:187], v[186:187], v[188:189]
	s_wait_loadcnt_dscnt 0xa00
	v_mul_f64_e32 v[188:189], v[4:5], v[140:141]
	v_add_f64_e32 v[196:197], v[176:177], v[174:175]
	v_mul_f64_e32 v[140:141], v[6:7], v[140:141]
	ds_load_b128 v[174:177], v2 offset:1280
	v_fmac_f64_e32 v[190:191], v[184:185], v[134:135]
	v_fma_f64 v[182:183], v[182:183], v[134:135], -v[136:137]
	scratch_load_b128 v[134:137], off, off offset:512
	v_add_f64_e32 v[186:187], v[186:187], v[192:193]
	v_fmac_f64_e32 v[188:189], v[6:7], v[138:139]
	v_add_f64_e32 v[184:185], v[196:197], v[194:195]
	;; [unrolled: 18-line block ×14, first 2 shown]
	v_fma_f64 v[194:195], v[4:5], v[138:139], -v[140:141]
	ds_load_b128 v[4:7], v2 offset:1680
	s_wait_loadcnt_dscnt 0xa01
	v_mul_f64_e32 v[192:193], v[174:175], v[144:145]
	v_mul_f64_e32 v[144:145], v[176:177], v[144:145]
	scratch_load_b128 v[138:141], off, off offset:912
	v_add_f64_e32 v[186:187], v[186:187], v[190:191]
	s_wait_loadcnt_dscnt 0xa00
	v_mul_f64_e32 v[190:191], v[4:5], v[148:149]
	v_add_f64_e32 v[196:197], v[184:185], v[182:183]
	v_mul_f64_e32 v[148:149], v[6:7], v[148:149]
	ds_load_b128 v[182:185], v2 offset:1696
	v_fmac_f64_e32 v[192:193], v[176:177], v[142:143]
	v_fma_f64 v[142:143], v[174:175], v[142:143], -v[144:145]
	s_wait_loadcnt_dscnt 0x900
	v_mul_f64_e32 v[176:177], v[182:183], v[152:153]
	v_mul_f64_e32 v[152:153], v[184:185], v[152:153]
	v_add_f64_e32 v[174:175], v[186:187], v[188:189]
	v_fmac_f64_e32 v[190:191], v[6:7], v[146:147]
	v_add_f64_e32 v[144:145], v[196:197], v[194:195]
	v_fma_f64 v[146:147], v[4:5], v[146:147], -v[148:149]
	v_fmac_f64_e32 v[176:177], v[184:185], v[150:151]
	v_fma_f64 v[150:151], v[182:183], v[150:151], -v[152:153]
	v_add_f64_e32 v[174:175], v[174:175], v[192:193]
	v_add_f64_e32 v[148:149], v[144:145], v[142:143]
	ds_load_b128 v[4:7], v2 offset:1712
	ds_load_b128 v[142:145], v2 offset:1728
	s_wait_loadcnt_dscnt 0x801
	v_mul_f64_e32 v[186:187], v[4:5], v[156:157]
	v_mul_f64_e32 v[156:157], v[6:7], v[156:157]
	s_wait_loadcnt_dscnt 0x700
	v_mul_f64_e32 v[152:153], v[142:143], v[160:161]
	v_mul_f64_e32 v[160:161], v[144:145], v[160:161]
	v_add_f64_e32 v[146:147], v[148:149], v[146:147]
	v_add_f64_e32 v[148:149], v[174:175], v[190:191]
	v_fmac_f64_e32 v[186:187], v[6:7], v[154:155]
	v_fma_f64 v[154:155], v[4:5], v[154:155], -v[156:157]
	v_fmac_f64_e32 v[152:153], v[144:145], v[158:159]
	v_fma_f64 v[142:143], v[142:143], v[158:159], -v[160:161]
	v_add_f64_e32 v[150:151], v[146:147], v[150:151]
	v_add_f64_e32 v[156:157], v[148:149], v[176:177]
	ds_load_b128 v[4:7], v2 offset:1744
	ds_load_b128 v[146:149], v2 offset:1760
	s_wait_loadcnt_dscnt 0x601
	v_mul_f64_e32 v[174:175], v[4:5], v[168:169]
	v_mul_f64_e32 v[168:169], v[6:7], v[168:169]
	v_add_f64_e32 v[144:145], v[150:151], v[154:155]
	v_add_f64_e32 v[150:151], v[156:157], v[186:187]
	s_wait_loadcnt_dscnt 0x500
	v_mul_f64_e32 v[154:155], v[146:147], v[180:181]
	v_mul_f64_e32 v[156:157], v[148:149], v[180:181]
	v_fmac_f64_e32 v[174:175], v[6:7], v[166:167]
	v_fma_f64 v[158:159], v[4:5], v[166:167], -v[168:169]
	v_add_f64_e32 v[160:161], v[144:145], v[142:143]
	v_add_f64_e32 v[150:151], v[150:151], v[152:153]
	ds_load_b128 v[4:7], v2 offset:1776
	ds_load_b128 v[142:145], v2 offset:1792
	v_fmac_f64_e32 v[154:155], v[148:149], v[178:179]
	v_fma_f64 v[146:147], v[146:147], v[178:179], -v[156:157]
	s_wait_loadcnt_dscnt 0x401
	v_mul_f64_e32 v[152:153], v[4:5], v[164:165]
	v_mul_f64_e32 v[164:165], v[6:7], v[164:165]
	s_wait_loadcnt_dscnt 0x300
	v_mul_f64_e32 v[156:157], v[142:143], v[12:13]
	v_mul_f64_e32 v[12:13], v[144:145], v[12:13]
	v_add_f64_e32 v[148:149], v[160:161], v[158:159]
	v_add_f64_e32 v[150:151], v[150:151], v[174:175]
	v_fmac_f64_e32 v[152:153], v[6:7], v[162:163]
	v_fma_f64 v[158:159], v[4:5], v[162:163], -v[164:165]
	v_fmac_f64_e32 v[156:157], v[144:145], v[10:11]
	v_fma_f64 v[10:11], v[142:143], v[10:11], -v[12:13]
	v_add_f64_e32 v[160:161], v[148:149], v[146:147]
	v_add_f64_e32 v[150:151], v[150:151], v[154:155]
	ds_load_b128 v[4:7], v2 offset:1808
	ds_load_b128 v[146:149], v2 offset:1824
	s_wait_loadcnt_dscnt 0x201
	v_mul_f64_e32 v[154:155], v[4:5], v[132:133]
	v_mul_f64_e32 v[132:133], v[6:7], v[132:133]
	s_wait_loadcnt_dscnt 0x100
	v_mul_f64_e32 v[144:145], v[146:147], v[136:137]
	v_mul_f64_e32 v[136:137], v[148:149], v[136:137]
	v_add_f64_e32 v[12:13], v[160:161], v[158:159]
	v_add_f64_e32 v[142:143], v[150:151], v[152:153]
	v_fmac_f64_e32 v[154:155], v[6:7], v[130:131]
	v_fma_f64 v[130:131], v[4:5], v[130:131], -v[132:133]
	ds_load_b128 v[4:7], v2 offset:1840
	v_fmac_f64_e32 v[144:145], v[148:149], v[134:135]
	v_fma_f64 v[134:135], v[146:147], v[134:135], -v[136:137]
	v_add_f64_e32 v[10:11], v[12:13], v[10:11]
	v_add_f64_e32 v[12:13], v[142:143], v[156:157]
	s_wait_loadcnt_dscnt 0x0
	v_mul_f64_e32 v[132:133], v[4:5], v[140:141]
	v_mul_f64_e32 v[140:141], v[6:7], v[140:141]
	s_delay_alu instid0(VALU_DEP_4) | instskip(NEXT) | instid1(VALU_DEP_4)
	v_add_f64_e32 v[10:11], v[10:11], v[130:131]
	v_add_f64_e32 v[12:13], v[12:13], v[154:155]
	s_delay_alu instid0(VALU_DEP_4) | instskip(NEXT) | instid1(VALU_DEP_4)
	v_fmac_f64_e32 v[132:133], v[6:7], v[138:139]
	v_fma_f64 v[4:5], v[4:5], v[138:139], -v[140:141]
	s_delay_alu instid0(VALU_DEP_4) | instskip(NEXT) | instid1(VALU_DEP_4)
	v_add_f64_e32 v[6:7], v[10:11], v[134:135]
	v_add_f64_e32 v[10:11], v[12:13], v[144:145]
	s_delay_alu instid0(VALU_DEP_2) | instskip(NEXT) | instid1(VALU_DEP_2)
	v_add_f64_e32 v[4:5], v[6:7], v[4:5]
	v_add_f64_e32 v[6:7], v[10:11], v[132:133]
	s_delay_alu instid0(VALU_DEP_2) | instskip(NEXT) | instid1(VALU_DEP_2)
	v_add_f64_e64 v[4:5], v[170:171], -v[4:5]
	v_add_f64_e64 v[6:7], v[172:173], -v[6:7]
	scratch_store_b128 off, v[4:7], off offset:64
	s_wait_xcnt 0x0
	v_cmpx_lt_u32_e32 3, v1
	s_cbranch_execz .LBB121_355
; %bb.354:
	scratch_load_b128 v[10:13], off, s14
	v_dual_mov_b32 v3, v2 :: v_dual_mov_b32 v4, v2
	v_mov_b32_e32 v5, v2
	scratch_store_b128 off, v[2:5], off offset:48
	s_wait_loadcnt 0x0
	ds_store_b128 v8, v[10:13]
.LBB121_355:
	s_wait_xcnt 0x0
	s_or_b32 exec_lo, exec_lo, s2
	s_wait_storecnt_dscnt 0x0
	s_barrier_signal -1
	s_barrier_wait -1
	s_clause 0x9
	scratch_load_b128 v[4:7], off, off offset:64
	scratch_load_b128 v[10:13], off, off offset:80
	;; [unrolled: 1-line block ×10, first 2 shown]
	ds_load_b128 v[162:165], v2 offset:992
	ds_load_b128 v[170:173], v2 offset:1008
	s_clause 0x2
	scratch_load_b128 v[166:169], off, off offset:224
	scratch_load_b128 v[174:177], off, off offset:48
	;; [unrolled: 1-line block ×3, first 2 shown]
	s_mov_b32 s2, exec_lo
	s_wait_loadcnt_dscnt 0xc01
	v_mul_f64_e32 v[182:183], v[164:165], v[6:7]
	v_mul_f64_e32 v[186:187], v[162:163], v[6:7]
	s_wait_loadcnt_dscnt 0xb00
	v_mul_f64_e32 v[188:189], v[170:171], v[12:13]
	v_mul_f64_e32 v[12:13], v[172:173], v[12:13]
	s_delay_alu instid0(VALU_DEP_4) | instskip(NEXT) | instid1(VALU_DEP_4)
	v_fma_f64 v[190:191], v[162:163], v[4:5], -v[182:183]
	v_fmac_f64_e32 v[186:187], v[164:165], v[4:5]
	ds_load_b128 v[4:7], v2 offset:1024
	ds_load_b128 v[162:165], v2 offset:1040
	scratch_load_b128 v[182:185], off, off offset:256
	v_fmac_f64_e32 v[188:189], v[172:173], v[10:11]
	v_fma_f64 v[170:171], v[170:171], v[10:11], -v[12:13]
	scratch_load_b128 v[10:13], off, off offset:272
	s_wait_loadcnt_dscnt 0xc01
	v_mul_f64_e32 v[192:193], v[4:5], v[132:133]
	v_mul_f64_e32 v[132:133], v[6:7], v[132:133]
	v_add_f64_e32 v[172:173], 0, v[190:191]
	v_add_f64_e32 v[186:187], 0, v[186:187]
	s_wait_loadcnt_dscnt 0xb00
	v_mul_f64_e32 v[190:191], v[162:163], v[136:137]
	v_mul_f64_e32 v[136:137], v[164:165], v[136:137]
	v_fmac_f64_e32 v[192:193], v[6:7], v[130:131]
	v_fma_f64 v[194:195], v[4:5], v[130:131], -v[132:133]
	ds_load_b128 v[4:7], v2 offset:1056
	ds_load_b128 v[130:133], v2 offset:1072
	v_add_f64_e32 v[196:197], v[172:173], v[170:171]
	v_add_f64_e32 v[186:187], v[186:187], v[188:189]
	scratch_load_b128 v[170:173], off, off offset:288
	v_fmac_f64_e32 v[190:191], v[164:165], v[134:135]
	v_fma_f64 v[162:163], v[162:163], v[134:135], -v[136:137]
	scratch_load_b128 v[134:137], off, off offset:304
	s_wait_loadcnt_dscnt 0xc01
	v_mul_f64_e32 v[188:189], v[4:5], v[140:141]
	v_mul_f64_e32 v[140:141], v[6:7], v[140:141]
	v_add_f64_e32 v[164:165], v[196:197], v[194:195]
	v_add_f64_e32 v[186:187], v[186:187], v[192:193]
	s_wait_loadcnt_dscnt 0xb00
	v_mul_f64_e32 v[192:193], v[130:131], v[144:145]
	v_mul_f64_e32 v[144:145], v[132:133], v[144:145]
	v_fmac_f64_e32 v[188:189], v[6:7], v[138:139]
	v_fma_f64 v[194:195], v[4:5], v[138:139], -v[140:141]
	ds_load_b128 v[4:7], v2 offset:1088
	ds_load_b128 v[138:141], v2 offset:1104
	v_add_f64_e32 v[196:197], v[164:165], v[162:163]
	v_add_f64_e32 v[186:187], v[186:187], v[190:191]
	scratch_load_b128 v[162:165], off, off offset:320
	s_wait_loadcnt_dscnt 0xb01
	v_mul_f64_e32 v[190:191], v[4:5], v[148:149]
	v_mul_f64_e32 v[148:149], v[6:7], v[148:149]
	v_fmac_f64_e32 v[192:193], v[132:133], v[142:143]
	v_fma_f64 v[142:143], v[130:131], v[142:143], -v[144:145]
	scratch_load_b128 v[130:133], off, off offset:336
	v_add_f64_e32 v[144:145], v[196:197], v[194:195]
	v_add_f64_e32 v[186:187], v[186:187], v[188:189]
	s_wait_loadcnt_dscnt 0xb00
	v_mul_f64_e32 v[188:189], v[138:139], v[152:153]
	v_mul_f64_e32 v[152:153], v[140:141], v[152:153]
	v_fmac_f64_e32 v[190:191], v[6:7], v[146:147]
	v_fma_f64 v[194:195], v[4:5], v[146:147], -v[148:149]
	v_add_f64_e32 v[196:197], v[144:145], v[142:143]
	v_add_f64_e32 v[186:187], v[186:187], v[192:193]
	ds_load_b128 v[4:7], v2 offset:1120
	ds_load_b128 v[142:145], v2 offset:1136
	scratch_load_b128 v[146:149], off, off offset:352
	v_fmac_f64_e32 v[188:189], v[140:141], v[150:151]
	v_fma_f64 v[150:151], v[138:139], v[150:151], -v[152:153]
	scratch_load_b128 v[138:141], off, off offset:368
	s_wait_loadcnt_dscnt 0xc01
	v_mul_f64_e32 v[192:193], v[4:5], v[156:157]
	v_mul_f64_e32 v[156:157], v[6:7], v[156:157]
	v_add_f64_e32 v[152:153], v[196:197], v[194:195]
	v_add_f64_e32 v[186:187], v[186:187], v[190:191]
	s_wait_loadcnt_dscnt 0xb00
	v_mul_f64_e32 v[190:191], v[142:143], v[160:161]
	v_mul_f64_e32 v[160:161], v[144:145], v[160:161]
	v_fmac_f64_e32 v[192:193], v[6:7], v[154:155]
	v_fma_f64 v[194:195], v[4:5], v[154:155], -v[156:157]
	v_add_f64_e32 v[196:197], v[152:153], v[150:151]
	v_add_f64_e32 v[186:187], v[186:187], v[188:189]
	ds_load_b128 v[4:7], v2 offset:1152
	ds_load_b128 v[150:153], v2 offset:1168
	scratch_load_b128 v[154:157], off, off offset:384
	v_fmac_f64_e32 v[190:191], v[144:145], v[158:159]
	v_fma_f64 v[158:159], v[142:143], v[158:159], -v[160:161]
	scratch_load_b128 v[142:145], off, off offset:400
	s_wait_loadcnt_dscnt 0xc01
	v_mul_f64_e32 v[188:189], v[4:5], v[168:169]
	v_mul_f64_e32 v[168:169], v[6:7], v[168:169]
	;; [unrolled: 18-line block ×5, first 2 shown]
	v_add_f64_e32 v[180:181], v[196:197], v[194:195]
	v_add_f64_e32 v[186:187], v[186:187], v[192:193]
	s_wait_loadcnt_dscnt 0xa00
	v_mul_f64_e32 v[192:193], v[158:159], v[132:133]
	v_mul_f64_e32 v[132:133], v[160:161], v[132:133]
	v_fmac_f64_e32 v[188:189], v[6:7], v[162:163]
	v_fma_f64 v[194:195], v[4:5], v[162:163], -v[164:165]
	ds_load_b128 v[4:7], v2 offset:1280
	ds_load_b128 v[162:165], v2 offset:1296
	v_add_f64_e32 v[196:197], v[180:181], v[178:179]
	v_add_f64_e32 v[186:187], v[186:187], v[190:191]
	scratch_load_b128 v[178:181], off, off offset:512
	v_fmac_f64_e32 v[192:193], v[160:161], v[130:131]
	v_fma_f64 v[158:159], v[158:159], v[130:131], -v[132:133]
	scratch_load_b128 v[130:133], off, off offset:528
	s_wait_loadcnt_dscnt 0xb01
	v_mul_f64_e32 v[190:191], v[4:5], v[148:149]
	v_mul_f64_e32 v[148:149], v[6:7], v[148:149]
	v_add_f64_e32 v[160:161], v[196:197], v[194:195]
	v_add_f64_e32 v[186:187], v[186:187], v[188:189]
	s_wait_loadcnt_dscnt 0xa00
	v_mul_f64_e32 v[188:189], v[162:163], v[140:141]
	v_mul_f64_e32 v[140:141], v[164:165], v[140:141]
	v_fmac_f64_e32 v[190:191], v[6:7], v[146:147]
	v_fma_f64 v[194:195], v[4:5], v[146:147], -v[148:149]
	ds_load_b128 v[4:7], v2 offset:1312
	ds_load_b128 v[146:149], v2 offset:1328
	v_add_f64_e32 v[196:197], v[160:161], v[158:159]
	v_add_f64_e32 v[186:187], v[186:187], v[192:193]
	scratch_load_b128 v[158:161], off, off offset:544
	s_wait_loadcnt_dscnt 0xa01
	v_mul_f64_e32 v[192:193], v[4:5], v[156:157]
	v_mul_f64_e32 v[156:157], v[6:7], v[156:157]
	v_fmac_f64_e32 v[188:189], v[164:165], v[138:139]
	v_fma_f64 v[162:163], v[162:163], v[138:139], -v[140:141]
	scratch_load_b128 v[138:141], off, off offset:560
	v_add_f64_e32 v[164:165], v[196:197], v[194:195]
	v_add_f64_e32 v[186:187], v[186:187], v[190:191]
	s_wait_loadcnt_dscnt 0xa00
	v_mul_f64_e32 v[190:191], v[146:147], v[144:145]
	v_mul_f64_e32 v[144:145], v[148:149], v[144:145]
	v_fmac_f64_e32 v[192:193], v[6:7], v[154:155]
	v_fma_f64 v[194:195], v[4:5], v[154:155], -v[156:157]
	ds_load_b128 v[4:7], v2 offset:1344
	ds_load_b128 v[154:157], v2 offset:1360
	v_add_f64_e32 v[196:197], v[164:165], v[162:163]
	v_add_f64_e32 v[186:187], v[186:187], v[188:189]
	scratch_load_b128 v[162:165], off, off offset:576
	s_wait_loadcnt_dscnt 0xa01
	v_mul_f64_e32 v[188:189], v[4:5], v[168:169]
	v_mul_f64_e32 v[168:169], v[6:7], v[168:169]
	v_fmac_f64_e32 v[190:191], v[148:149], v[142:143]
	v_fma_f64 v[146:147], v[146:147], v[142:143], -v[144:145]
	scratch_load_b128 v[142:145], off, off offset:592
	v_add_f64_e32 v[148:149], v[196:197], v[194:195]
	v_add_f64_e32 v[186:187], v[186:187], v[192:193]
	s_wait_loadcnt_dscnt 0xa00
	v_mul_f64_e32 v[192:193], v[154:155], v[152:153]
	v_mul_f64_e32 v[152:153], v[156:157], v[152:153]
	v_fmac_f64_e32 v[188:189], v[6:7], v[166:167]
	v_fma_f64 v[194:195], v[4:5], v[166:167], -v[168:169]
	v_add_f64_e32 v[196:197], v[148:149], v[146:147]
	v_add_f64_e32 v[186:187], v[186:187], v[190:191]
	ds_load_b128 v[4:7], v2 offset:1376
	ds_load_b128 v[146:149], v2 offset:1392
	scratch_load_b128 v[166:169], off, off offset:608
	v_fmac_f64_e32 v[192:193], v[156:157], v[150:151]
	v_fma_f64 v[154:155], v[154:155], v[150:151], -v[152:153]
	scratch_load_b128 v[150:153], off, off offset:624
	s_wait_loadcnt_dscnt 0xb01
	v_mul_f64_e32 v[190:191], v[4:5], v[184:185]
	v_mul_f64_e32 v[184:185], v[6:7], v[184:185]
	v_add_f64_e32 v[156:157], v[196:197], v[194:195]
	v_add_f64_e32 v[186:187], v[186:187], v[188:189]
	s_wait_loadcnt_dscnt 0xa00
	v_mul_f64_e32 v[188:189], v[146:147], v[12:13]
	v_mul_f64_e32 v[12:13], v[148:149], v[12:13]
	v_fmac_f64_e32 v[190:191], v[6:7], v[182:183]
	v_fma_f64 v[194:195], v[4:5], v[182:183], -v[184:185]
	v_add_f64_e32 v[196:197], v[156:157], v[154:155]
	v_add_f64_e32 v[186:187], v[186:187], v[192:193]
	ds_load_b128 v[4:7], v2 offset:1408
	ds_load_b128 v[154:157], v2 offset:1424
	scratch_load_b128 v[182:185], off, off offset:640
	v_fmac_f64_e32 v[188:189], v[148:149], v[10:11]
	v_fma_f64 v[146:147], v[146:147], v[10:11], -v[12:13]
	scratch_load_b128 v[10:13], off, off offset:656
	s_wait_loadcnt_dscnt 0xb01
	v_mul_f64_e32 v[192:193], v[4:5], v[172:173]
	v_mul_f64_e32 v[172:173], v[6:7], v[172:173]
	;; [unrolled: 18-line block ×10, first 2 shown]
	v_add_f64_e32 v[148:149], v[196:197], v[194:195]
	v_add_f64_e32 v[186:187], v[186:187], v[188:189]
	s_wait_loadcnt_dscnt 0xa00
	v_mul_f64_e32 v[188:189], v[154:155], v[140:141]
	v_mul_f64_e32 v[140:141], v[156:157], v[140:141]
	v_fmac_f64_e32 v[190:191], v[6:7], v[158:159]
	v_fma_f64 v[158:159], v[4:5], v[158:159], -v[160:161]
	v_add_f64_e32 v[160:161], v[148:149], v[146:147]
	v_add_f64_e32 v[186:187], v[186:187], v[192:193]
	ds_load_b128 v[4:7], v2 offset:1696
	ds_load_b128 v[146:149], v2 offset:1712
	v_fmac_f64_e32 v[188:189], v[156:157], v[138:139]
	v_fma_f64 v[138:139], v[154:155], v[138:139], -v[140:141]
	s_wait_loadcnt_dscnt 0x901
	v_mul_f64_e32 v[192:193], v[4:5], v[164:165]
	v_mul_f64_e32 v[164:165], v[6:7], v[164:165]
	s_wait_loadcnt_dscnt 0x800
	v_mul_f64_e32 v[156:157], v[146:147], v[144:145]
	v_mul_f64_e32 v[144:145], v[148:149], v[144:145]
	v_add_f64_e32 v[140:141], v[160:161], v[158:159]
	v_add_f64_e32 v[154:155], v[186:187], v[190:191]
	v_fmac_f64_e32 v[192:193], v[6:7], v[162:163]
	v_fma_f64 v[158:159], v[4:5], v[162:163], -v[164:165]
	v_fmac_f64_e32 v[156:157], v[148:149], v[142:143]
	v_fma_f64 v[142:143], v[146:147], v[142:143], -v[144:145]
	v_add_f64_e32 v[160:161], v[140:141], v[138:139]
	v_add_f64_e32 v[154:155], v[154:155], v[188:189]
	ds_load_b128 v[4:7], v2 offset:1728
	ds_load_b128 v[138:141], v2 offset:1744
	s_wait_loadcnt_dscnt 0x701
	v_mul_f64_e32 v[162:163], v[4:5], v[168:169]
	v_mul_f64_e32 v[164:165], v[6:7], v[168:169]
	s_wait_loadcnt_dscnt 0x600
	v_mul_f64_e32 v[148:149], v[138:139], v[152:153]
	v_mul_f64_e32 v[152:153], v[140:141], v[152:153]
	v_add_f64_e32 v[144:145], v[160:161], v[158:159]
	v_add_f64_e32 v[146:147], v[154:155], v[192:193]
	v_fmac_f64_e32 v[162:163], v[6:7], v[166:167]
	v_fma_f64 v[154:155], v[4:5], v[166:167], -v[164:165]
	v_fmac_f64_e32 v[148:149], v[140:141], v[150:151]
	v_fma_f64 v[138:139], v[138:139], v[150:151], -v[152:153]
	v_add_f64_e32 v[158:159], v[144:145], v[142:143]
	v_add_f64_e32 v[146:147], v[146:147], v[156:157]
	ds_load_b128 v[4:7], v2 offset:1760
	ds_load_b128 v[142:145], v2 offset:1776
	;; [unrolled: 16-line block ×4, first 2 shown]
	s_wait_loadcnt_dscnt 0x101
	v_mul_f64_e32 v[2:3], v[4:5], v[180:181]
	v_mul_f64_e32 v[150:151], v[6:7], v[180:181]
	s_wait_loadcnt_dscnt 0x0
	v_mul_f64_e32 v[140:141], v[10:11], v[132:133]
	v_mul_f64_e32 v[132:133], v[12:13], v[132:133]
	v_add_f64_e32 v[136:137], v[152:153], v[146:147]
	v_add_f64_e32 v[138:139], v[142:143], v[148:149]
	v_fmac_f64_e32 v[2:3], v[6:7], v[178:179]
	v_fma_f64 v[4:5], v[4:5], v[178:179], -v[150:151]
	v_fmac_f64_e32 v[140:141], v[12:13], v[130:131]
	v_fma_f64 v[10:11], v[10:11], v[130:131], -v[132:133]
	v_add_f64_e32 v[6:7], v[136:137], v[134:135]
	v_add_f64_e32 v[134:135], v[138:139], v[144:145]
	s_delay_alu instid0(VALU_DEP_2) | instskip(NEXT) | instid1(VALU_DEP_2)
	v_add_f64_e32 v[4:5], v[6:7], v[4:5]
	v_add_f64_e32 v[2:3], v[134:135], v[2:3]
	s_delay_alu instid0(VALU_DEP_2) | instskip(NEXT) | instid1(VALU_DEP_2)
	;; [unrolled: 3-line block ×3, first 2 shown]
	v_add_f64_e64 v[2:3], v[174:175], -v[4:5]
	v_add_f64_e64 v[4:5], v[176:177], -v[6:7]
	scratch_store_b128 off, v[2:5], off offset:48
	s_wait_xcnt 0x0
	v_cmpx_lt_u32_e32 2, v1
	s_cbranch_execz .LBB121_357
; %bb.356:
	scratch_load_b128 v[2:5], off, s16
	v_mov_b32_e32 v10, 0
	s_delay_alu instid0(VALU_DEP_1)
	v_dual_mov_b32 v11, v10 :: v_dual_mov_b32 v12, v10
	v_mov_b32_e32 v13, v10
	scratch_store_b128 off, v[10:13], off offset:32
	s_wait_loadcnt 0x0
	ds_store_b128 v8, v[2:5]
.LBB121_357:
	s_wait_xcnt 0x0
	s_or_b32 exec_lo, exec_lo, s2
	s_wait_storecnt_dscnt 0x0
	s_barrier_signal -1
	s_barrier_wait -1
	s_clause 0x9
	scratch_load_b128 v[4:7], off, off offset:48
	scratch_load_b128 v[10:13], off, off offset:64
	;; [unrolled: 1-line block ×10, first 2 shown]
	v_mov_b32_e32 v2, 0
	s_mov_b32 s2, exec_lo
	v_dual_ashrrev_i32 v21, 31, v20 :: v_dual_ashrrev_i32 v19, 31, v18
	v_ashrrev_i32_e32 v23, 31, v22
	ds_load_b128 v[162:165], v2 offset:976
	s_clause 0x2
	scratch_load_b128 v[166:169], off, off offset:208
	scratch_load_b128 v[170:173], off, off offset:32
	;; [unrolled: 1-line block ×3, first 2 shown]
	v_ashrrev_i32_e32 v27, 31, v26
	v_ashrrev_i32_e32 v31, 31, v30
	v_dual_ashrrev_i32 v35, 31, v34 :: v_dual_ashrrev_i32 v25, 31, v24
	v_ashrrev_i32_e32 v29, 31, v28
	v_ashrrev_i32_e32 v33, 31, v32
	v_dual_ashrrev_i32 v37, 31, v36 :: v_dual_ashrrev_i32 v39, 31, v38
	v_dual_ashrrev_i32 v43, 31, v42 :: v_dual_ashrrev_i32 v41, 31, v40
	v_ashrrev_i32_e32 v47, 31, v46
	v_ashrrev_i32_e32 v51, 31, v50
	v_dual_ashrrev_i32 v55, 31, v54 :: v_dual_ashrrev_i32 v45, 31, v44
	v_dual_ashrrev_i32 v49, 31, v48 :: v_dual_ashrrev_i32 v59, 31, v58
	;; [unrolled: 1-line block ×10, first 2 shown]
	v_ashrrev_i32_e32 v95, 31, v94
	v_dual_ashrrev_i32 v99, 31, v98 :: v_dual_ashrrev_i32 v85, 31, v84
	v_ashrrev_i32_e32 v89, 31, v88
	v_dual_ashrrev_i32 v93, 31, v92 :: v_dual_ashrrev_i32 v103, 31, v102
	v_dual_ashrrev_i32 v107, 31, v106 :: v_dual_ashrrev_i32 v97, 31, v96
	;; [unrolled: 1-line block ×3, first 2 shown]
	v_ashrrev_i32_e32 v115, 31, v114
	v_dual_ashrrev_i32 v119, 31, v118 :: v_dual_ashrrev_i32 v105, 31, v104
	v_dual_ashrrev_i32 v123, 31, v122 :: v_dual_ashrrev_i32 v109, 31, v108
	;; [unrolled: 1-line block ×3, first 2 shown]
	v_ashrrev_i32_e32 v117, 31, v116
	v_ashrrev_i32_e32 v121, 31, v120
	;; [unrolled: 1-line block ×3, first 2 shown]
	s_wait_loadcnt_dscnt 0xc00
	v_dual_mul_f64 v[182:183], v[164:165], v[6:7] :: v_dual_ashrrev_i32 v129, 31, v128
	v_mul_f64_e32 v[186:187], v[162:163], v[6:7]
	ds_load_b128 v[174:177], v2 offset:992
	v_fma_f64 v[190:191], v[162:163], v[4:5], -v[182:183]
	v_fmac_f64_e32 v[186:187], v[164:165], v[4:5]
	ds_load_b128 v[4:7], v2 offset:1008
	s_wait_loadcnt_dscnt 0xb01
	v_mul_f64_e32 v[188:189], v[174:175], v[12:13]
	v_mul_f64_e32 v[12:13], v[176:177], v[12:13]
	scratch_load_b128 v[162:165], off, off offset:240
	ds_load_b128 v[182:185], v2 offset:1024
	s_wait_loadcnt_dscnt 0xb01
	v_mul_f64_e32 v[192:193], v[4:5], v[132:133]
	v_mul_f64_e32 v[132:133], v[6:7], v[132:133]
	v_add_f64_e32 v[186:187], 0, v[186:187]
	v_fmac_f64_e32 v[188:189], v[176:177], v[10:11]
	v_fma_f64 v[174:175], v[174:175], v[10:11], -v[12:13]
	v_add_f64_e32 v[176:177], 0, v[190:191]
	scratch_load_b128 v[10:13], off, off offset:256
	v_fmac_f64_e32 v[192:193], v[6:7], v[130:131]
	v_fma_f64 v[194:195], v[4:5], v[130:131], -v[132:133]
	ds_load_b128 v[4:7], v2 offset:1040
	s_wait_loadcnt_dscnt 0xb01
	v_mul_f64_e32 v[190:191], v[182:183], v[136:137]
	v_mul_f64_e32 v[136:137], v[184:185], v[136:137]
	scratch_load_b128 v[130:133], off, off offset:272
	v_add_f64_e32 v[186:187], v[186:187], v[188:189]
	v_add_f64_e32 v[196:197], v[176:177], v[174:175]
	ds_load_b128 v[174:177], v2 offset:1056
	s_wait_loadcnt_dscnt 0xb01
	v_mul_f64_e32 v[188:189], v[4:5], v[140:141]
	v_mul_f64_e32 v[140:141], v[6:7], v[140:141]
	v_fmac_f64_e32 v[190:191], v[184:185], v[134:135]
	v_fma_f64 v[182:183], v[182:183], v[134:135], -v[136:137]
	scratch_load_b128 v[134:137], off, off offset:288
	v_add_f64_e32 v[186:187], v[186:187], v[192:193]
	v_add_f64_e32 v[184:185], v[196:197], v[194:195]
	v_fmac_f64_e32 v[188:189], v[6:7], v[138:139]
	v_fma_f64 v[194:195], v[4:5], v[138:139], -v[140:141]
	ds_load_b128 v[4:7], v2 offset:1072
	s_wait_loadcnt_dscnt 0xb01
	v_mul_f64_e32 v[192:193], v[174:175], v[144:145]
	v_mul_f64_e32 v[144:145], v[176:177], v[144:145]
	scratch_load_b128 v[138:141], off, off offset:304
	v_add_f64_e32 v[186:187], v[186:187], v[190:191]
	s_wait_loadcnt_dscnt 0xb00
	v_mul_f64_e32 v[190:191], v[4:5], v[148:149]
	v_add_f64_e32 v[196:197], v[184:185], v[182:183]
	v_mul_f64_e32 v[148:149], v[6:7], v[148:149]
	ds_load_b128 v[182:185], v2 offset:1088
	v_fmac_f64_e32 v[192:193], v[176:177], v[142:143]
	v_fma_f64 v[174:175], v[174:175], v[142:143], -v[144:145]
	scratch_load_b128 v[142:145], off, off offset:320
	v_add_f64_e32 v[186:187], v[186:187], v[188:189]
	v_fmac_f64_e32 v[190:191], v[6:7], v[146:147]
	v_add_f64_e32 v[176:177], v[196:197], v[194:195]
	v_fma_f64 v[194:195], v[4:5], v[146:147], -v[148:149]
	ds_load_b128 v[4:7], v2 offset:1104
	s_wait_loadcnt_dscnt 0xb01
	v_mul_f64_e32 v[188:189], v[182:183], v[152:153]
	v_mul_f64_e32 v[152:153], v[184:185], v[152:153]
	scratch_load_b128 v[146:149], off, off offset:336
	v_add_f64_e32 v[186:187], v[186:187], v[192:193]
	s_wait_loadcnt_dscnt 0xb00
	v_mul_f64_e32 v[192:193], v[4:5], v[156:157]
	v_add_f64_e32 v[196:197], v[176:177], v[174:175]
	v_mul_f64_e32 v[156:157], v[6:7], v[156:157]
	ds_load_b128 v[174:177], v2 offset:1120
	v_fmac_f64_e32 v[188:189], v[184:185], v[150:151]
	v_fma_f64 v[182:183], v[182:183], v[150:151], -v[152:153]
	scratch_load_b128 v[150:153], off, off offset:352
	v_add_f64_e32 v[186:187], v[186:187], v[190:191]
	v_fmac_f64_e32 v[192:193], v[6:7], v[154:155]
	v_add_f64_e32 v[184:185], v[196:197], v[194:195]
	;; [unrolled: 18-line block ×3, first 2 shown]
	v_fma_f64 v[194:195], v[4:5], v[166:167], -v[168:169]
	ds_load_b128 v[4:7], v2 offset:1168
	s_wait_loadcnt_dscnt 0xa01
	v_mul_f64_e32 v[192:193], v[182:183], v[180:181]
	v_mul_f64_e32 v[180:181], v[184:185], v[180:181]
	scratch_load_b128 v[166:169], off, off offset:400
	v_add_f64_e32 v[186:187], v[186:187], v[190:191]
	v_add_f64_e32 v[196:197], v[176:177], v[174:175]
	s_wait_loadcnt_dscnt 0xa00
	v_mul_f64_e32 v[190:191], v[4:5], v[164:165]
	v_mul_f64_e32 v[164:165], v[6:7], v[164:165]
	v_fmac_f64_e32 v[192:193], v[184:185], v[178:179]
	v_fma_f64 v[182:183], v[182:183], v[178:179], -v[180:181]
	ds_load_b128 v[174:177], v2 offset:1184
	scratch_load_b128 v[178:181], off, off offset:416
	v_add_f64_e32 v[186:187], v[186:187], v[188:189]
	v_add_f64_e32 v[184:185], v[196:197], v[194:195]
	v_fmac_f64_e32 v[190:191], v[6:7], v[162:163]
	v_fma_f64 v[194:195], v[4:5], v[162:163], -v[164:165]
	ds_load_b128 v[4:7], v2 offset:1200
	s_wait_loadcnt_dscnt 0xa01
	v_mul_f64_e32 v[188:189], v[174:175], v[12:13]
	v_mul_f64_e32 v[12:13], v[176:177], v[12:13]
	scratch_load_b128 v[162:165], off, off offset:432
	v_add_f64_e32 v[186:187], v[186:187], v[192:193]
	s_wait_loadcnt_dscnt 0xa00
	v_mul_f64_e32 v[192:193], v[4:5], v[132:133]
	v_add_f64_e32 v[196:197], v[184:185], v[182:183]
	v_mul_f64_e32 v[132:133], v[6:7], v[132:133]
	ds_load_b128 v[182:185], v2 offset:1216
	v_fmac_f64_e32 v[188:189], v[176:177], v[10:11]
	v_fma_f64 v[174:175], v[174:175], v[10:11], -v[12:13]
	scratch_load_b128 v[10:13], off, off offset:448
	v_add_f64_e32 v[186:187], v[186:187], v[190:191]
	v_fmac_f64_e32 v[192:193], v[6:7], v[130:131]
	v_add_f64_e32 v[176:177], v[196:197], v[194:195]
	v_fma_f64 v[194:195], v[4:5], v[130:131], -v[132:133]
	ds_load_b128 v[4:7], v2 offset:1232
	s_wait_loadcnt_dscnt 0xa01
	v_mul_f64_e32 v[190:191], v[182:183], v[136:137]
	v_mul_f64_e32 v[136:137], v[184:185], v[136:137]
	scratch_load_b128 v[130:133], off, off offset:464
	v_add_f64_e32 v[186:187], v[186:187], v[188:189]
	s_wait_loadcnt_dscnt 0xa00
	v_mul_f64_e32 v[188:189], v[4:5], v[140:141]
	v_add_f64_e32 v[196:197], v[176:177], v[174:175]
	v_mul_f64_e32 v[140:141], v[6:7], v[140:141]
	ds_load_b128 v[174:177], v2 offset:1248
	v_fmac_f64_e32 v[190:191], v[184:185], v[134:135]
	v_fma_f64 v[182:183], v[182:183], v[134:135], -v[136:137]
	scratch_load_b128 v[134:137], off, off offset:480
	v_add_f64_e32 v[186:187], v[186:187], v[192:193]
	v_fmac_f64_e32 v[188:189], v[6:7], v[138:139]
	v_add_f64_e32 v[184:185], v[196:197], v[194:195]
	;; [unrolled: 18-line block ×15, first 2 shown]
	v_fma_f64 v[194:195], v[4:5], v[146:147], -v[148:149]
	ds_load_b128 v[4:7], v2 offset:1680
	s_wait_loadcnt_dscnt 0xa01
	v_mul_f64_e32 v[188:189], v[182:183], v[152:153]
	v_mul_f64_e32 v[152:153], v[184:185], v[152:153]
	scratch_load_b128 v[146:149], off, off offset:912
	v_add_f64_e32 v[186:187], v[186:187], v[192:193]
	s_wait_loadcnt_dscnt 0xa00
	v_mul_f64_e32 v[192:193], v[4:5], v[156:157]
	v_add_f64_e32 v[196:197], v[176:177], v[174:175]
	v_mul_f64_e32 v[156:157], v[6:7], v[156:157]
	ds_load_b128 v[174:177], v2 offset:1696
	v_fmac_f64_e32 v[188:189], v[184:185], v[150:151]
	v_fma_f64 v[150:151], v[182:183], v[150:151], -v[152:153]
	s_wait_loadcnt_dscnt 0x900
	v_mul_f64_e32 v[184:185], v[174:175], v[160:161]
	v_mul_f64_e32 v[160:161], v[176:177], v[160:161]
	v_add_f64_e32 v[182:183], v[186:187], v[190:191]
	v_fmac_f64_e32 v[192:193], v[6:7], v[154:155]
	v_add_f64_e32 v[152:153], v[196:197], v[194:195]
	v_fma_f64 v[154:155], v[4:5], v[154:155], -v[156:157]
	v_fmac_f64_e32 v[184:185], v[176:177], v[158:159]
	v_fma_f64 v[158:159], v[174:175], v[158:159], -v[160:161]
	v_add_f64_e32 v[182:183], v[182:183], v[188:189]
	v_add_f64_e32 v[156:157], v[152:153], v[150:151]
	ds_load_b128 v[4:7], v2 offset:1712
	ds_load_b128 v[150:153], v2 offset:1728
	s_wait_loadcnt_dscnt 0x801
	v_mul_f64_e32 v[186:187], v[4:5], v[168:169]
	v_mul_f64_e32 v[168:169], v[6:7], v[168:169]
	s_wait_loadcnt_dscnt 0x700
	v_mul_f64_e32 v[160:161], v[150:151], v[180:181]
	v_mul_f64_e32 v[174:175], v[152:153], v[180:181]
	v_add_f64_e32 v[154:155], v[156:157], v[154:155]
	v_add_f64_e32 v[156:157], v[182:183], v[192:193]
	v_fmac_f64_e32 v[186:187], v[6:7], v[166:167]
	v_fma_f64 v[166:167], v[4:5], v[166:167], -v[168:169]
	v_fmac_f64_e32 v[160:161], v[152:153], v[178:179]
	v_fma_f64 v[150:151], v[150:151], v[178:179], -v[174:175]
	v_add_f64_e32 v[158:159], v[154:155], v[158:159]
	v_add_f64_e32 v[168:169], v[156:157], v[184:185]
	ds_load_b128 v[4:7], v2 offset:1744
	ds_load_b128 v[154:157], v2 offset:1760
	s_wait_loadcnt_dscnt 0x601
	v_mul_f64_e32 v[176:177], v[4:5], v[164:165]
	v_mul_f64_e32 v[164:165], v[6:7], v[164:165]
	v_add_f64_e32 v[152:153], v[158:159], v[166:167]
	v_add_f64_e32 v[158:159], v[168:169], v[186:187]
	s_wait_loadcnt_dscnt 0x500
	v_mul_f64_e32 v[166:167], v[154:155], v[12:13]
	v_mul_f64_e32 v[12:13], v[156:157], v[12:13]
	v_fmac_f64_e32 v[176:177], v[6:7], v[162:163]
	v_fma_f64 v[162:163], v[4:5], v[162:163], -v[164:165]
	v_add_f64_e32 v[164:165], v[152:153], v[150:151]
	v_add_f64_e32 v[158:159], v[158:159], v[160:161]
	ds_load_b128 v[4:7], v2 offset:1776
	ds_load_b128 v[150:153], v2 offset:1792
	v_fmac_f64_e32 v[166:167], v[156:157], v[10:11]
	v_fma_f64 v[10:11], v[154:155], v[10:11], -v[12:13]
	s_wait_loadcnt_dscnt 0x401
	v_mul_f64_e32 v[160:161], v[4:5], v[132:133]
	v_mul_f64_e32 v[132:133], v[6:7], v[132:133]
	s_wait_loadcnt_dscnt 0x300
	v_mul_f64_e32 v[156:157], v[150:151], v[136:137]
	v_mul_f64_e32 v[136:137], v[152:153], v[136:137]
	v_add_f64_e32 v[12:13], v[164:165], v[162:163]
	v_add_f64_e32 v[154:155], v[158:159], v[176:177]
	v_fmac_f64_e32 v[160:161], v[6:7], v[130:131]
	v_fma_f64 v[130:131], v[4:5], v[130:131], -v[132:133]
	v_fmac_f64_e32 v[156:157], v[152:153], v[134:135]
	v_fma_f64 v[134:135], v[150:151], v[134:135], -v[136:137]
	v_add_f64_e32 v[132:133], v[12:13], v[10:11]
	v_add_f64_e32 v[154:155], v[154:155], v[166:167]
	ds_load_b128 v[4:7], v2 offset:1808
	ds_load_b128 v[10:13], v2 offset:1824
	s_wait_loadcnt_dscnt 0x201
	v_mul_f64_e32 v[158:159], v[4:5], v[140:141]
	v_mul_f64_e32 v[140:141], v[6:7], v[140:141]
	s_wait_loadcnt_dscnt 0x100
	v_mul_f64_e32 v[136:137], v[10:11], v[144:145]
	v_mul_f64_e32 v[144:145], v[12:13], v[144:145]
	v_add_f64_e32 v[130:131], v[132:133], v[130:131]
	v_add_f64_e32 v[132:133], v[154:155], v[160:161]
	v_fmac_f64_e32 v[158:159], v[6:7], v[138:139]
	v_fma_f64 v[138:139], v[4:5], v[138:139], -v[140:141]
	ds_load_b128 v[4:7], v2 offset:1840
	v_fmac_f64_e32 v[136:137], v[12:13], v[142:143]
	v_fma_f64 v[10:11], v[10:11], v[142:143], -v[144:145]
	v_add_f64_e32 v[130:131], v[130:131], v[134:135]
	v_add_f64_e32 v[132:133], v[132:133], v[156:157]
	s_wait_loadcnt_dscnt 0x0
	v_mul_f64_e32 v[134:135], v[4:5], v[148:149]
	v_mul_f64_e32 v[140:141], v[6:7], v[148:149]
	s_delay_alu instid0(VALU_DEP_4) | instskip(NEXT) | instid1(VALU_DEP_4)
	v_add_f64_e32 v[12:13], v[130:131], v[138:139]
	v_add_f64_e32 v[130:131], v[132:133], v[158:159]
	s_delay_alu instid0(VALU_DEP_4) | instskip(NEXT) | instid1(VALU_DEP_4)
	v_fmac_f64_e32 v[134:135], v[6:7], v[146:147]
	v_fma_f64 v[4:5], v[4:5], v[146:147], -v[140:141]
	s_delay_alu instid0(VALU_DEP_4) | instskip(NEXT) | instid1(VALU_DEP_4)
	v_add_f64_e32 v[6:7], v[12:13], v[10:11]
	v_add_f64_e32 v[10:11], v[130:131], v[136:137]
	s_delay_alu instid0(VALU_DEP_2) | instskip(NEXT) | instid1(VALU_DEP_2)
	v_add_f64_e32 v[4:5], v[6:7], v[4:5]
	v_add_f64_e32 v[6:7], v[10:11], v[134:135]
	s_delay_alu instid0(VALU_DEP_2) | instskip(NEXT) | instid1(VALU_DEP_2)
	v_add_f64_e64 v[4:5], v[170:171], -v[4:5]
	v_add_f64_e64 v[6:7], v[172:173], -v[6:7]
	scratch_store_b128 off, v[4:7], off offset:32
	s_wait_xcnt 0x0
	v_cmpx_lt_u32_e32 1, v1
	s_cbranch_execz .LBB121_359
; %bb.358:
	scratch_load_b128 v[10:13], off, s18
	v_dual_mov_b32 v3, v2 :: v_dual_mov_b32 v4, v2
	v_mov_b32_e32 v5, v2
	scratch_store_b128 off, v[2:5], off offset:16
	s_wait_loadcnt 0x0
	ds_store_b128 v8, v[10:13]
.LBB121_359:
	s_wait_xcnt 0x0
	s_or_b32 exec_lo, exec_lo, s2
	s_wait_storecnt_dscnt 0x0
	s_barrier_signal -1
	s_barrier_wait -1
	s_clause 0x9
	scratch_load_b128 v[4:7], off, off offset:32
	scratch_load_b128 v[10:13], off, off offset:48
	;; [unrolled: 1-line block ×10, first 2 shown]
	ds_load_b128 v[162:165], v2 offset:960
	ds_load_b128 v[170:173], v2 offset:976
	s_clause 0x2
	scratch_load_b128 v[166:169], off, off offset:192
	scratch_load_b128 v[174:177], off, off offset:16
	scratch_load_b128 v[178:181], off, off offset:208
	s_mov_b32 s2, exec_lo
	s_wait_loadcnt_dscnt 0xc01
	v_mul_f64_e32 v[182:183], v[164:165], v[6:7]
	v_mul_f64_e32 v[186:187], v[162:163], v[6:7]
	s_wait_loadcnt_dscnt 0xb00
	v_mul_f64_e32 v[188:189], v[170:171], v[12:13]
	v_mul_f64_e32 v[12:13], v[172:173], v[12:13]
	s_delay_alu instid0(VALU_DEP_4) | instskip(NEXT) | instid1(VALU_DEP_4)
	v_fma_f64 v[190:191], v[162:163], v[4:5], -v[182:183]
	v_fmac_f64_e32 v[186:187], v[164:165], v[4:5]
	ds_load_b128 v[4:7], v2 offset:992
	ds_load_b128 v[162:165], v2 offset:1008
	scratch_load_b128 v[182:185], off, off offset:224
	v_fmac_f64_e32 v[188:189], v[172:173], v[10:11]
	v_fma_f64 v[170:171], v[170:171], v[10:11], -v[12:13]
	scratch_load_b128 v[10:13], off, off offset:240
	s_wait_loadcnt_dscnt 0xc01
	v_mul_f64_e32 v[192:193], v[4:5], v[132:133]
	v_mul_f64_e32 v[132:133], v[6:7], v[132:133]
	v_add_f64_e32 v[172:173], 0, v[190:191]
	v_add_f64_e32 v[186:187], 0, v[186:187]
	s_wait_loadcnt_dscnt 0xb00
	v_mul_f64_e32 v[190:191], v[162:163], v[136:137]
	v_mul_f64_e32 v[136:137], v[164:165], v[136:137]
	v_fmac_f64_e32 v[192:193], v[6:7], v[130:131]
	v_fma_f64 v[194:195], v[4:5], v[130:131], -v[132:133]
	ds_load_b128 v[4:7], v2 offset:1024
	ds_load_b128 v[130:133], v2 offset:1040
	v_add_f64_e32 v[196:197], v[172:173], v[170:171]
	v_add_f64_e32 v[186:187], v[186:187], v[188:189]
	scratch_load_b128 v[170:173], off, off offset:256
	v_fmac_f64_e32 v[190:191], v[164:165], v[134:135]
	v_fma_f64 v[162:163], v[162:163], v[134:135], -v[136:137]
	scratch_load_b128 v[134:137], off, off offset:272
	s_wait_loadcnt_dscnt 0xc01
	v_mul_f64_e32 v[188:189], v[4:5], v[140:141]
	v_mul_f64_e32 v[140:141], v[6:7], v[140:141]
	v_add_f64_e32 v[164:165], v[196:197], v[194:195]
	v_add_f64_e32 v[186:187], v[186:187], v[192:193]
	s_wait_loadcnt_dscnt 0xb00
	v_mul_f64_e32 v[192:193], v[130:131], v[144:145]
	v_mul_f64_e32 v[144:145], v[132:133], v[144:145]
	v_fmac_f64_e32 v[188:189], v[6:7], v[138:139]
	v_fma_f64 v[194:195], v[4:5], v[138:139], -v[140:141]
	ds_load_b128 v[4:7], v2 offset:1056
	ds_load_b128 v[138:141], v2 offset:1072
	v_add_f64_e32 v[196:197], v[164:165], v[162:163]
	v_add_f64_e32 v[186:187], v[186:187], v[190:191]
	scratch_load_b128 v[162:165], off, off offset:288
	s_wait_loadcnt_dscnt 0xb01
	v_mul_f64_e32 v[190:191], v[4:5], v[148:149]
	v_mul_f64_e32 v[148:149], v[6:7], v[148:149]
	v_fmac_f64_e32 v[192:193], v[132:133], v[142:143]
	v_fma_f64 v[142:143], v[130:131], v[142:143], -v[144:145]
	scratch_load_b128 v[130:133], off, off offset:304
	v_add_f64_e32 v[144:145], v[196:197], v[194:195]
	v_add_f64_e32 v[186:187], v[186:187], v[188:189]
	s_wait_loadcnt_dscnt 0xb00
	v_mul_f64_e32 v[188:189], v[138:139], v[152:153]
	v_mul_f64_e32 v[152:153], v[140:141], v[152:153]
	v_fmac_f64_e32 v[190:191], v[6:7], v[146:147]
	v_fma_f64 v[194:195], v[4:5], v[146:147], -v[148:149]
	v_add_f64_e32 v[196:197], v[144:145], v[142:143]
	v_add_f64_e32 v[186:187], v[186:187], v[192:193]
	ds_load_b128 v[4:7], v2 offset:1088
	ds_load_b128 v[142:145], v2 offset:1104
	scratch_load_b128 v[146:149], off, off offset:320
	v_fmac_f64_e32 v[188:189], v[140:141], v[150:151]
	v_fma_f64 v[150:151], v[138:139], v[150:151], -v[152:153]
	scratch_load_b128 v[138:141], off, off offset:336
	s_wait_loadcnt_dscnt 0xc01
	v_mul_f64_e32 v[192:193], v[4:5], v[156:157]
	v_mul_f64_e32 v[156:157], v[6:7], v[156:157]
	v_add_f64_e32 v[152:153], v[196:197], v[194:195]
	v_add_f64_e32 v[186:187], v[186:187], v[190:191]
	s_wait_loadcnt_dscnt 0xb00
	v_mul_f64_e32 v[190:191], v[142:143], v[160:161]
	v_mul_f64_e32 v[160:161], v[144:145], v[160:161]
	v_fmac_f64_e32 v[192:193], v[6:7], v[154:155]
	v_fma_f64 v[194:195], v[4:5], v[154:155], -v[156:157]
	v_add_f64_e32 v[196:197], v[152:153], v[150:151]
	v_add_f64_e32 v[186:187], v[186:187], v[188:189]
	ds_load_b128 v[4:7], v2 offset:1120
	ds_load_b128 v[150:153], v2 offset:1136
	scratch_load_b128 v[154:157], off, off offset:352
	v_fmac_f64_e32 v[190:191], v[144:145], v[158:159]
	v_fma_f64 v[158:159], v[142:143], v[158:159], -v[160:161]
	scratch_load_b128 v[142:145], off, off offset:368
	s_wait_loadcnt_dscnt 0xc01
	v_mul_f64_e32 v[188:189], v[4:5], v[168:169]
	v_mul_f64_e32 v[168:169], v[6:7], v[168:169]
	;; [unrolled: 18-line block ×5, first 2 shown]
	v_add_f64_e32 v[180:181], v[196:197], v[194:195]
	v_add_f64_e32 v[186:187], v[186:187], v[192:193]
	s_wait_loadcnt_dscnt 0xa00
	v_mul_f64_e32 v[192:193], v[158:159], v[132:133]
	v_mul_f64_e32 v[132:133], v[160:161], v[132:133]
	v_fmac_f64_e32 v[188:189], v[6:7], v[162:163]
	v_fma_f64 v[194:195], v[4:5], v[162:163], -v[164:165]
	ds_load_b128 v[4:7], v2 offset:1248
	ds_load_b128 v[162:165], v2 offset:1264
	v_add_f64_e32 v[196:197], v[180:181], v[178:179]
	v_add_f64_e32 v[186:187], v[186:187], v[190:191]
	scratch_load_b128 v[178:181], off, off offset:480
	v_fmac_f64_e32 v[192:193], v[160:161], v[130:131]
	v_fma_f64 v[158:159], v[158:159], v[130:131], -v[132:133]
	scratch_load_b128 v[130:133], off, off offset:496
	s_wait_loadcnt_dscnt 0xb01
	v_mul_f64_e32 v[190:191], v[4:5], v[148:149]
	v_mul_f64_e32 v[148:149], v[6:7], v[148:149]
	v_add_f64_e32 v[160:161], v[196:197], v[194:195]
	v_add_f64_e32 v[186:187], v[186:187], v[188:189]
	s_wait_loadcnt_dscnt 0xa00
	v_mul_f64_e32 v[188:189], v[162:163], v[140:141]
	v_mul_f64_e32 v[140:141], v[164:165], v[140:141]
	v_fmac_f64_e32 v[190:191], v[6:7], v[146:147]
	v_fma_f64 v[194:195], v[4:5], v[146:147], -v[148:149]
	ds_load_b128 v[4:7], v2 offset:1280
	ds_load_b128 v[146:149], v2 offset:1296
	v_add_f64_e32 v[196:197], v[160:161], v[158:159]
	v_add_f64_e32 v[186:187], v[186:187], v[192:193]
	scratch_load_b128 v[158:161], off, off offset:512
	s_wait_loadcnt_dscnt 0xa01
	v_mul_f64_e32 v[192:193], v[4:5], v[156:157]
	v_mul_f64_e32 v[156:157], v[6:7], v[156:157]
	v_fmac_f64_e32 v[188:189], v[164:165], v[138:139]
	v_fma_f64 v[162:163], v[162:163], v[138:139], -v[140:141]
	scratch_load_b128 v[138:141], off, off offset:528
	v_add_f64_e32 v[164:165], v[196:197], v[194:195]
	v_add_f64_e32 v[186:187], v[186:187], v[190:191]
	s_wait_loadcnt_dscnt 0xa00
	v_mul_f64_e32 v[190:191], v[146:147], v[144:145]
	v_mul_f64_e32 v[144:145], v[148:149], v[144:145]
	v_fmac_f64_e32 v[192:193], v[6:7], v[154:155]
	v_fma_f64 v[194:195], v[4:5], v[154:155], -v[156:157]
	ds_load_b128 v[4:7], v2 offset:1312
	ds_load_b128 v[154:157], v2 offset:1328
	v_add_f64_e32 v[196:197], v[164:165], v[162:163]
	v_add_f64_e32 v[186:187], v[186:187], v[188:189]
	scratch_load_b128 v[162:165], off, off offset:544
	s_wait_loadcnt_dscnt 0xa01
	v_mul_f64_e32 v[188:189], v[4:5], v[168:169]
	v_mul_f64_e32 v[168:169], v[6:7], v[168:169]
	v_fmac_f64_e32 v[190:191], v[148:149], v[142:143]
	v_fma_f64 v[146:147], v[146:147], v[142:143], -v[144:145]
	scratch_load_b128 v[142:145], off, off offset:560
	v_add_f64_e32 v[148:149], v[196:197], v[194:195]
	v_add_f64_e32 v[186:187], v[186:187], v[192:193]
	s_wait_loadcnt_dscnt 0xa00
	v_mul_f64_e32 v[192:193], v[154:155], v[152:153]
	v_mul_f64_e32 v[152:153], v[156:157], v[152:153]
	v_fmac_f64_e32 v[188:189], v[6:7], v[166:167]
	v_fma_f64 v[194:195], v[4:5], v[166:167], -v[168:169]
	v_add_f64_e32 v[196:197], v[148:149], v[146:147]
	v_add_f64_e32 v[186:187], v[186:187], v[190:191]
	ds_load_b128 v[4:7], v2 offset:1344
	ds_load_b128 v[146:149], v2 offset:1360
	scratch_load_b128 v[166:169], off, off offset:576
	v_fmac_f64_e32 v[192:193], v[156:157], v[150:151]
	v_fma_f64 v[154:155], v[154:155], v[150:151], -v[152:153]
	scratch_load_b128 v[150:153], off, off offset:592
	s_wait_loadcnt_dscnt 0xb01
	v_mul_f64_e32 v[190:191], v[4:5], v[184:185]
	v_mul_f64_e32 v[184:185], v[6:7], v[184:185]
	v_add_f64_e32 v[156:157], v[196:197], v[194:195]
	v_add_f64_e32 v[186:187], v[186:187], v[188:189]
	s_wait_loadcnt_dscnt 0xa00
	v_mul_f64_e32 v[188:189], v[146:147], v[12:13]
	v_mul_f64_e32 v[12:13], v[148:149], v[12:13]
	v_fmac_f64_e32 v[190:191], v[6:7], v[182:183]
	v_fma_f64 v[194:195], v[4:5], v[182:183], -v[184:185]
	v_add_f64_e32 v[196:197], v[156:157], v[154:155]
	v_add_f64_e32 v[186:187], v[186:187], v[192:193]
	ds_load_b128 v[4:7], v2 offset:1376
	ds_load_b128 v[154:157], v2 offset:1392
	scratch_load_b128 v[182:185], off, off offset:608
	v_fmac_f64_e32 v[188:189], v[148:149], v[10:11]
	v_fma_f64 v[146:147], v[146:147], v[10:11], -v[12:13]
	scratch_load_b128 v[10:13], off, off offset:624
	s_wait_loadcnt_dscnt 0xb01
	v_mul_f64_e32 v[192:193], v[4:5], v[172:173]
	v_mul_f64_e32 v[172:173], v[6:7], v[172:173]
	v_add_f64_e32 v[148:149], v[196:197], v[194:195]
	v_add_f64_e32 v[186:187], v[186:187], v[190:191]
	s_wait_loadcnt_dscnt 0xa00
	v_mul_f64_e32 v[190:191], v[154:155], v[136:137]
	v_mul_f64_e32 v[136:137], v[156:157], v[136:137]
	v_fmac_f64_e32 v[192:193], v[6:7], v[170:171]
	v_fma_f64 v[194:195], v[4:5], v[170:171], -v[172:173]
	v_add_f64_e32 v[196:197], v[148:149], v[146:147]
	v_add_f64_e32 v[186:187], v[186:187], v[188:189]
	ds_load_b128 v[4:7], v2 offset:1408
	ds_load_b128 v[146:149], v2 offset:1424
	scratch_load_b128 v[170:173], off, off offset:640
	v_fmac_f64_e32 v[190:191], v[156:157], v[134:135]
	v_fma_f64 v[154:155], v[154:155], v[134:135], -v[136:137]
	scratch_load_b128 v[134:137], off, off offset:656
	s_wait_loadcnt_dscnt 0xb01
	v_mul_f64_e32 v[188:189], v[4:5], v[180:181]
	v_mul_f64_e32 v[180:181], v[6:7], v[180:181]
	v_add_f64_e32 v[156:157], v[196:197], v[194:195]
	v_add_f64_e32 v[186:187], v[186:187], v[192:193]
	s_wait_loadcnt_dscnt 0xa00
	v_mul_f64_e32 v[192:193], v[146:147], v[132:133]
	v_mul_f64_e32 v[132:133], v[148:149], v[132:133]
	v_fmac_f64_e32 v[188:189], v[6:7], v[178:179]
	v_fma_f64 v[194:195], v[4:5], v[178:179], -v[180:181]
	v_add_f64_e32 v[196:197], v[156:157], v[154:155]
	v_add_f64_e32 v[186:187], v[186:187], v[190:191]
	ds_load_b128 v[4:7], v2 offset:1440
	ds_load_b128 v[154:157], v2 offset:1456
	scratch_load_b128 v[178:181], off, off offset:672
	v_fmac_f64_e32 v[192:193], v[148:149], v[130:131]
	v_fma_f64 v[146:147], v[146:147], v[130:131], -v[132:133]
	scratch_load_b128 v[130:133], off, off offset:688
	s_wait_loadcnt_dscnt 0xb01
	v_mul_f64_e32 v[190:191], v[4:5], v[160:161]
	v_mul_f64_e32 v[160:161], v[6:7], v[160:161]
	v_add_f64_e32 v[148:149], v[196:197], v[194:195]
	v_add_f64_e32 v[186:187], v[186:187], v[188:189]
	s_wait_loadcnt_dscnt 0xa00
	v_mul_f64_e32 v[188:189], v[154:155], v[140:141]
	v_mul_f64_e32 v[140:141], v[156:157], v[140:141]
	v_fmac_f64_e32 v[190:191], v[6:7], v[158:159]
	v_fma_f64 v[194:195], v[4:5], v[158:159], -v[160:161]
	v_add_f64_e32 v[196:197], v[148:149], v[146:147]
	v_add_f64_e32 v[186:187], v[186:187], v[192:193]
	ds_load_b128 v[4:7], v2 offset:1472
	ds_load_b128 v[146:149], v2 offset:1488
	scratch_load_b128 v[158:161], off, off offset:704
	v_fmac_f64_e32 v[188:189], v[156:157], v[138:139]
	v_fma_f64 v[154:155], v[154:155], v[138:139], -v[140:141]
	scratch_load_b128 v[138:141], off, off offset:720
	s_wait_loadcnt_dscnt 0xb01
	v_mul_f64_e32 v[192:193], v[4:5], v[164:165]
	v_mul_f64_e32 v[164:165], v[6:7], v[164:165]
	v_add_f64_e32 v[156:157], v[196:197], v[194:195]
	v_add_f64_e32 v[186:187], v[186:187], v[190:191]
	s_wait_loadcnt_dscnt 0xa00
	v_mul_f64_e32 v[190:191], v[146:147], v[144:145]
	v_mul_f64_e32 v[144:145], v[148:149], v[144:145]
	v_fmac_f64_e32 v[192:193], v[6:7], v[162:163]
	v_fma_f64 v[194:195], v[4:5], v[162:163], -v[164:165]
	v_add_f64_e32 v[196:197], v[156:157], v[154:155]
	v_add_f64_e32 v[186:187], v[186:187], v[188:189]
	ds_load_b128 v[4:7], v2 offset:1504
	ds_load_b128 v[154:157], v2 offset:1520
	scratch_load_b128 v[162:165], off, off offset:736
	v_fmac_f64_e32 v[190:191], v[148:149], v[142:143]
	v_fma_f64 v[146:147], v[146:147], v[142:143], -v[144:145]
	scratch_load_b128 v[142:145], off, off offset:752
	s_wait_loadcnt_dscnt 0xb01
	v_mul_f64_e32 v[188:189], v[4:5], v[168:169]
	v_mul_f64_e32 v[168:169], v[6:7], v[168:169]
	v_add_f64_e32 v[148:149], v[196:197], v[194:195]
	v_add_f64_e32 v[186:187], v[186:187], v[192:193]
	s_wait_loadcnt_dscnt 0xa00
	v_mul_f64_e32 v[192:193], v[154:155], v[152:153]
	v_mul_f64_e32 v[152:153], v[156:157], v[152:153]
	v_fmac_f64_e32 v[188:189], v[6:7], v[166:167]
	v_fma_f64 v[194:195], v[4:5], v[166:167], -v[168:169]
	v_add_f64_e32 v[196:197], v[148:149], v[146:147]
	v_add_f64_e32 v[186:187], v[186:187], v[190:191]
	ds_load_b128 v[4:7], v2 offset:1536
	ds_load_b128 v[146:149], v2 offset:1552
	scratch_load_b128 v[166:169], off, off offset:768
	v_fmac_f64_e32 v[192:193], v[156:157], v[150:151]
	v_fma_f64 v[154:155], v[154:155], v[150:151], -v[152:153]
	scratch_load_b128 v[150:153], off, off offset:784
	s_wait_loadcnt_dscnt 0xb01
	v_mul_f64_e32 v[190:191], v[4:5], v[184:185]
	v_mul_f64_e32 v[184:185], v[6:7], v[184:185]
	v_add_f64_e32 v[156:157], v[196:197], v[194:195]
	v_add_f64_e32 v[186:187], v[186:187], v[188:189]
	s_wait_loadcnt_dscnt 0xa00
	v_mul_f64_e32 v[188:189], v[146:147], v[12:13]
	v_mul_f64_e32 v[12:13], v[148:149], v[12:13]
	v_fmac_f64_e32 v[190:191], v[6:7], v[182:183]
	v_fma_f64 v[194:195], v[4:5], v[182:183], -v[184:185]
	v_add_f64_e32 v[196:197], v[156:157], v[154:155]
	v_add_f64_e32 v[186:187], v[186:187], v[192:193]
	ds_load_b128 v[4:7], v2 offset:1568
	ds_load_b128 v[154:157], v2 offset:1584
	scratch_load_b128 v[182:185], off, off offset:800
	v_fmac_f64_e32 v[188:189], v[148:149], v[10:11]
	v_fma_f64 v[146:147], v[146:147], v[10:11], -v[12:13]
	scratch_load_b128 v[10:13], off, off offset:816
	s_wait_loadcnt_dscnt 0xb01
	v_mul_f64_e32 v[192:193], v[4:5], v[172:173]
	v_mul_f64_e32 v[172:173], v[6:7], v[172:173]
	v_add_f64_e32 v[148:149], v[196:197], v[194:195]
	v_add_f64_e32 v[186:187], v[186:187], v[190:191]
	s_wait_loadcnt_dscnt 0xa00
	v_mul_f64_e32 v[190:191], v[154:155], v[136:137]
	v_mul_f64_e32 v[136:137], v[156:157], v[136:137]
	v_fmac_f64_e32 v[192:193], v[6:7], v[170:171]
	v_fma_f64 v[194:195], v[4:5], v[170:171], -v[172:173]
	v_add_f64_e32 v[196:197], v[148:149], v[146:147]
	v_add_f64_e32 v[186:187], v[186:187], v[188:189]
	ds_load_b128 v[4:7], v2 offset:1600
	ds_load_b128 v[146:149], v2 offset:1616
	scratch_load_b128 v[170:173], off, off offset:832
	v_fmac_f64_e32 v[190:191], v[156:157], v[134:135]
	v_fma_f64 v[154:155], v[154:155], v[134:135], -v[136:137]
	scratch_load_b128 v[134:137], off, off offset:848
	s_wait_loadcnt_dscnt 0xb01
	v_mul_f64_e32 v[188:189], v[4:5], v[180:181]
	v_mul_f64_e32 v[180:181], v[6:7], v[180:181]
	v_add_f64_e32 v[156:157], v[196:197], v[194:195]
	v_add_f64_e32 v[186:187], v[186:187], v[192:193]
	s_wait_loadcnt_dscnt 0xa00
	v_mul_f64_e32 v[192:193], v[146:147], v[132:133]
	v_mul_f64_e32 v[132:133], v[148:149], v[132:133]
	v_fmac_f64_e32 v[188:189], v[6:7], v[178:179]
	v_fma_f64 v[194:195], v[4:5], v[178:179], -v[180:181]
	v_add_f64_e32 v[196:197], v[156:157], v[154:155]
	v_add_f64_e32 v[186:187], v[186:187], v[190:191]
	ds_load_b128 v[4:7], v2 offset:1632
	ds_load_b128 v[154:157], v2 offset:1648
	scratch_load_b128 v[178:181], off, off offset:864
	v_fmac_f64_e32 v[192:193], v[148:149], v[130:131]
	v_fma_f64 v[146:147], v[146:147], v[130:131], -v[132:133]
	scratch_load_b128 v[130:133], off, off offset:880
	s_wait_loadcnt_dscnt 0xb01
	v_mul_f64_e32 v[190:191], v[4:5], v[160:161]
	v_mul_f64_e32 v[160:161], v[6:7], v[160:161]
	v_add_f64_e32 v[148:149], v[196:197], v[194:195]
	v_add_f64_e32 v[186:187], v[186:187], v[188:189]
	s_wait_loadcnt_dscnt 0xa00
	v_mul_f64_e32 v[188:189], v[154:155], v[140:141]
	v_mul_f64_e32 v[140:141], v[156:157], v[140:141]
	v_fmac_f64_e32 v[190:191], v[6:7], v[158:159]
	v_fma_f64 v[194:195], v[4:5], v[158:159], -v[160:161]
	v_add_f64_e32 v[196:197], v[148:149], v[146:147]
	v_add_f64_e32 v[186:187], v[186:187], v[192:193]
	ds_load_b128 v[4:7], v2 offset:1664
	ds_load_b128 v[146:149], v2 offset:1680
	scratch_load_b128 v[158:161], off, off offset:896
	v_fmac_f64_e32 v[188:189], v[156:157], v[138:139]
	v_fma_f64 v[154:155], v[154:155], v[138:139], -v[140:141]
	scratch_load_b128 v[138:141], off, off offset:912
	s_wait_loadcnt_dscnt 0xb01
	v_mul_f64_e32 v[192:193], v[4:5], v[164:165]
	v_mul_f64_e32 v[164:165], v[6:7], v[164:165]
	v_add_f64_e32 v[156:157], v[196:197], v[194:195]
	v_add_f64_e32 v[186:187], v[186:187], v[190:191]
	s_wait_loadcnt_dscnt 0xa00
	v_mul_f64_e32 v[190:191], v[146:147], v[144:145]
	v_mul_f64_e32 v[144:145], v[148:149], v[144:145]
	v_fmac_f64_e32 v[192:193], v[6:7], v[162:163]
	v_fma_f64 v[162:163], v[4:5], v[162:163], -v[164:165]
	v_add_f64_e32 v[164:165], v[156:157], v[154:155]
	v_add_f64_e32 v[186:187], v[186:187], v[188:189]
	ds_load_b128 v[4:7], v2 offset:1696
	ds_load_b128 v[154:157], v2 offset:1712
	v_fmac_f64_e32 v[190:191], v[148:149], v[142:143]
	v_fma_f64 v[142:143], v[146:147], v[142:143], -v[144:145]
	s_wait_loadcnt_dscnt 0x901
	v_mul_f64_e32 v[188:189], v[4:5], v[168:169]
	v_mul_f64_e32 v[168:169], v[6:7], v[168:169]
	s_wait_loadcnt_dscnt 0x800
	v_mul_f64_e32 v[148:149], v[154:155], v[152:153]
	v_mul_f64_e32 v[152:153], v[156:157], v[152:153]
	v_add_f64_e32 v[144:145], v[164:165], v[162:163]
	v_add_f64_e32 v[146:147], v[186:187], v[192:193]
	v_fmac_f64_e32 v[188:189], v[6:7], v[166:167]
	v_fma_f64 v[162:163], v[4:5], v[166:167], -v[168:169]
	v_fmac_f64_e32 v[148:149], v[156:157], v[150:151]
	v_fma_f64 v[150:151], v[154:155], v[150:151], -v[152:153]
	v_add_f64_e32 v[164:165], v[144:145], v[142:143]
	v_add_f64_e32 v[146:147], v[146:147], v[190:191]
	ds_load_b128 v[4:7], v2 offset:1728
	ds_load_b128 v[142:145], v2 offset:1744
	s_wait_loadcnt_dscnt 0x701
	v_mul_f64_e32 v[166:167], v[4:5], v[184:185]
	v_mul_f64_e32 v[168:169], v[6:7], v[184:185]
	s_wait_loadcnt_dscnt 0x600
	v_mul_f64_e32 v[154:155], v[142:143], v[12:13]
	v_mul_f64_e32 v[12:13], v[144:145], v[12:13]
	v_add_f64_e32 v[152:153], v[164:165], v[162:163]
	v_add_f64_e32 v[146:147], v[146:147], v[188:189]
	v_fmac_f64_e32 v[166:167], v[6:7], v[182:183]
	v_fma_f64 v[156:157], v[4:5], v[182:183], -v[168:169]
	v_fmac_f64_e32 v[154:155], v[144:145], v[10:11]
	v_fma_f64 v[10:11], v[142:143], v[10:11], -v[12:13]
	v_add_f64_e32 v[150:151], v[152:153], v[150:151]
	v_add_f64_e32 v[152:153], v[146:147], v[148:149]
	ds_load_b128 v[4:7], v2 offset:1760
	ds_load_b128 v[146:149], v2 offset:1776
	;; [unrolled: 16-line block ×4, first 2 shown]
	s_wait_loadcnt_dscnt 0x101
	v_mul_f64_e32 v[2:3], v[4:5], v[160:161]
	v_mul_f64_e32 v[144:145], v[6:7], v[160:161]
	v_add_f64_e32 v[12:13], v[136:137], v[150:151]
	v_add_f64_e32 v[130:131], v[142:143], v[154:155]
	s_wait_loadcnt_dscnt 0x0
	v_mul_f64_e32 v[136:137], v[132:133], v[140:141]
	v_mul_f64_e32 v[140:141], v[134:135], v[140:141]
	v_fmac_f64_e32 v[2:3], v[6:7], v[158:159]
	v_fma_f64 v[4:5], v[4:5], v[158:159], -v[144:145]
	v_add_f64_e32 v[6:7], v[12:13], v[10:11]
	v_add_f64_e32 v[10:11], v[130:131], v[146:147]
	v_fmac_f64_e32 v[136:137], v[134:135], v[138:139]
	v_fma_f64 v[12:13], v[132:133], v[138:139], -v[140:141]
	s_delay_alu instid0(VALU_DEP_4) | instskip(NEXT) | instid1(VALU_DEP_4)
	v_add_f64_e32 v[4:5], v[6:7], v[4:5]
	v_add_f64_e32 v[2:3], v[10:11], v[2:3]
	s_delay_alu instid0(VALU_DEP_2) | instskip(NEXT) | instid1(VALU_DEP_2)
	v_add_f64_e32 v[4:5], v[4:5], v[12:13]
	v_add_f64_e32 v[6:7], v[2:3], v[136:137]
	s_delay_alu instid0(VALU_DEP_2) | instskip(NEXT) | instid1(VALU_DEP_2)
	v_add_f64_e64 v[2:3], v[174:175], -v[4:5]
	v_add_f64_e64 v[4:5], v[176:177], -v[6:7]
	scratch_store_b128 off, v[2:5], off offset:16
	s_wait_xcnt 0x0
	v_cmpx_ne_u32_e32 0, v1
	s_cbranch_execz .LBB121_361
; %bb.360:
	scratch_load_b128 v[2:5], off, off
	v_mov_b32_e32 v10, 0
	s_delay_alu instid0(VALU_DEP_1)
	v_dual_mov_b32 v11, v10 :: v_dual_mov_b32 v12, v10
	v_mov_b32_e32 v13, v10
	scratch_store_b128 off, v[10:13], off
	s_wait_loadcnt 0x0
	ds_store_b128 v8, v[2:5]
.LBB121_361:
	s_wait_xcnt 0x0
	s_or_b32 exec_lo, exec_lo, s2
	s_wait_storecnt_dscnt 0x0
	s_barrier_signal -1
	s_barrier_wait -1
	s_clause 0x9
	scratch_load_b128 v[2:5], off, off offset:16
	scratch_load_b128 v[6:9], off, off offset:32
	;; [unrolled: 1-line block ×10, first 2 shown]
	v_mov_b32_e32 v176, 0
	s_and_b32 vcc_lo, exec_lo, s70
	ds_load_b128 v[158:161], v176 offset:944
	s_clause 0x2
	scratch_load_b128 v[162:165], off, off offset:176
	scratch_load_b128 v[178:181], off, off
	scratch_load_b128 v[170:173], off, off offset:192
	s_wait_loadcnt_dscnt 0xc00
	v_mul_f64_e32 v[174:175], v[160:161], v[4:5]
	v_mul_f64_e32 v[186:187], v[158:159], v[4:5]
	ds_load_b128 v[166:169], v176 offset:960
	ds_load_b128 v[182:185], v176 offset:992
	v_fma_f64 v[174:175], v[158:159], v[2:3], -v[174:175]
	v_fmac_f64_e32 v[186:187], v[160:161], v[2:3]
	ds_load_b128 v[2:5], v176 offset:976
	s_wait_loadcnt_dscnt 0xb02
	v_mul_f64_e32 v[188:189], v[166:167], v[8:9]
	v_mul_f64_e32 v[8:9], v[168:169], v[8:9]
	scratch_load_b128 v[158:161], off, off offset:208
	s_wait_loadcnt_dscnt 0xb00
	v_mul_f64_e32 v[190:191], v[2:3], v[12:13]
	v_mul_f64_e32 v[12:13], v[4:5], v[12:13]
	v_fmac_f64_e32 v[188:189], v[168:169], v[6:7]
	v_fma_f64 v[166:167], v[166:167], v[6:7], -v[8:9]
	v_add_f64_e32 v[168:169], 0, v[174:175]
	v_add_f64_e32 v[174:175], 0, v[186:187]
	scratch_load_b128 v[6:9], off, off offset:224
	v_fmac_f64_e32 v[190:191], v[4:5], v[10:11]
	v_fma_f64 v[192:193], v[2:3], v[10:11], -v[12:13]
	ds_load_b128 v[2:5], v176 offset:1008
	s_wait_loadcnt 0xb
	v_mul_f64_e32 v[186:187], v[182:183], v[132:133]
	v_mul_f64_e32 v[132:133], v[184:185], v[132:133]
	scratch_load_b128 v[10:13], off, off offset:240
	v_add_f64_e32 v[194:195], v[168:169], v[166:167]
	v_add_f64_e32 v[174:175], v[174:175], v[188:189]
	ds_load_b128 v[166:169], v176 offset:1024
	s_wait_loadcnt_dscnt 0xb01
	v_mul_f64_e32 v[188:189], v[2:3], v[136:137]
	v_mul_f64_e32 v[136:137], v[4:5], v[136:137]
	v_fmac_f64_e32 v[186:187], v[184:185], v[130:131]
	v_fma_f64 v[182:183], v[182:183], v[130:131], -v[132:133]
	scratch_load_b128 v[130:133], off, off offset:256
	v_add_f64_e32 v[184:185], v[194:195], v[192:193]
	v_add_f64_e32 v[174:175], v[174:175], v[190:191]
	v_fmac_f64_e32 v[188:189], v[4:5], v[134:135]
	v_fma_f64 v[192:193], v[2:3], v[134:135], -v[136:137]
	ds_load_b128 v[2:5], v176 offset:1040
	s_wait_loadcnt_dscnt 0xb01
	v_mul_f64_e32 v[190:191], v[166:167], v[140:141]
	v_mul_f64_e32 v[140:141], v[168:169], v[140:141]
	scratch_load_b128 v[134:137], off, off offset:272
	v_add_f64_e32 v[194:195], v[184:185], v[182:183]
	v_add_f64_e32 v[174:175], v[174:175], v[186:187]
	s_wait_loadcnt_dscnt 0xb00
	v_mul_f64_e32 v[186:187], v[2:3], v[144:145]
	v_mul_f64_e32 v[144:145], v[4:5], v[144:145]
	ds_load_b128 v[182:185], v176 offset:1056
	v_fmac_f64_e32 v[190:191], v[168:169], v[138:139]
	v_fma_f64 v[166:167], v[166:167], v[138:139], -v[140:141]
	scratch_load_b128 v[138:141], off, off offset:288
	v_add_f64_e32 v[168:169], v[194:195], v[192:193]
	v_add_f64_e32 v[174:175], v[174:175], v[188:189]
	v_fmac_f64_e32 v[186:187], v[4:5], v[142:143]
	v_fma_f64 v[192:193], v[2:3], v[142:143], -v[144:145]
	ds_load_b128 v[2:5], v176 offset:1072
	s_wait_loadcnt_dscnt 0xb01
	v_mul_f64_e32 v[188:189], v[182:183], v[148:149]
	v_mul_f64_e32 v[148:149], v[184:185], v[148:149]
	scratch_load_b128 v[142:145], off, off offset:304
	v_add_f64_e32 v[194:195], v[168:169], v[166:167]
	v_add_f64_e32 v[174:175], v[174:175], v[190:191]
	s_wait_loadcnt_dscnt 0xb00
	v_mul_f64_e32 v[190:191], v[2:3], v[152:153]
	v_mul_f64_e32 v[152:153], v[4:5], v[152:153]
	ds_load_b128 v[166:169], v176 offset:1088
	;; [unrolled: 18-line block ×21, first 2 shown]
	v_fmac_f64_e32 v[186:187], v[168:169], v[154:155]
	v_fma_f64 v[154:155], v[166:167], v[154:155], -v[156:157]
	s_wait_loadcnt_dscnt 0x900
	v_mul_f64_e32 v[168:169], v[182:183], v[172:173]
	v_mul_f64_e32 v[172:173], v[184:185], v[172:173]
	v_add_f64_e32 v[156:157], v[194:195], v[192:193]
	v_add_f64_e32 v[166:167], v[174:175], v[190:191]
	v_fmac_f64_e32 v[188:189], v[4:5], v[162:163]
	v_fma_f64 v[162:163], v[2:3], v[162:163], -v[164:165]
	v_fmac_f64_e32 v[168:169], v[184:185], v[170:171]
	v_fma_f64 v[170:171], v[182:183], v[170:171], -v[172:173]
	v_add_f64_e32 v[164:165], v[156:157], v[154:155]
	v_add_f64_e32 v[166:167], v[166:167], v[186:187]
	ds_load_b128 v[2:5], v176 offset:1712
	ds_load_b128 v[154:157], v176 offset:1728
	s_wait_loadcnt_dscnt 0x801
	v_mul_f64_e32 v[174:175], v[2:3], v[160:161]
	v_mul_f64_e32 v[160:161], v[4:5], v[160:161]
	v_add_f64_e32 v[162:163], v[164:165], v[162:163]
	v_add_f64_e32 v[164:165], v[166:167], v[188:189]
	s_wait_loadcnt_dscnt 0x700
	v_mul_f64_e32 v[166:167], v[154:155], v[8:9]
	v_mul_f64_e32 v[8:9], v[156:157], v[8:9]
	v_fmac_f64_e32 v[174:175], v[4:5], v[158:159]
	v_fma_f64 v[172:173], v[2:3], v[158:159], -v[160:161]
	ds_load_b128 v[2:5], v176 offset:1744
	ds_load_b128 v[158:161], v176 offset:1760
	v_add_f64_e32 v[162:163], v[162:163], v[170:171]
	v_add_f64_e32 v[164:165], v[164:165], v[168:169]
	v_fmac_f64_e32 v[166:167], v[156:157], v[6:7]
	v_fma_f64 v[6:7], v[154:155], v[6:7], -v[8:9]
	v_lshl_add_u64 v[170:171], v[22:23], 4, s[4:5]
	v_lshl_add_u64 v[22:23], v[112:113], 4, s[4:5]
	s_wait_loadcnt_dscnt 0x601
	v_mul_f64_e32 v[168:169], v[2:3], v[12:13]
	v_mul_f64_e32 v[12:13], v[4:5], v[12:13]
	s_wait_loadcnt_dscnt 0x500
	v_mul_f64_e32 v[156:157], v[158:159], v[132:133]
	v_mul_f64_e32 v[132:133], v[160:161], v[132:133]
	v_add_f64_e32 v[8:9], v[162:163], v[172:173]
	v_add_f64_e32 v[154:155], v[164:165], v[174:175]
	v_lshl_add_u64 v[174:175], v[18:19], 4, s[4:5]
	v_lshl_add_u64 v[172:173], v[20:21], 4, s[4:5]
	;; [unrolled: 1-line block ×6, first 2 shown]
	v_fmac_f64_e32 v[168:169], v[4:5], v[10:11]
	v_fma_f64 v[10:11], v[2:3], v[10:11], -v[12:13]
	v_fmac_f64_e32 v[156:157], v[160:161], v[130:131]
	v_fma_f64 v[130:131], v[158:159], v[130:131], -v[132:133]
	v_lshl_add_u64 v[160:161], v[32:33], 4, s[4:5]
	v_lshl_add_u64 v[158:159], v[34:35], 4, s[4:5]
	;; [unrolled: 1-line block ×4, first 2 shown]
	v_add_f64_e32 v[12:13], v[8:9], v[6:7]
	v_add_f64_e32 v[154:155], v[154:155], v[166:167]
	ds_load_b128 v[2:5], v176 offset:1776
	ds_load_b128 v[6:9], v176 offset:1792
	v_lshl_add_u64 v[166:167], v[26:27], 4, s[4:5]
	v_lshl_add_u64 v[26:27], v[108:109], 4, s[4:5]
	s_wait_loadcnt_dscnt 0x401
	v_mul_f64_e32 v[162:163], v[2:3], v[136:137]
	v_mul_f64_e32 v[136:137], v[4:5], v[136:137]
	s_wait_loadcnt_dscnt 0x300
	v_mul_f64_e32 v[132:133], v[6:7], v[140:141]
	v_mul_f64_e32 v[140:141], v[8:9], v[140:141]
	v_add_f64_e32 v[10:11], v[12:13], v[10:11]
	v_add_f64_e32 v[12:13], v[154:155], v[168:169]
	v_lshl_add_u64 v[168:169], v[24:25], 4, s[4:5]
	v_lshl_add_u64 v[24:25], v[110:111], 4, s[4:5]
	v_fmac_f64_e32 v[162:163], v[4:5], v[134:135]
	v_fma_f64 v[134:135], v[2:3], v[134:135], -v[136:137]
	v_fmac_f64_e32 v[132:133], v[8:9], v[138:139]
	v_fma_f64 v[6:7], v[6:7], v[138:139], -v[140:141]
	v_lshl_add_u64 v[140:141], v[52:53], 4, s[4:5]
	v_lshl_add_u64 v[52:53], v[82:83], 4, s[4:5]
	v_add_f64_e32 v[130:131], v[10:11], v[130:131]
	v_add_f64_e32 v[136:137], v[12:13], v[156:157]
	ds_load_b128 v[2:5], v176 offset:1808
	ds_load_b128 v[10:13], v176 offset:1824
	v_lshl_add_u64 v[156:157], v[36:37], 4, s[4:5]
	v_lshl_add_u64 v[36:37], v[98:99], 4, s[4:5]
	s_wait_loadcnt_dscnt 0x201
	v_mul_f64_e32 v[154:155], v[2:3], v[144:145]
	v_mul_f64_e32 v[144:145], v[4:5], v[144:145]
	v_add_f64_e32 v[8:9], v[130:131], v[134:135]
	v_add_f64_e32 v[130:131], v[136:137], v[162:163]
	s_wait_loadcnt_dscnt 0x100
	v_mul_f64_e32 v[134:135], v[10:11], v[148:149]
	v_mul_f64_e32 v[136:137], v[12:13], v[148:149]
	v_lshl_add_u64 v[162:163], v[30:31], 4, s[4:5]
	v_lshl_add_u64 v[148:149], v[44:45], 4, s[4:5]
	;; [unrolled: 1-line block ×4, first 2 shown]
	v_fmac_f64_e32 v[154:155], v[4:5], v[142:143]
	v_fma_f64 v[138:139], v[2:3], v[142:143], -v[144:145]
	ds_load_b128 v[2:5], v176 offset:1840
	v_lshl_add_u64 v[144:145], v[48:49], 4, s[4:5]
	v_lshl_add_u64 v[142:143], v[50:51], 4, s[4:5]
	;; [unrolled: 1-line block ×4, first 2 shown]
	v_add_f64_e32 v[6:7], v[8:9], v[6:7]
	v_add_f64_e32 v[8:9], v[130:131], v[132:133]
	v_fmac_f64_e32 v[134:135], v[12:13], v[146:147]
	v_fma_f64 v[10:11], v[10:11], v[146:147], -v[136:137]
	v_lshl_add_u64 v[146:147], v[46:47], 4, s[4:5]
	v_lshl_add_u64 v[136:137], v[56:57], 4, s[4:5]
	;; [unrolled: 1-line block ×5, first 2 shown]
	s_wait_loadcnt_dscnt 0x0
	v_mul_f64_e32 v[130:131], v[2:3], v[152:153]
	v_mul_f64_e32 v[132:133], v[4:5], v[152:153]
	v_lshl_add_u64 v[152:153], v[40:41], 4, s[4:5]
	v_lshl_add_u64 v[40:41], v[94:95], 4, s[4:5]
	v_add_f64_e32 v[6:7], v[6:7], v[138:139]
	v_add_f64_e32 v[8:9], v[8:9], v[154:155]
	v_lshl_add_u64 v[154:155], v[38:39], 4, s[4:5]
	v_lshl_add_u64 v[138:139], v[54:55], 4, s[4:5]
	v_lshl_add_u64 v[54:55], v[70:71], 4, s[4:5]
	v_lshl_add_u64 v[70:71], v[68:69], 4, s[4:5]
	v_lshl_add_u64 v[68:69], v[72:73], 4, s[4:5]
	v_lshl_add_u64 v[38:39], v[96:97], 4, s[4:5]
	v_fmac_f64_e32 v[130:131], v[4:5], v[150:151]
	v_fma_f64 v[2:3], v[2:3], v[150:151], -v[132:133]
	v_lshl_add_u64 v[150:151], v[42:43], 4, s[4:5]
	v_lshl_add_u64 v[132:133], v[60:61], 4, s[4:5]
	;; [unrolled: 1-line block ×4, first 2 shown]
	v_add_f64_e32 v[4:5], v[6:7], v[10:11]
	v_add_f64_e32 v[6:7], v[8:9], v[134:135]
	v_lshl_add_u64 v[134:135], v[58:59], 4, s[4:5]
	v_lshl_add_u64 v[58:59], v[66:67], 4, s[4:5]
	;; [unrolled: 1-line block ×5, first 2 shown]
	v_add_f64_e32 v[2:3], v[4:5], v[2:3]
	v_add_f64_e32 v[4:5], v[6:7], v[130:131]
	v_lshl_add_u64 v[130:131], v[62:63], 4, s[4:5]
	v_lshl_add_u64 v[62:63], v[64:65], 4, s[4:5]
	;; [unrolled: 1-line block ×4, first 2 shown]
	v_add_f64_e64 v[178:179], v[178:179], -v[2:3]
	v_add_f64_e64 v[180:181], v[180:181], -v[4:5]
	v_lshl_add_u64 v[4:5], v[126:127], 4, s[4:5]
	v_lshl_add_u64 v[2:3], v[128:129], 4, s[4:5]
	scratch_store_b128 off, v[178:181], off
	s_cbranch_vccz .LBB121_476
; %bb.362:
	global_load_b32 v72, v176, s[8:9] offset:224
	s_load_b64 s[2:3], s[0:1], 0x4
	v_bfe_u32 v73, v0, 10, 10
	v_bfe_u32 v0, v0, 20, 10
	s_wait_kmcnt 0x0
	s_lshr_b32 s0, s2, 16
	s_delay_alu instid0(VALU_DEP_2) | instskip(SKIP_1) | instid1(SALU_CYCLE_1)
	v_mul_u32_u24_e32 v73, s3, v73
	s_mul_i32 s0, s0, s3
	v_mul_u32_u24_e32 v1, s0, v1
	s_delay_alu instid0(VALU_DEP_1) | instskip(NEXT) | instid1(VALU_DEP_1)
	v_add3_u32 v0, v1, v73, v0
	v_lshl_add_u32 v0, v0, 4, 0x748
	s_wait_loadcnt 0x0
	v_cmp_ne_u32_e32 vcc_lo, 57, v72
	s_cbranch_vccz .LBB121_364
; %bb.363:
	v_lshlrev_b32_e32 v1, 4, v72
	s_clause 0x1
	scratch_load_b128 v[72:75], off, s15
	scratch_load_b128 v[76:79], v1, off offset:-16
	s_wait_loadcnt 0x1
	ds_store_2addr_b64 v0, v[72:73], v[74:75] offset1:1
	s_wait_loadcnt 0x0
	s_clause 0x1
	scratch_store_b128 off, v[76:79], s15
	scratch_store_b128 v1, v[72:75], off offset:-16
.LBB121_364:
	s_wait_xcnt 0x0
	v_mov_b32_e32 v1, 0
	global_load_b32 v72, v1, s[8:9] offset:220
	s_wait_loadcnt 0x0
	v_cmp_eq_u32_e32 vcc_lo, 56, v72
	s_cbranch_vccnz .LBB121_366
; %bb.365:
	v_lshlrev_b32_e32 v72, 4, v72
	s_delay_alu instid0(VALU_DEP_1)
	v_mov_b32_e32 v80, v72
	s_clause 0x1
	scratch_load_b128 v[72:75], off, s17
	scratch_load_b128 v[76:79], v80, off offset:-16
	s_wait_loadcnt 0x1
	ds_store_2addr_b64 v0, v[72:73], v[74:75] offset1:1
	s_wait_loadcnt 0x0
	s_clause 0x1
	scratch_store_b128 off, v[76:79], s17
	scratch_store_b128 v80, v[72:75], off offset:-16
.LBB121_366:
	global_load_b32 v1, v1, s[8:9] offset:216
	s_wait_loadcnt 0x0
	v_cmp_eq_u32_e32 vcc_lo, 55, v1
	s_cbranch_vccnz .LBB121_368
; %bb.367:
	s_wait_xcnt 0x0
	v_lshlrev_b32_e32 v1, 4, v1
	s_clause 0x1
	scratch_load_b128 v[72:75], off, s19
	scratch_load_b128 v[76:79], v1, off offset:-16
	s_wait_loadcnt 0x1
	ds_store_2addr_b64 v0, v[72:73], v[74:75] offset1:1
	s_wait_loadcnt 0x0
	s_clause 0x1
	scratch_store_b128 off, v[76:79], s19
	scratch_store_b128 v1, v[72:75], off offset:-16
.LBB121_368:
	s_wait_xcnt 0x0
	v_mov_b32_e32 v1, 0
	global_load_b32 v72, v1, s[8:9] offset:212
	s_wait_loadcnt 0x0
	v_cmp_eq_u32_e32 vcc_lo, 54, v72
	s_cbranch_vccnz .LBB121_370
; %bb.369:
	v_lshlrev_b32_e32 v72, 4, v72
	s_delay_alu instid0(VALU_DEP_1)
	v_mov_b32_e32 v80, v72
	s_clause 0x1
	scratch_load_b128 v[72:75], off, s20
	scratch_load_b128 v[76:79], v80, off offset:-16
	s_wait_loadcnt 0x1
	ds_store_2addr_b64 v0, v[72:73], v[74:75] offset1:1
	s_wait_loadcnt 0x0
	s_clause 0x1
	scratch_store_b128 off, v[76:79], s20
	scratch_store_b128 v80, v[72:75], off offset:-16
.LBB121_370:
	global_load_b32 v1, v1, s[8:9] offset:208
	s_wait_loadcnt 0x0
	v_cmp_eq_u32_e32 vcc_lo, 53, v1
	s_cbranch_vccnz .LBB121_372
; %bb.371:
	s_wait_xcnt 0x0
	v_lshlrev_b32_e32 v1, 4, v1
	s_clause 0x1
	scratch_load_b128 v[72:75], off, s21
	scratch_load_b128 v[76:79], v1, off offset:-16
	s_wait_loadcnt 0x1
	ds_store_2addr_b64 v0, v[72:73], v[74:75] offset1:1
	s_wait_loadcnt 0x0
	s_clause 0x1
	scratch_store_b128 off, v[76:79], s21
	scratch_store_b128 v1, v[72:75], off offset:-16
.LBB121_372:
	;; [unrolled: 37-line block ×27, first 2 shown]
	s_wait_xcnt 0x0
	v_mov_b32_e32 v1, 0
	global_load_b32 v72, v1, s[8:9] offset:4
	s_wait_loadcnt 0x0
	v_cmp_eq_u32_e32 vcc_lo, 2, v72
	s_cbranch_vccnz .LBB121_474
; %bb.473:
	v_lshlrev_b32_e32 v72, 4, v72
	s_delay_alu instid0(VALU_DEP_1)
	v_mov_b32_e32 v80, v72
	s_clause 0x1
	scratch_load_b128 v[72:75], off, s18
	scratch_load_b128 v[76:79], v80, off offset:-16
	s_wait_loadcnt 0x1
	ds_store_2addr_b64 v0, v[72:73], v[74:75] offset1:1
	s_wait_loadcnt 0x0
	s_clause 0x1
	scratch_store_b128 off, v[76:79], s18
	scratch_store_b128 v80, v[72:75], off offset:-16
.LBB121_474:
	global_load_b32 v1, v1, s[8:9]
	s_wait_loadcnt 0x0
	v_cmp_eq_u32_e32 vcc_lo, 1, v1
	s_cbranch_vccnz .LBB121_476
; %bb.475:
	s_wait_xcnt 0x0
	v_lshlrev_b32_e32 v1, 4, v1
	scratch_load_b128 v[72:75], off, off
	scratch_load_b128 v[76:79], v1, off offset:-16
	s_wait_loadcnt 0x1
	ds_store_2addr_b64 v0, v[72:73], v[74:75] offset1:1
	s_wait_loadcnt 0x0
	scratch_store_b128 off, v[76:79], off
	scratch_store_b128 v1, v[72:75], off offset:-16
.LBB121_476:
	scratch_load_b128 v[72:75], off, off
	s_wait_loadcnt 0x0
	flat_store_b128 v[14:15], v[72:75]
	scratch_load_b128 v[72:75], off, s18
	s_wait_loadcnt 0x0
	flat_store_b128 v[16:17], v[72:75]
	scratch_load_b128 v[14:17], off, s16
	;; [unrolled: 3-line block ×57, first 2 shown]
	s_wait_loadcnt 0x0
	flat_store_b128 v[2:3], v[4:7]
	s_sendmsg sendmsg(MSG_DEALLOC_VGPRS)
	s_endpgm
	.section	.rodata,"a",@progbits
	.p2align	6, 0x0
	.amdhsa_kernel _ZN9rocsolver6v33100L18getri_kernel_smallILi58E19rocblas_complex_numIdEPKPS3_EEvT1_iilPiilS8_bb
		.amdhsa_group_segment_fixed_size 2888
		.amdhsa_private_segment_fixed_size 944
		.amdhsa_kernarg_size 60
		.amdhsa_user_sgpr_count 4
		.amdhsa_user_sgpr_dispatch_ptr 1
		.amdhsa_user_sgpr_queue_ptr 0
		.amdhsa_user_sgpr_kernarg_segment_ptr 1
		.amdhsa_user_sgpr_dispatch_id 0
		.amdhsa_user_sgpr_kernarg_preload_length 0
		.amdhsa_user_sgpr_kernarg_preload_offset 0
		.amdhsa_user_sgpr_private_segment_size 0
		.amdhsa_wavefront_size32 1
		.amdhsa_uses_dynamic_stack 0
		.amdhsa_enable_private_segment 1
		.amdhsa_system_sgpr_workgroup_id_x 1
		.amdhsa_system_sgpr_workgroup_id_y 0
		.amdhsa_system_sgpr_workgroup_id_z 0
		.amdhsa_system_sgpr_workgroup_info 0
		.amdhsa_system_vgpr_workitem_id 2
		.amdhsa_next_free_vgpr 198
		.amdhsa_next_free_sgpr 97
		.amdhsa_named_barrier_count 0
		.amdhsa_reserve_vcc 1
		.amdhsa_float_round_mode_32 0
		.amdhsa_float_round_mode_16_64 0
		.amdhsa_float_denorm_mode_32 3
		.amdhsa_float_denorm_mode_16_64 3
		.amdhsa_fp16_overflow 0
		.amdhsa_memory_ordered 1
		.amdhsa_forward_progress 1
		.amdhsa_inst_pref_size 255
		.amdhsa_round_robin_scheduling 0
		.amdhsa_exception_fp_ieee_invalid_op 0
		.amdhsa_exception_fp_denorm_src 0
		.amdhsa_exception_fp_ieee_div_zero 0
		.amdhsa_exception_fp_ieee_overflow 0
		.amdhsa_exception_fp_ieee_underflow 0
		.amdhsa_exception_fp_ieee_inexact 0
		.amdhsa_exception_int_div_zero 0
	.end_amdhsa_kernel
	.section	.text._ZN9rocsolver6v33100L18getri_kernel_smallILi58E19rocblas_complex_numIdEPKPS3_EEvT1_iilPiilS8_bb,"axG",@progbits,_ZN9rocsolver6v33100L18getri_kernel_smallILi58E19rocblas_complex_numIdEPKPS3_EEvT1_iilPiilS8_bb,comdat
.Lfunc_end121:
	.size	_ZN9rocsolver6v33100L18getri_kernel_smallILi58E19rocblas_complex_numIdEPKPS3_EEvT1_iilPiilS8_bb, .Lfunc_end121-_ZN9rocsolver6v33100L18getri_kernel_smallILi58E19rocblas_complex_numIdEPKPS3_EEvT1_iilPiilS8_bb
                                        ; -- End function
	.set _ZN9rocsolver6v33100L18getri_kernel_smallILi58E19rocblas_complex_numIdEPKPS3_EEvT1_iilPiilS8_bb.num_vgpr, 198
	.set _ZN9rocsolver6v33100L18getri_kernel_smallILi58E19rocblas_complex_numIdEPKPS3_EEvT1_iilPiilS8_bb.num_agpr, 0
	.set _ZN9rocsolver6v33100L18getri_kernel_smallILi58E19rocblas_complex_numIdEPKPS3_EEvT1_iilPiilS8_bb.numbered_sgpr, 97
	.set _ZN9rocsolver6v33100L18getri_kernel_smallILi58E19rocblas_complex_numIdEPKPS3_EEvT1_iilPiilS8_bb.num_named_barrier, 0
	.set _ZN9rocsolver6v33100L18getri_kernel_smallILi58E19rocblas_complex_numIdEPKPS3_EEvT1_iilPiilS8_bb.private_seg_size, 944
	.set _ZN9rocsolver6v33100L18getri_kernel_smallILi58E19rocblas_complex_numIdEPKPS3_EEvT1_iilPiilS8_bb.uses_vcc, 1
	.set _ZN9rocsolver6v33100L18getri_kernel_smallILi58E19rocblas_complex_numIdEPKPS3_EEvT1_iilPiilS8_bb.uses_flat_scratch, 1
	.set _ZN9rocsolver6v33100L18getri_kernel_smallILi58E19rocblas_complex_numIdEPKPS3_EEvT1_iilPiilS8_bb.has_dyn_sized_stack, 0
	.set _ZN9rocsolver6v33100L18getri_kernel_smallILi58E19rocblas_complex_numIdEPKPS3_EEvT1_iilPiilS8_bb.has_recursion, 0
	.set _ZN9rocsolver6v33100L18getri_kernel_smallILi58E19rocblas_complex_numIdEPKPS3_EEvT1_iilPiilS8_bb.has_indirect_call, 0
	.section	.AMDGPU.csdata,"",@progbits
; Kernel info:
; codeLenInByte = 121912
; TotalNumSgprs: 99
; NumVgprs: 198
; ScratchSize: 944
; MemoryBound: 0
; FloatMode: 240
; IeeeMode: 1
; LDSByteSize: 2888 bytes/workgroup (compile time only)
; SGPRBlocks: 0
; VGPRBlocks: 12
; NumSGPRsForWavesPerEU: 99
; NumVGPRsForWavesPerEU: 198
; NamedBarCnt: 0
; Occupancy: 4
; WaveLimiterHint : 1
; COMPUTE_PGM_RSRC2:SCRATCH_EN: 1
; COMPUTE_PGM_RSRC2:USER_SGPR: 4
; COMPUTE_PGM_RSRC2:TRAP_HANDLER: 0
; COMPUTE_PGM_RSRC2:TGID_X_EN: 1
; COMPUTE_PGM_RSRC2:TGID_Y_EN: 0
; COMPUTE_PGM_RSRC2:TGID_Z_EN: 0
; COMPUTE_PGM_RSRC2:TIDIG_COMP_CNT: 2
	.section	.text._ZN9rocsolver6v33100L18getri_kernel_smallILi59E19rocblas_complex_numIdEPKPS3_EEvT1_iilPiilS8_bb,"axG",@progbits,_ZN9rocsolver6v33100L18getri_kernel_smallILi59E19rocblas_complex_numIdEPKPS3_EEvT1_iilPiilS8_bb,comdat
	.globl	_ZN9rocsolver6v33100L18getri_kernel_smallILi59E19rocblas_complex_numIdEPKPS3_EEvT1_iilPiilS8_bb ; -- Begin function _ZN9rocsolver6v33100L18getri_kernel_smallILi59E19rocblas_complex_numIdEPKPS3_EEvT1_iilPiilS8_bb
	.p2align	8
	.type	_ZN9rocsolver6v33100L18getri_kernel_smallILi59E19rocblas_complex_numIdEPKPS3_EEvT1_iilPiilS8_bb,@function
_ZN9rocsolver6v33100L18getri_kernel_smallILi59E19rocblas_complex_numIdEPKPS3_EEvT1_iilPiilS8_bb: ; @_ZN9rocsolver6v33100L18getri_kernel_smallILi59E19rocblas_complex_numIdEPKPS3_EEvT1_iilPiilS8_bb
; %bb.0:
	v_and_b32_e32 v1, 0x3ff, v0
	s_mov_b32 s4, exec_lo
	s_delay_alu instid0(VALU_DEP_1)
	v_cmpx_gt_u32_e32 59, v1
	s_cbranch_execz .LBB122_250
; %bb.1:
	s_clause 0x1
	s_load_b32 s16, s[2:3], 0x38
	s_load_b64 s[8:9], s[2:3], 0x0
	s_getreg_b32 s6, hwreg(HW_REG_IB_STS2, 6, 4)
	s_wait_kmcnt 0x0
	s_bitcmp1_b32 s16, 8
	s_cselect_b32 s71, -1, 0
	s_bfe_u32 s4, ttmp6, 0x4000c
	s_and_b32 s5, ttmp6, 15
	s_add_co_i32 s4, s4, 1
	s_delay_alu instid0(SALU_CYCLE_1) | instskip(NEXT) | instid1(SALU_CYCLE_1)
	s_mul_i32 s4, ttmp9, s4
	s_add_co_i32 s5, s5, s4
	s_cmp_eq_u32 s6, 0
	s_cselect_b32 s10, ttmp9, s5
	s_load_b128 s[4:7], s[2:3], 0x28
	s_ashr_i32 s11, s10, 31
	s_delay_alu instid0(SALU_CYCLE_1) | instskip(NEXT) | instid1(SALU_CYCLE_1)
	s_lshl_b64 s[12:13], s[10:11], 3
	s_add_nc_u64 s[8:9], s[8:9], s[12:13]
	s_load_b64 s[14:15], s[8:9], 0x0
	s_wait_xcnt 0x0
	s_bfe_u32 s8, s16, 0x10008
	s_delay_alu instid0(SALU_CYCLE_1)
	s_cmp_eq_u32 s8, 0
                                        ; implicit-def: $sgpr8_sgpr9
	s_cbranch_scc1 .LBB122_3
; %bb.2:
	s_load_b96 s[16:18], s[2:3], 0x18
	s_wait_kmcnt 0x0
	s_mul_u64 s[4:5], s[4:5], s[10:11]
	s_delay_alu instid0(SALU_CYCLE_1) | instskip(SKIP_4) | instid1(SALU_CYCLE_1)
	s_lshl_b64 s[4:5], s[4:5], 2
	s_ashr_i32 s9, s18, 31
	s_mov_b32 s8, s18
	s_add_nc_u64 s[4:5], s[16:17], s[4:5]
	s_lshl_b64 s[8:9], s[8:9], 2
	s_add_nc_u64 s[8:9], s[4:5], s[8:9]
.LBB122_3:
	s_clause 0x1
	s_load_b64 s[12:13], s[2:3], 0x8
	s_load_b32 s72, s[2:3], 0x38
	v_dual_mov_b32 v133, 0 :: v_dual_lshlrev_b32 v132, 4, v1
	s_movk_i32 s73, 0x210
	s_movk_i32 s74, 0x220
	;; [unrolled: 1-line block ×16, first 2 shown]
	s_wait_kmcnt 0x0
	s_ashr_i32 s3, s12, 31
	s_mov_b32 s2, s12
	v_add3_u32 v18, s13, s13, v1
	s_lshl_b64 s[2:3], s[2:3], 4
	s_movk_i32 s89, 0x310
	s_add_nc_u64 s[4:5], s[14:15], s[2:3]
	s_ashr_i32 s3, s13, 31
	flat_load_b128 v[2:5], v1, s[4:5] scale_offset
	v_add_nc_u64_e32 v[14:15], s[4:5], v[132:133]
	s_mov_b32 s2, s13
	v_add_nc_u32_e32 v20, s13, v18
	s_movk_i32 s90, 0x320
	s_movk_i32 s91, 0x330
	;; [unrolled: 1-line block ×4, first 2 shown]
	v_lshl_add_u64 v[16:17], s[2:3], 4, v[14:15]
	v_add_nc_u32_e32 v22, s13, v20
	s_movk_i32 s94, 0x360
	s_movk_i32 s95, 0x370
	;; [unrolled: 1-line block ×4, first 2 shown]
	v_add_nc_u32_e32 v24, s13, v22
	s_movk_i32 s98, 0x3a0
	s_mov_b32 s18, 16
	s_mov_b32 s16, 32
	;; [unrolled: 1-line block ×3, first 2 shown]
	v_add_nc_u32_e32 v26, s13, v24
	s_mov_b32 s12, 64
	s_movk_i32 s70, 0x50
	s_movk_i32 s69, 0x60
	s_movk_i32 s68, 0x70
	v_add_nc_u32_e32 v28, s13, v26
	s_movk_i32 s67, 0x80
	s_movk_i32 s66, 0x90
	s_movk_i32 s65, 0xa0
	s_movk_i32 s64, 0xb0
	v_add_nc_u32_e32 v30, s13, v28
	s_movk_i32 s63, 0xc0
	;; [unrolled: 5-line block ×7, first 2 shown]
	s_mov_b32 s42, s73
	s_mov_b32 s41, s74
	s_mov_b32 s40, s75
	v_add_nc_u32_e32 v42, s13, v40
	s_mov_b32 s39, s76
	s_mov_b32 s38, s77
	s_mov_b32 s37, s78
	s_mov_b32 s36, s79
	v_add_nc_u32_e32 v44, s13, v42
	s_mov_b32 s35, s80
	;; [unrolled: 5-line block ×6, first 2 shown]
	s_mov_b32 s15, s97
	s_bitcmp0_b32 s72, 0
	s_mov_b32 s3, -1
	v_add_nc_u32_e32 v54, s13, v52
	s_delay_alu instid0(VALU_DEP_1) | instskip(NEXT) | instid1(VALU_DEP_1)
	v_add_nc_u32_e32 v56, s13, v54
	v_add_nc_u32_e32 v58, s13, v56
	s_delay_alu instid0(VALU_DEP_1) | instskip(NEXT) | instid1(VALU_DEP_1)
	v_add_nc_u32_e32 v60, s13, v58
	;; [unrolled: 3-line block ×19, first 2 shown]
	v_add_nc_u32_e32 v130, s13, v128
	s_mov_b32 s13, s98
	s_wait_loadcnt_dscnt 0x0
	scratch_store_b128 off, v[2:5], off
	flat_load_b128 v[2:5], v[16:17]
	s_wait_loadcnt_dscnt 0x0
	scratch_store_b128 off, v[2:5], off offset:16
	flat_load_b128 v[2:5], v18, s[4:5] scale_offset
	s_wait_loadcnt_dscnt 0x0
	scratch_store_b128 off, v[2:5], off offset:32
	flat_load_b128 v[2:5], v20, s[4:5] scale_offset
	;; [unrolled: 3-line block ×57, first 2 shown]
	s_wait_loadcnt_dscnt 0x0
	scratch_store_b128 off, v[2:5], off offset:928
	s_cbranch_scc1 .LBB122_248
; %bb.4:
	v_cmp_eq_u32_e64 s2, 0, v1
	s_wait_xcnt 0x0
	s_and_saveexec_b32 s3, s2
; %bb.5:
	v_mov_b32_e32 v2, 0
	ds_store_b32 v2, v2 offset:1888
; %bb.6:
	s_or_b32 exec_lo, exec_lo, s3
	s_wait_storecnt_dscnt 0x0
	s_barrier_signal -1
	s_barrier_wait -1
	scratch_load_b128 v[2:5], v1, off scale_offset
	s_wait_loadcnt 0x0
	v_cmp_eq_f64_e32 vcc_lo, 0, v[2:3]
	v_cmp_eq_f64_e64 s3, 0, v[4:5]
	s_and_b32 s3, vcc_lo, s3
	s_delay_alu instid0(SALU_CYCLE_1)
	s_and_saveexec_b32 s72, s3
	s_cbranch_execz .LBB122_10
; %bb.7:
	v_mov_b32_e32 v2, 0
	s_mov_b32 s73, 0
	ds_load_b32 v3, v2 offset:1888
	s_wait_dscnt 0x0
	v_readfirstlane_b32 s3, v3
	v_add_nc_u32_e32 v3, 1, v1
	s_cmp_eq_u32 s3, 0
	s_delay_alu instid0(VALU_DEP_1) | instskip(SKIP_1) | instid1(SALU_CYCLE_1)
	v_cmp_gt_i32_e32 vcc_lo, s3, v3
	s_cselect_b32 s74, -1, 0
	s_or_b32 s74, s74, vcc_lo
	s_delay_alu instid0(SALU_CYCLE_1)
	s_and_b32 exec_lo, exec_lo, s74
	s_cbranch_execz .LBB122_10
; %bb.8:
	v_mov_b32_e32 v4, s3
.LBB122_9:                              ; =>This Inner Loop Header: Depth=1
	ds_cmpstore_rtn_b32 v4, v2, v3, v4 offset:1888
	s_wait_dscnt 0x0
	v_cmp_ne_u32_e32 vcc_lo, 0, v4
	v_cmp_le_i32_e64 s3, v4, v3
	s_and_b32 s3, vcc_lo, s3
	s_delay_alu instid0(SALU_CYCLE_1) | instskip(NEXT) | instid1(SALU_CYCLE_1)
	s_and_b32 s3, exec_lo, s3
	s_or_b32 s73, s3, s73
	s_delay_alu instid0(SALU_CYCLE_1)
	s_and_not1_b32 exec_lo, exec_lo, s73
	s_cbranch_execnz .LBB122_9
.LBB122_10:
	s_or_b32 exec_lo, exec_lo, s72
	v_mov_b32_e32 v2, 0
	s_barrier_signal -1
	s_barrier_wait -1
	ds_load_b32 v3, v2 offset:1888
	s_and_saveexec_b32 s3, s2
	s_cbranch_execz .LBB122_12
; %bb.11:
	s_lshl_b64 s[72:73], s[10:11], 2
	s_delay_alu instid0(SALU_CYCLE_1)
	s_add_nc_u64 s[72:73], s[6:7], s[72:73]
	s_wait_dscnt 0x0
	global_store_b32 v2, v3, s[72:73]
.LBB122_12:
	s_wait_xcnt 0x0
	s_or_b32 exec_lo, exec_lo, s3
	s_wait_dscnt 0x0
	v_cmp_ne_u32_e32 vcc_lo, 0, v3
	s_mov_b32 s3, 0
	s_cbranch_vccnz .LBB122_248
; %bb.13:
	v_lshl_add_u32 v19, v1, 4, 0
                                        ; implicit-def: $vgpr6_vgpr7
                                        ; implicit-def: $vgpr10_vgpr11
	scratch_load_b128 v[2:5], v19, off
	s_wait_loadcnt 0x0
	v_cmp_ngt_f64_e64 s3, |v[2:3]|, |v[4:5]|
	s_wait_xcnt 0x0
	s_and_saveexec_b32 s72, s3
	s_delay_alu instid0(SALU_CYCLE_1)
	s_xor_b32 s3, exec_lo, s72
	s_cbranch_execz .LBB122_15
; %bb.14:
	v_div_scale_f64 v[6:7], null, v[4:5], v[4:5], v[2:3]
	v_div_scale_f64 v[12:13], vcc_lo, v[2:3], v[4:5], v[2:3]
	s_delay_alu instid0(VALU_DEP_2) | instskip(SKIP_1) | instid1(TRANS32_DEP_1)
	v_rcp_f64_e32 v[8:9], v[6:7]
	v_nop
	v_fma_f64 v[10:11], -v[6:7], v[8:9], 1.0
	s_delay_alu instid0(VALU_DEP_1) | instskip(NEXT) | instid1(VALU_DEP_1)
	v_fmac_f64_e32 v[8:9], v[8:9], v[10:11]
	v_fma_f64 v[10:11], -v[6:7], v[8:9], 1.0
	s_delay_alu instid0(VALU_DEP_1) | instskip(NEXT) | instid1(VALU_DEP_1)
	v_fmac_f64_e32 v[8:9], v[8:9], v[10:11]
	v_mul_f64_e32 v[10:11], v[12:13], v[8:9]
	s_delay_alu instid0(VALU_DEP_1) | instskip(NEXT) | instid1(VALU_DEP_1)
	v_fma_f64 v[6:7], -v[6:7], v[10:11], v[12:13]
	v_div_fmas_f64 v[6:7], v[6:7], v[8:9], v[10:11]
	s_delay_alu instid0(VALU_DEP_1) | instskip(NEXT) | instid1(VALU_DEP_1)
	v_div_fixup_f64 v[6:7], v[6:7], v[4:5], v[2:3]
	v_fmac_f64_e32 v[4:5], v[2:3], v[6:7]
	s_delay_alu instid0(VALU_DEP_1) | instskip(SKIP_1) | instid1(VALU_DEP_2)
	v_div_scale_f64 v[2:3], null, v[4:5], v[4:5], 1.0
	v_div_scale_f64 v[12:13], vcc_lo, 1.0, v[4:5], 1.0
	v_rcp_f64_e32 v[8:9], v[2:3]
	v_nop
	s_delay_alu instid0(TRANS32_DEP_1) | instskip(NEXT) | instid1(VALU_DEP_1)
	v_fma_f64 v[10:11], -v[2:3], v[8:9], 1.0
	v_fmac_f64_e32 v[8:9], v[8:9], v[10:11]
	s_delay_alu instid0(VALU_DEP_1) | instskip(NEXT) | instid1(VALU_DEP_1)
	v_fma_f64 v[10:11], -v[2:3], v[8:9], 1.0
	v_fmac_f64_e32 v[8:9], v[8:9], v[10:11]
	s_delay_alu instid0(VALU_DEP_1) | instskip(NEXT) | instid1(VALU_DEP_1)
	v_mul_f64_e32 v[10:11], v[12:13], v[8:9]
	v_fma_f64 v[2:3], -v[2:3], v[10:11], v[12:13]
	s_delay_alu instid0(VALU_DEP_1) | instskip(NEXT) | instid1(VALU_DEP_1)
	v_div_fmas_f64 v[2:3], v[2:3], v[8:9], v[10:11]
	v_div_fixup_f64 v[8:9], v[2:3], v[4:5], 1.0
                                        ; implicit-def: $vgpr2_vgpr3
	s_delay_alu instid0(VALU_DEP_1) | instskip(SKIP_1) | instid1(VALU_DEP_2)
	v_mul_f64_e32 v[6:7], v[6:7], v[8:9]
	v_xor_b32_e32 v9, 0x80000000, v9
	v_xor_b32_e32 v11, 0x80000000, v7
	s_delay_alu instid0(VALU_DEP_3)
	v_mov_b32_e32 v10, v6
.LBB122_15:
	s_and_not1_saveexec_b32 s3, s3
	s_cbranch_execz .LBB122_17
; %bb.16:
	v_div_scale_f64 v[6:7], null, v[2:3], v[2:3], v[4:5]
	v_div_scale_f64 v[12:13], vcc_lo, v[4:5], v[2:3], v[4:5]
	s_delay_alu instid0(VALU_DEP_2) | instskip(SKIP_1) | instid1(TRANS32_DEP_1)
	v_rcp_f64_e32 v[8:9], v[6:7]
	v_nop
	v_fma_f64 v[10:11], -v[6:7], v[8:9], 1.0
	s_delay_alu instid0(VALU_DEP_1) | instskip(NEXT) | instid1(VALU_DEP_1)
	v_fmac_f64_e32 v[8:9], v[8:9], v[10:11]
	v_fma_f64 v[10:11], -v[6:7], v[8:9], 1.0
	s_delay_alu instid0(VALU_DEP_1) | instskip(NEXT) | instid1(VALU_DEP_1)
	v_fmac_f64_e32 v[8:9], v[8:9], v[10:11]
	v_mul_f64_e32 v[10:11], v[12:13], v[8:9]
	s_delay_alu instid0(VALU_DEP_1) | instskip(NEXT) | instid1(VALU_DEP_1)
	v_fma_f64 v[6:7], -v[6:7], v[10:11], v[12:13]
	v_div_fmas_f64 v[6:7], v[6:7], v[8:9], v[10:11]
	s_delay_alu instid0(VALU_DEP_1) | instskip(NEXT) | instid1(VALU_DEP_1)
	v_div_fixup_f64 v[8:9], v[6:7], v[2:3], v[4:5]
	v_fmac_f64_e32 v[2:3], v[4:5], v[8:9]
	s_delay_alu instid0(VALU_DEP_1) | instskip(NEXT) | instid1(VALU_DEP_1)
	v_div_scale_f64 v[4:5], null, v[2:3], v[2:3], 1.0
	v_rcp_f64_e32 v[6:7], v[4:5]
	v_nop
	s_delay_alu instid0(TRANS32_DEP_1) | instskip(NEXT) | instid1(VALU_DEP_1)
	v_fma_f64 v[10:11], -v[4:5], v[6:7], 1.0
	v_fmac_f64_e32 v[6:7], v[6:7], v[10:11]
	s_delay_alu instid0(VALU_DEP_1) | instskip(NEXT) | instid1(VALU_DEP_1)
	v_fma_f64 v[10:11], -v[4:5], v[6:7], 1.0
	v_fmac_f64_e32 v[6:7], v[6:7], v[10:11]
	v_div_scale_f64 v[10:11], vcc_lo, 1.0, v[2:3], 1.0
	s_delay_alu instid0(VALU_DEP_1) | instskip(NEXT) | instid1(VALU_DEP_1)
	v_mul_f64_e32 v[12:13], v[10:11], v[6:7]
	v_fma_f64 v[4:5], -v[4:5], v[12:13], v[10:11]
	s_delay_alu instid0(VALU_DEP_1) | instskip(NEXT) | instid1(VALU_DEP_1)
	v_div_fmas_f64 v[4:5], v[4:5], v[6:7], v[12:13]
	v_div_fixup_f64 v[6:7], v[4:5], v[2:3], 1.0
	s_delay_alu instid0(VALU_DEP_1)
	v_mul_f64_e64 v[8:9], v[8:9], -v[6:7]
	v_xor_b32_e32 v11, 0x80000000, v7
	v_mov_b32_e32 v10, v6
.LBB122_17:
	s_or_b32 exec_lo, exec_lo, s3
	s_clause 0x1
	scratch_store_b128 v19, v[6:9], off
	scratch_load_b128 v[2:5], off, s18
	v_xor_b32_e32 v13, 0x80000000, v9
	v_mov_b32_e32 v12, v8
	s_wait_xcnt 0x1
	v_add_nc_u32_e32 v6, 0x3b0, v132
	ds_store_b128 v132, v[10:13]
	s_wait_loadcnt 0x0
	ds_store_b128 v132, v[2:5] offset:944
	s_wait_storecnt_dscnt 0x0
	s_barrier_signal -1
	s_barrier_wait -1
	s_wait_xcnt 0x0
	s_and_saveexec_b32 s3, s2
	s_cbranch_execz .LBB122_19
; %bb.18:
	scratch_load_b128 v[2:5], v19, off
	ds_load_b128 v[8:11], v6
	v_mov_b32_e32 v7, 0
	ds_load_b128 v[134:137], v7 offset:16
	s_wait_loadcnt_dscnt 0x1
	v_mul_f64_e32 v[12:13], v[8:9], v[4:5]
	v_mul_f64_e32 v[4:5], v[10:11], v[4:5]
	s_delay_alu instid0(VALU_DEP_2) | instskip(NEXT) | instid1(VALU_DEP_2)
	v_fmac_f64_e32 v[12:13], v[10:11], v[2:3]
	v_fma_f64 v[2:3], v[8:9], v[2:3], -v[4:5]
	s_delay_alu instid0(VALU_DEP_2) | instskip(NEXT) | instid1(VALU_DEP_2)
	v_add_f64_e32 v[8:9], 0, v[12:13]
	v_add_f64_e32 v[2:3], 0, v[2:3]
	s_wait_dscnt 0x0
	s_delay_alu instid0(VALU_DEP_2) | instskip(NEXT) | instid1(VALU_DEP_2)
	v_mul_f64_e32 v[10:11], v[8:9], v[136:137]
	v_mul_f64_e32 v[4:5], v[2:3], v[136:137]
	s_delay_alu instid0(VALU_DEP_2) | instskip(NEXT) | instid1(VALU_DEP_2)
	v_fma_f64 v[2:3], v[2:3], v[134:135], -v[10:11]
	v_fmac_f64_e32 v[4:5], v[8:9], v[134:135]
	scratch_store_b128 off, v[2:5], off offset:16
.LBB122_19:
	s_wait_xcnt 0x0
	s_or_b32 exec_lo, exec_lo, s3
	s_wait_storecnt 0x0
	s_barrier_signal -1
	s_barrier_wait -1
	scratch_load_b128 v[2:5], off, s16
	s_mov_b32 s3, exec_lo
	s_wait_loadcnt 0x0
	ds_store_b128 v6, v[2:5]
	s_wait_dscnt 0x0
	s_barrier_signal -1
	s_barrier_wait -1
	v_cmpx_gt_u32_e32 2, v1
	s_cbranch_execz .LBB122_23
; %bb.20:
	scratch_load_b128 v[2:5], v19, off
	ds_load_b128 v[8:11], v6
	s_wait_loadcnt_dscnt 0x0
	v_mul_f64_e32 v[12:13], v[10:11], v[4:5]
	v_mul_f64_e32 v[134:135], v[8:9], v[4:5]
	s_delay_alu instid0(VALU_DEP_2) | instskip(NEXT) | instid1(VALU_DEP_2)
	v_fma_f64 v[4:5], v[8:9], v[2:3], -v[12:13]
	v_fmac_f64_e32 v[134:135], v[10:11], v[2:3]
	s_delay_alu instid0(VALU_DEP_2) | instskip(NEXT) | instid1(VALU_DEP_2)
	v_add_f64_e32 v[4:5], 0, v[4:5]
	v_add_f64_e32 v[2:3], 0, v[134:135]
	s_and_saveexec_b32 s72, s2
	s_cbranch_execz .LBB122_22
; %bb.21:
	scratch_load_b128 v[8:11], off, off offset:16
	v_mov_b32_e32 v7, 0
	ds_load_b128 v[134:137], v7 offset:960
	s_wait_loadcnt_dscnt 0x0
	v_mul_f64_e32 v[12:13], v[134:135], v[10:11]
	v_mul_f64_e32 v[10:11], v[136:137], v[10:11]
	s_delay_alu instid0(VALU_DEP_2) | instskip(NEXT) | instid1(VALU_DEP_2)
	v_fmac_f64_e32 v[12:13], v[136:137], v[8:9]
	v_fma_f64 v[8:9], v[134:135], v[8:9], -v[10:11]
	s_delay_alu instid0(VALU_DEP_2) | instskip(NEXT) | instid1(VALU_DEP_2)
	v_add_f64_e32 v[2:3], v[2:3], v[12:13]
	v_add_f64_e32 v[4:5], v[4:5], v[8:9]
.LBB122_22:
	s_or_b32 exec_lo, exec_lo, s72
	v_mov_b32_e32 v7, 0
	ds_load_b128 v[8:11], v7 offset:32
	s_wait_dscnt 0x0
	v_mul_f64_e32 v[134:135], v[2:3], v[10:11]
	v_mul_f64_e32 v[12:13], v[4:5], v[10:11]
	s_delay_alu instid0(VALU_DEP_2) | instskip(NEXT) | instid1(VALU_DEP_2)
	v_fma_f64 v[10:11], v[4:5], v[8:9], -v[134:135]
	v_fmac_f64_e32 v[12:13], v[2:3], v[8:9]
	scratch_store_b128 off, v[10:13], off offset:32
.LBB122_23:
	s_wait_xcnt 0x0
	s_or_b32 exec_lo, exec_lo, s3
	s_wait_storecnt 0x0
	s_barrier_signal -1
	s_barrier_wait -1
	scratch_load_b128 v[2:5], off, s14
	v_add_nc_u32_e32 v7, -1, v1
	s_mov_b32 s2, exec_lo
	s_wait_loadcnt 0x0
	ds_store_b128 v6, v[2:5]
	s_wait_dscnt 0x0
	s_barrier_signal -1
	s_barrier_wait -1
	v_cmpx_gt_u32_e32 3, v1
	s_cbranch_execz .LBB122_27
; %bb.24:
	v_dual_mov_b32 v10, v132 :: v_dual_add_nc_u32 v8, -1, v1
	v_mov_b64_e32 v[2:3], 0
	v_mov_b64_e32 v[4:5], 0
	v_add_nc_u32_e32 v9, 0x3b0, v132
	s_delay_alu instid0(VALU_DEP_4)
	v_or_b32_e32 v10, 8, v10
	s_mov_b32 s3, 0
.LBB122_25:                             ; =>This Inner Loop Header: Depth=1
	scratch_load_b128 v[134:137], v10, off offset:-8
	ds_load_b128 v[138:141], v9
	s_wait_xcnt 0x0
	v_dual_add_nc_u32 v9, 16, v9 :: v_dual_add_nc_u32 v10, 16, v10
	v_add_nc_u32_e32 v8, 1, v8
	s_delay_alu instid0(VALU_DEP_1) | instskip(SKIP_4) | instid1(VALU_DEP_2)
	v_cmp_lt_u32_e32 vcc_lo, 1, v8
	s_or_b32 s3, vcc_lo, s3
	s_wait_loadcnt_dscnt 0x0
	v_mul_f64_e32 v[12:13], v[140:141], v[136:137]
	v_mul_f64_e32 v[136:137], v[138:139], v[136:137]
	v_fma_f64 v[12:13], v[138:139], v[134:135], -v[12:13]
	s_delay_alu instid0(VALU_DEP_2) | instskip(NEXT) | instid1(VALU_DEP_2)
	v_fmac_f64_e32 v[136:137], v[140:141], v[134:135]
	v_add_f64_e32 v[4:5], v[4:5], v[12:13]
	s_delay_alu instid0(VALU_DEP_2)
	v_add_f64_e32 v[2:3], v[2:3], v[136:137]
	s_and_not1_b32 exec_lo, exec_lo, s3
	s_cbranch_execnz .LBB122_25
; %bb.26:
	s_or_b32 exec_lo, exec_lo, s3
	v_mov_b32_e32 v8, 0
	ds_load_b128 v[8:11], v8 offset:48
	s_wait_dscnt 0x0
	v_mul_f64_e32 v[134:135], v[2:3], v[10:11]
	v_mul_f64_e32 v[12:13], v[4:5], v[10:11]
	s_delay_alu instid0(VALU_DEP_2) | instskip(NEXT) | instid1(VALU_DEP_2)
	v_fma_f64 v[10:11], v[4:5], v[8:9], -v[134:135]
	v_fmac_f64_e32 v[12:13], v[2:3], v[8:9]
	scratch_store_b128 off, v[10:13], off offset:48
.LBB122_27:
	s_wait_xcnt 0x0
	s_or_b32 exec_lo, exec_lo, s2
	s_wait_storecnt 0x0
	s_barrier_signal -1
	s_barrier_wait -1
	scratch_load_b128 v[2:5], off, s12
	s_mov_b32 s2, exec_lo
	s_wait_loadcnt 0x0
	ds_store_b128 v6, v[2:5]
	s_wait_dscnt 0x0
	s_barrier_signal -1
	s_barrier_wait -1
	v_cmpx_gt_u32_e32 4, v1
	s_cbranch_execz .LBB122_31
; %bb.28:
	v_dual_mov_b32 v10, v132 :: v_dual_add_nc_u32 v8, -1, v1
	v_mov_b64_e32 v[2:3], 0
	v_mov_b64_e32 v[4:5], 0
	v_add_nc_u32_e32 v9, 0x3b0, v132
	s_delay_alu instid0(VALU_DEP_4)
	v_or_b32_e32 v10, 8, v10
	s_mov_b32 s3, 0
.LBB122_29:                             ; =>This Inner Loop Header: Depth=1
	scratch_load_b128 v[134:137], v10, off offset:-8
	ds_load_b128 v[138:141], v9
	s_wait_xcnt 0x0
	v_dual_add_nc_u32 v9, 16, v9 :: v_dual_add_nc_u32 v10, 16, v10
	v_add_nc_u32_e32 v8, 1, v8
	s_delay_alu instid0(VALU_DEP_1) | instskip(SKIP_4) | instid1(VALU_DEP_2)
	v_cmp_lt_u32_e32 vcc_lo, 2, v8
	s_or_b32 s3, vcc_lo, s3
	s_wait_loadcnt_dscnt 0x0
	v_mul_f64_e32 v[12:13], v[140:141], v[136:137]
	v_mul_f64_e32 v[136:137], v[138:139], v[136:137]
	v_fma_f64 v[12:13], v[138:139], v[134:135], -v[12:13]
	s_delay_alu instid0(VALU_DEP_2) | instskip(NEXT) | instid1(VALU_DEP_2)
	v_fmac_f64_e32 v[136:137], v[140:141], v[134:135]
	v_add_f64_e32 v[4:5], v[4:5], v[12:13]
	s_delay_alu instid0(VALU_DEP_2)
	v_add_f64_e32 v[2:3], v[2:3], v[136:137]
	s_and_not1_b32 exec_lo, exec_lo, s3
	s_cbranch_execnz .LBB122_29
; %bb.30:
	s_or_b32 exec_lo, exec_lo, s3
	v_mov_b32_e32 v8, 0
	ds_load_b128 v[8:11], v8 offset:64
	s_wait_dscnt 0x0
	v_mul_f64_e32 v[134:135], v[2:3], v[10:11]
	v_mul_f64_e32 v[12:13], v[4:5], v[10:11]
	s_delay_alu instid0(VALU_DEP_2) | instskip(NEXT) | instid1(VALU_DEP_2)
	v_fma_f64 v[10:11], v[4:5], v[8:9], -v[134:135]
	v_fmac_f64_e32 v[12:13], v[2:3], v[8:9]
	scratch_store_b128 off, v[10:13], off offset:64
.LBB122_31:
	s_wait_xcnt 0x0
	s_or_b32 exec_lo, exec_lo, s2
	s_wait_storecnt 0x0
	s_barrier_signal -1
	s_barrier_wait -1
	scratch_load_b128 v[2:5], off, s70
	;; [unrolled: 54-line block ×19, first 2 shown]
	s_mov_b32 s2, exec_lo
	s_wait_loadcnt 0x0
	ds_store_b128 v6, v[2:5]
	s_wait_dscnt 0x0
	s_barrier_signal -1
	s_barrier_wait -1
	v_cmpx_gt_u32_e32 22, v1
	s_cbranch_execz .LBB122_103
; %bb.100:
	v_dual_mov_b32 v10, v132 :: v_dual_add_nc_u32 v8, -1, v1
	v_mov_b64_e32 v[2:3], 0
	v_mov_b64_e32 v[4:5], 0
	v_add_nc_u32_e32 v9, 0x3b0, v132
	s_delay_alu instid0(VALU_DEP_4)
	v_or_b32_e32 v10, 8, v10
	s_mov_b32 s3, 0
.LBB122_101:                            ; =>This Inner Loop Header: Depth=1
	scratch_load_b128 v[134:137], v10, off offset:-8
	ds_load_b128 v[138:141], v9
	s_wait_xcnt 0x0
	v_dual_add_nc_u32 v9, 16, v9 :: v_dual_add_nc_u32 v10, 16, v10
	v_add_nc_u32_e32 v8, 1, v8
	s_delay_alu instid0(VALU_DEP_1) | instskip(SKIP_4) | instid1(VALU_DEP_2)
	v_cmp_lt_u32_e32 vcc_lo, 20, v8
	s_or_b32 s3, vcc_lo, s3
	s_wait_loadcnt_dscnt 0x0
	v_mul_f64_e32 v[12:13], v[140:141], v[136:137]
	v_mul_f64_e32 v[136:137], v[138:139], v[136:137]
	v_fma_f64 v[12:13], v[138:139], v[134:135], -v[12:13]
	s_delay_alu instid0(VALU_DEP_2) | instskip(NEXT) | instid1(VALU_DEP_2)
	v_fmac_f64_e32 v[136:137], v[140:141], v[134:135]
	v_add_f64_e32 v[4:5], v[4:5], v[12:13]
	s_delay_alu instid0(VALU_DEP_2)
	v_add_f64_e32 v[2:3], v[2:3], v[136:137]
	s_and_not1_b32 exec_lo, exec_lo, s3
	s_cbranch_execnz .LBB122_101
; %bb.102:
	s_or_b32 exec_lo, exec_lo, s3
	v_mov_b32_e32 v8, 0
	ds_load_b128 v[8:11], v8 offset:352
	s_wait_dscnt 0x0
	v_mul_f64_e32 v[134:135], v[2:3], v[10:11]
	v_mul_f64_e32 v[12:13], v[4:5], v[10:11]
	s_delay_alu instid0(VALU_DEP_2) | instskip(NEXT) | instid1(VALU_DEP_2)
	v_fma_f64 v[10:11], v[4:5], v[8:9], -v[134:135]
	v_fmac_f64_e32 v[12:13], v[2:3], v[8:9]
	scratch_store_b128 off, v[10:13], off offset:352
.LBB122_103:
	s_wait_xcnt 0x0
	s_or_b32 exec_lo, exec_lo, s2
	s_wait_storecnt 0x0
	s_barrier_signal -1
	s_barrier_wait -1
	scratch_load_b128 v[2:5], off, s52
	s_mov_b32 s2, exec_lo
	s_wait_loadcnt 0x0
	ds_store_b128 v6, v[2:5]
	s_wait_dscnt 0x0
	s_barrier_signal -1
	s_barrier_wait -1
	v_cmpx_gt_u32_e32 23, v1
	s_cbranch_execz .LBB122_107
; %bb.104:
	v_dual_mov_b32 v10, v132 :: v_dual_add_nc_u32 v8, -1, v1
	v_mov_b64_e32 v[2:3], 0
	v_mov_b64_e32 v[4:5], 0
	v_add_nc_u32_e32 v9, 0x3b0, v132
	s_delay_alu instid0(VALU_DEP_4)
	v_or_b32_e32 v10, 8, v10
	s_mov_b32 s3, 0
.LBB122_105:                            ; =>This Inner Loop Header: Depth=1
	scratch_load_b128 v[134:137], v10, off offset:-8
	ds_load_b128 v[138:141], v9
	s_wait_xcnt 0x0
	v_dual_add_nc_u32 v9, 16, v9 :: v_dual_add_nc_u32 v10, 16, v10
	v_add_nc_u32_e32 v8, 1, v8
	s_delay_alu instid0(VALU_DEP_1) | instskip(SKIP_4) | instid1(VALU_DEP_2)
	v_cmp_lt_u32_e32 vcc_lo, 21, v8
	s_or_b32 s3, vcc_lo, s3
	s_wait_loadcnt_dscnt 0x0
	v_mul_f64_e32 v[12:13], v[140:141], v[136:137]
	v_mul_f64_e32 v[136:137], v[138:139], v[136:137]
	v_fma_f64 v[12:13], v[138:139], v[134:135], -v[12:13]
	s_delay_alu instid0(VALU_DEP_2) | instskip(NEXT) | instid1(VALU_DEP_2)
	v_fmac_f64_e32 v[136:137], v[140:141], v[134:135]
	v_add_f64_e32 v[4:5], v[4:5], v[12:13]
	s_delay_alu instid0(VALU_DEP_2)
	v_add_f64_e32 v[2:3], v[2:3], v[136:137]
	s_and_not1_b32 exec_lo, exec_lo, s3
	s_cbranch_execnz .LBB122_105
; %bb.106:
	s_or_b32 exec_lo, exec_lo, s3
	v_mov_b32_e32 v8, 0
	ds_load_b128 v[8:11], v8 offset:368
	s_wait_dscnt 0x0
	v_mul_f64_e32 v[134:135], v[2:3], v[10:11]
	v_mul_f64_e32 v[12:13], v[4:5], v[10:11]
	s_delay_alu instid0(VALU_DEP_2) | instskip(NEXT) | instid1(VALU_DEP_2)
	v_fma_f64 v[10:11], v[4:5], v[8:9], -v[134:135]
	v_fmac_f64_e32 v[12:13], v[2:3], v[8:9]
	scratch_store_b128 off, v[10:13], off offset:368
.LBB122_107:
	s_wait_xcnt 0x0
	s_or_b32 exec_lo, exec_lo, s2
	s_wait_storecnt 0x0
	s_barrier_signal -1
	s_barrier_wait -1
	scratch_load_b128 v[2:5], off, s51
	;; [unrolled: 54-line block ×36, first 2 shown]
	s_mov_b32 s2, exec_lo
	s_wait_loadcnt 0x0
	ds_store_b128 v6, v[2:5]
	s_wait_dscnt 0x0
	s_barrier_signal -1
	s_barrier_wait -1
	v_cmpx_ne_u32_e32 58, v1
	s_cbranch_execz .LBB122_247
; %bb.244:
	v_mov_b32_e32 v8, v132
	v_mov_b64_e32 v[2:3], 0
	v_mov_b64_e32 v[4:5], 0
	s_mov_b32 s3, 0
	s_delay_alu instid0(VALU_DEP_3)
	v_or_b32_e32 v8, 8, v8
.LBB122_245:                            ; =>This Inner Loop Header: Depth=1
	scratch_load_b128 v[10:13], v8, off offset:-8
	ds_load_b128 v[132:135], v6
	v_dual_add_nc_u32 v7, 1, v7 :: v_dual_add_nc_u32 v6, 16, v6
	s_wait_xcnt 0x0
	v_add_nc_u32_e32 v8, 16, v8
	s_delay_alu instid0(VALU_DEP_2) | instskip(SKIP_4) | instid1(VALU_DEP_2)
	v_cmp_lt_u32_e32 vcc_lo, 56, v7
	s_or_b32 s3, vcc_lo, s3
	s_wait_loadcnt_dscnt 0x0
	v_mul_f64_e32 v[136:137], v[134:135], v[12:13]
	v_mul_f64_e32 v[12:13], v[132:133], v[12:13]
	v_fma_f64 v[132:133], v[132:133], v[10:11], -v[136:137]
	s_delay_alu instid0(VALU_DEP_2) | instskip(NEXT) | instid1(VALU_DEP_2)
	v_fmac_f64_e32 v[12:13], v[134:135], v[10:11]
	v_add_f64_e32 v[4:5], v[4:5], v[132:133]
	s_delay_alu instid0(VALU_DEP_2)
	v_add_f64_e32 v[2:3], v[2:3], v[12:13]
	s_and_not1_b32 exec_lo, exec_lo, s3
	s_cbranch_execnz .LBB122_245
; %bb.246:
	s_or_b32 exec_lo, exec_lo, s3
	v_mov_b32_e32 v6, 0
	ds_load_b128 v[6:9], v6 offset:928
	s_wait_dscnt 0x0
	v_mul_f64_e32 v[12:13], v[2:3], v[8:9]
	v_mul_f64_e32 v[10:11], v[4:5], v[8:9]
	s_delay_alu instid0(VALU_DEP_2) | instskip(NEXT) | instid1(VALU_DEP_2)
	v_fma_f64 v[8:9], v[4:5], v[6:7], -v[12:13]
	v_fmac_f64_e32 v[10:11], v[2:3], v[6:7]
	scratch_store_b128 off, v[8:11], off offset:928
.LBB122_247:
	s_wait_xcnt 0x0
	s_or_b32 exec_lo, exec_lo, s2
	s_mov_b32 s3, -1
	s_wait_storecnt 0x0
	s_barrier_signal -1
	s_barrier_wait -1
.LBB122_248:
	s_and_b32 vcc_lo, exec_lo, s3
	s_cbranch_vccz .LBB122_250
; %bb.249:
	s_wait_xcnt 0x0
	v_mov_b32_e32 v2, 0
	s_lshl_b64 s[2:3], s[10:11], 2
	s_delay_alu instid0(SALU_CYCLE_1)
	s_add_nc_u64 s[2:3], s[6:7], s[2:3]
	global_load_b32 v2, v2, s[2:3]
	s_wait_loadcnt 0x0
	v_cmp_ne_u32_e32 vcc_lo, 0, v2
	s_cbranch_vccz .LBB122_251
.LBB122_250:
	s_sendmsg sendmsg(MSG_DEALLOC_VGPRS)
	s_endpgm
.LBB122_251:
	v_lshl_add_u32 v8, v1, 4, 0x3b0
	s_wait_xcnt 0x0
	s_mov_b32 s2, exec_lo
	v_cmpx_eq_u32_e32 58, v1
	s_cbranch_execz .LBB122_253
; %bb.252:
	scratch_load_b128 v[2:5], off, s15
	v_mov_b32_e32 v10, 0
	s_delay_alu instid0(VALU_DEP_1)
	v_dual_mov_b32 v11, v10 :: v_dual_mov_b32 v12, v10
	v_mov_b32_e32 v13, v10
	scratch_store_b128 off, v[10:13], off offset:912
	s_wait_loadcnt 0x0
	ds_store_b128 v8, v[2:5]
.LBB122_253:
	s_wait_xcnt 0x0
	s_or_b32 exec_lo, exec_lo, s2
	s_wait_storecnt_dscnt 0x0
	s_barrier_signal -1
	s_barrier_wait -1
	s_clause 0x1
	scratch_load_b128 v[4:7], off, off offset:928
	scratch_load_b128 v[10:13], off, off offset:912
	v_mov_b32_e32 v2, 0
	s_mov_b32 s2, exec_lo
	ds_load_b128 v[132:135], v2 offset:1872
	s_wait_loadcnt_dscnt 0x100
	v_mul_f64_e32 v[136:137], v[134:135], v[6:7]
	v_mul_f64_e32 v[6:7], v[132:133], v[6:7]
	s_delay_alu instid0(VALU_DEP_2) | instskip(NEXT) | instid1(VALU_DEP_2)
	v_fma_f64 v[132:133], v[132:133], v[4:5], -v[136:137]
	v_fmac_f64_e32 v[6:7], v[134:135], v[4:5]
	s_delay_alu instid0(VALU_DEP_2) | instskip(NEXT) | instid1(VALU_DEP_2)
	v_add_f64_e32 v[4:5], 0, v[132:133]
	v_add_f64_e32 v[6:7], 0, v[6:7]
	s_wait_loadcnt 0x0
	s_delay_alu instid0(VALU_DEP_2) | instskip(NEXT) | instid1(VALU_DEP_2)
	v_add_f64_e64 v[4:5], v[10:11], -v[4:5]
	v_add_f64_e64 v[6:7], v[12:13], -v[6:7]
	scratch_store_b128 off, v[4:7], off offset:912
	s_wait_xcnt 0x0
	v_cmpx_lt_u32_e32 56, v1
	s_cbranch_execz .LBB122_255
; %bb.254:
	scratch_load_b128 v[10:13], off, s17
	v_dual_mov_b32 v3, v2 :: v_dual_mov_b32 v4, v2
	v_mov_b32_e32 v5, v2
	scratch_store_b128 off, v[2:5], off offset:896
	s_wait_loadcnt 0x0
	ds_store_b128 v8, v[10:13]
.LBB122_255:
	s_wait_xcnt 0x0
	s_or_b32 exec_lo, exec_lo, s2
	s_wait_storecnt_dscnt 0x0
	s_barrier_signal -1
	s_barrier_wait -1
	s_clause 0x2
	scratch_load_b128 v[4:7], off, off offset:912
	scratch_load_b128 v[10:13], off, off offset:928
	;; [unrolled: 1-line block ×3, first 2 shown]
	ds_load_b128 v[136:139], v2 offset:1856
	ds_load_b128 v[140:143], v2 offset:1872
	s_mov_b32 s2, exec_lo
	s_wait_loadcnt_dscnt 0x201
	v_mul_f64_e32 v[2:3], v[138:139], v[6:7]
	v_mul_f64_e32 v[6:7], v[136:137], v[6:7]
	s_wait_loadcnt_dscnt 0x100
	v_mul_f64_e32 v[144:145], v[140:141], v[12:13]
	v_mul_f64_e32 v[12:13], v[142:143], v[12:13]
	s_delay_alu instid0(VALU_DEP_4) | instskip(NEXT) | instid1(VALU_DEP_4)
	v_fma_f64 v[2:3], v[136:137], v[4:5], -v[2:3]
	v_fmac_f64_e32 v[6:7], v[138:139], v[4:5]
	s_delay_alu instid0(VALU_DEP_4) | instskip(NEXT) | instid1(VALU_DEP_4)
	v_fmac_f64_e32 v[144:145], v[142:143], v[10:11]
	v_fma_f64 v[4:5], v[140:141], v[10:11], -v[12:13]
	s_delay_alu instid0(VALU_DEP_4) | instskip(NEXT) | instid1(VALU_DEP_4)
	v_add_f64_e32 v[2:3], 0, v[2:3]
	v_add_f64_e32 v[6:7], 0, v[6:7]
	s_delay_alu instid0(VALU_DEP_2) | instskip(NEXT) | instid1(VALU_DEP_2)
	v_add_f64_e32 v[2:3], v[2:3], v[4:5]
	v_add_f64_e32 v[4:5], v[6:7], v[144:145]
	s_wait_loadcnt 0x0
	s_delay_alu instid0(VALU_DEP_2) | instskip(NEXT) | instid1(VALU_DEP_2)
	v_add_f64_e64 v[2:3], v[132:133], -v[2:3]
	v_add_f64_e64 v[4:5], v[134:135], -v[4:5]
	scratch_store_b128 off, v[2:5], off offset:896
	s_wait_xcnt 0x0
	v_cmpx_lt_u32_e32 55, v1
	s_cbranch_execz .LBB122_257
; %bb.256:
	scratch_load_b128 v[2:5], off, s19
	v_mov_b32_e32 v10, 0
	s_delay_alu instid0(VALU_DEP_1)
	v_dual_mov_b32 v11, v10 :: v_dual_mov_b32 v12, v10
	v_mov_b32_e32 v13, v10
	scratch_store_b128 off, v[10:13], off offset:880
	s_wait_loadcnt 0x0
	ds_store_b128 v8, v[2:5]
.LBB122_257:
	s_wait_xcnt 0x0
	s_or_b32 exec_lo, exec_lo, s2
	s_wait_storecnt_dscnt 0x0
	s_barrier_signal -1
	s_barrier_wait -1
	s_clause 0x3
	scratch_load_b128 v[4:7], off, off offset:896
	scratch_load_b128 v[10:13], off, off offset:912
	;; [unrolled: 1-line block ×4, first 2 shown]
	v_mov_b32_e32 v2, 0
	ds_load_b128 v[140:143], v2 offset:1840
	ds_load_b128 v[144:147], v2 offset:1856
	s_mov_b32 s2, exec_lo
	s_wait_loadcnt_dscnt 0x301
	v_mul_f64_e32 v[148:149], v[142:143], v[6:7]
	v_mul_f64_e32 v[150:151], v[140:141], v[6:7]
	s_wait_loadcnt_dscnt 0x200
	v_mul_f64_e32 v[152:153], v[144:145], v[12:13]
	v_mul_f64_e32 v[12:13], v[146:147], v[12:13]
	s_delay_alu instid0(VALU_DEP_4) | instskip(NEXT) | instid1(VALU_DEP_4)
	v_fma_f64 v[140:141], v[140:141], v[4:5], -v[148:149]
	v_fmac_f64_e32 v[150:151], v[142:143], v[4:5]
	ds_load_b128 v[4:7], v2 offset:1872
	v_fmac_f64_e32 v[152:153], v[146:147], v[10:11]
	v_fma_f64 v[10:11], v[144:145], v[10:11], -v[12:13]
	s_wait_loadcnt_dscnt 0x100
	v_mul_f64_e32 v[142:143], v[4:5], v[134:135]
	v_mul_f64_e32 v[134:135], v[6:7], v[134:135]
	v_add_f64_e32 v[12:13], 0, v[140:141]
	v_add_f64_e32 v[140:141], 0, v[150:151]
	s_delay_alu instid0(VALU_DEP_4) | instskip(NEXT) | instid1(VALU_DEP_4)
	v_fmac_f64_e32 v[142:143], v[6:7], v[132:133]
	v_fma_f64 v[4:5], v[4:5], v[132:133], -v[134:135]
	s_delay_alu instid0(VALU_DEP_4) | instskip(NEXT) | instid1(VALU_DEP_4)
	v_add_f64_e32 v[6:7], v[12:13], v[10:11]
	v_add_f64_e32 v[10:11], v[140:141], v[152:153]
	s_delay_alu instid0(VALU_DEP_2) | instskip(NEXT) | instid1(VALU_DEP_2)
	v_add_f64_e32 v[4:5], v[6:7], v[4:5]
	v_add_f64_e32 v[6:7], v[10:11], v[142:143]
	s_wait_loadcnt 0x0
	s_delay_alu instid0(VALU_DEP_2) | instskip(NEXT) | instid1(VALU_DEP_2)
	v_add_f64_e64 v[4:5], v[136:137], -v[4:5]
	v_add_f64_e64 v[6:7], v[138:139], -v[6:7]
	scratch_store_b128 off, v[4:7], off offset:880
	s_wait_xcnt 0x0
	v_cmpx_lt_u32_e32 54, v1
	s_cbranch_execz .LBB122_259
; %bb.258:
	scratch_load_b128 v[10:13], off, s20
	v_dual_mov_b32 v3, v2 :: v_dual_mov_b32 v4, v2
	v_mov_b32_e32 v5, v2
	scratch_store_b128 off, v[2:5], off offset:864
	s_wait_loadcnt 0x0
	ds_store_b128 v8, v[10:13]
.LBB122_259:
	s_wait_xcnt 0x0
	s_or_b32 exec_lo, exec_lo, s2
	s_wait_storecnt_dscnt 0x0
	s_barrier_signal -1
	s_barrier_wait -1
	s_clause 0x4
	scratch_load_b128 v[4:7], off, off offset:880
	scratch_load_b128 v[10:13], off, off offset:896
	;; [unrolled: 1-line block ×5, first 2 shown]
	ds_load_b128 v[144:147], v2 offset:1824
	ds_load_b128 v[148:151], v2 offset:1840
	s_mov_b32 s2, exec_lo
	s_wait_loadcnt_dscnt 0x401
	v_mul_f64_e32 v[152:153], v[146:147], v[6:7]
	v_mul_f64_e32 v[154:155], v[144:145], v[6:7]
	s_wait_loadcnt_dscnt 0x300
	v_mul_f64_e32 v[156:157], v[148:149], v[12:13]
	v_mul_f64_e32 v[12:13], v[150:151], v[12:13]
	s_delay_alu instid0(VALU_DEP_4) | instskip(NEXT) | instid1(VALU_DEP_4)
	v_fma_f64 v[152:153], v[144:145], v[4:5], -v[152:153]
	v_fmac_f64_e32 v[154:155], v[146:147], v[4:5]
	ds_load_b128 v[4:7], v2 offset:1856
	ds_load_b128 v[144:147], v2 offset:1872
	v_fmac_f64_e32 v[156:157], v[150:151], v[10:11]
	v_fma_f64 v[10:11], v[148:149], v[10:11], -v[12:13]
	s_wait_loadcnt_dscnt 0x201
	v_mul_f64_e32 v[2:3], v[4:5], v[134:135]
	v_mul_f64_e32 v[134:135], v[6:7], v[134:135]
	s_wait_loadcnt_dscnt 0x100
	v_mul_f64_e32 v[150:151], v[144:145], v[138:139]
	v_mul_f64_e32 v[138:139], v[146:147], v[138:139]
	v_add_f64_e32 v[12:13], 0, v[152:153]
	v_add_f64_e32 v[148:149], 0, v[154:155]
	v_fmac_f64_e32 v[2:3], v[6:7], v[132:133]
	v_fma_f64 v[4:5], v[4:5], v[132:133], -v[134:135]
	v_fmac_f64_e32 v[150:151], v[146:147], v[136:137]
	v_add_f64_e32 v[6:7], v[12:13], v[10:11]
	v_add_f64_e32 v[10:11], v[148:149], v[156:157]
	v_fma_f64 v[12:13], v[144:145], v[136:137], -v[138:139]
	s_delay_alu instid0(VALU_DEP_3) | instskip(NEXT) | instid1(VALU_DEP_3)
	v_add_f64_e32 v[4:5], v[6:7], v[4:5]
	v_add_f64_e32 v[2:3], v[10:11], v[2:3]
	s_delay_alu instid0(VALU_DEP_2) | instskip(NEXT) | instid1(VALU_DEP_2)
	v_add_f64_e32 v[4:5], v[4:5], v[12:13]
	v_add_f64_e32 v[6:7], v[2:3], v[150:151]
	s_wait_loadcnt 0x0
	s_delay_alu instid0(VALU_DEP_2) | instskip(NEXT) | instid1(VALU_DEP_2)
	v_add_f64_e64 v[2:3], v[140:141], -v[4:5]
	v_add_f64_e64 v[4:5], v[142:143], -v[6:7]
	scratch_store_b128 off, v[2:5], off offset:864
	s_wait_xcnt 0x0
	v_cmpx_lt_u32_e32 53, v1
	s_cbranch_execz .LBB122_261
; %bb.260:
	scratch_load_b128 v[2:5], off, s21
	v_mov_b32_e32 v10, 0
	s_delay_alu instid0(VALU_DEP_1)
	v_dual_mov_b32 v11, v10 :: v_dual_mov_b32 v12, v10
	v_mov_b32_e32 v13, v10
	scratch_store_b128 off, v[10:13], off offset:848
	s_wait_loadcnt 0x0
	ds_store_b128 v8, v[2:5]
.LBB122_261:
	s_wait_xcnt 0x0
	s_or_b32 exec_lo, exec_lo, s2
	s_wait_storecnt_dscnt 0x0
	s_barrier_signal -1
	s_barrier_wait -1
	s_clause 0x5
	scratch_load_b128 v[4:7], off, off offset:864
	scratch_load_b128 v[10:13], off, off offset:880
	;; [unrolled: 1-line block ×6, first 2 shown]
	v_mov_b32_e32 v2, 0
	ds_load_b128 v[148:151], v2 offset:1808
	ds_load_b128 v[152:155], v2 offset:1824
	s_mov_b32 s2, exec_lo
	s_wait_loadcnt_dscnt 0x501
	v_mul_f64_e32 v[156:157], v[150:151], v[6:7]
	v_mul_f64_e32 v[158:159], v[148:149], v[6:7]
	s_wait_loadcnt_dscnt 0x400
	v_mul_f64_e32 v[160:161], v[152:153], v[12:13]
	v_mul_f64_e32 v[12:13], v[154:155], v[12:13]
	s_delay_alu instid0(VALU_DEP_4) | instskip(NEXT) | instid1(VALU_DEP_4)
	v_fma_f64 v[156:157], v[148:149], v[4:5], -v[156:157]
	v_fmac_f64_e32 v[158:159], v[150:151], v[4:5]
	ds_load_b128 v[4:7], v2 offset:1840
	ds_load_b128 v[148:151], v2 offset:1856
	v_fmac_f64_e32 v[160:161], v[154:155], v[10:11]
	v_fma_f64 v[10:11], v[152:153], v[10:11], -v[12:13]
	s_wait_loadcnt_dscnt 0x301
	v_mul_f64_e32 v[162:163], v[4:5], v[134:135]
	v_mul_f64_e32 v[134:135], v[6:7], v[134:135]
	s_wait_loadcnt_dscnt 0x200
	v_mul_f64_e32 v[154:155], v[148:149], v[138:139]
	v_mul_f64_e32 v[138:139], v[150:151], v[138:139]
	v_add_f64_e32 v[12:13], 0, v[156:157]
	v_add_f64_e32 v[152:153], 0, v[158:159]
	v_fmac_f64_e32 v[162:163], v[6:7], v[132:133]
	v_fma_f64 v[132:133], v[4:5], v[132:133], -v[134:135]
	ds_load_b128 v[4:7], v2 offset:1872
	v_fmac_f64_e32 v[154:155], v[150:151], v[136:137]
	v_fma_f64 v[136:137], v[148:149], v[136:137], -v[138:139]
	v_add_f64_e32 v[10:11], v[12:13], v[10:11]
	v_add_f64_e32 v[12:13], v[152:153], v[160:161]
	s_wait_loadcnt_dscnt 0x100
	v_mul_f64_e32 v[134:135], v[4:5], v[142:143]
	v_mul_f64_e32 v[142:143], v[6:7], v[142:143]
	s_delay_alu instid0(VALU_DEP_4) | instskip(NEXT) | instid1(VALU_DEP_4)
	v_add_f64_e32 v[10:11], v[10:11], v[132:133]
	v_add_f64_e32 v[12:13], v[12:13], v[162:163]
	s_delay_alu instid0(VALU_DEP_4) | instskip(NEXT) | instid1(VALU_DEP_4)
	v_fmac_f64_e32 v[134:135], v[6:7], v[140:141]
	v_fma_f64 v[4:5], v[4:5], v[140:141], -v[142:143]
	s_delay_alu instid0(VALU_DEP_4) | instskip(NEXT) | instid1(VALU_DEP_4)
	v_add_f64_e32 v[6:7], v[10:11], v[136:137]
	v_add_f64_e32 v[10:11], v[12:13], v[154:155]
	s_delay_alu instid0(VALU_DEP_2) | instskip(NEXT) | instid1(VALU_DEP_2)
	v_add_f64_e32 v[4:5], v[6:7], v[4:5]
	v_add_f64_e32 v[6:7], v[10:11], v[134:135]
	s_wait_loadcnt 0x0
	s_delay_alu instid0(VALU_DEP_2) | instskip(NEXT) | instid1(VALU_DEP_2)
	v_add_f64_e64 v[4:5], v[144:145], -v[4:5]
	v_add_f64_e64 v[6:7], v[146:147], -v[6:7]
	scratch_store_b128 off, v[4:7], off offset:848
	s_wait_xcnt 0x0
	v_cmpx_lt_u32_e32 52, v1
	s_cbranch_execz .LBB122_263
; %bb.262:
	scratch_load_b128 v[10:13], off, s22
	v_dual_mov_b32 v3, v2 :: v_dual_mov_b32 v4, v2
	v_mov_b32_e32 v5, v2
	scratch_store_b128 off, v[2:5], off offset:832
	s_wait_loadcnt 0x0
	ds_store_b128 v8, v[10:13]
.LBB122_263:
	s_wait_xcnt 0x0
	s_or_b32 exec_lo, exec_lo, s2
	s_wait_storecnt_dscnt 0x0
	s_barrier_signal -1
	s_barrier_wait -1
	s_clause 0x6
	scratch_load_b128 v[4:7], off, off offset:848
	scratch_load_b128 v[10:13], off, off offset:864
	;; [unrolled: 1-line block ×7, first 2 shown]
	ds_load_b128 v[152:155], v2 offset:1792
	ds_load_b128 v[156:159], v2 offset:1808
	s_mov_b32 s2, exec_lo
	s_wait_loadcnt_dscnt 0x601
	v_mul_f64_e32 v[160:161], v[154:155], v[6:7]
	v_mul_f64_e32 v[162:163], v[152:153], v[6:7]
	s_wait_loadcnt_dscnt 0x500
	v_mul_f64_e32 v[164:165], v[156:157], v[12:13]
	v_mul_f64_e32 v[12:13], v[158:159], v[12:13]
	s_delay_alu instid0(VALU_DEP_4) | instskip(NEXT) | instid1(VALU_DEP_4)
	v_fma_f64 v[160:161], v[152:153], v[4:5], -v[160:161]
	v_fmac_f64_e32 v[162:163], v[154:155], v[4:5]
	ds_load_b128 v[4:7], v2 offset:1824
	ds_load_b128 v[152:155], v2 offset:1840
	v_fmac_f64_e32 v[164:165], v[158:159], v[10:11]
	v_fma_f64 v[10:11], v[156:157], v[10:11], -v[12:13]
	s_wait_loadcnt_dscnt 0x401
	v_mul_f64_e32 v[166:167], v[4:5], v[134:135]
	v_mul_f64_e32 v[134:135], v[6:7], v[134:135]
	s_wait_loadcnt_dscnt 0x300
	v_mul_f64_e32 v[158:159], v[152:153], v[138:139]
	v_mul_f64_e32 v[138:139], v[154:155], v[138:139]
	v_add_f64_e32 v[12:13], 0, v[160:161]
	v_add_f64_e32 v[156:157], 0, v[162:163]
	v_fmac_f64_e32 v[166:167], v[6:7], v[132:133]
	v_fma_f64 v[132:133], v[4:5], v[132:133], -v[134:135]
	v_fmac_f64_e32 v[158:159], v[154:155], v[136:137]
	v_fma_f64 v[136:137], v[152:153], v[136:137], -v[138:139]
	v_add_f64_e32 v[134:135], v[12:13], v[10:11]
	v_add_f64_e32 v[156:157], v[156:157], v[164:165]
	ds_load_b128 v[4:7], v2 offset:1856
	ds_load_b128 v[10:13], v2 offset:1872
	s_wait_loadcnt_dscnt 0x201
	v_mul_f64_e32 v[2:3], v[4:5], v[142:143]
	v_mul_f64_e32 v[142:143], v[6:7], v[142:143]
	s_wait_loadcnt_dscnt 0x100
	v_mul_f64_e32 v[138:139], v[10:11], v[146:147]
	v_mul_f64_e32 v[146:147], v[12:13], v[146:147]
	v_add_f64_e32 v[132:133], v[134:135], v[132:133]
	v_add_f64_e32 v[134:135], v[156:157], v[166:167]
	v_fmac_f64_e32 v[2:3], v[6:7], v[140:141]
	v_fma_f64 v[4:5], v[4:5], v[140:141], -v[142:143]
	v_fmac_f64_e32 v[138:139], v[12:13], v[144:145]
	v_fma_f64 v[10:11], v[10:11], v[144:145], -v[146:147]
	v_add_f64_e32 v[6:7], v[132:133], v[136:137]
	v_add_f64_e32 v[132:133], v[134:135], v[158:159]
	s_delay_alu instid0(VALU_DEP_2) | instskip(NEXT) | instid1(VALU_DEP_2)
	v_add_f64_e32 v[4:5], v[6:7], v[4:5]
	v_add_f64_e32 v[2:3], v[132:133], v[2:3]
	s_delay_alu instid0(VALU_DEP_2) | instskip(NEXT) | instid1(VALU_DEP_2)
	v_add_f64_e32 v[4:5], v[4:5], v[10:11]
	v_add_f64_e32 v[6:7], v[2:3], v[138:139]
	s_wait_loadcnt 0x0
	s_delay_alu instid0(VALU_DEP_2) | instskip(NEXT) | instid1(VALU_DEP_2)
	v_add_f64_e64 v[2:3], v[148:149], -v[4:5]
	v_add_f64_e64 v[4:5], v[150:151], -v[6:7]
	scratch_store_b128 off, v[2:5], off offset:832
	s_wait_xcnt 0x0
	v_cmpx_lt_u32_e32 51, v1
	s_cbranch_execz .LBB122_265
; %bb.264:
	scratch_load_b128 v[2:5], off, s23
	v_mov_b32_e32 v10, 0
	s_delay_alu instid0(VALU_DEP_1)
	v_dual_mov_b32 v11, v10 :: v_dual_mov_b32 v12, v10
	v_mov_b32_e32 v13, v10
	scratch_store_b128 off, v[10:13], off offset:816
	s_wait_loadcnt 0x0
	ds_store_b128 v8, v[2:5]
.LBB122_265:
	s_wait_xcnt 0x0
	s_or_b32 exec_lo, exec_lo, s2
	s_wait_storecnt_dscnt 0x0
	s_barrier_signal -1
	s_barrier_wait -1
	s_clause 0x7
	scratch_load_b128 v[4:7], off, off offset:832
	scratch_load_b128 v[10:13], off, off offset:848
	;; [unrolled: 1-line block ×8, first 2 shown]
	v_mov_b32_e32 v2, 0
	ds_load_b128 v[156:159], v2 offset:1776
	ds_load_b128 v[160:163], v2 offset:1792
	s_mov_b32 s2, exec_lo
	s_wait_loadcnt_dscnt 0x701
	v_mul_f64_e32 v[164:165], v[158:159], v[6:7]
	v_mul_f64_e32 v[166:167], v[156:157], v[6:7]
	s_wait_loadcnt_dscnt 0x600
	v_mul_f64_e32 v[168:169], v[160:161], v[12:13]
	v_mul_f64_e32 v[12:13], v[162:163], v[12:13]
	s_delay_alu instid0(VALU_DEP_4) | instskip(NEXT) | instid1(VALU_DEP_4)
	v_fma_f64 v[164:165], v[156:157], v[4:5], -v[164:165]
	v_fmac_f64_e32 v[166:167], v[158:159], v[4:5]
	ds_load_b128 v[4:7], v2 offset:1808
	ds_load_b128 v[156:159], v2 offset:1824
	v_fmac_f64_e32 v[168:169], v[162:163], v[10:11]
	v_fma_f64 v[10:11], v[160:161], v[10:11], -v[12:13]
	s_wait_loadcnt_dscnt 0x501
	v_mul_f64_e32 v[170:171], v[4:5], v[134:135]
	v_mul_f64_e32 v[134:135], v[6:7], v[134:135]
	s_wait_loadcnt_dscnt 0x400
	v_mul_f64_e32 v[162:163], v[156:157], v[138:139]
	v_mul_f64_e32 v[138:139], v[158:159], v[138:139]
	v_add_f64_e32 v[12:13], 0, v[164:165]
	v_add_f64_e32 v[160:161], 0, v[166:167]
	v_fmac_f64_e32 v[170:171], v[6:7], v[132:133]
	v_fma_f64 v[132:133], v[4:5], v[132:133], -v[134:135]
	v_fmac_f64_e32 v[162:163], v[158:159], v[136:137]
	v_fma_f64 v[136:137], v[156:157], v[136:137], -v[138:139]
	v_add_f64_e32 v[134:135], v[12:13], v[10:11]
	v_add_f64_e32 v[160:161], v[160:161], v[168:169]
	ds_load_b128 v[4:7], v2 offset:1840
	ds_load_b128 v[10:13], v2 offset:1856
	s_wait_loadcnt_dscnt 0x301
	v_mul_f64_e32 v[164:165], v[4:5], v[142:143]
	v_mul_f64_e32 v[142:143], v[6:7], v[142:143]
	s_wait_loadcnt_dscnt 0x200
	v_mul_f64_e32 v[138:139], v[10:11], v[146:147]
	v_mul_f64_e32 v[146:147], v[12:13], v[146:147]
	v_add_f64_e32 v[132:133], v[134:135], v[132:133]
	v_add_f64_e32 v[134:135], v[160:161], v[170:171]
	v_fmac_f64_e32 v[164:165], v[6:7], v[140:141]
	v_fma_f64 v[140:141], v[4:5], v[140:141], -v[142:143]
	ds_load_b128 v[4:7], v2 offset:1872
	v_fmac_f64_e32 v[138:139], v[12:13], v[144:145]
	v_fma_f64 v[10:11], v[10:11], v[144:145], -v[146:147]
	v_add_f64_e32 v[132:133], v[132:133], v[136:137]
	v_add_f64_e32 v[134:135], v[134:135], v[162:163]
	s_wait_loadcnt_dscnt 0x100
	v_mul_f64_e32 v[136:137], v[4:5], v[150:151]
	v_mul_f64_e32 v[142:143], v[6:7], v[150:151]
	s_delay_alu instid0(VALU_DEP_4) | instskip(NEXT) | instid1(VALU_DEP_4)
	v_add_f64_e32 v[12:13], v[132:133], v[140:141]
	v_add_f64_e32 v[132:133], v[134:135], v[164:165]
	s_delay_alu instid0(VALU_DEP_4) | instskip(NEXT) | instid1(VALU_DEP_4)
	v_fmac_f64_e32 v[136:137], v[6:7], v[148:149]
	v_fma_f64 v[4:5], v[4:5], v[148:149], -v[142:143]
	s_delay_alu instid0(VALU_DEP_4) | instskip(NEXT) | instid1(VALU_DEP_4)
	v_add_f64_e32 v[6:7], v[12:13], v[10:11]
	v_add_f64_e32 v[10:11], v[132:133], v[138:139]
	s_delay_alu instid0(VALU_DEP_2) | instskip(NEXT) | instid1(VALU_DEP_2)
	v_add_f64_e32 v[4:5], v[6:7], v[4:5]
	v_add_f64_e32 v[6:7], v[10:11], v[136:137]
	s_wait_loadcnt 0x0
	s_delay_alu instid0(VALU_DEP_2) | instskip(NEXT) | instid1(VALU_DEP_2)
	v_add_f64_e64 v[4:5], v[152:153], -v[4:5]
	v_add_f64_e64 v[6:7], v[154:155], -v[6:7]
	scratch_store_b128 off, v[4:7], off offset:816
	s_wait_xcnt 0x0
	v_cmpx_lt_u32_e32 50, v1
	s_cbranch_execz .LBB122_267
; %bb.266:
	scratch_load_b128 v[10:13], off, s24
	v_dual_mov_b32 v3, v2 :: v_dual_mov_b32 v4, v2
	v_mov_b32_e32 v5, v2
	scratch_store_b128 off, v[2:5], off offset:800
	s_wait_loadcnt 0x0
	ds_store_b128 v8, v[10:13]
.LBB122_267:
	s_wait_xcnt 0x0
	s_or_b32 exec_lo, exec_lo, s2
	s_wait_storecnt_dscnt 0x0
	s_barrier_signal -1
	s_barrier_wait -1
	s_clause 0x7
	scratch_load_b128 v[4:7], off, off offset:816
	scratch_load_b128 v[10:13], off, off offset:832
	;; [unrolled: 1-line block ×8, first 2 shown]
	ds_load_b128 v[156:159], v2 offset:1760
	ds_load_b128 v[160:163], v2 offset:1776
	scratch_load_b128 v[164:167], off, off offset:800
	s_mov_b32 s2, exec_lo
	s_wait_loadcnt_dscnt 0x801
	v_mul_f64_e32 v[168:169], v[158:159], v[6:7]
	v_mul_f64_e32 v[170:171], v[156:157], v[6:7]
	s_wait_loadcnt_dscnt 0x700
	v_mul_f64_e32 v[172:173], v[160:161], v[12:13]
	v_mul_f64_e32 v[12:13], v[162:163], v[12:13]
	s_delay_alu instid0(VALU_DEP_4) | instskip(NEXT) | instid1(VALU_DEP_4)
	v_fma_f64 v[168:169], v[156:157], v[4:5], -v[168:169]
	v_fmac_f64_e32 v[170:171], v[158:159], v[4:5]
	ds_load_b128 v[4:7], v2 offset:1792
	ds_load_b128 v[156:159], v2 offset:1808
	v_fmac_f64_e32 v[172:173], v[162:163], v[10:11]
	v_fma_f64 v[10:11], v[160:161], v[10:11], -v[12:13]
	s_wait_loadcnt_dscnt 0x601
	v_mul_f64_e32 v[174:175], v[4:5], v[134:135]
	v_mul_f64_e32 v[134:135], v[6:7], v[134:135]
	s_wait_loadcnt_dscnt 0x500
	v_mul_f64_e32 v[162:163], v[156:157], v[138:139]
	v_mul_f64_e32 v[138:139], v[158:159], v[138:139]
	v_add_f64_e32 v[12:13], 0, v[168:169]
	v_add_f64_e32 v[160:161], 0, v[170:171]
	v_fmac_f64_e32 v[174:175], v[6:7], v[132:133]
	v_fma_f64 v[132:133], v[4:5], v[132:133], -v[134:135]
	v_fmac_f64_e32 v[162:163], v[158:159], v[136:137]
	v_fma_f64 v[136:137], v[156:157], v[136:137], -v[138:139]
	v_add_f64_e32 v[134:135], v[12:13], v[10:11]
	v_add_f64_e32 v[160:161], v[160:161], v[172:173]
	ds_load_b128 v[4:7], v2 offset:1824
	ds_load_b128 v[10:13], v2 offset:1840
	s_wait_loadcnt_dscnt 0x401
	v_mul_f64_e32 v[168:169], v[4:5], v[142:143]
	v_mul_f64_e32 v[142:143], v[6:7], v[142:143]
	s_wait_loadcnt_dscnt 0x300
	v_mul_f64_e32 v[138:139], v[10:11], v[146:147]
	v_mul_f64_e32 v[146:147], v[12:13], v[146:147]
	v_add_f64_e32 v[132:133], v[134:135], v[132:133]
	v_add_f64_e32 v[134:135], v[160:161], v[174:175]
	v_fmac_f64_e32 v[168:169], v[6:7], v[140:141]
	v_fma_f64 v[140:141], v[4:5], v[140:141], -v[142:143]
	v_fmac_f64_e32 v[138:139], v[12:13], v[144:145]
	v_fma_f64 v[10:11], v[10:11], v[144:145], -v[146:147]
	v_add_f64_e32 v[136:137], v[132:133], v[136:137]
	v_add_f64_e32 v[142:143], v[134:135], v[162:163]
	ds_load_b128 v[4:7], v2 offset:1856
	ds_load_b128 v[132:135], v2 offset:1872
	s_wait_loadcnt_dscnt 0x201
	v_mul_f64_e32 v[2:3], v[4:5], v[150:151]
	v_mul_f64_e32 v[150:151], v[6:7], v[150:151]
	v_add_f64_e32 v[12:13], v[136:137], v[140:141]
	v_add_f64_e32 v[136:137], v[142:143], v[168:169]
	s_wait_loadcnt_dscnt 0x100
	v_mul_f64_e32 v[140:141], v[132:133], v[154:155]
	v_mul_f64_e32 v[142:143], v[134:135], v[154:155]
	v_fmac_f64_e32 v[2:3], v[6:7], v[148:149]
	v_fma_f64 v[4:5], v[4:5], v[148:149], -v[150:151]
	v_add_f64_e32 v[6:7], v[12:13], v[10:11]
	v_add_f64_e32 v[10:11], v[136:137], v[138:139]
	v_fmac_f64_e32 v[140:141], v[134:135], v[152:153]
	v_fma_f64 v[12:13], v[132:133], v[152:153], -v[142:143]
	s_delay_alu instid0(VALU_DEP_4) | instskip(NEXT) | instid1(VALU_DEP_4)
	v_add_f64_e32 v[4:5], v[6:7], v[4:5]
	v_add_f64_e32 v[2:3], v[10:11], v[2:3]
	s_delay_alu instid0(VALU_DEP_2) | instskip(NEXT) | instid1(VALU_DEP_2)
	v_add_f64_e32 v[4:5], v[4:5], v[12:13]
	v_add_f64_e32 v[6:7], v[2:3], v[140:141]
	s_wait_loadcnt 0x0
	s_delay_alu instid0(VALU_DEP_2) | instskip(NEXT) | instid1(VALU_DEP_2)
	v_add_f64_e64 v[2:3], v[164:165], -v[4:5]
	v_add_f64_e64 v[4:5], v[166:167], -v[6:7]
	scratch_store_b128 off, v[2:5], off offset:800
	s_wait_xcnt 0x0
	v_cmpx_lt_u32_e32 49, v1
	s_cbranch_execz .LBB122_269
; %bb.268:
	scratch_load_b128 v[2:5], off, s25
	v_mov_b32_e32 v10, 0
	s_delay_alu instid0(VALU_DEP_1)
	v_dual_mov_b32 v11, v10 :: v_dual_mov_b32 v12, v10
	v_mov_b32_e32 v13, v10
	scratch_store_b128 off, v[10:13], off offset:784
	s_wait_loadcnt 0x0
	ds_store_b128 v8, v[2:5]
.LBB122_269:
	s_wait_xcnt 0x0
	s_or_b32 exec_lo, exec_lo, s2
	s_wait_storecnt_dscnt 0x0
	s_barrier_signal -1
	s_barrier_wait -1
	s_clause 0x8
	scratch_load_b128 v[4:7], off, off offset:800
	scratch_load_b128 v[10:13], off, off offset:816
	;; [unrolled: 1-line block ×9, first 2 shown]
	v_mov_b32_e32 v2, 0
	scratch_load_b128 v[164:167], off, off offset:784
	s_mov_b32 s2, exec_lo
	ds_load_b128 v[160:163], v2 offset:1744
	ds_load_b128 v[168:171], v2 offset:1760
	s_wait_loadcnt_dscnt 0x901
	v_mul_f64_e32 v[172:173], v[162:163], v[6:7]
	v_mul_f64_e32 v[174:175], v[160:161], v[6:7]
	s_wait_loadcnt_dscnt 0x800
	v_mul_f64_e32 v[176:177], v[168:169], v[12:13]
	v_mul_f64_e32 v[12:13], v[170:171], v[12:13]
	s_delay_alu instid0(VALU_DEP_4) | instskip(NEXT) | instid1(VALU_DEP_4)
	v_fma_f64 v[172:173], v[160:161], v[4:5], -v[172:173]
	v_fmac_f64_e32 v[174:175], v[162:163], v[4:5]
	ds_load_b128 v[4:7], v2 offset:1776
	ds_load_b128 v[160:163], v2 offset:1792
	v_fmac_f64_e32 v[176:177], v[170:171], v[10:11]
	v_fma_f64 v[10:11], v[168:169], v[10:11], -v[12:13]
	s_wait_loadcnt_dscnt 0x701
	v_mul_f64_e32 v[178:179], v[4:5], v[134:135]
	v_mul_f64_e32 v[134:135], v[6:7], v[134:135]
	s_wait_loadcnt_dscnt 0x600
	v_mul_f64_e32 v[170:171], v[160:161], v[138:139]
	v_mul_f64_e32 v[138:139], v[162:163], v[138:139]
	v_add_f64_e32 v[12:13], 0, v[172:173]
	v_add_f64_e32 v[168:169], 0, v[174:175]
	v_fmac_f64_e32 v[178:179], v[6:7], v[132:133]
	v_fma_f64 v[132:133], v[4:5], v[132:133], -v[134:135]
	v_fmac_f64_e32 v[170:171], v[162:163], v[136:137]
	v_fma_f64 v[136:137], v[160:161], v[136:137], -v[138:139]
	v_add_f64_e32 v[134:135], v[12:13], v[10:11]
	v_add_f64_e32 v[168:169], v[168:169], v[176:177]
	ds_load_b128 v[4:7], v2 offset:1808
	ds_load_b128 v[10:13], v2 offset:1824
	s_wait_loadcnt_dscnt 0x501
	v_mul_f64_e32 v[172:173], v[4:5], v[142:143]
	v_mul_f64_e32 v[142:143], v[6:7], v[142:143]
	s_wait_loadcnt_dscnt 0x400
	v_mul_f64_e32 v[138:139], v[10:11], v[146:147]
	v_mul_f64_e32 v[146:147], v[12:13], v[146:147]
	v_add_f64_e32 v[132:133], v[134:135], v[132:133]
	v_add_f64_e32 v[134:135], v[168:169], v[178:179]
	v_fmac_f64_e32 v[172:173], v[6:7], v[140:141]
	v_fma_f64 v[140:141], v[4:5], v[140:141], -v[142:143]
	v_fmac_f64_e32 v[138:139], v[12:13], v[144:145]
	v_fma_f64 v[10:11], v[10:11], v[144:145], -v[146:147]
	v_add_f64_e32 v[136:137], v[132:133], v[136:137]
	v_add_f64_e32 v[142:143], v[134:135], v[170:171]
	ds_load_b128 v[4:7], v2 offset:1840
	ds_load_b128 v[132:135], v2 offset:1856
	s_wait_loadcnt_dscnt 0x301
	v_mul_f64_e32 v[160:161], v[4:5], v[150:151]
	v_mul_f64_e32 v[150:151], v[6:7], v[150:151]
	v_add_f64_e32 v[12:13], v[136:137], v[140:141]
	v_add_f64_e32 v[136:137], v[142:143], v[172:173]
	s_wait_loadcnt_dscnt 0x200
	v_mul_f64_e32 v[140:141], v[132:133], v[154:155]
	v_mul_f64_e32 v[142:143], v[134:135], v[154:155]
	v_fmac_f64_e32 v[160:161], v[6:7], v[148:149]
	v_fma_f64 v[144:145], v[4:5], v[148:149], -v[150:151]
	ds_load_b128 v[4:7], v2 offset:1872
	v_add_f64_e32 v[10:11], v[12:13], v[10:11]
	v_add_f64_e32 v[12:13], v[136:137], v[138:139]
	v_fmac_f64_e32 v[140:141], v[134:135], v[152:153]
	v_fma_f64 v[132:133], v[132:133], v[152:153], -v[142:143]
	s_wait_loadcnt_dscnt 0x100
	v_mul_f64_e32 v[136:137], v[4:5], v[158:159]
	v_mul_f64_e32 v[138:139], v[6:7], v[158:159]
	v_add_f64_e32 v[10:11], v[10:11], v[144:145]
	v_add_f64_e32 v[12:13], v[12:13], v[160:161]
	s_delay_alu instid0(VALU_DEP_4) | instskip(NEXT) | instid1(VALU_DEP_4)
	v_fmac_f64_e32 v[136:137], v[6:7], v[156:157]
	v_fma_f64 v[4:5], v[4:5], v[156:157], -v[138:139]
	s_delay_alu instid0(VALU_DEP_4) | instskip(NEXT) | instid1(VALU_DEP_4)
	v_add_f64_e32 v[6:7], v[10:11], v[132:133]
	v_add_f64_e32 v[10:11], v[12:13], v[140:141]
	s_delay_alu instid0(VALU_DEP_2) | instskip(NEXT) | instid1(VALU_DEP_2)
	v_add_f64_e32 v[4:5], v[6:7], v[4:5]
	v_add_f64_e32 v[6:7], v[10:11], v[136:137]
	s_wait_loadcnt 0x0
	s_delay_alu instid0(VALU_DEP_2) | instskip(NEXT) | instid1(VALU_DEP_2)
	v_add_f64_e64 v[4:5], v[164:165], -v[4:5]
	v_add_f64_e64 v[6:7], v[166:167], -v[6:7]
	scratch_store_b128 off, v[4:7], off offset:784
	s_wait_xcnt 0x0
	v_cmpx_lt_u32_e32 48, v1
	s_cbranch_execz .LBB122_271
; %bb.270:
	scratch_load_b128 v[10:13], off, s26
	v_dual_mov_b32 v3, v2 :: v_dual_mov_b32 v4, v2
	v_mov_b32_e32 v5, v2
	scratch_store_b128 off, v[2:5], off offset:768
	s_wait_loadcnt 0x0
	ds_store_b128 v8, v[10:13]
.LBB122_271:
	s_wait_xcnt 0x0
	s_or_b32 exec_lo, exec_lo, s2
	s_wait_storecnt_dscnt 0x0
	s_barrier_signal -1
	s_barrier_wait -1
	s_clause 0x9
	scratch_load_b128 v[4:7], off, off offset:784
	scratch_load_b128 v[10:13], off, off offset:800
	;; [unrolled: 1-line block ×10, first 2 shown]
	ds_load_b128 v[164:167], v2 offset:1728
	ds_load_b128 v[168:171], v2 offset:1744
	scratch_load_b128 v[172:175], off, off offset:768
	s_mov_b32 s2, exec_lo
	s_wait_loadcnt_dscnt 0xa01
	v_mul_f64_e32 v[176:177], v[166:167], v[6:7]
	v_mul_f64_e32 v[178:179], v[164:165], v[6:7]
	s_wait_loadcnt_dscnt 0x900
	v_mul_f64_e32 v[180:181], v[168:169], v[12:13]
	v_mul_f64_e32 v[12:13], v[170:171], v[12:13]
	s_delay_alu instid0(VALU_DEP_4) | instskip(NEXT) | instid1(VALU_DEP_4)
	v_fma_f64 v[176:177], v[164:165], v[4:5], -v[176:177]
	v_fmac_f64_e32 v[178:179], v[166:167], v[4:5]
	ds_load_b128 v[4:7], v2 offset:1760
	ds_load_b128 v[164:167], v2 offset:1776
	v_fmac_f64_e32 v[180:181], v[170:171], v[10:11]
	v_fma_f64 v[10:11], v[168:169], v[10:11], -v[12:13]
	s_wait_loadcnt_dscnt 0x801
	v_mul_f64_e32 v[182:183], v[4:5], v[134:135]
	v_mul_f64_e32 v[134:135], v[6:7], v[134:135]
	s_wait_loadcnt_dscnt 0x700
	v_mul_f64_e32 v[170:171], v[164:165], v[138:139]
	v_mul_f64_e32 v[138:139], v[166:167], v[138:139]
	v_add_f64_e32 v[12:13], 0, v[176:177]
	v_add_f64_e32 v[168:169], 0, v[178:179]
	v_fmac_f64_e32 v[182:183], v[6:7], v[132:133]
	v_fma_f64 v[132:133], v[4:5], v[132:133], -v[134:135]
	v_fmac_f64_e32 v[170:171], v[166:167], v[136:137]
	v_fma_f64 v[136:137], v[164:165], v[136:137], -v[138:139]
	v_add_f64_e32 v[134:135], v[12:13], v[10:11]
	v_add_f64_e32 v[168:169], v[168:169], v[180:181]
	ds_load_b128 v[4:7], v2 offset:1792
	ds_load_b128 v[10:13], v2 offset:1808
	s_wait_loadcnt_dscnt 0x601
	v_mul_f64_e32 v[176:177], v[4:5], v[142:143]
	v_mul_f64_e32 v[142:143], v[6:7], v[142:143]
	s_wait_loadcnt_dscnt 0x500
	v_mul_f64_e32 v[138:139], v[10:11], v[146:147]
	v_mul_f64_e32 v[146:147], v[12:13], v[146:147]
	v_add_f64_e32 v[132:133], v[134:135], v[132:133]
	v_add_f64_e32 v[134:135], v[168:169], v[182:183]
	v_fmac_f64_e32 v[176:177], v[6:7], v[140:141]
	v_fma_f64 v[140:141], v[4:5], v[140:141], -v[142:143]
	v_fmac_f64_e32 v[138:139], v[12:13], v[144:145]
	v_fma_f64 v[10:11], v[10:11], v[144:145], -v[146:147]
	v_add_f64_e32 v[136:137], v[132:133], v[136:137]
	v_add_f64_e32 v[142:143], v[134:135], v[170:171]
	ds_load_b128 v[4:7], v2 offset:1824
	ds_load_b128 v[132:135], v2 offset:1840
	s_wait_loadcnt_dscnt 0x401
	v_mul_f64_e32 v[164:165], v[4:5], v[150:151]
	v_mul_f64_e32 v[150:151], v[6:7], v[150:151]
	v_add_f64_e32 v[12:13], v[136:137], v[140:141]
	v_add_f64_e32 v[136:137], v[142:143], v[176:177]
	s_wait_loadcnt_dscnt 0x300
	v_mul_f64_e32 v[140:141], v[132:133], v[154:155]
	v_mul_f64_e32 v[142:143], v[134:135], v[154:155]
	v_fmac_f64_e32 v[164:165], v[6:7], v[148:149]
	v_fma_f64 v[144:145], v[4:5], v[148:149], -v[150:151]
	v_add_f64_e32 v[146:147], v[12:13], v[10:11]
	v_add_f64_e32 v[136:137], v[136:137], v[138:139]
	ds_load_b128 v[4:7], v2 offset:1856
	ds_load_b128 v[10:13], v2 offset:1872
	v_fmac_f64_e32 v[140:141], v[134:135], v[152:153]
	v_fma_f64 v[132:133], v[132:133], v[152:153], -v[142:143]
	s_wait_loadcnt_dscnt 0x201
	v_mul_f64_e32 v[2:3], v[4:5], v[158:159]
	v_mul_f64_e32 v[138:139], v[6:7], v[158:159]
	s_wait_loadcnt_dscnt 0x100
	v_mul_f64_e32 v[142:143], v[10:11], v[162:163]
	v_add_f64_e32 v[134:135], v[146:147], v[144:145]
	v_add_f64_e32 v[136:137], v[136:137], v[164:165]
	v_mul_f64_e32 v[144:145], v[12:13], v[162:163]
	v_fmac_f64_e32 v[2:3], v[6:7], v[156:157]
	v_fma_f64 v[4:5], v[4:5], v[156:157], -v[138:139]
	v_fmac_f64_e32 v[142:143], v[12:13], v[160:161]
	v_add_f64_e32 v[6:7], v[134:135], v[132:133]
	v_add_f64_e32 v[132:133], v[136:137], v[140:141]
	v_fma_f64 v[10:11], v[10:11], v[160:161], -v[144:145]
	s_delay_alu instid0(VALU_DEP_3) | instskip(NEXT) | instid1(VALU_DEP_3)
	v_add_f64_e32 v[4:5], v[6:7], v[4:5]
	v_add_f64_e32 v[2:3], v[132:133], v[2:3]
	s_delay_alu instid0(VALU_DEP_2) | instskip(NEXT) | instid1(VALU_DEP_2)
	v_add_f64_e32 v[4:5], v[4:5], v[10:11]
	v_add_f64_e32 v[6:7], v[2:3], v[142:143]
	s_wait_loadcnt 0x0
	s_delay_alu instid0(VALU_DEP_2) | instskip(NEXT) | instid1(VALU_DEP_2)
	v_add_f64_e64 v[2:3], v[172:173], -v[4:5]
	v_add_f64_e64 v[4:5], v[174:175], -v[6:7]
	scratch_store_b128 off, v[2:5], off offset:768
	s_wait_xcnt 0x0
	v_cmpx_lt_u32_e32 47, v1
	s_cbranch_execz .LBB122_273
; %bb.272:
	scratch_load_b128 v[2:5], off, s27
	v_mov_b32_e32 v10, 0
	s_delay_alu instid0(VALU_DEP_1)
	v_dual_mov_b32 v11, v10 :: v_dual_mov_b32 v12, v10
	v_mov_b32_e32 v13, v10
	scratch_store_b128 off, v[10:13], off offset:752
	s_wait_loadcnt 0x0
	ds_store_b128 v8, v[2:5]
.LBB122_273:
	s_wait_xcnt 0x0
	s_or_b32 exec_lo, exec_lo, s2
	s_wait_storecnt_dscnt 0x0
	s_barrier_signal -1
	s_barrier_wait -1
	s_clause 0x9
	scratch_load_b128 v[4:7], off, off offset:768
	scratch_load_b128 v[10:13], off, off offset:784
	;; [unrolled: 1-line block ×10, first 2 shown]
	v_mov_b32_e32 v2, 0
	s_mov_b32 s2, exec_lo
	ds_load_b128 v[164:167], v2 offset:1712
	s_clause 0x1
	scratch_load_b128 v[168:171], off, off offset:928
	scratch_load_b128 v[172:175], off, off offset:752
	s_wait_loadcnt_dscnt 0xb00
	v_mul_f64_e32 v[180:181], v[166:167], v[6:7]
	v_mul_f64_e32 v[182:183], v[164:165], v[6:7]
	ds_load_b128 v[176:179], v2 offset:1728
	s_wait_loadcnt_dscnt 0xa00
	v_mul_f64_e32 v[184:185], v[176:177], v[12:13]
	v_mul_f64_e32 v[12:13], v[178:179], v[12:13]
	v_fma_f64 v[180:181], v[164:165], v[4:5], -v[180:181]
	v_fmac_f64_e32 v[182:183], v[166:167], v[4:5]
	ds_load_b128 v[4:7], v2 offset:1744
	ds_load_b128 v[164:167], v2 offset:1760
	s_wait_loadcnt_dscnt 0x901
	v_mul_f64_e32 v[186:187], v[4:5], v[134:135]
	v_mul_f64_e32 v[134:135], v[6:7], v[134:135]
	v_fmac_f64_e32 v[184:185], v[178:179], v[10:11]
	v_fma_f64 v[10:11], v[176:177], v[10:11], -v[12:13]
	s_wait_loadcnt_dscnt 0x800
	v_mul_f64_e32 v[178:179], v[164:165], v[138:139]
	v_mul_f64_e32 v[138:139], v[166:167], v[138:139]
	v_add_f64_e32 v[12:13], 0, v[180:181]
	v_add_f64_e32 v[176:177], 0, v[182:183]
	v_fmac_f64_e32 v[186:187], v[6:7], v[132:133]
	v_fma_f64 v[132:133], v[4:5], v[132:133], -v[134:135]
	v_fmac_f64_e32 v[178:179], v[166:167], v[136:137]
	v_fma_f64 v[136:137], v[164:165], v[136:137], -v[138:139]
	v_add_f64_e32 v[134:135], v[12:13], v[10:11]
	v_add_f64_e32 v[176:177], v[176:177], v[184:185]
	ds_load_b128 v[4:7], v2 offset:1776
	ds_load_b128 v[10:13], v2 offset:1792
	s_wait_loadcnt_dscnt 0x701
	v_mul_f64_e32 v[180:181], v[4:5], v[142:143]
	v_mul_f64_e32 v[142:143], v[6:7], v[142:143]
	s_wait_loadcnt_dscnt 0x600
	v_mul_f64_e32 v[138:139], v[10:11], v[146:147]
	v_mul_f64_e32 v[146:147], v[12:13], v[146:147]
	v_add_f64_e32 v[132:133], v[134:135], v[132:133]
	v_add_f64_e32 v[134:135], v[176:177], v[186:187]
	v_fmac_f64_e32 v[180:181], v[6:7], v[140:141]
	v_fma_f64 v[140:141], v[4:5], v[140:141], -v[142:143]
	v_fmac_f64_e32 v[138:139], v[12:13], v[144:145]
	v_fma_f64 v[10:11], v[10:11], v[144:145], -v[146:147]
	v_add_f64_e32 v[136:137], v[132:133], v[136:137]
	v_add_f64_e32 v[142:143], v[134:135], v[178:179]
	ds_load_b128 v[4:7], v2 offset:1808
	ds_load_b128 v[132:135], v2 offset:1824
	s_wait_loadcnt_dscnt 0x501
	v_mul_f64_e32 v[164:165], v[4:5], v[150:151]
	v_mul_f64_e32 v[150:151], v[6:7], v[150:151]
	v_add_f64_e32 v[12:13], v[136:137], v[140:141]
	v_add_f64_e32 v[136:137], v[142:143], v[180:181]
	s_wait_loadcnt_dscnt 0x400
	v_mul_f64_e32 v[140:141], v[132:133], v[154:155]
	v_mul_f64_e32 v[142:143], v[134:135], v[154:155]
	v_fmac_f64_e32 v[164:165], v[6:7], v[148:149]
	v_fma_f64 v[144:145], v[4:5], v[148:149], -v[150:151]
	v_add_f64_e32 v[146:147], v[12:13], v[10:11]
	v_add_f64_e32 v[136:137], v[136:137], v[138:139]
	ds_load_b128 v[4:7], v2 offset:1840
	ds_load_b128 v[10:13], v2 offset:1856
	v_fmac_f64_e32 v[140:141], v[134:135], v[152:153]
	v_fma_f64 v[132:133], v[132:133], v[152:153], -v[142:143]
	s_wait_loadcnt_dscnt 0x301
	v_mul_f64_e32 v[138:139], v[4:5], v[158:159]
	v_mul_f64_e32 v[148:149], v[6:7], v[158:159]
	s_wait_loadcnt_dscnt 0x200
	v_mul_f64_e32 v[142:143], v[10:11], v[162:163]
	v_add_f64_e32 v[134:135], v[146:147], v[144:145]
	v_add_f64_e32 v[136:137], v[136:137], v[164:165]
	v_mul_f64_e32 v[144:145], v[12:13], v[162:163]
	v_fmac_f64_e32 v[138:139], v[6:7], v[156:157]
	v_fma_f64 v[146:147], v[4:5], v[156:157], -v[148:149]
	ds_load_b128 v[4:7], v2 offset:1872
	v_fmac_f64_e32 v[142:143], v[12:13], v[160:161]
	v_add_f64_e32 v[132:133], v[134:135], v[132:133]
	v_add_f64_e32 v[134:135], v[136:137], v[140:141]
	v_fma_f64 v[10:11], v[10:11], v[160:161], -v[144:145]
	s_wait_loadcnt_dscnt 0x100
	v_mul_f64_e32 v[136:137], v[4:5], v[170:171]
	v_mul_f64_e32 v[140:141], v[6:7], v[170:171]
	v_add_f64_e32 v[12:13], v[132:133], v[146:147]
	v_add_f64_e32 v[132:133], v[134:135], v[138:139]
	s_delay_alu instid0(VALU_DEP_4) | instskip(NEXT) | instid1(VALU_DEP_4)
	v_fmac_f64_e32 v[136:137], v[6:7], v[168:169]
	v_fma_f64 v[4:5], v[4:5], v[168:169], -v[140:141]
	s_delay_alu instid0(VALU_DEP_4) | instskip(NEXT) | instid1(VALU_DEP_4)
	v_add_f64_e32 v[6:7], v[12:13], v[10:11]
	v_add_f64_e32 v[10:11], v[132:133], v[142:143]
	s_delay_alu instid0(VALU_DEP_2) | instskip(NEXT) | instid1(VALU_DEP_2)
	v_add_f64_e32 v[4:5], v[6:7], v[4:5]
	v_add_f64_e32 v[6:7], v[10:11], v[136:137]
	s_wait_loadcnt 0x0
	s_delay_alu instid0(VALU_DEP_2) | instskip(NEXT) | instid1(VALU_DEP_2)
	v_add_f64_e64 v[4:5], v[172:173], -v[4:5]
	v_add_f64_e64 v[6:7], v[174:175], -v[6:7]
	scratch_store_b128 off, v[4:7], off offset:752
	s_wait_xcnt 0x0
	v_cmpx_lt_u32_e32 46, v1
	s_cbranch_execz .LBB122_275
; %bb.274:
	scratch_load_b128 v[10:13], off, s28
	v_dual_mov_b32 v3, v2 :: v_dual_mov_b32 v4, v2
	v_mov_b32_e32 v5, v2
	scratch_store_b128 off, v[2:5], off offset:736
	s_wait_loadcnt 0x0
	ds_store_b128 v8, v[10:13]
.LBB122_275:
	s_wait_xcnt 0x0
	s_or_b32 exec_lo, exec_lo, s2
	s_wait_storecnt_dscnt 0x0
	s_barrier_signal -1
	s_barrier_wait -1
	s_clause 0x9
	scratch_load_b128 v[4:7], off, off offset:752
	scratch_load_b128 v[10:13], off, off offset:768
	;; [unrolled: 1-line block ×10, first 2 shown]
	ds_load_b128 v[164:167], v2 offset:1696
	ds_load_b128 v[172:175], v2 offset:1712
	s_clause 0x2
	scratch_load_b128 v[168:171], off, off offset:912
	scratch_load_b128 v[176:179], off, off offset:736
	;; [unrolled: 1-line block ×3, first 2 shown]
	s_mov_b32 s2, exec_lo
	s_wait_loadcnt_dscnt 0xc01
	v_mul_f64_e32 v[184:185], v[166:167], v[6:7]
	v_mul_f64_e32 v[186:187], v[164:165], v[6:7]
	s_wait_loadcnt_dscnt 0xb00
	v_mul_f64_e32 v[188:189], v[172:173], v[12:13]
	v_mul_f64_e32 v[12:13], v[174:175], v[12:13]
	s_delay_alu instid0(VALU_DEP_4) | instskip(NEXT) | instid1(VALU_DEP_4)
	v_fma_f64 v[184:185], v[164:165], v[4:5], -v[184:185]
	v_fmac_f64_e32 v[186:187], v[166:167], v[4:5]
	ds_load_b128 v[4:7], v2 offset:1728
	ds_load_b128 v[164:167], v2 offset:1744
	v_fmac_f64_e32 v[188:189], v[174:175], v[10:11]
	v_fma_f64 v[10:11], v[172:173], v[10:11], -v[12:13]
	s_wait_loadcnt_dscnt 0xa01
	v_mul_f64_e32 v[190:191], v[4:5], v[134:135]
	v_mul_f64_e32 v[134:135], v[6:7], v[134:135]
	s_wait_loadcnt_dscnt 0x900
	v_mul_f64_e32 v[174:175], v[164:165], v[138:139]
	v_mul_f64_e32 v[138:139], v[166:167], v[138:139]
	v_add_f64_e32 v[12:13], 0, v[184:185]
	v_add_f64_e32 v[172:173], 0, v[186:187]
	v_fmac_f64_e32 v[190:191], v[6:7], v[132:133]
	v_fma_f64 v[132:133], v[4:5], v[132:133], -v[134:135]
	v_fmac_f64_e32 v[174:175], v[166:167], v[136:137]
	v_fma_f64 v[136:137], v[164:165], v[136:137], -v[138:139]
	v_add_f64_e32 v[134:135], v[12:13], v[10:11]
	v_add_f64_e32 v[172:173], v[172:173], v[188:189]
	ds_load_b128 v[4:7], v2 offset:1760
	ds_load_b128 v[10:13], v2 offset:1776
	s_wait_loadcnt_dscnt 0x801
	v_mul_f64_e32 v[184:185], v[4:5], v[142:143]
	v_mul_f64_e32 v[142:143], v[6:7], v[142:143]
	s_wait_loadcnt_dscnt 0x700
	v_mul_f64_e32 v[138:139], v[10:11], v[146:147]
	v_mul_f64_e32 v[146:147], v[12:13], v[146:147]
	v_add_f64_e32 v[132:133], v[134:135], v[132:133]
	v_add_f64_e32 v[134:135], v[172:173], v[190:191]
	v_fmac_f64_e32 v[184:185], v[6:7], v[140:141]
	v_fma_f64 v[140:141], v[4:5], v[140:141], -v[142:143]
	v_fmac_f64_e32 v[138:139], v[12:13], v[144:145]
	v_fma_f64 v[10:11], v[10:11], v[144:145], -v[146:147]
	v_add_f64_e32 v[136:137], v[132:133], v[136:137]
	v_add_f64_e32 v[142:143], v[134:135], v[174:175]
	ds_load_b128 v[4:7], v2 offset:1792
	ds_load_b128 v[132:135], v2 offset:1808
	s_wait_loadcnt_dscnt 0x601
	v_mul_f64_e32 v[164:165], v[4:5], v[150:151]
	v_mul_f64_e32 v[150:151], v[6:7], v[150:151]
	v_add_f64_e32 v[12:13], v[136:137], v[140:141]
	v_add_f64_e32 v[136:137], v[142:143], v[184:185]
	s_wait_loadcnt_dscnt 0x500
	v_mul_f64_e32 v[140:141], v[132:133], v[154:155]
	v_mul_f64_e32 v[142:143], v[134:135], v[154:155]
	v_fmac_f64_e32 v[164:165], v[6:7], v[148:149]
	v_fma_f64 v[144:145], v[4:5], v[148:149], -v[150:151]
	v_add_f64_e32 v[146:147], v[12:13], v[10:11]
	v_add_f64_e32 v[136:137], v[136:137], v[138:139]
	ds_load_b128 v[4:7], v2 offset:1824
	ds_load_b128 v[10:13], v2 offset:1840
	v_fmac_f64_e32 v[140:141], v[134:135], v[152:153]
	v_fma_f64 v[132:133], v[132:133], v[152:153], -v[142:143]
	s_wait_loadcnt_dscnt 0x401
	v_mul_f64_e32 v[138:139], v[4:5], v[158:159]
	v_mul_f64_e32 v[148:149], v[6:7], v[158:159]
	s_wait_loadcnt_dscnt 0x300
	v_mul_f64_e32 v[142:143], v[10:11], v[162:163]
	v_add_f64_e32 v[134:135], v[146:147], v[144:145]
	v_add_f64_e32 v[136:137], v[136:137], v[164:165]
	v_mul_f64_e32 v[144:145], v[12:13], v[162:163]
	v_fmac_f64_e32 v[138:139], v[6:7], v[156:157]
	v_fma_f64 v[146:147], v[4:5], v[156:157], -v[148:149]
	v_fmac_f64_e32 v[142:143], v[12:13], v[160:161]
	v_add_f64_e32 v[148:149], v[134:135], v[132:133]
	v_add_f64_e32 v[136:137], v[136:137], v[140:141]
	ds_load_b128 v[4:7], v2 offset:1856
	ds_load_b128 v[132:135], v2 offset:1872
	v_fma_f64 v[10:11], v[10:11], v[160:161], -v[144:145]
	s_wait_loadcnt_dscnt 0x201
	v_mul_f64_e32 v[2:3], v[4:5], v[170:171]
	v_mul_f64_e32 v[140:141], v[6:7], v[170:171]
	s_wait_loadcnt_dscnt 0x0
	v_mul_f64_e32 v[144:145], v[134:135], v[182:183]
	v_add_f64_e32 v[12:13], v[148:149], v[146:147]
	v_add_f64_e32 v[136:137], v[136:137], v[138:139]
	v_mul_f64_e32 v[138:139], v[132:133], v[182:183]
	v_fmac_f64_e32 v[2:3], v[6:7], v[168:169]
	v_fma_f64 v[4:5], v[4:5], v[168:169], -v[140:141]
	v_add_f64_e32 v[6:7], v[12:13], v[10:11]
	v_add_f64_e32 v[10:11], v[136:137], v[142:143]
	v_fmac_f64_e32 v[138:139], v[134:135], v[180:181]
	v_fma_f64 v[12:13], v[132:133], v[180:181], -v[144:145]
	s_delay_alu instid0(VALU_DEP_4) | instskip(NEXT) | instid1(VALU_DEP_4)
	v_add_f64_e32 v[4:5], v[6:7], v[4:5]
	v_add_f64_e32 v[2:3], v[10:11], v[2:3]
	s_delay_alu instid0(VALU_DEP_2) | instskip(NEXT) | instid1(VALU_DEP_2)
	v_add_f64_e32 v[4:5], v[4:5], v[12:13]
	v_add_f64_e32 v[6:7], v[2:3], v[138:139]
	s_delay_alu instid0(VALU_DEP_2) | instskip(NEXT) | instid1(VALU_DEP_2)
	v_add_f64_e64 v[2:3], v[176:177], -v[4:5]
	v_add_f64_e64 v[4:5], v[178:179], -v[6:7]
	scratch_store_b128 off, v[2:5], off offset:736
	s_wait_xcnt 0x0
	v_cmpx_lt_u32_e32 45, v1
	s_cbranch_execz .LBB122_277
; %bb.276:
	scratch_load_b128 v[2:5], off, s29
	v_mov_b32_e32 v10, 0
	s_delay_alu instid0(VALU_DEP_1)
	v_dual_mov_b32 v11, v10 :: v_dual_mov_b32 v12, v10
	v_mov_b32_e32 v13, v10
	scratch_store_b128 off, v[10:13], off offset:720
	s_wait_loadcnt 0x0
	ds_store_b128 v8, v[2:5]
.LBB122_277:
	s_wait_xcnt 0x0
	s_or_b32 exec_lo, exec_lo, s2
	s_wait_storecnt_dscnt 0x0
	s_barrier_signal -1
	s_barrier_wait -1
	s_clause 0x9
	scratch_load_b128 v[4:7], off, off offset:736
	scratch_load_b128 v[10:13], off, off offset:752
	;; [unrolled: 1-line block ×10, first 2 shown]
	v_mov_b32_e32 v2, 0
	s_mov_b32 s2, exec_lo
	ds_load_b128 v[164:167], v2 offset:1680
	s_clause 0x2
	scratch_load_b128 v[168:171], off, off offset:896
	scratch_load_b128 v[172:175], off, off offset:720
	;; [unrolled: 1-line block ×3, first 2 shown]
	s_wait_loadcnt_dscnt 0xc00
	v_mul_f64_e32 v[184:185], v[166:167], v[6:7]
	v_mul_f64_e32 v[188:189], v[164:165], v[6:7]
	ds_load_b128 v[176:179], v2 offset:1696
	v_fma_f64 v[192:193], v[164:165], v[4:5], -v[184:185]
	v_fmac_f64_e32 v[188:189], v[166:167], v[4:5]
	ds_load_b128 v[4:7], v2 offset:1712
	s_wait_loadcnt_dscnt 0xb01
	v_mul_f64_e32 v[190:191], v[176:177], v[12:13]
	v_mul_f64_e32 v[12:13], v[178:179], v[12:13]
	scratch_load_b128 v[164:167], off, off offset:928
	ds_load_b128 v[184:187], v2 offset:1728
	s_wait_loadcnt_dscnt 0xb01
	v_mul_f64_e32 v[194:195], v[4:5], v[134:135]
	v_mul_f64_e32 v[134:135], v[6:7], v[134:135]
	v_fmac_f64_e32 v[190:191], v[178:179], v[10:11]
	v_fma_f64 v[10:11], v[176:177], v[10:11], -v[12:13]
	v_add_f64_e32 v[12:13], 0, v[192:193]
	v_add_f64_e32 v[176:177], 0, v[188:189]
	s_wait_loadcnt_dscnt 0xa00
	v_mul_f64_e32 v[178:179], v[184:185], v[138:139]
	v_mul_f64_e32 v[138:139], v[186:187], v[138:139]
	v_fmac_f64_e32 v[194:195], v[6:7], v[132:133]
	v_fma_f64 v[132:133], v[4:5], v[132:133], -v[134:135]
	v_add_f64_e32 v[134:135], v[12:13], v[10:11]
	v_add_f64_e32 v[176:177], v[176:177], v[190:191]
	ds_load_b128 v[4:7], v2 offset:1744
	ds_load_b128 v[10:13], v2 offset:1760
	v_fmac_f64_e32 v[178:179], v[186:187], v[136:137]
	v_fma_f64 v[136:137], v[184:185], v[136:137], -v[138:139]
	s_wait_loadcnt_dscnt 0x901
	v_mul_f64_e32 v[188:189], v[4:5], v[142:143]
	v_mul_f64_e32 v[142:143], v[6:7], v[142:143]
	s_wait_loadcnt_dscnt 0x800
	v_mul_f64_e32 v[138:139], v[10:11], v[146:147]
	v_mul_f64_e32 v[146:147], v[12:13], v[146:147]
	v_add_f64_e32 v[132:133], v[134:135], v[132:133]
	v_add_f64_e32 v[134:135], v[176:177], v[194:195]
	v_fmac_f64_e32 v[188:189], v[6:7], v[140:141]
	v_fma_f64 v[140:141], v[4:5], v[140:141], -v[142:143]
	v_fmac_f64_e32 v[138:139], v[12:13], v[144:145]
	v_fma_f64 v[10:11], v[10:11], v[144:145], -v[146:147]
	v_add_f64_e32 v[136:137], v[132:133], v[136:137]
	v_add_f64_e32 v[142:143], v[134:135], v[178:179]
	ds_load_b128 v[4:7], v2 offset:1776
	ds_load_b128 v[132:135], v2 offset:1792
	s_wait_loadcnt_dscnt 0x701
	v_mul_f64_e32 v[176:177], v[4:5], v[150:151]
	v_mul_f64_e32 v[150:151], v[6:7], v[150:151]
	v_add_f64_e32 v[12:13], v[136:137], v[140:141]
	v_add_f64_e32 v[136:137], v[142:143], v[188:189]
	s_wait_loadcnt_dscnt 0x600
	v_mul_f64_e32 v[140:141], v[132:133], v[154:155]
	v_mul_f64_e32 v[142:143], v[134:135], v[154:155]
	v_fmac_f64_e32 v[176:177], v[6:7], v[148:149]
	v_fma_f64 v[144:145], v[4:5], v[148:149], -v[150:151]
	v_add_f64_e32 v[146:147], v[12:13], v[10:11]
	v_add_f64_e32 v[136:137], v[136:137], v[138:139]
	ds_load_b128 v[4:7], v2 offset:1808
	ds_load_b128 v[10:13], v2 offset:1824
	v_fmac_f64_e32 v[140:141], v[134:135], v[152:153]
	v_fma_f64 v[132:133], v[132:133], v[152:153], -v[142:143]
	s_wait_loadcnt_dscnt 0x501
	v_mul_f64_e32 v[138:139], v[4:5], v[158:159]
	v_mul_f64_e32 v[148:149], v[6:7], v[158:159]
	s_wait_loadcnt_dscnt 0x400
	v_mul_f64_e32 v[142:143], v[10:11], v[162:163]
	v_add_f64_e32 v[134:135], v[146:147], v[144:145]
	v_add_f64_e32 v[136:137], v[136:137], v[176:177]
	v_mul_f64_e32 v[144:145], v[12:13], v[162:163]
	v_fmac_f64_e32 v[138:139], v[6:7], v[156:157]
	v_fma_f64 v[146:147], v[4:5], v[156:157], -v[148:149]
	v_fmac_f64_e32 v[142:143], v[12:13], v[160:161]
	v_add_f64_e32 v[148:149], v[134:135], v[132:133]
	v_add_f64_e32 v[136:137], v[136:137], v[140:141]
	ds_load_b128 v[4:7], v2 offset:1840
	ds_load_b128 v[132:135], v2 offset:1856
	v_fma_f64 v[10:11], v[10:11], v[160:161], -v[144:145]
	s_wait_loadcnt_dscnt 0x301
	v_mul_f64_e32 v[140:141], v[4:5], v[170:171]
	v_mul_f64_e32 v[150:151], v[6:7], v[170:171]
	s_wait_loadcnt_dscnt 0x100
	v_mul_f64_e32 v[144:145], v[134:135], v[182:183]
	v_add_f64_e32 v[12:13], v[148:149], v[146:147]
	v_add_f64_e32 v[136:137], v[136:137], v[138:139]
	v_mul_f64_e32 v[138:139], v[132:133], v[182:183]
	v_fmac_f64_e32 v[140:141], v[6:7], v[168:169]
	v_fma_f64 v[146:147], v[4:5], v[168:169], -v[150:151]
	ds_load_b128 v[4:7], v2 offset:1872
	v_fma_f64 v[132:133], v[132:133], v[180:181], -v[144:145]
	v_add_f64_e32 v[10:11], v[12:13], v[10:11]
	v_add_f64_e32 v[12:13], v[136:137], v[142:143]
	v_fmac_f64_e32 v[138:139], v[134:135], v[180:181]
	s_wait_loadcnt_dscnt 0x0
	v_mul_f64_e32 v[136:137], v[4:5], v[166:167]
	v_mul_f64_e32 v[142:143], v[6:7], v[166:167]
	v_add_f64_e32 v[10:11], v[10:11], v[146:147]
	v_add_f64_e32 v[12:13], v[12:13], v[140:141]
	s_delay_alu instid0(VALU_DEP_4) | instskip(NEXT) | instid1(VALU_DEP_4)
	v_fmac_f64_e32 v[136:137], v[6:7], v[164:165]
	v_fma_f64 v[4:5], v[4:5], v[164:165], -v[142:143]
	s_delay_alu instid0(VALU_DEP_4) | instskip(NEXT) | instid1(VALU_DEP_4)
	v_add_f64_e32 v[6:7], v[10:11], v[132:133]
	v_add_f64_e32 v[10:11], v[12:13], v[138:139]
	s_delay_alu instid0(VALU_DEP_2) | instskip(NEXT) | instid1(VALU_DEP_2)
	v_add_f64_e32 v[4:5], v[6:7], v[4:5]
	v_add_f64_e32 v[6:7], v[10:11], v[136:137]
	s_delay_alu instid0(VALU_DEP_2) | instskip(NEXT) | instid1(VALU_DEP_2)
	v_add_f64_e64 v[4:5], v[172:173], -v[4:5]
	v_add_f64_e64 v[6:7], v[174:175], -v[6:7]
	scratch_store_b128 off, v[4:7], off offset:720
	s_wait_xcnt 0x0
	v_cmpx_lt_u32_e32 44, v1
	s_cbranch_execz .LBB122_279
; %bb.278:
	scratch_load_b128 v[10:13], off, s30
	v_dual_mov_b32 v3, v2 :: v_dual_mov_b32 v4, v2
	v_mov_b32_e32 v5, v2
	scratch_store_b128 off, v[2:5], off offset:704
	s_wait_loadcnt 0x0
	ds_store_b128 v8, v[10:13]
.LBB122_279:
	s_wait_xcnt 0x0
	s_or_b32 exec_lo, exec_lo, s2
	s_wait_storecnt_dscnt 0x0
	s_barrier_signal -1
	s_barrier_wait -1
	s_clause 0x9
	scratch_load_b128 v[4:7], off, off offset:720
	scratch_load_b128 v[10:13], off, off offset:736
	scratch_load_b128 v[132:135], off, off offset:752
	scratch_load_b128 v[136:139], off, off offset:768
	scratch_load_b128 v[140:143], off, off offset:784
	scratch_load_b128 v[144:147], off, off offset:800
	scratch_load_b128 v[148:151], off, off offset:816
	scratch_load_b128 v[152:155], off, off offset:832
	scratch_load_b128 v[156:159], off, off offset:848
	scratch_load_b128 v[160:163], off, off offset:864
	ds_load_b128 v[164:167], v2 offset:1664
	ds_load_b128 v[172:175], v2 offset:1680
	s_clause 0x2
	scratch_load_b128 v[168:171], off, off offset:880
	scratch_load_b128 v[176:179], off, off offset:704
	;; [unrolled: 1-line block ×3, first 2 shown]
	s_mov_b32 s2, exec_lo
	s_wait_loadcnt_dscnt 0xc01
	v_mul_f64_e32 v[184:185], v[166:167], v[6:7]
	v_mul_f64_e32 v[188:189], v[164:165], v[6:7]
	s_wait_loadcnt_dscnt 0xb00
	v_mul_f64_e32 v[190:191], v[172:173], v[12:13]
	v_mul_f64_e32 v[12:13], v[174:175], v[12:13]
	s_delay_alu instid0(VALU_DEP_4) | instskip(NEXT) | instid1(VALU_DEP_4)
	v_fma_f64 v[192:193], v[164:165], v[4:5], -v[184:185]
	v_fmac_f64_e32 v[188:189], v[166:167], v[4:5]
	ds_load_b128 v[4:7], v2 offset:1696
	ds_load_b128 v[164:167], v2 offset:1712
	scratch_load_b128 v[184:187], off, off offset:912
	v_fmac_f64_e32 v[190:191], v[174:175], v[10:11]
	v_fma_f64 v[172:173], v[172:173], v[10:11], -v[12:13]
	scratch_load_b128 v[10:13], off, off offset:928
	s_wait_loadcnt_dscnt 0xc01
	v_mul_f64_e32 v[194:195], v[4:5], v[134:135]
	v_mul_f64_e32 v[134:135], v[6:7], v[134:135]
	v_add_f64_e32 v[174:175], 0, v[192:193]
	v_add_f64_e32 v[188:189], 0, v[188:189]
	s_wait_loadcnt_dscnt 0xb00
	v_mul_f64_e32 v[192:193], v[164:165], v[138:139]
	v_mul_f64_e32 v[138:139], v[166:167], v[138:139]
	v_fmac_f64_e32 v[194:195], v[6:7], v[132:133]
	v_fma_f64 v[196:197], v[4:5], v[132:133], -v[134:135]
	ds_load_b128 v[4:7], v2 offset:1728
	ds_load_b128 v[132:135], v2 offset:1744
	v_add_f64_e32 v[172:173], v[174:175], v[172:173]
	v_add_f64_e32 v[174:175], v[188:189], v[190:191]
	v_fmac_f64_e32 v[192:193], v[166:167], v[136:137]
	v_fma_f64 v[136:137], v[164:165], v[136:137], -v[138:139]
	s_wait_loadcnt_dscnt 0xa01
	v_mul_f64_e32 v[188:189], v[4:5], v[142:143]
	v_mul_f64_e32 v[142:143], v[6:7], v[142:143]
	s_wait_loadcnt_dscnt 0x900
	v_mul_f64_e32 v[166:167], v[132:133], v[146:147]
	v_mul_f64_e32 v[146:147], v[134:135], v[146:147]
	v_add_f64_e32 v[138:139], v[172:173], v[196:197]
	v_add_f64_e32 v[164:165], v[174:175], v[194:195]
	v_fmac_f64_e32 v[188:189], v[6:7], v[140:141]
	v_fma_f64 v[140:141], v[4:5], v[140:141], -v[142:143]
	v_fmac_f64_e32 v[166:167], v[134:135], v[144:145]
	v_fma_f64 v[132:133], v[132:133], v[144:145], -v[146:147]
	v_add_f64_e32 v[142:143], v[138:139], v[136:137]
	v_add_f64_e32 v[164:165], v[164:165], v[192:193]
	ds_load_b128 v[4:7], v2 offset:1760
	ds_load_b128 v[136:139], v2 offset:1776
	s_wait_loadcnt_dscnt 0x801
	v_mul_f64_e32 v[172:173], v[4:5], v[150:151]
	v_mul_f64_e32 v[150:151], v[6:7], v[150:151]
	s_wait_loadcnt_dscnt 0x700
	v_mul_f64_e32 v[144:145], v[138:139], v[154:155]
	v_add_f64_e32 v[134:135], v[142:143], v[140:141]
	v_add_f64_e32 v[140:141], v[164:165], v[188:189]
	v_mul_f64_e32 v[142:143], v[136:137], v[154:155]
	v_fmac_f64_e32 v[172:173], v[6:7], v[148:149]
	v_fma_f64 v[146:147], v[4:5], v[148:149], -v[150:151]
	v_fma_f64 v[136:137], v[136:137], v[152:153], -v[144:145]
	v_add_f64_e32 v[148:149], v[134:135], v[132:133]
	v_add_f64_e32 v[140:141], v[140:141], v[166:167]
	ds_load_b128 v[4:7], v2 offset:1792
	ds_load_b128 v[132:135], v2 offset:1808
	v_fmac_f64_e32 v[142:143], v[138:139], v[152:153]
	s_wait_loadcnt_dscnt 0x601
	v_mul_f64_e32 v[150:151], v[4:5], v[158:159]
	v_mul_f64_e32 v[154:155], v[6:7], v[158:159]
	s_wait_loadcnt_dscnt 0x500
	v_mul_f64_e32 v[144:145], v[132:133], v[162:163]
	v_add_f64_e32 v[138:139], v[148:149], v[146:147]
	v_add_f64_e32 v[140:141], v[140:141], v[172:173]
	v_mul_f64_e32 v[146:147], v[134:135], v[162:163]
	v_fmac_f64_e32 v[150:151], v[6:7], v[156:157]
	v_fma_f64 v[148:149], v[4:5], v[156:157], -v[154:155]
	v_fmac_f64_e32 v[144:145], v[134:135], v[160:161]
	v_add_f64_e32 v[152:153], v[138:139], v[136:137]
	v_add_f64_e32 v[140:141], v[140:141], v[142:143]
	ds_load_b128 v[4:7], v2 offset:1824
	ds_load_b128 v[136:139], v2 offset:1840
	v_fma_f64 v[132:133], v[132:133], v[160:161], -v[146:147]
	s_wait_loadcnt_dscnt 0x401
	v_mul_f64_e32 v[142:143], v[4:5], v[170:171]
	v_mul_f64_e32 v[154:155], v[6:7], v[170:171]
	s_wait_loadcnt_dscnt 0x200
	v_mul_f64_e32 v[146:147], v[136:137], v[182:183]
	v_add_f64_e32 v[134:135], v[152:153], v[148:149]
	v_add_f64_e32 v[140:141], v[140:141], v[150:151]
	v_mul_f64_e32 v[148:149], v[138:139], v[182:183]
	v_fmac_f64_e32 v[142:143], v[6:7], v[168:169]
	v_fma_f64 v[150:151], v[4:5], v[168:169], -v[154:155]
	v_fmac_f64_e32 v[146:147], v[138:139], v[180:181]
	v_add_f64_e32 v[152:153], v[134:135], v[132:133]
	v_add_f64_e32 v[140:141], v[140:141], v[144:145]
	ds_load_b128 v[4:7], v2 offset:1856
	ds_load_b128 v[132:135], v2 offset:1872
	v_fma_f64 v[136:137], v[136:137], v[180:181], -v[148:149]
	s_wait_loadcnt_dscnt 0x101
	v_mul_f64_e32 v[2:3], v[4:5], v[186:187]
	v_mul_f64_e32 v[144:145], v[6:7], v[186:187]
	v_add_f64_e32 v[138:139], v[152:153], v[150:151]
	v_add_f64_e32 v[140:141], v[140:141], v[142:143]
	s_wait_loadcnt_dscnt 0x0
	v_mul_f64_e32 v[142:143], v[132:133], v[12:13]
	v_mul_f64_e32 v[12:13], v[134:135], v[12:13]
	v_fmac_f64_e32 v[2:3], v[6:7], v[184:185]
	v_fma_f64 v[4:5], v[4:5], v[184:185], -v[144:145]
	v_add_f64_e32 v[6:7], v[138:139], v[136:137]
	v_add_f64_e32 v[136:137], v[140:141], v[146:147]
	v_fmac_f64_e32 v[142:143], v[134:135], v[10:11]
	v_fma_f64 v[10:11], v[132:133], v[10:11], -v[12:13]
	s_delay_alu instid0(VALU_DEP_4) | instskip(NEXT) | instid1(VALU_DEP_4)
	v_add_f64_e32 v[4:5], v[6:7], v[4:5]
	v_add_f64_e32 v[2:3], v[136:137], v[2:3]
	s_delay_alu instid0(VALU_DEP_2) | instskip(NEXT) | instid1(VALU_DEP_2)
	v_add_f64_e32 v[4:5], v[4:5], v[10:11]
	v_add_f64_e32 v[6:7], v[2:3], v[142:143]
	s_delay_alu instid0(VALU_DEP_2) | instskip(NEXT) | instid1(VALU_DEP_2)
	v_add_f64_e64 v[2:3], v[176:177], -v[4:5]
	v_add_f64_e64 v[4:5], v[178:179], -v[6:7]
	scratch_store_b128 off, v[2:5], off offset:704
	s_wait_xcnt 0x0
	v_cmpx_lt_u32_e32 43, v1
	s_cbranch_execz .LBB122_281
; %bb.280:
	scratch_load_b128 v[2:5], off, s31
	v_mov_b32_e32 v10, 0
	s_delay_alu instid0(VALU_DEP_1)
	v_dual_mov_b32 v11, v10 :: v_dual_mov_b32 v12, v10
	v_mov_b32_e32 v13, v10
	scratch_store_b128 off, v[10:13], off offset:688
	s_wait_loadcnt 0x0
	ds_store_b128 v8, v[2:5]
.LBB122_281:
	s_wait_xcnt 0x0
	s_or_b32 exec_lo, exec_lo, s2
	s_wait_storecnt_dscnt 0x0
	s_barrier_signal -1
	s_barrier_wait -1
	s_clause 0x9
	scratch_load_b128 v[4:7], off, off offset:704
	scratch_load_b128 v[10:13], off, off offset:720
	;; [unrolled: 1-line block ×10, first 2 shown]
	v_mov_b32_e32 v2, 0
	s_mov_b32 s2, exec_lo
	ds_load_b128 v[164:167], v2 offset:1648
	s_clause 0x2
	scratch_load_b128 v[168:171], off, off offset:864
	scratch_load_b128 v[172:175], off, off offset:688
	;; [unrolled: 1-line block ×3, first 2 shown]
	s_wait_loadcnt_dscnt 0xc00
	v_mul_f64_e32 v[184:185], v[166:167], v[6:7]
	v_mul_f64_e32 v[188:189], v[164:165], v[6:7]
	ds_load_b128 v[176:179], v2 offset:1664
	v_fma_f64 v[192:193], v[164:165], v[4:5], -v[184:185]
	v_fmac_f64_e32 v[188:189], v[166:167], v[4:5]
	ds_load_b128 v[4:7], v2 offset:1680
	s_wait_loadcnt_dscnt 0xb01
	v_mul_f64_e32 v[190:191], v[176:177], v[12:13]
	v_mul_f64_e32 v[12:13], v[178:179], v[12:13]
	scratch_load_b128 v[164:167], off, off offset:896
	ds_load_b128 v[184:187], v2 offset:1696
	s_wait_loadcnt_dscnt 0xb01
	v_mul_f64_e32 v[194:195], v[4:5], v[134:135]
	v_mul_f64_e32 v[134:135], v[6:7], v[134:135]
	v_add_f64_e32 v[188:189], 0, v[188:189]
	v_fmac_f64_e32 v[190:191], v[178:179], v[10:11]
	v_fma_f64 v[176:177], v[176:177], v[10:11], -v[12:13]
	v_add_f64_e32 v[178:179], 0, v[192:193]
	scratch_load_b128 v[10:13], off, off offset:912
	v_fmac_f64_e32 v[194:195], v[6:7], v[132:133]
	v_fma_f64 v[196:197], v[4:5], v[132:133], -v[134:135]
	ds_load_b128 v[4:7], v2 offset:1712
	s_wait_loadcnt_dscnt 0xb01
	v_mul_f64_e32 v[192:193], v[184:185], v[138:139]
	v_mul_f64_e32 v[138:139], v[186:187], v[138:139]
	scratch_load_b128 v[132:135], off, off offset:928
	v_add_f64_e32 v[188:189], v[188:189], v[190:191]
	v_add_f64_e32 v[198:199], v[178:179], v[176:177]
	ds_load_b128 v[176:179], v2 offset:1728
	s_wait_loadcnt_dscnt 0xb01
	v_mul_f64_e32 v[190:191], v[4:5], v[142:143]
	v_mul_f64_e32 v[142:143], v[6:7], v[142:143]
	v_fmac_f64_e32 v[192:193], v[186:187], v[136:137]
	v_fma_f64 v[136:137], v[184:185], v[136:137], -v[138:139]
	s_wait_loadcnt_dscnt 0xa00
	v_mul_f64_e32 v[186:187], v[176:177], v[146:147]
	v_mul_f64_e32 v[146:147], v[178:179], v[146:147]
	v_add_f64_e32 v[184:185], v[188:189], v[194:195]
	v_add_f64_e32 v[138:139], v[198:199], v[196:197]
	v_fmac_f64_e32 v[190:191], v[6:7], v[140:141]
	v_fma_f64 v[140:141], v[4:5], v[140:141], -v[142:143]
	v_fmac_f64_e32 v[186:187], v[178:179], v[144:145]
	v_fma_f64 v[144:145], v[176:177], v[144:145], -v[146:147]
	v_add_f64_e32 v[184:185], v[184:185], v[192:193]
	v_add_f64_e32 v[142:143], v[138:139], v[136:137]
	ds_load_b128 v[4:7], v2 offset:1744
	ds_load_b128 v[136:139], v2 offset:1760
	s_wait_loadcnt_dscnt 0x901
	v_mul_f64_e32 v[188:189], v[4:5], v[150:151]
	v_mul_f64_e32 v[150:151], v[6:7], v[150:151]
	s_wait_loadcnt_dscnt 0x800
	v_mul_f64_e32 v[146:147], v[136:137], v[154:155]
	v_mul_f64_e32 v[154:155], v[138:139], v[154:155]
	v_add_f64_e32 v[140:141], v[142:143], v[140:141]
	v_add_f64_e32 v[142:143], v[184:185], v[190:191]
	v_fmac_f64_e32 v[188:189], v[6:7], v[148:149]
	v_fma_f64 v[148:149], v[4:5], v[148:149], -v[150:151]
	v_fmac_f64_e32 v[146:147], v[138:139], v[152:153]
	v_fma_f64 v[136:137], v[136:137], v[152:153], -v[154:155]
	v_add_f64_e32 v[144:145], v[140:141], v[144:145]
	v_add_f64_e32 v[150:151], v[142:143], v[186:187]
	ds_load_b128 v[4:7], v2 offset:1776
	ds_load_b128 v[140:143], v2 offset:1792
	s_wait_loadcnt_dscnt 0x701
	v_mul_f64_e32 v[176:177], v[4:5], v[158:159]
	v_mul_f64_e32 v[158:159], v[6:7], v[158:159]
	v_add_f64_e32 v[138:139], v[144:145], v[148:149]
	v_add_f64_e32 v[144:145], v[150:151], v[188:189]
	s_wait_loadcnt_dscnt 0x600
	v_mul_f64_e32 v[148:149], v[140:141], v[162:163]
	v_mul_f64_e32 v[150:151], v[142:143], v[162:163]
	v_fmac_f64_e32 v[176:177], v[6:7], v[156:157]
	v_fma_f64 v[152:153], v[4:5], v[156:157], -v[158:159]
	v_add_f64_e32 v[154:155], v[138:139], v[136:137]
	v_add_f64_e32 v[144:145], v[144:145], v[146:147]
	ds_load_b128 v[4:7], v2 offset:1808
	ds_load_b128 v[136:139], v2 offset:1824
	v_fmac_f64_e32 v[148:149], v[142:143], v[160:161]
	v_fma_f64 v[140:141], v[140:141], v[160:161], -v[150:151]
	s_wait_loadcnt_dscnt 0x501
	v_mul_f64_e32 v[146:147], v[4:5], v[170:171]
	v_mul_f64_e32 v[156:157], v[6:7], v[170:171]
	s_wait_loadcnt_dscnt 0x300
	v_mul_f64_e32 v[150:151], v[136:137], v[182:183]
	v_add_f64_e32 v[142:143], v[154:155], v[152:153]
	v_add_f64_e32 v[144:145], v[144:145], v[176:177]
	v_mul_f64_e32 v[152:153], v[138:139], v[182:183]
	v_fmac_f64_e32 v[146:147], v[6:7], v[168:169]
	v_fma_f64 v[154:155], v[4:5], v[168:169], -v[156:157]
	v_fmac_f64_e32 v[150:151], v[138:139], v[180:181]
	v_add_f64_e32 v[156:157], v[142:143], v[140:141]
	v_add_f64_e32 v[144:145], v[144:145], v[148:149]
	ds_load_b128 v[4:7], v2 offset:1840
	ds_load_b128 v[140:143], v2 offset:1856
	v_fma_f64 v[136:137], v[136:137], v[180:181], -v[152:153]
	s_wait_loadcnt_dscnt 0x201
	v_mul_f64_e32 v[148:149], v[4:5], v[166:167]
	v_mul_f64_e32 v[158:159], v[6:7], v[166:167]
	v_add_f64_e32 v[138:139], v[156:157], v[154:155]
	v_add_f64_e32 v[144:145], v[144:145], v[146:147]
	s_wait_loadcnt_dscnt 0x100
	v_mul_f64_e32 v[146:147], v[140:141], v[12:13]
	v_mul_f64_e32 v[12:13], v[142:143], v[12:13]
	v_fmac_f64_e32 v[148:149], v[6:7], v[164:165]
	v_fma_f64 v[152:153], v[4:5], v[164:165], -v[158:159]
	ds_load_b128 v[4:7], v2 offset:1872
	v_add_f64_e32 v[136:137], v[138:139], v[136:137]
	v_add_f64_e32 v[138:139], v[144:145], v[150:151]
	v_fmac_f64_e32 v[146:147], v[142:143], v[10:11]
	v_fma_f64 v[10:11], v[140:141], v[10:11], -v[12:13]
	s_wait_loadcnt_dscnt 0x0
	v_mul_f64_e32 v[144:145], v[4:5], v[134:135]
	v_mul_f64_e32 v[134:135], v[6:7], v[134:135]
	v_add_f64_e32 v[12:13], v[136:137], v[152:153]
	v_add_f64_e32 v[136:137], v[138:139], v[148:149]
	s_delay_alu instid0(VALU_DEP_4) | instskip(NEXT) | instid1(VALU_DEP_4)
	v_fmac_f64_e32 v[144:145], v[6:7], v[132:133]
	v_fma_f64 v[4:5], v[4:5], v[132:133], -v[134:135]
	s_delay_alu instid0(VALU_DEP_4) | instskip(NEXT) | instid1(VALU_DEP_4)
	v_add_f64_e32 v[6:7], v[12:13], v[10:11]
	v_add_f64_e32 v[10:11], v[136:137], v[146:147]
	s_delay_alu instid0(VALU_DEP_2) | instskip(NEXT) | instid1(VALU_DEP_2)
	v_add_f64_e32 v[4:5], v[6:7], v[4:5]
	v_add_f64_e32 v[6:7], v[10:11], v[144:145]
	s_delay_alu instid0(VALU_DEP_2) | instskip(NEXT) | instid1(VALU_DEP_2)
	v_add_f64_e64 v[4:5], v[172:173], -v[4:5]
	v_add_f64_e64 v[6:7], v[174:175], -v[6:7]
	scratch_store_b128 off, v[4:7], off offset:688
	s_wait_xcnt 0x0
	v_cmpx_lt_u32_e32 42, v1
	s_cbranch_execz .LBB122_283
; %bb.282:
	scratch_load_b128 v[10:13], off, s33
	v_dual_mov_b32 v3, v2 :: v_dual_mov_b32 v4, v2
	v_mov_b32_e32 v5, v2
	scratch_store_b128 off, v[2:5], off offset:672
	s_wait_loadcnt 0x0
	ds_store_b128 v8, v[10:13]
.LBB122_283:
	s_wait_xcnt 0x0
	s_or_b32 exec_lo, exec_lo, s2
	s_wait_storecnt_dscnt 0x0
	s_barrier_signal -1
	s_barrier_wait -1
	s_clause 0x9
	scratch_load_b128 v[4:7], off, off offset:688
	scratch_load_b128 v[10:13], off, off offset:704
	;; [unrolled: 1-line block ×10, first 2 shown]
	ds_load_b128 v[164:167], v2 offset:1632
	ds_load_b128 v[172:175], v2 offset:1648
	s_clause 0x2
	scratch_load_b128 v[168:171], off, off offset:848
	scratch_load_b128 v[176:179], off, off offset:672
	;; [unrolled: 1-line block ×3, first 2 shown]
	s_mov_b32 s2, exec_lo
	s_wait_loadcnt_dscnt 0xc01
	v_mul_f64_e32 v[184:185], v[166:167], v[6:7]
	v_mul_f64_e32 v[188:189], v[164:165], v[6:7]
	s_wait_loadcnt_dscnt 0xb00
	v_mul_f64_e32 v[190:191], v[172:173], v[12:13]
	v_mul_f64_e32 v[12:13], v[174:175], v[12:13]
	s_delay_alu instid0(VALU_DEP_4) | instskip(NEXT) | instid1(VALU_DEP_4)
	v_fma_f64 v[192:193], v[164:165], v[4:5], -v[184:185]
	v_fmac_f64_e32 v[188:189], v[166:167], v[4:5]
	ds_load_b128 v[4:7], v2 offset:1664
	ds_load_b128 v[164:167], v2 offset:1680
	scratch_load_b128 v[184:187], off, off offset:880
	v_fmac_f64_e32 v[190:191], v[174:175], v[10:11]
	v_fma_f64 v[172:173], v[172:173], v[10:11], -v[12:13]
	scratch_load_b128 v[10:13], off, off offset:896
	s_wait_loadcnt_dscnt 0xc01
	v_mul_f64_e32 v[194:195], v[4:5], v[134:135]
	v_mul_f64_e32 v[134:135], v[6:7], v[134:135]
	v_add_f64_e32 v[174:175], 0, v[192:193]
	v_add_f64_e32 v[188:189], 0, v[188:189]
	s_wait_loadcnt_dscnt 0xb00
	v_mul_f64_e32 v[192:193], v[164:165], v[138:139]
	v_mul_f64_e32 v[138:139], v[166:167], v[138:139]
	v_fmac_f64_e32 v[194:195], v[6:7], v[132:133]
	v_fma_f64 v[196:197], v[4:5], v[132:133], -v[134:135]
	ds_load_b128 v[4:7], v2 offset:1696
	ds_load_b128 v[132:135], v2 offset:1712
	v_add_f64_e32 v[198:199], v[174:175], v[172:173]
	v_add_f64_e32 v[188:189], v[188:189], v[190:191]
	scratch_load_b128 v[172:175], off, off offset:912
	v_fmac_f64_e32 v[192:193], v[166:167], v[136:137]
	v_fma_f64 v[164:165], v[164:165], v[136:137], -v[138:139]
	scratch_load_b128 v[136:139], off, off offset:928
	s_wait_loadcnt_dscnt 0xc01
	v_mul_f64_e32 v[190:191], v[4:5], v[142:143]
	v_mul_f64_e32 v[142:143], v[6:7], v[142:143]
	v_add_f64_e32 v[166:167], v[198:199], v[196:197]
	v_add_f64_e32 v[188:189], v[188:189], v[194:195]
	s_wait_loadcnt_dscnt 0xb00
	v_mul_f64_e32 v[194:195], v[132:133], v[146:147]
	v_mul_f64_e32 v[146:147], v[134:135], v[146:147]
	v_fmac_f64_e32 v[190:191], v[6:7], v[140:141]
	v_fma_f64 v[196:197], v[4:5], v[140:141], -v[142:143]
	ds_load_b128 v[4:7], v2 offset:1728
	ds_load_b128 v[140:143], v2 offset:1744
	v_add_f64_e32 v[164:165], v[166:167], v[164:165]
	v_add_f64_e32 v[166:167], v[188:189], v[192:193]
	s_wait_loadcnt_dscnt 0xa01
	v_mul_f64_e32 v[188:189], v[4:5], v[150:151]
	v_mul_f64_e32 v[150:151], v[6:7], v[150:151]
	v_fmac_f64_e32 v[194:195], v[134:135], v[144:145]
	v_fma_f64 v[132:133], v[132:133], v[144:145], -v[146:147]
	s_wait_loadcnt_dscnt 0x900
	v_mul_f64_e32 v[146:147], v[140:141], v[154:155]
	v_mul_f64_e32 v[154:155], v[142:143], v[154:155]
	v_add_f64_e32 v[134:135], v[164:165], v[196:197]
	v_add_f64_e32 v[144:145], v[166:167], v[190:191]
	v_fmac_f64_e32 v[188:189], v[6:7], v[148:149]
	v_fma_f64 v[148:149], v[4:5], v[148:149], -v[150:151]
	v_fmac_f64_e32 v[146:147], v[142:143], v[152:153]
	v_fma_f64 v[140:141], v[140:141], v[152:153], -v[154:155]
	v_add_f64_e32 v[150:151], v[134:135], v[132:133]
	v_add_f64_e32 v[144:145], v[144:145], v[194:195]
	ds_load_b128 v[4:7], v2 offset:1760
	ds_load_b128 v[132:135], v2 offset:1776
	s_wait_loadcnt_dscnt 0x801
	v_mul_f64_e32 v[164:165], v[4:5], v[158:159]
	v_mul_f64_e32 v[158:159], v[6:7], v[158:159]
	v_add_f64_e32 v[142:143], v[150:151], v[148:149]
	v_add_f64_e32 v[144:145], v[144:145], v[188:189]
	s_wait_loadcnt_dscnt 0x700
	v_mul_f64_e32 v[148:149], v[132:133], v[162:163]
	v_mul_f64_e32 v[150:151], v[134:135], v[162:163]
	v_fmac_f64_e32 v[164:165], v[6:7], v[156:157]
	v_fma_f64 v[152:153], v[4:5], v[156:157], -v[158:159]
	v_add_f64_e32 v[154:155], v[142:143], v[140:141]
	v_add_f64_e32 v[144:145], v[144:145], v[146:147]
	ds_load_b128 v[4:7], v2 offset:1792
	ds_load_b128 v[140:143], v2 offset:1808
	v_fmac_f64_e32 v[148:149], v[134:135], v[160:161]
	v_fma_f64 v[132:133], v[132:133], v[160:161], -v[150:151]
	s_wait_loadcnt_dscnt 0x601
	v_mul_f64_e32 v[146:147], v[4:5], v[170:171]
	v_mul_f64_e32 v[156:157], v[6:7], v[170:171]
	s_wait_loadcnt_dscnt 0x400
	v_mul_f64_e32 v[150:151], v[140:141], v[182:183]
	v_add_f64_e32 v[134:135], v[154:155], v[152:153]
	v_add_f64_e32 v[144:145], v[144:145], v[164:165]
	v_mul_f64_e32 v[152:153], v[142:143], v[182:183]
	v_fmac_f64_e32 v[146:147], v[6:7], v[168:169]
	v_fma_f64 v[154:155], v[4:5], v[168:169], -v[156:157]
	v_fmac_f64_e32 v[150:151], v[142:143], v[180:181]
	v_add_f64_e32 v[156:157], v[134:135], v[132:133]
	v_add_f64_e32 v[144:145], v[144:145], v[148:149]
	ds_load_b128 v[4:7], v2 offset:1824
	ds_load_b128 v[132:135], v2 offset:1840
	v_fma_f64 v[140:141], v[140:141], v[180:181], -v[152:153]
	s_wait_loadcnt_dscnt 0x301
	v_mul_f64_e32 v[148:149], v[4:5], v[186:187]
	v_mul_f64_e32 v[158:159], v[6:7], v[186:187]
	v_add_f64_e32 v[142:143], v[156:157], v[154:155]
	v_add_f64_e32 v[144:145], v[144:145], v[146:147]
	s_wait_loadcnt_dscnt 0x200
	v_mul_f64_e32 v[146:147], v[132:133], v[12:13]
	v_mul_f64_e32 v[12:13], v[134:135], v[12:13]
	v_fmac_f64_e32 v[148:149], v[6:7], v[184:185]
	v_fma_f64 v[152:153], v[4:5], v[184:185], -v[158:159]
	v_add_f64_e32 v[154:155], v[142:143], v[140:141]
	v_add_f64_e32 v[144:145], v[144:145], v[150:151]
	ds_load_b128 v[4:7], v2 offset:1856
	ds_load_b128 v[140:143], v2 offset:1872
	v_fmac_f64_e32 v[146:147], v[134:135], v[10:11]
	v_fma_f64 v[10:11], v[132:133], v[10:11], -v[12:13]
	s_wait_loadcnt_dscnt 0x101
	v_mul_f64_e32 v[2:3], v[4:5], v[174:175]
	v_mul_f64_e32 v[150:151], v[6:7], v[174:175]
	s_wait_loadcnt_dscnt 0x0
	v_mul_f64_e32 v[134:135], v[140:141], v[138:139]
	v_mul_f64_e32 v[138:139], v[142:143], v[138:139]
	v_add_f64_e32 v[12:13], v[154:155], v[152:153]
	v_add_f64_e32 v[132:133], v[144:145], v[148:149]
	v_fmac_f64_e32 v[2:3], v[6:7], v[172:173]
	v_fma_f64 v[4:5], v[4:5], v[172:173], -v[150:151]
	v_fmac_f64_e32 v[134:135], v[142:143], v[136:137]
	v_add_f64_e32 v[6:7], v[12:13], v[10:11]
	v_add_f64_e32 v[10:11], v[132:133], v[146:147]
	v_fma_f64 v[12:13], v[140:141], v[136:137], -v[138:139]
	s_delay_alu instid0(VALU_DEP_3) | instskip(NEXT) | instid1(VALU_DEP_3)
	v_add_f64_e32 v[4:5], v[6:7], v[4:5]
	v_add_f64_e32 v[2:3], v[10:11], v[2:3]
	s_delay_alu instid0(VALU_DEP_2) | instskip(NEXT) | instid1(VALU_DEP_2)
	v_add_f64_e32 v[4:5], v[4:5], v[12:13]
	v_add_f64_e32 v[6:7], v[2:3], v[134:135]
	s_delay_alu instid0(VALU_DEP_2) | instskip(NEXT) | instid1(VALU_DEP_2)
	v_add_f64_e64 v[2:3], v[176:177], -v[4:5]
	v_add_f64_e64 v[4:5], v[178:179], -v[6:7]
	scratch_store_b128 off, v[2:5], off offset:672
	s_wait_xcnt 0x0
	v_cmpx_lt_u32_e32 41, v1
	s_cbranch_execz .LBB122_285
; %bb.284:
	scratch_load_b128 v[2:5], off, s34
	v_mov_b32_e32 v10, 0
	s_delay_alu instid0(VALU_DEP_1)
	v_dual_mov_b32 v11, v10 :: v_dual_mov_b32 v12, v10
	v_mov_b32_e32 v13, v10
	scratch_store_b128 off, v[10:13], off offset:656
	s_wait_loadcnt 0x0
	ds_store_b128 v8, v[2:5]
.LBB122_285:
	s_wait_xcnt 0x0
	s_or_b32 exec_lo, exec_lo, s2
	s_wait_storecnt_dscnt 0x0
	s_barrier_signal -1
	s_barrier_wait -1
	s_clause 0x9
	scratch_load_b128 v[4:7], off, off offset:672
	scratch_load_b128 v[10:13], off, off offset:688
	;; [unrolled: 1-line block ×10, first 2 shown]
	v_mov_b32_e32 v2, 0
	s_mov_b32 s2, exec_lo
	ds_load_b128 v[164:167], v2 offset:1616
	s_clause 0x2
	scratch_load_b128 v[168:171], off, off offset:832
	scratch_load_b128 v[172:175], off, off offset:656
	;; [unrolled: 1-line block ×3, first 2 shown]
	s_wait_loadcnt_dscnt 0xc00
	v_mul_f64_e32 v[184:185], v[166:167], v[6:7]
	v_mul_f64_e32 v[188:189], v[164:165], v[6:7]
	ds_load_b128 v[176:179], v2 offset:1632
	v_fma_f64 v[192:193], v[164:165], v[4:5], -v[184:185]
	v_fmac_f64_e32 v[188:189], v[166:167], v[4:5]
	ds_load_b128 v[4:7], v2 offset:1648
	s_wait_loadcnt_dscnt 0xb01
	v_mul_f64_e32 v[190:191], v[176:177], v[12:13]
	v_mul_f64_e32 v[12:13], v[178:179], v[12:13]
	scratch_load_b128 v[164:167], off, off offset:864
	ds_load_b128 v[184:187], v2 offset:1664
	s_wait_loadcnt_dscnt 0xb01
	v_mul_f64_e32 v[194:195], v[4:5], v[134:135]
	v_mul_f64_e32 v[134:135], v[6:7], v[134:135]
	v_add_f64_e32 v[188:189], 0, v[188:189]
	v_fmac_f64_e32 v[190:191], v[178:179], v[10:11]
	v_fma_f64 v[176:177], v[176:177], v[10:11], -v[12:13]
	v_add_f64_e32 v[178:179], 0, v[192:193]
	scratch_load_b128 v[10:13], off, off offset:880
	v_fmac_f64_e32 v[194:195], v[6:7], v[132:133]
	v_fma_f64 v[196:197], v[4:5], v[132:133], -v[134:135]
	ds_load_b128 v[4:7], v2 offset:1680
	s_wait_loadcnt_dscnt 0xb01
	v_mul_f64_e32 v[192:193], v[184:185], v[138:139]
	v_mul_f64_e32 v[138:139], v[186:187], v[138:139]
	scratch_load_b128 v[132:135], off, off offset:896
	v_add_f64_e32 v[188:189], v[188:189], v[190:191]
	v_add_f64_e32 v[198:199], v[178:179], v[176:177]
	ds_load_b128 v[176:179], v2 offset:1696
	s_wait_loadcnt_dscnt 0xb01
	v_mul_f64_e32 v[190:191], v[4:5], v[142:143]
	v_mul_f64_e32 v[142:143], v[6:7], v[142:143]
	v_fmac_f64_e32 v[192:193], v[186:187], v[136:137]
	v_fma_f64 v[184:185], v[184:185], v[136:137], -v[138:139]
	scratch_load_b128 v[136:139], off, off offset:912
	v_add_f64_e32 v[188:189], v[188:189], v[194:195]
	v_add_f64_e32 v[186:187], v[198:199], v[196:197]
	v_fmac_f64_e32 v[190:191], v[6:7], v[140:141]
	v_fma_f64 v[196:197], v[4:5], v[140:141], -v[142:143]
	ds_load_b128 v[4:7], v2 offset:1712
	s_wait_loadcnt_dscnt 0xb01
	v_mul_f64_e32 v[194:195], v[176:177], v[146:147]
	v_mul_f64_e32 v[146:147], v[178:179], v[146:147]
	scratch_load_b128 v[140:143], off, off offset:928
	v_add_f64_e32 v[188:189], v[188:189], v[192:193]
	s_wait_loadcnt_dscnt 0xb00
	v_mul_f64_e32 v[192:193], v[4:5], v[150:151]
	v_add_f64_e32 v[198:199], v[186:187], v[184:185]
	v_mul_f64_e32 v[150:151], v[6:7], v[150:151]
	ds_load_b128 v[184:187], v2 offset:1728
	v_fmac_f64_e32 v[194:195], v[178:179], v[144:145]
	v_fma_f64 v[144:145], v[176:177], v[144:145], -v[146:147]
	s_wait_loadcnt_dscnt 0xa00
	v_mul_f64_e32 v[178:179], v[184:185], v[154:155]
	v_mul_f64_e32 v[154:155], v[186:187], v[154:155]
	v_add_f64_e32 v[176:177], v[188:189], v[190:191]
	v_fmac_f64_e32 v[192:193], v[6:7], v[148:149]
	v_add_f64_e32 v[146:147], v[198:199], v[196:197]
	v_fma_f64 v[148:149], v[4:5], v[148:149], -v[150:151]
	v_fmac_f64_e32 v[178:179], v[186:187], v[152:153]
	v_fma_f64 v[152:153], v[184:185], v[152:153], -v[154:155]
	v_add_f64_e32 v[176:177], v[176:177], v[194:195]
	v_add_f64_e32 v[150:151], v[146:147], v[144:145]
	ds_load_b128 v[4:7], v2 offset:1744
	ds_load_b128 v[144:147], v2 offset:1760
	s_wait_loadcnt_dscnt 0x901
	v_mul_f64_e32 v[188:189], v[4:5], v[158:159]
	v_mul_f64_e32 v[158:159], v[6:7], v[158:159]
	s_wait_loadcnt_dscnt 0x800
	v_mul_f64_e32 v[154:155], v[144:145], v[162:163]
	v_mul_f64_e32 v[162:163], v[146:147], v[162:163]
	v_add_f64_e32 v[148:149], v[150:151], v[148:149]
	v_add_f64_e32 v[150:151], v[176:177], v[192:193]
	v_fmac_f64_e32 v[188:189], v[6:7], v[156:157]
	v_fma_f64 v[156:157], v[4:5], v[156:157], -v[158:159]
	v_fmac_f64_e32 v[154:155], v[146:147], v[160:161]
	v_fma_f64 v[144:145], v[144:145], v[160:161], -v[162:163]
	v_add_f64_e32 v[152:153], v[148:149], v[152:153]
	v_add_f64_e32 v[158:159], v[150:151], v[178:179]
	ds_load_b128 v[4:7], v2 offset:1776
	ds_load_b128 v[148:151], v2 offset:1792
	s_wait_loadcnt_dscnt 0x701
	v_mul_f64_e32 v[176:177], v[4:5], v[170:171]
	v_mul_f64_e32 v[170:171], v[6:7], v[170:171]
	v_add_f64_e32 v[146:147], v[152:153], v[156:157]
	v_add_f64_e32 v[152:153], v[158:159], v[188:189]
	s_wait_loadcnt_dscnt 0x500
	v_mul_f64_e32 v[156:157], v[148:149], v[182:183]
	v_mul_f64_e32 v[158:159], v[150:151], v[182:183]
	v_fmac_f64_e32 v[176:177], v[6:7], v[168:169]
	v_fma_f64 v[160:161], v[4:5], v[168:169], -v[170:171]
	v_add_f64_e32 v[162:163], v[146:147], v[144:145]
	v_add_f64_e32 v[152:153], v[152:153], v[154:155]
	ds_load_b128 v[4:7], v2 offset:1808
	ds_load_b128 v[144:147], v2 offset:1824
	v_fmac_f64_e32 v[156:157], v[150:151], v[180:181]
	v_fma_f64 v[148:149], v[148:149], v[180:181], -v[158:159]
	s_wait_loadcnt_dscnt 0x401
	v_mul_f64_e32 v[154:155], v[4:5], v[166:167]
	v_mul_f64_e32 v[166:167], v[6:7], v[166:167]
	v_add_f64_e32 v[150:151], v[162:163], v[160:161]
	v_add_f64_e32 v[152:153], v[152:153], v[176:177]
	s_wait_loadcnt_dscnt 0x300
	v_mul_f64_e32 v[158:159], v[144:145], v[12:13]
	v_mul_f64_e32 v[12:13], v[146:147], v[12:13]
	v_fmac_f64_e32 v[154:155], v[6:7], v[164:165]
	v_fma_f64 v[160:161], v[4:5], v[164:165], -v[166:167]
	v_add_f64_e32 v[162:163], v[150:151], v[148:149]
	v_add_f64_e32 v[152:153], v[152:153], v[156:157]
	ds_load_b128 v[4:7], v2 offset:1840
	ds_load_b128 v[148:151], v2 offset:1856
	v_fmac_f64_e32 v[158:159], v[146:147], v[10:11]
	v_fma_f64 v[10:11], v[144:145], v[10:11], -v[12:13]
	s_wait_loadcnt_dscnt 0x201
	v_mul_f64_e32 v[156:157], v[4:5], v[134:135]
	v_mul_f64_e32 v[134:135], v[6:7], v[134:135]
	s_wait_loadcnt_dscnt 0x100
	v_mul_f64_e32 v[146:147], v[148:149], v[138:139]
	v_mul_f64_e32 v[138:139], v[150:151], v[138:139]
	v_add_f64_e32 v[12:13], v[162:163], v[160:161]
	v_add_f64_e32 v[144:145], v[152:153], v[154:155]
	v_fmac_f64_e32 v[156:157], v[6:7], v[132:133]
	v_fma_f64 v[132:133], v[4:5], v[132:133], -v[134:135]
	ds_load_b128 v[4:7], v2 offset:1872
	v_fmac_f64_e32 v[146:147], v[150:151], v[136:137]
	v_fma_f64 v[136:137], v[148:149], v[136:137], -v[138:139]
	v_add_f64_e32 v[10:11], v[12:13], v[10:11]
	v_add_f64_e32 v[12:13], v[144:145], v[158:159]
	s_wait_loadcnt_dscnt 0x0
	v_mul_f64_e32 v[134:135], v[4:5], v[142:143]
	v_mul_f64_e32 v[142:143], v[6:7], v[142:143]
	s_delay_alu instid0(VALU_DEP_4) | instskip(NEXT) | instid1(VALU_DEP_4)
	v_add_f64_e32 v[10:11], v[10:11], v[132:133]
	v_add_f64_e32 v[12:13], v[12:13], v[156:157]
	s_delay_alu instid0(VALU_DEP_4) | instskip(NEXT) | instid1(VALU_DEP_4)
	v_fmac_f64_e32 v[134:135], v[6:7], v[140:141]
	v_fma_f64 v[4:5], v[4:5], v[140:141], -v[142:143]
	s_delay_alu instid0(VALU_DEP_4) | instskip(NEXT) | instid1(VALU_DEP_4)
	v_add_f64_e32 v[6:7], v[10:11], v[136:137]
	v_add_f64_e32 v[10:11], v[12:13], v[146:147]
	s_delay_alu instid0(VALU_DEP_2) | instskip(NEXT) | instid1(VALU_DEP_2)
	v_add_f64_e32 v[4:5], v[6:7], v[4:5]
	v_add_f64_e32 v[6:7], v[10:11], v[134:135]
	s_delay_alu instid0(VALU_DEP_2) | instskip(NEXT) | instid1(VALU_DEP_2)
	v_add_f64_e64 v[4:5], v[172:173], -v[4:5]
	v_add_f64_e64 v[6:7], v[174:175], -v[6:7]
	scratch_store_b128 off, v[4:7], off offset:656
	s_wait_xcnt 0x0
	v_cmpx_lt_u32_e32 40, v1
	s_cbranch_execz .LBB122_287
; %bb.286:
	scratch_load_b128 v[10:13], off, s35
	v_dual_mov_b32 v3, v2 :: v_dual_mov_b32 v4, v2
	v_mov_b32_e32 v5, v2
	scratch_store_b128 off, v[2:5], off offset:640
	s_wait_loadcnt 0x0
	ds_store_b128 v8, v[10:13]
.LBB122_287:
	s_wait_xcnt 0x0
	s_or_b32 exec_lo, exec_lo, s2
	s_wait_storecnt_dscnt 0x0
	s_barrier_signal -1
	s_barrier_wait -1
	s_clause 0x9
	scratch_load_b128 v[4:7], off, off offset:656
	scratch_load_b128 v[10:13], off, off offset:672
	scratch_load_b128 v[132:135], off, off offset:688
	scratch_load_b128 v[136:139], off, off offset:704
	scratch_load_b128 v[140:143], off, off offset:720
	scratch_load_b128 v[144:147], off, off offset:736
	scratch_load_b128 v[148:151], off, off offset:752
	scratch_load_b128 v[152:155], off, off offset:768
	scratch_load_b128 v[156:159], off, off offset:784
	scratch_load_b128 v[160:163], off, off offset:800
	ds_load_b128 v[164:167], v2 offset:1600
	ds_load_b128 v[172:175], v2 offset:1616
	s_clause 0x2
	scratch_load_b128 v[168:171], off, off offset:816
	scratch_load_b128 v[176:179], off, off offset:640
	scratch_load_b128 v[180:183], off, off offset:832
	s_mov_b32 s2, exec_lo
	s_wait_loadcnt_dscnt 0xc01
	v_mul_f64_e32 v[184:185], v[166:167], v[6:7]
	v_mul_f64_e32 v[188:189], v[164:165], v[6:7]
	s_wait_loadcnt_dscnt 0xb00
	v_mul_f64_e32 v[190:191], v[172:173], v[12:13]
	v_mul_f64_e32 v[12:13], v[174:175], v[12:13]
	s_delay_alu instid0(VALU_DEP_4) | instskip(NEXT) | instid1(VALU_DEP_4)
	v_fma_f64 v[192:193], v[164:165], v[4:5], -v[184:185]
	v_fmac_f64_e32 v[188:189], v[166:167], v[4:5]
	ds_load_b128 v[4:7], v2 offset:1632
	ds_load_b128 v[164:167], v2 offset:1648
	scratch_load_b128 v[184:187], off, off offset:848
	v_fmac_f64_e32 v[190:191], v[174:175], v[10:11]
	v_fma_f64 v[172:173], v[172:173], v[10:11], -v[12:13]
	scratch_load_b128 v[10:13], off, off offset:864
	s_wait_loadcnt_dscnt 0xc01
	v_mul_f64_e32 v[194:195], v[4:5], v[134:135]
	v_mul_f64_e32 v[134:135], v[6:7], v[134:135]
	v_add_f64_e32 v[174:175], 0, v[192:193]
	v_add_f64_e32 v[188:189], 0, v[188:189]
	s_wait_loadcnt_dscnt 0xb00
	v_mul_f64_e32 v[192:193], v[164:165], v[138:139]
	v_mul_f64_e32 v[138:139], v[166:167], v[138:139]
	v_fmac_f64_e32 v[194:195], v[6:7], v[132:133]
	v_fma_f64 v[196:197], v[4:5], v[132:133], -v[134:135]
	ds_load_b128 v[4:7], v2 offset:1664
	ds_load_b128 v[132:135], v2 offset:1680
	v_add_f64_e32 v[198:199], v[174:175], v[172:173]
	v_add_f64_e32 v[188:189], v[188:189], v[190:191]
	scratch_load_b128 v[172:175], off, off offset:880
	v_fmac_f64_e32 v[192:193], v[166:167], v[136:137]
	v_fma_f64 v[164:165], v[164:165], v[136:137], -v[138:139]
	scratch_load_b128 v[136:139], off, off offset:896
	s_wait_loadcnt_dscnt 0xc01
	v_mul_f64_e32 v[190:191], v[4:5], v[142:143]
	v_mul_f64_e32 v[142:143], v[6:7], v[142:143]
	v_add_f64_e32 v[166:167], v[198:199], v[196:197]
	v_add_f64_e32 v[188:189], v[188:189], v[194:195]
	s_wait_loadcnt_dscnt 0xb00
	v_mul_f64_e32 v[194:195], v[132:133], v[146:147]
	v_mul_f64_e32 v[146:147], v[134:135], v[146:147]
	v_fmac_f64_e32 v[190:191], v[6:7], v[140:141]
	v_fma_f64 v[196:197], v[4:5], v[140:141], -v[142:143]
	ds_load_b128 v[4:7], v2 offset:1696
	ds_load_b128 v[140:143], v2 offset:1712
	v_add_f64_e32 v[198:199], v[166:167], v[164:165]
	v_add_f64_e32 v[188:189], v[188:189], v[192:193]
	scratch_load_b128 v[164:167], off, off offset:912
	s_wait_loadcnt_dscnt 0xb01
	v_mul_f64_e32 v[192:193], v[4:5], v[150:151]
	v_mul_f64_e32 v[150:151], v[6:7], v[150:151]
	v_fmac_f64_e32 v[194:195], v[134:135], v[144:145]
	v_fma_f64 v[144:145], v[132:133], v[144:145], -v[146:147]
	scratch_load_b128 v[132:135], off, off offset:928
	v_add_f64_e32 v[146:147], v[198:199], v[196:197]
	v_add_f64_e32 v[188:189], v[188:189], v[190:191]
	s_wait_loadcnt_dscnt 0xb00
	v_mul_f64_e32 v[190:191], v[140:141], v[154:155]
	v_mul_f64_e32 v[154:155], v[142:143], v[154:155]
	v_fmac_f64_e32 v[192:193], v[6:7], v[148:149]
	v_fma_f64 v[148:149], v[4:5], v[148:149], -v[150:151]
	v_add_f64_e32 v[150:151], v[146:147], v[144:145]
	v_add_f64_e32 v[188:189], v[188:189], v[194:195]
	ds_load_b128 v[4:7], v2 offset:1728
	ds_load_b128 v[144:147], v2 offset:1744
	v_fmac_f64_e32 v[190:191], v[142:143], v[152:153]
	v_fma_f64 v[140:141], v[140:141], v[152:153], -v[154:155]
	s_wait_loadcnt_dscnt 0xa01
	v_mul_f64_e32 v[194:195], v[4:5], v[158:159]
	v_mul_f64_e32 v[158:159], v[6:7], v[158:159]
	s_wait_loadcnt_dscnt 0x900
	v_mul_f64_e32 v[152:153], v[146:147], v[162:163]
	v_add_f64_e32 v[142:143], v[150:151], v[148:149]
	v_add_f64_e32 v[148:149], v[188:189], v[192:193]
	v_mul_f64_e32 v[150:151], v[144:145], v[162:163]
	v_fmac_f64_e32 v[194:195], v[6:7], v[156:157]
	v_fma_f64 v[154:155], v[4:5], v[156:157], -v[158:159]
	v_fma_f64 v[144:145], v[144:145], v[160:161], -v[152:153]
	v_add_f64_e32 v[156:157], v[142:143], v[140:141]
	v_add_f64_e32 v[148:149], v[148:149], v[190:191]
	ds_load_b128 v[4:7], v2 offset:1760
	ds_load_b128 v[140:143], v2 offset:1776
	v_fmac_f64_e32 v[150:151], v[146:147], v[160:161]
	s_wait_loadcnt_dscnt 0x801
	v_mul_f64_e32 v[158:159], v[4:5], v[170:171]
	v_mul_f64_e32 v[162:163], v[6:7], v[170:171]
	s_wait_loadcnt_dscnt 0x600
	v_mul_f64_e32 v[152:153], v[140:141], v[182:183]
	v_add_f64_e32 v[146:147], v[156:157], v[154:155]
	v_add_f64_e32 v[148:149], v[148:149], v[194:195]
	v_mul_f64_e32 v[154:155], v[142:143], v[182:183]
	v_fmac_f64_e32 v[158:159], v[6:7], v[168:169]
	v_fma_f64 v[156:157], v[4:5], v[168:169], -v[162:163]
	v_fmac_f64_e32 v[152:153], v[142:143], v[180:181]
	v_add_f64_e32 v[160:161], v[146:147], v[144:145]
	v_add_f64_e32 v[148:149], v[148:149], v[150:151]
	ds_load_b128 v[4:7], v2 offset:1792
	ds_load_b128 v[144:147], v2 offset:1808
	v_fma_f64 v[140:141], v[140:141], v[180:181], -v[154:155]
	s_wait_loadcnt_dscnt 0x501
	v_mul_f64_e32 v[150:151], v[4:5], v[186:187]
	v_mul_f64_e32 v[162:163], v[6:7], v[186:187]
	s_wait_loadcnt_dscnt 0x400
	v_mul_f64_e32 v[154:155], v[144:145], v[12:13]
	v_mul_f64_e32 v[12:13], v[146:147], v[12:13]
	v_add_f64_e32 v[142:143], v[160:161], v[156:157]
	v_add_f64_e32 v[148:149], v[148:149], v[158:159]
	v_fmac_f64_e32 v[150:151], v[6:7], v[184:185]
	v_fma_f64 v[156:157], v[4:5], v[184:185], -v[162:163]
	v_fmac_f64_e32 v[154:155], v[146:147], v[10:11]
	v_fma_f64 v[10:11], v[144:145], v[10:11], -v[12:13]
	v_add_f64_e32 v[158:159], v[142:143], v[140:141]
	v_add_f64_e32 v[148:149], v[148:149], v[152:153]
	ds_load_b128 v[4:7], v2 offset:1824
	ds_load_b128 v[140:143], v2 offset:1840
	s_wait_loadcnt_dscnt 0x301
	v_mul_f64_e32 v[152:153], v[4:5], v[174:175]
	v_mul_f64_e32 v[160:161], v[6:7], v[174:175]
	s_wait_loadcnt_dscnt 0x200
	v_mul_f64_e32 v[146:147], v[140:141], v[138:139]
	v_mul_f64_e32 v[138:139], v[142:143], v[138:139]
	v_add_f64_e32 v[12:13], v[158:159], v[156:157]
	v_add_f64_e32 v[144:145], v[148:149], v[150:151]
	v_fmac_f64_e32 v[152:153], v[6:7], v[172:173]
	v_fma_f64 v[148:149], v[4:5], v[172:173], -v[160:161]
	v_fmac_f64_e32 v[146:147], v[142:143], v[136:137]
	v_fma_f64 v[136:137], v[140:141], v[136:137], -v[138:139]
	v_add_f64_e32 v[150:151], v[12:13], v[10:11]
	v_add_f64_e32 v[144:145], v[144:145], v[154:155]
	ds_load_b128 v[4:7], v2 offset:1856
	ds_load_b128 v[10:13], v2 offset:1872
	s_wait_loadcnt_dscnt 0x101
	v_mul_f64_e32 v[2:3], v[4:5], v[166:167]
	v_mul_f64_e32 v[154:155], v[6:7], v[166:167]
	s_wait_loadcnt_dscnt 0x0
	v_mul_f64_e32 v[142:143], v[10:11], v[134:135]
	v_mul_f64_e32 v[134:135], v[12:13], v[134:135]
	v_add_f64_e32 v[138:139], v[150:151], v[148:149]
	v_add_f64_e32 v[140:141], v[144:145], v[152:153]
	v_fmac_f64_e32 v[2:3], v[6:7], v[164:165]
	v_fma_f64 v[4:5], v[4:5], v[164:165], -v[154:155]
	v_fmac_f64_e32 v[142:143], v[12:13], v[132:133]
	v_fma_f64 v[10:11], v[10:11], v[132:133], -v[134:135]
	v_add_f64_e32 v[6:7], v[138:139], v[136:137]
	v_add_f64_e32 v[136:137], v[140:141], v[146:147]
	s_delay_alu instid0(VALU_DEP_2) | instskip(NEXT) | instid1(VALU_DEP_2)
	v_add_f64_e32 v[4:5], v[6:7], v[4:5]
	v_add_f64_e32 v[2:3], v[136:137], v[2:3]
	s_delay_alu instid0(VALU_DEP_2) | instskip(NEXT) | instid1(VALU_DEP_2)
	;; [unrolled: 3-line block ×3, first 2 shown]
	v_add_f64_e64 v[2:3], v[176:177], -v[4:5]
	v_add_f64_e64 v[4:5], v[178:179], -v[6:7]
	scratch_store_b128 off, v[2:5], off offset:640
	s_wait_xcnt 0x0
	v_cmpx_lt_u32_e32 39, v1
	s_cbranch_execz .LBB122_289
; %bb.288:
	scratch_load_b128 v[2:5], off, s36
	v_mov_b32_e32 v10, 0
	s_delay_alu instid0(VALU_DEP_1)
	v_dual_mov_b32 v11, v10 :: v_dual_mov_b32 v12, v10
	v_mov_b32_e32 v13, v10
	scratch_store_b128 off, v[10:13], off offset:624
	s_wait_loadcnt 0x0
	ds_store_b128 v8, v[2:5]
.LBB122_289:
	s_wait_xcnt 0x0
	s_or_b32 exec_lo, exec_lo, s2
	s_wait_storecnt_dscnt 0x0
	s_barrier_signal -1
	s_barrier_wait -1
	s_clause 0x9
	scratch_load_b128 v[4:7], off, off offset:640
	scratch_load_b128 v[10:13], off, off offset:656
	scratch_load_b128 v[132:135], off, off offset:672
	scratch_load_b128 v[136:139], off, off offset:688
	scratch_load_b128 v[140:143], off, off offset:704
	scratch_load_b128 v[144:147], off, off offset:720
	scratch_load_b128 v[148:151], off, off offset:736
	scratch_load_b128 v[152:155], off, off offset:752
	scratch_load_b128 v[156:159], off, off offset:768
	scratch_load_b128 v[160:163], off, off offset:784
	v_mov_b32_e32 v2, 0
	s_mov_b32 s2, exec_lo
	ds_load_b128 v[164:167], v2 offset:1584
	s_clause 0x2
	scratch_load_b128 v[168:171], off, off offset:800
	scratch_load_b128 v[172:175], off, off offset:624
	;; [unrolled: 1-line block ×3, first 2 shown]
	s_wait_loadcnt_dscnt 0xc00
	v_mul_f64_e32 v[184:185], v[166:167], v[6:7]
	v_mul_f64_e32 v[188:189], v[164:165], v[6:7]
	ds_load_b128 v[176:179], v2 offset:1600
	v_fma_f64 v[192:193], v[164:165], v[4:5], -v[184:185]
	v_fmac_f64_e32 v[188:189], v[166:167], v[4:5]
	ds_load_b128 v[4:7], v2 offset:1616
	s_wait_loadcnt_dscnt 0xb01
	v_mul_f64_e32 v[190:191], v[176:177], v[12:13]
	v_mul_f64_e32 v[12:13], v[178:179], v[12:13]
	scratch_load_b128 v[164:167], off, off offset:832
	ds_load_b128 v[184:187], v2 offset:1632
	s_wait_loadcnt_dscnt 0xb01
	v_mul_f64_e32 v[194:195], v[4:5], v[134:135]
	v_mul_f64_e32 v[134:135], v[6:7], v[134:135]
	v_add_f64_e32 v[188:189], 0, v[188:189]
	v_fmac_f64_e32 v[190:191], v[178:179], v[10:11]
	v_fma_f64 v[176:177], v[176:177], v[10:11], -v[12:13]
	v_add_f64_e32 v[178:179], 0, v[192:193]
	scratch_load_b128 v[10:13], off, off offset:848
	v_fmac_f64_e32 v[194:195], v[6:7], v[132:133]
	v_fma_f64 v[196:197], v[4:5], v[132:133], -v[134:135]
	ds_load_b128 v[4:7], v2 offset:1648
	s_wait_loadcnt_dscnt 0xb01
	v_mul_f64_e32 v[192:193], v[184:185], v[138:139]
	v_mul_f64_e32 v[138:139], v[186:187], v[138:139]
	scratch_load_b128 v[132:135], off, off offset:864
	v_add_f64_e32 v[188:189], v[188:189], v[190:191]
	v_add_f64_e32 v[198:199], v[178:179], v[176:177]
	ds_load_b128 v[176:179], v2 offset:1664
	s_wait_loadcnt_dscnt 0xb01
	v_mul_f64_e32 v[190:191], v[4:5], v[142:143]
	v_mul_f64_e32 v[142:143], v[6:7], v[142:143]
	v_fmac_f64_e32 v[192:193], v[186:187], v[136:137]
	v_fma_f64 v[184:185], v[184:185], v[136:137], -v[138:139]
	scratch_load_b128 v[136:139], off, off offset:880
	v_add_f64_e32 v[188:189], v[188:189], v[194:195]
	v_add_f64_e32 v[186:187], v[198:199], v[196:197]
	v_fmac_f64_e32 v[190:191], v[6:7], v[140:141]
	v_fma_f64 v[196:197], v[4:5], v[140:141], -v[142:143]
	ds_load_b128 v[4:7], v2 offset:1680
	s_wait_loadcnt_dscnt 0xb01
	v_mul_f64_e32 v[194:195], v[176:177], v[146:147]
	v_mul_f64_e32 v[146:147], v[178:179], v[146:147]
	scratch_load_b128 v[140:143], off, off offset:896
	v_add_f64_e32 v[188:189], v[188:189], v[192:193]
	s_wait_loadcnt_dscnt 0xb00
	v_mul_f64_e32 v[192:193], v[4:5], v[150:151]
	v_add_f64_e32 v[198:199], v[186:187], v[184:185]
	v_mul_f64_e32 v[150:151], v[6:7], v[150:151]
	ds_load_b128 v[184:187], v2 offset:1696
	v_fmac_f64_e32 v[194:195], v[178:179], v[144:145]
	v_fma_f64 v[176:177], v[176:177], v[144:145], -v[146:147]
	scratch_load_b128 v[144:147], off, off offset:912
	v_add_f64_e32 v[188:189], v[188:189], v[190:191]
	v_fmac_f64_e32 v[192:193], v[6:7], v[148:149]
	v_add_f64_e32 v[178:179], v[198:199], v[196:197]
	v_fma_f64 v[196:197], v[4:5], v[148:149], -v[150:151]
	ds_load_b128 v[4:7], v2 offset:1712
	s_wait_loadcnt_dscnt 0xb01
	v_mul_f64_e32 v[190:191], v[184:185], v[154:155]
	v_mul_f64_e32 v[154:155], v[186:187], v[154:155]
	scratch_load_b128 v[148:151], off, off offset:928
	v_add_f64_e32 v[188:189], v[188:189], v[194:195]
	s_wait_loadcnt_dscnt 0xb00
	v_mul_f64_e32 v[194:195], v[4:5], v[158:159]
	v_add_f64_e32 v[198:199], v[178:179], v[176:177]
	v_mul_f64_e32 v[158:159], v[6:7], v[158:159]
	ds_load_b128 v[176:179], v2 offset:1728
	v_fmac_f64_e32 v[190:191], v[186:187], v[152:153]
	v_fma_f64 v[152:153], v[184:185], v[152:153], -v[154:155]
	s_wait_loadcnt_dscnt 0xa00
	v_mul_f64_e32 v[186:187], v[176:177], v[162:163]
	v_mul_f64_e32 v[162:163], v[178:179], v[162:163]
	v_add_f64_e32 v[184:185], v[188:189], v[192:193]
	v_fmac_f64_e32 v[194:195], v[6:7], v[156:157]
	v_add_f64_e32 v[154:155], v[198:199], v[196:197]
	v_fma_f64 v[156:157], v[4:5], v[156:157], -v[158:159]
	v_fmac_f64_e32 v[186:187], v[178:179], v[160:161]
	v_fma_f64 v[160:161], v[176:177], v[160:161], -v[162:163]
	v_add_f64_e32 v[184:185], v[184:185], v[190:191]
	v_add_f64_e32 v[158:159], v[154:155], v[152:153]
	ds_load_b128 v[4:7], v2 offset:1744
	ds_load_b128 v[152:155], v2 offset:1760
	s_wait_loadcnt_dscnt 0x901
	v_mul_f64_e32 v[188:189], v[4:5], v[170:171]
	v_mul_f64_e32 v[170:171], v[6:7], v[170:171]
	s_wait_loadcnt_dscnt 0x700
	v_mul_f64_e32 v[162:163], v[152:153], v[182:183]
	v_mul_f64_e32 v[176:177], v[154:155], v[182:183]
	v_add_f64_e32 v[156:157], v[158:159], v[156:157]
	v_add_f64_e32 v[158:159], v[184:185], v[194:195]
	v_fmac_f64_e32 v[188:189], v[6:7], v[168:169]
	v_fma_f64 v[168:169], v[4:5], v[168:169], -v[170:171]
	v_fmac_f64_e32 v[162:163], v[154:155], v[180:181]
	v_fma_f64 v[152:153], v[152:153], v[180:181], -v[176:177]
	v_add_f64_e32 v[160:161], v[156:157], v[160:161]
	v_add_f64_e32 v[170:171], v[158:159], v[186:187]
	ds_load_b128 v[4:7], v2 offset:1776
	ds_load_b128 v[156:159], v2 offset:1792
	s_wait_loadcnt_dscnt 0x601
	v_mul_f64_e32 v[178:179], v[4:5], v[166:167]
	v_mul_f64_e32 v[166:167], v[6:7], v[166:167]
	v_add_f64_e32 v[154:155], v[160:161], v[168:169]
	v_add_f64_e32 v[160:161], v[170:171], v[188:189]
	s_wait_loadcnt_dscnt 0x500
	v_mul_f64_e32 v[168:169], v[156:157], v[12:13]
	v_mul_f64_e32 v[12:13], v[158:159], v[12:13]
	v_fmac_f64_e32 v[178:179], v[6:7], v[164:165]
	v_fma_f64 v[164:165], v[4:5], v[164:165], -v[166:167]
	v_add_f64_e32 v[166:167], v[154:155], v[152:153]
	v_add_f64_e32 v[160:161], v[160:161], v[162:163]
	ds_load_b128 v[4:7], v2 offset:1808
	ds_load_b128 v[152:155], v2 offset:1824
	v_fmac_f64_e32 v[168:169], v[158:159], v[10:11]
	v_fma_f64 v[10:11], v[156:157], v[10:11], -v[12:13]
	s_wait_loadcnt_dscnt 0x401
	v_mul_f64_e32 v[162:163], v[4:5], v[134:135]
	v_mul_f64_e32 v[134:135], v[6:7], v[134:135]
	s_wait_loadcnt_dscnt 0x300
	v_mul_f64_e32 v[158:159], v[152:153], v[138:139]
	v_mul_f64_e32 v[138:139], v[154:155], v[138:139]
	v_add_f64_e32 v[12:13], v[166:167], v[164:165]
	v_add_f64_e32 v[156:157], v[160:161], v[178:179]
	v_fmac_f64_e32 v[162:163], v[6:7], v[132:133]
	v_fma_f64 v[132:133], v[4:5], v[132:133], -v[134:135]
	v_fmac_f64_e32 v[158:159], v[154:155], v[136:137]
	v_fma_f64 v[136:137], v[152:153], v[136:137], -v[138:139]
	v_add_f64_e32 v[134:135], v[12:13], v[10:11]
	v_add_f64_e32 v[156:157], v[156:157], v[168:169]
	ds_load_b128 v[4:7], v2 offset:1840
	ds_load_b128 v[10:13], v2 offset:1856
	s_wait_loadcnt_dscnt 0x201
	v_mul_f64_e32 v[160:161], v[4:5], v[142:143]
	v_mul_f64_e32 v[142:143], v[6:7], v[142:143]
	s_wait_loadcnt_dscnt 0x100
	v_mul_f64_e32 v[138:139], v[10:11], v[146:147]
	v_mul_f64_e32 v[146:147], v[12:13], v[146:147]
	v_add_f64_e32 v[132:133], v[134:135], v[132:133]
	v_add_f64_e32 v[134:135], v[156:157], v[162:163]
	v_fmac_f64_e32 v[160:161], v[6:7], v[140:141]
	v_fma_f64 v[140:141], v[4:5], v[140:141], -v[142:143]
	ds_load_b128 v[4:7], v2 offset:1872
	v_fmac_f64_e32 v[138:139], v[12:13], v[144:145]
	v_fma_f64 v[10:11], v[10:11], v[144:145], -v[146:147]
	v_add_f64_e32 v[132:133], v[132:133], v[136:137]
	v_add_f64_e32 v[134:135], v[134:135], v[158:159]
	s_wait_loadcnt_dscnt 0x0
	v_mul_f64_e32 v[136:137], v[4:5], v[150:151]
	v_mul_f64_e32 v[142:143], v[6:7], v[150:151]
	s_delay_alu instid0(VALU_DEP_4) | instskip(NEXT) | instid1(VALU_DEP_4)
	v_add_f64_e32 v[12:13], v[132:133], v[140:141]
	v_add_f64_e32 v[132:133], v[134:135], v[160:161]
	s_delay_alu instid0(VALU_DEP_4) | instskip(NEXT) | instid1(VALU_DEP_4)
	v_fmac_f64_e32 v[136:137], v[6:7], v[148:149]
	v_fma_f64 v[4:5], v[4:5], v[148:149], -v[142:143]
	s_delay_alu instid0(VALU_DEP_4) | instskip(NEXT) | instid1(VALU_DEP_4)
	v_add_f64_e32 v[6:7], v[12:13], v[10:11]
	v_add_f64_e32 v[10:11], v[132:133], v[138:139]
	s_delay_alu instid0(VALU_DEP_2) | instskip(NEXT) | instid1(VALU_DEP_2)
	v_add_f64_e32 v[4:5], v[6:7], v[4:5]
	v_add_f64_e32 v[6:7], v[10:11], v[136:137]
	s_delay_alu instid0(VALU_DEP_2) | instskip(NEXT) | instid1(VALU_DEP_2)
	v_add_f64_e64 v[4:5], v[172:173], -v[4:5]
	v_add_f64_e64 v[6:7], v[174:175], -v[6:7]
	scratch_store_b128 off, v[4:7], off offset:624
	s_wait_xcnt 0x0
	v_cmpx_lt_u32_e32 38, v1
	s_cbranch_execz .LBB122_291
; %bb.290:
	scratch_load_b128 v[10:13], off, s37
	v_dual_mov_b32 v3, v2 :: v_dual_mov_b32 v4, v2
	v_mov_b32_e32 v5, v2
	scratch_store_b128 off, v[2:5], off offset:608
	s_wait_loadcnt 0x0
	ds_store_b128 v8, v[10:13]
.LBB122_291:
	s_wait_xcnt 0x0
	s_or_b32 exec_lo, exec_lo, s2
	s_wait_storecnt_dscnt 0x0
	s_barrier_signal -1
	s_barrier_wait -1
	s_clause 0x9
	scratch_load_b128 v[4:7], off, off offset:624
	scratch_load_b128 v[10:13], off, off offset:640
	;; [unrolled: 1-line block ×10, first 2 shown]
	ds_load_b128 v[164:167], v2 offset:1568
	ds_load_b128 v[172:175], v2 offset:1584
	s_clause 0x2
	scratch_load_b128 v[168:171], off, off offset:784
	scratch_load_b128 v[176:179], off, off offset:608
	;; [unrolled: 1-line block ×3, first 2 shown]
	s_mov_b32 s2, exec_lo
	s_wait_loadcnt_dscnt 0xc01
	v_mul_f64_e32 v[184:185], v[166:167], v[6:7]
	v_mul_f64_e32 v[188:189], v[164:165], v[6:7]
	s_wait_loadcnt_dscnt 0xb00
	v_mul_f64_e32 v[190:191], v[172:173], v[12:13]
	v_mul_f64_e32 v[12:13], v[174:175], v[12:13]
	s_delay_alu instid0(VALU_DEP_4) | instskip(NEXT) | instid1(VALU_DEP_4)
	v_fma_f64 v[192:193], v[164:165], v[4:5], -v[184:185]
	v_fmac_f64_e32 v[188:189], v[166:167], v[4:5]
	ds_load_b128 v[4:7], v2 offset:1600
	ds_load_b128 v[164:167], v2 offset:1616
	scratch_load_b128 v[184:187], off, off offset:816
	v_fmac_f64_e32 v[190:191], v[174:175], v[10:11]
	v_fma_f64 v[172:173], v[172:173], v[10:11], -v[12:13]
	scratch_load_b128 v[10:13], off, off offset:832
	s_wait_loadcnt_dscnt 0xc01
	v_mul_f64_e32 v[194:195], v[4:5], v[134:135]
	v_mul_f64_e32 v[134:135], v[6:7], v[134:135]
	v_add_f64_e32 v[174:175], 0, v[192:193]
	v_add_f64_e32 v[188:189], 0, v[188:189]
	s_wait_loadcnt_dscnt 0xb00
	v_mul_f64_e32 v[192:193], v[164:165], v[138:139]
	v_mul_f64_e32 v[138:139], v[166:167], v[138:139]
	v_fmac_f64_e32 v[194:195], v[6:7], v[132:133]
	v_fma_f64 v[196:197], v[4:5], v[132:133], -v[134:135]
	ds_load_b128 v[4:7], v2 offset:1632
	ds_load_b128 v[132:135], v2 offset:1648
	v_add_f64_e32 v[198:199], v[174:175], v[172:173]
	v_add_f64_e32 v[188:189], v[188:189], v[190:191]
	scratch_load_b128 v[172:175], off, off offset:848
	v_fmac_f64_e32 v[192:193], v[166:167], v[136:137]
	v_fma_f64 v[164:165], v[164:165], v[136:137], -v[138:139]
	scratch_load_b128 v[136:139], off, off offset:864
	s_wait_loadcnt_dscnt 0xc01
	v_mul_f64_e32 v[190:191], v[4:5], v[142:143]
	v_mul_f64_e32 v[142:143], v[6:7], v[142:143]
	v_add_f64_e32 v[166:167], v[198:199], v[196:197]
	v_add_f64_e32 v[188:189], v[188:189], v[194:195]
	s_wait_loadcnt_dscnt 0xb00
	v_mul_f64_e32 v[194:195], v[132:133], v[146:147]
	v_mul_f64_e32 v[146:147], v[134:135], v[146:147]
	v_fmac_f64_e32 v[190:191], v[6:7], v[140:141]
	v_fma_f64 v[196:197], v[4:5], v[140:141], -v[142:143]
	ds_load_b128 v[4:7], v2 offset:1664
	ds_load_b128 v[140:143], v2 offset:1680
	v_add_f64_e32 v[198:199], v[166:167], v[164:165]
	v_add_f64_e32 v[188:189], v[188:189], v[192:193]
	scratch_load_b128 v[164:167], off, off offset:880
	s_wait_loadcnt_dscnt 0xb01
	v_mul_f64_e32 v[192:193], v[4:5], v[150:151]
	v_mul_f64_e32 v[150:151], v[6:7], v[150:151]
	v_fmac_f64_e32 v[194:195], v[134:135], v[144:145]
	v_fma_f64 v[144:145], v[132:133], v[144:145], -v[146:147]
	scratch_load_b128 v[132:135], off, off offset:896
	v_add_f64_e32 v[146:147], v[198:199], v[196:197]
	v_add_f64_e32 v[188:189], v[188:189], v[190:191]
	s_wait_loadcnt_dscnt 0xb00
	v_mul_f64_e32 v[190:191], v[140:141], v[154:155]
	v_mul_f64_e32 v[154:155], v[142:143], v[154:155]
	v_fmac_f64_e32 v[192:193], v[6:7], v[148:149]
	v_fma_f64 v[196:197], v[4:5], v[148:149], -v[150:151]
	v_add_f64_e32 v[198:199], v[146:147], v[144:145]
	v_add_f64_e32 v[188:189], v[188:189], v[194:195]
	ds_load_b128 v[4:7], v2 offset:1696
	ds_load_b128 v[144:147], v2 offset:1712
	scratch_load_b128 v[148:151], off, off offset:912
	v_fmac_f64_e32 v[190:191], v[142:143], v[152:153]
	v_fma_f64 v[152:153], v[140:141], v[152:153], -v[154:155]
	scratch_load_b128 v[140:143], off, off offset:928
	s_wait_loadcnt_dscnt 0xc01
	v_mul_f64_e32 v[194:195], v[4:5], v[158:159]
	v_mul_f64_e32 v[158:159], v[6:7], v[158:159]
	v_add_f64_e32 v[154:155], v[198:199], v[196:197]
	v_add_f64_e32 v[188:189], v[188:189], v[192:193]
	s_wait_loadcnt_dscnt 0xb00
	v_mul_f64_e32 v[192:193], v[144:145], v[162:163]
	v_mul_f64_e32 v[162:163], v[146:147], v[162:163]
	v_fmac_f64_e32 v[194:195], v[6:7], v[156:157]
	v_fma_f64 v[156:157], v[4:5], v[156:157], -v[158:159]
	v_add_f64_e32 v[158:159], v[154:155], v[152:153]
	v_add_f64_e32 v[188:189], v[188:189], v[190:191]
	ds_load_b128 v[4:7], v2 offset:1728
	ds_load_b128 v[152:155], v2 offset:1744
	v_fmac_f64_e32 v[192:193], v[146:147], v[160:161]
	v_fma_f64 v[144:145], v[144:145], v[160:161], -v[162:163]
	s_wait_loadcnt_dscnt 0xa01
	v_mul_f64_e32 v[190:191], v[4:5], v[170:171]
	v_mul_f64_e32 v[170:171], v[6:7], v[170:171]
	s_wait_loadcnt_dscnt 0x800
	v_mul_f64_e32 v[160:161], v[154:155], v[182:183]
	v_add_f64_e32 v[146:147], v[158:159], v[156:157]
	v_add_f64_e32 v[156:157], v[188:189], v[194:195]
	v_mul_f64_e32 v[158:159], v[152:153], v[182:183]
	v_fmac_f64_e32 v[190:191], v[6:7], v[168:169]
	v_fma_f64 v[162:163], v[4:5], v[168:169], -v[170:171]
	v_fma_f64 v[152:153], v[152:153], v[180:181], -v[160:161]
	v_add_f64_e32 v[168:169], v[146:147], v[144:145]
	v_add_f64_e32 v[156:157], v[156:157], v[192:193]
	ds_load_b128 v[4:7], v2 offset:1760
	ds_load_b128 v[144:147], v2 offset:1776
	v_fmac_f64_e32 v[158:159], v[154:155], v[180:181]
	s_wait_loadcnt_dscnt 0x701
	v_mul_f64_e32 v[170:171], v[4:5], v[186:187]
	v_mul_f64_e32 v[182:183], v[6:7], v[186:187]
	s_wait_loadcnt_dscnt 0x600
	v_mul_f64_e32 v[160:161], v[144:145], v[12:13]
	v_mul_f64_e32 v[12:13], v[146:147], v[12:13]
	v_add_f64_e32 v[154:155], v[168:169], v[162:163]
	v_add_f64_e32 v[156:157], v[156:157], v[190:191]
	v_fmac_f64_e32 v[170:171], v[6:7], v[184:185]
	v_fma_f64 v[162:163], v[4:5], v[184:185], -v[182:183]
	v_fmac_f64_e32 v[160:161], v[146:147], v[10:11]
	v_fma_f64 v[10:11], v[144:145], v[10:11], -v[12:13]
	v_add_f64_e32 v[168:169], v[154:155], v[152:153]
	v_add_f64_e32 v[156:157], v[156:157], v[158:159]
	ds_load_b128 v[4:7], v2 offset:1792
	ds_load_b128 v[152:155], v2 offset:1808
	s_wait_loadcnt_dscnt 0x501
	v_mul_f64_e32 v[158:159], v[4:5], v[174:175]
	v_mul_f64_e32 v[174:175], v[6:7], v[174:175]
	s_wait_loadcnt_dscnt 0x400
	v_mul_f64_e32 v[146:147], v[152:153], v[138:139]
	v_mul_f64_e32 v[138:139], v[154:155], v[138:139]
	v_add_f64_e32 v[12:13], v[168:169], v[162:163]
	v_add_f64_e32 v[144:145], v[156:157], v[170:171]
	v_fmac_f64_e32 v[158:159], v[6:7], v[172:173]
	v_fma_f64 v[156:157], v[4:5], v[172:173], -v[174:175]
	v_fmac_f64_e32 v[146:147], v[154:155], v[136:137]
	v_fma_f64 v[136:137], v[152:153], v[136:137], -v[138:139]
	v_add_f64_e32 v[162:163], v[12:13], v[10:11]
	v_add_f64_e32 v[144:145], v[144:145], v[160:161]
	ds_load_b128 v[4:7], v2 offset:1824
	ds_load_b128 v[10:13], v2 offset:1840
	;; [unrolled: 16-line block ×3, first 2 shown]
	s_wait_loadcnt_dscnt 0x101
	v_mul_f64_e32 v[2:3], v[4:5], v[150:151]
	v_mul_f64_e32 v[146:147], v[6:7], v[150:151]
	v_add_f64_e32 v[12:13], v[138:139], v[156:157]
	v_add_f64_e32 v[132:133], v[144:145], v[160:161]
	s_wait_loadcnt_dscnt 0x0
	v_mul_f64_e32 v[138:139], v[134:135], v[142:143]
	v_mul_f64_e32 v[142:143], v[136:137], v[142:143]
	v_fmac_f64_e32 v[2:3], v[6:7], v[148:149]
	v_fma_f64 v[4:5], v[4:5], v[148:149], -v[146:147]
	v_add_f64_e32 v[6:7], v[12:13], v[10:11]
	v_add_f64_e32 v[10:11], v[132:133], v[152:153]
	v_fmac_f64_e32 v[138:139], v[136:137], v[140:141]
	v_fma_f64 v[12:13], v[134:135], v[140:141], -v[142:143]
	s_delay_alu instid0(VALU_DEP_4) | instskip(NEXT) | instid1(VALU_DEP_4)
	v_add_f64_e32 v[4:5], v[6:7], v[4:5]
	v_add_f64_e32 v[2:3], v[10:11], v[2:3]
	s_delay_alu instid0(VALU_DEP_2) | instskip(NEXT) | instid1(VALU_DEP_2)
	v_add_f64_e32 v[4:5], v[4:5], v[12:13]
	v_add_f64_e32 v[6:7], v[2:3], v[138:139]
	s_delay_alu instid0(VALU_DEP_2) | instskip(NEXT) | instid1(VALU_DEP_2)
	v_add_f64_e64 v[2:3], v[176:177], -v[4:5]
	v_add_f64_e64 v[4:5], v[178:179], -v[6:7]
	scratch_store_b128 off, v[2:5], off offset:608
	s_wait_xcnt 0x0
	v_cmpx_lt_u32_e32 37, v1
	s_cbranch_execz .LBB122_293
; %bb.292:
	scratch_load_b128 v[2:5], off, s38
	v_mov_b32_e32 v10, 0
	s_delay_alu instid0(VALU_DEP_1)
	v_dual_mov_b32 v11, v10 :: v_dual_mov_b32 v12, v10
	v_mov_b32_e32 v13, v10
	scratch_store_b128 off, v[10:13], off offset:592
	s_wait_loadcnt 0x0
	ds_store_b128 v8, v[2:5]
.LBB122_293:
	s_wait_xcnt 0x0
	s_or_b32 exec_lo, exec_lo, s2
	s_wait_storecnt_dscnt 0x0
	s_barrier_signal -1
	s_barrier_wait -1
	s_clause 0x9
	scratch_load_b128 v[4:7], off, off offset:608
	scratch_load_b128 v[10:13], off, off offset:624
	;; [unrolled: 1-line block ×10, first 2 shown]
	v_mov_b32_e32 v2, 0
	s_mov_b32 s2, exec_lo
	ds_load_b128 v[164:167], v2 offset:1552
	s_clause 0x2
	scratch_load_b128 v[168:171], off, off offset:768
	scratch_load_b128 v[172:175], off, off offset:592
	;; [unrolled: 1-line block ×3, first 2 shown]
	s_wait_loadcnt_dscnt 0xc00
	v_mul_f64_e32 v[184:185], v[166:167], v[6:7]
	v_mul_f64_e32 v[188:189], v[164:165], v[6:7]
	ds_load_b128 v[176:179], v2 offset:1568
	v_fma_f64 v[192:193], v[164:165], v[4:5], -v[184:185]
	v_fmac_f64_e32 v[188:189], v[166:167], v[4:5]
	ds_load_b128 v[4:7], v2 offset:1584
	s_wait_loadcnt_dscnt 0xb01
	v_mul_f64_e32 v[190:191], v[176:177], v[12:13]
	v_mul_f64_e32 v[12:13], v[178:179], v[12:13]
	scratch_load_b128 v[164:167], off, off offset:800
	ds_load_b128 v[184:187], v2 offset:1600
	s_wait_loadcnt_dscnt 0xb01
	v_mul_f64_e32 v[194:195], v[4:5], v[134:135]
	v_mul_f64_e32 v[134:135], v[6:7], v[134:135]
	v_add_f64_e32 v[188:189], 0, v[188:189]
	v_fmac_f64_e32 v[190:191], v[178:179], v[10:11]
	v_fma_f64 v[176:177], v[176:177], v[10:11], -v[12:13]
	v_add_f64_e32 v[178:179], 0, v[192:193]
	scratch_load_b128 v[10:13], off, off offset:816
	v_fmac_f64_e32 v[194:195], v[6:7], v[132:133]
	v_fma_f64 v[196:197], v[4:5], v[132:133], -v[134:135]
	ds_load_b128 v[4:7], v2 offset:1616
	s_wait_loadcnt_dscnt 0xb01
	v_mul_f64_e32 v[192:193], v[184:185], v[138:139]
	v_mul_f64_e32 v[138:139], v[186:187], v[138:139]
	scratch_load_b128 v[132:135], off, off offset:832
	v_add_f64_e32 v[188:189], v[188:189], v[190:191]
	v_add_f64_e32 v[198:199], v[178:179], v[176:177]
	ds_load_b128 v[176:179], v2 offset:1632
	s_wait_loadcnt_dscnt 0xb01
	v_mul_f64_e32 v[190:191], v[4:5], v[142:143]
	v_mul_f64_e32 v[142:143], v[6:7], v[142:143]
	v_fmac_f64_e32 v[192:193], v[186:187], v[136:137]
	v_fma_f64 v[184:185], v[184:185], v[136:137], -v[138:139]
	scratch_load_b128 v[136:139], off, off offset:848
	v_add_f64_e32 v[188:189], v[188:189], v[194:195]
	v_add_f64_e32 v[186:187], v[198:199], v[196:197]
	v_fmac_f64_e32 v[190:191], v[6:7], v[140:141]
	v_fma_f64 v[196:197], v[4:5], v[140:141], -v[142:143]
	ds_load_b128 v[4:7], v2 offset:1648
	s_wait_loadcnt_dscnt 0xb01
	v_mul_f64_e32 v[194:195], v[176:177], v[146:147]
	v_mul_f64_e32 v[146:147], v[178:179], v[146:147]
	scratch_load_b128 v[140:143], off, off offset:864
	v_add_f64_e32 v[188:189], v[188:189], v[192:193]
	s_wait_loadcnt_dscnt 0xb00
	v_mul_f64_e32 v[192:193], v[4:5], v[150:151]
	v_add_f64_e32 v[198:199], v[186:187], v[184:185]
	v_mul_f64_e32 v[150:151], v[6:7], v[150:151]
	ds_load_b128 v[184:187], v2 offset:1664
	v_fmac_f64_e32 v[194:195], v[178:179], v[144:145]
	v_fma_f64 v[176:177], v[176:177], v[144:145], -v[146:147]
	scratch_load_b128 v[144:147], off, off offset:880
	v_add_f64_e32 v[188:189], v[188:189], v[190:191]
	v_fmac_f64_e32 v[192:193], v[6:7], v[148:149]
	v_add_f64_e32 v[178:179], v[198:199], v[196:197]
	v_fma_f64 v[196:197], v[4:5], v[148:149], -v[150:151]
	ds_load_b128 v[4:7], v2 offset:1680
	s_wait_loadcnt_dscnt 0xb01
	v_mul_f64_e32 v[190:191], v[184:185], v[154:155]
	v_mul_f64_e32 v[154:155], v[186:187], v[154:155]
	scratch_load_b128 v[148:151], off, off offset:896
	v_add_f64_e32 v[188:189], v[188:189], v[194:195]
	s_wait_loadcnt_dscnt 0xb00
	v_mul_f64_e32 v[194:195], v[4:5], v[158:159]
	v_add_f64_e32 v[198:199], v[178:179], v[176:177]
	v_mul_f64_e32 v[158:159], v[6:7], v[158:159]
	ds_load_b128 v[176:179], v2 offset:1696
	v_fmac_f64_e32 v[190:191], v[186:187], v[152:153]
	v_fma_f64 v[184:185], v[184:185], v[152:153], -v[154:155]
	scratch_load_b128 v[152:155], off, off offset:912
	v_add_f64_e32 v[188:189], v[188:189], v[192:193]
	v_fmac_f64_e32 v[194:195], v[6:7], v[156:157]
	v_add_f64_e32 v[186:187], v[198:199], v[196:197]
	v_fma_f64 v[196:197], v[4:5], v[156:157], -v[158:159]
	ds_load_b128 v[4:7], v2 offset:1712
	s_wait_loadcnt_dscnt 0xb01
	v_mul_f64_e32 v[192:193], v[176:177], v[162:163]
	v_mul_f64_e32 v[162:163], v[178:179], v[162:163]
	scratch_load_b128 v[156:159], off, off offset:928
	v_add_f64_e32 v[188:189], v[188:189], v[190:191]
	s_wait_loadcnt_dscnt 0xb00
	v_mul_f64_e32 v[190:191], v[4:5], v[170:171]
	v_add_f64_e32 v[198:199], v[186:187], v[184:185]
	v_mul_f64_e32 v[170:171], v[6:7], v[170:171]
	ds_load_b128 v[184:187], v2 offset:1728
	v_fmac_f64_e32 v[192:193], v[178:179], v[160:161]
	v_fma_f64 v[160:161], v[176:177], v[160:161], -v[162:163]
	s_wait_loadcnt_dscnt 0x900
	v_mul_f64_e32 v[178:179], v[184:185], v[182:183]
	v_mul_f64_e32 v[182:183], v[186:187], v[182:183]
	v_add_f64_e32 v[176:177], v[188:189], v[194:195]
	v_fmac_f64_e32 v[190:191], v[6:7], v[168:169]
	v_add_f64_e32 v[162:163], v[198:199], v[196:197]
	v_fma_f64 v[168:169], v[4:5], v[168:169], -v[170:171]
	v_fmac_f64_e32 v[178:179], v[186:187], v[180:181]
	v_fma_f64 v[180:181], v[184:185], v[180:181], -v[182:183]
	v_add_f64_e32 v[176:177], v[176:177], v[192:193]
	v_add_f64_e32 v[170:171], v[162:163], v[160:161]
	ds_load_b128 v[4:7], v2 offset:1744
	ds_load_b128 v[160:163], v2 offset:1760
	s_wait_loadcnt_dscnt 0x801
	v_mul_f64_e32 v[188:189], v[4:5], v[166:167]
	v_mul_f64_e32 v[166:167], v[6:7], v[166:167]
	v_add_f64_e32 v[168:169], v[170:171], v[168:169]
	v_add_f64_e32 v[170:171], v[176:177], v[190:191]
	s_wait_loadcnt_dscnt 0x700
	v_mul_f64_e32 v[176:177], v[160:161], v[12:13]
	v_mul_f64_e32 v[12:13], v[162:163], v[12:13]
	v_fmac_f64_e32 v[188:189], v[6:7], v[164:165]
	v_fma_f64 v[182:183], v[4:5], v[164:165], -v[166:167]
	ds_load_b128 v[4:7], v2 offset:1776
	ds_load_b128 v[164:167], v2 offset:1792
	v_add_f64_e32 v[168:169], v[168:169], v[180:181]
	v_add_f64_e32 v[170:171], v[170:171], v[178:179]
	v_fmac_f64_e32 v[176:177], v[162:163], v[10:11]
	v_fma_f64 v[10:11], v[160:161], v[10:11], -v[12:13]
	s_wait_loadcnt_dscnt 0x601
	v_mul_f64_e32 v[178:179], v[4:5], v[134:135]
	v_mul_f64_e32 v[134:135], v[6:7], v[134:135]
	s_wait_loadcnt_dscnt 0x500
	v_mul_f64_e32 v[162:163], v[164:165], v[138:139]
	v_mul_f64_e32 v[138:139], v[166:167], v[138:139]
	v_add_f64_e32 v[12:13], v[168:169], v[182:183]
	v_add_f64_e32 v[160:161], v[170:171], v[188:189]
	v_fmac_f64_e32 v[178:179], v[6:7], v[132:133]
	v_fma_f64 v[132:133], v[4:5], v[132:133], -v[134:135]
	v_fmac_f64_e32 v[162:163], v[166:167], v[136:137]
	v_fma_f64 v[136:137], v[164:165], v[136:137], -v[138:139]
	v_add_f64_e32 v[134:135], v[12:13], v[10:11]
	v_add_f64_e32 v[160:161], v[160:161], v[176:177]
	ds_load_b128 v[4:7], v2 offset:1808
	ds_load_b128 v[10:13], v2 offset:1824
	s_wait_loadcnt_dscnt 0x401
	v_mul_f64_e32 v[168:169], v[4:5], v[142:143]
	v_mul_f64_e32 v[142:143], v[6:7], v[142:143]
	s_wait_loadcnt_dscnt 0x300
	v_mul_f64_e32 v[138:139], v[10:11], v[146:147]
	v_mul_f64_e32 v[146:147], v[12:13], v[146:147]
	v_add_f64_e32 v[132:133], v[134:135], v[132:133]
	v_add_f64_e32 v[134:135], v[160:161], v[178:179]
	v_fmac_f64_e32 v[168:169], v[6:7], v[140:141]
	v_fma_f64 v[140:141], v[4:5], v[140:141], -v[142:143]
	v_fmac_f64_e32 v[138:139], v[12:13], v[144:145]
	v_fma_f64 v[10:11], v[10:11], v[144:145], -v[146:147]
	v_add_f64_e32 v[136:137], v[132:133], v[136:137]
	v_add_f64_e32 v[142:143], v[134:135], v[162:163]
	ds_load_b128 v[4:7], v2 offset:1840
	ds_load_b128 v[132:135], v2 offset:1856
	s_wait_loadcnt_dscnt 0x201
	v_mul_f64_e32 v[160:161], v[4:5], v[150:151]
	v_mul_f64_e32 v[150:151], v[6:7], v[150:151]
	v_add_f64_e32 v[12:13], v[136:137], v[140:141]
	v_add_f64_e32 v[136:137], v[142:143], v[168:169]
	s_wait_loadcnt_dscnt 0x100
	v_mul_f64_e32 v[140:141], v[132:133], v[154:155]
	v_mul_f64_e32 v[142:143], v[134:135], v[154:155]
	v_fmac_f64_e32 v[160:161], v[6:7], v[148:149]
	v_fma_f64 v[144:145], v[4:5], v[148:149], -v[150:151]
	ds_load_b128 v[4:7], v2 offset:1872
	v_add_f64_e32 v[10:11], v[12:13], v[10:11]
	v_add_f64_e32 v[12:13], v[136:137], v[138:139]
	v_fmac_f64_e32 v[140:141], v[134:135], v[152:153]
	v_fma_f64 v[132:133], v[132:133], v[152:153], -v[142:143]
	s_wait_loadcnt_dscnt 0x0
	v_mul_f64_e32 v[136:137], v[4:5], v[158:159]
	v_mul_f64_e32 v[138:139], v[6:7], v[158:159]
	v_add_f64_e32 v[10:11], v[10:11], v[144:145]
	v_add_f64_e32 v[12:13], v[12:13], v[160:161]
	s_delay_alu instid0(VALU_DEP_4) | instskip(NEXT) | instid1(VALU_DEP_4)
	v_fmac_f64_e32 v[136:137], v[6:7], v[156:157]
	v_fma_f64 v[4:5], v[4:5], v[156:157], -v[138:139]
	s_delay_alu instid0(VALU_DEP_4) | instskip(NEXT) | instid1(VALU_DEP_4)
	v_add_f64_e32 v[6:7], v[10:11], v[132:133]
	v_add_f64_e32 v[10:11], v[12:13], v[140:141]
	s_delay_alu instid0(VALU_DEP_2) | instskip(NEXT) | instid1(VALU_DEP_2)
	v_add_f64_e32 v[4:5], v[6:7], v[4:5]
	v_add_f64_e32 v[6:7], v[10:11], v[136:137]
	s_delay_alu instid0(VALU_DEP_2) | instskip(NEXT) | instid1(VALU_DEP_2)
	v_add_f64_e64 v[4:5], v[172:173], -v[4:5]
	v_add_f64_e64 v[6:7], v[174:175], -v[6:7]
	scratch_store_b128 off, v[4:7], off offset:592
	s_wait_xcnt 0x0
	v_cmpx_lt_u32_e32 36, v1
	s_cbranch_execz .LBB122_295
; %bb.294:
	scratch_load_b128 v[10:13], off, s39
	v_dual_mov_b32 v3, v2 :: v_dual_mov_b32 v4, v2
	v_mov_b32_e32 v5, v2
	scratch_store_b128 off, v[2:5], off offset:576
	s_wait_loadcnt 0x0
	ds_store_b128 v8, v[10:13]
.LBB122_295:
	s_wait_xcnt 0x0
	s_or_b32 exec_lo, exec_lo, s2
	s_wait_storecnt_dscnt 0x0
	s_barrier_signal -1
	s_barrier_wait -1
	s_clause 0x9
	scratch_load_b128 v[4:7], off, off offset:592
	scratch_load_b128 v[10:13], off, off offset:608
	scratch_load_b128 v[132:135], off, off offset:624
	scratch_load_b128 v[136:139], off, off offset:640
	scratch_load_b128 v[140:143], off, off offset:656
	scratch_load_b128 v[144:147], off, off offset:672
	scratch_load_b128 v[148:151], off, off offset:688
	scratch_load_b128 v[152:155], off, off offset:704
	scratch_load_b128 v[156:159], off, off offset:720
	scratch_load_b128 v[160:163], off, off offset:736
	ds_load_b128 v[164:167], v2 offset:1536
	ds_load_b128 v[172:175], v2 offset:1552
	s_clause 0x2
	scratch_load_b128 v[168:171], off, off offset:752
	scratch_load_b128 v[176:179], off, off offset:576
	;; [unrolled: 1-line block ×3, first 2 shown]
	s_mov_b32 s2, exec_lo
	s_wait_loadcnt_dscnt 0xc01
	v_mul_f64_e32 v[184:185], v[166:167], v[6:7]
	v_mul_f64_e32 v[188:189], v[164:165], v[6:7]
	s_wait_loadcnt_dscnt 0xb00
	v_mul_f64_e32 v[190:191], v[172:173], v[12:13]
	v_mul_f64_e32 v[12:13], v[174:175], v[12:13]
	s_delay_alu instid0(VALU_DEP_4) | instskip(NEXT) | instid1(VALU_DEP_4)
	v_fma_f64 v[192:193], v[164:165], v[4:5], -v[184:185]
	v_fmac_f64_e32 v[188:189], v[166:167], v[4:5]
	ds_load_b128 v[4:7], v2 offset:1568
	ds_load_b128 v[164:167], v2 offset:1584
	scratch_load_b128 v[184:187], off, off offset:784
	v_fmac_f64_e32 v[190:191], v[174:175], v[10:11]
	v_fma_f64 v[172:173], v[172:173], v[10:11], -v[12:13]
	scratch_load_b128 v[10:13], off, off offset:800
	s_wait_loadcnt_dscnt 0xc01
	v_mul_f64_e32 v[194:195], v[4:5], v[134:135]
	v_mul_f64_e32 v[134:135], v[6:7], v[134:135]
	v_add_f64_e32 v[174:175], 0, v[192:193]
	v_add_f64_e32 v[188:189], 0, v[188:189]
	s_wait_loadcnt_dscnt 0xb00
	v_mul_f64_e32 v[192:193], v[164:165], v[138:139]
	v_mul_f64_e32 v[138:139], v[166:167], v[138:139]
	v_fmac_f64_e32 v[194:195], v[6:7], v[132:133]
	v_fma_f64 v[196:197], v[4:5], v[132:133], -v[134:135]
	ds_load_b128 v[4:7], v2 offset:1600
	ds_load_b128 v[132:135], v2 offset:1616
	v_add_f64_e32 v[198:199], v[174:175], v[172:173]
	v_add_f64_e32 v[188:189], v[188:189], v[190:191]
	scratch_load_b128 v[172:175], off, off offset:816
	v_fmac_f64_e32 v[192:193], v[166:167], v[136:137]
	v_fma_f64 v[164:165], v[164:165], v[136:137], -v[138:139]
	scratch_load_b128 v[136:139], off, off offset:832
	s_wait_loadcnt_dscnt 0xc01
	v_mul_f64_e32 v[190:191], v[4:5], v[142:143]
	v_mul_f64_e32 v[142:143], v[6:7], v[142:143]
	v_add_f64_e32 v[166:167], v[198:199], v[196:197]
	v_add_f64_e32 v[188:189], v[188:189], v[194:195]
	s_wait_loadcnt_dscnt 0xb00
	v_mul_f64_e32 v[194:195], v[132:133], v[146:147]
	v_mul_f64_e32 v[146:147], v[134:135], v[146:147]
	v_fmac_f64_e32 v[190:191], v[6:7], v[140:141]
	v_fma_f64 v[196:197], v[4:5], v[140:141], -v[142:143]
	ds_load_b128 v[4:7], v2 offset:1632
	ds_load_b128 v[140:143], v2 offset:1648
	v_add_f64_e32 v[198:199], v[166:167], v[164:165]
	v_add_f64_e32 v[188:189], v[188:189], v[192:193]
	scratch_load_b128 v[164:167], off, off offset:848
	s_wait_loadcnt_dscnt 0xb01
	v_mul_f64_e32 v[192:193], v[4:5], v[150:151]
	v_mul_f64_e32 v[150:151], v[6:7], v[150:151]
	v_fmac_f64_e32 v[194:195], v[134:135], v[144:145]
	v_fma_f64 v[144:145], v[132:133], v[144:145], -v[146:147]
	scratch_load_b128 v[132:135], off, off offset:864
	v_add_f64_e32 v[146:147], v[198:199], v[196:197]
	v_add_f64_e32 v[188:189], v[188:189], v[190:191]
	s_wait_loadcnt_dscnt 0xb00
	v_mul_f64_e32 v[190:191], v[140:141], v[154:155]
	v_mul_f64_e32 v[154:155], v[142:143], v[154:155]
	v_fmac_f64_e32 v[192:193], v[6:7], v[148:149]
	v_fma_f64 v[196:197], v[4:5], v[148:149], -v[150:151]
	v_add_f64_e32 v[198:199], v[146:147], v[144:145]
	v_add_f64_e32 v[188:189], v[188:189], v[194:195]
	ds_load_b128 v[4:7], v2 offset:1664
	ds_load_b128 v[144:147], v2 offset:1680
	scratch_load_b128 v[148:151], off, off offset:880
	v_fmac_f64_e32 v[190:191], v[142:143], v[152:153]
	v_fma_f64 v[152:153], v[140:141], v[152:153], -v[154:155]
	scratch_load_b128 v[140:143], off, off offset:896
	s_wait_loadcnt_dscnt 0xc01
	v_mul_f64_e32 v[194:195], v[4:5], v[158:159]
	v_mul_f64_e32 v[158:159], v[6:7], v[158:159]
	v_add_f64_e32 v[154:155], v[198:199], v[196:197]
	v_add_f64_e32 v[188:189], v[188:189], v[192:193]
	s_wait_loadcnt_dscnt 0xb00
	v_mul_f64_e32 v[192:193], v[144:145], v[162:163]
	v_mul_f64_e32 v[162:163], v[146:147], v[162:163]
	v_fmac_f64_e32 v[194:195], v[6:7], v[156:157]
	v_fma_f64 v[196:197], v[4:5], v[156:157], -v[158:159]
	v_add_f64_e32 v[198:199], v[154:155], v[152:153]
	v_add_f64_e32 v[188:189], v[188:189], v[190:191]
	ds_load_b128 v[4:7], v2 offset:1696
	ds_load_b128 v[152:155], v2 offset:1712
	scratch_load_b128 v[156:159], off, off offset:912
	v_fmac_f64_e32 v[192:193], v[146:147], v[160:161]
	v_fma_f64 v[160:161], v[144:145], v[160:161], -v[162:163]
	scratch_load_b128 v[144:147], off, off offset:928
	s_wait_loadcnt_dscnt 0xc01
	v_mul_f64_e32 v[190:191], v[4:5], v[170:171]
	v_mul_f64_e32 v[170:171], v[6:7], v[170:171]
	v_add_f64_e32 v[162:163], v[198:199], v[196:197]
	v_add_f64_e32 v[188:189], v[188:189], v[194:195]
	s_wait_loadcnt_dscnt 0xa00
	v_mul_f64_e32 v[194:195], v[152:153], v[182:183]
	v_mul_f64_e32 v[182:183], v[154:155], v[182:183]
	v_fmac_f64_e32 v[190:191], v[6:7], v[168:169]
	v_fma_f64 v[168:169], v[4:5], v[168:169], -v[170:171]
	v_add_f64_e32 v[170:171], v[162:163], v[160:161]
	v_add_f64_e32 v[188:189], v[188:189], v[192:193]
	ds_load_b128 v[4:7], v2 offset:1728
	ds_load_b128 v[160:163], v2 offset:1744
	v_fmac_f64_e32 v[194:195], v[154:155], v[180:181]
	v_fma_f64 v[152:153], v[152:153], v[180:181], -v[182:183]
	s_wait_loadcnt_dscnt 0x901
	v_mul_f64_e32 v[192:193], v[4:5], v[186:187]
	v_mul_f64_e32 v[186:187], v[6:7], v[186:187]
	v_add_f64_e32 v[154:155], v[170:171], v[168:169]
	v_add_f64_e32 v[168:169], v[188:189], v[190:191]
	s_wait_loadcnt_dscnt 0x800
	v_mul_f64_e32 v[170:171], v[160:161], v[12:13]
	v_mul_f64_e32 v[12:13], v[162:163], v[12:13]
	v_fmac_f64_e32 v[192:193], v[6:7], v[184:185]
	v_fma_f64 v[180:181], v[4:5], v[184:185], -v[186:187]
	v_add_f64_e32 v[182:183], v[154:155], v[152:153]
	v_add_f64_e32 v[168:169], v[168:169], v[194:195]
	ds_load_b128 v[4:7], v2 offset:1760
	ds_load_b128 v[152:155], v2 offset:1776
	v_fmac_f64_e32 v[170:171], v[162:163], v[10:11]
	v_fma_f64 v[10:11], v[160:161], v[10:11], -v[12:13]
	s_wait_loadcnt_dscnt 0x701
	v_mul_f64_e32 v[184:185], v[4:5], v[174:175]
	v_mul_f64_e32 v[174:175], v[6:7], v[174:175]
	s_wait_loadcnt_dscnt 0x600
	v_mul_f64_e32 v[162:163], v[152:153], v[138:139]
	v_mul_f64_e32 v[138:139], v[154:155], v[138:139]
	v_add_f64_e32 v[12:13], v[182:183], v[180:181]
	v_add_f64_e32 v[160:161], v[168:169], v[192:193]
	v_fmac_f64_e32 v[184:185], v[6:7], v[172:173]
	v_fma_f64 v[168:169], v[4:5], v[172:173], -v[174:175]
	v_fmac_f64_e32 v[162:163], v[154:155], v[136:137]
	v_fma_f64 v[136:137], v[152:153], v[136:137], -v[138:139]
	v_add_f64_e32 v[172:173], v[12:13], v[10:11]
	v_add_f64_e32 v[160:161], v[160:161], v[170:171]
	ds_load_b128 v[4:7], v2 offset:1792
	ds_load_b128 v[10:13], v2 offset:1808
	s_wait_loadcnt_dscnt 0x501
	v_mul_f64_e32 v[170:171], v[4:5], v[166:167]
	v_mul_f64_e32 v[166:167], v[6:7], v[166:167]
	s_wait_loadcnt_dscnt 0x400
	v_mul_f64_e32 v[154:155], v[10:11], v[134:135]
	v_add_f64_e32 v[138:139], v[172:173], v[168:169]
	v_add_f64_e32 v[152:153], v[160:161], v[184:185]
	v_mul_f64_e32 v[160:161], v[12:13], v[134:135]
	v_fmac_f64_e32 v[170:171], v[6:7], v[164:165]
	v_fma_f64 v[164:165], v[4:5], v[164:165], -v[166:167]
	v_fmac_f64_e32 v[154:155], v[12:13], v[132:133]
	v_add_f64_e32 v[138:139], v[138:139], v[136:137]
	v_add_f64_e32 v[152:153], v[152:153], v[162:163]
	ds_load_b128 v[4:7], v2 offset:1824
	ds_load_b128 v[134:137], v2 offset:1840
	v_fma_f64 v[10:11], v[10:11], v[132:133], -v[160:161]
	s_wait_loadcnt_dscnt 0x301
	v_mul_f64_e32 v[162:163], v[4:5], v[150:151]
	v_mul_f64_e32 v[150:151], v[6:7], v[150:151]
	v_add_f64_e32 v[12:13], v[138:139], v[164:165]
	v_add_f64_e32 v[132:133], v[152:153], v[170:171]
	s_wait_loadcnt_dscnt 0x200
	v_mul_f64_e32 v[138:139], v[134:135], v[142:143]
	v_mul_f64_e32 v[142:143], v[136:137], v[142:143]
	v_fmac_f64_e32 v[162:163], v[6:7], v[148:149]
	v_fma_f64 v[148:149], v[4:5], v[148:149], -v[150:151]
	v_add_f64_e32 v[150:151], v[12:13], v[10:11]
	v_add_f64_e32 v[132:133], v[132:133], v[154:155]
	ds_load_b128 v[4:7], v2 offset:1856
	ds_load_b128 v[10:13], v2 offset:1872
	v_fmac_f64_e32 v[138:139], v[136:137], v[140:141]
	v_fma_f64 v[134:135], v[134:135], v[140:141], -v[142:143]
	s_wait_loadcnt_dscnt 0x101
	v_mul_f64_e32 v[2:3], v[4:5], v[158:159]
	v_mul_f64_e32 v[152:153], v[6:7], v[158:159]
	s_wait_loadcnt_dscnt 0x0
	v_mul_f64_e32 v[140:141], v[10:11], v[146:147]
	v_mul_f64_e32 v[142:143], v[12:13], v[146:147]
	v_add_f64_e32 v[136:137], v[150:151], v[148:149]
	v_add_f64_e32 v[132:133], v[132:133], v[162:163]
	v_fmac_f64_e32 v[2:3], v[6:7], v[156:157]
	v_fma_f64 v[4:5], v[4:5], v[156:157], -v[152:153]
	v_fmac_f64_e32 v[140:141], v[12:13], v[144:145]
	v_fma_f64 v[10:11], v[10:11], v[144:145], -v[142:143]
	v_add_f64_e32 v[6:7], v[136:137], v[134:135]
	v_add_f64_e32 v[132:133], v[132:133], v[138:139]
	s_delay_alu instid0(VALU_DEP_2) | instskip(NEXT) | instid1(VALU_DEP_2)
	v_add_f64_e32 v[4:5], v[6:7], v[4:5]
	v_add_f64_e32 v[2:3], v[132:133], v[2:3]
	s_delay_alu instid0(VALU_DEP_2) | instskip(NEXT) | instid1(VALU_DEP_2)
	;; [unrolled: 3-line block ×3, first 2 shown]
	v_add_f64_e64 v[2:3], v[176:177], -v[4:5]
	v_add_f64_e64 v[4:5], v[178:179], -v[6:7]
	scratch_store_b128 off, v[2:5], off offset:576
	s_wait_xcnt 0x0
	v_cmpx_lt_u32_e32 35, v1
	s_cbranch_execz .LBB122_297
; %bb.296:
	scratch_load_b128 v[2:5], off, s40
	v_mov_b32_e32 v10, 0
	s_delay_alu instid0(VALU_DEP_1)
	v_dual_mov_b32 v11, v10 :: v_dual_mov_b32 v12, v10
	v_mov_b32_e32 v13, v10
	scratch_store_b128 off, v[10:13], off offset:560
	s_wait_loadcnt 0x0
	ds_store_b128 v8, v[2:5]
.LBB122_297:
	s_wait_xcnt 0x0
	s_or_b32 exec_lo, exec_lo, s2
	s_wait_storecnt_dscnt 0x0
	s_barrier_signal -1
	s_barrier_wait -1
	s_clause 0x9
	scratch_load_b128 v[4:7], off, off offset:576
	scratch_load_b128 v[10:13], off, off offset:592
	;; [unrolled: 1-line block ×10, first 2 shown]
	v_mov_b32_e32 v2, 0
	s_mov_b32 s2, exec_lo
	ds_load_b128 v[164:167], v2 offset:1520
	s_clause 0x2
	scratch_load_b128 v[168:171], off, off offset:736
	scratch_load_b128 v[172:175], off, off offset:560
	;; [unrolled: 1-line block ×3, first 2 shown]
	s_wait_loadcnt_dscnt 0xc00
	v_mul_f64_e32 v[184:185], v[166:167], v[6:7]
	v_mul_f64_e32 v[188:189], v[164:165], v[6:7]
	ds_load_b128 v[176:179], v2 offset:1536
	v_fma_f64 v[192:193], v[164:165], v[4:5], -v[184:185]
	v_fmac_f64_e32 v[188:189], v[166:167], v[4:5]
	ds_load_b128 v[4:7], v2 offset:1552
	s_wait_loadcnt_dscnt 0xb01
	v_mul_f64_e32 v[190:191], v[176:177], v[12:13]
	v_mul_f64_e32 v[12:13], v[178:179], v[12:13]
	scratch_load_b128 v[164:167], off, off offset:768
	ds_load_b128 v[184:187], v2 offset:1568
	s_wait_loadcnt_dscnt 0xb01
	v_mul_f64_e32 v[194:195], v[4:5], v[134:135]
	v_mul_f64_e32 v[134:135], v[6:7], v[134:135]
	v_add_f64_e32 v[188:189], 0, v[188:189]
	v_fmac_f64_e32 v[190:191], v[178:179], v[10:11]
	v_fma_f64 v[176:177], v[176:177], v[10:11], -v[12:13]
	v_add_f64_e32 v[178:179], 0, v[192:193]
	scratch_load_b128 v[10:13], off, off offset:784
	v_fmac_f64_e32 v[194:195], v[6:7], v[132:133]
	v_fma_f64 v[196:197], v[4:5], v[132:133], -v[134:135]
	ds_load_b128 v[4:7], v2 offset:1584
	s_wait_loadcnt_dscnt 0xb01
	v_mul_f64_e32 v[192:193], v[184:185], v[138:139]
	v_mul_f64_e32 v[138:139], v[186:187], v[138:139]
	scratch_load_b128 v[132:135], off, off offset:800
	v_add_f64_e32 v[188:189], v[188:189], v[190:191]
	v_add_f64_e32 v[198:199], v[178:179], v[176:177]
	ds_load_b128 v[176:179], v2 offset:1600
	s_wait_loadcnt_dscnt 0xb01
	v_mul_f64_e32 v[190:191], v[4:5], v[142:143]
	v_mul_f64_e32 v[142:143], v[6:7], v[142:143]
	v_fmac_f64_e32 v[192:193], v[186:187], v[136:137]
	v_fma_f64 v[184:185], v[184:185], v[136:137], -v[138:139]
	scratch_load_b128 v[136:139], off, off offset:816
	v_add_f64_e32 v[188:189], v[188:189], v[194:195]
	v_add_f64_e32 v[186:187], v[198:199], v[196:197]
	v_fmac_f64_e32 v[190:191], v[6:7], v[140:141]
	v_fma_f64 v[196:197], v[4:5], v[140:141], -v[142:143]
	ds_load_b128 v[4:7], v2 offset:1616
	s_wait_loadcnt_dscnt 0xb01
	v_mul_f64_e32 v[194:195], v[176:177], v[146:147]
	v_mul_f64_e32 v[146:147], v[178:179], v[146:147]
	scratch_load_b128 v[140:143], off, off offset:832
	v_add_f64_e32 v[188:189], v[188:189], v[192:193]
	s_wait_loadcnt_dscnt 0xb00
	v_mul_f64_e32 v[192:193], v[4:5], v[150:151]
	v_add_f64_e32 v[198:199], v[186:187], v[184:185]
	v_mul_f64_e32 v[150:151], v[6:7], v[150:151]
	ds_load_b128 v[184:187], v2 offset:1632
	v_fmac_f64_e32 v[194:195], v[178:179], v[144:145]
	v_fma_f64 v[176:177], v[176:177], v[144:145], -v[146:147]
	scratch_load_b128 v[144:147], off, off offset:848
	v_add_f64_e32 v[188:189], v[188:189], v[190:191]
	v_fmac_f64_e32 v[192:193], v[6:7], v[148:149]
	v_add_f64_e32 v[178:179], v[198:199], v[196:197]
	v_fma_f64 v[196:197], v[4:5], v[148:149], -v[150:151]
	ds_load_b128 v[4:7], v2 offset:1648
	s_wait_loadcnt_dscnt 0xb01
	v_mul_f64_e32 v[190:191], v[184:185], v[154:155]
	v_mul_f64_e32 v[154:155], v[186:187], v[154:155]
	scratch_load_b128 v[148:151], off, off offset:864
	v_add_f64_e32 v[188:189], v[188:189], v[194:195]
	s_wait_loadcnt_dscnt 0xb00
	v_mul_f64_e32 v[194:195], v[4:5], v[158:159]
	v_add_f64_e32 v[198:199], v[178:179], v[176:177]
	v_mul_f64_e32 v[158:159], v[6:7], v[158:159]
	ds_load_b128 v[176:179], v2 offset:1664
	v_fmac_f64_e32 v[190:191], v[186:187], v[152:153]
	v_fma_f64 v[184:185], v[184:185], v[152:153], -v[154:155]
	scratch_load_b128 v[152:155], off, off offset:880
	v_add_f64_e32 v[188:189], v[188:189], v[192:193]
	v_fmac_f64_e32 v[194:195], v[6:7], v[156:157]
	v_add_f64_e32 v[186:187], v[198:199], v[196:197]
	;; [unrolled: 18-line block ×3, first 2 shown]
	v_fma_f64 v[196:197], v[4:5], v[168:169], -v[170:171]
	ds_load_b128 v[4:7], v2 offset:1712
	s_wait_loadcnt_dscnt 0xa01
	v_mul_f64_e32 v[194:195], v[184:185], v[182:183]
	v_mul_f64_e32 v[182:183], v[186:187], v[182:183]
	scratch_load_b128 v[168:171], off, off offset:928
	v_add_f64_e32 v[188:189], v[188:189], v[192:193]
	v_add_f64_e32 v[198:199], v[178:179], v[176:177]
	s_wait_loadcnt_dscnt 0xa00
	v_mul_f64_e32 v[192:193], v[4:5], v[166:167]
	v_mul_f64_e32 v[166:167], v[6:7], v[166:167]
	v_fmac_f64_e32 v[194:195], v[186:187], v[180:181]
	v_fma_f64 v[180:181], v[184:185], v[180:181], -v[182:183]
	ds_load_b128 v[176:179], v2 offset:1728
	v_add_f64_e32 v[184:185], v[188:189], v[190:191]
	v_add_f64_e32 v[182:183], v[198:199], v[196:197]
	s_wait_loadcnt_dscnt 0x900
	v_mul_f64_e32 v[186:187], v[176:177], v[12:13]
	v_mul_f64_e32 v[12:13], v[178:179], v[12:13]
	v_fmac_f64_e32 v[192:193], v[6:7], v[164:165]
	v_fma_f64 v[188:189], v[4:5], v[164:165], -v[166:167]
	ds_load_b128 v[4:7], v2 offset:1744
	ds_load_b128 v[164:167], v2 offset:1760
	v_add_f64_e32 v[180:181], v[182:183], v[180:181]
	v_add_f64_e32 v[182:183], v[184:185], v[194:195]
	s_wait_loadcnt_dscnt 0x801
	v_mul_f64_e32 v[184:185], v[4:5], v[134:135]
	v_mul_f64_e32 v[134:135], v[6:7], v[134:135]
	v_fmac_f64_e32 v[186:187], v[178:179], v[10:11]
	v_fma_f64 v[10:11], v[176:177], v[10:11], -v[12:13]
	s_wait_loadcnt_dscnt 0x700
	v_mul_f64_e32 v[178:179], v[164:165], v[138:139]
	v_mul_f64_e32 v[138:139], v[166:167], v[138:139]
	v_add_f64_e32 v[12:13], v[180:181], v[188:189]
	v_add_f64_e32 v[176:177], v[182:183], v[192:193]
	v_fmac_f64_e32 v[184:185], v[6:7], v[132:133]
	v_fma_f64 v[132:133], v[4:5], v[132:133], -v[134:135]
	v_fmac_f64_e32 v[178:179], v[166:167], v[136:137]
	v_fma_f64 v[136:137], v[164:165], v[136:137], -v[138:139]
	v_add_f64_e32 v[134:135], v[12:13], v[10:11]
	v_add_f64_e32 v[176:177], v[176:177], v[186:187]
	ds_load_b128 v[4:7], v2 offset:1776
	ds_load_b128 v[10:13], v2 offset:1792
	s_wait_loadcnt_dscnt 0x601
	v_mul_f64_e32 v[180:181], v[4:5], v[142:143]
	v_mul_f64_e32 v[142:143], v[6:7], v[142:143]
	s_wait_loadcnt_dscnt 0x500
	v_mul_f64_e32 v[138:139], v[10:11], v[146:147]
	v_mul_f64_e32 v[146:147], v[12:13], v[146:147]
	v_add_f64_e32 v[132:133], v[134:135], v[132:133]
	v_add_f64_e32 v[134:135], v[176:177], v[184:185]
	v_fmac_f64_e32 v[180:181], v[6:7], v[140:141]
	v_fma_f64 v[140:141], v[4:5], v[140:141], -v[142:143]
	v_fmac_f64_e32 v[138:139], v[12:13], v[144:145]
	v_fma_f64 v[10:11], v[10:11], v[144:145], -v[146:147]
	v_add_f64_e32 v[136:137], v[132:133], v[136:137]
	v_add_f64_e32 v[142:143], v[134:135], v[178:179]
	ds_load_b128 v[4:7], v2 offset:1808
	ds_load_b128 v[132:135], v2 offset:1824
	s_wait_loadcnt_dscnt 0x401
	v_mul_f64_e32 v[164:165], v[4:5], v[150:151]
	v_mul_f64_e32 v[150:151], v[6:7], v[150:151]
	v_add_f64_e32 v[12:13], v[136:137], v[140:141]
	v_add_f64_e32 v[136:137], v[142:143], v[180:181]
	s_wait_loadcnt_dscnt 0x300
	v_mul_f64_e32 v[140:141], v[132:133], v[154:155]
	v_mul_f64_e32 v[142:143], v[134:135], v[154:155]
	v_fmac_f64_e32 v[164:165], v[6:7], v[148:149]
	v_fma_f64 v[144:145], v[4:5], v[148:149], -v[150:151]
	v_add_f64_e32 v[146:147], v[12:13], v[10:11]
	v_add_f64_e32 v[136:137], v[136:137], v[138:139]
	ds_load_b128 v[4:7], v2 offset:1840
	ds_load_b128 v[10:13], v2 offset:1856
	v_fmac_f64_e32 v[140:141], v[134:135], v[152:153]
	v_fma_f64 v[132:133], v[132:133], v[152:153], -v[142:143]
	s_wait_loadcnt_dscnt 0x201
	v_mul_f64_e32 v[138:139], v[4:5], v[158:159]
	v_mul_f64_e32 v[148:149], v[6:7], v[158:159]
	s_wait_loadcnt_dscnt 0x100
	v_mul_f64_e32 v[142:143], v[10:11], v[162:163]
	v_add_f64_e32 v[134:135], v[146:147], v[144:145]
	v_add_f64_e32 v[136:137], v[136:137], v[164:165]
	v_mul_f64_e32 v[144:145], v[12:13], v[162:163]
	v_fmac_f64_e32 v[138:139], v[6:7], v[156:157]
	v_fma_f64 v[146:147], v[4:5], v[156:157], -v[148:149]
	ds_load_b128 v[4:7], v2 offset:1872
	v_fmac_f64_e32 v[142:143], v[12:13], v[160:161]
	v_add_f64_e32 v[132:133], v[134:135], v[132:133]
	v_add_f64_e32 v[134:135], v[136:137], v[140:141]
	v_fma_f64 v[10:11], v[10:11], v[160:161], -v[144:145]
	s_wait_loadcnt_dscnt 0x0
	v_mul_f64_e32 v[136:137], v[4:5], v[170:171]
	v_mul_f64_e32 v[140:141], v[6:7], v[170:171]
	v_add_f64_e32 v[12:13], v[132:133], v[146:147]
	v_add_f64_e32 v[132:133], v[134:135], v[138:139]
	s_delay_alu instid0(VALU_DEP_4) | instskip(NEXT) | instid1(VALU_DEP_4)
	v_fmac_f64_e32 v[136:137], v[6:7], v[168:169]
	v_fma_f64 v[4:5], v[4:5], v[168:169], -v[140:141]
	s_delay_alu instid0(VALU_DEP_4) | instskip(NEXT) | instid1(VALU_DEP_4)
	v_add_f64_e32 v[6:7], v[12:13], v[10:11]
	v_add_f64_e32 v[10:11], v[132:133], v[142:143]
	s_delay_alu instid0(VALU_DEP_2) | instskip(NEXT) | instid1(VALU_DEP_2)
	v_add_f64_e32 v[4:5], v[6:7], v[4:5]
	v_add_f64_e32 v[6:7], v[10:11], v[136:137]
	s_delay_alu instid0(VALU_DEP_2) | instskip(NEXT) | instid1(VALU_DEP_2)
	v_add_f64_e64 v[4:5], v[172:173], -v[4:5]
	v_add_f64_e64 v[6:7], v[174:175], -v[6:7]
	scratch_store_b128 off, v[4:7], off offset:560
	s_wait_xcnt 0x0
	v_cmpx_lt_u32_e32 34, v1
	s_cbranch_execz .LBB122_299
; %bb.298:
	scratch_load_b128 v[10:13], off, s41
	v_dual_mov_b32 v3, v2 :: v_dual_mov_b32 v4, v2
	v_mov_b32_e32 v5, v2
	scratch_store_b128 off, v[2:5], off offset:544
	s_wait_loadcnt 0x0
	ds_store_b128 v8, v[10:13]
.LBB122_299:
	s_wait_xcnt 0x0
	s_or_b32 exec_lo, exec_lo, s2
	s_wait_storecnt_dscnt 0x0
	s_barrier_signal -1
	s_barrier_wait -1
	s_clause 0x9
	scratch_load_b128 v[4:7], off, off offset:560
	scratch_load_b128 v[10:13], off, off offset:576
	;; [unrolled: 1-line block ×10, first 2 shown]
	ds_load_b128 v[164:167], v2 offset:1504
	ds_load_b128 v[172:175], v2 offset:1520
	s_clause 0x2
	scratch_load_b128 v[168:171], off, off offset:720
	scratch_load_b128 v[176:179], off, off offset:544
	;; [unrolled: 1-line block ×3, first 2 shown]
	s_mov_b32 s2, exec_lo
	s_wait_loadcnt_dscnt 0xc01
	v_mul_f64_e32 v[184:185], v[166:167], v[6:7]
	v_mul_f64_e32 v[188:189], v[164:165], v[6:7]
	s_wait_loadcnt_dscnt 0xb00
	v_mul_f64_e32 v[190:191], v[172:173], v[12:13]
	v_mul_f64_e32 v[12:13], v[174:175], v[12:13]
	s_delay_alu instid0(VALU_DEP_4) | instskip(NEXT) | instid1(VALU_DEP_4)
	v_fma_f64 v[192:193], v[164:165], v[4:5], -v[184:185]
	v_fmac_f64_e32 v[188:189], v[166:167], v[4:5]
	ds_load_b128 v[4:7], v2 offset:1536
	ds_load_b128 v[164:167], v2 offset:1552
	scratch_load_b128 v[184:187], off, off offset:752
	v_fmac_f64_e32 v[190:191], v[174:175], v[10:11]
	v_fma_f64 v[172:173], v[172:173], v[10:11], -v[12:13]
	scratch_load_b128 v[10:13], off, off offset:768
	s_wait_loadcnt_dscnt 0xc01
	v_mul_f64_e32 v[194:195], v[4:5], v[134:135]
	v_mul_f64_e32 v[134:135], v[6:7], v[134:135]
	v_add_f64_e32 v[174:175], 0, v[192:193]
	v_add_f64_e32 v[188:189], 0, v[188:189]
	s_wait_loadcnt_dscnt 0xb00
	v_mul_f64_e32 v[192:193], v[164:165], v[138:139]
	v_mul_f64_e32 v[138:139], v[166:167], v[138:139]
	v_fmac_f64_e32 v[194:195], v[6:7], v[132:133]
	v_fma_f64 v[196:197], v[4:5], v[132:133], -v[134:135]
	ds_load_b128 v[4:7], v2 offset:1568
	ds_load_b128 v[132:135], v2 offset:1584
	v_add_f64_e32 v[198:199], v[174:175], v[172:173]
	v_add_f64_e32 v[188:189], v[188:189], v[190:191]
	scratch_load_b128 v[172:175], off, off offset:784
	v_fmac_f64_e32 v[192:193], v[166:167], v[136:137]
	v_fma_f64 v[164:165], v[164:165], v[136:137], -v[138:139]
	scratch_load_b128 v[136:139], off, off offset:800
	s_wait_loadcnt_dscnt 0xc01
	v_mul_f64_e32 v[190:191], v[4:5], v[142:143]
	v_mul_f64_e32 v[142:143], v[6:7], v[142:143]
	v_add_f64_e32 v[166:167], v[198:199], v[196:197]
	v_add_f64_e32 v[188:189], v[188:189], v[194:195]
	s_wait_loadcnt_dscnt 0xb00
	v_mul_f64_e32 v[194:195], v[132:133], v[146:147]
	v_mul_f64_e32 v[146:147], v[134:135], v[146:147]
	v_fmac_f64_e32 v[190:191], v[6:7], v[140:141]
	v_fma_f64 v[196:197], v[4:5], v[140:141], -v[142:143]
	ds_load_b128 v[4:7], v2 offset:1600
	ds_load_b128 v[140:143], v2 offset:1616
	v_add_f64_e32 v[198:199], v[166:167], v[164:165]
	v_add_f64_e32 v[188:189], v[188:189], v[192:193]
	scratch_load_b128 v[164:167], off, off offset:816
	s_wait_loadcnt_dscnt 0xb01
	v_mul_f64_e32 v[192:193], v[4:5], v[150:151]
	v_mul_f64_e32 v[150:151], v[6:7], v[150:151]
	v_fmac_f64_e32 v[194:195], v[134:135], v[144:145]
	v_fma_f64 v[144:145], v[132:133], v[144:145], -v[146:147]
	scratch_load_b128 v[132:135], off, off offset:832
	v_add_f64_e32 v[146:147], v[198:199], v[196:197]
	v_add_f64_e32 v[188:189], v[188:189], v[190:191]
	s_wait_loadcnt_dscnt 0xb00
	v_mul_f64_e32 v[190:191], v[140:141], v[154:155]
	v_mul_f64_e32 v[154:155], v[142:143], v[154:155]
	v_fmac_f64_e32 v[192:193], v[6:7], v[148:149]
	v_fma_f64 v[196:197], v[4:5], v[148:149], -v[150:151]
	v_add_f64_e32 v[198:199], v[146:147], v[144:145]
	v_add_f64_e32 v[188:189], v[188:189], v[194:195]
	ds_load_b128 v[4:7], v2 offset:1632
	ds_load_b128 v[144:147], v2 offset:1648
	scratch_load_b128 v[148:151], off, off offset:848
	v_fmac_f64_e32 v[190:191], v[142:143], v[152:153]
	v_fma_f64 v[152:153], v[140:141], v[152:153], -v[154:155]
	scratch_load_b128 v[140:143], off, off offset:864
	s_wait_loadcnt_dscnt 0xc01
	v_mul_f64_e32 v[194:195], v[4:5], v[158:159]
	v_mul_f64_e32 v[158:159], v[6:7], v[158:159]
	v_add_f64_e32 v[154:155], v[198:199], v[196:197]
	v_add_f64_e32 v[188:189], v[188:189], v[192:193]
	s_wait_loadcnt_dscnt 0xb00
	v_mul_f64_e32 v[192:193], v[144:145], v[162:163]
	v_mul_f64_e32 v[162:163], v[146:147], v[162:163]
	v_fmac_f64_e32 v[194:195], v[6:7], v[156:157]
	v_fma_f64 v[196:197], v[4:5], v[156:157], -v[158:159]
	v_add_f64_e32 v[198:199], v[154:155], v[152:153]
	v_add_f64_e32 v[188:189], v[188:189], v[190:191]
	ds_load_b128 v[4:7], v2 offset:1664
	ds_load_b128 v[152:155], v2 offset:1680
	scratch_load_b128 v[156:159], off, off offset:880
	v_fmac_f64_e32 v[192:193], v[146:147], v[160:161]
	v_fma_f64 v[160:161], v[144:145], v[160:161], -v[162:163]
	scratch_load_b128 v[144:147], off, off offset:896
	s_wait_loadcnt_dscnt 0xc01
	v_mul_f64_e32 v[190:191], v[4:5], v[170:171]
	v_mul_f64_e32 v[170:171], v[6:7], v[170:171]
	;; [unrolled: 18-line block ×3, first 2 shown]
	v_add_f64_e32 v[182:183], v[198:199], v[196:197]
	v_add_f64_e32 v[188:189], v[188:189], v[190:191]
	s_wait_loadcnt_dscnt 0xa00
	v_mul_f64_e32 v[190:191], v[160:161], v[12:13]
	v_mul_f64_e32 v[12:13], v[162:163], v[12:13]
	v_fmac_f64_e32 v[192:193], v[6:7], v[184:185]
	v_fma_f64 v[184:185], v[4:5], v[184:185], -v[186:187]
	v_add_f64_e32 v[186:187], v[182:183], v[180:181]
	v_add_f64_e32 v[188:189], v[188:189], v[194:195]
	ds_load_b128 v[4:7], v2 offset:1728
	ds_load_b128 v[180:183], v2 offset:1744
	v_fmac_f64_e32 v[190:191], v[162:163], v[10:11]
	v_fma_f64 v[10:11], v[160:161], v[10:11], -v[12:13]
	s_wait_loadcnt_dscnt 0x901
	v_mul_f64_e32 v[194:195], v[4:5], v[174:175]
	v_mul_f64_e32 v[174:175], v[6:7], v[174:175]
	s_wait_loadcnt_dscnt 0x800
	v_mul_f64_e32 v[162:163], v[180:181], v[138:139]
	v_mul_f64_e32 v[138:139], v[182:183], v[138:139]
	v_add_f64_e32 v[12:13], v[186:187], v[184:185]
	v_add_f64_e32 v[160:161], v[188:189], v[192:193]
	v_fmac_f64_e32 v[194:195], v[6:7], v[172:173]
	v_fma_f64 v[172:173], v[4:5], v[172:173], -v[174:175]
	v_fmac_f64_e32 v[162:163], v[182:183], v[136:137]
	v_fma_f64 v[136:137], v[180:181], v[136:137], -v[138:139]
	v_add_f64_e32 v[174:175], v[12:13], v[10:11]
	v_add_f64_e32 v[160:161], v[160:161], v[190:191]
	ds_load_b128 v[4:7], v2 offset:1760
	ds_load_b128 v[10:13], v2 offset:1776
	s_wait_loadcnt_dscnt 0x701
	v_mul_f64_e32 v[184:185], v[4:5], v[166:167]
	v_mul_f64_e32 v[166:167], v[6:7], v[166:167]
	v_add_f64_e32 v[138:139], v[174:175], v[172:173]
	v_add_f64_e32 v[160:161], v[160:161], v[194:195]
	s_wait_loadcnt_dscnt 0x600
	v_mul_f64_e32 v[172:173], v[10:11], v[134:135]
	v_mul_f64_e32 v[174:175], v[12:13], v[134:135]
	v_fmac_f64_e32 v[184:185], v[6:7], v[164:165]
	v_fma_f64 v[164:165], v[4:5], v[164:165], -v[166:167]
	v_add_f64_e32 v[138:139], v[138:139], v[136:137]
	v_add_f64_e32 v[160:161], v[160:161], v[162:163]
	ds_load_b128 v[4:7], v2 offset:1792
	ds_load_b128 v[134:137], v2 offset:1808
	v_fmac_f64_e32 v[172:173], v[12:13], v[132:133]
	v_fma_f64 v[10:11], v[10:11], v[132:133], -v[174:175]
	s_wait_loadcnt_dscnt 0x501
	v_mul_f64_e32 v[162:163], v[4:5], v[150:151]
	v_mul_f64_e32 v[150:151], v[6:7], v[150:151]
	v_add_f64_e32 v[12:13], v[138:139], v[164:165]
	v_add_f64_e32 v[132:133], v[160:161], v[184:185]
	s_wait_loadcnt_dscnt 0x400
	v_mul_f64_e32 v[138:139], v[134:135], v[142:143]
	v_mul_f64_e32 v[142:143], v[136:137], v[142:143]
	v_fmac_f64_e32 v[162:163], v[6:7], v[148:149]
	v_fma_f64 v[148:149], v[4:5], v[148:149], -v[150:151]
	v_add_f64_e32 v[150:151], v[12:13], v[10:11]
	v_add_f64_e32 v[132:133], v[132:133], v[172:173]
	ds_load_b128 v[4:7], v2 offset:1824
	ds_load_b128 v[10:13], v2 offset:1840
	v_fmac_f64_e32 v[138:139], v[136:137], v[140:141]
	v_fma_f64 v[134:135], v[134:135], v[140:141], -v[142:143]
	s_wait_loadcnt_dscnt 0x301
	v_mul_f64_e32 v[160:161], v[4:5], v[158:159]
	v_mul_f64_e32 v[158:159], v[6:7], v[158:159]
	s_wait_loadcnt_dscnt 0x200
	v_mul_f64_e32 v[140:141], v[10:11], v[146:147]
	v_mul_f64_e32 v[142:143], v[12:13], v[146:147]
	v_add_f64_e32 v[136:137], v[150:151], v[148:149]
	v_add_f64_e32 v[132:133], v[132:133], v[162:163]
	v_fmac_f64_e32 v[160:161], v[6:7], v[156:157]
	v_fma_f64 v[146:147], v[4:5], v[156:157], -v[158:159]
	v_fmac_f64_e32 v[140:141], v[12:13], v[144:145]
	v_fma_f64 v[10:11], v[10:11], v[144:145], -v[142:143]
	v_add_f64_e32 v[136:137], v[136:137], v[134:135]
	v_add_f64_e32 v[138:139], v[132:133], v[138:139]
	ds_load_b128 v[4:7], v2 offset:1856
	ds_load_b128 v[132:135], v2 offset:1872
	s_wait_loadcnt_dscnt 0x101
	v_mul_f64_e32 v[2:3], v[4:5], v[170:171]
	v_mul_f64_e32 v[148:149], v[6:7], v[170:171]
	s_wait_loadcnt_dscnt 0x0
	v_mul_f64_e32 v[142:143], v[134:135], v[154:155]
	v_add_f64_e32 v[12:13], v[136:137], v[146:147]
	v_add_f64_e32 v[136:137], v[138:139], v[160:161]
	v_mul_f64_e32 v[138:139], v[132:133], v[154:155]
	v_fmac_f64_e32 v[2:3], v[6:7], v[168:169]
	v_fma_f64 v[4:5], v[4:5], v[168:169], -v[148:149]
	v_add_f64_e32 v[6:7], v[12:13], v[10:11]
	v_add_f64_e32 v[10:11], v[136:137], v[140:141]
	v_fmac_f64_e32 v[138:139], v[134:135], v[152:153]
	v_fma_f64 v[12:13], v[132:133], v[152:153], -v[142:143]
	s_delay_alu instid0(VALU_DEP_4) | instskip(NEXT) | instid1(VALU_DEP_4)
	v_add_f64_e32 v[4:5], v[6:7], v[4:5]
	v_add_f64_e32 v[2:3], v[10:11], v[2:3]
	s_delay_alu instid0(VALU_DEP_2) | instskip(NEXT) | instid1(VALU_DEP_2)
	v_add_f64_e32 v[4:5], v[4:5], v[12:13]
	v_add_f64_e32 v[6:7], v[2:3], v[138:139]
	s_delay_alu instid0(VALU_DEP_2) | instskip(NEXT) | instid1(VALU_DEP_2)
	v_add_f64_e64 v[2:3], v[176:177], -v[4:5]
	v_add_f64_e64 v[4:5], v[178:179], -v[6:7]
	scratch_store_b128 off, v[2:5], off offset:544
	s_wait_xcnt 0x0
	v_cmpx_lt_u32_e32 33, v1
	s_cbranch_execz .LBB122_301
; %bb.300:
	scratch_load_b128 v[2:5], off, s42
	v_mov_b32_e32 v10, 0
	s_delay_alu instid0(VALU_DEP_1)
	v_dual_mov_b32 v11, v10 :: v_dual_mov_b32 v12, v10
	v_mov_b32_e32 v13, v10
	scratch_store_b128 off, v[10:13], off offset:528
	s_wait_loadcnt 0x0
	ds_store_b128 v8, v[2:5]
.LBB122_301:
	s_wait_xcnt 0x0
	s_or_b32 exec_lo, exec_lo, s2
	s_wait_storecnt_dscnt 0x0
	s_barrier_signal -1
	s_barrier_wait -1
	s_clause 0x9
	scratch_load_b128 v[4:7], off, off offset:544
	scratch_load_b128 v[10:13], off, off offset:560
	scratch_load_b128 v[132:135], off, off offset:576
	scratch_load_b128 v[136:139], off, off offset:592
	scratch_load_b128 v[140:143], off, off offset:608
	scratch_load_b128 v[144:147], off, off offset:624
	scratch_load_b128 v[148:151], off, off offset:640
	scratch_load_b128 v[152:155], off, off offset:656
	scratch_load_b128 v[156:159], off, off offset:672
	scratch_load_b128 v[160:163], off, off offset:688
	v_mov_b32_e32 v2, 0
	s_mov_b32 s2, exec_lo
	ds_load_b128 v[164:167], v2 offset:1488
	s_clause 0x2
	scratch_load_b128 v[168:171], off, off offset:704
	scratch_load_b128 v[172:175], off, off offset:528
	;; [unrolled: 1-line block ×3, first 2 shown]
	s_wait_loadcnt_dscnt 0xc00
	v_mul_f64_e32 v[184:185], v[166:167], v[6:7]
	v_mul_f64_e32 v[188:189], v[164:165], v[6:7]
	ds_load_b128 v[176:179], v2 offset:1504
	v_fma_f64 v[192:193], v[164:165], v[4:5], -v[184:185]
	v_fmac_f64_e32 v[188:189], v[166:167], v[4:5]
	ds_load_b128 v[4:7], v2 offset:1520
	s_wait_loadcnt_dscnt 0xb01
	v_mul_f64_e32 v[190:191], v[176:177], v[12:13]
	v_mul_f64_e32 v[12:13], v[178:179], v[12:13]
	scratch_load_b128 v[164:167], off, off offset:736
	ds_load_b128 v[184:187], v2 offset:1536
	s_wait_loadcnt_dscnt 0xb01
	v_mul_f64_e32 v[194:195], v[4:5], v[134:135]
	v_mul_f64_e32 v[134:135], v[6:7], v[134:135]
	v_add_f64_e32 v[188:189], 0, v[188:189]
	v_fmac_f64_e32 v[190:191], v[178:179], v[10:11]
	v_fma_f64 v[176:177], v[176:177], v[10:11], -v[12:13]
	v_add_f64_e32 v[178:179], 0, v[192:193]
	scratch_load_b128 v[10:13], off, off offset:752
	v_fmac_f64_e32 v[194:195], v[6:7], v[132:133]
	v_fma_f64 v[196:197], v[4:5], v[132:133], -v[134:135]
	ds_load_b128 v[4:7], v2 offset:1552
	s_wait_loadcnt_dscnt 0xb01
	v_mul_f64_e32 v[192:193], v[184:185], v[138:139]
	v_mul_f64_e32 v[138:139], v[186:187], v[138:139]
	scratch_load_b128 v[132:135], off, off offset:768
	v_add_f64_e32 v[188:189], v[188:189], v[190:191]
	v_add_f64_e32 v[198:199], v[178:179], v[176:177]
	ds_load_b128 v[176:179], v2 offset:1568
	s_wait_loadcnt_dscnt 0xb01
	v_mul_f64_e32 v[190:191], v[4:5], v[142:143]
	v_mul_f64_e32 v[142:143], v[6:7], v[142:143]
	v_fmac_f64_e32 v[192:193], v[186:187], v[136:137]
	v_fma_f64 v[184:185], v[184:185], v[136:137], -v[138:139]
	scratch_load_b128 v[136:139], off, off offset:784
	v_add_f64_e32 v[188:189], v[188:189], v[194:195]
	v_add_f64_e32 v[186:187], v[198:199], v[196:197]
	v_fmac_f64_e32 v[190:191], v[6:7], v[140:141]
	v_fma_f64 v[196:197], v[4:5], v[140:141], -v[142:143]
	ds_load_b128 v[4:7], v2 offset:1584
	s_wait_loadcnt_dscnt 0xb01
	v_mul_f64_e32 v[194:195], v[176:177], v[146:147]
	v_mul_f64_e32 v[146:147], v[178:179], v[146:147]
	scratch_load_b128 v[140:143], off, off offset:800
	v_add_f64_e32 v[188:189], v[188:189], v[192:193]
	s_wait_loadcnt_dscnt 0xb00
	v_mul_f64_e32 v[192:193], v[4:5], v[150:151]
	v_add_f64_e32 v[198:199], v[186:187], v[184:185]
	v_mul_f64_e32 v[150:151], v[6:7], v[150:151]
	ds_load_b128 v[184:187], v2 offset:1600
	v_fmac_f64_e32 v[194:195], v[178:179], v[144:145]
	v_fma_f64 v[176:177], v[176:177], v[144:145], -v[146:147]
	scratch_load_b128 v[144:147], off, off offset:816
	v_add_f64_e32 v[188:189], v[188:189], v[190:191]
	v_fmac_f64_e32 v[192:193], v[6:7], v[148:149]
	v_add_f64_e32 v[178:179], v[198:199], v[196:197]
	v_fma_f64 v[196:197], v[4:5], v[148:149], -v[150:151]
	ds_load_b128 v[4:7], v2 offset:1616
	s_wait_loadcnt_dscnt 0xb01
	v_mul_f64_e32 v[190:191], v[184:185], v[154:155]
	v_mul_f64_e32 v[154:155], v[186:187], v[154:155]
	scratch_load_b128 v[148:151], off, off offset:832
	v_add_f64_e32 v[188:189], v[188:189], v[194:195]
	s_wait_loadcnt_dscnt 0xb00
	v_mul_f64_e32 v[194:195], v[4:5], v[158:159]
	v_add_f64_e32 v[198:199], v[178:179], v[176:177]
	v_mul_f64_e32 v[158:159], v[6:7], v[158:159]
	ds_load_b128 v[176:179], v2 offset:1632
	v_fmac_f64_e32 v[190:191], v[186:187], v[152:153]
	v_fma_f64 v[184:185], v[184:185], v[152:153], -v[154:155]
	scratch_load_b128 v[152:155], off, off offset:848
	v_add_f64_e32 v[188:189], v[188:189], v[192:193]
	v_fmac_f64_e32 v[194:195], v[6:7], v[156:157]
	v_add_f64_e32 v[186:187], v[198:199], v[196:197]
	;; [unrolled: 18-line block ×3, first 2 shown]
	v_fma_f64 v[196:197], v[4:5], v[168:169], -v[170:171]
	ds_load_b128 v[4:7], v2 offset:1680
	s_wait_loadcnt_dscnt 0xa01
	v_mul_f64_e32 v[194:195], v[184:185], v[182:183]
	v_mul_f64_e32 v[182:183], v[186:187], v[182:183]
	scratch_load_b128 v[168:171], off, off offset:896
	v_add_f64_e32 v[188:189], v[188:189], v[192:193]
	v_add_f64_e32 v[198:199], v[178:179], v[176:177]
	s_wait_loadcnt_dscnt 0xa00
	v_mul_f64_e32 v[192:193], v[4:5], v[166:167]
	v_mul_f64_e32 v[166:167], v[6:7], v[166:167]
	v_fmac_f64_e32 v[194:195], v[186:187], v[180:181]
	v_fma_f64 v[184:185], v[184:185], v[180:181], -v[182:183]
	ds_load_b128 v[176:179], v2 offset:1696
	scratch_load_b128 v[180:183], off, off offset:912
	v_add_f64_e32 v[188:189], v[188:189], v[190:191]
	v_add_f64_e32 v[186:187], v[198:199], v[196:197]
	v_fmac_f64_e32 v[192:193], v[6:7], v[164:165]
	v_fma_f64 v[196:197], v[4:5], v[164:165], -v[166:167]
	ds_load_b128 v[4:7], v2 offset:1712
	s_wait_loadcnt_dscnt 0xa01
	v_mul_f64_e32 v[190:191], v[176:177], v[12:13]
	v_mul_f64_e32 v[12:13], v[178:179], v[12:13]
	scratch_load_b128 v[164:167], off, off offset:928
	v_add_f64_e32 v[188:189], v[188:189], v[194:195]
	s_wait_loadcnt_dscnt 0xa00
	v_mul_f64_e32 v[194:195], v[4:5], v[134:135]
	v_add_f64_e32 v[198:199], v[186:187], v[184:185]
	v_mul_f64_e32 v[134:135], v[6:7], v[134:135]
	ds_load_b128 v[184:187], v2 offset:1728
	v_fmac_f64_e32 v[190:191], v[178:179], v[10:11]
	v_fma_f64 v[10:11], v[176:177], v[10:11], -v[12:13]
	s_wait_loadcnt_dscnt 0x900
	v_mul_f64_e32 v[178:179], v[184:185], v[138:139]
	v_mul_f64_e32 v[138:139], v[186:187], v[138:139]
	v_add_f64_e32 v[176:177], v[188:189], v[192:193]
	v_fmac_f64_e32 v[194:195], v[6:7], v[132:133]
	v_add_f64_e32 v[12:13], v[198:199], v[196:197]
	v_fma_f64 v[132:133], v[4:5], v[132:133], -v[134:135]
	v_fmac_f64_e32 v[178:179], v[186:187], v[136:137]
	v_fma_f64 v[136:137], v[184:185], v[136:137], -v[138:139]
	v_add_f64_e32 v[176:177], v[176:177], v[190:191]
	v_add_f64_e32 v[134:135], v[12:13], v[10:11]
	ds_load_b128 v[4:7], v2 offset:1744
	ds_load_b128 v[10:13], v2 offset:1760
	s_wait_loadcnt_dscnt 0x801
	v_mul_f64_e32 v[188:189], v[4:5], v[142:143]
	v_mul_f64_e32 v[142:143], v[6:7], v[142:143]
	s_wait_loadcnt_dscnt 0x700
	v_mul_f64_e32 v[138:139], v[10:11], v[146:147]
	v_mul_f64_e32 v[146:147], v[12:13], v[146:147]
	v_add_f64_e32 v[132:133], v[134:135], v[132:133]
	v_add_f64_e32 v[134:135], v[176:177], v[194:195]
	v_fmac_f64_e32 v[188:189], v[6:7], v[140:141]
	v_fma_f64 v[140:141], v[4:5], v[140:141], -v[142:143]
	v_fmac_f64_e32 v[138:139], v[12:13], v[144:145]
	v_fma_f64 v[10:11], v[10:11], v[144:145], -v[146:147]
	v_add_f64_e32 v[136:137], v[132:133], v[136:137]
	v_add_f64_e32 v[142:143], v[134:135], v[178:179]
	ds_load_b128 v[4:7], v2 offset:1776
	ds_load_b128 v[132:135], v2 offset:1792
	s_wait_loadcnt_dscnt 0x601
	v_mul_f64_e32 v[176:177], v[4:5], v[150:151]
	v_mul_f64_e32 v[150:151], v[6:7], v[150:151]
	v_add_f64_e32 v[12:13], v[136:137], v[140:141]
	v_add_f64_e32 v[136:137], v[142:143], v[188:189]
	s_wait_loadcnt_dscnt 0x500
	v_mul_f64_e32 v[140:141], v[132:133], v[154:155]
	v_mul_f64_e32 v[142:143], v[134:135], v[154:155]
	v_fmac_f64_e32 v[176:177], v[6:7], v[148:149]
	v_fma_f64 v[144:145], v[4:5], v[148:149], -v[150:151]
	v_add_f64_e32 v[146:147], v[12:13], v[10:11]
	v_add_f64_e32 v[136:137], v[136:137], v[138:139]
	ds_load_b128 v[4:7], v2 offset:1808
	ds_load_b128 v[10:13], v2 offset:1824
	v_fmac_f64_e32 v[140:141], v[134:135], v[152:153]
	v_fma_f64 v[132:133], v[132:133], v[152:153], -v[142:143]
	s_wait_loadcnt_dscnt 0x401
	v_mul_f64_e32 v[138:139], v[4:5], v[158:159]
	v_mul_f64_e32 v[148:149], v[6:7], v[158:159]
	s_wait_loadcnt_dscnt 0x300
	v_mul_f64_e32 v[142:143], v[10:11], v[162:163]
	v_add_f64_e32 v[134:135], v[146:147], v[144:145]
	v_add_f64_e32 v[136:137], v[136:137], v[176:177]
	v_mul_f64_e32 v[144:145], v[12:13], v[162:163]
	v_fmac_f64_e32 v[138:139], v[6:7], v[156:157]
	v_fma_f64 v[146:147], v[4:5], v[156:157], -v[148:149]
	v_fmac_f64_e32 v[142:143], v[12:13], v[160:161]
	v_add_f64_e32 v[148:149], v[134:135], v[132:133]
	v_add_f64_e32 v[136:137], v[136:137], v[140:141]
	ds_load_b128 v[4:7], v2 offset:1840
	ds_load_b128 v[132:135], v2 offset:1856
	v_fma_f64 v[10:11], v[10:11], v[160:161], -v[144:145]
	s_wait_loadcnt_dscnt 0x201
	v_mul_f64_e32 v[140:141], v[4:5], v[170:171]
	v_mul_f64_e32 v[150:151], v[6:7], v[170:171]
	s_wait_loadcnt_dscnt 0x100
	v_mul_f64_e32 v[144:145], v[134:135], v[182:183]
	v_add_f64_e32 v[12:13], v[148:149], v[146:147]
	v_add_f64_e32 v[136:137], v[136:137], v[138:139]
	v_mul_f64_e32 v[138:139], v[132:133], v[182:183]
	v_fmac_f64_e32 v[140:141], v[6:7], v[168:169]
	v_fma_f64 v[146:147], v[4:5], v[168:169], -v[150:151]
	ds_load_b128 v[4:7], v2 offset:1872
	v_fma_f64 v[132:133], v[132:133], v[180:181], -v[144:145]
	v_add_f64_e32 v[10:11], v[12:13], v[10:11]
	v_add_f64_e32 v[12:13], v[136:137], v[142:143]
	v_fmac_f64_e32 v[138:139], v[134:135], v[180:181]
	s_wait_loadcnt_dscnt 0x0
	v_mul_f64_e32 v[136:137], v[4:5], v[166:167]
	v_mul_f64_e32 v[142:143], v[6:7], v[166:167]
	v_add_f64_e32 v[10:11], v[10:11], v[146:147]
	v_add_f64_e32 v[12:13], v[12:13], v[140:141]
	s_delay_alu instid0(VALU_DEP_4) | instskip(NEXT) | instid1(VALU_DEP_4)
	v_fmac_f64_e32 v[136:137], v[6:7], v[164:165]
	v_fma_f64 v[4:5], v[4:5], v[164:165], -v[142:143]
	s_delay_alu instid0(VALU_DEP_4) | instskip(NEXT) | instid1(VALU_DEP_4)
	v_add_f64_e32 v[6:7], v[10:11], v[132:133]
	v_add_f64_e32 v[10:11], v[12:13], v[138:139]
	s_delay_alu instid0(VALU_DEP_2) | instskip(NEXT) | instid1(VALU_DEP_2)
	v_add_f64_e32 v[4:5], v[6:7], v[4:5]
	v_add_f64_e32 v[6:7], v[10:11], v[136:137]
	s_delay_alu instid0(VALU_DEP_2) | instskip(NEXT) | instid1(VALU_DEP_2)
	v_add_f64_e64 v[4:5], v[172:173], -v[4:5]
	v_add_f64_e64 v[6:7], v[174:175], -v[6:7]
	scratch_store_b128 off, v[4:7], off offset:528
	s_wait_xcnt 0x0
	v_cmpx_lt_u32_e32 32, v1
	s_cbranch_execz .LBB122_303
; %bb.302:
	scratch_load_b128 v[10:13], off, s43
	v_dual_mov_b32 v3, v2 :: v_dual_mov_b32 v4, v2
	v_mov_b32_e32 v5, v2
	scratch_store_b128 off, v[2:5], off offset:512
	s_wait_loadcnt 0x0
	ds_store_b128 v8, v[10:13]
.LBB122_303:
	s_wait_xcnt 0x0
	s_or_b32 exec_lo, exec_lo, s2
	s_wait_storecnt_dscnt 0x0
	s_barrier_signal -1
	s_barrier_wait -1
	s_clause 0x9
	scratch_load_b128 v[4:7], off, off offset:528
	scratch_load_b128 v[10:13], off, off offset:544
	;; [unrolled: 1-line block ×10, first 2 shown]
	ds_load_b128 v[164:167], v2 offset:1472
	ds_load_b128 v[172:175], v2 offset:1488
	s_clause 0x2
	scratch_load_b128 v[168:171], off, off offset:688
	scratch_load_b128 v[176:179], off, off offset:512
	;; [unrolled: 1-line block ×3, first 2 shown]
	s_mov_b32 s2, exec_lo
	s_wait_loadcnt_dscnt 0xc01
	v_mul_f64_e32 v[184:185], v[166:167], v[6:7]
	v_mul_f64_e32 v[188:189], v[164:165], v[6:7]
	s_wait_loadcnt_dscnt 0xb00
	v_mul_f64_e32 v[190:191], v[172:173], v[12:13]
	v_mul_f64_e32 v[12:13], v[174:175], v[12:13]
	s_delay_alu instid0(VALU_DEP_4) | instskip(NEXT) | instid1(VALU_DEP_4)
	v_fma_f64 v[192:193], v[164:165], v[4:5], -v[184:185]
	v_fmac_f64_e32 v[188:189], v[166:167], v[4:5]
	ds_load_b128 v[4:7], v2 offset:1504
	ds_load_b128 v[164:167], v2 offset:1520
	scratch_load_b128 v[184:187], off, off offset:720
	v_fmac_f64_e32 v[190:191], v[174:175], v[10:11]
	v_fma_f64 v[172:173], v[172:173], v[10:11], -v[12:13]
	scratch_load_b128 v[10:13], off, off offset:736
	s_wait_loadcnt_dscnt 0xc01
	v_mul_f64_e32 v[194:195], v[4:5], v[134:135]
	v_mul_f64_e32 v[134:135], v[6:7], v[134:135]
	v_add_f64_e32 v[174:175], 0, v[192:193]
	v_add_f64_e32 v[188:189], 0, v[188:189]
	s_wait_loadcnt_dscnt 0xb00
	v_mul_f64_e32 v[192:193], v[164:165], v[138:139]
	v_mul_f64_e32 v[138:139], v[166:167], v[138:139]
	v_fmac_f64_e32 v[194:195], v[6:7], v[132:133]
	v_fma_f64 v[196:197], v[4:5], v[132:133], -v[134:135]
	ds_load_b128 v[4:7], v2 offset:1536
	ds_load_b128 v[132:135], v2 offset:1552
	v_add_f64_e32 v[198:199], v[174:175], v[172:173]
	v_add_f64_e32 v[188:189], v[188:189], v[190:191]
	scratch_load_b128 v[172:175], off, off offset:752
	v_fmac_f64_e32 v[192:193], v[166:167], v[136:137]
	v_fma_f64 v[164:165], v[164:165], v[136:137], -v[138:139]
	scratch_load_b128 v[136:139], off, off offset:768
	s_wait_loadcnt_dscnt 0xc01
	v_mul_f64_e32 v[190:191], v[4:5], v[142:143]
	v_mul_f64_e32 v[142:143], v[6:7], v[142:143]
	v_add_f64_e32 v[166:167], v[198:199], v[196:197]
	v_add_f64_e32 v[188:189], v[188:189], v[194:195]
	s_wait_loadcnt_dscnt 0xb00
	v_mul_f64_e32 v[194:195], v[132:133], v[146:147]
	v_mul_f64_e32 v[146:147], v[134:135], v[146:147]
	v_fmac_f64_e32 v[190:191], v[6:7], v[140:141]
	v_fma_f64 v[196:197], v[4:5], v[140:141], -v[142:143]
	ds_load_b128 v[4:7], v2 offset:1568
	ds_load_b128 v[140:143], v2 offset:1584
	v_add_f64_e32 v[198:199], v[166:167], v[164:165]
	v_add_f64_e32 v[188:189], v[188:189], v[192:193]
	scratch_load_b128 v[164:167], off, off offset:784
	s_wait_loadcnt_dscnt 0xb01
	v_mul_f64_e32 v[192:193], v[4:5], v[150:151]
	v_mul_f64_e32 v[150:151], v[6:7], v[150:151]
	v_fmac_f64_e32 v[194:195], v[134:135], v[144:145]
	v_fma_f64 v[144:145], v[132:133], v[144:145], -v[146:147]
	scratch_load_b128 v[132:135], off, off offset:800
	v_add_f64_e32 v[146:147], v[198:199], v[196:197]
	v_add_f64_e32 v[188:189], v[188:189], v[190:191]
	s_wait_loadcnt_dscnt 0xb00
	v_mul_f64_e32 v[190:191], v[140:141], v[154:155]
	v_mul_f64_e32 v[154:155], v[142:143], v[154:155]
	v_fmac_f64_e32 v[192:193], v[6:7], v[148:149]
	v_fma_f64 v[196:197], v[4:5], v[148:149], -v[150:151]
	v_add_f64_e32 v[198:199], v[146:147], v[144:145]
	v_add_f64_e32 v[188:189], v[188:189], v[194:195]
	ds_load_b128 v[4:7], v2 offset:1600
	ds_load_b128 v[144:147], v2 offset:1616
	scratch_load_b128 v[148:151], off, off offset:816
	v_fmac_f64_e32 v[190:191], v[142:143], v[152:153]
	v_fma_f64 v[152:153], v[140:141], v[152:153], -v[154:155]
	scratch_load_b128 v[140:143], off, off offset:832
	s_wait_loadcnt_dscnt 0xc01
	v_mul_f64_e32 v[194:195], v[4:5], v[158:159]
	v_mul_f64_e32 v[158:159], v[6:7], v[158:159]
	v_add_f64_e32 v[154:155], v[198:199], v[196:197]
	v_add_f64_e32 v[188:189], v[188:189], v[192:193]
	s_wait_loadcnt_dscnt 0xb00
	v_mul_f64_e32 v[192:193], v[144:145], v[162:163]
	v_mul_f64_e32 v[162:163], v[146:147], v[162:163]
	v_fmac_f64_e32 v[194:195], v[6:7], v[156:157]
	v_fma_f64 v[196:197], v[4:5], v[156:157], -v[158:159]
	v_add_f64_e32 v[198:199], v[154:155], v[152:153]
	v_add_f64_e32 v[188:189], v[188:189], v[190:191]
	ds_load_b128 v[4:7], v2 offset:1632
	ds_load_b128 v[152:155], v2 offset:1648
	scratch_load_b128 v[156:159], off, off offset:848
	v_fmac_f64_e32 v[192:193], v[146:147], v[160:161]
	v_fma_f64 v[160:161], v[144:145], v[160:161], -v[162:163]
	scratch_load_b128 v[144:147], off, off offset:864
	s_wait_loadcnt_dscnt 0xc01
	v_mul_f64_e32 v[190:191], v[4:5], v[170:171]
	v_mul_f64_e32 v[170:171], v[6:7], v[170:171]
	;; [unrolled: 18-line block ×4, first 2 shown]
	v_add_f64_e32 v[162:163], v[198:199], v[196:197]
	v_add_f64_e32 v[188:189], v[188:189], v[192:193]
	s_wait_loadcnt_dscnt 0xa00
	v_mul_f64_e32 v[192:193], v[180:181], v[138:139]
	v_mul_f64_e32 v[138:139], v[182:183], v[138:139]
	v_fmac_f64_e32 v[194:195], v[6:7], v[172:173]
	v_fma_f64 v[172:173], v[4:5], v[172:173], -v[174:175]
	v_add_f64_e32 v[174:175], v[162:163], v[160:161]
	v_add_f64_e32 v[188:189], v[188:189], v[190:191]
	ds_load_b128 v[4:7], v2 offset:1728
	ds_load_b128 v[160:163], v2 offset:1744
	v_fmac_f64_e32 v[192:193], v[182:183], v[136:137]
	v_fma_f64 v[136:137], v[180:181], v[136:137], -v[138:139]
	s_wait_loadcnt_dscnt 0x901
	v_mul_f64_e32 v[190:191], v[4:5], v[166:167]
	v_mul_f64_e32 v[166:167], v[6:7], v[166:167]
	s_wait_loadcnt_dscnt 0x800
	v_mul_f64_e32 v[180:181], v[162:163], v[134:135]
	v_add_f64_e32 v[138:139], v[174:175], v[172:173]
	v_add_f64_e32 v[172:173], v[188:189], v[194:195]
	v_mul_f64_e32 v[174:175], v[160:161], v[134:135]
	v_fmac_f64_e32 v[190:191], v[6:7], v[164:165]
	v_fma_f64 v[164:165], v[4:5], v[164:165], -v[166:167]
	v_add_f64_e32 v[138:139], v[138:139], v[136:137]
	v_add_f64_e32 v[166:167], v[172:173], v[192:193]
	ds_load_b128 v[4:7], v2 offset:1760
	ds_load_b128 v[134:137], v2 offset:1776
	v_fmac_f64_e32 v[174:175], v[162:163], v[132:133]
	v_fma_f64 v[132:133], v[160:161], v[132:133], -v[180:181]
	s_wait_loadcnt_dscnt 0x701
	v_mul_f64_e32 v[172:173], v[4:5], v[150:151]
	v_mul_f64_e32 v[150:151], v[6:7], v[150:151]
	s_wait_loadcnt_dscnt 0x600
	v_mul_f64_e32 v[162:163], v[134:135], v[142:143]
	v_mul_f64_e32 v[142:143], v[136:137], v[142:143]
	v_add_f64_e32 v[138:139], v[138:139], v[164:165]
	v_add_f64_e32 v[160:161], v[166:167], v[190:191]
	v_fmac_f64_e32 v[172:173], v[6:7], v[148:149]
	v_fma_f64 v[164:165], v[4:5], v[148:149], -v[150:151]
	ds_load_b128 v[4:7], v2 offset:1792
	ds_load_b128 v[148:151], v2 offset:1808
	v_fmac_f64_e32 v[162:163], v[136:137], v[140:141]
	v_fma_f64 v[134:135], v[134:135], v[140:141], -v[142:143]
	v_add_f64_e32 v[132:133], v[138:139], v[132:133]
	v_add_f64_e32 v[138:139], v[160:161], v[174:175]
	s_wait_loadcnt_dscnt 0x501
	v_mul_f64_e32 v[160:161], v[4:5], v[158:159]
	v_mul_f64_e32 v[158:159], v[6:7], v[158:159]
	s_wait_loadcnt_dscnt 0x400
	v_mul_f64_e32 v[140:141], v[150:151], v[146:147]
	v_add_f64_e32 v[132:133], v[132:133], v[164:165]
	v_add_f64_e32 v[136:137], v[138:139], v[172:173]
	v_mul_f64_e32 v[138:139], v[148:149], v[146:147]
	v_fmac_f64_e32 v[160:161], v[6:7], v[156:157]
	v_fma_f64 v[142:143], v[4:5], v[156:157], -v[158:159]
	v_fma_f64 v[140:141], v[148:149], v[144:145], -v[140:141]
	v_add_f64_e32 v[146:147], v[132:133], v[134:135]
	v_add_f64_e32 v[136:137], v[136:137], v[162:163]
	ds_load_b128 v[4:7], v2 offset:1824
	ds_load_b128 v[132:135], v2 offset:1840
	v_fmac_f64_e32 v[138:139], v[150:151], v[144:145]
	s_wait_loadcnt_dscnt 0x301
	v_mul_f64_e32 v[156:157], v[4:5], v[170:171]
	v_mul_f64_e32 v[158:159], v[6:7], v[170:171]
	s_wait_loadcnt_dscnt 0x200
	v_mul_f64_e32 v[144:145], v[132:133], v[154:155]
	v_add_f64_e32 v[142:143], v[146:147], v[142:143]
	v_add_f64_e32 v[136:137], v[136:137], v[160:161]
	v_mul_f64_e32 v[146:147], v[134:135], v[154:155]
	v_fmac_f64_e32 v[156:157], v[6:7], v[168:169]
	v_fma_f64 v[148:149], v[4:5], v[168:169], -v[158:159]
	v_fmac_f64_e32 v[144:145], v[134:135], v[152:153]
	v_add_f64_e32 v[140:141], v[142:143], v[140:141]
	v_add_f64_e32 v[142:143], v[136:137], v[138:139]
	ds_load_b128 v[4:7], v2 offset:1856
	ds_load_b128 v[136:139], v2 offset:1872
	v_fma_f64 v[132:133], v[132:133], v[152:153], -v[146:147]
	s_wait_loadcnt_dscnt 0x101
	v_mul_f64_e32 v[2:3], v[4:5], v[186:187]
	v_mul_f64_e32 v[150:151], v[6:7], v[186:187]
	v_add_f64_e32 v[134:135], v[140:141], v[148:149]
	v_add_f64_e32 v[140:141], v[142:143], v[156:157]
	s_wait_loadcnt_dscnt 0x0
	v_mul_f64_e32 v[142:143], v[136:137], v[12:13]
	v_mul_f64_e32 v[12:13], v[138:139], v[12:13]
	v_fmac_f64_e32 v[2:3], v[6:7], v[184:185]
	v_fma_f64 v[4:5], v[4:5], v[184:185], -v[150:151]
	v_add_f64_e32 v[6:7], v[134:135], v[132:133]
	v_add_f64_e32 v[132:133], v[140:141], v[144:145]
	v_fmac_f64_e32 v[142:143], v[138:139], v[10:11]
	v_fma_f64 v[10:11], v[136:137], v[10:11], -v[12:13]
	s_delay_alu instid0(VALU_DEP_4) | instskip(NEXT) | instid1(VALU_DEP_4)
	v_add_f64_e32 v[4:5], v[6:7], v[4:5]
	v_add_f64_e32 v[2:3], v[132:133], v[2:3]
	s_delay_alu instid0(VALU_DEP_2) | instskip(NEXT) | instid1(VALU_DEP_2)
	v_add_f64_e32 v[4:5], v[4:5], v[10:11]
	v_add_f64_e32 v[6:7], v[2:3], v[142:143]
	s_delay_alu instid0(VALU_DEP_2) | instskip(NEXT) | instid1(VALU_DEP_2)
	v_add_f64_e64 v[2:3], v[176:177], -v[4:5]
	v_add_f64_e64 v[4:5], v[178:179], -v[6:7]
	scratch_store_b128 off, v[2:5], off offset:512
	s_wait_xcnt 0x0
	v_cmpx_lt_u32_e32 31, v1
	s_cbranch_execz .LBB122_305
; %bb.304:
	scratch_load_b128 v[2:5], off, s44
	v_mov_b32_e32 v10, 0
	s_delay_alu instid0(VALU_DEP_1)
	v_dual_mov_b32 v11, v10 :: v_dual_mov_b32 v12, v10
	v_mov_b32_e32 v13, v10
	scratch_store_b128 off, v[10:13], off offset:496
	s_wait_loadcnt 0x0
	ds_store_b128 v8, v[2:5]
.LBB122_305:
	s_wait_xcnt 0x0
	s_or_b32 exec_lo, exec_lo, s2
	s_wait_storecnt_dscnt 0x0
	s_barrier_signal -1
	s_barrier_wait -1
	s_clause 0x9
	scratch_load_b128 v[4:7], off, off offset:512
	scratch_load_b128 v[10:13], off, off offset:528
	;; [unrolled: 1-line block ×10, first 2 shown]
	v_mov_b32_e32 v2, 0
	s_mov_b32 s2, exec_lo
	ds_load_b128 v[164:167], v2 offset:1456
	s_clause 0x2
	scratch_load_b128 v[168:171], off, off offset:672
	scratch_load_b128 v[172:175], off, off offset:496
	;; [unrolled: 1-line block ×3, first 2 shown]
	s_wait_loadcnt_dscnt 0xc00
	v_mul_f64_e32 v[184:185], v[166:167], v[6:7]
	v_mul_f64_e32 v[188:189], v[164:165], v[6:7]
	ds_load_b128 v[176:179], v2 offset:1472
	v_fma_f64 v[192:193], v[164:165], v[4:5], -v[184:185]
	v_fmac_f64_e32 v[188:189], v[166:167], v[4:5]
	ds_load_b128 v[4:7], v2 offset:1488
	s_wait_loadcnt_dscnt 0xb01
	v_mul_f64_e32 v[190:191], v[176:177], v[12:13]
	v_mul_f64_e32 v[12:13], v[178:179], v[12:13]
	scratch_load_b128 v[164:167], off, off offset:704
	ds_load_b128 v[184:187], v2 offset:1504
	s_wait_loadcnt_dscnt 0xb01
	v_mul_f64_e32 v[194:195], v[4:5], v[134:135]
	v_mul_f64_e32 v[134:135], v[6:7], v[134:135]
	v_add_f64_e32 v[188:189], 0, v[188:189]
	v_fmac_f64_e32 v[190:191], v[178:179], v[10:11]
	v_fma_f64 v[176:177], v[176:177], v[10:11], -v[12:13]
	v_add_f64_e32 v[178:179], 0, v[192:193]
	scratch_load_b128 v[10:13], off, off offset:720
	v_fmac_f64_e32 v[194:195], v[6:7], v[132:133]
	v_fma_f64 v[196:197], v[4:5], v[132:133], -v[134:135]
	ds_load_b128 v[4:7], v2 offset:1520
	s_wait_loadcnt_dscnt 0xb01
	v_mul_f64_e32 v[192:193], v[184:185], v[138:139]
	v_mul_f64_e32 v[138:139], v[186:187], v[138:139]
	scratch_load_b128 v[132:135], off, off offset:736
	v_add_f64_e32 v[188:189], v[188:189], v[190:191]
	v_add_f64_e32 v[198:199], v[178:179], v[176:177]
	ds_load_b128 v[176:179], v2 offset:1536
	s_wait_loadcnt_dscnt 0xb01
	v_mul_f64_e32 v[190:191], v[4:5], v[142:143]
	v_mul_f64_e32 v[142:143], v[6:7], v[142:143]
	v_fmac_f64_e32 v[192:193], v[186:187], v[136:137]
	v_fma_f64 v[184:185], v[184:185], v[136:137], -v[138:139]
	scratch_load_b128 v[136:139], off, off offset:752
	v_add_f64_e32 v[188:189], v[188:189], v[194:195]
	v_add_f64_e32 v[186:187], v[198:199], v[196:197]
	v_fmac_f64_e32 v[190:191], v[6:7], v[140:141]
	v_fma_f64 v[196:197], v[4:5], v[140:141], -v[142:143]
	ds_load_b128 v[4:7], v2 offset:1552
	s_wait_loadcnt_dscnt 0xb01
	v_mul_f64_e32 v[194:195], v[176:177], v[146:147]
	v_mul_f64_e32 v[146:147], v[178:179], v[146:147]
	scratch_load_b128 v[140:143], off, off offset:768
	v_add_f64_e32 v[188:189], v[188:189], v[192:193]
	s_wait_loadcnt_dscnt 0xb00
	v_mul_f64_e32 v[192:193], v[4:5], v[150:151]
	v_add_f64_e32 v[198:199], v[186:187], v[184:185]
	v_mul_f64_e32 v[150:151], v[6:7], v[150:151]
	ds_load_b128 v[184:187], v2 offset:1568
	v_fmac_f64_e32 v[194:195], v[178:179], v[144:145]
	v_fma_f64 v[176:177], v[176:177], v[144:145], -v[146:147]
	scratch_load_b128 v[144:147], off, off offset:784
	v_add_f64_e32 v[188:189], v[188:189], v[190:191]
	v_fmac_f64_e32 v[192:193], v[6:7], v[148:149]
	v_add_f64_e32 v[178:179], v[198:199], v[196:197]
	v_fma_f64 v[196:197], v[4:5], v[148:149], -v[150:151]
	ds_load_b128 v[4:7], v2 offset:1584
	s_wait_loadcnt_dscnt 0xb01
	v_mul_f64_e32 v[190:191], v[184:185], v[154:155]
	v_mul_f64_e32 v[154:155], v[186:187], v[154:155]
	scratch_load_b128 v[148:151], off, off offset:800
	v_add_f64_e32 v[188:189], v[188:189], v[194:195]
	s_wait_loadcnt_dscnt 0xb00
	v_mul_f64_e32 v[194:195], v[4:5], v[158:159]
	v_add_f64_e32 v[198:199], v[178:179], v[176:177]
	v_mul_f64_e32 v[158:159], v[6:7], v[158:159]
	ds_load_b128 v[176:179], v2 offset:1600
	v_fmac_f64_e32 v[190:191], v[186:187], v[152:153]
	v_fma_f64 v[184:185], v[184:185], v[152:153], -v[154:155]
	scratch_load_b128 v[152:155], off, off offset:816
	v_add_f64_e32 v[188:189], v[188:189], v[192:193]
	v_fmac_f64_e32 v[194:195], v[6:7], v[156:157]
	v_add_f64_e32 v[186:187], v[198:199], v[196:197]
	;; [unrolled: 18-line block ×3, first 2 shown]
	v_fma_f64 v[196:197], v[4:5], v[168:169], -v[170:171]
	ds_load_b128 v[4:7], v2 offset:1648
	s_wait_loadcnt_dscnt 0xa01
	v_mul_f64_e32 v[194:195], v[184:185], v[182:183]
	v_mul_f64_e32 v[182:183], v[186:187], v[182:183]
	scratch_load_b128 v[168:171], off, off offset:864
	v_add_f64_e32 v[188:189], v[188:189], v[192:193]
	v_add_f64_e32 v[198:199], v[178:179], v[176:177]
	s_wait_loadcnt_dscnt 0xa00
	v_mul_f64_e32 v[192:193], v[4:5], v[166:167]
	v_mul_f64_e32 v[166:167], v[6:7], v[166:167]
	v_fmac_f64_e32 v[194:195], v[186:187], v[180:181]
	v_fma_f64 v[184:185], v[184:185], v[180:181], -v[182:183]
	ds_load_b128 v[176:179], v2 offset:1664
	scratch_load_b128 v[180:183], off, off offset:880
	v_add_f64_e32 v[188:189], v[188:189], v[190:191]
	v_add_f64_e32 v[186:187], v[198:199], v[196:197]
	v_fmac_f64_e32 v[192:193], v[6:7], v[164:165]
	v_fma_f64 v[196:197], v[4:5], v[164:165], -v[166:167]
	ds_load_b128 v[4:7], v2 offset:1680
	s_wait_loadcnt_dscnt 0xa01
	v_mul_f64_e32 v[190:191], v[176:177], v[12:13]
	v_mul_f64_e32 v[12:13], v[178:179], v[12:13]
	scratch_load_b128 v[164:167], off, off offset:896
	v_add_f64_e32 v[188:189], v[188:189], v[194:195]
	s_wait_loadcnt_dscnt 0xa00
	v_mul_f64_e32 v[194:195], v[4:5], v[134:135]
	v_add_f64_e32 v[198:199], v[186:187], v[184:185]
	v_mul_f64_e32 v[134:135], v[6:7], v[134:135]
	ds_load_b128 v[184:187], v2 offset:1696
	v_fmac_f64_e32 v[190:191], v[178:179], v[10:11]
	v_fma_f64 v[176:177], v[176:177], v[10:11], -v[12:13]
	scratch_load_b128 v[10:13], off, off offset:912
	v_add_f64_e32 v[188:189], v[188:189], v[192:193]
	v_fmac_f64_e32 v[194:195], v[6:7], v[132:133]
	v_add_f64_e32 v[178:179], v[198:199], v[196:197]
	v_fma_f64 v[196:197], v[4:5], v[132:133], -v[134:135]
	ds_load_b128 v[4:7], v2 offset:1712
	s_wait_loadcnt_dscnt 0xa01
	v_mul_f64_e32 v[192:193], v[184:185], v[138:139]
	v_mul_f64_e32 v[138:139], v[186:187], v[138:139]
	scratch_load_b128 v[132:135], off, off offset:928
	v_add_f64_e32 v[188:189], v[188:189], v[190:191]
	s_wait_loadcnt_dscnt 0xa00
	v_mul_f64_e32 v[190:191], v[4:5], v[142:143]
	v_add_f64_e32 v[198:199], v[178:179], v[176:177]
	v_mul_f64_e32 v[142:143], v[6:7], v[142:143]
	ds_load_b128 v[176:179], v2 offset:1728
	v_fmac_f64_e32 v[192:193], v[186:187], v[136:137]
	v_fma_f64 v[136:137], v[184:185], v[136:137], -v[138:139]
	s_wait_loadcnt_dscnt 0x900
	v_mul_f64_e32 v[186:187], v[176:177], v[146:147]
	v_mul_f64_e32 v[146:147], v[178:179], v[146:147]
	v_add_f64_e32 v[184:185], v[188:189], v[194:195]
	v_fmac_f64_e32 v[190:191], v[6:7], v[140:141]
	v_add_f64_e32 v[138:139], v[198:199], v[196:197]
	v_fma_f64 v[140:141], v[4:5], v[140:141], -v[142:143]
	v_fmac_f64_e32 v[186:187], v[178:179], v[144:145]
	v_fma_f64 v[144:145], v[176:177], v[144:145], -v[146:147]
	v_add_f64_e32 v[184:185], v[184:185], v[192:193]
	v_add_f64_e32 v[142:143], v[138:139], v[136:137]
	ds_load_b128 v[4:7], v2 offset:1744
	ds_load_b128 v[136:139], v2 offset:1760
	s_wait_loadcnt_dscnt 0x801
	v_mul_f64_e32 v[188:189], v[4:5], v[150:151]
	v_mul_f64_e32 v[150:151], v[6:7], v[150:151]
	s_wait_loadcnt_dscnt 0x700
	v_mul_f64_e32 v[146:147], v[136:137], v[154:155]
	v_mul_f64_e32 v[154:155], v[138:139], v[154:155]
	v_add_f64_e32 v[140:141], v[142:143], v[140:141]
	v_add_f64_e32 v[142:143], v[184:185], v[190:191]
	v_fmac_f64_e32 v[188:189], v[6:7], v[148:149]
	v_fma_f64 v[148:149], v[4:5], v[148:149], -v[150:151]
	v_fmac_f64_e32 v[146:147], v[138:139], v[152:153]
	v_fma_f64 v[136:137], v[136:137], v[152:153], -v[154:155]
	v_add_f64_e32 v[144:145], v[140:141], v[144:145]
	v_add_f64_e32 v[150:151], v[142:143], v[186:187]
	ds_load_b128 v[4:7], v2 offset:1776
	ds_load_b128 v[140:143], v2 offset:1792
	s_wait_loadcnt_dscnt 0x601
	v_mul_f64_e32 v[176:177], v[4:5], v[158:159]
	v_mul_f64_e32 v[158:159], v[6:7], v[158:159]
	v_add_f64_e32 v[138:139], v[144:145], v[148:149]
	v_add_f64_e32 v[144:145], v[150:151], v[188:189]
	s_wait_loadcnt_dscnt 0x500
	v_mul_f64_e32 v[148:149], v[140:141], v[162:163]
	v_mul_f64_e32 v[150:151], v[142:143], v[162:163]
	v_fmac_f64_e32 v[176:177], v[6:7], v[156:157]
	v_fma_f64 v[152:153], v[4:5], v[156:157], -v[158:159]
	v_add_f64_e32 v[154:155], v[138:139], v[136:137]
	v_add_f64_e32 v[144:145], v[144:145], v[146:147]
	ds_load_b128 v[4:7], v2 offset:1808
	ds_load_b128 v[136:139], v2 offset:1824
	v_fmac_f64_e32 v[148:149], v[142:143], v[160:161]
	v_fma_f64 v[140:141], v[140:141], v[160:161], -v[150:151]
	s_wait_loadcnt_dscnt 0x401
	v_mul_f64_e32 v[146:147], v[4:5], v[170:171]
	v_mul_f64_e32 v[156:157], v[6:7], v[170:171]
	s_wait_loadcnt_dscnt 0x300
	v_mul_f64_e32 v[150:151], v[136:137], v[182:183]
	v_add_f64_e32 v[142:143], v[154:155], v[152:153]
	v_add_f64_e32 v[144:145], v[144:145], v[176:177]
	v_mul_f64_e32 v[152:153], v[138:139], v[182:183]
	v_fmac_f64_e32 v[146:147], v[6:7], v[168:169]
	v_fma_f64 v[154:155], v[4:5], v[168:169], -v[156:157]
	v_fmac_f64_e32 v[150:151], v[138:139], v[180:181]
	v_add_f64_e32 v[156:157], v[142:143], v[140:141]
	v_add_f64_e32 v[144:145], v[144:145], v[148:149]
	ds_load_b128 v[4:7], v2 offset:1840
	ds_load_b128 v[140:143], v2 offset:1856
	v_fma_f64 v[136:137], v[136:137], v[180:181], -v[152:153]
	s_wait_loadcnt_dscnt 0x201
	v_mul_f64_e32 v[148:149], v[4:5], v[166:167]
	v_mul_f64_e32 v[158:159], v[6:7], v[166:167]
	v_add_f64_e32 v[138:139], v[156:157], v[154:155]
	v_add_f64_e32 v[144:145], v[144:145], v[146:147]
	s_wait_loadcnt_dscnt 0x100
	v_mul_f64_e32 v[146:147], v[140:141], v[12:13]
	v_mul_f64_e32 v[12:13], v[142:143], v[12:13]
	v_fmac_f64_e32 v[148:149], v[6:7], v[164:165]
	v_fma_f64 v[152:153], v[4:5], v[164:165], -v[158:159]
	ds_load_b128 v[4:7], v2 offset:1872
	v_add_f64_e32 v[136:137], v[138:139], v[136:137]
	v_add_f64_e32 v[138:139], v[144:145], v[150:151]
	v_fmac_f64_e32 v[146:147], v[142:143], v[10:11]
	v_fma_f64 v[10:11], v[140:141], v[10:11], -v[12:13]
	s_wait_loadcnt_dscnt 0x0
	v_mul_f64_e32 v[144:145], v[4:5], v[134:135]
	v_mul_f64_e32 v[134:135], v[6:7], v[134:135]
	v_add_f64_e32 v[12:13], v[136:137], v[152:153]
	v_add_f64_e32 v[136:137], v[138:139], v[148:149]
	s_delay_alu instid0(VALU_DEP_4) | instskip(NEXT) | instid1(VALU_DEP_4)
	v_fmac_f64_e32 v[144:145], v[6:7], v[132:133]
	v_fma_f64 v[4:5], v[4:5], v[132:133], -v[134:135]
	s_delay_alu instid0(VALU_DEP_4) | instskip(NEXT) | instid1(VALU_DEP_4)
	v_add_f64_e32 v[6:7], v[12:13], v[10:11]
	v_add_f64_e32 v[10:11], v[136:137], v[146:147]
	s_delay_alu instid0(VALU_DEP_2) | instskip(NEXT) | instid1(VALU_DEP_2)
	v_add_f64_e32 v[4:5], v[6:7], v[4:5]
	v_add_f64_e32 v[6:7], v[10:11], v[144:145]
	s_delay_alu instid0(VALU_DEP_2) | instskip(NEXT) | instid1(VALU_DEP_2)
	v_add_f64_e64 v[4:5], v[172:173], -v[4:5]
	v_add_f64_e64 v[6:7], v[174:175], -v[6:7]
	scratch_store_b128 off, v[4:7], off offset:496
	s_wait_xcnt 0x0
	v_cmpx_lt_u32_e32 30, v1
	s_cbranch_execz .LBB122_307
; %bb.306:
	scratch_load_b128 v[10:13], off, s45
	v_dual_mov_b32 v3, v2 :: v_dual_mov_b32 v4, v2
	v_mov_b32_e32 v5, v2
	scratch_store_b128 off, v[2:5], off offset:480
	s_wait_loadcnt 0x0
	ds_store_b128 v8, v[10:13]
.LBB122_307:
	s_wait_xcnt 0x0
	s_or_b32 exec_lo, exec_lo, s2
	s_wait_storecnt_dscnt 0x0
	s_barrier_signal -1
	s_barrier_wait -1
	s_clause 0x9
	scratch_load_b128 v[4:7], off, off offset:496
	scratch_load_b128 v[10:13], off, off offset:512
	;; [unrolled: 1-line block ×10, first 2 shown]
	ds_load_b128 v[164:167], v2 offset:1440
	ds_load_b128 v[172:175], v2 offset:1456
	s_clause 0x2
	scratch_load_b128 v[168:171], off, off offset:656
	scratch_load_b128 v[176:179], off, off offset:480
	;; [unrolled: 1-line block ×3, first 2 shown]
	s_mov_b32 s2, exec_lo
	s_wait_loadcnt_dscnt 0xc01
	v_mul_f64_e32 v[184:185], v[166:167], v[6:7]
	v_mul_f64_e32 v[188:189], v[164:165], v[6:7]
	s_wait_loadcnt_dscnt 0xb00
	v_mul_f64_e32 v[190:191], v[172:173], v[12:13]
	v_mul_f64_e32 v[12:13], v[174:175], v[12:13]
	s_delay_alu instid0(VALU_DEP_4) | instskip(NEXT) | instid1(VALU_DEP_4)
	v_fma_f64 v[192:193], v[164:165], v[4:5], -v[184:185]
	v_fmac_f64_e32 v[188:189], v[166:167], v[4:5]
	ds_load_b128 v[4:7], v2 offset:1472
	ds_load_b128 v[164:167], v2 offset:1488
	scratch_load_b128 v[184:187], off, off offset:688
	v_fmac_f64_e32 v[190:191], v[174:175], v[10:11]
	v_fma_f64 v[172:173], v[172:173], v[10:11], -v[12:13]
	scratch_load_b128 v[10:13], off, off offset:704
	s_wait_loadcnt_dscnt 0xc01
	v_mul_f64_e32 v[194:195], v[4:5], v[134:135]
	v_mul_f64_e32 v[134:135], v[6:7], v[134:135]
	v_add_f64_e32 v[174:175], 0, v[192:193]
	v_add_f64_e32 v[188:189], 0, v[188:189]
	s_wait_loadcnt_dscnt 0xb00
	v_mul_f64_e32 v[192:193], v[164:165], v[138:139]
	v_mul_f64_e32 v[138:139], v[166:167], v[138:139]
	v_fmac_f64_e32 v[194:195], v[6:7], v[132:133]
	v_fma_f64 v[196:197], v[4:5], v[132:133], -v[134:135]
	ds_load_b128 v[4:7], v2 offset:1504
	ds_load_b128 v[132:135], v2 offset:1520
	v_add_f64_e32 v[198:199], v[174:175], v[172:173]
	v_add_f64_e32 v[188:189], v[188:189], v[190:191]
	scratch_load_b128 v[172:175], off, off offset:720
	v_fmac_f64_e32 v[192:193], v[166:167], v[136:137]
	v_fma_f64 v[164:165], v[164:165], v[136:137], -v[138:139]
	scratch_load_b128 v[136:139], off, off offset:736
	s_wait_loadcnt_dscnt 0xc01
	v_mul_f64_e32 v[190:191], v[4:5], v[142:143]
	v_mul_f64_e32 v[142:143], v[6:7], v[142:143]
	v_add_f64_e32 v[166:167], v[198:199], v[196:197]
	v_add_f64_e32 v[188:189], v[188:189], v[194:195]
	s_wait_loadcnt_dscnt 0xb00
	v_mul_f64_e32 v[194:195], v[132:133], v[146:147]
	v_mul_f64_e32 v[146:147], v[134:135], v[146:147]
	v_fmac_f64_e32 v[190:191], v[6:7], v[140:141]
	v_fma_f64 v[196:197], v[4:5], v[140:141], -v[142:143]
	ds_load_b128 v[4:7], v2 offset:1536
	ds_load_b128 v[140:143], v2 offset:1552
	v_add_f64_e32 v[198:199], v[166:167], v[164:165]
	v_add_f64_e32 v[188:189], v[188:189], v[192:193]
	scratch_load_b128 v[164:167], off, off offset:752
	s_wait_loadcnt_dscnt 0xb01
	v_mul_f64_e32 v[192:193], v[4:5], v[150:151]
	v_mul_f64_e32 v[150:151], v[6:7], v[150:151]
	v_fmac_f64_e32 v[194:195], v[134:135], v[144:145]
	v_fma_f64 v[144:145], v[132:133], v[144:145], -v[146:147]
	scratch_load_b128 v[132:135], off, off offset:768
	v_add_f64_e32 v[146:147], v[198:199], v[196:197]
	v_add_f64_e32 v[188:189], v[188:189], v[190:191]
	s_wait_loadcnt_dscnt 0xb00
	v_mul_f64_e32 v[190:191], v[140:141], v[154:155]
	v_mul_f64_e32 v[154:155], v[142:143], v[154:155]
	v_fmac_f64_e32 v[192:193], v[6:7], v[148:149]
	v_fma_f64 v[196:197], v[4:5], v[148:149], -v[150:151]
	v_add_f64_e32 v[198:199], v[146:147], v[144:145]
	v_add_f64_e32 v[188:189], v[188:189], v[194:195]
	ds_load_b128 v[4:7], v2 offset:1568
	ds_load_b128 v[144:147], v2 offset:1584
	scratch_load_b128 v[148:151], off, off offset:784
	v_fmac_f64_e32 v[190:191], v[142:143], v[152:153]
	v_fma_f64 v[152:153], v[140:141], v[152:153], -v[154:155]
	scratch_load_b128 v[140:143], off, off offset:800
	s_wait_loadcnt_dscnt 0xc01
	v_mul_f64_e32 v[194:195], v[4:5], v[158:159]
	v_mul_f64_e32 v[158:159], v[6:7], v[158:159]
	v_add_f64_e32 v[154:155], v[198:199], v[196:197]
	v_add_f64_e32 v[188:189], v[188:189], v[192:193]
	s_wait_loadcnt_dscnt 0xb00
	v_mul_f64_e32 v[192:193], v[144:145], v[162:163]
	v_mul_f64_e32 v[162:163], v[146:147], v[162:163]
	v_fmac_f64_e32 v[194:195], v[6:7], v[156:157]
	v_fma_f64 v[196:197], v[4:5], v[156:157], -v[158:159]
	v_add_f64_e32 v[198:199], v[154:155], v[152:153]
	v_add_f64_e32 v[188:189], v[188:189], v[190:191]
	ds_load_b128 v[4:7], v2 offset:1600
	ds_load_b128 v[152:155], v2 offset:1616
	scratch_load_b128 v[156:159], off, off offset:816
	v_fmac_f64_e32 v[192:193], v[146:147], v[160:161]
	v_fma_f64 v[160:161], v[144:145], v[160:161], -v[162:163]
	scratch_load_b128 v[144:147], off, off offset:832
	s_wait_loadcnt_dscnt 0xc01
	v_mul_f64_e32 v[190:191], v[4:5], v[170:171]
	v_mul_f64_e32 v[170:171], v[6:7], v[170:171]
	;; [unrolled: 18-line block ×5, first 2 shown]
	v_add_f64_e32 v[182:183], v[198:199], v[196:197]
	v_add_f64_e32 v[188:189], v[188:189], v[194:195]
	s_wait_loadcnt_dscnt 0xa00
	v_mul_f64_e32 v[194:195], v[160:161], v[134:135]
	v_mul_f64_e32 v[134:135], v[162:163], v[134:135]
	v_fmac_f64_e32 v[190:191], v[6:7], v[164:165]
	v_fma_f64 v[196:197], v[4:5], v[164:165], -v[166:167]
	ds_load_b128 v[4:7], v2 offset:1728
	ds_load_b128 v[164:167], v2 offset:1744
	v_add_f64_e32 v[180:181], v[182:183], v[180:181]
	v_add_f64_e32 v[182:183], v[188:189], v[192:193]
	v_fmac_f64_e32 v[194:195], v[162:163], v[132:133]
	v_fma_f64 v[132:133], v[160:161], v[132:133], -v[134:135]
	s_wait_loadcnt_dscnt 0x901
	v_mul_f64_e32 v[188:189], v[4:5], v[150:151]
	v_mul_f64_e32 v[150:151], v[6:7], v[150:151]
	s_wait_loadcnt_dscnt 0x800
	v_mul_f64_e32 v[162:163], v[164:165], v[142:143]
	v_mul_f64_e32 v[142:143], v[166:167], v[142:143]
	v_add_f64_e32 v[134:135], v[180:181], v[196:197]
	v_add_f64_e32 v[160:161], v[182:183], v[190:191]
	v_fmac_f64_e32 v[188:189], v[6:7], v[148:149]
	v_fma_f64 v[148:149], v[4:5], v[148:149], -v[150:151]
	v_fmac_f64_e32 v[162:163], v[166:167], v[140:141]
	v_fma_f64 v[140:141], v[164:165], v[140:141], -v[142:143]
	v_add_f64_e32 v[150:151], v[134:135], v[132:133]
	v_add_f64_e32 v[160:161], v[160:161], v[194:195]
	ds_load_b128 v[4:7], v2 offset:1760
	ds_load_b128 v[132:135], v2 offset:1776
	s_wait_loadcnt_dscnt 0x701
	v_mul_f64_e32 v[180:181], v[4:5], v[158:159]
	v_mul_f64_e32 v[158:159], v[6:7], v[158:159]
	v_add_f64_e32 v[142:143], v[150:151], v[148:149]
	v_add_f64_e32 v[148:149], v[160:161], v[188:189]
	s_wait_loadcnt_dscnt 0x600
	v_mul_f64_e32 v[150:151], v[132:133], v[146:147]
	v_mul_f64_e32 v[146:147], v[134:135], v[146:147]
	v_fmac_f64_e32 v[180:181], v[6:7], v[156:157]
	v_fma_f64 v[156:157], v[4:5], v[156:157], -v[158:159]
	v_add_f64_e32 v[158:159], v[142:143], v[140:141]
	v_add_f64_e32 v[148:149], v[148:149], v[162:163]
	ds_load_b128 v[4:7], v2 offset:1792
	ds_load_b128 v[140:143], v2 offset:1808
	v_fmac_f64_e32 v[150:151], v[134:135], v[144:145]
	v_fma_f64 v[132:133], v[132:133], v[144:145], -v[146:147]
	s_wait_loadcnt_dscnt 0x501
	v_mul_f64_e32 v[160:161], v[4:5], v[170:171]
	v_mul_f64_e32 v[162:163], v[6:7], v[170:171]
	s_wait_loadcnt_dscnt 0x400
	v_mul_f64_e32 v[146:147], v[140:141], v[154:155]
	v_add_f64_e32 v[134:135], v[158:159], v[156:157]
	v_add_f64_e32 v[144:145], v[148:149], v[180:181]
	v_mul_f64_e32 v[148:149], v[142:143], v[154:155]
	v_fmac_f64_e32 v[160:161], v[6:7], v[168:169]
	v_fma_f64 v[154:155], v[4:5], v[168:169], -v[162:163]
	v_fmac_f64_e32 v[146:147], v[142:143], v[152:153]
	v_add_f64_e32 v[156:157], v[134:135], v[132:133]
	v_add_f64_e32 v[144:145], v[144:145], v[150:151]
	ds_load_b128 v[4:7], v2 offset:1824
	ds_load_b128 v[132:135], v2 offset:1840
	v_fma_f64 v[140:141], v[140:141], v[152:153], -v[148:149]
	s_wait_loadcnt_dscnt 0x301
	v_mul_f64_e32 v[150:151], v[4:5], v[186:187]
	v_mul_f64_e32 v[158:159], v[6:7], v[186:187]
	s_wait_loadcnt_dscnt 0x200
	v_mul_f64_e32 v[148:149], v[132:133], v[12:13]
	v_mul_f64_e32 v[12:13], v[134:135], v[12:13]
	v_add_f64_e32 v[142:143], v[156:157], v[154:155]
	v_add_f64_e32 v[144:145], v[144:145], v[160:161]
	v_fmac_f64_e32 v[150:151], v[6:7], v[184:185]
	v_fma_f64 v[152:153], v[4:5], v[184:185], -v[158:159]
	v_fmac_f64_e32 v[148:149], v[134:135], v[10:11]
	v_fma_f64 v[10:11], v[132:133], v[10:11], -v[12:13]
	v_add_f64_e32 v[154:155], v[142:143], v[140:141]
	v_add_f64_e32 v[144:145], v[144:145], v[146:147]
	ds_load_b128 v[4:7], v2 offset:1856
	ds_load_b128 v[140:143], v2 offset:1872
	s_wait_loadcnt_dscnt 0x101
	v_mul_f64_e32 v[2:3], v[4:5], v[174:175]
	v_mul_f64_e32 v[146:147], v[6:7], v[174:175]
	s_wait_loadcnt_dscnt 0x0
	v_mul_f64_e32 v[134:135], v[140:141], v[138:139]
	v_mul_f64_e32 v[138:139], v[142:143], v[138:139]
	v_add_f64_e32 v[12:13], v[154:155], v[152:153]
	v_add_f64_e32 v[132:133], v[144:145], v[150:151]
	v_fmac_f64_e32 v[2:3], v[6:7], v[172:173]
	v_fma_f64 v[4:5], v[4:5], v[172:173], -v[146:147]
	v_fmac_f64_e32 v[134:135], v[142:143], v[136:137]
	v_add_f64_e32 v[6:7], v[12:13], v[10:11]
	v_add_f64_e32 v[10:11], v[132:133], v[148:149]
	v_fma_f64 v[12:13], v[140:141], v[136:137], -v[138:139]
	s_delay_alu instid0(VALU_DEP_3) | instskip(NEXT) | instid1(VALU_DEP_3)
	v_add_f64_e32 v[4:5], v[6:7], v[4:5]
	v_add_f64_e32 v[2:3], v[10:11], v[2:3]
	s_delay_alu instid0(VALU_DEP_2) | instskip(NEXT) | instid1(VALU_DEP_2)
	v_add_f64_e32 v[4:5], v[4:5], v[12:13]
	v_add_f64_e32 v[6:7], v[2:3], v[134:135]
	s_delay_alu instid0(VALU_DEP_2) | instskip(NEXT) | instid1(VALU_DEP_2)
	v_add_f64_e64 v[2:3], v[176:177], -v[4:5]
	v_add_f64_e64 v[4:5], v[178:179], -v[6:7]
	scratch_store_b128 off, v[2:5], off offset:480
	s_wait_xcnt 0x0
	v_cmpx_lt_u32_e32 29, v1
	s_cbranch_execz .LBB122_309
; %bb.308:
	scratch_load_b128 v[2:5], off, s46
	v_mov_b32_e32 v10, 0
	s_delay_alu instid0(VALU_DEP_1)
	v_dual_mov_b32 v11, v10 :: v_dual_mov_b32 v12, v10
	v_mov_b32_e32 v13, v10
	scratch_store_b128 off, v[10:13], off offset:464
	s_wait_loadcnt 0x0
	ds_store_b128 v8, v[2:5]
.LBB122_309:
	s_wait_xcnt 0x0
	s_or_b32 exec_lo, exec_lo, s2
	s_wait_storecnt_dscnt 0x0
	s_barrier_signal -1
	s_barrier_wait -1
	s_clause 0x9
	scratch_load_b128 v[4:7], off, off offset:480
	scratch_load_b128 v[10:13], off, off offset:496
	;; [unrolled: 1-line block ×10, first 2 shown]
	v_mov_b32_e32 v2, 0
	s_mov_b32 s2, exec_lo
	ds_load_b128 v[164:167], v2 offset:1424
	s_clause 0x2
	scratch_load_b128 v[168:171], off, off offset:640
	scratch_load_b128 v[172:175], off, off offset:464
	;; [unrolled: 1-line block ×3, first 2 shown]
	s_wait_loadcnt_dscnt 0xc00
	v_mul_f64_e32 v[184:185], v[166:167], v[6:7]
	v_mul_f64_e32 v[188:189], v[164:165], v[6:7]
	ds_load_b128 v[176:179], v2 offset:1440
	v_fma_f64 v[192:193], v[164:165], v[4:5], -v[184:185]
	v_fmac_f64_e32 v[188:189], v[166:167], v[4:5]
	ds_load_b128 v[4:7], v2 offset:1456
	s_wait_loadcnt_dscnt 0xb01
	v_mul_f64_e32 v[190:191], v[176:177], v[12:13]
	v_mul_f64_e32 v[12:13], v[178:179], v[12:13]
	scratch_load_b128 v[164:167], off, off offset:672
	ds_load_b128 v[184:187], v2 offset:1472
	s_wait_loadcnt_dscnt 0xb01
	v_mul_f64_e32 v[194:195], v[4:5], v[134:135]
	v_mul_f64_e32 v[134:135], v[6:7], v[134:135]
	v_add_f64_e32 v[188:189], 0, v[188:189]
	v_fmac_f64_e32 v[190:191], v[178:179], v[10:11]
	v_fma_f64 v[176:177], v[176:177], v[10:11], -v[12:13]
	v_add_f64_e32 v[178:179], 0, v[192:193]
	scratch_load_b128 v[10:13], off, off offset:688
	v_fmac_f64_e32 v[194:195], v[6:7], v[132:133]
	v_fma_f64 v[196:197], v[4:5], v[132:133], -v[134:135]
	ds_load_b128 v[4:7], v2 offset:1488
	s_wait_loadcnt_dscnt 0xb01
	v_mul_f64_e32 v[192:193], v[184:185], v[138:139]
	v_mul_f64_e32 v[138:139], v[186:187], v[138:139]
	scratch_load_b128 v[132:135], off, off offset:704
	v_add_f64_e32 v[188:189], v[188:189], v[190:191]
	v_add_f64_e32 v[198:199], v[178:179], v[176:177]
	ds_load_b128 v[176:179], v2 offset:1504
	s_wait_loadcnt_dscnt 0xb01
	v_mul_f64_e32 v[190:191], v[4:5], v[142:143]
	v_mul_f64_e32 v[142:143], v[6:7], v[142:143]
	v_fmac_f64_e32 v[192:193], v[186:187], v[136:137]
	v_fma_f64 v[184:185], v[184:185], v[136:137], -v[138:139]
	scratch_load_b128 v[136:139], off, off offset:720
	v_add_f64_e32 v[188:189], v[188:189], v[194:195]
	v_add_f64_e32 v[186:187], v[198:199], v[196:197]
	v_fmac_f64_e32 v[190:191], v[6:7], v[140:141]
	v_fma_f64 v[196:197], v[4:5], v[140:141], -v[142:143]
	ds_load_b128 v[4:7], v2 offset:1520
	s_wait_loadcnt_dscnt 0xb01
	v_mul_f64_e32 v[194:195], v[176:177], v[146:147]
	v_mul_f64_e32 v[146:147], v[178:179], v[146:147]
	scratch_load_b128 v[140:143], off, off offset:736
	v_add_f64_e32 v[188:189], v[188:189], v[192:193]
	s_wait_loadcnt_dscnt 0xb00
	v_mul_f64_e32 v[192:193], v[4:5], v[150:151]
	v_add_f64_e32 v[198:199], v[186:187], v[184:185]
	v_mul_f64_e32 v[150:151], v[6:7], v[150:151]
	ds_load_b128 v[184:187], v2 offset:1536
	v_fmac_f64_e32 v[194:195], v[178:179], v[144:145]
	v_fma_f64 v[176:177], v[176:177], v[144:145], -v[146:147]
	scratch_load_b128 v[144:147], off, off offset:752
	v_add_f64_e32 v[188:189], v[188:189], v[190:191]
	v_fmac_f64_e32 v[192:193], v[6:7], v[148:149]
	v_add_f64_e32 v[178:179], v[198:199], v[196:197]
	v_fma_f64 v[196:197], v[4:5], v[148:149], -v[150:151]
	ds_load_b128 v[4:7], v2 offset:1552
	s_wait_loadcnt_dscnt 0xb01
	v_mul_f64_e32 v[190:191], v[184:185], v[154:155]
	v_mul_f64_e32 v[154:155], v[186:187], v[154:155]
	scratch_load_b128 v[148:151], off, off offset:768
	v_add_f64_e32 v[188:189], v[188:189], v[194:195]
	s_wait_loadcnt_dscnt 0xb00
	v_mul_f64_e32 v[194:195], v[4:5], v[158:159]
	v_add_f64_e32 v[198:199], v[178:179], v[176:177]
	v_mul_f64_e32 v[158:159], v[6:7], v[158:159]
	ds_load_b128 v[176:179], v2 offset:1568
	v_fmac_f64_e32 v[190:191], v[186:187], v[152:153]
	v_fma_f64 v[184:185], v[184:185], v[152:153], -v[154:155]
	scratch_load_b128 v[152:155], off, off offset:784
	v_add_f64_e32 v[188:189], v[188:189], v[192:193]
	v_fmac_f64_e32 v[194:195], v[6:7], v[156:157]
	v_add_f64_e32 v[186:187], v[198:199], v[196:197]
	;; [unrolled: 18-line block ×3, first 2 shown]
	v_fma_f64 v[196:197], v[4:5], v[168:169], -v[170:171]
	ds_load_b128 v[4:7], v2 offset:1616
	s_wait_loadcnt_dscnt 0xa01
	v_mul_f64_e32 v[194:195], v[184:185], v[182:183]
	v_mul_f64_e32 v[182:183], v[186:187], v[182:183]
	scratch_load_b128 v[168:171], off, off offset:832
	v_add_f64_e32 v[188:189], v[188:189], v[192:193]
	v_add_f64_e32 v[198:199], v[178:179], v[176:177]
	s_wait_loadcnt_dscnt 0xa00
	v_mul_f64_e32 v[192:193], v[4:5], v[166:167]
	v_mul_f64_e32 v[166:167], v[6:7], v[166:167]
	v_fmac_f64_e32 v[194:195], v[186:187], v[180:181]
	v_fma_f64 v[184:185], v[184:185], v[180:181], -v[182:183]
	ds_load_b128 v[176:179], v2 offset:1632
	scratch_load_b128 v[180:183], off, off offset:848
	v_add_f64_e32 v[188:189], v[188:189], v[190:191]
	v_add_f64_e32 v[186:187], v[198:199], v[196:197]
	v_fmac_f64_e32 v[192:193], v[6:7], v[164:165]
	v_fma_f64 v[196:197], v[4:5], v[164:165], -v[166:167]
	ds_load_b128 v[4:7], v2 offset:1648
	s_wait_loadcnt_dscnt 0xa01
	v_mul_f64_e32 v[190:191], v[176:177], v[12:13]
	v_mul_f64_e32 v[12:13], v[178:179], v[12:13]
	scratch_load_b128 v[164:167], off, off offset:864
	v_add_f64_e32 v[188:189], v[188:189], v[194:195]
	s_wait_loadcnt_dscnt 0xa00
	v_mul_f64_e32 v[194:195], v[4:5], v[134:135]
	v_add_f64_e32 v[198:199], v[186:187], v[184:185]
	v_mul_f64_e32 v[134:135], v[6:7], v[134:135]
	ds_load_b128 v[184:187], v2 offset:1664
	v_fmac_f64_e32 v[190:191], v[178:179], v[10:11]
	v_fma_f64 v[176:177], v[176:177], v[10:11], -v[12:13]
	scratch_load_b128 v[10:13], off, off offset:880
	v_add_f64_e32 v[188:189], v[188:189], v[192:193]
	v_fmac_f64_e32 v[194:195], v[6:7], v[132:133]
	v_add_f64_e32 v[178:179], v[198:199], v[196:197]
	v_fma_f64 v[196:197], v[4:5], v[132:133], -v[134:135]
	ds_load_b128 v[4:7], v2 offset:1680
	s_wait_loadcnt_dscnt 0xa01
	v_mul_f64_e32 v[192:193], v[184:185], v[138:139]
	v_mul_f64_e32 v[138:139], v[186:187], v[138:139]
	scratch_load_b128 v[132:135], off, off offset:896
	v_add_f64_e32 v[188:189], v[188:189], v[190:191]
	s_wait_loadcnt_dscnt 0xa00
	v_mul_f64_e32 v[190:191], v[4:5], v[142:143]
	v_add_f64_e32 v[198:199], v[178:179], v[176:177]
	v_mul_f64_e32 v[142:143], v[6:7], v[142:143]
	ds_load_b128 v[176:179], v2 offset:1696
	v_fmac_f64_e32 v[192:193], v[186:187], v[136:137]
	v_fma_f64 v[184:185], v[184:185], v[136:137], -v[138:139]
	scratch_load_b128 v[136:139], off, off offset:912
	v_add_f64_e32 v[188:189], v[188:189], v[194:195]
	v_fmac_f64_e32 v[190:191], v[6:7], v[140:141]
	v_add_f64_e32 v[186:187], v[198:199], v[196:197]
	v_fma_f64 v[196:197], v[4:5], v[140:141], -v[142:143]
	ds_load_b128 v[4:7], v2 offset:1712
	s_wait_loadcnt_dscnt 0xa01
	v_mul_f64_e32 v[194:195], v[176:177], v[146:147]
	v_mul_f64_e32 v[146:147], v[178:179], v[146:147]
	scratch_load_b128 v[140:143], off, off offset:928
	v_add_f64_e32 v[188:189], v[188:189], v[192:193]
	s_wait_loadcnt_dscnt 0xa00
	v_mul_f64_e32 v[192:193], v[4:5], v[150:151]
	v_add_f64_e32 v[198:199], v[186:187], v[184:185]
	v_mul_f64_e32 v[150:151], v[6:7], v[150:151]
	ds_load_b128 v[184:187], v2 offset:1728
	v_fmac_f64_e32 v[194:195], v[178:179], v[144:145]
	v_fma_f64 v[144:145], v[176:177], v[144:145], -v[146:147]
	s_wait_loadcnt_dscnt 0x900
	v_mul_f64_e32 v[178:179], v[184:185], v[154:155]
	v_mul_f64_e32 v[154:155], v[186:187], v[154:155]
	v_add_f64_e32 v[176:177], v[188:189], v[190:191]
	v_fmac_f64_e32 v[192:193], v[6:7], v[148:149]
	v_add_f64_e32 v[146:147], v[198:199], v[196:197]
	v_fma_f64 v[148:149], v[4:5], v[148:149], -v[150:151]
	v_fmac_f64_e32 v[178:179], v[186:187], v[152:153]
	v_fma_f64 v[152:153], v[184:185], v[152:153], -v[154:155]
	v_add_f64_e32 v[176:177], v[176:177], v[194:195]
	v_add_f64_e32 v[150:151], v[146:147], v[144:145]
	ds_load_b128 v[4:7], v2 offset:1744
	ds_load_b128 v[144:147], v2 offset:1760
	s_wait_loadcnt_dscnt 0x801
	v_mul_f64_e32 v[188:189], v[4:5], v[158:159]
	v_mul_f64_e32 v[158:159], v[6:7], v[158:159]
	s_wait_loadcnt_dscnt 0x700
	v_mul_f64_e32 v[154:155], v[144:145], v[162:163]
	v_mul_f64_e32 v[162:163], v[146:147], v[162:163]
	v_add_f64_e32 v[148:149], v[150:151], v[148:149]
	v_add_f64_e32 v[150:151], v[176:177], v[192:193]
	v_fmac_f64_e32 v[188:189], v[6:7], v[156:157]
	v_fma_f64 v[156:157], v[4:5], v[156:157], -v[158:159]
	v_fmac_f64_e32 v[154:155], v[146:147], v[160:161]
	v_fma_f64 v[144:145], v[144:145], v[160:161], -v[162:163]
	v_add_f64_e32 v[152:153], v[148:149], v[152:153]
	v_add_f64_e32 v[158:159], v[150:151], v[178:179]
	ds_load_b128 v[4:7], v2 offset:1776
	ds_load_b128 v[148:151], v2 offset:1792
	s_wait_loadcnt_dscnt 0x601
	v_mul_f64_e32 v[176:177], v[4:5], v[170:171]
	v_mul_f64_e32 v[170:171], v[6:7], v[170:171]
	v_add_f64_e32 v[146:147], v[152:153], v[156:157]
	v_add_f64_e32 v[152:153], v[158:159], v[188:189]
	s_wait_loadcnt_dscnt 0x500
	v_mul_f64_e32 v[156:157], v[148:149], v[182:183]
	v_mul_f64_e32 v[158:159], v[150:151], v[182:183]
	v_fmac_f64_e32 v[176:177], v[6:7], v[168:169]
	v_fma_f64 v[160:161], v[4:5], v[168:169], -v[170:171]
	v_add_f64_e32 v[162:163], v[146:147], v[144:145]
	v_add_f64_e32 v[152:153], v[152:153], v[154:155]
	ds_load_b128 v[4:7], v2 offset:1808
	ds_load_b128 v[144:147], v2 offset:1824
	v_fmac_f64_e32 v[156:157], v[150:151], v[180:181]
	v_fma_f64 v[148:149], v[148:149], v[180:181], -v[158:159]
	s_wait_loadcnt_dscnt 0x401
	v_mul_f64_e32 v[154:155], v[4:5], v[166:167]
	v_mul_f64_e32 v[166:167], v[6:7], v[166:167]
	s_wait_loadcnt_dscnt 0x300
	v_mul_f64_e32 v[158:159], v[144:145], v[12:13]
	v_mul_f64_e32 v[12:13], v[146:147], v[12:13]
	v_add_f64_e32 v[150:151], v[162:163], v[160:161]
	v_add_f64_e32 v[152:153], v[152:153], v[176:177]
	v_fmac_f64_e32 v[154:155], v[6:7], v[164:165]
	v_fma_f64 v[160:161], v[4:5], v[164:165], -v[166:167]
	v_fmac_f64_e32 v[158:159], v[146:147], v[10:11]
	v_fma_f64 v[10:11], v[144:145], v[10:11], -v[12:13]
	v_add_f64_e32 v[162:163], v[150:151], v[148:149]
	v_add_f64_e32 v[152:153], v[152:153], v[156:157]
	ds_load_b128 v[4:7], v2 offset:1840
	ds_load_b128 v[148:151], v2 offset:1856
	s_wait_loadcnt_dscnt 0x201
	v_mul_f64_e32 v[156:157], v[4:5], v[134:135]
	v_mul_f64_e32 v[134:135], v[6:7], v[134:135]
	s_wait_loadcnt_dscnt 0x100
	v_mul_f64_e32 v[146:147], v[148:149], v[138:139]
	v_mul_f64_e32 v[138:139], v[150:151], v[138:139]
	v_add_f64_e32 v[12:13], v[162:163], v[160:161]
	v_add_f64_e32 v[144:145], v[152:153], v[154:155]
	v_fmac_f64_e32 v[156:157], v[6:7], v[132:133]
	v_fma_f64 v[132:133], v[4:5], v[132:133], -v[134:135]
	ds_load_b128 v[4:7], v2 offset:1872
	v_fmac_f64_e32 v[146:147], v[150:151], v[136:137]
	v_fma_f64 v[136:137], v[148:149], v[136:137], -v[138:139]
	v_add_f64_e32 v[10:11], v[12:13], v[10:11]
	v_add_f64_e32 v[12:13], v[144:145], v[158:159]
	s_wait_loadcnt_dscnt 0x0
	v_mul_f64_e32 v[134:135], v[4:5], v[142:143]
	v_mul_f64_e32 v[142:143], v[6:7], v[142:143]
	s_delay_alu instid0(VALU_DEP_4) | instskip(NEXT) | instid1(VALU_DEP_4)
	v_add_f64_e32 v[10:11], v[10:11], v[132:133]
	v_add_f64_e32 v[12:13], v[12:13], v[156:157]
	s_delay_alu instid0(VALU_DEP_4) | instskip(NEXT) | instid1(VALU_DEP_4)
	v_fmac_f64_e32 v[134:135], v[6:7], v[140:141]
	v_fma_f64 v[4:5], v[4:5], v[140:141], -v[142:143]
	s_delay_alu instid0(VALU_DEP_4) | instskip(NEXT) | instid1(VALU_DEP_4)
	v_add_f64_e32 v[6:7], v[10:11], v[136:137]
	v_add_f64_e32 v[10:11], v[12:13], v[146:147]
	s_delay_alu instid0(VALU_DEP_2) | instskip(NEXT) | instid1(VALU_DEP_2)
	v_add_f64_e32 v[4:5], v[6:7], v[4:5]
	v_add_f64_e32 v[6:7], v[10:11], v[134:135]
	s_delay_alu instid0(VALU_DEP_2) | instskip(NEXT) | instid1(VALU_DEP_2)
	v_add_f64_e64 v[4:5], v[172:173], -v[4:5]
	v_add_f64_e64 v[6:7], v[174:175], -v[6:7]
	scratch_store_b128 off, v[4:7], off offset:464
	s_wait_xcnt 0x0
	v_cmpx_lt_u32_e32 28, v1
	s_cbranch_execz .LBB122_311
; %bb.310:
	scratch_load_b128 v[10:13], off, s47
	v_dual_mov_b32 v3, v2 :: v_dual_mov_b32 v4, v2
	v_mov_b32_e32 v5, v2
	scratch_store_b128 off, v[2:5], off offset:448
	s_wait_loadcnt 0x0
	ds_store_b128 v8, v[10:13]
.LBB122_311:
	s_wait_xcnt 0x0
	s_or_b32 exec_lo, exec_lo, s2
	s_wait_storecnt_dscnt 0x0
	s_barrier_signal -1
	s_barrier_wait -1
	s_clause 0x9
	scratch_load_b128 v[4:7], off, off offset:464
	scratch_load_b128 v[10:13], off, off offset:480
	;; [unrolled: 1-line block ×10, first 2 shown]
	ds_load_b128 v[164:167], v2 offset:1408
	ds_load_b128 v[172:175], v2 offset:1424
	s_clause 0x2
	scratch_load_b128 v[168:171], off, off offset:624
	scratch_load_b128 v[176:179], off, off offset:448
	;; [unrolled: 1-line block ×3, first 2 shown]
	s_mov_b32 s2, exec_lo
	s_wait_loadcnt_dscnt 0xc01
	v_mul_f64_e32 v[184:185], v[166:167], v[6:7]
	v_mul_f64_e32 v[188:189], v[164:165], v[6:7]
	s_wait_loadcnt_dscnt 0xb00
	v_mul_f64_e32 v[190:191], v[172:173], v[12:13]
	v_mul_f64_e32 v[12:13], v[174:175], v[12:13]
	s_delay_alu instid0(VALU_DEP_4) | instskip(NEXT) | instid1(VALU_DEP_4)
	v_fma_f64 v[192:193], v[164:165], v[4:5], -v[184:185]
	v_fmac_f64_e32 v[188:189], v[166:167], v[4:5]
	ds_load_b128 v[4:7], v2 offset:1440
	ds_load_b128 v[164:167], v2 offset:1456
	scratch_load_b128 v[184:187], off, off offset:656
	v_fmac_f64_e32 v[190:191], v[174:175], v[10:11]
	v_fma_f64 v[172:173], v[172:173], v[10:11], -v[12:13]
	scratch_load_b128 v[10:13], off, off offset:672
	s_wait_loadcnt_dscnt 0xc01
	v_mul_f64_e32 v[194:195], v[4:5], v[134:135]
	v_mul_f64_e32 v[134:135], v[6:7], v[134:135]
	v_add_f64_e32 v[174:175], 0, v[192:193]
	v_add_f64_e32 v[188:189], 0, v[188:189]
	s_wait_loadcnt_dscnt 0xb00
	v_mul_f64_e32 v[192:193], v[164:165], v[138:139]
	v_mul_f64_e32 v[138:139], v[166:167], v[138:139]
	v_fmac_f64_e32 v[194:195], v[6:7], v[132:133]
	v_fma_f64 v[196:197], v[4:5], v[132:133], -v[134:135]
	ds_load_b128 v[4:7], v2 offset:1472
	ds_load_b128 v[132:135], v2 offset:1488
	v_add_f64_e32 v[198:199], v[174:175], v[172:173]
	v_add_f64_e32 v[188:189], v[188:189], v[190:191]
	scratch_load_b128 v[172:175], off, off offset:688
	v_fmac_f64_e32 v[192:193], v[166:167], v[136:137]
	v_fma_f64 v[164:165], v[164:165], v[136:137], -v[138:139]
	scratch_load_b128 v[136:139], off, off offset:704
	s_wait_loadcnt_dscnt 0xc01
	v_mul_f64_e32 v[190:191], v[4:5], v[142:143]
	v_mul_f64_e32 v[142:143], v[6:7], v[142:143]
	v_add_f64_e32 v[166:167], v[198:199], v[196:197]
	v_add_f64_e32 v[188:189], v[188:189], v[194:195]
	s_wait_loadcnt_dscnt 0xb00
	v_mul_f64_e32 v[194:195], v[132:133], v[146:147]
	v_mul_f64_e32 v[146:147], v[134:135], v[146:147]
	v_fmac_f64_e32 v[190:191], v[6:7], v[140:141]
	v_fma_f64 v[196:197], v[4:5], v[140:141], -v[142:143]
	ds_load_b128 v[4:7], v2 offset:1504
	ds_load_b128 v[140:143], v2 offset:1520
	v_add_f64_e32 v[198:199], v[166:167], v[164:165]
	v_add_f64_e32 v[188:189], v[188:189], v[192:193]
	scratch_load_b128 v[164:167], off, off offset:720
	s_wait_loadcnt_dscnt 0xb01
	v_mul_f64_e32 v[192:193], v[4:5], v[150:151]
	v_mul_f64_e32 v[150:151], v[6:7], v[150:151]
	v_fmac_f64_e32 v[194:195], v[134:135], v[144:145]
	v_fma_f64 v[144:145], v[132:133], v[144:145], -v[146:147]
	scratch_load_b128 v[132:135], off, off offset:736
	v_add_f64_e32 v[146:147], v[198:199], v[196:197]
	v_add_f64_e32 v[188:189], v[188:189], v[190:191]
	s_wait_loadcnt_dscnt 0xb00
	v_mul_f64_e32 v[190:191], v[140:141], v[154:155]
	v_mul_f64_e32 v[154:155], v[142:143], v[154:155]
	v_fmac_f64_e32 v[192:193], v[6:7], v[148:149]
	v_fma_f64 v[196:197], v[4:5], v[148:149], -v[150:151]
	v_add_f64_e32 v[198:199], v[146:147], v[144:145]
	v_add_f64_e32 v[188:189], v[188:189], v[194:195]
	ds_load_b128 v[4:7], v2 offset:1536
	ds_load_b128 v[144:147], v2 offset:1552
	scratch_load_b128 v[148:151], off, off offset:752
	v_fmac_f64_e32 v[190:191], v[142:143], v[152:153]
	v_fma_f64 v[152:153], v[140:141], v[152:153], -v[154:155]
	scratch_load_b128 v[140:143], off, off offset:768
	s_wait_loadcnt_dscnt 0xc01
	v_mul_f64_e32 v[194:195], v[4:5], v[158:159]
	v_mul_f64_e32 v[158:159], v[6:7], v[158:159]
	v_add_f64_e32 v[154:155], v[198:199], v[196:197]
	v_add_f64_e32 v[188:189], v[188:189], v[192:193]
	s_wait_loadcnt_dscnt 0xb00
	v_mul_f64_e32 v[192:193], v[144:145], v[162:163]
	v_mul_f64_e32 v[162:163], v[146:147], v[162:163]
	v_fmac_f64_e32 v[194:195], v[6:7], v[156:157]
	v_fma_f64 v[196:197], v[4:5], v[156:157], -v[158:159]
	v_add_f64_e32 v[198:199], v[154:155], v[152:153]
	v_add_f64_e32 v[188:189], v[188:189], v[190:191]
	ds_load_b128 v[4:7], v2 offset:1568
	ds_load_b128 v[152:155], v2 offset:1584
	scratch_load_b128 v[156:159], off, off offset:784
	v_fmac_f64_e32 v[192:193], v[146:147], v[160:161]
	v_fma_f64 v[160:161], v[144:145], v[160:161], -v[162:163]
	scratch_load_b128 v[144:147], off, off offset:800
	s_wait_loadcnt_dscnt 0xc01
	v_mul_f64_e32 v[190:191], v[4:5], v[170:171]
	v_mul_f64_e32 v[170:171], v[6:7], v[170:171]
	v_add_f64_e32 v[162:163], v[198:199], v[196:197]
	v_add_f64_e32 v[188:189], v[188:189], v[194:195]
	s_wait_loadcnt_dscnt 0xa00
	v_mul_f64_e32 v[194:195], v[152:153], v[182:183]
	v_mul_f64_e32 v[182:183], v[154:155], v[182:183]
	v_fmac_f64_e32 v[190:191], v[6:7], v[168:169]
	v_fma_f64 v[196:197], v[4:5], v[168:169], -v[170:171]
	v_add_f64_e32 v[198:199], v[162:163], v[160:161]
	v_add_f64_e32 v[188:189], v[188:189], v[192:193]
	ds_load_b128 v[4:7], v2 offset:1600
	ds_load_b128 v[160:163], v2 offset:1616
	scratch_load_b128 v[168:171], off, off offset:816
	v_fmac_f64_e32 v[194:195], v[154:155], v[180:181]
	v_fma_f64 v[180:181], v[152:153], v[180:181], -v[182:183]
	scratch_load_b128 v[152:155], off, off offset:832
	s_wait_loadcnt_dscnt 0xb01
	v_mul_f64_e32 v[192:193], v[4:5], v[186:187]
	v_mul_f64_e32 v[186:187], v[6:7], v[186:187]
	v_add_f64_e32 v[182:183], v[198:199], v[196:197]
	v_add_f64_e32 v[188:189], v[188:189], v[190:191]
	s_wait_loadcnt_dscnt 0xa00
	v_mul_f64_e32 v[190:191], v[160:161], v[12:13]
	v_mul_f64_e32 v[12:13], v[162:163], v[12:13]
	v_fmac_f64_e32 v[192:193], v[6:7], v[184:185]
	v_fma_f64 v[196:197], v[4:5], v[184:185], -v[186:187]
	v_add_f64_e32 v[198:199], v[182:183], v[180:181]
	v_add_f64_e32 v[188:189], v[188:189], v[194:195]
	ds_load_b128 v[4:7], v2 offset:1632
	ds_load_b128 v[180:183], v2 offset:1648
	scratch_load_b128 v[184:187], off, off offset:848
	v_fmac_f64_e32 v[190:191], v[162:163], v[10:11]
	v_fma_f64 v[160:161], v[160:161], v[10:11], -v[12:13]
	scratch_load_b128 v[10:13], off, off offset:864
	s_wait_loadcnt_dscnt 0xb01
	v_mul_f64_e32 v[194:195], v[4:5], v[174:175]
	v_mul_f64_e32 v[174:175], v[6:7], v[174:175]
	v_add_f64_e32 v[162:163], v[198:199], v[196:197]
	v_add_f64_e32 v[188:189], v[188:189], v[192:193]
	s_wait_loadcnt_dscnt 0xa00
	v_mul_f64_e32 v[192:193], v[180:181], v[138:139]
	v_mul_f64_e32 v[138:139], v[182:183], v[138:139]
	v_fmac_f64_e32 v[194:195], v[6:7], v[172:173]
	v_fma_f64 v[196:197], v[4:5], v[172:173], -v[174:175]
	v_add_f64_e32 v[198:199], v[162:163], v[160:161]
	v_add_f64_e32 v[188:189], v[188:189], v[190:191]
	ds_load_b128 v[4:7], v2 offset:1664
	ds_load_b128 v[160:163], v2 offset:1680
	scratch_load_b128 v[172:175], off, off offset:880
	v_fmac_f64_e32 v[192:193], v[182:183], v[136:137]
	v_fma_f64 v[180:181], v[180:181], v[136:137], -v[138:139]
	scratch_load_b128 v[136:139], off, off offset:896
	s_wait_loadcnt_dscnt 0xb01
	v_mul_f64_e32 v[190:191], v[4:5], v[166:167]
	v_mul_f64_e32 v[166:167], v[6:7], v[166:167]
	v_add_f64_e32 v[182:183], v[198:199], v[196:197]
	v_add_f64_e32 v[188:189], v[188:189], v[194:195]
	s_wait_loadcnt_dscnt 0xa00
	v_mul_f64_e32 v[194:195], v[160:161], v[134:135]
	v_mul_f64_e32 v[134:135], v[162:163], v[134:135]
	v_fmac_f64_e32 v[190:191], v[6:7], v[164:165]
	v_fma_f64 v[196:197], v[4:5], v[164:165], -v[166:167]
	ds_load_b128 v[4:7], v2 offset:1696
	ds_load_b128 v[164:167], v2 offset:1712
	v_add_f64_e32 v[198:199], v[182:183], v[180:181]
	v_add_f64_e32 v[188:189], v[188:189], v[192:193]
	scratch_load_b128 v[180:183], off, off offset:912
	v_fmac_f64_e32 v[194:195], v[162:163], v[132:133]
	v_fma_f64 v[160:161], v[160:161], v[132:133], -v[134:135]
	scratch_load_b128 v[132:135], off, off offset:928
	s_wait_loadcnt_dscnt 0xb01
	v_mul_f64_e32 v[192:193], v[4:5], v[150:151]
	v_mul_f64_e32 v[150:151], v[6:7], v[150:151]
	v_add_f64_e32 v[162:163], v[198:199], v[196:197]
	v_add_f64_e32 v[188:189], v[188:189], v[190:191]
	s_wait_loadcnt_dscnt 0xa00
	v_mul_f64_e32 v[190:191], v[164:165], v[142:143]
	v_mul_f64_e32 v[142:143], v[166:167], v[142:143]
	v_fmac_f64_e32 v[192:193], v[6:7], v[148:149]
	v_fma_f64 v[196:197], v[4:5], v[148:149], -v[150:151]
	ds_load_b128 v[4:7], v2 offset:1728
	ds_load_b128 v[148:151], v2 offset:1744
	v_add_f64_e32 v[160:161], v[162:163], v[160:161]
	v_add_f64_e32 v[162:163], v[188:189], v[194:195]
	v_fmac_f64_e32 v[190:191], v[166:167], v[140:141]
	s_wait_loadcnt_dscnt 0x901
	v_mul_f64_e32 v[188:189], v[4:5], v[158:159]
	v_mul_f64_e32 v[158:159], v[6:7], v[158:159]
	v_fma_f64 v[140:141], v[164:165], v[140:141], -v[142:143]
	v_add_f64_e32 v[142:143], v[160:161], v[196:197]
	v_add_f64_e32 v[160:161], v[162:163], v[192:193]
	s_wait_loadcnt_dscnt 0x800
	v_mul_f64_e32 v[162:163], v[148:149], v[146:147]
	v_mul_f64_e32 v[146:147], v[150:151], v[146:147]
	v_fmac_f64_e32 v[188:189], v[6:7], v[156:157]
	v_fma_f64 v[156:157], v[4:5], v[156:157], -v[158:159]
	v_add_f64_e32 v[158:159], v[142:143], v[140:141]
	v_add_f64_e32 v[160:161], v[160:161], v[190:191]
	ds_load_b128 v[4:7], v2 offset:1760
	ds_load_b128 v[140:143], v2 offset:1776
	v_fmac_f64_e32 v[162:163], v[150:151], v[144:145]
	v_fma_f64 v[144:145], v[148:149], v[144:145], -v[146:147]
	s_wait_loadcnt_dscnt 0x701
	v_mul_f64_e32 v[164:165], v[4:5], v[170:171]
	v_mul_f64_e32 v[166:167], v[6:7], v[170:171]
	s_wait_loadcnt_dscnt 0x600
	v_mul_f64_e32 v[150:151], v[140:141], v[154:155]
	v_mul_f64_e32 v[154:155], v[142:143], v[154:155]
	v_add_f64_e32 v[146:147], v[158:159], v[156:157]
	v_add_f64_e32 v[148:149], v[160:161], v[188:189]
	v_fmac_f64_e32 v[164:165], v[6:7], v[168:169]
	v_fma_f64 v[156:157], v[4:5], v[168:169], -v[166:167]
	v_fmac_f64_e32 v[150:151], v[142:143], v[152:153]
	v_fma_f64 v[140:141], v[140:141], v[152:153], -v[154:155]
	v_add_f64_e32 v[158:159], v[146:147], v[144:145]
	v_add_f64_e32 v[148:149], v[148:149], v[162:163]
	ds_load_b128 v[4:7], v2 offset:1792
	ds_load_b128 v[144:147], v2 offset:1808
	s_wait_loadcnt_dscnt 0x501
	v_mul_f64_e32 v[160:161], v[4:5], v[186:187]
	v_mul_f64_e32 v[162:163], v[6:7], v[186:187]
	s_wait_loadcnt_dscnt 0x400
	v_mul_f64_e32 v[152:153], v[144:145], v[12:13]
	v_mul_f64_e32 v[12:13], v[146:147], v[12:13]
	v_add_f64_e32 v[142:143], v[158:159], v[156:157]
	v_add_f64_e32 v[148:149], v[148:149], v[164:165]
	v_fmac_f64_e32 v[160:161], v[6:7], v[184:185]
	v_fma_f64 v[154:155], v[4:5], v[184:185], -v[162:163]
	v_fmac_f64_e32 v[152:153], v[146:147], v[10:11]
	v_fma_f64 v[10:11], v[144:145], v[10:11], -v[12:13]
	v_add_f64_e32 v[156:157], v[142:143], v[140:141]
	v_add_f64_e32 v[148:149], v[148:149], v[150:151]
	ds_load_b128 v[4:7], v2 offset:1824
	ds_load_b128 v[140:143], v2 offset:1840
	;; [unrolled: 16-line block ×3, first 2 shown]
	s_wait_loadcnt_dscnt 0x101
	v_mul_f64_e32 v[2:3], v[4:5], v[182:183]
	v_mul_f64_e32 v[152:153], v[6:7], v[182:183]
	s_wait_loadcnt_dscnt 0x0
	v_mul_f64_e32 v[142:143], v[10:11], v[134:135]
	v_mul_f64_e32 v[134:135], v[12:13], v[134:135]
	v_add_f64_e32 v[138:139], v[154:155], v[148:149]
	v_add_f64_e32 v[140:141], v[144:145], v[150:151]
	v_fmac_f64_e32 v[2:3], v[6:7], v[180:181]
	v_fma_f64 v[4:5], v[4:5], v[180:181], -v[152:153]
	v_fmac_f64_e32 v[142:143], v[12:13], v[132:133]
	v_fma_f64 v[10:11], v[10:11], v[132:133], -v[134:135]
	v_add_f64_e32 v[6:7], v[138:139], v[136:137]
	v_add_f64_e32 v[136:137], v[140:141], v[146:147]
	s_delay_alu instid0(VALU_DEP_2) | instskip(NEXT) | instid1(VALU_DEP_2)
	v_add_f64_e32 v[4:5], v[6:7], v[4:5]
	v_add_f64_e32 v[2:3], v[136:137], v[2:3]
	s_delay_alu instid0(VALU_DEP_2) | instskip(NEXT) | instid1(VALU_DEP_2)
	;; [unrolled: 3-line block ×3, first 2 shown]
	v_add_f64_e64 v[2:3], v[176:177], -v[4:5]
	v_add_f64_e64 v[4:5], v[178:179], -v[6:7]
	scratch_store_b128 off, v[2:5], off offset:448
	s_wait_xcnt 0x0
	v_cmpx_lt_u32_e32 27, v1
	s_cbranch_execz .LBB122_313
; %bb.312:
	scratch_load_b128 v[2:5], off, s48
	v_mov_b32_e32 v10, 0
	s_delay_alu instid0(VALU_DEP_1)
	v_dual_mov_b32 v11, v10 :: v_dual_mov_b32 v12, v10
	v_mov_b32_e32 v13, v10
	scratch_store_b128 off, v[10:13], off offset:432
	s_wait_loadcnt 0x0
	ds_store_b128 v8, v[2:5]
.LBB122_313:
	s_wait_xcnt 0x0
	s_or_b32 exec_lo, exec_lo, s2
	s_wait_storecnt_dscnt 0x0
	s_barrier_signal -1
	s_barrier_wait -1
	s_clause 0x9
	scratch_load_b128 v[4:7], off, off offset:448
	scratch_load_b128 v[10:13], off, off offset:464
	;; [unrolled: 1-line block ×10, first 2 shown]
	v_mov_b32_e32 v2, 0
	s_mov_b32 s2, exec_lo
	ds_load_b128 v[164:167], v2 offset:1392
	s_clause 0x2
	scratch_load_b128 v[168:171], off, off offset:608
	scratch_load_b128 v[172:175], off, off offset:432
	;; [unrolled: 1-line block ×3, first 2 shown]
	s_wait_loadcnt_dscnt 0xc00
	v_mul_f64_e32 v[184:185], v[166:167], v[6:7]
	v_mul_f64_e32 v[188:189], v[164:165], v[6:7]
	ds_load_b128 v[176:179], v2 offset:1408
	v_fma_f64 v[192:193], v[164:165], v[4:5], -v[184:185]
	v_fmac_f64_e32 v[188:189], v[166:167], v[4:5]
	ds_load_b128 v[4:7], v2 offset:1424
	s_wait_loadcnt_dscnt 0xb01
	v_mul_f64_e32 v[190:191], v[176:177], v[12:13]
	v_mul_f64_e32 v[12:13], v[178:179], v[12:13]
	scratch_load_b128 v[164:167], off, off offset:640
	ds_load_b128 v[184:187], v2 offset:1440
	s_wait_loadcnt_dscnt 0xb01
	v_mul_f64_e32 v[194:195], v[4:5], v[134:135]
	v_mul_f64_e32 v[134:135], v[6:7], v[134:135]
	v_add_f64_e32 v[188:189], 0, v[188:189]
	v_fmac_f64_e32 v[190:191], v[178:179], v[10:11]
	v_fma_f64 v[176:177], v[176:177], v[10:11], -v[12:13]
	v_add_f64_e32 v[178:179], 0, v[192:193]
	scratch_load_b128 v[10:13], off, off offset:656
	v_fmac_f64_e32 v[194:195], v[6:7], v[132:133]
	v_fma_f64 v[196:197], v[4:5], v[132:133], -v[134:135]
	ds_load_b128 v[4:7], v2 offset:1456
	s_wait_loadcnt_dscnt 0xb01
	v_mul_f64_e32 v[192:193], v[184:185], v[138:139]
	v_mul_f64_e32 v[138:139], v[186:187], v[138:139]
	scratch_load_b128 v[132:135], off, off offset:672
	v_add_f64_e32 v[188:189], v[188:189], v[190:191]
	v_add_f64_e32 v[198:199], v[178:179], v[176:177]
	ds_load_b128 v[176:179], v2 offset:1472
	s_wait_loadcnt_dscnt 0xb01
	v_mul_f64_e32 v[190:191], v[4:5], v[142:143]
	v_mul_f64_e32 v[142:143], v[6:7], v[142:143]
	v_fmac_f64_e32 v[192:193], v[186:187], v[136:137]
	v_fma_f64 v[184:185], v[184:185], v[136:137], -v[138:139]
	scratch_load_b128 v[136:139], off, off offset:688
	v_add_f64_e32 v[188:189], v[188:189], v[194:195]
	v_add_f64_e32 v[186:187], v[198:199], v[196:197]
	v_fmac_f64_e32 v[190:191], v[6:7], v[140:141]
	v_fma_f64 v[196:197], v[4:5], v[140:141], -v[142:143]
	ds_load_b128 v[4:7], v2 offset:1488
	s_wait_loadcnt_dscnt 0xb01
	v_mul_f64_e32 v[194:195], v[176:177], v[146:147]
	v_mul_f64_e32 v[146:147], v[178:179], v[146:147]
	scratch_load_b128 v[140:143], off, off offset:704
	v_add_f64_e32 v[188:189], v[188:189], v[192:193]
	s_wait_loadcnt_dscnt 0xb00
	v_mul_f64_e32 v[192:193], v[4:5], v[150:151]
	v_add_f64_e32 v[198:199], v[186:187], v[184:185]
	v_mul_f64_e32 v[150:151], v[6:7], v[150:151]
	ds_load_b128 v[184:187], v2 offset:1504
	v_fmac_f64_e32 v[194:195], v[178:179], v[144:145]
	v_fma_f64 v[176:177], v[176:177], v[144:145], -v[146:147]
	scratch_load_b128 v[144:147], off, off offset:720
	v_add_f64_e32 v[188:189], v[188:189], v[190:191]
	v_fmac_f64_e32 v[192:193], v[6:7], v[148:149]
	v_add_f64_e32 v[178:179], v[198:199], v[196:197]
	v_fma_f64 v[196:197], v[4:5], v[148:149], -v[150:151]
	ds_load_b128 v[4:7], v2 offset:1520
	s_wait_loadcnt_dscnt 0xb01
	v_mul_f64_e32 v[190:191], v[184:185], v[154:155]
	v_mul_f64_e32 v[154:155], v[186:187], v[154:155]
	scratch_load_b128 v[148:151], off, off offset:736
	v_add_f64_e32 v[188:189], v[188:189], v[194:195]
	s_wait_loadcnt_dscnt 0xb00
	v_mul_f64_e32 v[194:195], v[4:5], v[158:159]
	v_add_f64_e32 v[198:199], v[178:179], v[176:177]
	v_mul_f64_e32 v[158:159], v[6:7], v[158:159]
	ds_load_b128 v[176:179], v2 offset:1536
	v_fmac_f64_e32 v[190:191], v[186:187], v[152:153]
	v_fma_f64 v[184:185], v[184:185], v[152:153], -v[154:155]
	scratch_load_b128 v[152:155], off, off offset:752
	v_add_f64_e32 v[188:189], v[188:189], v[192:193]
	v_fmac_f64_e32 v[194:195], v[6:7], v[156:157]
	v_add_f64_e32 v[186:187], v[198:199], v[196:197]
	;; [unrolled: 18-line block ×3, first 2 shown]
	v_fma_f64 v[196:197], v[4:5], v[168:169], -v[170:171]
	ds_load_b128 v[4:7], v2 offset:1584
	s_wait_loadcnt_dscnt 0xa01
	v_mul_f64_e32 v[194:195], v[184:185], v[182:183]
	v_mul_f64_e32 v[182:183], v[186:187], v[182:183]
	scratch_load_b128 v[168:171], off, off offset:800
	v_add_f64_e32 v[188:189], v[188:189], v[192:193]
	v_add_f64_e32 v[198:199], v[178:179], v[176:177]
	s_wait_loadcnt_dscnt 0xa00
	v_mul_f64_e32 v[192:193], v[4:5], v[166:167]
	v_mul_f64_e32 v[166:167], v[6:7], v[166:167]
	v_fmac_f64_e32 v[194:195], v[186:187], v[180:181]
	v_fma_f64 v[184:185], v[184:185], v[180:181], -v[182:183]
	ds_load_b128 v[176:179], v2 offset:1600
	scratch_load_b128 v[180:183], off, off offset:816
	v_add_f64_e32 v[188:189], v[188:189], v[190:191]
	v_add_f64_e32 v[186:187], v[198:199], v[196:197]
	v_fmac_f64_e32 v[192:193], v[6:7], v[164:165]
	v_fma_f64 v[196:197], v[4:5], v[164:165], -v[166:167]
	ds_load_b128 v[4:7], v2 offset:1616
	s_wait_loadcnt_dscnt 0xa01
	v_mul_f64_e32 v[190:191], v[176:177], v[12:13]
	v_mul_f64_e32 v[12:13], v[178:179], v[12:13]
	scratch_load_b128 v[164:167], off, off offset:832
	v_add_f64_e32 v[188:189], v[188:189], v[194:195]
	s_wait_loadcnt_dscnt 0xa00
	v_mul_f64_e32 v[194:195], v[4:5], v[134:135]
	v_add_f64_e32 v[198:199], v[186:187], v[184:185]
	v_mul_f64_e32 v[134:135], v[6:7], v[134:135]
	ds_load_b128 v[184:187], v2 offset:1632
	v_fmac_f64_e32 v[190:191], v[178:179], v[10:11]
	v_fma_f64 v[176:177], v[176:177], v[10:11], -v[12:13]
	scratch_load_b128 v[10:13], off, off offset:848
	v_add_f64_e32 v[188:189], v[188:189], v[192:193]
	v_fmac_f64_e32 v[194:195], v[6:7], v[132:133]
	v_add_f64_e32 v[178:179], v[198:199], v[196:197]
	v_fma_f64 v[196:197], v[4:5], v[132:133], -v[134:135]
	ds_load_b128 v[4:7], v2 offset:1648
	s_wait_loadcnt_dscnt 0xa01
	v_mul_f64_e32 v[192:193], v[184:185], v[138:139]
	v_mul_f64_e32 v[138:139], v[186:187], v[138:139]
	scratch_load_b128 v[132:135], off, off offset:864
	v_add_f64_e32 v[188:189], v[188:189], v[190:191]
	s_wait_loadcnt_dscnt 0xa00
	v_mul_f64_e32 v[190:191], v[4:5], v[142:143]
	v_add_f64_e32 v[198:199], v[178:179], v[176:177]
	v_mul_f64_e32 v[142:143], v[6:7], v[142:143]
	ds_load_b128 v[176:179], v2 offset:1664
	v_fmac_f64_e32 v[192:193], v[186:187], v[136:137]
	v_fma_f64 v[184:185], v[184:185], v[136:137], -v[138:139]
	scratch_load_b128 v[136:139], off, off offset:880
	v_add_f64_e32 v[188:189], v[188:189], v[194:195]
	v_fmac_f64_e32 v[190:191], v[6:7], v[140:141]
	v_add_f64_e32 v[186:187], v[198:199], v[196:197]
	;; [unrolled: 18-line block ×3, first 2 shown]
	v_fma_f64 v[196:197], v[4:5], v[148:149], -v[150:151]
	ds_load_b128 v[4:7], v2 offset:1712
	s_wait_loadcnt_dscnt 0xa01
	v_mul_f64_e32 v[190:191], v[184:185], v[154:155]
	v_mul_f64_e32 v[154:155], v[186:187], v[154:155]
	scratch_load_b128 v[148:151], off, off offset:928
	v_add_f64_e32 v[188:189], v[188:189], v[194:195]
	s_wait_loadcnt_dscnt 0xa00
	v_mul_f64_e32 v[194:195], v[4:5], v[158:159]
	v_add_f64_e32 v[198:199], v[178:179], v[176:177]
	v_mul_f64_e32 v[158:159], v[6:7], v[158:159]
	ds_load_b128 v[176:179], v2 offset:1728
	v_fmac_f64_e32 v[190:191], v[186:187], v[152:153]
	v_fma_f64 v[152:153], v[184:185], v[152:153], -v[154:155]
	s_wait_loadcnt_dscnt 0x900
	v_mul_f64_e32 v[186:187], v[176:177], v[162:163]
	v_mul_f64_e32 v[162:163], v[178:179], v[162:163]
	v_add_f64_e32 v[184:185], v[188:189], v[192:193]
	v_fmac_f64_e32 v[194:195], v[6:7], v[156:157]
	v_add_f64_e32 v[154:155], v[198:199], v[196:197]
	v_fma_f64 v[156:157], v[4:5], v[156:157], -v[158:159]
	v_fmac_f64_e32 v[186:187], v[178:179], v[160:161]
	v_fma_f64 v[160:161], v[176:177], v[160:161], -v[162:163]
	v_add_f64_e32 v[184:185], v[184:185], v[190:191]
	v_add_f64_e32 v[158:159], v[154:155], v[152:153]
	ds_load_b128 v[4:7], v2 offset:1744
	ds_load_b128 v[152:155], v2 offset:1760
	s_wait_loadcnt_dscnt 0x801
	v_mul_f64_e32 v[188:189], v[4:5], v[170:171]
	v_mul_f64_e32 v[170:171], v[6:7], v[170:171]
	s_wait_loadcnt_dscnt 0x700
	v_mul_f64_e32 v[162:163], v[152:153], v[182:183]
	v_mul_f64_e32 v[176:177], v[154:155], v[182:183]
	v_add_f64_e32 v[156:157], v[158:159], v[156:157]
	v_add_f64_e32 v[158:159], v[184:185], v[194:195]
	v_fmac_f64_e32 v[188:189], v[6:7], v[168:169]
	v_fma_f64 v[168:169], v[4:5], v[168:169], -v[170:171]
	v_fmac_f64_e32 v[162:163], v[154:155], v[180:181]
	v_fma_f64 v[152:153], v[152:153], v[180:181], -v[176:177]
	v_add_f64_e32 v[160:161], v[156:157], v[160:161]
	v_add_f64_e32 v[170:171], v[158:159], v[186:187]
	ds_load_b128 v[4:7], v2 offset:1776
	ds_load_b128 v[156:159], v2 offset:1792
	s_wait_loadcnt_dscnt 0x601
	v_mul_f64_e32 v[178:179], v[4:5], v[166:167]
	v_mul_f64_e32 v[166:167], v[6:7], v[166:167]
	v_add_f64_e32 v[154:155], v[160:161], v[168:169]
	v_add_f64_e32 v[160:161], v[170:171], v[188:189]
	s_wait_loadcnt_dscnt 0x500
	v_mul_f64_e32 v[168:169], v[156:157], v[12:13]
	v_mul_f64_e32 v[12:13], v[158:159], v[12:13]
	v_fmac_f64_e32 v[178:179], v[6:7], v[164:165]
	v_fma_f64 v[164:165], v[4:5], v[164:165], -v[166:167]
	v_add_f64_e32 v[166:167], v[154:155], v[152:153]
	v_add_f64_e32 v[160:161], v[160:161], v[162:163]
	ds_load_b128 v[4:7], v2 offset:1808
	ds_load_b128 v[152:155], v2 offset:1824
	v_fmac_f64_e32 v[168:169], v[158:159], v[10:11]
	v_fma_f64 v[10:11], v[156:157], v[10:11], -v[12:13]
	s_wait_loadcnt_dscnt 0x401
	v_mul_f64_e32 v[162:163], v[4:5], v[134:135]
	v_mul_f64_e32 v[134:135], v[6:7], v[134:135]
	s_wait_loadcnt_dscnt 0x300
	v_mul_f64_e32 v[158:159], v[152:153], v[138:139]
	v_mul_f64_e32 v[138:139], v[154:155], v[138:139]
	v_add_f64_e32 v[12:13], v[166:167], v[164:165]
	v_add_f64_e32 v[156:157], v[160:161], v[178:179]
	v_fmac_f64_e32 v[162:163], v[6:7], v[132:133]
	v_fma_f64 v[132:133], v[4:5], v[132:133], -v[134:135]
	v_fmac_f64_e32 v[158:159], v[154:155], v[136:137]
	v_fma_f64 v[136:137], v[152:153], v[136:137], -v[138:139]
	v_add_f64_e32 v[134:135], v[12:13], v[10:11]
	v_add_f64_e32 v[156:157], v[156:157], v[168:169]
	ds_load_b128 v[4:7], v2 offset:1840
	ds_load_b128 v[10:13], v2 offset:1856
	s_wait_loadcnt_dscnt 0x201
	v_mul_f64_e32 v[160:161], v[4:5], v[142:143]
	v_mul_f64_e32 v[142:143], v[6:7], v[142:143]
	s_wait_loadcnt_dscnt 0x100
	v_mul_f64_e32 v[138:139], v[10:11], v[146:147]
	v_mul_f64_e32 v[146:147], v[12:13], v[146:147]
	v_add_f64_e32 v[132:133], v[134:135], v[132:133]
	v_add_f64_e32 v[134:135], v[156:157], v[162:163]
	v_fmac_f64_e32 v[160:161], v[6:7], v[140:141]
	v_fma_f64 v[140:141], v[4:5], v[140:141], -v[142:143]
	ds_load_b128 v[4:7], v2 offset:1872
	v_fmac_f64_e32 v[138:139], v[12:13], v[144:145]
	v_fma_f64 v[10:11], v[10:11], v[144:145], -v[146:147]
	v_add_f64_e32 v[132:133], v[132:133], v[136:137]
	v_add_f64_e32 v[134:135], v[134:135], v[158:159]
	s_wait_loadcnt_dscnt 0x0
	v_mul_f64_e32 v[136:137], v[4:5], v[150:151]
	v_mul_f64_e32 v[142:143], v[6:7], v[150:151]
	s_delay_alu instid0(VALU_DEP_4) | instskip(NEXT) | instid1(VALU_DEP_4)
	v_add_f64_e32 v[12:13], v[132:133], v[140:141]
	v_add_f64_e32 v[132:133], v[134:135], v[160:161]
	s_delay_alu instid0(VALU_DEP_4) | instskip(NEXT) | instid1(VALU_DEP_4)
	v_fmac_f64_e32 v[136:137], v[6:7], v[148:149]
	v_fma_f64 v[4:5], v[4:5], v[148:149], -v[142:143]
	s_delay_alu instid0(VALU_DEP_4) | instskip(NEXT) | instid1(VALU_DEP_4)
	v_add_f64_e32 v[6:7], v[12:13], v[10:11]
	v_add_f64_e32 v[10:11], v[132:133], v[138:139]
	s_delay_alu instid0(VALU_DEP_2) | instskip(NEXT) | instid1(VALU_DEP_2)
	v_add_f64_e32 v[4:5], v[6:7], v[4:5]
	v_add_f64_e32 v[6:7], v[10:11], v[136:137]
	s_delay_alu instid0(VALU_DEP_2) | instskip(NEXT) | instid1(VALU_DEP_2)
	v_add_f64_e64 v[4:5], v[172:173], -v[4:5]
	v_add_f64_e64 v[6:7], v[174:175], -v[6:7]
	scratch_store_b128 off, v[4:7], off offset:432
	s_wait_xcnt 0x0
	v_cmpx_lt_u32_e32 26, v1
	s_cbranch_execz .LBB122_315
; %bb.314:
	scratch_load_b128 v[10:13], off, s49
	v_dual_mov_b32 v3, v2 :: v_dual_mov_b32 v4, v2
	v_mov_b32_e32 v5, v2
	scratch_store_b128 off, v[2:5], off offset:416
	s_wait_loadcnt 0x0
	ds_store_b128 v8, v[10:13]
.LBB122_315:
	s_wait_xcnt 0x0
	s_or_b32 exec_lo, exec_lo, s2
	s_wait_storecnt_dscnt 0x0
	s_barrier_signal -1
	s_barrier_wait -1
	s_clause 0x9
	scratch_load_b128 v[4:7], off, off offset:432
	scratch_load_b128 v[10:13], off, off offset:448
	;; [unrolled: 1-line block ×10, first 2 shown]
	ds_load_b128 v[164:167], v2 offset:1376
	ds_load_b128 v[172:175], v2 offset:1392
	s_clause 0x2
	scratch_load_b128 v[168:171], off, off offset:592
	scratch_load_b128 v[176:179], off, off offset:416
	;; [unrolled: 1-line block ×3, first 2 shown]
	s_mov_b32 s2, exec_lo
	s_wait_loadcnt_dscnt 0xc01
	v_mul_f64_e32 v[184:185], v[166:167], v[6:7]
	v_mul_f64_e32 v[188:189], v[164:165], v[6:7]
	s_wait_loadcnt_dscnt 0xb00
	v_mul_f64_e32 v[190:191], v[172:173], v[12:13]
	v_mul_f64_e32 v[12:13], v[174:175], v[12:13]
	s_delay_alu instid0(VALU_DEP_4) | instskip(NEXT) | instid1(VALU_DEP_4)
	v_fma_f64 v[192:193], v[164:165], v[4:5], -v[184:185]
	v_fmac_f64_e32 v[188:189], v[166:167], v[4:5]
	ds_load_b128 v[4:7], v2 offset:1408
	ds_load_b128 v[164:167], v2 offset:1424
	scratch_load_b128 v[184:187], off, off offset:624
	v_fmac_f64_e32 v[190:191], v[174:175], v[10:11]
	v_fma_f64 v[172:173], v[172:173], v[10:11], -v[12:13]
	scratch_load_b128 v[10:13], off, off offset:640
	s_wait_loadcnt_dscnt 0xc01
	v_mul_f64_e32 v[194:195], v[4:5], v[134:135]
	v_mul_f64_e32 v[134:135], v[6:7], v[134:135]
	v_add_f64_e32 v[174:175], 0, v[192:193]
	v_add_f64_e32 v[188:189], 0, v[188:189]
	s_wait_loadcnt_dscnt 0xb00
	v_mul_f64_e32 v[192:193], v[164:165], v[138:139]
	v_mul_f64_e32 v[138:139], v[166:167], v[138:139]
	v_fmac_f64_e32 v[194:195], v[6:7], v[132:133]
	v_fma_f64 v[196:197], v[4:5], v[132:133], -v[134:135]
	ds_load_b128 v[4:7], v2 offset:1440
	ds_load_b128 v[132:135], v2 offset:1456
	v_add_f64_e32 v[198:199], v[174:175], v[172:173]
	v_add_f64_e32 v[188:189], v[188:189], v[190:191]
	scratch_load_b128 v[172:175], off, off offset:656
	v_fmac_f64_e32 v[192:193], v[166:167], v[136:137]
	v_fma_f64 v[164:165], v[164:165], v[136:137], -v[138:139]
	scratch_load_b128 v[136:139], off, off offset:672
	s_wait_loadcnt_dscnt 0xc01
	v_mul_f64_e32 v[190:191], v[4:5], v[142:143]
	v_mul_f64_e32 v[142:143], v[6:7], v[142:143]
	v_add_f64_e32 v[166:167], v[198:199], v[196:197]
	v_add_f64_e32 v[188:189], v[188:189], v[194:195]
	s_wait_loadcnt_dscnt 0xb00
	v_mul_f64_e32 v[194:195], v[132:133], v[146:147]
	v_mul_f64_e32 v[146:147], v[134:135], v[146:147]
	v_fmac_f64_e32 v[190:191], v[6:7], v[140:141]
	v_fma_f64 v[196:197], v[4:5], v[140:141], -v[142:143]
	ds_load_b128 v[4:7], v2 offset:1472
	ds_load_b128 v[140:143], v2 offset:1488
	v_add_f64_e32 v[198:199], v[166:167], v[164:165]
	v_add_f64_e32 v[188:189], v[188:189], v[192:193]
	scratch_load_b128 v[164:167], off, off offset:688
	s_wait_loadcnt_dscnt 0xb01
	v_mul_f64_e32 v[192:193], v[4:5], v[150:151]
	v_mul_f64_e32 v[150:151], v[6:7], v[150:151]
	v_fmac_f64_e32 v[194:195], v[134:135], v[144:145]
	v_fma_f64 v[144:145], v[132:133], v[144:145], -v[146:147]
	scratch_load_b128 v[132:135], off, off offset:704
	v_add_f64_e32 v[146:147], v[198:199], v[196:197]
	v_add_f64_e32 v[188:189], v[188:189], v[190:191]
	s_wait_loadcnt_dscnt 0xb00
	v_mul_f64_e32 v[190:191], v[140:141], v[154:155]
	v_mul_f64_e32 v[154:155], v[142:143], v[154:155]
	v_fmac_f64_e32 v[192:193], v[6:7], v[148:149]
	v_fma_f64 v[196:197], v[4:5], v[148:149], -v[150:151]
	v_add_f64_e32 v[198:199], v[146:147], v[144:145]
	v_add_f64_e32 v[188:189], v[188:189], v[194:195]
	ds_load_b128 v[4:7], v2 offset:1504
	ds_load_b128 v[144:147], v2 offset:1520
	scratch_load_b128 v[148:151], off, off offset:720
	v_fmac_f64_e32 v[190:191], v[142:143], v[152:153]
	v_fma_f64 v[152:153], v[140:141], v[152:153], -v[154:155]
	scratch_load_b128 v[140:143], off, off offset:736
	s_wait_loadcnt_dscnt 0xc01
	v_mul_f64_e32 v[194:195], v[4:5], v[158:159]
	v_mul_f64_e32 v[158:159], v[6:7], v[158:159]
	v_add_f64_e32 v[154:155], v[198:199], v[196:197]
	v_add_f64_e32 v[188:189], v[188:189], v[192:193]
	s_wait_loadcnt_dscnt 0xb00
	v_mul_f64_e32 v[192:193], v[144:145], v[162:163]
	v_mul_f64_e32 v[162:163], v[146:147], v[162:163]
	v_fmac_f64_e32 v[194:195], v[6:7], v[156:157]
	v_fma_f64 v[196:197], v[4:5], v[156:157], -v[158:159]
	v_add_f64_e32 v[198:199], v[154:155], v[152:153]
	v_add_f64_e32 v[188:189], v[188:189], v[190:191]
	ds_load_b128 v[4:7], v2 offset:1536
	ds_load_b128 v[152:155], v2 offset:1552
	scratch_load_b128 v[156:159], off, off offset:752
	v_fmac_f64_e32 v[192:193], v[146:147], v[160:161]
	v_fma_f64 v[160:161], v[144:145], v[160:161], -v[162:163]
	scratch_load_b128 v[144:147], off, off offset:768
	s_wait_loadcnt_dscnt 0xc01
	v_mul_f64_e32 v[190:191], v[4:5], v[170:171]
	v_mul_f64_e32 v[170:171], v[6:7], v[170:171]
	;; [unrolled: 18-line block ×5, first 2 shown]
	v_add_f64_e32 v[182:183], v[198:199], v[196:197]
	v_add_f64_e32 v[188:189], v[188:189], v[194:195]
	s_wait_loadcnt_dscnt 0xa00
	v_mul_f64_e32 v[194:195], v[160:161], v[134:135]
	v_mul_f64_e32 v[134:135], v[162:163], v[134:135]
	v_fmac_f64_e32 v[190:191], v[6:7], v[164:165]
	v_fma_f64 v[196:197], v[4:5], v[164:165], -v[166:167]
	ds_load_b128 v[4:7], v2 offset:1664
	ds_load_b128 v[164:167], v2 offset:1680
	v_add_f64_e32 v[198:199], v[182:183], v[180:181]
	v_add_f64_e32 v[188:189], v[188:189], v[192:193]
	scratch_load_b128 v[180:183], off, off offset:880
	v_fmac_f64_e32 v[194:195], v[162:163], v[132:133]
	v_fma_f64 v[160:161], v[160:161], v[132:133], -v[134:135]
	scratch_load_b128 v[132:135], off, off offset:896
	s_wait_loadcnt_dscnt 0xb01
	v_mul_f64_e32 v[192:193], v[4:5], v[150:151]
	v_mul_f64_e32 v[150:151], v[6:7], v[150:151]
	v_add_f64_e32 v[162:163], v[198:199], v[196:197]
	v_add_f64_e32 v[188:189], v[188:189], v[190:191]
	s_wait_loadcnt_dscnt 0xa00
	v_mul_f64_e32 v[190:191], v[164:165], v[142:143]
	v_mul_f64_e32 v[142:143], v[166:167], v[142:143]
	v_fmac_f64_e32 v[192:193], v[6:7], v[148:149]
	v_fma_f64 v[196:197], v[4:5], v[148:149], -v[150:151]
	ds_load_b128 v[4:7], v2 offset:1696
	ds_load_b128 v[148:151], v2 offset:1712
	v_add_f64_e32 v[198:199], v[162:163], v[160:161]
	v_add_f64_e32 v[188:189], v[188:189], v[194:195]
	scratch_load_b128 v[160:163], off, off offset:912
	s_wait_loadcnt_dscnt 0xa01
	v_mul_f64_e32 v[194:195], v[4:5], v[158:159]
	v_mul_f64_e32 v[158:159], v[6:7], v[158:159]
	v_fmac_f64_e32 v[190:191], v[166:167], v[140:141]
	v_fma_f64 v[164:165], v[164:165], v[140:141], -v[142:143]
	scratch_load_b128 v[140:143], off, off offset:928
	v_add_f64_e32 v[166:167], v[198:199], v[196:197]
	v_add_f64_e32 v[188:189], v[188:189], v[192:193]
	s_wait_loadcnt_dscnt 0xa00
	v_mul_f64_e32 v[192:193], v[148:149], v[146:147]
	v_mul_f64_e32 v[146:147], v[150:151], v[146:147]
	v_fmac_f64_e32 v[194:195], v[6:7], v[156:157]
	v_fma_f64 v[196:197], v[4:5], v[156:157], -v[158:159]
	ds_load_b128 v[4:7], v2 offset:1728
	ds_load_b128 v[156:159], v2 offset:1744
	v_add_f64_e32 v[164:165], v[166:167], v[164:165]
	v_add_f64_e32 v[166:167], v[188:189], v[190:191]
	v_fmac_f64_e32 v[192:193], v[150:151], v[144:145]
	s_wait_loadcnt_dscnt 0x901
	v_mul_f64_e32 v[188:189], v[4:5], v[170:171]
	v_mul_f64_e32 v[170:171], v[6:7], v[170:171]
	v_fma_f64 v[144:145], v[148:149], v[144:145], -v[146:147]
	s_wait_loadcnt_dscnt 0x800
	v_mul_f64_e32 v[150:151], v[156:157], v[154:155]
	v_mul_f64_e32 v[154:155], v[158:159], v[154:155]
	v_add_f64_e32 v[146:147], v[164:165], v[196:197]
	v_add_f64_e32 v[148:149], v[166:167], v[194:195]
	v_fmac_f64_e32 v[188:189], v[6:7], v[168:169]
	v_fma_f64 v[164:165], v[4:5], v[168:169], -v[170:171]
	v_fmac_f64_e32 v[150:151], v[158:159], v[152:153]
	v_fma_f64 v[152:153], v[156:157], v[152:153], -v[154:155]
	v_add_f64_e32 v[166:167], v[146:147], v[144:145]
	v_add_f64_e32 v[148:149], v[148:149], v[192:193]
	ds_load_b128 v[4:7], v2 offset:1760
	ds_load_b128 v[144:147], v2 offset:1776
	s_wait_loadcnt_dscnt 0x701
	v_mul_f64_e32 v[168:169], v[4:5], v[186:187]
	v_mul_f64_e32 v[170:171], v[6:7], v[186:187]
	s_wait_loadcnt_dscnt 0x600
	v_mul_f64_e32 v[156:157], v[144:145], v[12:13]
	v_mul_f64_e32 v[12:13], v[146:147], v[12:13]
	v_add_f64_e32 v[154:155], v[166:167], v[164:165]
	v_add_f64_e32 v[148:149], v[148:149], v[188:189]
	v_fmac_f64_e32 v[168:169], v[6:7], v[184:185]
	v_fma_f64 v[158:159], v[4:5], v[184:185], -v[170:171]
	v_fmac_f64_e32 v[156:157], v[146:147], v[10:11]
	v_fma_f64 v[10:11], v[144:145], v[10:11], -v[12:13]
	v_add_f64_e32 v[152:153], v[154:155], v[152:153]
	v_add_f64_e32 v[154:155], v[148:149], v[150:151]
	ds_load_b128 v[4:7], v2 offset:1792
	ds_load_b128 v[148:151], v2 offset:1808
	s_wait_loadcnt_dscnt 0x501
	v_mul_f64_e32 v[164:165], v[4:5], v[174:175]
	v_mul_f64_e32 v[166:167], v[6:7], v[174:175]
	;; [unrolled: 16-line block ×4, first 2 shown]
	v_add_f64_e32 v[12:13], v[138:139], v[152:153]
	v_add_f64_e32 v[132:133], v[144:145], v[156:157]
	s_wait_loadcnt_dscnt 0x0
	v_mul_f64_e32 v[138:139], v[134:135], v[142:143]
	v_mul_f64_e32 v[142:143], v[136:137], v[142:143]
	v_fmac_f64_e32 v[2:3], v[6:7], v[160:161]
	v_fma_f64 v[4:5], v[4:5], v[160:161], -v[146:147]
	v_add_f64_e32 v[6:7], v[12:13], v[10:11]
	v_add_f64_e32 v[10:11], v[132:133], v[148:149]
	v_fmac_f64_e32 v[138:139], v[136:137], v[140:141]
	v_fma_f64 v[12:13], v[134:135], v[140:141], -v[142:143]
	s_delay_alu instid0(VALU_DEP_4) | instskip(NEXT) | instid1(VALU_DEP_4)
	v_add_f64_e32 v[4:5], v[6:7], v[4:5]
	v_add_f64_e32 v[2:3], v[10:11], v[2:3]
	s_delay_alu instid0(VALU_DEP_2) | instskip(NEXT) | instid1(VALU_DEP_2)
	v_add_f64_e32 v[4:5], v[4:5], v[12:13]
	v_add_f64_e32 v[6:7], v[2:3], v[138:139]
	s_delay_alu instid0(VALU_DEP_2) | instskip(NEXT) | instid1(VALU_DEP_2)
	v_add_f64_e64 v[2:3], v[176:177], -v[4:5]
	v_add_f64_e64 v[4:5], v[178:179], -v[6:7]
	scratch_store_b128 off, v[2:5], off offset:416
	s_wait_xcnt 0x0
	v_cmpx_lt_u32_e32 25, v1
	s_cbranch_execz .LBB122_317
; %bb.316:
	scratch_load_b128 v[2:5], off, s50
	v_mov_b32_e32 v10, 0
	s_delay_alu instid0(VALU_DEP_1)
	v_dual_mov_b32 v11, v10 :: v_dual_mov_b32 v12, v10
	v_mov_b32_e32 v13, v10
	scratch_store_b128 off, v[10:13], off offset:400
	s_wait_loadcnt 0x0
	ds_store_b128 v8, v[2:5]
.LBB122_317:
	s_wait_xcnt 0x0
	s_or_b32 exec_lo, exec_lo, s2
	s_wait_storecnt_dscnt 0x0
	s_barrier_signal -1
	s_barrier_wait -1
	s_clause 0x9
	scratch_load_b128 v[4:7], off, off offset:416
	scratch_load_b128 v[10:13], off, off offset:432
	;; [unrolled: 1-line block ×10, first 2 shown]
	v_mov_b32_e32 v2, 0
	s_mov_b32 s2, exec_lo
	ds_load_b128 v[164:167], v2 offset:1360
	s_clause 0x2
	scratch_load_b128 v[168:171], off, off offset:576
	scratch_load_b128 v[172:175], off, off offset:400
	;; [unrolled: 1-line block ×3, first 2 shown]
	s_wait_loadcnt_dscnt 0xc00
	v_mul_f64_e32 v[184:185], v[166:167], v[6:7]
	v_mul_f64_e32 v[188:189], v[164:165], v[6:7]
	ds_load_b128 v[176:179], v2 offset:1376
	v_fma_f64 v[192:193], v[164:165], v[4:5], -v[184:185]
	v_fmac_f64_e32 v[188:189], v[166:167], v[4:5]
	ds_load_b128 v[4:7], v2 offset:1392
	s_wait_loadcnt_dscnt 0xb01
	v_mul_f64_e32 v[190:191], v[176:177], v[12:13]
	v_mul_f64_e32 v[12:13], v[178:179], v[12:13]
	scratch_load_b128 v[164:167], off, off offset:608
	ds_load_b128 v[184:187], v2 offset:1408
	s_wait_loadcnt_dscnt 0xb01
	v_mul_f64_e32 v[194:195], v[4:5], v[134:135]
	v_mul_f64_e32 v[134:135], v[6:7], v[134:135]
	v_add_f64_e32 v[188:189], 0, v[188:189]
	v_fmac_f64_e32 v[190:191], v[178:179], v[10:11]
	v_fma_f64 v[176:177], v[176:177], v[10:11], -v[12:13]
	v_add_f64_e32 v[178:179], 0, v[192:193]
	scratch_load_b128 v[10:13], off, off offset:624
	v_fmac_f64_e32 v[194:195], v[6:7], v[132:133]
	v_fma_f64 v[196:197], v[4:5], v[132:133], -v[134:135]
	ds_load_b128 v[4:7], v2 offset:1424
	s_wait_loadcnt_dscnt 0xb01
	v_mul_f64_e32 v[192:193], v[184:185], v[138:139]
	v_mul_f64_e32 v[138:139], v[186:187], v[138:139]
	scratch_load_b128 v[132:135], off, off offset:640
	v_add_f64_e32 v[188:189], v[188:189], v[190:191]
	v_add_f64_e32 v[198:199], v[178:179], v[176:177]
	ds_load_b128 v[176:179], v2 offset:1440
	s_wait_loadcnt_dscnt 0xb01
	v_mul_f64_e32 v[190:191], v[4:5], v[142:143]
	v_mul_f64_e32 v[142:143], v[6:7], v[142:143]
	v_fmac_f64_e32 v[192:193], v[186:187], v[136:137]
	v_fma_f64 v[184:185], v[184:185], v[136:137], -v[138:139]
	scratch_load_b128 v[136:139], off, off offset:656
	v_add_f64_e32 v[188:189], v[188:189], v[194:195]
	v_add_f64_e32 v[186:187], v[198:199], v[196:197]
	v_fmac_f64_e32 v[190:191], v[6:7], v[140:141]
	v_fma_f64 v[196:197], v[4:5], v[140:141], -v[142:143]
	ds_load_b128 v[4:7], v2 offset:1456
	s_wait_loadcnt_dscnt 0xb01
	v_mul_f64_e32 v[194:195], v[176:177], v[146:147]
	v_mul_f64_e32 v[146:147], v[178:179], v[146:147]
	scratch_load_b128 v[140:143], off, off offset:672
	v_add_f64_e32 v[188:189], v[188:189], v[192:193]
	s_wait_loadcnt_dscnt 0xb00
	v_mul_f64_e32 v[192:193], v[4:5], v[150:151]
	v_add_f64_e32 v[198:199], v[186:187], v[184:185]
	v_mul_f64_e32 v[150:151], v[6:7], v[150:151]
	ds_load_b128 v[184:187], v2 offset:1472
	v_fmac_f64_e32 v[194:195], v[178:179], v[144:145]
	v_fma_f64 v[176:177], v[176:177], v[144:145], -v[146:147]
	scratch_load_b128 v[144:147], off, off offset:688
	v_add_f64_e32 v[188:189], v[188:189], v[190:191]
	v_fmac_f64_e32 v[192:193], v[6:7], v[148:149]
	v_add_f64_e32 v[178:179], v[198:199], v[196:197]
	v_fma_f64 v[196:197], v[4:5], v[148:149], -v[150:151]
	ds_load_b128 v[4:7], v2 offset:1488
	s_wait_loadcnt_dscnt 0xb01
	v_mul_f64_e32 v[190:191], v[184:185], v[154:155]
	v_mul_f64_e32 v[154:155], v[186:187], v[154:155]
	scratch_load_b128 v[148:151], off, off offset:704
	v_add_f64_e32 v[188:189], v[188:189], v[194:195]
	s_wait_loadcnt_dscnt 0xb00
	v_mul_f64_e32 v[194:195], v[4:5], v[158:159]
	v_add_f64_e32 v[198:199], v[178:179], v[176:177]
	v_mul_f64_e32 v[158:159], v[6:7], v[158:159]
	ds_load_b128 v[176:179], v2 offset:1504
	v_fmac_f64_e32 v[190:191], v[186:187], v[152:153]
	v_fma_f64 v[184:185], v[184:185], v[152:153], -v[154:155]
	scratch_load_b128 v[152:155], off, off offset:720
	v_add_f64_e32 v[188:189], v[188:189], v[192:193]
	v_fmac_f64_e32 v[194:195], v[6:7], v[156:157]
	v_add_f64_e32 v[186:187], v[198:199], v[196:197]
	;; [unrolled: 18-line block ×3, first 2 shown]
	v_fma_f64 v[196:197], v[4:5], v[168:169], -v[170:171]
	ds_load_b128 v[4:7], v2 offset:1552
	s_wait_loadcnt_dscnt 0xa01
	v_mul_f64_e32 v[194:195], v[184:185], v[182:183]
	v_mul_f64_e32 v[182:183], v[186:187], v[182:183]
	scratch_load_b128 v[168:171], off, off offset:768
	v_add_f64_e32 v[188:189], v[188:189], v[192:193]
	v_add_f64_e32 v[198:199], v[178:179], v[176:177]
	s_wait_loadcnt_dscnt 0xa00
	v_mul_f64_e32 v[192:193], v[4:5], v[166:167]
	v_mul_f64_e32 v[166:167], v[6:7], v[166:167]
	v_fmac_f64_e32 v[194:195], v[186:187], v[180:181]
	v_fma_f64 v[184:185], v[184:185], v[180:181], -v[182:183]
	ds_load_b128 v[176:179], v2 offset:1568
	scratch_load_b128 v[180:183], off, off offset:784
	v_add_f64_e32 v[188:189], v[188:189], v[190:191]
	v_add_f64_e32 v[186:187], v[198:199], v[196:197]
	v_fmac_f64_e32 v[192:193], v[6:7], v[164:165]
	v_fma_f64 v[196:197], v[4:5], v[164:165], -v[166:167]
	ds_load_b128 v[4:7], v2 offset:1584
	s_wait_loadcnt_dscnt 0xa01
	v_mul_f64_e32 v[190:191], v[176:177], v[12:13]
	v_mul_f64_e32 v[12:13], v[178:179], v[12:13]
	scratch_load_b128 v[164:167], off, off offset:800
	v_add_f64_e32 v[188:189], v[188:189], v[194:195]
	s_wait_loadcnt_dscnt 0xa00
	v_mul_f64_e32 v[194:195], v[4:5], v[134:135]
	v_add_f64_e32 v[198:199], v[186:187], v[184:185]
	v_mul_f64_e32 v[134:135], v[6:7], v[134:135]
	ds_load_b128 v[184:187], v2 offset:1600
	v_fmac_f64_e32 v[190:191], v[178:179], v[10:11]
	v_fma_f64 v[176:177], v[176:177], v[10:11], -v[12:13]
	scratch_load_b128 v[10:13], off, off offset:816
	v_add_f64_e32 v[188:189], v[188:189], v[192:193]
	v_fmac_f64_e32 v[194:195], v[6:7], v[132:133]
	v_add_f64_e32 v[178:179], v[198:199], v[196:197]
	v_fma_f64 v[196:197], v[4:5], v[132:133], -v[134:135]
	ds_load_b128 v[4:7], v2 offset:1616
	s_wait_loadcnt_dscnt 0xa01
	v_mul_f64_e32 v[192:193], v[184:185], v[138:139]
	v_mul_f64_e32 v[138:139], v[186:187], v[138:139]
	scratch_load_b128 v[132:135], off, off offset:832
	v_add_f64_e32 v[188:189], v[188:189], v[190:191]
	s_wait_loadcnt_dscnt 0xa00
	v_mul_f64_e32 v[190:191], v[4:5], v[142:143]
	v_add_f64_e32 v[198:199], v[178:179], v[176:177]
	v_mul_f64_e32 v[142:143], v[6:7], v[142:143]
	ds_load_b128 v[176:179], v2 offset:1632
	v_fmac_f64_e32 v[192:193], v[186:187], v[136:137]
	v_fma_f64 v[184:185], v[184:185], v[136:137], -v[138:139]
	scratch_load_b128 v[136:139], off, off offset:848
	v_add_f64_e32 v[188:189], v[188:189], v[194:195]
	v_fmac_f64_e32 v[190:191], v[6:7], v[140:141]
	v_add_f64_e32 v[186:187], v[198:199], v[196:197]
	v_fma_f64 v[196:197], v[4:5], v[140:141], -v[142:143]
	ds_load_b128 v[4:7], v2 offset:1648
	s_wait_loadcnt_dscnt 0xa01
	v_mul_f64_e32 v[194:195], v[176:177], v[146:147]
	v_mul_f64_e32 v[146:147], v[178:179], v[146:147]
	scratch_load_b128 v[140:143], off, off offset:864
	v_add_f64_e32 v[188:189], v[188:189], v[192:193]
	s_wait_loadcnt_dscnt 0xa00
	v_mul_f64_e32 v[192:193], v[4:5], v[150:151]
	v_add_f64_e32 v[198:199], v[186:187], v[184:185]
	v_mul_f64_e32 v[150:151], v[6:7], v[150:151]
	ds_load_b128 v[184:187], v2 offset:1664
	v_fmac_f64_e32 v[194:195], v[178:179], v[144:145]
	v_fma_f64 v[176:177], v[176:177], v[144:145], -v[146:147]
	scratch_load_b128 v[144:147], off, off offset:880
	v_add_f64_e32 v[188:189], v[188:189], v[190:191]
	v_fmac_f64_e32 v[192:193], v[6:7], v[148:149]
	v_add_f64_e32 v[178:179], v[198:199], v[196:197]
	v_fma_f64 v[196:197], v[4:5], v[148:149], -v[150:151]
	ds_load_b128 v[4:7], v2 offset:1680
	s_wait_loadcnt_dscnt 0xa01
	v_mul_f64_e32 v[190:191], v[184:185], v[154:155]
	v_mul_f64_e32 v[154:155], v[186:187], v[154:155]
	scratch_load_b128 v[148:151], off, off offset:896
	v_add_f64_e32 v[188:189], v[188:189], v[194:195]
	s_wait_loadcnt_dscnt 0xa00
	v_mul_f64_e32 v[194:195], v[4:5], v[158:159]
	v_add_f64_e32 v[198:199], v[178:179], v[176:177]
	v_mul_f64_e32 v[158:159], v[6:7], v[158:159]
	ds_load_b128 v[176:179], v2 offset:1696
	v_fmac_f64_e32 v[190:191], v[186:187], v[152:153]
	v_fma_f64 v[184:185], v[184:185], v[152:153], -v[154:155]
	scratch_load_b128 v[152:155], off, off offset:912
	v_add_f64_e32 v[188:189], v[188:189], v[192:193]
	v_fmac_f64_e32 v[194:195], v[6:7], v[156:157]
	v_add_f64_e32 v[186:187], v[198:199], v[196:197]
	v_fma_f64 v[196:197], v[4:5], v[156:157], -v[158:159]
	ds_load_b128 v[4:7], v2 offset:1712
	s_wait_loadcnt_dscnt 0xa01
	v_mul_f64_e32 v[192:193], v[176:177], v[162:163]
	v_mul_f64_e32 v[162:163], v[178:179], v[162:163]
	scratch_load_b128 v[156:159], off, off offset:928
	v_add_f64_e32 v[188:189], v[188:189], v[190:191]
	s_wait_loadcnt_dscnt 0xa00
	v_mul_f64_e32 v[190:191], v[4:5], v[170:171]
	v_add_f64_e32 v[198:199], v[186:187], v[184:185]
	v_mul_f64_e32 v[170:171], v[6:7], v[170:171]
	ds_load_b128 v[184:187], v2 offset:1728
	v_fmac_f64_e32 v[192:193], v[178:179], v[160:161]
	v_fma_f64 v[160:161], v[176:177], v[160:161], -v[162:163]
	s_wait_loadcnt_dscnt 0x900
	v_mul_f64_e32 v[178:179], v[184:185], v[182:183]
	v_mul_f64_e32 v[182:183], v[186:187], v[182:183]
	v_add_f64_e32 v[176:177], v[188:189], v[194:195]
	v_fmac_f64_e32 v[190:191], v[6:7], v[168:169]
	v_add_f64_e32 v[162:163], v[198:199], v[196:197]
	v_fma_f64 v[168:169], v[4:5], v[168:169], -v[170:171]
	v_fmac_f64_e32 v[178:179], v[186:187], v[180:181]
	v_fma_f64 v[180:181], v[184:185], v[180:181], -v[182:183]
	v_add_f64_e32 v[176:177], v[176:177], v[192:193]
	v_add_f64_e32 v[170:171], v[162:163], v[160:161]
	ds_load_b128 v[4:7], v2 offset:1744
	ds_load_b128 v[160:163], v2 offset:1760
	s_wait_loadcnt_dscnt 0x801
	v_mul_f64_e32 v[188:189], v[4:5], v[166:167]
	v_mul_f64_e32 v[166:167], v[6:7], v[166:167]
	v_add_f64_e32 v[168:169], v[170:171], v[168:169]
	v_add_f64_e32 v[170:171], v[176:177], v[190:191]
	s_wait_loadcnt_dscnt 0x700
	v_mul_f64_e32 v[176:177], v[160:161], v[12:13]
	v_mul_f64_e32 v[12:13], v[162:163], v[12:13]
	v_fmac_f64_e32 v[188:189], v[6:7], v[164:165]
	v_fma_f64 v[182:183], v[4:5], v[164:165], -v[166:167]
	ds_load_b128 v[4:7], v2 offset:1776
	ds_load_b128 v[164:167], v2 offset:1792
	v_add_f64_e32 v[168:169], v[168:169], v[180:181]
	v_add_f64_e32 v[170:171], v[170:171], v[178:179]
	v_fmac_f64_e32 v[176:177], v[162:163], v[10:11]
	v_fma_f64 v[10:11], v[160:161], v[10:11], -v[12:13]
	s_wait_loadcnt_dscnt 0x601
	v_mul_f64_e32 v[178:179], v[4:5], v[134:135]
	v_mul_f64_e32 v[134:135], v[6:7], v[134:135]
	s_wait_loadcnt_dscnt 0x500
	v_mul_f64_e32 v[162:163], v[164:165], v[138:139]
	v_mul_f64_e32 v[138:139], v[166:167], v[138:139]
	v_add_f64_e32 v[12:13], v[168:169], v[182:183]
	v_add_f64_e32 v[160:161], v[170:171], v[188:189]
	v_fmac_f64_e32 v[178:179], v[6:7], v[132:133]
	v_fma_f64 v[132:133], v[4:5], v[132:133], -v[134:135]
	v_fmac_f64_e32 v[162:163], v[166:167], v[136:137]
	v_fma_f64 v[136:137], v[164:165], v[136:137], -v[138:139]
	v_add_f64_e32 v[134:135], v[12:13], v[10:11]
	v_add_f64_e32 v[160:161], v[160:161], v[176:177]
	ds_load_b128 v[4:7], v2 offset:1808
	ds_load_b128 v[10:13], v2 offset:1824
	s_wait_loadcnt_dscnt 0x401
	v_mul_f64_e32 v[168:169], v[4:5], v[142:143]
	v_mul_f64_e32 v[142:143], v[6:7], v[142:143]
	s_wait_loadcnt_dscnt 0x300
	v_mul_f64_e32 v[138:139], v[10:11], v[146:147]
	v_mul_f64_e32 v[146:147], v[12:13], v[146:147]
	v_add_f64_e32 v[132:133], v[134:135], v[132:133]
	v_add_f64_e32 v[134:135], v[160:161], v[178:179]
	v_fmac_f64_e32 v[168:169], v[6:7], v[140:141]
	v_fma_f64 v[140:141], v[4:5], v[140:141], -v[142:143]
	v_fmac_f64_e32 v[138:139], v[12:13], v[144:145]
	v_fma_f64 v[10:11], v[10:11], v[144:145], -v[146:147]
	v_add_f64_e32 v[136:137], v[132:133], v[136:137]
	v_add_f64_e32 v[142:143], v[134:135], v[162:163]
	ds_load_b128 v[4:7], v2 offset:1840
	ds_load_b128 v[132:135], v2 offset:1856
	s_wait_loadcnt_dscnt 0x201
	v_mul_f64_e32 v[160:161], v[4:5], v[150:151]
	v_mul_f64_e32 v[150:151], v[6:7], v[150:151]
	v_add_f64_e32 v[12:13], v[136:137], v[140:141]
	v_add_f64_e32 v[136:137], v[142:143], v[168:169]
	s_wait_loadcnt_dscnt 0x100
	v_mul_f64_e32 v[140:141], v[132:133], v[154:155]
	v_mul_f64_e32 v[142:143], v[134:135], v[154:155]
	v_fmac_f64_e32 v[160:161], v[6:7], v[148:149]
	v_fma_f64 v[144:145], v[4:5], v[148:149], -v[150:151]
	ds_load_b128 v[4:7], v2 offset:1872
	v_add_f64_e32 v[10:11], v[12:13], v[10:11]
	v_add_f64_e32 v[12:13], v[136:137], v[138:139]
	v_fmac_f64_e32 v[140:141], v[134:135], v[152:153]
	v_fma_f64 v[132:133], v[132:133], v[152:153], -v[142:143]
	s_wait_loadcnt_dscnt 0x0
	v_mul_f64_e32 v[136:137], v[4:5], v[158:159]
	v_mul_f64_e32 v[138:139], v[6:7], v[158:159]
	v_add_f64_e32 v[10:11], v[10:11], v[144:145]
	v_add_f64_e32 v[12:13], v[12:13], v[160:161]
	s_delay_alu instid0(VALU_DEP_4) | instskip(NEXT) | instid1(VALU_DEP_4)
	v_fmac_f64_e32 v[136:137], v[6:7], v[156:157]
	v_fma_f64 v[4:5], v[4:5], v[156:157], -v[138:139]
	s_delay_alu instid0(VALU_DEP_4) | instskip(NEXT) | instid1(VALU_DEP_4)
	v_add_f64_e32 v[6:7], v[10:11], v[132:133]
	v_add_f64_e32 v[10:11], v[12:13], v[140:141]
	s_delay_alu instid0(VALU_DEP_2) | instskip(NEXT) | instid1(VALU_DEP_2)
	v_add_f64_e32 v[4:5], v[6:7], v[4:5]
	v_add_f64_e32 v[6:7], v[10:11], v[136:137]
	s_delay_alu instid0(VALU_DEP_2) | instskip(NEXT) | instid1(VALU_DEP_2)
	v_add_f64_e64 v[4:5], v[172:173], -v[4:5]
	v_add_f64_e64 v[6:7], v[174:175], -v[6:7]
	scratch_store_b128 off, v[4:7], off offset:400
	s_wait_xcnt 0x0
	v_cmpx_lt_u32_e32 24, v1
	s_cbranch_execz .LBB122_319
; %bb.318:
	scratch_load_b128 v[10:13], off, s51
	v_dual_mov_b32 v3, v2 :: v_dual_mov_b32 v4, v2
	v_mov_b32_e32 v5, v2
	scratch_store_b128 off, v[2:5], off offset:384
	s_wait_loadcnt 0x0
	ds_store_b128 v8, v[10:13]
.LBB122_319:
	s_wait_xcnt 0x0
	s_or_b32 exec_lo, exec_lo, s2
	s_wait_storecnt_dscnt 0x0
	s_barrier_signal -1
	s_barrier_wait -1
	s_clause 0x9
	scratch_load_b128 v[4:7], off, off offset:400
	scratch_load_b128 v[10:13], off, off offset:416
	;; [unrolled: 1-line block ×10, first 2 shown]
	ds_load_b128 v[164:167], v2 offset:1344
	ds_load_b128 v[172:175], v2 offset:1360
	s_clause 0x2
	scratch_load_b128 v[168:171], off, off offset:560
	scratch_load_b128 v[176:179], off, off offset:384
	;; [unrolled: 1-line block ×3, first 2 shown]
	s_mov_b32 s2, exec_lo
	s_wait_loadcnt_dscnt 0xc01
	v_mul_f64_e32 v[184:185], v[166:167], v[6:7]
	v_mul_f64_e32 v[188:189], v[164:165], v[6:7]
	s_wait_loadcnt_dscnt 0xb00
	v_mul_f64_e32 v[190:191], v[172:173], v[12:13]
	v_mul_f64_e32 v[12:13], v[174:175], v[12:13]
	s_delay_alu instid0(VALU_DEP_4) | instskip(NEXT) | instid1(VALU_DEP_4)
	v_fma_f64 v[192:193], v[164:165], v[4:5], -v[184:185]
	v_fmac_f64_e32 v[188:189], v[166:167], v[4:5]
	ds_load_b128 v[4:7], v2 offset:1376
	ds_load_b128 v[164:167], v2 offset:1392
	scratch_load_b128 v[184:187], off, off offset:592
	v_fmac_f64_e32 v[190:191], v[174:175], v[10:11]
	v_fma_f64 v[172:173], v[172:173], v[10:11], -v[12:13]
	scratch_load_b128 v[10:13], off, off offset:608
	s_wait_loadcnt_dscnt 0xc01
	v_mul_f64_e32 v[194:195], v[4:5], v[134:135]
	v_mul_f64_e32 v[134:135], v[6:7], v[134:135]
	v_add_f64_e32 v[174:175], 0, v[192:193]
	v_add_f64_e32 v[188:189], 0, v[188:189]
	s_wait_loadcnt_dscnt 0xb00
	v_mul_f64_e32 v[192:193], v[164:165], v[138:139]
	v_mul_f64_e32 v[138:139], v[166:167], v[138:139]
	v_fmac_f64_e32 v[194:195], v[6:7], v[132:133]
	v_fma_f64 v[196:197], v[4:5], v[132:133], -v[134:135]
	ds_load_b128 v[4:7], v2 offset:1408
	ds_load_b128 v[132:135], v2 offset:1424
	v_add_f64_e32 v[198:199], v[174:175], v[172:173]
	v_add_f64_e32 v[188:189], v[188:189], v[190:191]
	scratch_load_b128 v[172:175], off, off offset:624
	v_fmac_f64_e32 v[192:193], v[166:167], v[136:137]
	v_fma_f64 v[164:165], v[164:165], v[136:137], -v[138:139]
	scratch_load_b128 v[136:139], off, off offset:640
	s_wait_loadcnt_dscnt 0xc01
	v_mul_f64_e32 v[190:191], v[4:5], v[142:143]
	v_mul_f64_e32 v[142:143], v[6:7], v[142:143]
	v_add_f64_e32 v[166:167], v[198:199], v[196:197]
	v_add_f64_e32 v[188:189], v[188:189], v[194:195]
	s_wait_loadcnt_dscnt 0xb00
	v_mul_f64_e32 v[194:195], v[132:133], v[146:147]
	v_mul_f64_e32 v[146:147], v[134:135], v[146:147]
	v_fmac_f64_e32 v[190:191], v[6:7], v[140:141]
	v_fma_f64 v[196:197], v[4:5], v[140:141], -v[142:143]
	ds_load_b128 v[4:7], v2 offset:1440
	ds_load_b128 v[140:143], v2 offset:1456
	v_add_f64_e32 v[198:199], v[166:167], v[164:165]
	v_add_f64_e32 v[188:189], v[188:189], v[192:193]
	scratch_load_b128 v[164:167], off, off offset:656
	s_wait_loadcnt_dscnt 0xb01
	v_mul_f64_e32 v[192:193], v[4:5], v[150:151]
	v_mul_f64_e32 v[150:151], v[6:7], v[150:151]
	v_fmac_f64_e32 v[194:195], v[134:135], v[144:145]
	v_fma_f64 v[144:145], v[132:133], v[144:145], -v[146:147]
	scratch_load_b128 v[132:135], off, off offset:672
	v_add_f64_e32 v[146:147], v[198:199], v[196:197]
	v_add_f64_e32 v[188:189], v[188:189], v[190:191]
	s_wait_loadcnt_dscnt 0xb00
	v_mul_f64_e32 v[190:191], v[140:141], v[154:155]
	v_mul_f64_e32 v[154:155], v[142:143], v[154:155]
	v_fmac_f64_e32 v[192:193], v[6:7], v[148:149]
	v_fma_f64 v[196:197], v[4:5], v[148:149], -v[150:151]
	v_add_f64_e32 v[198:199], v[146:147], v[144:145]
	v_add_f64_e32 v[188:189], v[188:189], v[194:195]
	ds_load_b128 v[4:7], v2 offset:1472
	ds_load_b128 v[144:147], v2 offset:1488
	scratch_load_b128 v[148:151], off, off offset:688
	v_fmac_f64_e32 v[190:191], v[142:143], v[152:153]
	v_fma_f64 v[152:153], v[140:141], v[152:153], -v[154:155]
	scratch_load_b128 v[140:143], off, off offset:704
	s_wait_loadcnt_dscnt 0xc01
	v_mul_f64_e32 v[194:195], v[4:5], v[158:159]
	v_mul_f64_e32 v[158:159], v[6:7], v[158:159]
	v_add_f64_e32 v[154:155], v[198:199], v[196:197]
	v_add_f64_e32 v[188:189], v[188:189], v[192:193]
	s_wait_loadcnt_dscnt 0xb00
	v_mul_f64_e32 v[192:193], v[144:145], v[162:163]
	v_mul_f64_e32 v[162:163], v[146:147], v[162:163]
	v_fmac_f64_e32 v[194:195], v[6:7], v[156:157]
	v_fma_f64 v[196:197], v[4:5], v[156:157], -v[158:159]
	v_add_f64_e32 v[198:199], v[154:155], v[152:153]
	v_add_f64_e32 v[188:189], v[188:189], v[190:191]
	ds_load_b128 v[4:7], v2 offset:1504
	ds_load_b128 v[152:155], v2 offset:1520
	scratch_load_b128 v[156:159], off, off offset:720
	v_fmac_f64_e32 v[192:193], v[146:147], v[160:161]
	v_fma_f64 v[160:161], v[144:145], v[160:161], -v[162:163]
	scratch_load_b128 v[144:147], off, off offset:736
	s_wait_loadcnt_dscnt 0xc01
	v_mul_f64_e32 v[190:191], v[4:5], v[170:171]
	v_mul_f64_e32 v[170:171], v[6:7], v[170:171]
	;; [unrolled: 18-line block ×5, first 2 shown]
	v_add_f64_e32 v[182:183], v[198:199], v[196:197]
	v_add_f64_e32 v[188:189], v[188:189], v[194:195]
	s_wait_loadcnt_dscnt 0xa00
	v_mul_f64_e32 v[194:195], v[160:161], v[134:135]
	v_mul_f64_e32 v[134:135], v[162:163], v[134:135]
	v_fmac_f64_e32 v[190:191], v[6:7], v[164:165]
	v_fma_f64 v[196:197], v[4:5], v[164:165], -v[166:167]
	ds_load_b128 v[4:7], v2 offset:1632
	ds_load_b128 v[164:167], v2 offset:1648
	v_add_f64_e32 v[198:199], v[182:183], v[180:181]
	v_add_f64_e32 v[188:189], v[188:189], v[192:193]
	scratch_load_b128 v[180:183], off, off offset:848
	v_fmac_f64_e32 v[194:195], v[162:163], v[132:133]
	v_fma_f64 v[160:161], v[160:161], v[132:133], -v[134:135]
	scratch_load_b128 v[132:135], off, off offset:864
	s_wait_loadcnt_dscnt 0xb01
	v_mul_f64_e32 v[192:193], v[4:5], v[150:151]
	v_mul_f64_e32 v[150:151], v[6:7], v[150:151]
	v_add_f64_e32 v[162:163], v[198:199], v[196:197]
	v_add_f64_e32 v[188:189], v[188:189], v[190:191]
	s_wait_loadcnt_dscnt 0xa00
	v_mul_f64_e32 v[190:191], v[164:165], v[142:143]
	v_mul_f64_e32 v[142:143], v[166:167], v[142:143]
	v_fmac_f64_e32 v[192:193], v[6:7], v[148:149]
	v_fma_f64 v[196:197], v[4:5], v[148:149], -v[150:151]
	ds_load_b128 v[4:7], v2 offset:1664
	ds_load_b128 v[148:151], v2 offset:1680
	v_add_f64_e32 v[198:199], v[162:163], v[160:161]
	v_add_f64_e32 v[188:189], v[188:189], v[194:195]
	scratch_load_b128 v[160:163], off, off offset:880
	s_wait_loadcnt_dscnt 0xa01
	v_mul_f64_e32 v[194:195], v[4:5], v[158:159]
	v_mul_f64_e32 v[158:159], v[6:7], v[158:159]
	v_fmac_f64_e32 v[190:191], v[166:167], v[140:141]
	v_fma_f64 v[164:165], v[164:165], v[140:141], -v[142:143]
	scratch_load_b128 v[140:143], off, off offset:896
	v_add_f64_e32 v[166:167], v[198:199], v[196:197]
	v_add_f64_e32 v[188:189], v[188:189], v[192:193]
	s_wait_loadcnt_dscnt 0xa00
	v_mul_f64_e32 v[192:193], v[148:149], v[146:147]
	v_mul_f64_e32 v[146:147], v[150:151], v[146:147]
	v_fmac_f64_e32 v[194:195], v[6:7], v[156:157]
	v_fma_f64 v[196:197], v[4:5], v[156:157], -v[158:159]
	ds_load_b128 v[4:7], v2 offset:1696
	ds_load_b128 v[156:159], v2 offset:1712
	v_add_f64_e32 v[198:199], v[166:167], v[164:165]
	v_add_f64_e32 v[188:189], v[188:189], v[190:191]
	scratch_load_b128 v[164:167], off, off offset:912
	s_wait_loadcnt_dscnt 0xa01
	v_mul_f64_e32 v[190:191], v[4:5], v[170:171]
	v_mul_f64_e32 v[170:171], v[6:7], v[170:171]
	v_fmac_f64_e32 v[192:193], v[150:151], v[144:145]
	v_fma_f64 v[148:149], v[148:149], v[144:145], -v[146:147]
	scratch_load_b128 v[144:147], off, off offset:928
	v_add_f64_e32 v[150:151], v[198:199], v[196:197]
	v_add_f64_e32 v[188:189], v[188:189], v[194:195]
	s_wait_loadcnt_dscnt 0xa00
	v_mul_f64_e32 v[194:195], v[156:157], v[154:155]
	v_mul_f64_e32 v[154:155], v[158:159], v[154:155]
	v_fmac_f64_e32 v[190:191], v[6:7], v[168:169]
	v_fma_f64 v[168:169], v[4:5], v[168:169], -v[170:171]
	v_add_f64_e32 v[170:171], v[150:151], v[148:149]
	v_add_f64_e32 v[188:189], v[188:189], v[192:193]
	ds_load_b128 v[4:7], v2 offset:1728
	ds_load_b128 v[148:151], v2 offset:1744
	v_fmac_f64_e32 v[194:195], v[158:159], v[152:153]
	v_fma_f64 v[152:153], v[156:157], v[152:153], -v[154:155]
	s_wait_loadcnt_dscnt 0x901
	v_mul_f64_e32 v[192:193], v[4:5], v[186:187]
	v_mul_f64_e32 v[186:187], v[6:7], v[186:187]
	s_wait_loadcnt_dscnt 0x800
	v_mul_f64_e32 v[158:159], v[148:149], v[12:13]
	v_mul_f64_e32 v[12:13], v[150:151], v[12:13]
	v_add_f64_e32 v[154:155], v[170:171], v[168:169]
	v_add_f64_e32 v[156:157], v[188:189], v[190:191]
	v_fmac_f64_e32 v[192:193], v[6:7], v[184:185]
	v_fma_f64 v[168:169], v[4:5], v[184:185], -v[186:187]
	v_fmac_f64_e32 v[158:159], v[150:151], v[10:11]
	v_fma_f64 v[10:11], v[148:149], v[10:11], -v[12:13]
	v_add_f64_e32 v[170:171], v[154:155], v[152:153]
	v_add_f64_e32 v[156:157], v[156:157], v[194:195]
	ds_load_b128 v[4:7], v2 offset:1760
	ds_load_b128 v[152:155], v2 offset:1776
	s_wait_loadcnt_dscnt 0x701
	v_mul_f64_e32 v[184:185], v[4:5], v[174:175]
	v_mul_f64_e32 v[174:175], v[6:7], v[174:175]
	s_wait_loadcnt_dscnt 0x600
	v_mul_f64_e32 v[150:151], v[152:153], v[138:139]
	v_mul_f64_e32 v[138:139], v[154:155], v[138:139]
	v_add_f64_e32 v[12:13], v[170:171], v[168:169]
	v_add_f64_e32 v[148:149], v[156:157], v[192:193]
	v_fmac_f64_e32 v[184:185], v[6:7], v[172:173]
	v_fma_f64 v[156:157], v[4:5], v[172:173], -v[174:175]
	v_fmac_f64_e32 v[150:151], v[154:155], v[136:137]
	v_fma_f64 v[136:137], v[152:153], v[136:137], -v[138:139]
	v_add_f64_e32 v[168:169], v[12:13], v[10:11]
	v_add_f64_e32 v[148:149], v[148:149], v[158:159]
	ds_load_b128 v[4:7], v2 offset:1792
	ds_load_b128 v[10:13], v2 offset:1808
	;; [unrolled: 16-line block ×3, first 2 shown]
	s_wait_loadcnt_dscnt 0x301
	v_mul_f64_e32 v[150:151], v[4:5], v[162:163]
	v_mul_f64_e32 v[162:163], v[6:7], v[162:163]
	v_add_f64_e32 v[12:13], v[138:139], v[156:157]
	v_add_f64_e32 v[132:133], v[148:149], v[158:159]
	s_wait_loadcnt_dscnt 0x200
	v_mul_f64_e32 v[138:139], v[134:135], v[142:143]
	v_mul_f64_e32 v[142:143], v[136:137], v[142:143]
	v_fmac_f64_e32 v[150:151], v[6:7], v[160:161]
	v_fma_f64 v[148:149], v[4:5], v[160:161], -v[162:163]
	v_add_f64_e32 v[154:155], v[12:13], v[10:11]
	v_add_f64_e32 v[132:133], v[132:133], v[152:153]
	ds_load_b128 v[4:7], v2 offset:1856
	ds_load_b128 v[10:13], v2 offset:1872
	v_fmac_f64_e32 v[138:139], v[136:137], v[140:141]
	v_fma_f64 v[134:135], v[134:135], v[140:141], -v[142:143]
	s_wait_loadcnt_dscnt 0x101
	v_mul_f64_e32 v[2:3], v[4:5], v[166:167]
	v_mul_f64_e32 v[152:153], v[6:7], v[166:167]
	s_wait_loadcnt_dscnt 0x0
	v_mul_f64_e32 v[140:141], v[10:11], v[146:147]
	v_mul_f64_e32 v[142:143], v[12:13], v[146:147]
	v_add_f64_e32 v[136:137], v[154:155], v[148:149]
	v_add_f64_e32 v[132:133], v[132:133], v[150:151]
	v_fmac_f64_e32 v[2:3], v[6:7], v[164:165]
	v_fma_f64 v[4:5], v[4:5], v[164:165], -v[152:153]
	v_fmac_f64_e32 v[140:141], v[12:13], v[144:145]
	v_fma_f64 v[10:11], v[10:11], v[144:145], -v[142:143]
	v_add_f64_e32 v[6:7], v[136:137], v[134:135]
	v_add_f64_e32 v[132:133], v[132:133], v[138:139]
	s_delay_alu instid0(VALU_DEP_2) | instskip(NEXT) | instid1(VALU_DEP_2)
	v_add_f64_e32 v[4:5], v[6:7], v[4:5]
	v_add_f64_e32 v[2:3], v[132:133], v[2:3]
	s_delay_alu instid0(VALU_DEP_2) | instskip(NEXT) | instid1(VALU_DEP_2)
	v_add_f64_e32 v[4:5], v[4:5], v[10:11]
	v_add_f64_e32 v[6:7], v[2:3], v[140:141]
	s_delay_alu instid0(VALU_DEP_2) | instskip(NEXT) | instid1(VALU_DEP_2)
	v_add_f64_e64 v[2:3], v[176:177], -v[4:5]
	v_add_f64_e64 v[4:5], v[178:179], -v[6:7]
	scratch_store_b128 off, v[2:5], off offset:384
	s_wait_xcnt 0x0
	v_cmpx_lt_u32_e32 23, v1
	s_cbranch_execz .LBB122_321
; %bb.320:
	scratch_load_b128 v[2:5], off, s52
	v_mov_b32_e32 v10, 0
	s_delay_alu instid0(VALU_DEP_1)
	v_dual_mov_b32 v11, v10 :: v_dual_mov_b32 v12, v10
	v_mov_b32_e32 v13, v10
	scratch_store_b128 off, v[10:13], off offset:368
	s_wait_loadcnt 0x0
	ds_store_b128 v8, v[2:5]
.LBB122_321:
	s_wait_xcnt 0x0
	s_or_b32 exec_lo, exec_lo, s2
	s_wait_storecnt_dscnt 0x0
	s_barrier_signal -1
	s_barrier_wait -1
	s_clause 0x9
	scratch_load_b128 v[4:7], off, off offset:384
	scratch_load_b128 v[10:13], off, off offset:400
	;; [unrolled: 1-line block ×10, first 2 shown]
	v_mov_b32_e32 v2, 0
	s_mov_b32 s2, exec_lo
	ds_load_b128 v[164:167], v2 offset:1328
	s_clause 0x2
	scratch_load_b128 v[168:171], off, off offset:544
	scratch_load_b128 v[172:175], off, off offset:368
	;; [unrolled: 1-line block ×3, first 2 shown]
	s_wait_loadcnt_dscnt 0xc00
	v_mul_f64_e32 v[184:185], v[166:167], v[6:7]
	v_mul_f64_e32 v[188:189], v[164:165], v[6:7]
	ds_load_b128 v[176:179], v2 offset:1344
	v_fma_f64 v[192:193], v[164:165], v[4:5], -v[184:185]
	v_fmac_f64_e32 v[188:189], v[166:167], v[4:5]
	ds_load_b128 v[4:7], v2 offset:1360
	s_wait_loadcnt_dscnt 0xb01
	v_mul_f64_e32 v[190:191], v[176:177], v[12:13]
	v_mul_f64_e32 v[12:13], v[178:179], v[12:13]
	scratch_load_b128 v[164:167], off, off offset:576
	ds_load_b128 v[184:187], v2 offset:1376
	s_wait_loadcnt_dscnt 0xb01
	v_mul_f64_e32 v[194:195], v[4:5], v[134:135]
	v_mul_f64_e32 v[134:135], v[6:7], v[134:135]
	v_add_f64_e32 v[188:189], 0, v[188:189]
	v_fmac_f64_e32 v[190:191], v[178:179], v[10:11]
	v_fma_f64 v[176:177], v[176:177], v[10:11], -v[12:13]
	v_add_f64_e32 v[178:179], 0, v[192:193]
	scratch_load_b128 v[10:13], off, off offset:592
	v_fmac_f64_e32 v[194:195], v[6:7], v[132:133]
	v_fma_f64 v[196:197], v[4:5], v[132:133], -v[134:135]
	ds_load_b128 v[4:7], v2 offset:1392
	s_wait_loadcnt_dscnt 0xb01
	v_mul_f64_e32 v[192:193], v[184:185], v[138:139]
	v_mul_f64_e32 v[138:139], v[186:187], v[138:139]
	scratch_load_b128 v[132:135], off, off offset:608
	v_add_f64_e32 v[188:189], v[188:189], v[190:191]
	v_add_f64_e32 v[198:199], v[178:179], v[176:177]
	ds_load_b128 v[176:179], v2 offset:1408
	s_wait_loadcnt_dscnt 0xb01
	v_mul_f64_e32 v[190:191], v[4:5], v[142:143]
	v_mul_f64_e32 v[142:143], v[6:7], v[142:143]
	v_fmac_f64_e32 v[192:193], v[186:187], v[136:137]
	v_fma_f64 v[184:185], v[184:185], v[136:137], -v[138:139]
	scratch_load_b128 v[136:139], off, off offset:624
	v_add_f64_e32 v[188:189], v[188:189], v[194:195]
	v_add_f64_e32 v[186:187], v[198:199], v[196:197]
	v_fmac_f64_e32 v[190:191], v[6:7], v[140:141]
	v_fma_f64 v[196:197], v[4:5], v[140:141], -v[142:143]
	ds_load_b128 v[4:7], v2 offset:1424
	s_wait_loadcnt_dscnt 0xb01
	v_mul_f64_e32 v[194:195], v[176:177], v[146:147]
	v_mul_f64_e32 v[146:147], v[178:179], v[146:147]
	scratch_load_b128 v[140:143], off, off offset:640
	v_add_f64_e32 v[188:189], v[188:189], v[192:193]
	s_wait_loadcnt_dscnt 0xb00
	v_mul_f64_e32 v[192:193], v[4:5], v[150:151]
	v_add_f64_e32 v[198:199], v[186:187], v[184:185]
	v_mul_f64_e32 v[150:151], v[6:7], v[150:151]
	ds_load_b128 v[184:187], v2 offset:1440
	v_fmac_f64_e32 v[194:195], v[178:179], v[144:145]
	v_fma_f64 v[176:177], v[176:177], v[144:145], -v[146:147]
	scratch_load_b128 v[144:147], off, off offset:656
	v_add_f64_e32 v[188:189], v[188:189], v[190:191]
	v_fmac_f64_e32 v[192:193], v[6:7], v[148:149]
	v_add_f64_e32 v[178:179], v[198:199], v[196:197]
	v_fma_f64 v[196:197], v[4:5], v[148:149], -v[150:151]
	ds_load_b128 v[4:7], v2 offset:1456
	s_wait_loadcnt_dscnt 0xb01
	v_mul_f64_e32 v[190:191], v[184:185], v[154:155]
	v_mul_f64_e32 v[154:155], v[186:187], v[154:155]
	scratch_load_b128 v[148:151], off, off offset:672
	v_add_f64_e32 v[188:189], v[188:189], v[194:195]
	s_wait_loadcnt_dscnt 0xb00
	v_mul_f64_e32 v[194:195], v[4:5], v[158:159]
	v_add_f64_e32 v[198:199], v[178:179], v[176:177]
	v_mul_f64_e32 v[158:159], v[6:7], v[158:159]
	ds_load_b128 v[176:179], v2 offset:1472
	v_fmac_f64_e32 v[190:191], v[186:187], v[152:153]
	v_fma_f64 v[184:185], v[184:185], v[152:153], -v[154:155]
	scratch_load_b128 v[152:155], off, off offset:688
	v_add_f64_e32 v[188:189], v[188:189], v[192:193]
	v_fmac_f64_e32 v[194:195], v[6:7], v[156:157]
	v_add_f64_e32 v[186:187], v[198:199], v[196:197]
	;; [unrolled: 18-line block ×3, first 2 shown]
	v_fma_f64 v[196:197], v[4:5], v[168:169], -v[170:171]
	ds_load_b128 v[4:7], v2 offset:1520
	s_wait_loadcnt_dscnt 0xa01
	v_mul_f64_e32 v[194:195], v[184:185], v[182:183]
	v_mul_f64_e32 v[182:183], v[186:187], v[182:183]
	scratch_load_b128 v[168:171], off, off offset:736
	v_add_f64_e32 v[188:189], v[188:189], v[192:193]
	v_add_f64_e32 v[198:199], v[178:179], v[176:177]
	s_wait_loadcnt_dscnt 0xa00
	v_mul_f64_e32 v[192:193], v[4:5], v[166:167]
	v_mul_f64_e32 v[166:167], v[6:7], v[166:167]
	v_fmac_f64_e32 v[194:195], v[186:187], v[180:181]
	v_fma_f64 v[184:185], v[184:185], v[180:181], -v[182:183]
	ds_load_b128 v[176:179], v2 offset:1536
	scratch_load_b128 v[180:183], off, off offset:752
	v_add_f64_e32 v[188:189], v[188:189], v[190:191]
	v_add_f64_e32 v[186:187], v[198:199], v[196:197]
	v_fmac_f64_e32 v[192:193], v[6:7], v[164:165]
	v_fma_f64 v[196:197], v[4:5], v[164:165], -v[166:167]
	ds_load_b128 v[4:7], v2 offset:1552
	s_wait_loadcnt_dscnt 0xa01
	v_mul_f64_e32 v[190:191], v[176:177], v[12:13]
	v_mul_f64_e32 v[12:13], v[178:179], v[12:13]
	scratch_load_b128 v[164:167], off, off offset:768
	v_add_f64_e32 v[188:189], v[188:189], v[194:195]
	s_wait_loadcnt_dscnt 0xa00
	v_mul_f64_e32 v[194:195], v[4:5], v[134:135]
	v_add_f64_e32 v[198:199], v[186:187], v[184:185]
	v_mul_f64_e32 v[134:135], v[6:7], v[134:135]
	ds_load_b128 v[184:187], v2 offset:1568
	v_fmac_f64_e32 v[190:191], v[178:179], v[10:11]
	v_fma_f64 v[176:177], v[176:177], v[10:11], -v[12:13]
	scratch_load_b128 v[10:13], off, off offset:784
	v_add_f64_e32 v[188:189], v[188:189], v[192:193]
	v_fmac_f64_e32 v[194:195], v[6:7], v[132:133]
	v_add_f64_e32 v[178:179], v[198:199], v[196:197]
	v_fma_f64 v[196:197], v[4:5], v[132:133], -v[134:135]
	ds_load_b128 v[4:7], v2 offset:1584
	s_wait_loadcnt_dscnt 0xa01
	v_mul_f64_e32 v[192:193], v[184:185], v[138:139]
	v_mul_f64_e32 v[138:139], v[186:187], v[138:139]
	scratch_load_b128 v[132:135], off, off offset:800
	v_add_f64_e32 v[188:189], v[188:189], v[190:191]
	s_wait_loadcnt_dscnt 0xa00
	v_mul_f64_e32 v[190:191], v[4:5], v[142:143]
	v_add_f64_e32 v[198:199], v[178:179], v[176:177]
	v_mul_f64_e32 v[142:143], v[6:7], v[142:143]
	ds_load_b128 v[176:179], v2 offset:1600
	v_fmac_f64_e32 v[192:193], v[186:187], v[136:137]
	v_fma_f64 v[184:185], v[184:185], v[136:137], -v[138:139]
	scratch_load_b128 v[136:139], off, off offset:816
	v_add_f64_e32 v[188:189], v[188:189], v[194:195]
	v_fmac_f64_e32 v[190:191], v[6:7], v[140:141]
	v_add_f64_e32 v[186:187], v[198:199], v[196:197]
	;; [unrolled: 18-line block ×5, first 2 shown]
	v_fma_f64 v[196:197], v[4:5], v[168:169], -v[170:171]
	ds_load_b128 v[4:7], v2 offset:1712
	s_wait_loadcnt_dscnt 0xa01
	v_mul_f64_e32 v[194:195], v[184:185], v[182:183]
	v_mul_f64_e32 v[182:183], v[186:187], v[182:183]
	scratch_load_b128 v[168:171], off, off offset:928
	v_add_f64_e32 v[188:189], v[188:189], v[192:193]
	s_wait_loadcnt_dscnt 0xa00
	v_mul_f64_e32 v[192:193], v[4:5], v[166:167]
	v_add_f64_e32 v[198:199], v[178:179], v[176:177]
	v_mul_f64_e32 v[166:167], v[6:7], v[166:167]
	ds_load_b128 v[176:179], v2 offset:1728
	v_fmac_f64_e32 v[194:195], v[186:187], v[180:181]
	v_fma_f64 v[180:181], v[184:185], v[180:181], -v[182:183]
	s_wait_loadcnt_dscnt 0x900
	v_mul_f64_e32 v[186:187], v[176:177], v[12:13]
	v_mul_f64_e32 v[12:13], v[178:179], v[12:13]
	v_add_f64_e32 v[184:185], v[188:189], v[190:191]
	v_fmac_f64_e32 v[192:193], v[6:7], v[164:165]
	v_add_f64_e32 v[182:183], v[198:199], v[196:197]
	v_fma_f64 v[188:189], v[4:5], v[164:165], -v[166:167]
	ds_load_b128 v[4:7], v2 offset:1744
	ds_load_b128 v[164:167], v2 offset:1760
	v_fmac_f64_e32 v[186:187], v[178:179], v[10:11]
	v_fma_f64 v[10:11], v[176:177], v[10:11], -v[12:13]
	v_add_f64_e32 v[180:181], v[182:183], v[180:181]
	v_add_f64_e32 v[182:183], v[184:185], v[194:195]
	s_wait_loadcnt_dscnt 0x801
	v_mul_f64_e32 v[184:185], v[4:5], v[134:135]
	v_mul_f64_e32 v[134:135], v[6:7], v[134:135]
	s_wait_loadcnt_dscnt 0x700
	v_mul_f64_e32 v[178:179], v[164:165], v[138:139]
	v_mul_f64_e32 v[138:139], v[166:167], v[138:139]
	v_add_f64_e32 v[12:13], v[180:181], v[188:189]
	v_add_f64_e32 v[176:177], v[182:183], v[192:193]
	v_fmac_f64_e32 v[184:185], v[6:7], v[132:133]
	v_fma_f64 v[132:133], v[4:5], v[132:133], -v[134:135]
	v_fmac_f64_e32 v[178:179], v[166:167], v[136:137]
	v_fma_f64 v[136:137], v[164:165], v[136:137], -v[138:139]
	v_add_f64_e32 v[134:135], v[12:13], v[10:11]
	v_add_f64_e32 v[176:177], v[176:177], v[186:187]
	ds_load_b128 v[4:7], v2 offset:1776
	ds_load_b128 v[10:13], v2 offset:1792
	s_wait_loadcnt_dscnt 0x601
	v_mul_f64_e32 v[180:181], v[4:5], v[142:143]
	v_mul_f64_e32 v[142:143], v[6:7], v[142:143]
	s_wait_loadcnt_dscnt 0x500
	v_mul_f64_e32 v[138:139], v[10:11], v[146:147]
	v_mul_f64_e32 v[146:147], v[12:13], v[146:147]
	v_add_f64_e32 v[132:133], v[134:135], v[132:133]
	v_add_f64_e32 v[134:135], v[176:177], v[184:185]
	v_fmac_f64_e32 v[180:181], v[6:7], v[140:141]
	v_fma_f64 v[140:141], v[4:5], v[140:141], -v[142:143]
	v_fmac_f64_e32 v[138:139], v[12:13], v[144:145]
	v_fma_f64 v[10:11], v[10:11], v[144:145], -v[146:147]
	v_add_f64_e32 v[136:137], v[132:133], v[136:137]
	v_add_f64_e32 v[142:143], v[134:135], v[178:179]
	ds_load_b128 v[4:7], v2 offset:1808
	ds_load_b128 v[132:135], v2 offset:1824
	s_wait_loadcnt_dscnt 0x401
	v_mul_f64_e32 v[164:165], v[4:5], v[150:151]
	v_mul_f64_e32 v[150:151], v[6:7], v[150:151]
	v_add_f64_e32 v[12:13], v[136:137], v[140:141]
	v_add_f64_e32 v[136:137], v[142:143], v[180:181]
	s_wait_loadcnt_dscnt 0x300
	v_mul_f64_e32 v[140:141], v[132:133], v[154:155]
	v_mul_f64_e32 v[142:143], v[134:135], v[154:155]
	v_fmac_f64_e32 v[164:165], v[6:7], v[148:149]
	v_fma_f64 v[144:145], v[4:5], v[148:149], -v[150:151]
	v_add_f64_e32 v[146:147], v[12:13], v[10:11]
	v_add_f64_e32 v[136:137], v[136:137], v[138:139]
	ds_load_b128 v[4:7], v2 offset:1840
	ds_load_b128 v[10:13], v2 offset:1856
	v_fmac_f64_e32 v[140:141], v[134:135], v[152:153]
	v_fma_f64 v[132:133], v[132:133], v[152:153], -v[142:143]
	s_wait_loadcnt_dscnt 0x201
	v_mul_f64_e32 v[138:139], v[4:5], v[158:159]
	v_mul_f64_e32 v[148:149], v[6:7], v[158:159]
	s_wait_loadcnt_dscnt 0x100
	v_mul_f64_e32 v[142:143], v[10:11], v[162:163]
	v_add_f64_e32 v[134:135], v[146:147], v[144:145]
	v_add_f64_e32 v[136:137], v[136:137], v[164:165]
	v_mul_f64_e32 v[144:145], v[12:13], v[162:163]
	v_fmac_f64_e32 v[138:139], v[6:7], v[156:157]
	v_fma_f64 v[146:147], v[4:5], v[156:157], -v[148:149]
	ds_load_b128 v[4:7], v2 offset:1872
	v_fmac_f64_e32 v[142:143], v[12:13], v[160:161]
	v_add_f64_e32 v[132:133], v[134:135], v[132:133]
	v_add_f64_e32 v[134:135], v[136:137], v[140:141]
	v_fma_f64 v[10:11], v[10:11], v[160:161], -v[144:145]
	s_wait_loadcnt_dscnt 0x0
	v_mul_f64_e32 v[136:137], v[4:5], v[170:171]
	v_mul_f64_e32 v[140:141], v[6:7], v[170:171]
	v_add_f64_e32 v[12:13], v[132:133], v[146:147]
	v_add_f64_e32 v[132:133], v[134:135], v[138:139]
	s_delay_alu instid0(VALU_DEP_4) | instskip(NEXT) | instid1(VALU_DEP_4)
	v_fmac_f64_e32 v[136:137], v[6:7], v[168:169]
	v_fma_f64 v[4:5], v[4:5], v[168:169], -v[140:141]
	s_delay_alu instid0(VALU_DEP_4) | instskip(NEXT) | instid1(VALU_DEP_4)
	v_add_f64_e32 v[6:7], v[12:13], v[10:11]
	v_add_f64_e32 v[10:11], v[132:133], v[142:143]
	s_delay_alu instid0(VALU_DEP_2) | instskip(NEXT) | instid1(VALU_DEP_2)
	v_add_f64_e32 v[4:5], v[6:7], v[4:5]
	v_add_f64_e32 v[6:7], v[10:11], v[136:137]
	s_delay_alu instid0(VALU_DEP_2) | instskip(NEXT) | instid1(VALU_DEP_2)
	v_add_f64_e64 v[4:5], v[172:173], -v[4:5]
	v_add_f64_e64 v[6:7], v[174:175], -v[6:7]
	scratch_store_b128 off, v[4:7], off offset:368
	s_wait_xcnt 0x0
	v_cmpx_lt_u32_e32 22, v1
	s_cbranch_execz .LBB122_323
; %bb.322:
	scratch_load_b128 v[10:13], off, s53
	v_dual_mov_b32 v3, v2 :: v_dual_mov_b32 v4, v2
	v_mov_b32_e32 v5, v2
	scratch_store_b128 off, v[2:5], off offset:352
	s_wait_loadcnt 0x0
	ds_store_b128 v8, v[10:13]
.LBB122_323:
	s_wait_xcnt 0x0
	s_or_b32 exec_lo, exec_lo, s2
	s_wait_storecnt_dscnt 0x0
	s_barrier_signal -1
	s_barrier_wait -1
	s_clause 0x9
	scratch_load_b128 v[4:7], off, off offset:368
	scratch_load_b128 v[10:13], off, off offset:384
	;; [unrolled: 1-line block ×10, first 2 shown]
	ds_load_b128 v[164:167], v2 offset:1312
	ds_load_b128 v[172:175], v2 offset:1328
	s_clause 0x2
	scratch_load_b128 v[168:171], off, off offset:528
	scratch_load_b128 v[176:179], off, off offset:352
	;; [unrolled: 1-line block ×3, first 2 shown]
	s_mov_b32 s2, exec_lo
	s_wait_loadcnt_dscnt 0xc01
	v_mul_f64_e32 v[184:185], v[166:167], v[6:7]
	v_mul_f64_e32 v[188:189], v[164:165], v[6:7]
	s_wait_loadcnt_dscnt 0xb00
	v_mul_f64_e32 v[190:191], v[172:173], v[12:13]
	v_mul_f64_e32 v[12:13], v[174:175], v[12:13]
	s_delay_alu instid0(VALU_DEP_4) | instskip(NEXT) | instid1(VALU_DEP_4)
	v_fma_f64 v[192:193], v[164:165], v[4:5], -v[184:185]
	v_fmac_f64_e32 v[188:189], v[166:167], v[4:5]
	ds_load_b128 v[4:7], v2 offset:1344
	ds_load_b128 v[164:167], v2 offset:1360
	scratch_load_b128 v[184:187], off, off offset:560
	v_fmac_f64_e32 v[190:191], v[174:175], v[10:11]
	v_fma_f64 v[172:173], v[172:173], v[10:11], -v[12:13]
	scratch_load_b128 v[10:13], off, off offset:576
	s_wait_loadcnt_dscnt 0xc01
	v_mul_f64_e32 v[194:195], v[4:5], v[134:135]
	v_mul_f64_e32 v[134:135], v[6:7], v[134:135]
	v_add_f64_e32 v[174:175], 0, v[192:193]
	v_add_f64_e32 v[188:189], 0, v[188:189]
	s_wait_loadcnt_dscnt 0xb00
	v_mul_f64_e32 v[192:193], v[164:165], v[138:139]
	v_mul_f64_e32 v[138:139], v[166:167], v[138:139]
	v_fmac_f64_e32 v[194:195], v[6:7], v[132:133]
	v_fma_f64 v[196:197], v[4:5], v[132:133], -v[134:135]
	ds_load_b128 v[4:7], v2 offset:1376
	ds_load_b128 v[132:135], v2 offset:1392
	v_add_f64_e32 v[198:199], v[174:175], v[172:173]
	v_add_f64_e32 v[188:189], v[188:189], v[190:191]
	scratch_load_b128 v[172:175], off, off offset:592
	v_fmac_f64_e32 v[192:193], v[166:167], v[136:137]
	v_fma_f64 v[164:165], v[164:165], v[136:137], -v[138:139]
	scratch_load_b128 v[136:139], off, off offset:608
	s_wait_loadcnt_dscnt 0xc01
	v_mul_f64_e32 v[190:191], v[4:5], v[142:143]
	v_mul_f64_e32 v[142:143], v[6:7], v[142:143]
	v_add_f64_e32 v[166:167], v[198:199], v[196:197]
	v_add_f64_e32 v[188:189], v[188:189], v[194:195]
	s_wait_loadcnt_dscnt 0xb00
	v_mul_f64_e32 v[194:195], v[132:133], v[146:147]
	v_mul_f64_e32 v[146:147], v[134:135], v[146:147]
	v_fmac_f64_e32 v[190:191], v[6:7], v[140:141]
	v_fma_f64 v[196:197], v[4:5], v[140:141], -v[142:143]
	ds_load_b128 v[4:7], v2 offset:1408
	ds_load_b128 v[140:143], v2 offset:1424
	v_add_f64_e32 v[198:199], v[166:167], v[164:165]
	v_add_f64_e32 v[188:189], v[188:189], v[192:193]
	scratch_load_b128 v[164:167], off, off offset:624
	s_wait_loadcnt_dscnt 0xb01
	v_mul_f64_e32 v[192:193], v[4:5], v[150:151]
	v_mul_f64_e32 v[150:151], v[6:7], v[150:151]
	v_fmac_f64_e32 v[194:195], v[134:135], v[144:145]
	v_fma_f64 v[144:145], v[132:133], v[144:145], -v[146:147]
	scratch_load_b128 v[132:135], off, off offset:640
	v_add_f64_e32 v[146:147], v[198:199], v[196:197]
	v_add_f64_e32 v[188:189], v[188:189], v[190:191]
	s_wait_loadcnt_dscnt 0xb00
	v_mul_f64_e32 v[190:191], v[140:141], v[154:155]
	v_mul_f64_e32 v[154:155], v[142:143], v[154:155]
	v_fmac_f64_e32 v[192:193], v[6:7], v[148:149]
	v_fma_f64 v[196:197], v[4:5], v[148:149], -v[150:151]
	v_add_f64_e32 v[198:199], v[146:147], v[144:145]
	v_add_f64_e32 v[188:189], v[188:189], v[194:195]
	ds_load_b128 v[4:7], v2 offset:1440
	ds_load_b128 v[144:147], v2 offset:1456
	scratch_load_b128 v[148:151], off, off offset:656
	v_fmac_f64_e32 v[190:191], v[142:143], v[152:153]
	v_fma_f64 v[152:153], v[140:141], v[152:153], -v[154:155]
	scratch_load_b128 v[140:143], off, off offset:672
	s_wait_loadcnt_dscnt 0xc01
	v_mul_f64_e32 v[194:195], v[4:5], v[158:159]
	v_mul_f64_e32 v[158:159], v[6:7], v[158:159]
	v_add_f64_e32 v[154:155], v[198:199], v[196:197]
	v_add_f64_e32 v[188:189], v[188:189], v[192:193]
	s_wait_loadcnt_dscnt 0xb00
	v_mul_f64_e32 v[192:193], v[144:145], v[162:163]
	v_mul_f64_e32 v[162:163], v[146:147], v[162:163]
	v_fmac_f64_e32 v[194:195], v[6:7], v[156:157]
	v_fma_f64 v[196:197], v[4:5], v[156:157], -v[158:159]
	v_add_f64_e32 v[198:199], v[154:155], v[152:153]
	v_add_f64_e32 v[188:189], v[188:189], v[190:191]
	ds_load_b128 v[4:7], v2 offset:1472
	ds_load_b128 v[152:155], v2 offset:1488
	scratch_load_b128 v[156:159], off, off offset:688
	v_fmac_f64_e32 v[192:193], v[146:147], v[160:161]
	v_fma_f64 v[160:161], v[144:145], v[160:161], -v[162:163]
	scratch_load_b128 v[144:147], off, off offset:704
	s_wait_loadcnt_dscnt 0xc01
	v_mul_f64_e32 v[190:191], v[4:5], v[170:171]
	v_mul_f64_e32 v[170:171], v[6:7], v[170:171]
	v_add_f64_e32 v[162:163], v[198:199], v[196:197]
	v_add_f64_e32 v[188:189], v[188:189], v[194:195]
	s_wait_loadcnt_dscnt 0xa00
	v_mul_f64_e32 v[194:195], v[152:153], v[182:183]
	v_mul_f64_e32 v[182:183], v[154:155], v[182:183]
	v_fmac_f64_e32 v[190:191], v[6:7], v[168:169]
	v_fma_f64 v[196:197], v[4:5], v[168:169], -v[170:171]
	v_add_f64_e32 v[198:199], v[162:163], v[160:161]
	v_add_f64_e32 v[188:189], v[188:189], v[192:193]
	ds_load_b128 v[4:7], v2 offset:1504
	ds_load_b128 v[160:163], v2 offset:1520
	scratch_load_b128 v[168:171], off, off offset:720
	v_fmac_f64_e32 v[194:195], v[154:155], v[180:181]
	v_fma_f64 v[180:181], v[152:153], v[180:181], -v[182:183]
	scratch_load_b128 v[152:155], off, off offset:736
	s_wait_loadcnt_dscnt 0xb01
	v_mul_f64_e32 v[192:193], v[4:5], v[186:187]
	v_mul_f64_e32 v[186:187], v[6:7], v[186:187]
	v_add_f64_e32 v[182:183], v[198:199], v[196:197]
	v_add_f64_e32 v[188:189], v[188:189], v[190:191]
	s_wait_loadcnt_dscnt 0xa00
	v_mul_f64_e32 v[190:191], v[160:161], v[12:13]
	v_mul_f64_e32 v[12:13], v[162:163], v[12:13]
	v_fmac_f64_e32 v[192:193], v[6:7], v[184:185]
	v_fma_f64 v[196:197], v[4:5], v[184:185], -v[186:187]
	v_add_f64_e32 v[198:199], v[182:183], v[180:181]
	v_add_f64_e32 v[188:189], v[188:189], v[194:195]
	ds_load_b128 v[4:7], v2 offset:1536
	ds_load_b128 v[180:183], v2 offset:1552
	scratch_load_b128 v[184:187], off, off offset:752
	v_fmac_f64_e32 v[190:191], v[162:163], v[10:11]
	v_fma_f64 v[160:161], v[160:161], v[10:11], -v[12:13]
	scratch_load_b128 v[10:13], off, off offset:768
	s_wait_loadcnt_dscnt 0xb01
	v_mul_f64_e32 v[194:195], v[4:5], v[174:175]
	v_mul_f64_e32 v[174:175], v[6:7], v[174:175]
	v_add_f64_e32 v[162:163], v[198:199], v[196:197]
	v_add_f64_e32 v[188:189], v[188:189], v[192:193]
	s_wait_loadcnt_dscnt 0xa00
	v_mul_f64_e32 v[192:193], v[180:181], v[138:139]
	v_mul_f64_e32 v[138:139], v[182:183], v[138:139]
	v_fmac_f64_e32 v[194:195], v[6:7], v[172:173]
	v_fma_f64 v[196:197], v[4:5], v[172:173], -v[174:175]
	v_add_f64_e32 v[198:199], v[162:163], v[160:161]
	v_add_f64_e32 v[188:189], v[188:189], v[190:191]
	ds_load_b128 v[4:7], v2 offset:1568
	ds_load_b128 v[160:163], v2 offset:1584
	scratch_load_b128 v[172:175], off, off offset:784
	v_fmac_f64_e32 v[192:193], v[182:183], v[136:137]
	v_fma_f64 v[180:181], v[180:181], v[136:137], -v[138:139]
	scratch_load_b128 v[136:139], off, off offset:800
	s_wait_loadcnt_dscnt 0xb01
	v_mul_f64_e32 v[190:191], v[4:5], v[166:167]
	v_mul_f64_e32 v[166:167], v[6:7], v[166:167]
	v_add_f64_e32 v[182:183], v[198:199], v[196:197]
	v_add_f64_e32 v[188:189], v[188:189], v[194:195]
	s_wait_loadcnt_dscnt 0xa00
	v_mul_f64_e32 v[194:195], v[160:161], v[134:135]
	v_mul_f64_e32 v[134:135], v[162:163], v[134:135]
	v_fmac_f64_e32 v[190:191], v[6:7], v[164:165]
	v_fma_f64 v[196:197], v[4:5], v[164:165], -v[166:167]
	ds_load_b128 v[4:7], v2 offset:1600
	ds_load_b128 v[164:167], v2 offset:1616
	v_add_f64_e32 v[198:199], v[182:183], v[180:181]
	v_add_f64_e32 v[188:189], v[188:189], v[192:193]
	scratch_load_b128 v[180:183], off, off offset:816
	v_fmac_f64_e32 v[194:195], v[162:163], v[132:133]
	v_fma_f64 v[160:161], v[160:161], v[132:133], -v[134:135]
	scratch_load_b128 v[132:135], off, off offset:832
	s_wait_loadcnt_dscnt 0xb01
	v_mul_f64_e32 v[192:193], v[4:5], v[150:151]
	v_mul_f64_e32 v[150:151], v[6:7], v[150:151]
	v_add_f64_e32 v[162:163], v[198:199], v[196:197]
	v_add_f64_e32 v[188:189], v[188:189], v[190:191]
	s_wait_loadcnt_dscnt 0xa00
	v_mul_f64_e32 v[190:191], v[164:165], v[142:143]
	v_mul_f64_e32 v[142:143], v[166:167], v[142:143]
	v_fmac_f64_e32 v[192:193], v[6:7], v[148:149]
	v_fma_f64 v[196:197], v[4:5], v[148:149], -v[150:151]
	ds_load_b128 v[4:7], v2 offset:1632
	ds_load_b128 v[148:151], v2 offset:1648
	v_add_f64_e32 v[198:199], v[162:163], v[160:161]
	v_add_f64_e32 v[188:189], v[188:189], v[194:195]
	scratch_load_b128 v[160:163], off, off offset:848
	s_wait_loadcnt_dscnt 0xa01
	v_mul_f64_e32 v[194:195], v[4:5], v[158:159]
	v_mul_f64_e32 v[158:159], v[6:7], v[158:159]
	v_fmac_f64_e32 v[190:191], v[166:167], v[140:141]
	v_fma_f64 v[164:165], v[164:165], v[140:141], -v[142:143]
	scratch_load_b128 v[140:143], off, off offset:864
	v_add_f64_e32 v[166:167], v[198:199], v[196:197]
	v_add_f64_e32 v[188:189], v[188:189], v[192:193]
	s_wait_loadcnt_dscnt 0xa00
	v_mul_f64_e32 v[192:193], v[148:149], v[146:147]
	v_mul_f64_e32 v[146:147], v[150:151], v[146:147]
	v_fmac_f64_e32 v[194:195], v[6:7], v[156:157]
	v_fma_f64 v[196:197], v[4:5], v[156:157], -v[158:159]
	ds_load_b128 v[4:7], v2 offset:1664
	ds_load_b128 v[156:159], v2 offset:1680
	v_add_f64_e32 v[198:199], v[166:167], v[164:165]
	v_add_f64_e32 v[188:189], v[188:189], v[190:191]
	scratch_load_b128 v[164:167], off, off offset:880
	s_wait_loadcnt_dscnt 0xa01
	v_mul_f64_e32 v[190:191], v[4:5], v[170:171]
	v_mul_f64_e32 v[170:171], v[6:7], v[170:171]
	v_fmac_f64_e32 v[192:193], v[150:151], v[144:145]
	v_fma_f64 v[148:149], v[148:149], v[144:145], -v[146:147]
	scratch_load_b128 v[144:147], off, off offset:896
	v_add_f64_e32 v[150:151], v[198:199], v[196:197]
	v_add_f64_e32 v[188:189], v[188:189], v[194:195]
	s_wait_loadcnt_dscnt 0xa00
	v_mul_f64_e32 v[194:195], v[156:157], v[154:155]
	v_mul_f64_e32 v[154:155], v[158:159], v[154:155]
	v_fmac_f64_e32 v[190:191], v[6:7], v[168:169]
	v_fma_f64 v[196:197], v[4:5], v[168:169], -v[170:171]
	v_add_f64_e32 v[198:199], v[150:151], v[148:149]
	v_add_f64_e32 v[188:189], v[188:189], v[192:193]
	ds_load_b128 v[4:7], v2 offset:1696
	ds_load_b128 v[148:151], v2 offset:1712
	scratch_load_b128 v[168:171], off, off offset:912
	v_fmac_f64_e32 v[194:195], v[158:159], v[152:153]
	v_fma_f64 v[156:157], v[156:157], v[152:153], -v[154:155]
	scratch_load_b128 v[152:155], off, off offset:928
	s_wait_loadcnt_dscnt 0xb01
	v_mul_f64_e32 v[192:193], v[4:5], v[186:187]
	v_mul_f64_e32 v[186:187], v[6:7], v[186:187]
	v_add_f64_e32 v[158:159], v[198:199], v[196:197]
	v_add_f64_e32 v[188:189], v[188:189], v[190:191]
	s_wait_loadcnt_dscnt 0xa00
	v_mul_f64_e32 v[190:191], v[148:149], v[12:13]
	v_mul_f64_e32 v[12:13], v[150:151], v[12:13]
	v_fmac_f64_e32 v[192:193], v[6:7], v[184:185]
	v_fma_f64 v[184:185], v[4:5], v[184:185], -v[186:187]
	v_add_f64_e32 v[186:187], v[158:159], v[156:157]
	v_add_f64_e32 v[188:189], v[188:189], v[194:195]
	ds_load_b128 v[4:7], v2 offset:1728
	ds_load_b128 v[156:159], v2 offset:1744
	v_fmac_f64_e32 v[190:191], v[150:151], v[10:11]
	v_fma_f64 v[10:11], v[148:149], v[10:11], -v[12:13]
	s_wait_loadcnt_dscnt 0x901
	v_mul_f64_e32 v[194:195], v[4:5], v[174:175]
	v_mul_f64_e32 v[174:175], v[6:7], v[174:175]
	s_wait_loadcnt_dscnt 0x800
	v_mul_f64_e32 v[150:151], v[156:157], v[138:139]
	v_mul_f64_e32 v[138:139], v[158:159], v[138:139]
	v_add_f64_e32 v[12:13], v[186:187], v[184:185]
	v_add_f64_e32 v[148:149], v[188:189], v[192:193]
	v_fmac_f64_e32 v[194:195], v[6:7], v[172:173]
	v_fma_f64 v[172:173], v[4:5], v[172:173], -v[174:175]
	v_fmac_f64_e32 v[150:151], v[158:159], v[136:137]
	v_fma_f64 v[136:137], v[156:157], v[136:137], -v[138:139]
	v_add_f64_e32 v[174:175], v[12:13], v[10:11]
	v_add_f64_e32 v[148:149], v[148:149], v[190:191]
	ds_load_b128 v[4:7], v2 offset:1760
	ds_load_b128 v[10:13], v2 offset:1776
	s_wait_loadcnt_dscnt 0x701
	v_mul_f64_e32 v[184:185], v[4:5], v[182:183]
	v_mul_f64_e32 v[182:183], v[6:7], v[182:183]
	s_wait_loadcnt_dscnt 0x600
	v_mul_f64_e32 v[156:157], v[10:11], v[134:135]
	v_mul_f64_e32 v[158:159], v[12:13], v[134:135]
	v_add_f64_e32 v[138:139], v[174:175], v[172:173]
	v_add_f64_e32 v[148:149], v[148:149], v[194:195]
	v_fmac_f64_e32 v[184:185], v[6:7], v[180:181]
	v_fma_f64 v[172:173], v[4:5], v[180:181], -v[182:183]
	v_fmac_f64_e32 v[156:157], v[12:13], v[132:133]
	v_fma_f64 v[10:11], v[10:11], v[132:133], -v[158:159]
	v_add_f64_e32 v[138:139], v[138:139], v[136:137]
	v_add_f64_e32 v[148:149], v[148:149], v[150:151]
	ds_load_b128 v[4:7], v2 offset:1792
	ds_load_b128 v[134:137], v2 offset:1808
	s_wait_loadcnt_dscnt 0x501
	v_mul_f64_e32 v[150:151], v[4:5], v[162:163]
	v_mul_f64_e32 v[162:163], v[6:7], v[162:163]
	v_add_f64_e32 v[12:13], v[138:139], v[172:173]
	v_add_f64_e32 v[132:133], v[148:149], v[184:185]
	s_wait_loadcnt_dscnt 0x400
	v_mul_f64_e32 v[138:139], v[134:135], v[142:143]
	v_mul_f64_e32 v[142:143], v[136:137], v[142:143]
	v_fmac_f64_e32 v[150:151], v[6:7], v[160:161]
	v_fma_f64 v[148:149], v[4:5], v[160:161], -v[162:163]
	v_add_f64_e32 v[158:159], v[12:13], v[10:11]
	v_add_f64_e32 v[132:133], v[132:133], v[156:157]
	ds_load_b128 v[4:7], v2 offset:1824
	ds_load_b128 v[10:13], v2 offset:1840
	v_fmac_f64_e32 v[138:139], v[136:137], v[140:141]
	v_fma_f64 v[134:135], v[134:135], v[140:141], -v[142:143]
	s_wait_loadcnt_dscnt 0x301
	v_mul_f64_e32 v[156:157], v[4:5], v[166:167]
	v_mul_f64_e32 v[160:161], v[6:7], v[166:167]
	s_wait_loadcnt_dscnt 0x200
	v_mul_f64_e32 v[140:141], v[10:11], v[146:147]
	v_mul_f64_e32 v[142:143], v[12:13], v[146:147]
	v_add_f64_e32 v[136:137], v[158:159], v[148:149]
	v_add_f64_e32 v[132:133], v[132:133], v[150:151]
	v_fmac_f64_e32 v[156:157], v[6:7], v[164:165]
	v_fma_f64 v[146:147], v[4:5], v[164:165], -v[160:161]
	v_fmac_f64_e32 v[140:141], v[12:13], v[144:145]
	v_fma_f64 v[10:11], v[10:11], v[144:145], -v[142:143]
	v_add_f64_e32 v[136:137], v[136:137], v[134:135]
	v_add_f64_e32 v[138:139], v[132:133], v[138:139]
	ds_load_b128 v[4:7], v2 offset:1856
	ds_load_b128 v[132:135], v2 offset:1872
	s_wait_loadcnt_dscnt 0x101
	v_mul_f64_e32 v[2:3], v[4:5], v[170:171]
	v_mul_f64_e32 v[148:149], v[6:7], v[170:171]
	s_wait_loadcnt_dscnt 0x0
	v_mul_f64_e32 v[142:143], v[134:135], v[154:155]
	v_add_f64_e32 v[12:13], v[136:137], v[146:147]
	v_add_f64_e32 v[136:137], v[138:139], v[156:157]
	v_mul_f64_e32 v[138:139], v[132:133], v[154:155]
	v_fmac_f64_e32 v[2:3], v[6:7], v[168:169]
	v_fma_f64 v[4:5], v[4:5], v[168:169], -v[148:149]
	v_add_f64_e32 v[6:7], v[12:13], v[10:11]
	v_add_f64_e32 v[10:11], v[136:137], v[140:141]
	v_fmac_f64_e32 v[138:139], v[134:135], v[152:153]
	v_fma_f64 v[12:13], v[132:133], v[152:153], -v[142:143]
	s_delay_alu instid0(VALU_DEP_4) | instskip(NEXT) | instid1(VALU_DEP_4)
	v_add_f64_e32 v[4:5], v[6:7], v[4:5]
	v_add_f64_e32 v[2:3], v[10:11], v[2:3]
	s_delay_alu instid0(VALU_DEP_2) | instskip(NEXT) | instid1(VALU_DEP_2)
	v_add_f64_e32 v[4:5], v[4:5], v[12:13]
	v_add_f64_e32 v[6:7], v[2:3], v[138:139]
	s_delay_alu instid0(VALU_DEP_2) | instskip(NEXT) | instid1(VALU_DEP_2)
	v_add_f64_e64 v[2:3], v[176:177], -v[4:5]
	v_add_f64_e64 v[4:5], v[178:179], -v[6:7]
	scratch_store_b128 off, v[2:5], off offset:352
	s_wait_xcnt 0x0
	v_cmpx_lt_u32_e32 21, v1
	s_cbranch_execz .LBB122_325
; %bb.324:
	scratch_load_b128 v[2:5], off, s54
	v_mov_b32_e32 v10, 0
	s_delay_alu instid0(VALU_DEP_1)
	v_dual_mov_b32 v11, v10 :: v_dual_mov_b32 v12, v10
	v_mov_b32_e32 v13, v10
	scratch_store_b128 off, v[10:13], off offset:336
	s_wait_loadcnt 0x0
	ds_store_b128 v8, v[2:5]
.LBB122_325:
	s_wait_xcnt 0x0
	s_or_b32 exec_lo, exec_lo, s2
	s_wait_storecnt_dscnt 0x0
	s_barrier_signal -1
	s_barrier_wait -1
	s_clause 0x9
	scratch_load_b128 v[4:7], off, off offset:352
	scratch_load_b128 v[10:13], off, off offset:368
	scratch_load_b128 v[132:135], off, off offset:384
	scratch_load_b128 v[136:139], off, off offset:400
	scratch_load_b128 v[140:143], off, off offset:416
	scratch_load_b128 v[144:147], off, off offset:432
	scratch_load_b128 v[148:151], off, off offset:448
	scratch_load_b128 v[152:155], off, off offset:464
	scratch_load_b128 v[156:159], off, off offset:480
	scratch_load_b128 v[160:163], off, off offset:496
	v_mov_b32_e32 v2, 0
	s_mov_b32 s2, exec_lo
	ds_load_b128 v[164:167], v2 offset:1296
	s_clause 0x2
	scratch_load_b128 v[168:171], off, off offset:512
	scratch_load_b128 v[172:175], off, off offset:336
	scratch_load_b128 v[180:183], off, off offset:528
	s_wait_loadcnt_dscnt 0xc00
	v_mul_f64_e32 v[184:185], v[166:167], v[6:7]
	v_mul_f64_e32 v[188:189], v[164:165], v[6:7]
	ds_load_b128 v[176:179], v2 offset:1312
	v_fma_f64 v[192:193], v[164:165], v[4:5], -v[184:185]
	v_fmac_f64_e32 v[188:189], v[166:167], v[4:5]
	ds_load_b128 v[4:7], v2 offset:1328
	s_wait_loadcnt_dscnt 0xb01
	v_mul_f64_e32 v[190:191], v[176:177], v[12:13]
	v_mul_f64_e32 v[12:13], v[178:179], v[12:13]
	scratch_load_b128 v[164:167], off, off offset:544
	ds_load_b128 v[184:187], v2 offset:1344
	s_wait_loadcnt_dscnt 0xb01
	v_mul_f64_e32 v[194:195], v[4:5], v[134:135]
	v_mul_f64_e32 v[134:135], v[6:7], v[134:135]
	v_add_f64_e32 v[188:189], 0, v[188:189]
	v_fmac_f64_e32 v[190:191], v[178:179], v[10:11]
	v_fma_f64 v[176:177], v[176:177], v[10:11], -v[12:13]
	v_add_f64_e32 v[178:179], 0, v[192:193]
	scratch_load_b128 v[10:13], off, off offset:560
	v_fmac_f64_e32 v[194:195], v[6:7], v[132:133]
	v_fma_f64 v[196:197], v[4:5], v[132:133], -v[134:135]
	ds_load_b128 v[4:7], v2 offset:1360
	s_wait_loadcnt_dscnt 0xb01
	v_mul_f64_e32 v[192:193], v[184:185], v[138:139]
	v_mul_f64_e32 v[138:139], v[186:187], v[138:139]
	scratch_load_b128 v[132:135], off, off offset:576
	v_add_f64_e32 v[188:189], v[188:189], v[190:191]
	v_add_f64_e32 v[198:199], v[178:179], v[176:177]
	ds_load_b128 v[176:179], v2 offset:1376
	s_wait_loadcnt_dscnt 0xb01
	v_mul_f64_e32 v[190:191], v[4:5], v[142:143]
	v_mul_f64_e32 v[142:143], v[6:7], v[142:143]
	v_fmac_f64_e32 v[192:193], v[186:187], v[136:137]
	v_fma_f64 v[184:185], v[184:185], v[136:137], -v[138:139]
	scratch_load_b128 v[136:139], off, off offset:592
	v_add_f64_e32 v[188:189], v[188:189], v[194:195]
	v_add_f64_e32 v[186:187], v[198:199], v[196:197]
	v_fmac_f64_e32 v[190:191], v[6:7], v[140:141]
	v_fma_f64 v[196:197], v[4:5], v[140:141], -v[142:143]
	ds_load_b128 v[4:7], v2 offset:1392
	s_wait_loadcnt_dscnt 0xb01
	v_mul_f64_e32 v[194:195], v[176:177], v[146:147]
	v_mul_f64_e32 v[146:147], v[178:179], v[146:147]
	scratch_load_b128 v[140:143], off, off offset:608
	v_add_f64_e32 v[188:189], v[188:189], v[192:193]
	s_wait_loadcnt_dscnt 0xb00
	v_mul_f64_e32 v[192:193], v[4:5], v[150:151]
	v_add_f64_e32 v[198:199], v[186:187], v[184:185]
	v_mul_f64_e32 v[150:151], v[6:7], v[150:151]
	ds_load_b128 v[184:187], v2 offset:1408
	v_fmac_f64_e32 v[194:195], v[178:179], v[144:145]
	v_fma_f64 v[176:177], v[176:177], v[144:145], -v[146:147]
	scratch_load_b128 v[144:147], off, off offset:624
	v_add_f64_e32 v[188:189], v[188:189], v[190:191]
	v_fmac_f64_e32 v[192:193], v[6:7], v[148:149]
	v_add_f64_e32 v[178:179], v[198:199], v[196:197]
	v_fma_f64 v[196:197], v[4:5], v[148:149], -v[150:151]
	ds_load_b128 v[4:7], v2 offset:1424
	s_wait_loadcnt_dscnt 0xb01
	v_mul_f64_e32 v[190:191], v[184:185], v[154:155]
	v_mul_f64_e32 v[154:155], v[186:187], v[154:155]
	scratch_load_b128 v[148:151], off, off offset:640
	v_add_f64_e32 v[188:189], v[188:189], v[194:195]
	s_wait_loadcnt_dscnt 0xb00
	v_mul_f64_e32 v[194:195], v[4:5], v[158:159]
	v_add_f64_e32 v[198:199], v[178:179], v[176:177]
	v_mul_f64_e32 v[158:159], v[6:7], v[158:159]
	ds_load_b128 v[176:179], v2 offset:1440
	v_fmac_f64_e32 v[190:191], v[186:187], v[152:153]
	v_fma_f64 v[184:185], v[184:185], v[152:153], -v[154:155]
	scratch_load_b128 v[152:155], off, off offset:656
	v_add_f64_e32 v[188:189], v[188:189], v[192:193]
	v_fmac_f64_e32 v[194:195], v[6:7], v[156:157]
	v_add_f64_e32 v[186:187], v[198:199], v[196:197]
	;; [unrolled: 18-line block ×3, first 2 shown]
	v_fma_f64 v[196:197], v[4:5], v[168:169], -v[170:171]
	ds_load_b128 v[4:7], v2 offset:1488
	s_wait_loadcnt_dscnt 0xa01
	v_mul_f64_e32 v[194:195], v[184:185], v[182:183]
	v_mul_f64_e32 v[182:183], v[186:187], v[182:183]
	scratch_load_b128 v[168:171], off, off offset:704
	v_add_f64_e32 v[188:189], v[188:189], v[192:193]
	v_add_f64_e32 v[198:199], v[178:179], v[176:177]
	s_wait_loadcnt_dscnt 0xa00
	v_mul_f64_e32 v[192:193], v[4:5], v[166:167]
	v_mul_f64_e32 v[166:167], v[6:7], v[166:167]
	v_fmac_f64_e32 v[194:195], v[186:187], v[180:181]
	v_fma_f64 v[184:185], v[184:185], v[180:181], -v[182:183]
	ds_load_b128 v[176:179], v2 offset:1504
	scratch_load_b128 v[180:183], off, off offset:720
	v_add_f64_e32 v[188:189], v[188:189], v[190:191]
	v_add_f64_e32 v[186:187], v[198:199], v[196:197]
	v_fmac_f64_e32 v[192:193], v[6:7], v[164:165]
	v_fma_f64 v[196:197], v[4:5], v[164:165], -v[166:167]
	ds_load_b128 v[4:7], v2 offset:1520
	s_wait_loadcnt_dscnt 0xa01
	v_mul_f64_e32 v[190:191], v[176:177], v[12:13]
	v_mul_f64_e32 v[12:13], v[178:179], v[12:13]
	scratch_load_b128 v[164:167], off, off offset:736
	v_add_f64_e32 v[188:189], v[188:189], v[194:195]
	s_wait_loadcnt_dscnt 0xa00
	v_mul_f64_e32 v[194:195], v[4:5], v[134:135]
	v_add_f64_e32 v[198:199], v[186:187], v[184:185]
	v_mul_f64_e32 v[134:135], v[6:7], v[134:135]
	ds_load_b128 v[184:187], v2 offset:1536
	v_fmac_f64_e32 v[190:191], v[178:179], v[10:11]
	v_fma_f64 v[176:177], v[176:177], v[10:11], -v[12:13]
	scratch_load_b128 v[10:13], off, off offset:752
	v_add_f64_e32 v[188:189], v[188:189], v[192:193]
	v_fmac_f64_e32 v[194:195], v[6:7], v[132:133]
	v_add_f64_e32 v[178:179], v[198:199], v[196:197]
	v_fma_f64 v[196:197], v[4:5], v[132:133], -v[134:135]
	ds_load_b128 v[4:7], v2 offset:1552
	s_wait_loadcnt_dscnt 0xa01
	v_mul_f64_e32 v[192:193], v[184:185], v[138:139]
	v_mul_f64_e32 v[138:139], v[186:187], v[138:139]
	scratch_load_b128 v[132:135], off, off offset:768
	v_add_f64_e32 v[188:189], v[188:189], v[190:191]
	s_wait_loadcnt_dscnt 0xa00
	v_mul_f64_e32 v[190:191], v[4:5], v[142:143]
	v_add_f64_e32 v[198:199], v[178:179], v[176:177]
	v_mul_f64_e32 v[142:143], v[6:7], v[142:143]
	ds_load_b128 v[176:179], v2 offset:1568
	v_fmac_f64_e32 v[192:193], v[186:187], v[136:137]
	v_fma_f64 v[184:185], v[184:185], v[136:137], -v[138:139]
	scratch_load_b128 v[136:139], off, off offset:784
	v_add_f64_e32 v[188:189], v[188:189], v[194:195]
	v_fmac_f64_e32 v[190:191], v[6:7], v[140:141]
	v_add_f64_e32 v[186:187], v[198:199], v[196:197]
	;; [unrolled: 18-line block ×6, first 2 shown]
	v_fma_f64 v[196:197], v[4:5], v[164:165], -v[166:167]
	ds_load_b128 v[4:7], v2 offset:1712
	s_wait_loadcnt_dscnt 0xa01
	v_mul_f64_e32 v[190:191], v[176:177], v[12:13]
	v_mul_f64_e32 v[12:13], v[178:179], v[12:13]
	scratch_load_b128 v[164:167], off, off offset:928
	v_add_f64_e32 v[188:189], v[188:189], v[194:195]
	s_wait_loadcnt_dscnt 0xa00
	v_mul_f64_e32 v[194:195], v[4:5], v[134:135]
	v_add_f64_e32 v[198:199], v[186:187], v[184:185]
	v_mul_f64_e32 v[134:135], v[6:7], v[134:135]
	ds_load_b128 v[184:187], v2 offset:1728
	v_fmac_f64_e32 v[190:191], v[178:179], v[10:11]
	v_fma_f64 v[10:11], v[176:177], v[10:11], -v[12:13]
	s_wait_loadcnt_dscnt 0x900
	v_mul_f64_e32 v[178:179], v[184:185], v[138:139]
	v_mul_f64_e32 v[138:139], v[186:187], v[138:139]
	v_add_f64_e32 v[176:177], v[188:189], v[192:193]
	v_fmac_f64_e32 v[194:195], v[6:7], v[132:133]
	v_add_f64_e32 v[12:13], v[198:199], v[196:197]
	v_fma_f64 v[132:133], v[4:5], v[132:133], -v[134:135]
	v_fmac_f64_e32 v[178:179], v[186:187], v[136:137]
	v_fma_f64 v[136:137], v[184:185], v[136:137], -v[138:139]
	v_add_f64_e32 v[176:177], v[176:177], v[190:191]
	v_add_f64_e32 v[134:135], v[12:13], v[10:11]
	ds_load_b128 v[4:7], v2 offset:1744
	ds_load_b128 v[10:13], v2 offset:1760
	s_wait_loadcnt_dscnt 0x801
	v_mul_f64_e32 v[188:189], v[4:5], v[142:143]
	v_mul_f64_e32 v[142:143], v[6:7], v[142:143]
	s_wait_loadcnt_dscnt 0x700
	v_mul_f64_e32 v[138:139], v[10:11], v[146:147]
	v_mul_f64_e32 v[146:147], v[12:13], v[146:147]
	v_add_f64_e32 v[132:133], v[134:135], v[132:133]
	v_add_f64_e32 v[134:135], v[176:177], v[194:195]
	v_fmac_f64_e32 v[188:189], v[6:7], v[140:141]
	v_fma_f64 v[140:141], v[4:5], v[140:141], -v[142:143]
	v_fmac_f64_e32 v[138:139], v[12:13], v[144:145]
	v_fma_f64 v[10:11], v[10:11], v[144:145], -v[146:147]
	v_add_f64_e32 v[136:137], v[132:133], v[136:137]
	v_add_f64_e32 v[142:143], v[134:135], v[178:179]
	ds_load_b128 v[4:7], v2 offset:1776
	ds_load_b128 v[132:135], v2 offset:1792
	s_wait_loadcnt_dscnt 0x601
	v_mul_f64_e32 v[176:177], v[4:5], v[150:151]
	v_mul_f64_e32 v[150:151], v[6:7], v[150:151]
	v_add_f64_e32 v[12:13], v[136:137], v[140:141]
	v_add_f64_e32 v[136:137], v[142:143], v[188:189]
	s_wait_loadcnt_dscnt 0x500
	v_mul_f64_e32 v[140:141], v[132:133], v[154:155]
	v_mul_f64_e32 v[142:143], v[134:135], v[154:155]
	v_fmac_f64_e32 v[176:177], v[6:7], v[148:149]
	v_fma_f64 v[144:145], v[4:5], v[148:149], -v[150:151]
	v_add_f64_e32 v[146:147], v[12:13], v[10:11]
	v_add_f64_e32 v[136:137], v[136:137], v[138:139]
	ds_load_b128 v[4:7], v2 offset:1808
	ds_load_b128 v[10:13], v2 offset:1824
	v_fmac_f64_e32 v[140:141], v[134:135], v[152:153]
	v_fma_f64 v[132:133], v[132:133], v[152:153], -v[142:143]
	s_wait_loadcnt_dscnt 0x401
	v_mul_f64_e32 v[138:139], v[4:5], v[158:159]
	v_mul_f64_e32 v[148:149], v[6:7], v[158:159]
	s_wait_loadcnt_dscnt 0x300
	v_mul_f64_e32 v[142:143], v[10:11], v[162:163]
	v_add_f64_e32 v[134:135], v[146:147], v[144:145]
	v_add_f64_e32 v[136:137], v[136:137], v[176:177]
	v_mul_f64_e32 v[144:145], v[12:13], v[162:163]
	v_fmac_f64_e32 v[138:139], v[6:7], v[156:157]
	v_fma_f64 v[146:147], v[4:5], v[156:157], -v[148:149]
	v_fmac_f64_e32 v[142:143], v[12:13], v[160:161]
	v_add_f64_e32 v[148:149], v[134:135], v[132:133]
	v_add_f64_e32 v[136:137], v[136:137], v[140:141]
	ds_load_b128 v[4:7], v2 offset:1840
	ds_load_b128 v[132:135], v2 offset:1856
	v_fma_f64 v[10:11], v[10:11], v[160:161], -v[144:145]
	s_wait_loadcnt_dscnt 0x201
	v_mul_f64_e32 v[140:141], v[4:5], v[170:171]
	v_mul_f64_e32 v[150:151], v[6:7], v[170:171]
	s_wait_loadcnt_dscnt 0x100
	v_mul_f64_e32 v[144:145], v[134:135], v[182:183]
	v_add_f64_e32 v[12:13], v[148:149], v[146:147]
	v_add_f64_e32 v[136:137], v[136:137], v[138:139]
	v_mul_f64_e32 v[138:139], v[132:133], v[182:183]
	v_fmac_f64_e32 v[140:141], v[6:7], v[168:169]
	v_fma_f64 v[146:147], v[4:5], v[168:169], -v[150:151]
	ds_load_b128 v[4:7], v2 offset:1872
	v_fma_f64 v[132:133], v[132:133], v[180:181], -v[144:145]
	v_add_f64_e32 v[10:11], v[12:13], v[10:11]
	v_add_f64_e32 v[12:13], v[136:137], v[142:143]
	v_fmac_f64_e32 v[138:139], v[134:135], v[180:181]
	s_wait_loadcnt_dscnt 0x0
	v_mul_f64_e32 v[136:137], v[4:5], v[166:167]
	v_mul_f64_e32 v[142:143], v[6:7], v[166:167]
	v_add_f64_e32 v[10:11], v[10:11], v[146:147]
	v_add_f64_e32 v[12:13], v[12:13], v[140:141]
	s_delay_alu instid0(VALU_DEP_4) | instskip(NEXT) | instid1(VALU_DEP_4)
	v_fmac_f64_e32 v[136:137], v[6:7], v[164:165]
	v_fma_f64 v[4:5], v[4:5], v[164:165], -v[142:143]
	s_delay_alu instid0(VALU_DEP_4) | instskip(NEXT) | instid1(VALU_DEP_4)
	v_add_f64_e32 v[6:7], v[10:11], v[132:133]
	v_add_f64_e32 v[10:11], v[12:13], v[138:139]
	s_delay_alu instid0(VALU_DEP_2) | instskip(NEXT) | instid1(VALU_DEP_2)
	v_add_f64_e32 v[4:5], v[6:7], v[4:5]
	v_add_f64_e32 v[6:7], v[10:11], v[136:137]
	s_delay_alu instid0(VALU_DEP_2) | instskip(NEXT) | instid1(VALU_DEP_2)
	v_add_f64_e64 v[4:5], v[172:173], -v[4:5]
	v_add_f64_e64 v[6:7], v[174:175], -v[6:7]
	scratch_store_b128 off, v[4:7], off offset:336
	s_wait_xcnt 0x0
	v_cmpx_lt_u32_e32 20, v1
	s_cbranch_execz .LBB122_327
; %bb.326:
	scratch_load_b128 v[10:13], off, s55
	v_dual_mov_b32 v3, v2 :: v_dual_mov_b32 v4, v2
	v_mov_b32_e32 v5, v2
	scratch_store_b128 off, v[2:5], off offset:320
	s_wait_loadcnt 0x0
	ds_store_b128 v8, v[10:13]
.LBB122_327:
	s_wait_xcnt 0x0
	s_or_b32 exec_lo, exec_lo, s2
	s_wait_storecnt_dscnt 0x0
	s_barrier_signal -1
	s_barrier_wait -1
	s_clause 0x9
	scratch_load_b128 v[4:7], off, off offset:336
	scratch_load_b128 v[10:13], off, off offset:352
	;; [unrolled: 1-line block ×10, first 2 shown]
	ds_load_b128 v[164:167], v2 offset:1280
	ds_load_b128 v[172:175], v2 offset:1296
	s_clause 0x2
	scratch_load_b128 v[168:171], off, off offset:496
	scratch_load_b128 v[176:179], off, off offset:320
	;; [unrolled: 1-line block ×3, first 2 shown]
	s_mov_b32 s2, exec_lo
	s_wait_loadcnt_dscnt 0xc01
	v_mul_f64_e32 v[184:185], v[166:167], v[6:7]
	v_mul_f64_e32 v[188:189], v[164:165], v[6:7]
	s_wait_loadcnt_dscnt 0xb00
	v_mul_f64_e32 v[190:191], v[172:173], v[12:13]
	v_mul_f64_e32 v[12:13], v[174:175], v[12:13]
	s_delay_alu instid0(VALU_DEP_4) | instskip(NEXT) | instid1(VALU_DEP_4)
	v_fma_f64 v[192:193], v[164:165], v[4:5], -v[184:185]
	v_fmac_f64_e32 v[188:189], v[166:167], v[4:5]
	ds_load_b128 v[4:7], v2 offset:1312
	ds_load_b128 v[164:167], v2 offset:1328
	scratch_load_b128 v[184:187], off, off offset:528
	v_fmac_f64_e32 v[190:191], v[174:175], v[10:11]
	v_fma_f64 v[172:173], v[172:173], v[10:11], -v[12:13]
	scratch_load_b128 v[10:13], off, off offset:544
	s_wait_loadcnt_dscnt 0xc01
	v_mul_f64_e32 v[194:195], v[4:5], v[134:135]
	v_mul_f64_e32 v[134:135], v[6:7], v[134:135]
	v_add_f64_e32 v[174:175], 0, v[192:193]
	v_add_f64_e32 v[188:189], 0, v[188:189]
	s_wait_loadcnt_dscnt 0xb00
	v_mul_f64_e32 v[192:193], v[164:165], v[138:139]
	v_mul_f64_e32 v[138:139], v[166:167], v[138:139]
	v_fmac_f64_e32 v[194:195], v[6:7], v[132:133]
	v_fma_f64 v[196:197], v[4:5], v[132:133], -v[134:135]
	ds_load_b128 v[4:7], v2 offset:1344
	ds_load_b128 v[132:135], v2 offset:1360
	v_add_f64_e32 v[198:199], v[174:175], v[172:173]
	v_add_f64_e32 v[188:189], v[188:189], v[190:191]
	scratch_load_b128 v[172:175], off, off offset:560
	v_fmac_f64_e32 v[192:193], v[166:167], v[136:137]
	v_fma_f64 v[164:165], v[164:165], v[136:137], -v[138:139]
	scratch_load_b128 v[136:139], off, off offset:576
	s_wait_loadcnt_dscnt 0xc01
	v_mul_f64_e32 v[190:191], v[4:5], v[142:143]
	v_mul_f64_e32 v[142:143], v[6:7], v[142:143]
	v_add_f64_e32 v[166:167], v[198:199], v[196:197]
	v_add_f64_e32 v[188:189], v[188:189], v[194:195]
	s_wait_loadcnt_dscnt 0xb00
	v_mul_f64_e32 v[194:195], v[132:133], v[146:147]
	v_mul_f64_e32 v[146:147], v[134:135], v[146:147]
	v_fmac_f64_e32 v[190:191], v[6:7], v[140:141]
	v_fma_f64 v[196:197], v[4:5], v[140:141], -v[142:143]
	ds_load_b128 v[4:7], v2 offset:1376
	ds_load_b128 v[140:143], v2 offset:1392
	v_add_f64_e32 v[198:199], v[166:167], v[164:165]
	v_add_f64_e32 v[188:189], v[188:189], v[192:193]
	scratch_load_b128 v[164:167], off, off offset:592
	s_wait_loadcnt_dscnt 0xb01
	v_mul_f64_e32 v[192:193], v[4:5], v[150:151]
	v_mul_f64_e32 v[150:151], v[6:7], v[150:151]
	v_fmac_f64_e32 v[194:195], v[134:135], v[144:145]
	v_fma_f64 v[144:145], v[132:133], v[144:145], -v[146:147]
	scratch_load_b128 v[132:135], off, off offset:608
	v_add_f64_e32 v[146:147], v[198:199], v[196:197]
	v_add_f64_e32 v[188:189], v[188:189], v[190:191]
	s_wait_loadcnt_dscnt 0xb00
	v_mul_f64_e32 v[190:191], v[140:141], v[154:155]
	v_mul_f64_e32 v[154:155], v[142:143], v[154:155]
	v_fmac_f64_e32 v[192:193], v[6:7], v[148:149]
	v_fma_f64 v[196:197], v[4:5], v[148:149], -v[150:151]
	v_add_f64_e32 v[198:199], v[146:147], v[144:145]
	v_add_f64_e32 v[188:189], v[188:189], v[194:195]
	ds_load_b128 v[4:7], v2 offset:1408
	ds_load_b128 v[144:147], v2 offset:1424
	scratch_load_b128 v[148:151], off, off offset:624
	v_fmac_f64_e32 v[190:191], v[142:143], v[152:153]
	v_fma_f64 v[152:153], v[140:141], v[152:153], -v[154:155]
	scratch_load_b128 v[140:143], off, off offset:640
	s_wait_loadcnt_dscnt 0xc01
	v_mul_f64_e32 v[194:195], v[4:5], v[158:159]
	v_mul_f64_e32 v[158:159], v[6:7], v[158:159]
	v_add_f64_e32 v[154:155], v[198:199], v[196:197]
	v_add_f64_e32 v[188:189], v[188:189], v[192:193]
	s_wait_loadcnt_dscnt 0xb00
	v_mul_f64_e32 v[192:193], v[144:145], v[162:163]
	v_mul_f64_e32 v[162:163], v[146:147], v[162:163]
	v_fmac_f64_e32 v[194:195], v[6:7], v[156:157]
	v_fma_f64 v[196:197], v[4:5], v[156:157], -v[158:159]
	v_add_f64_e32 v[198:199], v[154:155], v[152:153]
	v_add_f64_e32 v[188:189], v[188:189], v[190:191]
	ds_load_b128 v[4:7], v2 offset:1440
	ds_load_b128 v[152:155], v2 offset:1456
	scratch_load_b128 v[156:159], off, off offset:656
	v_fmac_f64_e32 v[192:193], v[146:147], v[160:161]
	v_fma_f64 v[160:161], v[144:145], v[160:161], -v[162:163]
	scratch_load_b128 v[144:147], off, off offset:672
	s_wait_loadcnt_dscnt 0xc01
	v_mul_f64_e32 v[190:191], v[4:5], v[170:171]
	v_mul_f64_e32 v[170:171], v[6:7], v[170:171]
	;; [unrolled: 18-line block ×5, first 2 shown]
	v_add_f64_e32 v[182:183], v[198:199], v[196:197]
	v_add_f64_e32 v[188:189], v[188:189], v[194:195]
	s_wait_loadcnt_dscnt 0xa00
	v_mul_f64_e32 v[194:195], v[160:161], v[134:135]
	v_mul_f64_e32 v[134:135], v[162:163], v[134:135]
	v_fmac_f64_e32 v[190:191], v[6:7], v[164:165]
	v_fma_f64 v[196:197], v[4:5], v[164:165], -v[166:167]
	ds_load_b128 v[4:7], v2 offset:1568
	ds_load_b128 v[164:167], v2 offset:1584
	v_add_f64_e32 v[198:199], v[182:183], v[180:181]
	v_add_f64_e32 v[188:189], v[188:189], v[192:193]
	scratch_load_b128 v[180:183], off, off offset:784
	v_fmac_f64_e32 v[194:195], v[162:163], v[132:133]
	v_fma_f64 v[160:161], v[160:161], v[132:133], -v[134:135]
	scratch_load_b128 v[132:135], off, off offset:800
	s_wait_loadcnt_dscnt 0xb01
	v_mul_f64_e32 v[192:193], v[4:5], v[150:151]
	v_mul_f64_e32 v[150:151], v[6:7], v[150:151]
	v_add_f64_e32 v[162:163], v[198:199], v[196:197]
	v_add_f64_e32 v[188:189], v[188:189], v[190:191]
	s_wait_loadcnt_dscnt 0xa00
	v_mul_f64_e32 v[190:191], v[164:165], v[142:143]
	v_mul_f64_e32 v[142:143], v[166:167], v[142:143]
	v_fmac_f64_e32 v[192:193], v[6:7], v[148:149]
	v_fma_f64 v[196:197], v[4:5], v[148:149], -v[150:151]
	ds_load_b128 v[4:7], v2 offset:1600
	ds_load_b128 v[148:151], v2 offset:1616
	v_add_f64_e32 v[198:199], v[162:163], v[160:161]
	v_add_f64_e32 v[188:189], v[188:189], v[194:195]
	scratch_load_b128 v[160:163], off, off offset:816
	s_wait_loadcnt_dscnt 0xa01
	v_mul_f64_e32 v[194:195], v[4:5], v[158:159]
	v_mul_f64_e32 v[158:159], v[6:7], v[158:159]
	v_fmac_f64_e32 v[190:191], v[166:167], v[140:141]
	v_fma_f64 v[164:165], v[164:165], v[140:141], -v[142:143]
	scratch_load_b128 v[140:143], off, off offset:832
	v_add_f64_e32 v[166:167], v[198:199], v[196:197]
	v_add_f64_e32 v[188:189], v[188:189], v[192:193]
	s_wait_loadcnt_dscnt 0xa00
	v_mul_f64_e32 v[192:193], v[148:149], v[146:147]
	v_mul_f64_e32 v[146:147], v[150:151], v[146:147]
	v_fmac_f64_e32 v[194:195], v[6:7], v[156:157]
	v_fma_f64 v[196:197], v[4:5], v[156:157], -v[158:159]
	ds_load_b128 v[4:7], v2 offset:1632
	ds_load_b128 v[156:159], v2 offset:1648
	v_add_f64_e32 v[198:199], v[166:167], v[164:165]
	v_add_f64_e32 v[188:189], v[188:189], v[190:191]
	scratch_load_b128 v[164:167], off, off offset:848
	s_wait_loadcnt_dscnt 0xa01
	v_mul_f64_e32 v[190:191], v[4:5], v[170:171]
	v_mul_f64_e32 v[170:171], v[6:7], v[170:171]
	v_fmac_f64_e32 v[192:193], v[150:151], v[144:145]
	v_fma_f64 v[148:149], v[148:149], v[144:145], -v[146:147]
	scratch_load_b128 v[144:147], off, off offset:864
	v_add_f64_e32 v[150:151], v[198:199], v[196:197]
	v_add_f64_e32 v[188:189], v[188:189], v[194:195]
	s_wait_loadcnt_dscnt 0xa00
	v_mul_f64_e32 v[194:195], v[156:157], v[154:155]
	v_mul_f64_e32 v[154:155], v[158:159], v[154:155]
	v_fmac_f64_e32 v[190:191], v[6:7], v[168:169]
	v_fma_f64 v[196:197], v[4:5], v[168:169], -v[170:171]
	v_add_f64_e32 v[198:199], v[150:151], v[148:149]
	v_add_f64_e32 v[188:189], v[188:189], v[192:193]
	ds_load_b128 v[4:7], v2 offset:1664
	ds_load_b128 v[148:151], v2 offset:1680
	scratch_load_b128 v[168:171], off, off offset:880
	v_fmac_f64_e32 v[194:195], v[158:159], v[152:153]
	v_fma_f64 v[156:157], v[156:157], v[152:153], -v[154:155]
	scratch_load_b128 v[152:155], off, off offset:896
	s_wait_loadcnt_dscnt 0xb01
	v_mul_f64_e32 v[192:193], v[4:5], v[186:187]
	v_mul_f64_e32 v[186:187], v[6:7], v[186:187]
	v_add_f64_e32 v[158:159], v[198:199], v[196:197]
	v_add_f64_e32 v[188:189], v[188:189], v[190:191]
	s_wait_loadcnt_dscnt 0xa00
	v_mul_f64_e32 v[190:191], v[148:149], v[12:13]
	v_mul_f64_e32 v[12:13], v[150:151], v[12:13]
	v_fmac_f64_e32 v[192:193], v[6:7], v[184:185]
	v_fma_f64 v[196:197], v[4:5], v[184:185], -v[186:187]
	v_add_f64_e32 v[198:199], v[158:159], v[156:157]
	v_add_f64_e32 v[188:189], v[188:189], v[194:195]
	ds_load_b128 v[4:7], v2 offset:1696
	ds_load_b128 v[156:159], v2 offset:1712
	scratch_load_b128 v[184:187], off, off offset:912
	v_fmac_f64_e32 v[190:191], v[150:151], v[10:11]
	v_fma_f64 v[148:149], v[148:149], v[10:11], -v[12:13]
	scratch_load_b128 v[10:13], off, off offset:928
	s_wait_loadcnt_dscnt 0xb01
	v_mul_f64_e32 v[194:195], v[4:5], v[174:175]
	v_mul_f64_e32 v[174:175], v[6:7], v[174:175]
	v_add_f64_e32 v[150:151], v[198:199], v[196:197]
	v_add_f64_e32 v[188:189], v[188:189], v[192:193]
	s_wait_loadcnt_dscnt 0xa00
	v_mul_f64_e32 v[192:193], v[156:157], v[138:139]
	v_mul_f64_e32 v[138:139], v[158:159], v[138:139]
	v_fmac_f64_e32 v[194:195], v[6:7], v[172:173]
	v_fma_f64 v[172:173], v[4:5], v[172:173], -v[174:175]
	v_add_f64_e32 v[174:175], v[150:151], v[148:149]
	v_add_f64_e32 v[188:189], v[188:189], v[190:191]
	ds_load_b128 v[4:7], v2 offset:1728
	ds_load_b128 v[148:151], v2 offset:1744
	v_fmac_f64_e32 v[192:193], v[158:159], v[136:137]
	v_fma_f64 v[136:137], v[156:157], v[136:137], -v[138:139]
	s_wait_loadcnt_dscnt 0x901
	v_mul_f64_e32 v[190:191], v[4:5], v[182:183]
	v_mul_f64_e32 v[182:183], v[6:7], v[182:183]
	s_wait_loadcnt_dscnt 0x800
	v_mul_f64_e32 v[158:159], v[148:149], v[134:135]
	v_add_f64_e32 v[138:139], v[174:175], v[172:173]
	v_add_f64_e32 v[156:157], v[188:189], v[194:195]
	v_mul_f64_e32 v[172:173], v[150:151], v[134:135]
	v_fmac_f64_e32 v[190:191], v[6:7], v[180:181]
	v_fma_f64 v[174:175], v[4:5], v[180:181], -v[182:183]
	v_fmac_f64_e32 v[158:159], v[150:151], v[132:133]
	v_add_f64_e32 v[138:139], v[138:139], v[136:137]
	v_add_f64_e32 v[156:157], v[156:157], v[192:193]
	ds_load_b128 v[4:7], v2 offset:1760
	ds_load_b128 v[134:137], v2 offset:1776
	v_fma_f64 v[132:133], v[148:149], v[132:133], -v[172:173]
	s_wait_loadcnt_dscnt 0x701
	v_mul_f64_e32 v[180:181], v[4:5], v[162:163]
	v_mul_f64_e32 v[162:163], v[6:7], v[162:163]
	v_add_f64_e32 v[138:139], v[138:139], v[174:175]
	v_add_f64_e32 v[148:149], v[156:157], v[190:191]
	s_wait_loadcnt_dscnt 0x600
	v_mul_f64_e32 v[156:157], v[134:135], v[142:143]
	v_mul_f64_e32 v[142:143], v[136:137], v[142:143]
	v_fmac_f64_e32 v[180:181], v[6:7], v[160:161]
	v_fma_f64 v[160:161], v[4:5], v[160:161], -v[162:163]
	v_add_f64_e32 v[132:133], v[138:139], v[132:133]
	v_add_f64_e32 v[138:139], v[148:149], v[158:159]
	ds_load_b128 v[4:7], v2 offset:1792
	ds_load_b128 v[148:151], v2 offset:1808
	v_fmac_f64_e32 v[156:157], v[136:137], v[140:141]
	v_fma_f64 v[134:135], v[134:135], v[140:141], -v[142:143]
	s_wait_loadcnt_dscnt 0x501
	v_mul_f64_e32 v[158:159], v[4:5], v[166:167]
	v_mul_f64_e32 v[162:163], v[6:7], v[166:167]
	s_wait_loadcnt_dscnt 0x400
	v_mul_f64_e32 v[140:141], v[150:151], v[146:147]
	v_add_f64_e32 v[132:133], v[132:133], v[160:161]
	v_add_f64_e32 v[136:137], v[138:139], v[180:181]
	v_mul_f64_e32 v[138:139], v[148:149], v[146:147]
	v_fmac_f64_e32 v[158:159], v[6:7], v[164:165]
	v_fma_f64 v[142:143], v[4:5], v[164:165], -v[162:163]
	v_fma_f64 v[140:141], v[148:149], v[144:145], -v[140:141]
	v_add_f64_e32 v[146:147], v[132:133], v[134:135]
	v_add_f64_e32 v[136:137], v[136:137], v[156:157]
	ds_load_b128 v[4:7], v2 offset:1824
	ds_load_b128 v[132:135], v2 offset:1840
	v_fmac_f64_e32 v[138:139], v[150:151], v[144:145]
	s_wait_loadcnt_dscnt 0x301
	v_mul_f64_e32 v[156:157], v[4:5], v[170:171]
	v_mul_f64_e32 v[160:161], v[6:7], v[170:171]
	s_wait_loadcnt_dscnt 0x200
	v_mul_f64_e32 v[144:145], v[132:133], v[154:155]
	v_add_f64_e32 v[142:143], v[146:147], v[142:143]
	v_add_f64_e32 v[136:137], v[136:137], v[158:159]
	v_mul_f64_e32 v[146:147], v[134:135], v[154:155]
	v_fmac_f64_e32 v[156:157], v[6:7], v[168:169]
	v_fma_f64 v[148:149], v[4:5], v[168:169], -v[160:161]
	v_fmac_f64_e32 v[144:145], v[134:135], v[152:153]
	v_add_f64_e32 v[140:141], v[142:143], v[140:141]
	v_add_f64_e32 v[142:143], v[136:137], v[138:139]
	ds_load_b128 v[4:7], v2 offset:1856
	ds_load_b128 v[136:139], v2 offset:1872
	v_fma_f64 v[132:133], v[132:133], v[152:153], -v[146:147]
	s_wait_loadcnt_dscnt 0x101
	v_mul_f64_e32 v[2:3], v[4:5], v[186:187]
	v_mul_f64_e32 v[150:151], v[6:7], v[186:187]
	v_add_f64_e32 v[134:135], v[140:141], v[148:149]
	v_add_f64_e32 v[140:141], v[142:143], v[156:157]
	s_wait_loadcnt_dscnt 0x0
	v_mul_f64_e32 v[142:143], v[136:137], v[12:13]
	v_mul_f64_e32 v[12:13], v[138:139], v[12:13]
	v_fmac_f64_e32 v[2:3], v[6:7], v[184:185]
	v_fma_f64 v[4:5], v[4:5], v[184:185], -v[150:151]
	v_add_f64_e32 v[6:7], v[134:135], v[132:133]
	v_add_f64_e32 v[132:133], v[140:141], v[144:145]
	v_fmac_f64_e32 v[142:143], v[138:139], v[10:11]
	v_fma_f64 v[10:11], v[136:137], v[10:11], -v[12:13]
	s_delay_alu instid0(VALU_DEP_4) | instskip(NEXT) | instid1(VALU_DEP_4)
	v_add_f64_e32 v[4:5], v[6:7], v[4:5]
	v_add_f64_e32 v[2:3], v[132:133], v[2:3]
	s_delay_alu instid0(VALU_DEP_2) | instskip(NEXT) | instid1(VALU_DEP_2)
	v_add_f64_e32 v[4:5], v[4:5], v[10:11]
	v_add_f64_e32 v[6:7], v[2:3], v[142:143]
	s_delay_alu instid0(VALU_DEP_2) | instskip(NEXT) | instid1(VALU_DEP_2)
	v_add_f64_e64 v[2:3], v[176:177], -v[4:5]
	v_add_f64_e64 v[4:5], v[178:179], -v[6:7]
	scratch_store_b128 off, v[2:5], off offset:320
	s_wait_xcnt 0x0
	v_cmpx_lt_u32_e32 19, v1
	s_cbranch_execz .LBB122_329
; %bb.328:
	scratch_load_b128 v[2:5], off, s56
	v_mov_b32_e32 v10, 0
	s_delay_alu instid0(VALU_DEP_1)
	v_dual_mov_b32 v11, v10 :: v_dual_mov_b32 v12, v10
	v_mov_b32_e32 v13, v10
	scratch_store_b128 off, v[10:13], off offset:304
	s_wait_loadcnt 0x0
	ds_store_b128 v8, v[2:5]
.LBB122_329:
	s_wait_xcnt 0x0
	s_or_b32 exec_lo, exec_lo, s2
	s_wait_storecnt_dscnt 0x0
	s_barrier_signal -1
	s_barrier_wait -1
	s_clause 0x9
	scratch_load_b128 v[4:7], off, off offset:320
	scratch_load_b128 v[10:13], off, off offset:336
	scratch_load_b128 v[132:135], off, off offset:352
	scratch_load_b128 v[136:139], off, off offset:368
	scratch_load_b128 v[140:143], off, off offset:384
	scratch_load_b128 v[144:147], off, off offset:400
	scratch_load_b128 v[148:151], off, off offset:416
	scratch_load_b128 v[152:155], off, off offset:432
	scratch_load_b128 v[156:159], off, off offset:448
	scratch_load_b128 v[160:163], off, off offset:464
	v_mov_b32_e32 v2, 0
	s_mov_b32 s2, exec_lo
	ds_load_b128 v[164:167], v2 offset:1264
	s_clause 0x2
	scratch_load_b128 v[168:171], off, off offset:480
	scratch_load_b128 v[172:175], off, off offset:304
	;; [unrolled: 1-line block ×3, first 2 shown]
	s_wait_loadcnt_dscnt 0xc00
	v_mul_f64_e32 v[184:185], v[166:167], v[6:7]
	v_mul_f64_e32 v[188:189], v[164:165], v[6:7]
	ds_load_b128 v[176:179], v2 offset:1280
	v_fma_f64 v[192:193], v[164:165], v[4:5], -v[184:185]
	v_fmac_f64_e32 v[188:189], v[166:167], v[4:5]
	ds_load_b128 v[4:7], v2 offset:1296
	s_wait_loadcnt_dscnt 0xb01
	v_mul_f64_e32 v[190:191], v[176:177], v[12:13]
	v_mul_f64_e32 v[12:13], v[178:179], v[12:13]
	scratch_load_b128 v[164:167], off, off offset:512
	ds_load_b128 v[184:187], v2 offset:1312
	s_wait_loadcnt_dscnt 0xb01
	v_mul_f64_e32 v[194:195], v[4:5], v[134:135]
	v_mul_f64_e32 v[134:135], v[6:7], v[134:135]
	v_add_f64_e32 v[188:189], 0, v[188:189]
	v_fmac_f64_e32 v[190:191], v[178:179], v[10:11]
	v_fma_f64 v[176:177], v[176:177], v[10:11], -v[12:13]
	v_add_f64_e32 v[178:179], 0, v[192:193]
	scratch_load_b128 v[10:13], off, off offset:528
	v_fmac_f64_e32 v[194:195], v[6:7], v[132:133]
	v_fma_f64 v[196:197], v[4:5], v[132:133], -v[134:135]
	ds_load_b128 v[4:7], v2 offset:1328
	s_wait_loadcnt_dscnt 0xb01
	v_mul_f64_e32 v[192:193], v[184:185], v[138:139]
	v_mul_f64_e32 v[138:139], v[186:187], v[138:139]
	scratch_load_b128 v[132:135], off, off offset:544
	v_add_f64_e32 v[188:189], v[188:189], v[190:191]
	v_add_f64_e32 v[198:199], v[178:179], v[176:177]
	ds_load_b128 v[176:179], v2 offset:1344
	s_wait_loadcnt_dscnt 0xb01
	v_mul_f64_e32 v[190:191], v[4:5], v[142:143]
	v_mul_f64_e32 v[142:143], v[6:7], v[142:143]
	v_fmac_f64_e32 v[192:193], v[186:187], v[136:137]
	v_fma_f64 v[184:185], v[184:185], v[136:137], -v[138:139]
	scratch_load_b128 v[136:139], off, off offset:560
	v_add_f64_e32 v[188:189], v[188:189], v[194:195]
	v_add_f64_e32 v[186:187], v[198:199], v[196:197]
	v_fmac_f64_e32 v[190:191], v[6:7], v[140:141]
	v_fma_f64 v[196:197], v[4:5], v[140:141], -v[142:143]
	ds_load_b128 v[4:7], v2 offset:1360
	s_wait_loadcnt_dscnt 0xb01
	v_mul_f64_e32 v[194:195], v[176:177], v[146:147]
	v_mul_f64_e32 v[146:147], v[178:179], v[146:147]
	scratch_load_b128 v[140:143], off, off offset:576
	v_add_f64_e32 v[188:189], v[188:189], v[192:193]
	s_wait_loadcnt_dscnt 0xb00
	v_mul_f64_e32 v[192:193], v[4:5], v[150:151]
	v_add_f64_e32 v[198:199], v[186:187], v[184:185]
	v_mul_f64_e32 v[150:151], v[6:7], v[150:151]
	ds_load_b128 v[184:187], v2 offset:1376
	v_fmac_f64_e32 v[194:195], v[178:179], v[144:145]
	v_fma_f64 v[176:177], v[176:177], v[144:145], -v[146:147]
	scratch_load_b128 v[144:147], off, off offset:592
	v_add_f64_e32 v[188:189], v[188:189], v[190:191]
	v_fmac_f64_e32 v[192:193], v[6:7], v[148:149]
	v_add_f64_e32 v[178:179], v[198:199], v[196:197]
	v_fma_f64 v[196:197], v[4:5], v[148:149], -v[150:151]
	ds_load_b128 v[4:7], v2 offset:1392
	s_wait_loadcnt_dscnt 0xb01
	v_mul_f64_e32 v[190:191], v[184:185], v[154:155]
	v_mul_f64_e32 v[154:155], v[186:187], v[154:155]
	scratch_load_b128 v[148:151], off, off offset:608
	v_add_f64_e32 v[188:189], v[188:189], v[194:195]
	s_wait_loadcnt_dscnt 0xb00
	v_mul_f64_e32 v[194:195], v[4:5], v[158:159]
	v_add_f64_e32 v[198:199], v[178:179], v[176:177]
	v_mul_f64_e32 v[158:159], v[6:7], v[158:159]
	ds_load_b128 v[176:179], v2 offset:1408
	v_fmac_f64_e32 v[190:191], v[186:187], v[152:153]
	v_fma_f64 v[184:185], v[184:185], v[152:153], -v[154:155]
	scratch_load_b128 v[152:155], off, off offset:624
	v_add_f64_e32 v[188:189], v[188:189], v[192:193]
	v_fmac_f64_e32 v[194:195], v[6:7], v[156:157]
	v_add_f64_e32 v[186:187], v[198:199], v[196:197]
	;; [unrolled: 18-line block ×3, first 2 shown]
	v_fma_f64 v[196:197], v[4:5], v[168:169], -v[170:171]
	ds_load_b128 v[4:7], v2 offset:1456
	s_wait_loadcnt_dscnt 0xa01
	v_mul_f64_e32 v[194:195], v[184:185], v[182:183]
	v_mul_f64_e32 v[182:183], v[186:187], v[182:183]
	scratch_load_b128 v[168:171], off, off offset:672
	v_add_f64_e32 v[188:189], v[188:189], v[192:193]
	v_add_f64_e32 v[198:199], v[178:179], v[176:177]
	s_wait_loadcnt_dscnt 0xa00
	v_mul_f64_e32 v[192:193], v[4:5], v[166:167]
	v_mul_f64_e32 v[166:167], v[6:7], v[166:167]
	v_fmac_f64_e32 v[194:195], v[186:187], v[180:181]
	v_fma_f64 v[184:185], v[184:185], v[180:181], -v[182:183]
	ds_load_b128 v[176:179], v2 offset:1472
	scratch_load_b128 v[180:183], off, off offset:688
	v_add_f64_e32 v[188:189], v[188:189], v[190:191]
	v_add_f64_e32 v[186:187], v[198:199], v[196:197]
	v_fmac_f64_e32 v[192:193], v[6:7], v[164:165]
	v_fma_f64 v[196:197], v[4:5], v[164:165], -v[166:167]
	ds_load_b128 v[4:7], v2 offset:1488
	s_wait_loadcnt_dscnt 0xa01
	v_mul_f64_e32 v[190:191], v[176:177], v[12:13]
	v_mul_f64_e32 v[12:13], v[178:179], v[12:13]
	scratch_load_b128 v[164:167], off, off offset:704
	v_add_f64_e32 v[188:189], v[188:189], v[194:195]
	s_wait_loadcnt_dscnt 0xa00
	v_mul_f64_e32 v[194:195], v[4:5], v[134:135]
	v_add_f64_e32 v[198:199], v[186:187], v[184:185]
	v_mul_f64_e32 v[134:135], v[6:7], v[134:135]
	ds_load_b128 v[184:187], v2 offset:1504
	v_fmac_f64_e32 v[190:191], v[178:179], v[10:11]
	v_fma_f64 v[176:177], v[176:177], v[10:11], -v[12:13]
	scratch_load_b128 v[10:13], off, off offset:720
	v_add_f64_e32 v[188:189], v[188:189], v[192:193]
	v_fmac_f64_e32 v[194:195], v[6:7], v[132:133]
	v_add_f64_e32 v[178:179], v[198:199], v[196:197]
	v_fma_f64 v[196:197], v[4:5], v[132:133], -v[134:135]
	ds_load_b128 v[4:7], v2 offset:1520
	s_wait_loadcnt_dscnt 0xa01
	v_mul_f64_e32 v[192:193], v[184:185], v[138:139]
	v_mul_f64_e32 v[138:139], v[186:187], v[138:139]
	scratch_load_b128 v[132:135], off, off offset:736
	v_add_f64_e32 v[188:189], v[188:189], v[190:191]
	s_wait_loadcnt_dscnt 0xa00
	v_mul_f64_e32 v[190:191], v[4:5], v[142:143]
	v_add_f64_e32 v[198:199], v[178:179], v[176:177]
	v_mul_f64_e32 v[142:143], v[6:7], v[142:143]
	ds_load_b128 v[176:179], v2 offset:1536
	v_fmac_f64_e32 v[192:193], v[186:187], v[136:137]
	v_fma_f64 v[184:185], v[184:185], v[136:137], -v[138:139]
	scratch_load_b128 v[136:139], off, off offset:752
	v_add_f64_e32 v[188:189], v[188:189], v[194:195]
	v_fmac_f64_e32 v[190:191], v[6:7], v[140:141]
	v_add_f64_e32 v[186:187], v[198:199], v[196:197]
	;; [unrolled: 18-line block ×7, first 2 shown]
	v_fma_f64 v[196:197], v[4:5], v[132:133], -v[134:135]
	ds_load_b128 v[4:7], v2 offset:1712
	s_wait_loadcnt_dscnt 0xa01
	v_mul_f64_e32 v[192:193], v[184:185], v[138:139]
	v_mul_f64_e32 v[138:139], v[186:187], v[138:139]
	scratch_load_b128 v[132:135], off, off offset:928
	v_add_f64_e32 v[188:189], v[188:189], v[190:191]
	s_wait_loadcnt_dscnt 0xa00
	v_mul_f64_e32 v[190:191], v[4:5], v[142:143]
	v_add_f64_e32 v[198:199], v[178:179], v[176:177]
	v_mul_f64_e32 v[142:143], v[6:7], v[142:143]
	ds_load_b128 v[176:179], v2 offset:1728
	v_fmac_f64_e32 v[192:193], v[186:187], v[136:137]
	v_fma_f64 v[136:137], v[184:185], v[136:137], -v[138:139]
	s_wait_loadcnt_dscnt 0x900
	v_mul_f64_e32 v[186:187], v[176:177], v[146:147]
	v_mul_f64_e32 v[146:147], v[178:179], v[146:147]
	v_add_f64_e32 v[184:185], v[188:189], v[194:195]
	v_fmac_f64_e32 v[190:191], v[6:7], v[140:141]
	v_add_f64_e32 v[138:139], v[198:199], v[196:197]
	v_fma_f64 v[140:141], v[4:5], v[140:141], -v[142:143]
	v_fmac_f64_e32 v[186:187], v[178:179], v[144:145]
	v_fma_f64 v[144:145], v[176:177], v[144:145], -v[146:147]
	v_add_f64_e32 v[184:185], v[184:185], v[192:193]
	v_add_f64_e32 v[142:143], v[138:139], v[136:137]
	ds_load_b128 v[4:7], v2 offset:1744
	ds_load_b128 v[136:139], v2 offset:1760
	s_wait_loadcnt_dscnt 0x801
	v_mul_f64_e32 v[188:189], v[4:5], v[150:151]
	v_mul_f64_e32 v[150:151], v[6:7], v[150:151]
	s_wait_loadcnt_dscnt 0x700
	v_mul_f64_e32 v[146:147], v[136:137], v[154:155]
	v_mul_f64_e32 v[154:155], v[138:139], v[154:155]
	v_add_f64_e32 v[140:141], v[142:143], v[140:141]
	v_add_f64_e32 v[142:143], v[184:185], v[190:191]
	v_fmac_f64_e32 v[188:189], v[6:7], v[148:149]
	v_fma_f64 v[148:149], v[4:5], v[148:149], -v[150:151]
	v_fmac_f64_e32 v[146:147], v[138:139], v[152:153]
	v_fma_f64 v[136:137], v[136:137], v[152:153], -v[154:155]
	v_add_f64_e32 v[144:145], v[140:141], v[144:145]
	v_add_f64_e32 v[150:151], v[142:143], v[186:187]
	ds_load_b128 v[4:7], v2 offset:1776
	ds_load_b128 v[140:143], v2 offset:1792
	s_wait_loadcnt_dscnt 0x601
	v_mul_f64_e32 v[176:177], v[4:5], v[158:159]
	v_mul_f64_e32 v[158:159], v[6:7], v[158:159]
	v_add_f64_e32 v[138:139], v[144:145], v[148:149]
	v_add_f64_e32 v[144:145], v[150:151], v[188:189]
	s_wait_loadcnt_dscnt 0x500
	v_mul_f64_e32 v[148:149], v[140:141], v[162:163]
	v_mul_f64_e32 v[150:151], v[142:143], v[162:163]
	v_fmac_f64_e32 v[176:177], v[6:7], v[156:157]
	v_fma_f64 v[152:153], v[4:5], v[156:157], -v[158:159]
	v_add_f64_e32 v[154:155], v[138:139], v[136:137]
	v_add_f64_e32 v[144:145], v[144:145], v[146:147]
	ds_load_b128 v[4:7], v2 offset:1808
	ds_load_b128 v[136:139], v2 offset:1824
	v_fmac_f64_e32 v[148:149], v[142:143], v[160:161]
	v_fma_f64 v[140:141], v[140:141], v[160:161], -v[150:151]
	s_wait_loadcnt_dscnt 0x401
	v_mul_f64_e32 v[146:147], v[4:5], v[170:171]
	v_mul_f64_e32 v[156:157], v[6:7], v[170:171]
	s_wait_loadcnt_dscnt 0x300
	v_mul_f64_e32 v[150:151], v[136:137], v[182:183]
	v_add_f64_e32 v[142:143], v[154:155], v[152:153]
	v_add_f64_e32 v[144:145], v[144:145], v[176:177]
	v_mul_f64_e32 v[152:153], v[138:139], v[182:183]
	v_fmac_f64_e32 v[146:147], v[6:7], v[168:169]
	v_fma_f64 v[154:155], v[4:5], v[168:169], -v[156:157]
	v_fmac_f64_e32 v[150:151], v[138:139], v[180:181]
	v_add_f64_e32 v[156:157], v[142:143], v[140:141]
	v_add_f64_e32 v[144:145], v[144:145], v[148:149]
	ds_load_b128 v[4:7], v2 offset:1840
	ds_load_b128 v[140:143], v2 offset:1856
	v_fma_f64 v[136:137], v[136:137], v[180:181], -v[152:153]
	s_wait_loadcnt_dscnt 0x201
	v_mul_f64_e32 v[148:149], v[4:5], v[166:167]
	v_mul_f64_e32 v[158:159], v[6:7], v[166:167]
	v_add_f64_e32 v[138:139], v[156:157], v[154:155]
	v_add_f64_e32 v[144:145], v[144:145], v[146:147]
	s_wait_loadcnt_dscnt 0x100
	v_mul_f64_e32 v[146:147], v[140:141], v[12:13]
	v_mul_f64_e32 v[12:13], v[142:143], v[12:13]
	v_fmac_f64_e32 v[148:149], v[6:7], v[164:165]
	v_fma_f64 v[152:153], v[4:5], v[164:165], -v[158:159]
	ds_load_b128 v[4:7], v2 offset:1872
	v_add_f64_e32 v[136:137], v[138:139], v[136:137]
	v_add_f64_e32 v[138:139], v[144:145], v[150:151]
	v_fmac_f64_e32 v[146:147], v[142:143], v[10:11]
	v_fma_f64 v[10:11], v[140:141], v[10:11], -v[12:13]
	s_wait_loadcnt_dscnt 0x0
	v_mul_f64_e32 v[144:145], v[4:5], v[134:135]
	v_mul_f64_e32 v[134:135], v[6:7], v[134:135]
	v_add_f64_e32 v[12:13], v[136:137], v[152:153]
	v_add_f64_e32 v[136:137], v[138:139], v[148:149]
	s_delay_alu instid0(VALU_DEP_4) | instskip(NEXT) | instid1(VALU_DEP_4)
	v_fmac_f64_e32 v[144:145], v[6:7], v[132:133]
	v_fma_f64 v[4:5], v[4:5], v[132:133], -v[134:135]
	s_delay_alu instid0(VALU_DEP_4) | instskip(NEXT) | instid1(VALU_DEP_4)
	v_add_f64_e32 v[6:7], v[12:13], v[10:11]
	v_add_f64_e32 v[10:11], v[136:137], v[146:147]
	s_delay_alu instid0(VALU_DEP_2) | instskip(NEXT) | instid1(VALU_DEP_2)
	v_add_f64_e32 v[4:5], v[6:7], v[4:5]
	v_add_f64_e32 v[6:7], v[10:11], v[144:145]
	s_delay_alu instid0(VALU_DEP_2) | instskip(NEXT) | instid1(VALU_DEP_2)
	v_add_f64_e64 v[4:5], v[172:173], -v[4:5]
	v_add_f64_e64 v[6:7], v[174:175], -v[6:7]
	scratch_store_b128 off, v[4:7], off offset:304
	s_wait_xcnt 0x0
	v_cmpx_lt_u32_e32 18, v1
	s_cbranch_execz .LBB122_331
; %bb.330:
	scratch_load_b128 v[10:13], off, s57
	v_dual_mov_b32 v3, v2 :: v_dual_mov_b32 v4, v2
	v_mov_b32_e32 v5, v2
	scratch_store_b128 off, v[2:5], off offset:288
	s_wait_loadcnt 0x0
	ds_store_b128 v8, v[10:13]
.LBB122_331:
	s_wait_xcnt 0x0
	s_or_b32 exec_lo, exec_lo, s2
	s_wait_storecnt_dscnt 0x0
	s_barrier_signal -1
	s_barrier_wait -1
	s_clause 0x9
	scratch_load_b128 v[4:7], off, off offset:304
	scratch_load_b128 v[10:13], off, off offset:320
	;; [unrolled: 1-line block ×10, first 2 shown]
	ds_load_b128 v[164:167], v2 offset:1248
	ds_load_b128 v[172:175], v2 offset:1264
	s_clause 0x2
	scratch_load_b128 v[168:171], off, off offset:464
	scratch_load_b128 v[176:179], off, off offset:288
	;; [unrolled: 1-line block ×3, first 2 shown]
	s_mov_b32 s2, exec_lo
	s_wait_loadcnt_dscnt 0xc01
	v_mul_f64_e32 v[184:185], v[166:167], v[6:7]
	v_mul_f64_e32 v[188:189], v[164:165], v[6:7]
	s_wait_loadcnt_dscnt 0xb00
	v_mul_f64_e32 v[190:191], v[172:173], v[12:13]
	v_mul_f64_e32 v[12:13], v[174:175], v[12:13]
	s_delay_alu instid0(VALU_DEP_4) | instskip(NEXT) | instid1(VALU_DEP_4)
	v_fma_f64 v[192:193], v[164:165], v[4:5], -v[184:185]
	v_fmac_f64_e32 v[188:189], v[166:167], v[4:5]
	ds_load_b128 v[4:7], v2 offset:1280
	ds_load_b128 v[164:167], v2 offset:1296
	scratch_load_b128 v[184:187], off, off offset:496
	v_fmac_f64_e32 v[190:191], v[174:175], v[10:11]
	v_fma_f64 v[172:173], v[172:173], v[10:11], -v[12:13]
	scratch_load_b128 v[10:13], off, off offset:512
	s_wait_loadcnt_dscnt 0xc01
	v_mul_f64_e32 v[194:195], v[4:5], v[134:135]
	v_mul_f64_e32 v[134:135], v[6:7], v[134:135]
	v_add_f64_e32 v[174:175], 0, v[192:193]
	v_add_f64_e32 v[188:189], 0, v[188:189]
	s_wait_loadcnt_dscnt 0xb00
	v_mul_f64_e32 v[192:193], v[164:165], v[138:139]
	v_mul_f64_e32 v[138:139], v[166:167], v[138:139]
	v_fmac_f64_e32 v[194:195], v[6:7], v[132:133]
	v_fma_f64 v[196:197], v[4:5], v[132:133], -v[134:135]
	ds_load_b128 v[4:7], v2 offset:1312
	ds_load_b128 v[132:135], v2 offset:1328
	v_add_f64_e32 v[198:199], v[174:175], v[172:173]
	v_add_f64_e32 v[188:189], v[188:189], v[190:191]
	scratch_load_b128 v[172:175], off, off offset:528
	v_fmac_f64_e32 v[192:193], v[166:167], v[136:137]
	v_fma_f64 v[164:165], v[164:165], v[136:137], -v[138:139]
	scratch_load_b128 v[136:139], off, off offset:544
	s_wait_loadcnt_dscnt 0xc01
	v_mul_f64_e32 v[190:191], v[4:5], v[142:143]
	v_mul_f64_e32 v[142:143], v[6:7], v[142:143]
	v_add_f64_e32 v[166:167], v[198:199], v[196:197]
	v_add_f64_e32 v[188:189], v[188:189], v[194:195]
	s_wait_loadcnt_dscnt 0xb00
	v_mul_f64_e32 v[194:195], v[132:133], v[146:147]
	v_mul_f64_e32 v[146:147], v[134:135], v[146:147]
	v_fmac_f64_e32 v[190:191], v[6:7], v[140:141]
	v_fma_f64 v[196:197], v[4:5], v[140:141], -v[142:143]
	ds_load_b128 v[4:7], v2 offset:1344
	ds_load_b128 v[140:143], v2 offset:1360
	v_add_f64_e32 v[198:199], v[166:167], v[164:165]
	v_add_f64_e32 v[188:189], v[188:189], v[192:193]
	scratch_load_b128 v[164:167], off, off offset:560
	s_wait_loadcnt_dscnt 0xb01
	v_mul_f64_e32 v[192:193], v[4:5], v[150:151]
	v_mul_f64_e32 v[150:151], v[6:7], v[150:151]
	v_fmac_f64_e32 v[194:195], v[134:135], v[144:145]
	v_fma_f64 v[144:145], v[132:133], v[144:145], -v[146:147]
	scratch_load_b128 v[132:135], off, off offset:576
	v_add_f64_e32 v[146:147], v[198:199], v[196:197]
	v_add_f64_e32 v[188:189], v[188:189], v[190:191]
	s_wait_loadcnt_dscnt 0xb00
	v_mul_f64_e32 v[190:191], v[140:141], v[154:155]
	v_mul_f64_e32 v[154:155], v[142:143], v[154:155]
	v_fmac_f64_e32 v[192:193], v[6:7], v[148:149]
	v_fma_f64 v[196:197], v[4:5], v[148:149], -v[150:151]
	v_add_f64_e32 v[198:199], v[146:147], v[144:145]
	v_add_f64_e32 v[188:189], v[188:189], v[194:195]
	ds_load_b128 v[4:7], v2 offset:1376
	ds_load_b128 v[144:147], v2 offset:1392
	scratch_load_b128 v[148:151], off, off offset:592
	v_fmac_f64_e32 v[190:191], v[142:143], v[152:153]
	v_fma_f64 v[152:153], v[140:141], v[152:153], -v[154:155]
	scratch_load_b128 v[140:143], off, off offset:608
	s_wait_loadcnt_dscnt 0xc01
	v_mul_f64_e32 v[194:195], v[4:5], v[158:159]
	v_mul_f64_e32 v[158:159], v[6:7], v[158:159]
	v_add_f64_e32 v[154:155], v[198:199], v[196:197]
	v_add_f64_e32 v[188:189], v[188:189], v[192:193]
	s_wait_loadcnt_dscnt 0xb00
	v_mul_f64_e32 v[192:193], v[144:145], v[162:163]
	v_mul_f64_e32 v[162:163], v[146:147], v[162:163]
	v_fmac_f64_e32 v[194:195], v[6:7], v[156:157]
	v_fma_f64 v[196:197], v[4:5], v[156:157], -v[158:159]
	v_add_f64_e32 v[198:199], v[154:155], v[152:153]
	v_add_f64_e32 v[188:189], v[188:189], v[190:191]
	ds_load_b128 v[4:7], v2 offset:1408
	ds_load_b128 v[152:155], v2 offset:1424
	scratch_load_b128 v[156:159], off, off offset:624
	v_fmac_f64_e32 v[192:193], v[146:147], v[160:161]
	v_fma_f64 v[160:161], v[144:145], v[160:161], -v[162:163]
	scratch_load_b128 v[144:147], off, off offset:640
	s_wait_loadcnt_dscnt 0xc01
	v_mul_f64_e32 v[190:191], v[4:5], v[170:171]
	v_mul_f64_e32 v[170:171], v[6:7], v[170:171]
	v_add_f64_e32 v[162:163], v[198:199], v[196:197]
	v_add_f64_e32 v[188:189], v[188:189], v[194:195]
	s_wait_loadcnt_dscnt 0xa00
	v_mul_f64_e32 v[194:195], v[152:153], v[182:183]
	v_mul_f64_e32 v[182:183], v[154:155], v[182:183]
	v_fmac_f64_e32 v[190:191], v[6:7], v[168:169]
	v_fma_f64 v[196:197], v[4:5], v[168:169], -v[170:171]
	v_add_f64_e32 v[198:199], v[162:163], v[160:161]
	v_add_f64_e32 v[188:189], v[188:189], v[192:193]
	ds_load_b128 v[4:7], v2 offset:1440
	ds_load_b128 v[160:163], v2 offset:1456
	scratch_load_b128 v[168:171], off, off offset:656
	v_fmac_f64_e32 v[194:195], v[154:155], v[180:181]
	v_fma_f64 v[180:181], v[152:153], v[180:181], -v[182:183]
	scratch_load_b128 v[152:155], off, off offset:672
	s_wait_loadcnt_dscnt 0xb01
	v_mul_f64_e32 v[192:193], v[4:5], v[186:187]
	v_mul_f64_e32 v[186:187], v[6:7], v[186:187]
	v_add_f64_e32 v[182:183], v[198:199], v[196:197]
	v_add_f64_e32 v[188:189], v[188:189], v[190:191]
	s_wait_loadcnt_dscnt 0xa00
	v_mul_f64_e32 v[190:191], v[160:161], v[12:13]
	v_mul_f64_e32 v[12:13], v[162:163], v[12:13]
	v_fmac_f64_e32 v[192:193], v[6:7], v[184:185]
	v_fma_f64 v[196:197], v[4:5], v[184:185], -v[186:187]
	v_add_f64_e32 v[198:199], v[182:183], v[180:181]
	v_add_f64_e32 v[188:189], v[188:189], v[194:195]
	ds_load_b128 v[4:7], v2 offset:1472
	ds_load_b128 v[180:183], v2 offset:1488
	scratch_load_b128 v[184:187], off, off offset:688
	v_fmac_f64_e32 v[190:191], v[162:163], v[10:11]
	v_fma_f64 v[160:161], v[160:161], v[10:11], -v[12:13]
	scratch_load_b128 v[10:13], off, off offset:704
	s_wait_loadcnt_dscnt 0xb01
	v_mul_f64_e32 v[194:195], v[4:5], v[174:175]
	v_mul_f64_e32 v[174:175], v[6:7], v[174:175]
	v_add_f64_e32 v[162:163], v[198:199], v[196:197]
	v_add_f64_e32 v[188:189], v[188:189], v[192:193]
	s_wait_loadcnt_dscnt 0xa00
	v_mul_f64_e32 v[192:193], v[180:181], v[138:139]
	v_mul_f64_e32 v[138:139], v[182:183], v[138:139]
	v_fmac_f64_e32 v[194:195], v[6:7], v[172:173]
	v_fma_f64 v[196:197], v[4:5], v[172:173], -v[174:175]
	v_add_f64_e32 v[198:199], v[162:163], v[160:161]
	v_add_f64_e32 v[188:189], v[188:189], v[190:191]
	ds_load_b128 v[4:7], v2 offset:1504
	ds_load_b128 v[160:163], v2 offset:1520
	scratch_load_b128 v[172:175], off, off offset:720
	v_fmac_f64_e32 v[192:193], v[182:183], v[136:137]
	v_fma_f64 v[180:181], v[180:181], v[136:137], -v[138:139]
	scratch_load_b128 v[136:139], off, off offset:736
	s_wait_loadcnt_dscnt 0xb01
	v_mul_f64_e32 v[190:191], v[4:5], v[166:167]
	v_mul_f64_e32 v[166:167], v[6:7], v[166:167]
	v_add_f64_e32 v[182:183], v[198:199], v[196:197]
	v_add_f64_e32 v[188:189], v[188:189], v[194:195]
	s_wait_loadcnt_dscnt 0xa00
	v_mul_f64_e32 v[194:195], v[160:161], v[134:135]
	v_mul_f64_e32 v[134:135], v[162:163], v[134:135]
	v_fmac_f64_e32 v[190:191], v[6:7], v[164:165]
	v_fma_f64 v[196:197], v[4:5], v[164:165], -v[166:167]
	ds_load_b128 v[4:7], v2 offset:1536
	ds_load_b128 v[164:167], v2 offset:1552
	v_add_f64_e32 v[198:199], v[182:183], v[180:181]
	v_add_f64_e32 v[188:189], v[188:189], v[192:193]
	scratch_load_b128 v[180:183], off, off offset:752
	v_fmac_f64_e32 v[194:195], v[162:163], v[132:133]
	v_fma_f64 v[160:161], v[160:161], v[132:133], -v[134:135]
	scratch_load_b128 v[132:135], off, off offset:768
	s_wait_loadcnt_dscnt 0xb01
	v_mul_f64_e32 v[192:193], v[4:5], v[150:151]
	v_mul_f64_e32 v[150:151], v[6:7], v[150:151]
	v_add_f64_e32 v[162:163], v[198:199], v[196:197]
	v_add_f64_e32 v[188:189], v[188:189], v[190:191]
	s_wait_loadcnt_dscnt 0xa00
	v_mul_f64_e32 v[190:191], v[164:165], v[142:143]
	v_mul_f64_e32 v[142:143], v[166:167], v[142:143]
	v_fmac_f64_e32 v[192:193], v[6:7], v[148:149]
	v_fma_f64 v[196:197], v[4:5], v[148:149], -v[150:151]
	ds_load_b128 v[4:7], v2 offset:1568
	ds_load_b128 v[148:151], v2 offset:1584
	v_add_f64_e32 v[198:199], v[162:163], v[160:161]
	v_add_f64_e32 v[188:189], v[188:189], v[194:195]
	scratch_load_b128 v[160:163], off, off offset:784
	s_wait_loadcnt_dscnt 0xa01
	v_mul_f64_e32 v[194:195], v[4:5], v[158:159]
	v_mul_f64_e32 v[158:159], v[6:7], v[158:159]
	v_fmac_f64_e32 v[190:191], v[166:167], v[140:141]
	v_fma_f64 v[164:165], v[164:165], v[140:141], -v[142:143]
	scratch_load_b128 v[140:143], off, off offset:800
	v_add_f64_e32 v[166:167], v[198:199], v[196:197]
	v_add_f64_e32 v[188:189], v[188:189], v[192:193]
	s_wait_loadcnt_dscnt 0xa00
	v_mul_f64_e32 v[192:193], v[148:149], v[146:147]
	v_mul_f64_e32 v[146:147], v[150:151], v[146:147]
	v_fmac_f64_e32 v[194:195], v[6:7], v[156:157]
	v_fma_f64 v[196:197], v[4:5], v[156:157], -v[158:159]
	ds_load_b128 v[4:7], v2 offset:1600
	ds_load_b128 v[156:159], v2 offset:1616
	v_add_f64_e32 v[198:199], v[166:167], v[164:165]
	v_add_f64_e32 v[188:189], v[188:189], v[190:191]
	scratch_load_b128 v[164:167], off, off offset:816
	s_wait_loadcnt_dscnt 0xa01
	v_mul_f64_e32 v[190:191], v[4:5], v[170:171]
	v_mul_f64_e32 v[170:171], v[6:7], v[170:171]
	v_fmac_f64_e32 v[192:193], v[150:151], v[144:145]
	v_fma_f64 v[148:149], v[148:149], v[144:145], -v[146:147]
	scratch_load_b128 v[144:147], off, off offset:832
	v_add_f64_e32 v[150:151], v[198:199], v[196:197]
	v_add_f64_e32 v[188:189], v[188:189], v[194:195]
	s_wait_loadcnt_dscnt 0xa00
	v_mul_f64_e32 v[194:195], v[156:157], v[154:155]
	v_mul_f64_e32 v[154:155], v[158:159], v[154:155]
	v_fmac_f64_e32 v[190:191], v[6:7], v[168:169]
	v_fma_f64 v[196:197], v[4:5], v[168:169], -v[170:171]
	v_add_f64_e32 v[198:199], v[150:151], v[148:149]
	v_add_f64_e32 v[188:189], v[188:189], v[192:193]
	ds_load_b128 v[4:7], v2 offset:1632
	ds_load_b128 v[148:151], v2 offset:1648
	scratch_load_b128 v[168:171], off, off offset:848
	v_fmac_f64_e32 v[194:195], v[158:159], v[152:153]
	v_fma_f64 v[156:157], v[156:157], v[152:153], -v[154:155]
	scratch_load_b128 v[152:155], off, off offset:864
	s_wait_loadcnt_dscnt 0xb01
	v_mul_f64_e32 v[192:193], v[4:5], v[186:187]
	v_mul_f64_e32 v[186:187], v[6:7], v[186:187]
	v_add_f64_e32 v[158:159], v[198:199], v[196:197]
	v_add_f64_e32 v[188:189], v[188:189], v[190:191]
	s_wait_loadcnt_dscnt 0xa00
	v_mul_f64_e32 v[190:191], v[148:149], v[12:13]
	v_mul_f64_e32 v[12:13], v[150:151], v[12:13]
	v_fmac_f64_e32 v[192:193], v[6:7], v[184:185]
	v_fma_f64 v[196:197], v[4:5], v[184:185], -v[186:187]
	v_add_f64_e32 v[198:199], v[158:159], v[156:157]
	v_add_f64_e32 v[188:189], v[188:189], v[194:195]
	ds_load_b128 v[4:7], v2 offset:1664
	ds_load_b128 v[156:159], v2 offset:1680
	scratch_load_b128 v[184:187], off, off offset:880
	v_fmac_f64_e32 v[190:191], v[150:151], v[10:11]
	v_fma_f64 v[148:149], v[148:149], v[10:11], -v[12:13]
	scratch_load_b128 v[10:13], off, off offset:896
	s_wait_loadcnt_dscnt 0xb01
	v_mul_f64_e32 v[194:195], v[4:5], v[174:175]
	v_mul_f64_e32 v[174:175], v[6:7], v[174:175]
	;; [unrolled: 18-line block ×3, first 2 shown]
	v_add_f64_e32 v[158:159], v[198:199], v[196:197]
	v_add_f64_e32 v[188:189], v[188:189], v[194:195]
	s_wait_loadcnt_dscnt 0xa00
	v_mul_f64_e32 v[194:195], v[148:149], v[134:135]
	v_mul_f64_e32 v[134:135], v[150:151], v[134:135]
	v_fmac_f64_e32 v[190:191], v[6:7], v[180:181]
	v_fma_f64 v[180:181], v[4:5], v[180:181], -v[182:183]
	v_add_f64_e32 v[182:183], v[158:159], v[156:157]
	v_add_f64_e32 v[188:189], v[188:189], v[192:193]
	ds_load_b128 v[4:7], v2 offset:1728
	ds_load_b128 v[156:159], v2 offset:1744
	v_fmac_f64_e32 v[194:195], v[150:151], v[132:133]
	v_fma_f64 v[132:133], v[148:149], v[132:133], -v[134:135]
	s_wait_loadcnt_dscnt 0x901
	v_mul_f64_e32 v[192:193], v[4:5], v[162:163]
	v_mul_f64_e32 v[162:163], v[6:7], v[162:163]
	s_wait_loadcnt_dscnt 0x800
	v_mul_f64_e32 v[150:151], v[156:157], v[142:143]
	v_mul_f64_e32 v[142:143], v[158:159], v[142:143]
	v_add_f64_e32 v[134:135], v[182:183], v[180:181]
	v_add_f64_e32 v[148:149], v[188:189], v[190:191]
	v_fmac_f64_e32 v[192:193], v[6:7], v[160:161]
	v_fma_f64 v[160:161], v[4:5], v[160:161], -v[162:163]
	v_fmac_f64_e32 v[150:151], v[158:159], v[140:141]
	v_fma_f64 v[140:141], v[156:157], v[140:141], -v[142:143]
	v_add_f64_e32 v[162:163], v[134:135], v[132:133]
	v_add_f64_e32 v[148:149], v[148:149], v[194:195]
	ds_load_b128 v[4:7], v2 offset:1760
	ds_load_b128 v[132:135], v2 offset:1776
	s_wait_loadcnt_dscnt 0x701
	v_mul_f64_e32 v[180:181], v[4:5], v[166:167]
	v_mul_f64_e32 v[166:167], v[6:7], v[166:167]
	s_wait_loadcnt_dscnt 0x600
	v_mul_f64_e32 v[156:157], v[132:133], v[146:147]
	v_mul_f64_e32 v[146:147], v[134:135], v[146:147]
	v_add_f64_e32 v[142:143], v[162:163], v[160:161]
	v_add_f64_e32 v[148:149], v[148:149], v[192:193]
	v_fmac_f64_e32 v[180:181], v[6:7], v[164:165]
	v_fma_f64 v[158:159], v[4:5], v[164:165], -v[166:167]
	v_fmac_f64_e32 v[156:157], v[134:135], v[144:145]
	v_fma_f64 v[132:133], v[132:133], v[144:145], -v[146:147]
	v_add_f64_e32 v[160:161], v[142:143], v[140:141]
	v_add_f64_e32 v[148:149], v[148:149], v[150:151]
	ds_load_b128 v[4:7], v2 offset:1792
	ds_load_b128 v[140:143], v2 offset:1808
	s_wait_loadcnt_dscnt 0x501
	v_mul_f64_e32 v[150:151], v[4:5], v[170:171]
	v_mul_f64_e32 v[162:163], v[6:7], v[170:171]
	s_wait_loadcnt_dscnt 0x400
	v_mul_f64_e32 v[146:147], v[140:141], v[154:155]
	v_add_f64_e32 v[134:135], v[160:161], v[158:159]
	v_add_f64_e32 v[144:145], v[148:149], v[180:181]
	v_mul_f64_e32 v[148:149], v[142:143], v[154:155]
	v_fmac_f64_e32 v[150:151], v[6:7], v[168:169]
	v_fma_f64 v[154:155], v[4:5], v[168:169], -v[162:163]
	v_fmac_f64_e32 v[146:147], v[142:143], v[152:153]
	v_add_f64_e32 v[158:159], v[134:135], v[132:133]
	v_add_f64_e32 v[144:145], v[144:145], v[156:157]
	ds_load_b128 v[4:7], v2 offset:1824
	ds_load_b128 v[132:135], v2 offset:1840
	v_fma_f64 v[140:141], v[140:141], v[152:153], -v[148:149]
	s_wait_loadcnt_dscnt 0x301
	v_mul_f64_e32 v[156:157], v[4:5], v[186:187]
	v_mul_f64_e32 v[160:161], v[6:7], v[186:187]
	s_wait_loadcnt_dscnt 0x200
	v_mul_f64_e32 v[148:149], v[132:133], v[12:13]
	v_mul_f64_e32 v[12:13], v[134:135], v[12:13]
	v_add_f64_e32 v[142:143], v[158:159], v[154:155]
	v_add_f64_e32 v[144:145], v[144:145], v[150:151]
	v_fmac_f64_e32 v[156:157], v[6:7], v[184:185]
	v_fma_f64 v[150:151], v[4:5], v[184:185], -v[160:161]
	v_fmac_f64_e32 v[148:149], v[134:135], v[10:11]
	v_fma_f64 v[10:11], v[132:133], v[10:11], -v[12:13]
	v_add_f64_e32 v[152:153], v[142:143], v[140:141]
	v_add_f64_e32 v[144:145], v[144:145], v[146:147]
	ds_load_b128 v[4:7], v2 offset:1856
	ds_load_b128 v[140:143], v2 offset:1872
	s_wait_loadcnt_dscnt 0x101
	v_mul_f64_e32 v[2:3], v[4:5], v[174:175]
	v_mul_f64_e32 v[146:147], v[6:7], v[174:175]
	s_wait_loadcnt_dscnt 0x0
	v_mul_f64_e32 v[134:135], v[140:141], v[138:139]
	v_mul_f64_e32 v[138:139], v[142:143], v[138:139]
	v_add_f64_e32 v[12:13], v[152:153], v[150:151]
	v_add_f64_e32 v[132:133], v[144:145], v[156:157]
	v_fmac_f64_e32 v[2:3], v[6:7], v[172:173]
	v_fma_f64 v[4:5], v[4:5], v[172:173], -v[146:147]
	v_fmac_f64_e32 v[134:135], v[142:143], v[136:137]
	v_add_f64_e32 v[6:7], v[12:13], v[10:11]
	v_add_f64_e32 v[10:11], v[132:133], v[148:149]
	v_fma_f64 v[12:13], v[140:141], v[136:137], -v[138:139]
	s_delay_alu instid0(VALU_DEP_3) | instskip(NEXT) | instid1(VALU_DEP_3)
	v_add_f64_e32 v[4:5], v[6:7], v[4:5]
	v_add_f64_e32 v[2:3], v[10:11], v[2:3]
	s_delay_alu instid0(VALU_DEP_2) | instskip(NEXT) | instid1(VALU_DEP_2)
	v_add_f64_e32 v[4:5], v[4:5], v[12:13]
	v_add_f64_e32 v[6:7], v[2:3], v[134:135]
	s_delay_alu instid0(VALU_DEP_2) | instskip(NEXT) | instid1(VALU_DEP_2)
	v_add_f64_e64 v[2:3], v[176:177], -v[4:5]
	v_add_f64_e64 v[4:5], v[178:179], -v[6:7]
	scratch_store_b128 off, v[2:5], off offset:288
	s_wait_xcnt 0x0
	v_cmpx_lt_u32_e32 17, v1
	s_cbranch_execz .LBB122_333
; %bb.332:
	scratch_load_b128 v[2:5], off, s58
	v_mov_b32_e32 v10, 0
	s_delay_alu instid0(VALU_DEP_1)
	v_dual_mov_b32 v11, v10 :: v_dual_mov_b32 v12, v10
	v_mov_b32_e32 v13, v10
	scratch_store_b128 off, v[10:13], off offset:272
	s_wait_loadcnt 0x0
	ds_store_b128 v8, v[2:5]
.LBB122_333:
	s_wait_xcnt 0x0
	s_or_b32 exec_lo, exec_lo, s2
	s_wait_storecnt_dscnt 0x0
	s_barrier_signal -1
	s_barrier_wait -1
	s_clause 0x9
	scratch_load_b128 v[4:7], off, off offset:288
	scratch_load_b128 v[10:13], off, off offset:304
	;; [unrolled: 1-line block ×10, first 2 shown]
	v_mov_b32_e32 v2, 0
	s_mov_b32 s2, exec_lo
	ds_load_b128 v[164:167], v2 offset:1232
	s_clause 0x2
	scratch_load_b128 v[168:171], off, off offset:448
	scratch_load_b128 v[172:175], off, off offset:272
	;; [unrolled: 1-line block ×3, first 2 shown]
	s_wait_loadcnt_dscnt 0xc00
	v_mul_f64_e32 v[184:185], v[166:167], v[6:7]
	v_mul_f64_e32 v[188:189], v[164:165], v[6:7]
	ds_load_b128 v[176:179], v2 offset:1248
	v_fma_f64 v[192:193], v[164:165], v[4:5], -v[184:185]
	v_fmac_f64_e32 v[188:189], v[166:167], v[4:5]
	ds_load_b128 v[4:7], v2 offset:1264
	s_wait_loadcnt_dscnt 0xb01
	v_mul_f64_e32 v[190:191], v[176:177], v[12:13]
	v_mul_f64_e32 v[12:13], v[178:179], v[12:13]
	scratch_load_b128 v[164:167], off, off offset:480
	ds_load_b128 v[184:187], v2 offset:1280
	s_wait_loadcnt_dscnt 0xb01
	v_mul_f64_e32 v[194:195], v[4:5], v[134:135]
	v_mul_f64_e32 v[134:135], v[6:7], v[134:135]
	v_add_f64_e32 v[188:189], 0, v[188:189]
	v_fmac_f64_e32 v[190:191], v[178:179], v[10:11]
	v_fma_f64 v[176:177], v[176:177], v[10:11], -v[12:13]
	v_add_f64_e32 v[178:179], 0, v[192:193]
	scratch_load_b128 v[10:13], off, off offset:496
	v_fmac_f64_e32 v[194:195], v[6:7], v[132:133]
	v_fma_f64 v[196:197], v[4:5], v[132:133], -v[134:135]
	ds_load_b128 v[4:7], v2 offset:1296
	s_wait_loadcnt_dscnt 0xb01
	v_mul_f64_e32 v[192:193], v[184:185], v[138:139]
	v_mul_f64_e32 v[138:139], v[186:187], v[138:139]
	scratch_load_b128 v[132:135], off, off offset:512
	v_add_f64_e32 v[188:189], v[188:189], v[190:191]
	v_add_f64_e32 v[198:199], v[178:179], v[176:177]
	ds_load_b128 v[176:179], v2 offset:1312
	s_wait_loadcnt_dscnt 0xb01
	v_mul_f64_e32 v[190:191], v[4:5], v[142:143]
	v_mul_f64_e32 v[142:143], v[6:7], v[142:143]
	v_fmac_f64_e32 v[192:193], v[186:187], v[136:137]
	v_fma_f64 v[184:185], v[184:185], v[136:137], -v[138:139]
	scratch_load_b128 v[136:139], off, off offset:528
	v_add_f64_e32 v[188:189], v[188:189], v[194:195]
	v_add_f64_e32 v[186:187], v[198:199], v[196:197]
	v_fmac_f64_e32 v[190:191], v[6:7], v[140:141]
	v_fma_f64 v[196:197], v[4:5], v[140:141], -v[142:143]
	ds_load_b128 v[4:7], v2 offset:1328
	s_wait_loadcnt_dscnt 0xb01
	v_mul_f64_e32 v[194:195], v[176:177], v[146:147]
	v_mul_f64_e32 v[146:147], v[178:179], v[146:147]
	scratch_load_b128 v[140:143], off, off offset:544
	v_add_f64_e32 v[188:189], v[188:189], v[192:193]
	s_wait_loadcnt_dscnt 0xb00
	v_mul_f64_e32 v[192:193], v[4:5], v[150:151]
	v_add_f64_e32 v[198:199], v[186:187], v[184:185]
	v_mul_f64_e32 v[150:151], v[6:7], v[150:151]
	ds_load_b128 v[184:187], v2 offset:1344
	v_fmac_f64_e32 v[194:195], v[178:179], v[144:145]
	v_fma_f64 v[176:177], v[176:177], v[144:145], -v[146:147]
	scratch_load_b128 v[144:147], off, off offset:560
	v_add_f64_e32 v[188:189], v[188:189], v[190:191]
	v_fmac_f64_e32 v[192:193], v[6:7], v[148:149]
	v_add_f64_e32 v[178:179], v[198:199], v[196:197]
	v_fma_f64 v[196:197], v[4:5], v[148:149], -v[150:151]
	ds_load_b128 v[4:7], v2 offset:1360
	s_wait_loadcnt_dscnt 0xb01
	v_mul_f64_e32 v[190:191], v[184:185], v[154:155]
	v_mul_f64_e32 v[154:155], v[186:187], v[154:155]
	scratch_load_b128 v[148:151], off, off offset:576
	v_add_f64_e32 v[188:189], v[188:189], v[194:195]
	s_wait_loadcnt_dscnt 0xb00
	v_mul_f64_e32 v[194:195], v[4:5], v[158:159]
	v_add_f64_e32 v[198:199], v[178:179], v[176:177]
	v_mul_f64_e32 v[158:159], v[6:7], v[158:159]
	ds_load_b128 v[176:179], v2 offset:1376
	v_fmac_f64_e32 v[190:191], v[186:187], v[152:153]
	v_fma_f64 v[184:185], v[184:185], v[152:153], -v[154:155]
	scratch_load_b128 v[152:155], off, off offset:592
	v_add_f64_e32 v[188:189], v[188:189], v[192:193]
	v_fmac_f64_e32 v[194:195], v[6:7], v[156:157]
	v_add_f64_e32 v[186:187], v[198:199], v[196:197]
	;; [unrolled: 18-line block ×3, first 2 shown]
	v_fma_f64 v[196:197], v[4:5], v[168:169], -v[170:171]
	ds_load_b128 v[4:7], v2 offset:1424
	s_wait_loadcnt_dscnt 0xa01
	v_mul_f64_e32 v[194:195], v[184:185], v[182:183]
	v_mul_f64_e32 v[182:183], v[186:187], v[182:183]
	scratch_load_b128 v[168:171], off, off offset:640
	v_add_f64_e32 v[188:189], v[188:189], v[192:193]
	v_add_f64_e32 v[198:199], v[178:179], v[176:177]
	s_wait_loadcnt_dscnt 0xa00
	v_mul_f64_e32 v[192:193], v[4:5], v[166:167]
	v_mul_f64_e32 v[166:167], v[6:7], v[166:167]
	v_fmac_f64_e32 v[194:195], v[186:187], v[180:181]
	v_fma_f64 v[184:185], v[184:185], v[180:181], -v[182:183]
	ds_load_b128 v[176:179], v2 offset:1440
	scratch_load_b128 v[180:183], off, off offset:656
	v_add_f64_e32 v[188:189], v[188:189], v[190:191]
	v_add_f64_e32 v[186:187], v[198:199], v[196:197]
	v_fmac_f64_e32 v[192:193], v[6:7], v[164:165]
	v_fma_f64 v[196:197], v[4:5], v[164:165], -v[166:167]
	ds_load_b128 v[4:7], v2 offset:1456
	s_wait_loadcnt_dscnt 0xa01
	v_mul_f64_e32 v[190:191], v[176:177], v[12:13]
	v_mul_f64_e32 v[12:13], v[178:179], v[12:13]
	scratch_load_b128 v[164:167], off, off offset:672
	v_add_f64_e32 v[188:189], v[188:189], v[194:195]
	s_wait_loadcnt_dscnt 0xa00
	v_mul_f64_e32 v[194:195], v[4:5], v[134:135]
	v_add_f64_e32 v[198:199], v[186:187], v[184:185]
	v_mul_f64_e32 v[134:135], v[6:7], v[134:135]
	ds_load_b128 v[184:187], v2 offset:1472
	v_fmac_f64_e32 v[190:191], v[178:179], v[10:11]
	v_fma_f64 v[176:177], v[176:177], v[10:11], -v[12:13]
	scratch_load_b128 v[10:13], off, off offset:688
	v_add_f64_e32 v[188:189], v[188:189], v[192:193]
	v_fmac_f64_e32 v[194:195], v[6:7], v[132:133]
	v_add_f64_e32 v[178:179], v[198:199], v[196:197]
	v_fma_f64 v[196:197], v[4:5], v[132:133], -v[134:135]
	ds_load_b128 v[4:7], v2 offset:1488
	s_wait_loadcnt_dscnt 0xa01
	v_mul_f64_e32 v[192:193], v[184:185], v[138:139]
	v_mul_f64_e32 v[138:139], v[186:187], v[138:139]
	scratch_load_b128 v[132:135], off, off offset:704
	v_add_f64_e32 v[188:189], v[188:189], v[190:191]
	s_wait_loadcnt_dscnt 0xa00
	v_mul_f64_e32 v[190:191], v[4:5], v[142:143]
	v_add_f64_e32 v[198:199], v[178:179], v[176:177]
	v_mul_f64_e32 v[142:143], v[6:7], v[142:143]
	ds_load_b128 v[176:179], v2 offset:1504
	v_fmac_f64_e32 v[192:193], v[186:187], v[136:137]
	v_fma_f64 v[184:185], v[184:185], v[136:137], -v[138:139]
	scratch_load_b128 v[136:139], off, off offset:720
	v_add_f64_e32 v[188:189], v[188:189], v[194:195]
	v_fmac_f64_e32 v[190:191], v[6:7], v[140:141]
	v_add_f64_e32 v[186:187], v[198:199], v[196:197]
	v_fma_f64 v[196:197], v[4:5], v[140:141], -v[142:143]
	ds_load_b128 v[4:7], v2 offset:1520
	s_wait_loadcnt_dscnt 0xa01
	v_mul_f64_e32 v[194:195], v[176:177], v[146:147]
	v_mul_f64_e32 v[146:147], v[178:179], v[146:147]
	scratch_load_b128 v[140:143], off, off offset:736
	v_add_f64_e32 v[188:189], v[188:189], v[192:193]
	s_wait_loadcnt_dscnt 0xa00
	v_mul_f64_e32 v[192:193], v[4:5], v[150:151]
	v_add_f64_e32 v[198:199], v[186:187], v[184:185]
	v_mul_f64_e32 v[150:151], v[6:7], v[150:151]
	ds_load_b128 v[184:187], v2 offset:1536
	v_fmac_f64_e32 v[194:195], v[178:179], v[144:145]
	v_fma_f64 v[176:177], v[176:177], v[144:145], -v[146:147]
	scratch_load_b128 v[144:147], off, off offset:752
	v_add_f64_e32 v[188:189], v[188:189], v[190:191]
	v_fmac_f64_e32 v[192:193], v[6:7], v[148:149]
	v_add_f64_e32 v[178:179], v[198:199], v[196:197]
	v_fma_f64 v[196:197], v[4:5], v[148:149], -v[150:151]
	ds_load_b128 v[4:7], v2 offset:1552
	s_wait_loadcnt_dscnt 0xa01
	v_mul_f64_e32 v[190:191], v[184:185], v[154:155]
	v_mul_f64_e32 v[154:155], v[186:187], v[154:155]
	scratch_load_b128 v[148:151], off, off offset:768
	v_add_f64_e32 v[188:189], v[188:189], v[194:195]
	s_wait_loadcnt_dscnt 0xa00
	v_mul_f64_e32 v[194:195], v[4:5], v[158:159]
	v_add_f64_e32 v[198:199], v[178:179], v[176:177]
	v_mul_f64_e32 v[158:159], v[6:7], v[158:159]
	ds_load_b128 v[176:179], v2 offset:1568
	v_fmac_f64_e32 v[190:191], v[186:187], v[152:153]
	v_fma_f64 v[184:185], v[184:185], v[152:153], -v[154:155]
	scratch_load_b128 v[152:155], off, off offset:784
	v_add_f64_e32 v[188:189], v[188:189], v[192:193]
	v_fmac_f64_e32 v[194:195], v[6:7], v[156:157]
	v_add_f64_e32 v[186:187], v[198:199], v[196:197]
	v_fma_f64 v[196:197], v[4:5], v[156:157], -v[158:159]
	ds_load_b128 v[4:7], v2 offset:1584
	s_wait_loadcnt_dscnt 0xa01
	v_mul_f64_e32 v[192:193], v[176:177], v[162:163]
	v_mul_f64_e32 v[162:163], v[178:179], v[162:163]
	scratch_load_b128 v[156:159], off, off offset:800
	v_add_f64_e32 v[188:189], v[188:189], v[190:191]
	s_wait_loadcnt_dscnt 0xa00
	v_mul_f64_e32 v[190:191], v[4:5], v[170:171]
	v_add_f64_e32 v[198:199], v[186:187], v[184:185]
	v_mul_f64_e32 v[170:171], v[6:7], v[170:171]
	ds_load_b128 v[184:187], v2 offset:1600
	v_fmac_f64_e32 v[192:193], v[178:179], v[160:161]
	v_fma_f64 v[176:177], v[176:177], v[160:161], -v[162:163]
	scratch_load_b128 v[160:163], off, off offset:816
	v_add_f64_e32 v[188:189], v[188:189], v[194:195]
	v_fmac_f64_e32 v[190:191], v[6:7], v[168:169]
	v_add_f64_e32 v[178:179], v[198:199], v[196:197]
	v_fma_f64 v[196:197], v[4:5], v[168:169], -v[170:171]
	ds_load_b128 v[4:7], v2 offset:1616
	s_wait_loadcnt_dscnt 0xa01
	v_mul_f64_e32 v[194:195], v[184:185], v[182:183]
	v_mul_f64_e32 v[182:183], v[186:187], v[182:183]
	scratch_load_b128 v[168:171], off, off offset:832
	v_add_f64_e32 v[188:189], v[188:189], v[192:193]
	s_wait_loadcnt_dscnt 0xa00
	v_mul_f64_e32 v[192:193], v[4:5], v[166:167]
	v_add_f64_e32 v[198:199], v[178:179], v[176:177]
	v_mul_f64_e32 v[166:167], v[6:7], v[166:167]
	ds_load_b128 v[176:179], v2 offset:1632
	v_fmac_f64_e32 v[194:195], v[186:187], v[180:181]
	v_fma_f64 v[184:185], v[184:185], v[180:181], -v[182:183]
	scratch_load_b128 v[180:183], off, off offset:848
	v_add_f64_e32 v[188:189], v[188:189], v[190:191]
	v_fmac_f64_e32 v[192:193], v[6:7], v[164:165]
	v_add_f64_e32 v[186:187], v[198:199], v[196:197]
	v_fma_f64 v[196:197], v[4:5], v[164:165], -v[166:167]
	ds_load_b128 v[4:7], v2 offset:1648
	s_wait_loadcnt_dscnt 0xa01
	v_mul_f64_e32 v[190:191], v[176:177], v[12:13]
	v_mul_f64_e32 v[12:13], v[178:179], v[12:13]
	scratch_load_b128 v[164:167], off, off offset:864
	v_add_f64_e32 v[188:189], v[188:189], v[194:195]
	s_wait_loadcnt_dscnt 0xa00
	v_mul_f64_e32 v[194:195], v[4:5], v[134:135]
	v_add_f64_e32 v[198:199], v[186:187], v[184:185]
	v_mul_f64_e32 v[134:135], v[6:7], v[134:135]
	ds_load_b128 v[184:187], v2 offset:1664
	v_fmac_f64_e32 v[190:191], v[178:179], v[10:11]
	v_fma_f64 v[176:177], v[176:177], v[10:11], -v[12:13]
	scratch_load_b128 v[10:13], off, off offset:880
	v_add_f64_e32 v[188:189], v[188:189], v[192:193]
	v_fmac_f64_e32 v[194:195], v[6:7], v[132:133]
	v_add_f64_e32 v[178:179], v[198:199], v[196:197]
	v_fma_f64 v[196:197], v[4:5], v[132:133], -v[134:135]
	ds_load_b128 v[4:7], v2 offset:1680
	s_wait_loadcnt_dscnt 0xa01
	v_mul_f64_e32 v[192:193], v[184:185], v[138:139]
	v_mul_f64_e32 v[138:139], v[186:187], v[138:139]
	scratch_load_b128 v[132:135], off, off offset:896
	v_add_f64_e32 v[188:189], v[188:189], v[190:191]
	s_wait_loadcnt_dscnt 0xa00
	v_mul_f64_e32 v[190:191], v[4:5], v[142:143]
	v_add_f64_e32 v[198:199], v[178:179], v[176:177]
	v_mul_f64_e32 v[142:143], v[6:7], v[142:143]
	ds_load_b128 v[176:179], v2 offset:1696
	v_fmac_f64_e32 v[192:193], v[186:187], v[136:137]
	v_fma_f64 v[184:185], v[184:185], v[136:137], -v[138:139]
	scratch_load_b128 v[136:139], off, off offset:912
	v_add_f64_e32 v[188:189], v[188:189], v[194:195]
	v_fmac_f64_e32 v[190:191], v[6:7], v[140:141]
	v_add_f64_e32 v[186:187], v[198:199], v[196:197]
	v_fma_f64 v[196:197], v[4:5], v[140:141], -v[142:143]
	ds_load_b128 v[4:7], v2 offset:1712
	s_wait_loadcnt_dscnt 0xa01
	v_mul_f64_e32 v[194:195], v[176:177], v[146:147]
	v_mul_f64_e32 v[146:147], v[178:179], v[146:147]
	scratch_load_b128 v[140:143], off, off offset:928
	v_add_f64_e32 v[188:189], v[188:189], v[192:193]
	s_wait_loadcnt_dscnt 0xa00
	v_mul_f64_e32 v[192:193], v[4:5], v[150:151]
	v_add_f64_e32 v[198:199], v[186:187], v[184:185]
	v_mul_f64_e32 v[150:151], v[6:7], v[150:151]
	ds_load_b128 v[184:187], v2 offset:1728
	v_fmac_f64_e32 v[194:195], v[178:179], v[144:145]
	v_fma_f64 v[144:145], v[176:177], v[144:145], -v[146:147]
	s_wait_loadcnt_dscnt 0x900
	v_mul_f64_e32 v[178:179], v[184:185], v[154:155]
	v_mul_f64_e32 v[154:155], v[186:187], v[154:155]
	v_add_f64_e32 v[176:177], v[188:189], v[190:191]
	v_fmac_f64_e32 v[192:193], v[6:7], v[148:149]
	v_add_f64_e32 v[146:147], v[198:199], v[196:197]
	v_fma_f64 v[148:149], v[4:5], v[148:149], -v[150:151]
	v_fmac_f64_e32 v[178:179], v[186:187], v[152:153]
	v_fma_f64 v[152:153], v[184:185], v[152:153], -v[154:155]
	v_add_f64_e32 v[176:177], v[176:177], v[194:195]
	v_add_f64_e32 v[150:151], v[146:147], v[144:145]
	ds_load_b128 v[4:7], v2 offset:1744
	ds_load_b128 v[144:147], v2 offset:1760
	s_wait_loadcnt_dscnt 0x801
	v_mul_f64_e32 v[188:189], v[4:5], v[158:159]
	v_mul_f64_e32 v[158:159], v[6:7], v[158:159]
	s_wait_loadcnt_dscnt 0x700
	v_mul_f64_e32 v[154:155], v[144:145], v[162:163]
	v_mul_f64_e32 v[162:163], v[146:147], v[162:163]
	v_add_f64_e32 v[148:149], v[150:151], v[148:149]
	v_add_f64_e32 v[150:151], v[176:177], v[192:193]
	v_fmac_f64_e32 v[188:189], v[6:7], v[156:157]
	v_fma_f64 v[156:157], v[4:5], v[156:157], -v[158:159]
	v_fmac_f64_e32 v[154:155], v[146:147], v[160:161]
	v_fma_f64 v[144:145], v[144:145], v[160:161], -v[162:163]
	v_add_f64_e32 v[152:153], v[148:149], v[152:153]
	v_add_f64_e32 v[158:159], v[150:151], v[178:179]
	ds_load_b128 v[4:7], v2 offset:1776
	ds_load_b128 v[148:151], v2 offset:1792
	s_wait_loadcnt_dscnt 0x601
	v_mul_f64_e32 v[176:177], v[4:5], v[170:171]
	v_mul_f64_e32 v[170:171], v[6:7], v[170:171]
	v_add_f64_e32 v[146:147], v[152:153], v[156:157]
	v_add_f64_e32 v[152:153], v[158:159], v[188:189]
	s_wait_loadcnt_dscnt 0x500
	v_mul_f64_e32 v[156:157], v[148:149], v[182:183]
	v_mul_f64_e32 v[158:159], v[150:151], v[182:183]
	v_fmac_f64_e32 v[176:177], v[6:7], v[168:169]
	v_fma_f64 v[160:161], v[4:5], v[168:169], -v[170:171]
	v_add_f64_e32 v[162:163], v[146:147], v[144:145]
	v_add_f64_e32 v[152:153], v[152:153], v[154:155]
	ds_load_b128 v[4:7], v2 offset:1808
	ds_load_b128 v[144:147], v2 offset:1824
	v_fmac_f64_e32 v[156:157], v[150:151], v[180:181]
	v_fma_f64 v[148:149], v[148:149], v[180:181], -v[158:159]
	s_wait_loadcnt_dscnt 0x401
	v_mul_f64_e32 v[154:155], v[4:5], v[166:167]
	v_mul_f64_e32 v[166:167], v[6:7], v[166:167]
	s_wait_loadcnt_dscnt 0x300
	v_mul_f64_e32 v[158:159], v[144:145], v[12:13]
	v_mul_f64_e32 v[12:13], v[146:147], v[12:13]
	v_add_f64_e32 v[150:151], v[162:163], v[160:161]
	v_add_f64_e32 v[152:153], v[152:153], v[176:177]
	v_fmac_f64_e32 v[154:155], v[6:7], v[164:165]
	v_fma_f64 v[160:161], v[4:5], v[164:165], -v[166:167]
	v_fmac_f64_e32 v[158:159], v[146:147], v[10:11]
	v_fma_f64 v[10:11], v[144:145], v[10:11], -v[12:13]
	v_add_f64_e32 v[162:163], v[150:151], v[148:149]
	v_add_f64_e32 v[152:153], v[152:153], v[156:157]
	ds_load_b128 v[4:7], v2 offset:1840
	ds_load_b128 v[148:151], v2 offset:1856
	s_wait_loadcnt_dscnt 0x201
	v_mul_f64_e32 v[156:157], v[4:5], v[134:135]
	v_mul_f64_e32 v[134:135], v[6:7], v[134:135]
	s_wait_loadcnt_dscnt 0x100
	v_mul_f64_e32 v[146:147], v[148:149], v[138:139]
	v_mul_f64_e32 v[138:139], v[150:151], v[138:139]
	v_add_f64_e32 v[12:13], v[162:163], v[160:161]
	v_add_f64_e32 v[144:145], v[152:153], v[154:155]
	v_fmac_f64_e32 v[156:157], v[6:7], v[132:133]
	v_fma_f64 v[132:133], v[4:5], v[132:133], -v[134:135]
	ds_load_b128 v[4:7], v2 offset:1872
	v_fmac_f64_e32 v[146:147], v[150:151], v[136:137]
	v_fma_f64 v[136:137], v[148:149], v[136:137], -v[138:139]
	v_add_f64_e32 v[10:11], v[12:13], v[10:11]
	v_add_f64_e32 v[12:13], v[144:145], v[158:159]
	s_wait_loadcnt_dscnt 0x0
	v_mul_f64_e32 v[134:135], v[4:5], v[142:143]
	v_mul_f64_e32 v[142:143], v[6:7], v[142:143]
	s_delay_alu instid0(VALU_DEP_4) | instskip(NEXT) | instid1(VALU_DEP_4)
	v_add_f64_e32 v[10:11], v[10:11], v[132:133]
	v_add_f64_e32 v[12:13], v[12:13], v[156:157]
	s_delay_alu instid0(VALU_DEP_4) | instskip(NEXT) | instid1(VALU_DEP_4)
	v_fmac_f64_e32 v[134:135], v[6:7], v[140:141]
	v_fma_f64 v[4:5], v[4:5], v[140:141], -v[142:143]
	s_delay_alu instid0(VALU_DEP_4) | instskip(NEXT) | instid1(VALU_DEP_4)
	v_add_f64_e32 v[6:7], v[10:11], v[136:137]
	v_add_f64_e32 v[10:11], v[12:13], v[146:147]
	s_delay_alu instid0(VALU_DEP_2) | instskip(NEXT) | instid1(VALU_DEP_2)
	v_add_f64_e32 v[4:5], v[6:7], v[4:5]
	v_add_f64_e32 v[6:7], v[10:11], v[134:135]
	s_delay_alu instid0(VALU_DEP_2) | instskip(NEXT) | instid1(VALU_DEP_2)
	v_add_f64_e64 v[4:5], v[172:173], -v[4:5]
	v_add_f64_e64 v[6:7], v[174:175], -v[6:7]
	scratch_store_b128 off, v[4:7], off offset:272
	s_wait_xcnt 0x0
	v_cmpx_lt_u32_e32 16, v1
	s_cbranch_execz .LBB122_335
; %bb.334:
	scratch_load_b128 v[10:13], off, s59
	v_dual_mov_b32 v3, v2 :: v_dual_mov_b32 v4, v2
	v_mov_b32_e32 v5, v2
	scratch_store_b128 off, v[2:5], off offset:256
	s_wait_loadcnt 0x0
	ds_store_b128 v8, v[10:13]
.LBB122_335:
	s_wait_xcnt 0x0
	s_or_b32 exec_lo, exec_lo, s2
	s_wait_storecnt_dscnt 0x0
	s_barrier_signal -1
	s_barrier_wait -1
	s_clause 0x9
	scratch_load_b128 v[4:7], off, off offset:272
	scratch_load_b128 v[10:13], off, off offset:288
	;; [unrolled: 1-line block ×10, first 2 shown]
	ds_load_b128 v[164:167], v2 offset:1216
	ds_load_b128 v[172:175], v2 offset:1232
	s_clause 0x2
	scratch_load_b128 v[168:171], off, off offset:432
	scratch_load_b128 v[176:179], off, off offset:256
	;; [unrolled: 1-line block ×3, first 2 shown]
	s_mov_b32 s2, exec_lo
	s_wait_loadcnt_dscnt 0xc01
	v_mul_f64_e32 v[184:185], v[166:167], v[6:7]
	v_mul_f64_e32 v[188:189], v[164:165], v[6:7]
	s_wait_loadcnt_dscnt 0xb00
	v_mul_f64_e32 v[190:191], v[172:173], v[12:13]
	v_mul_f64_e32 v[12:13], v[174:175], v[12:13]
	s_delay_alu instid0(VALU_DEP_4) | instskip(NEXT) | instid1(VALU_DEP_4)
	v_fma_f64 v[192:193], v[164:165], v[4:5], -v[184:185]
	v_fmac_f64_e32 v[188:189], v[166:167], v[4:5]
	ds_load_b128 v[4:7], v2 offset:1248
	ds_load_b128 v[164:167], v2 offset:1264
	scratch_load_b128 v[184:187], off, off offset:464
	v_fmac_f64_e32 v[190:191], v[174:175], v[10:11]
	v_fma_f64 v[172:173], v[172:173], v[10:11], -v[12:13]
	scratch_load_b128 v[10:13], off, off offset:480
	s_wait_loadcnt_dscnt 0xc01
	v_mul_f64_e32 v[194:195], v[4:5], v[134:135]
	v_mul_f64_e32 v[134:135], v[6:7], v[134:135]
	v_add_f64_e32 v[174:175], 0, v[192:193]
	v_add_f64_e32 v[188:189], 0, v[188:189]
	s_wait_loadcnt_dscnt 0xb00
	v_mul_f64_e32 v[192:193], v[164:165], v[138:139]
	v_mul_f64_e32 v[138:139], v[166:167], v[138:139]
	v_fmac_f64_e32 v[194:195], v[6:7], v[132:133]
	v_fma_f64 v[196:197], v[4:5], v[132:133], -v[134:135]
	ds_load_b128 v[4:7], v2 offset:1280
	ds_load_b128 v[132:135], v2 offset:1296
	v_add_f64_e32 v[198:199], v[174:175], v[172:173]
	v_add_f64_e32 v[188:189], v[188:189], v[190:191]
	scratch_load_b128 v[172:175], off, off offset:496
	v_fmac_f64_e32 v[192:193], v[166:167], v[136:137]
	v_fma_f64 v[164:165], v[164:165], v[136:137], -v[138:139]
	scratch_load_b128 v[136:139], off, off offset:512
	s_wait_loadcnt_dscnt 0xc01
	v_mul_f64_e32 v[190:191], v[4:5], v[142:143]
	v_mul_f64_e32 v[142:143], v[6:7], v[142:143]
	v_add_f64_e32 v[166:167], v[198:199], v[196:197]
	v_add_f64_e32 v[188:189], v[188:189], v[194:195]
	s_wait_loadcnt_dscnt 0xb00
	v_mul_f64_e32 v[194:195], v[132:133], v[146:147]
	v_mul_f64_e32 v[146:147], v[134:135], v[146:147]
	v_fmac_f64_e32 v[190:191], v[6:7], v[140:141]
	v_fma_f64 v[196:197], v[4:5], v[140:141], -v[142:143]
	ds_load_b128 v[4:7], v2 offset:1312
	ds_load_b128 v[140:143], v2 offset:1328
	v_add_f64_e32 v[198:199], v[166:167], v[164:165]
	v_add_f64_e32 v[188:189], v[188:189], v[192:193]
	scratch_load_b128 v[164:167], off, off offset:528
	s_wait_loadcnt_dscnt 0xb01
	v_mul_f64_e32 v[192:193], v[4:5], v[150:151]
	v_mul_f64_e32 v[150:151], v[6:7], v[150:151]
	v_fmac_f64_e32 v[194:195], v[134:135], v[144:145]
	v_fma_f64 v[144:145], v[132:133], v[144:145], -v[146:147]
	scratch_load_b128 v[132:135], off, off offset:544
	v_add_f64_e32 v[146:147], v[198:199], v[196:197]
	v_add_f64_e32 v[188:189], v[188:189], v[190:191]
	s_wait_loadcnt_dscnt 0xb00
	v_mul_f64_e32 v[190:191], v[140:141], v[154:155]
	v_mul_f64_e32 v[154:155], v[142:143], v[154:155]
	v_fmac_f64_e32 v[192:193], v[6:7], v[148:149]
	v_fma_f64 v[196:197], v[4:5], v[148:149], -v[150:151]
	v_add_f64_e32 v[198:199], v[146:147], v[144:145]
	v_add_f64_e32 v[188:189], v[188:189], v[194:195]
	ds_load_b128 v[4:7], v2 offset:1344
	ds_load_b128 v[144:147], v2 offset:1360
	scratch_load_b128 v[148:151], off, off offset:560
	v_fmac_f64_e32 v[190:191], v[142:143], v[152:153]
	v_fma_f64 v[152:153], v[140:141], v[152:153], -v[154:155]
	scratch_load_b128 v[140:143], off, off offset:576
	s_wait_loadcnt_dscnt 0xc01
	v_mul_f64_e32 v[194:195], v[4:5], v[158:159]
	v_mul_f64_e32 v[158:159], v[6:7], v[158:159]
	v_add_f64_e32 v[154:155], v[198:199], v[196:197]
	v_add_f64_e32 v[188:189], v[188:189], v[192:193]
	s_wait_loadcnt_dscnt 0xb00
	v_mul_f64_e32 v[192:193], v[144:145], v[162:163]
	v_mul_f64_e32 v[162:163], v[146:147], v[162:163]
	v_fmac_f64_e32 v[194:195], v[6:7], v[156:157]
	v_fma_f64 v[196:197], v[4:5], v[156:157], -v[158:159]
	v_add_f64_e32 v[198:199], v[154:155], v[152:153]
	v_add_f64_e32 v[188:189], v[188:189], v[190:191]
	ds_load_b128 v[4:7], v2 offset:1376
	ds_load_b128 v[152:155], v2 offset:1392
	scratch_load_b128 v[156:159], off, off offset:592
	v_fmac_f64_e32 v[192:193], v[146:147], v[160:161]
	v_fma_f64 v[160:161], v[144:145], v[160:161], -v[162:163]
	scratch_load_b128 v[144:147], off, off offset:608
	s_wait_loadcnt_dscnt 0xc01
	v_mul_f64_e32 v[190:191], v[4:5], v[170:171]
	v_mul_f64_e32 v[170:171], v[6:7], v[170:171]
	;; [unrolled: 18-line block ×5, first 2 shown]
	v_add_f64_e32 v[182:183], v[198:199], v[196:197]
	v_add_f64_e32 v[188:189], v[188:189], v[194:195]
	s_wait_loadcnt_dscnt 0xa00
	v_mul_f64_e32 v[194:195], v[160:161], v[134:135]
	v_mul_f64_e32 v[134:135], v[162:163], v[134:135]
	v_fmac_f64_e32 v[190:191], v[6:7], v[164:165]
	v_fma_f64 v[196:197], v[4:5], v[164:165], -v[166:167]
	ds_load_b128 v[4:7], v2 offset:1504
	ds_load_b128 v[164:167], v2 offset:1520
	v_add_f64_e32 v[198:199], v[182:183], v[180:181]
	v_add_f64_e32 v[188:189], v[188:189], v[192:193]
	scratch_load_b128 v[180:183], off, off offset:720
	v_fmac_f64_e32 v[194:195], v[162:163], v[132:133]
	v_fma_f64 v[160:161], v[160:161], v[132:133], -v[134:135]
	scratch_load_b128 v[132:135], off, off offset:736
	s_wait_loadcnt_dscnt 0xb01
	v_mul_f64_e32 v[192:193], v[4:5], v[150:151]
	v_mul_f64_e32 v[150:151], v[6:7], v[150:151]
	v_add_f64_e32 v[162:163], v[198:199], v[196:197]
	v_add_f64_e32 v[188:189], v[188:189], v[190:191]
	s_wait_loadcnt_dscnt 0xa00
	v_mul_f64_e32 v[190:191], v[164:165], v[142:143]
	v_mul_f64_e32 v[142:143], v[166:167], v[142:143]
	v_fmac_f64_e32 v[192:193], v[6:7], v[148:149]
	v_fma_f64 v[196:197], v[4:5], v[148:149], -v[150:151]
	ds_load_b128 v[4:7], v2 offset:1536
	ds_load_b128 v[148:151], v2 offset:1552
	v_add_f64_e32 v[198:199], v[162:163], v[160:161]
	v_add_f64_e32 v[188:189], v[188:189], v[194:195]
	scratch_load_b128 v[160:163], off, off offset:752
	s_wait_loadcnt_dscnt 0xa01
	v_mul_f64_e32 v[194:195], v[4:5], v[158:159]
	v_mul_f64_e32 v[158:159], v[6:7], v[158:159]
	v_fmac_f64_e32 v[190:191], v[166:167], v[140:141]
	v_fma_f64 v[164:165], v[164:165], v[140:141], -v[142:143]
	scratch_load_b128 v[140:143], off, off offset:768
	v_add_f64_e32 v[166:167], v[198:199], v[196:197]
	v_add_f64_e32 v[188:189], v[188:189], v[192:193]
	s_wait_loadcnt_dscnt 0xa00
	v_mul_f64_e32 v[192:193], v[148:149], v[146:147]
	v_mul_f64_e32 v[146:147], v[150:151], v[146:147]
	v_fmac_f64_e32 v[194:195], v[6:7], v[156:157]
	v_fma_f64 v[196:197], v[4:5], v[156:157], -v[158:159]
	ds_load_b128 v[4:7], v2 offset:1568
	ds_load_b128 v[156:159], v2 offset:1584
	v_add_f64_e32 v[198:199], v[166:167], v[164:165]
	v_add_f64_e32 v[188:189], v[188:189], v[190:191]
	scratch_load_b128 v[164:167], off, off offset:784
	s_wait_loadcnt_dscnt 0xa01
	v_mul_f64_e32 v[190:191], v[4:5], v[170:171]
	v_mul_f64_e32 v[170:171], v[6:7], v[170:171]
	v_fmac_f64_e32 v[192:193], v[150:151], v[144:145]
	v_fma_f64 v[148:149], v[148:149], v[144:145], -v[146:147]
	scratch_load_b128 v[144:147], off, off offset:800
	v_add_f64_e32 v[150:151], v[198:199], v[196:197]
	v_add_f64_e32 v[188:189], v[188:189], v[194:195]
	s_wait_loadcnt_dscnt 0xa00
	v_mul_f64_e32 v[194:195], v[156:157], v[154:155]
	v_mul_f64_e32 v[154:155], v[158:159], v[154:155]
	v_fmac_f64_e32 v[190:191], v[6:7], v[168:169]
	v_fma_f64 v[196:197], v[4:5], v[168:169], -v[170:171]
	v_add_f64_e32 v[198:199], v[150:151], v[148:149]
	v_add_f64_e32 v[188:189], v[188:189], v[192:193]
	ds_load_b128 v[4:7], v2 offset:1600
	ds_load_b128 v[148:151], v2 offset:1616
	scratch_load_b128 v[168:171], off, off offset:816
	v_fmac_f64_e32 v[194:195], v[158:159], v[152:153]
	v_fma_f64 v[156:157], v[156:157], v[152:153], -v[154:155]
	scratch_load_b128 v[152:155], off, off offset:832
	s_wait_loadcnt_dscnt 0xb01
	v_mul_f64_e32 v[192:193], v[4:5], v[186:187]
	v_mul_f64_e32 v[186:187], v[6:7], v[186:187]
	v_add_f64_e32 v[158:159], v[198:199], v[196:197]
	v_add_f64_e32 v[188:189], v[188:189], v[190:191]
	s_wait_loadcnt_dscnt 0xa00
	v_mul_f64_e32 v[190:191], v[148:149], v[12:13]
	v_mul_f64_e32 v[12:13], v[150:151], v[12:13]
	v_fmac_f64_e32 v[192:193], v[6:7], v[184:185]
	v_fma_f64 v[196:197], v[4:5], v[184:185], -v[186:187]
	v_add_f64_e32 v[198:199], v[158:159], v[156:157]
	v_add_f64_e32 v[188:189], v[188:189], v[194:195]
	ds_load_b128 v[4:7], v2 offset:1632
	ds_load_b128 v[156:159], v2 offset:1648
	scratch_load_b128 v[184:187], off, off offset:848
	v_fmac_f64_e32 v[190:191], v[150:151], v[10:11]
	v_fma_f64 v[148:149], v[148:149], v[10:11], -v[12:13]
	scratch_load_b128 v[10:13], off, off offset:864
	s_wait_loadcnt_dscnt 0xb01
	v_mul_f64_e32 v[194:195], v[4:5], v[174:175]
	v_mul_f64_e32 v[174:175], v[6:7], v[174:175]
	;; [unrolled: 18-line block ×4, first 2 shown]
	v_add_f64_e32 v[150:151], v[198:199], v[196:197]
	v_add_f64_e32 v[188:189], v[188:189], v[190:191]
	s_wait_loadcnt_dscnt 0xa00
	v_mul_f64_e32 v[190:191], v[156:157], v[142:143]
	v_mul_f64_e32 v[142:143], v[158:159], v[142:143]
	v_fmac_f64_e32 v[192:193], v[6:7], v[160:161]
	v_fma_f64 v[160:161], v[4:5], v[160:161], -v[162:163]
	v_add_f64_e32 v[162:163], v[150:151], v[148:149]
	v_add_f64_e32 v[188:189], v[188:189], v[194:195]
	ds_load_b128 v[4:7], v2 offset:1728
	ds_load_b128 v[148:151], v2 offset:1744
	v_fmac_f64_e32 v[190:191], v[158:159], v[140:141]
	v_fma_f64 v[140:141], v[156:157], v[140:141], -v[142:143]
	s_wait_loadcnt_dscnt 0x901
	v_mul_f64_e32 v[194:195], v[4:5], v[166:167]
	v_mul_f64_e32 v[166:167], v[6:7], v[166:167]
	s_wait_loadcnt_dscnt 0x800
	v_mul_f64_e32 v[158:159], v[148:149], v[146:147]
	v_mul_f64_e32 v[146:147], v[150:151], v[146:147]
	v_add_f64_e32 v[142:143], v[162:163], v[160:161]
	v_add_f64_e32 v[156:157], v[188:189], v[192:193]
	v_fmac_f64_e32 v[194:195], v[6:7], v[164:165]
	v_fma_f64 v[160:161], v[4:5], v[164:165], -v[166:167]
	v_fmac_f64_e32 v[158:159], v[150:151], v[144:145]
	v_fma_f64 v[144:145], v[148:149], v[144:145], -v[146:147]
	v_add_f64_e32 v[162:163], v[142:143], v[140:141]
	v_add_f64_e32 v[156:157], v[156:157], v[190:191]
	ds_load_b128 v[4:7], v2 offset:1760
	ds_load_b128 v[140:143], v2 offset:1776
	s_wait_loadcnt_dscnt 0x701
	v_mul_f64_e32 v[164:165], v[4:5], v[170:171]
	v_mul_f64_e32 v[166:167], v[6:7], v[170:171]
	s_wait_loadcnt_dscnt 0x600
	v_mul_f64_e32 v[150:151], v[140:141], v[154:155]
	v_mul_f64_e32 v[154:155], v[142:143], v[154:155]
	v_add_f64_e32 v[146:147], v[162:163], v[160:161]
	v_add_f64_e32 v[148:149], v[156:157], v[194:195]
	v_fmac_f64_e32 v[164:165], v[6:7], v[168:169]
	v_fma_f64 v[156:157], v[4:5], v[168:169], -v[166:167]
	v_fmac_f64_e32 v[150:151], v[142:143], v[152:153]
	v_fma_f64 v[140:141], v[140:141], v[152:153], -v[154:155]
	v_add_f64_e32 v[160:161], v[146:147], v[144:145]
	v_add_f64_e32 v[148:149], v[148:149], v[158:159]
	ds_load_b128 v[4:7], v2 offset:1792
	ds_load_b128 v[144:147], v2 offset:1808
	;; [unrolled: 16-line block ×4, first 2 shown]
	s_wait_loadcnt_dscnt 0x101
	v_mul_f64_e32 v[2:3], v[4:5], v[182:183]
	v_mul_f64_e32 v[152:153], v[6:7], v[182:183]
	s_wait_loadcnt_dscnt 0x0
	v_mul_f64_e32 v[142:143], v[10:11], v[134:135]
	v_mul_f64_e32 v[134:135], v[12:13], v[134:135]
	v_add_f64_e32 v[138:139], v[154:155], v[148:149]
	v_add_f64_e32 v[140:141], v[144:145], v[150:151]
	v_fmac_f64_e32 v[2:3], v[6:7], v[180:181]
	v_fma_f64 v[4:5], v[4:5], v[180:181], -v[152:153]
	v_fmac_f64_e32 v[142:143], v[12:13], v[132:133]
	v_fma_f64 v[10:11], v[10:11], v[132:133], -v[134:135]
	v_add_f64_e32 v[6:7], v[138:139], v[136:137]
	v_add_f64_e32 v[136:137], v[140:141], v[146:147]
	s_delay_alu instid0(VALU_DEP_2) | instskip(NEXT) | instid1(VALU_DEP_2)
	v_add_f64_e32 v[4:5], v[6:7], v[4:5]
	v_add_f64_e32 v[2:3], v[136:137], v[2:3]
	s_delay_alu instid0(VALU_DEP_2) | instskip(NEXT) | instid1(VALU_DEP_2)
	;; [unrolled: 3-line block ×3, first 2 shown]
	v_add_f64_e64 v[2:3], v[176:177], -v[4:5]
	v_add_f64_e64 v[4:5], v[178:179], -v[6:7]
	scratch_store_b128 off, v[2:5], off offset:256
	s_wait_xcnt 0x0
	v_cmpx_lt_u32_e32 15, v1
	s_cbranch_execz .LBB122_337
; %bb.336:
	scratch_load_b128 v[2:5], off, s60
	v_mov_b32_e32 v10, 0
	s_delay_alu instid0(VALU_DEP_1)
	v_dual_mov_b32 v11, v10 :: v_dual_mov_b32 v12, v10
	v_mov_b32_e32 v13, v10
	scratch_store_b128 off, v[10:13], off offset:240
	s_wait_loadcnt 0x0
	ds_store_b128 v8, v[2:5]
.LBB122_337:
	s_wait_xcnt 0x0
	s_or_b32 exec_lo, exec_lo, s2
	s_wait_storecnt_dscnt 0x0
	s_barrier_signal -1
	s_barrier_wait -1
	s_clause 0x9
	scratch_load_b128 v[4:7], off, off offset:256
	scratch_load_b128 v[10:13], off, off offset:272
	scratch_load_b128 v[132:135], off, off offset:288
	scratch_load_b128 v[136:139], off, off offset:304
	scratch_load_b128 v[140:143], off, off offset:320
	scratch_load_b128 v[144:147], off, off offset:336
	scratch_load_b128 v[148:151], off, off offset:352
	scratch_load_b128 v[152:155], off, off offset:368
	scratch_load_b128 v[156:159], off, off offset:384
	scratch_load_b128 v[160:163], off, off offset:400
	v_mov_b32_e32 v2, 0
	s_mov_b32 s2, exec_lo
	ds_load_b128 v[164:167], v2 offset:1200
	s_clause 0x2
	scratch_load_b128 v[168:171], off, off offset:416
	scratch_load_b128 v[172:175], off, off offset:240
	;; [unrolled: 1-line block ×3, first 2 shown]
	s_wait_loadcnt_dscnt 0xc00
	v_mul_f64_e32 v[184:185], v[166:167], v[6:7]
	v_mul_f64_e32 v[188:189], v[164:165], v[6:7]
	ds_load_b128 v[176:179], v2 offset:1216
	v_fma_f64 v[192:193], v[164:165], v[4:5], -v[184:185]
	v_fmac_f64_e32 v[188:189], v[166:167], v[4:5]
	ds_load_b128 v[4:7], v2 offset:1232
	s_wait_loadcnt_dscnt 0xb01
	v_mul_f64_e32 v[190:191], v[176:177], v[12:13]
	v_mul_f64_e32 v[12:13], v[178:179], v[12:13]
	scratch_load_b128 v[164:167], off, off offset:448
	ds_load_b128 v[184:187], v2 offset:1248
	s_wait_loadcnt_dscnt 0xb01
	v_mul_f64_e32 v[194:195], v[4:5], v[134:135]
	v_mul_f64_e32 v[134:135], v[6:7], v[134:135]
	v_add_f64_e32 v[188:189], 0, v[188:189]
	v_fmac_f64_e32 v[190:191], v[178:179], v[10:11]
	v_fma_f64 v[176:177], v[176:177], v[10:11], -v[12:13]
	v_add_f64_e32 v[178:179], 0, v[192:193]
	scratch_load_b128 v[10:13], off, off offset:464
	v_fmac_f64_e32 v[194:195], v[6:7], v[132:133]
	v_fma_f64 v[196:197], v[4:5], v[132:133], -v[134:135]
	ds_load_b128 v[4:7], v2 offset:1264
	s_wait_loadcnt_dscnt 0xb01
	v_mul_f64_e32 v[192:193], v[184:185], v[138:139]
	v_mul_f64_e32 v[138:139], v[186:187], v[138:139]
	scratch_load_b128 v[132:135], off, off offset:480
	v_add_f64_e32 v[188:189], v[188:189], v[190:191]
	v_add_f64_e32 v[198:199], v[178:179], v[176:177]
	ds_load_b128 v[176:179], v2 offset:1280
	s_wait_loadcnt_dscnt 0xb01
	v_mul_f64_e32 v[190:191], v[4:5], v[142:143]
	v_mul_f64_e32 v[142:143], v[6:7], v[142:143]
	v_fmac_f64_e32 v[192:193], v[186:187], v[136:137]
	v_fma_f64 v[184:185], v[184:185], v[136:137], -v[138:139]
	scratch_load_b128 v[136:139], off, off offset:496
	v_add_f64_e32 v[188:189], v[188:189], v[194:195]
	v_add_f64_e32 v[186:187], v[198:199], v[196:197]
	v_fmac_f64_e32 v[190:191], v[6:7], v[140:141]
	v_fma_f64 v[196:197], v[4:5], v[140:141], -v[142:143]
	ds_load_b128 v[4:7], v2 offset:1296
	s_wait_loadcnt_dscnt 0xb01
	v_mul_f64_e32 v[194:195], v[176:177], v[146:147]
	v_mul_f64_e32 v[146:147], v[178:179], v[146:147]
	scratch_load_b128 v[140:143], off, off offset:512
	v_add_f64_e32 v[188:189], v[188:189], v[192:193]
	s_wait_loadcnt_dscnt 0xb00
	v_mul_f64_e32 v[192:193], v[4:5], v[150:151]
	v_add_f64_e32 v[198:199], v[186:187], v[184:185]
	v_mul_f64_e32 v[150:151], v[6:7], v[150:151]
	ds_load_b128 v[184:187], v2 offset:1312
	v_fmac_f64_e32 v[194:195], v[178:179], v[144:145]
	v_fma_f64 v[176:177], v[176:177], v[144:145], -v[146:147]
	scratch_load_b128 v[144:147], off, off offset:528
	v_add_f64_e32 v[188:189], v[188:189], v[190:191]
	v_fmac_f64_e32 v[192:193], v[6:7], v[148:149]
	v_add_f64_e32 v[178:179], v[198:199], v[196:197]
	v_fma_f64 v[196:197], v[4:5], v[148:149], -v[150:151]
	ds_load_b128 v[4:7], v2 offset:1328
	s_wait_loadcnt_dscnt 0xb01
	v_mul_f64_e32 v[190:191], v[184:185], v[154:155]
	v_mul_f64_e32 v[154:155], v[186:187], v[154:155]
	scratch_load_b128 v[148:151], off, off offset:544
	v_add_f64_e32 v[188:189], v[188:189], v[194:195]
	s_wait_loadcnt_dscnt 0xb00
	v_mul_f64_e32 v[194:195], v[4:5], v[158:159]
	v_add_f64_e32 v[198:199], v[178:179], v[176:177]
	v_mul_f64_e32 v[158:159], v[6:7], v[158:159]
	ds_load_b128 v[176:179], v2 offset:1344
	v_fmac_f64_e32 v[190:191], v[186:187], v[152:153]
	v_fma_f64 v[184:185], v[184:185], v[152:153], -v[154:155]
	scratch_load_b128 v[152:155], off, off offset:560
	v_add_f64_e32 v[188:189], v[188:189], v[192:193]
	v_fmac_f64_e32 v[194:195], v[6:7], v[156:157]
	v_add_f64_e32 v[186:187], v[198:199], v[196:197]
	;; [unrolled: 18-line block ×3, first 2 shown]
	v_fma_f64 v[196:197], v[4:5], v[168:169], -v[170:171]
	ds_load_b128 v[4:7], v2 offset:1392
	s_wait_loadcnt_dscnt 0xa01
	v_mul_f64_e32 v[194:195], v[184:185], v[182:183]
	v_mul_f64_e32 v[182:183], v[186:187], v[182:183]
	scratch_load_b128 v[168:171], off, off offset:608
	v_add_f64_e32 v[188:189], v[188:189], v[192:193]
	v_add_f64_e32 v[198:199], v[178:179], v[176:177]
	s_wait_loadcnt_dscnt 0xa00
	v_mul_f64_e32 v[192:193], v[4:5], v[166:167]
	v_mul_f64_e32 v[166:167], v[6:7], v[166:167]
	v_fmac_f64_e32 v[194:195], v[186:187], v[180:181]
	v_fma_f64 v[184:185], v[184:185], v[180:181], -v[182:183]
	ds_load_b128 v[176:179], v2 offset:1408
	scratch_load_b128 v[180:183], off, off offset:624
	v_add_f64_e32 v[188:189], v[188:189], v[190:191]
	v_add_f64_e32 v[186:187], v[198:199], v[196:197]
	v_fmac_f64_e32 v[192:193], v[6:7], v[164:165]
	v_fma_f64 v[196:197], v[4:5], v[164:165], -v[166:167]
	ds_load_b128 v[4:7], v2 offset:1424
	s_wait_loadcnt_dscnt 0xa01
	v_mul_f64_e32 v[190:191], v[176:177], v[12:13]
	v_mul_f64_e32 v[12:13], v[178:179], v[12:13]
	scratch_load_b128 v[164:167], off, off offset:640
	v_add_f64_e32 v[188:189], v[188:189], v[194:195]
	s_wait_loadcnt_dscnt 0xa00
	v_mul_f64_e32 v[194:195], v[4:5], v[134:135]
	v_add_f64_e32 v[198:199], v[186:187], v[184:185]
	v_mul_f64_e32 v[134:135], v[6:7], v[134:135]
	ds_load_b128 v[184:187], v2 offset:1440
	v_fmac_f64_e32 v[190:191], v[178:179], v[10:11]
	v_fma_f64 v[176:177], v[176:177], v[10:11], -v[12:13]
	scratch_load_b128 v[10:13], off, off offset:656
	v_add_f64_e32 v[188:189], v[188:189], v[192:193]
	v_fmac_f64_e32 v[194:195], v[6:7], v[132:133]
	v_add_f64_e32 v[178:179], v[198:199], v[196:197]
	v_fma_f64 v[196:197], v[4:5], v[132:133], -v[134:135]
	ds_load_b128 v[4:7], v2 offset:1456
	s_wait_loadcnt_dscnt 0xa01
	v_mul_f64_e32 v[192:193], v[184:185], v[138:139]
	v_mul_f64_e32 v[138:139], v[186:187], v[138:139]
	scratch_load_b128 v[132:135], off, off offset:672
	v_add_f64_e32 v[188:189], v[188:189], v[190:191]
	s_wait_loadcnt_dscnt 0xa00
	v_mul_f64_e32 v[190:191], v[4:5], v[142:143]
	v_add_f64_e32 v[198:199], v[178:179], v[176:177]
	v_mul_f64_e32 v[142:143], v[6:7], v[142:143]
	ds_load_b128 v[176:179], v2 offset:1472
	v_fmac_f64_e32 v[192:193], v[186:187], v[136:137]
	v_fma_f64 v[184:185], v[184:185], v[136:137], -v[138:139]
	scratch_load_b128 v[136:139], off, off offset:688
	v_add_f64_e32 v[188:189], v[188:189], v[194:195]
	v_fmac_f64_e32 v[190:191], v[6:7], v[140:141]
	v_add_f64_e32 v[186:187], v[198:199], v[196:197]
	;; [unrolled: 18-line block ×9, first 2 shown]
	v_fma_f64 v[196:197], v[4:5], v[148:149], -v[150:151]
	ds_load_b128 v[4:7], v2 offset:1712
	s_wait_loadcnt_dscnt 0xa01
	v_mul_f64_e32 v[190:191], v[184:185], v[154:155]
	v_mul_f64_e32 v[154:155], v[186:187], v[154:155]
	scratch_load_b128 v[148:151], off, off offset:928
	v_add_f64_e32 v[188:189], v[188:189], v[194:195]
	s_wait_loadcnt_dscnt 0xa00
	v_mul_f64_e32 v[194:195], v[4:5], v[158:159]
	v_add_f64_e32 v[198:199], v[178:179], v[176:177]
	v_mul_f64_e32 v[158:159], v[6:7], v[158:159]
	ds_load_b128 v[176:179], v2 offset:1728
	v_fmac_f64_e32 v[190:191], v[186:187], v[152:153]
	v_fma_f64 v[152:153], v[184:185], v[152:153], -v[154:155]
	s_wait_loadcnt_dscnt 0x900
	v_mul_f64_e32 v[186:187], v[176:177], v[162:163]
	v_mul_f64_e32 v[162:163], v[178:179], v[162:163]
	v_add_f64_e32 v[184:185], v[188:189], v[192:193]
	v_fmac_f64_e32 v[194:195], v[6:7], v[156:157]
	v_add_f64_e32 v[154:155], v[198:199], v[196:197]
	v_fma_f64 v[156:157], v[4:5], v[156:157], -v[158:159]
	v_fmac_f64_e32 v[186:187], v[178:179], v[160:161]
	v_fma_f64 v[160:161], v[176:177], v[160:161], -v[162:163]
	v_add_f64_e32 v[184:185], v[184:185], v[190:191]
	v_add_f64_e32 v[158:159], v[154:155], v[152:153]
	ds_load_b128 v[4:7], v2 offset:1744
	ds_load_b128 v[152:155], v2 offset:1760
	s_wait_loadcnt_dscnt 0x801
	v_mul_f64_e32 v[188:189], v[4:5], v[170:171]
	v_mul_f64_e32 v[170:171], v[6:7], v[170:171]
	s_wait_loadcnt_dscnt 0x700
	v_mul_f64_e32 v[162:163], v[152:153], v[182:183]
	v_mul_f64_e32 v[176:177], v[154:155], v[182:183]
	v_add_f64_e32 v[156:157], v[158:159], v[156:157]
	v_add_f64_e32 v[158:159], v[184:185], v[194:195]
	v_fmac_f64_e32 v[188:189], v[6:7], v[168:169]
	v_fma_f64 v[168:169], v[4:5], v[168:169], -v[170:171]
	v_fmac_f64_e32 v[162:163], v[154:155], v[180:181]
	v_fma_f64 v[152:153], v[152:153], v[180:181], -v[176:177]
	v_add_f64_e32 v[160:161], v[156:157], v[160:161]
	v_add_f64_e32 v[170:171], v[158:159], v[186:187]
	ds_load_b128 v[4:7], v2 offset:1776
	ds_load_b128 v[156:159], v2 offset:1792
	s_wait_loadcnt_dscnt 0x601
	v_mul_f64_e32 v[178:179], v[4:5], v[166:167]
	v_mul_f64_e32 v[166:167], v[6:7], v[166:167]
	v_add_f64_e32 v[154:155], v[160:161], v[168:169]
	v_add_f64_e32 v[160:161], v[170:171], v[188:189]
	s_wait_loadcnt_dscnt 0x500
	v_mul_f64_e32 v[168:169], v[156:157], v[12:13]
	v_mul_f64_e32 v[12:13], v[158:159], v[12:13]
	v_fmac_f64_e32 v[178:179], v[6:7], v[164:165]
	v_fma_f64 v[164:165], v[4:5], v[164:165], -v[166:167]
	v_add_f64_e32 v[166:167], v[154:155], v[152:153]
	v_add_f64_e32 v[160:161], v[160:161], v[162:163]
	ds_load_b128 v[4:7], v2 offset:1808
	ds_load_b128 v[152:155], v2 offset:1824
	v_fmac_f64_e32 v[168:169], v[158:159], v[10:11]
	v_fma_f64 v[10:11], v[156:157], v[10:11], -v[12:13]
	s_wait_loadcnt_dscnt 0x401
	v_mul_f64_e32 v[162:163], v[4:5], v[134:135]
	v_mul_f64_e32 v[134:135], v[6:7], v[134:135]
	s_wait_loadcnt_dscnt 0x300
	v_mul_f64_e32 v[158:159], v[152:153], v[138:139]
	v_mul_f64_e32 v[138:139], v[154:155], v[138:139]
	v_add_f64_e32 v[12:13], v[166:167], v[164:165]
	v_add_f64_e32 v[156:157], v[160:161], v[178:179]
	v_fmac_f64_e32 v[162:163], v[6:7], v[132:133]
	v_fma_f64 v[132:133], v[4:5], v[132:133], -v[134:135]
	v_fmac_f64_e32 v[158:159], v[154:155], v[136:137]
	v_fma_f64 v[136:137], v[152:153], v[136:137], -v[138:139]
	v_add_f64_e32 v[134:135], v[12:13], v[10:11]
	v_add_f64_e32 v[156:157], v[156:157], v[168:169]
	ds_load_b128 v[4:7], v2 offset:1840
	ds_load_b128 v[10:13], v2 offset:1856
	s_wait_loadcnt_dscnt 0x201
	v_mul_f64_e32 v[160:161], v[4:5], v[142:143]
	v_mul_f64_e32 v[142:143], v[6:7], v[142:143]
	s_wait_loadcnt_dscnt 0x100
	v_mul_f64_e32 v[138:139], v[10:11], v[146:147]
	v_mul_f64_e32 v[146:147], v[12:13], v[146:147]
	v_add_f64_e32 v[132:133], v[134:135], v[132:133]
	v_add_f64_e32 v[134:135], v[156:157], v[162:163]
	v_fmac_f64_e32 v[160:161], v[6:7], v[140:141]
	v_fma_f64 v[140:141], v[4:5], v[140:141], -v[142:143]
	ds_load_b128 v[4:7], v2 offset:1872
	v_fmac_f64_e32 v[138:139], v[12:13], v[144:145]
	v_fma_f64 v[10:11], v[10:11], v[144:145], -v[146:147]
	v_add_f64_e32 v[132:133], v[132:133], v[136:137]
	v_add_f64_e32 v[134:135], v[134:135], v[158:159]
	s_wait_loadcnt_dscnt 0x0
	v_mul_f64_e32 v[136:137], v[4:5], v[150:151]
	v_mul_f64_e32 v[142:143], v[6:7], v[150:151]
	s_delay_alu instid0(VALU_DEP_4) | instskip(NEXT) | instid1(VALU_DEP_4)
	v_add_f64_e32 v[12:13], v[132:133], v[140:141]
	v_add_f64_e32 v[132:133], v[134:135], v[160:161]
	s_delay_alu instid0(VALU_DEP_4) | instskip(NEXT) | instid1(VALU_DEP_4)
	v_fmac_f64_e32 v[136:137], v[6:7], v[148:149]
	v_fma_f64 v[4:5], v[4:5], v[148:149], -v[142:143]
	s_delay_alu instid0(VALU_DEP_4) | instskip(NEXT) | instid1(VALU_DEP_4)
	v_add_f64_e32 v[6:7], v[12:13], v[10:11]
	v_add_f64_e32 v[10:11], v[132:133], v[138:139]
	s_delay_alu instid0(VALU_DEP_2) | instskip(NEXT) | instid1(VALU_DEP_2)
	v_add_f64_e32 v[4:5], v[6:7], v[4:5]
	v_add_f64_e32 v[6:7], v[10:11], v[136:137]
	s_delay_alu instid0(VALU_DEP_2) | instskip(NEXT) | instid1(VALU_DEP_2)
	v_add_f64_e64 v[4:5], v[172:173], -v[4:5]
	v_add_f64_e64 v[6:7], v[174:175], -v[6:7]
	scratch_store_b128 off, v[4:7], off offset:240
	s_wait_xcnt 0x0
	v_cmpx_lt_u32_e32 14, v1
	s_cbranch_execz .LBB122_339
; %bb.338:
	scratch_load_b128 v[10:13], off, s61
	v_dual_mov_b32 v3, v2 :: v_dual_mov_b32 v4, v2
	v_mov_b32_e32 v5, v2
	scratch_store_b128 off, v[2:5], off offset:224
	s_wait_loadcnt 0x0
	ds_store_b128 v8, v[10:13]
.LBB122_339:
	s_wait_xcnt 0x0
	s_or_b32 exec_lo, exec_lo, s2
	s_wait_storecnt_dscnt 0x0
	s_barrier_signal -1
	s_barrier_wait -1
	s_clause 0x9
	scratch_load_b128 v[4:7], off, off offset:240
	scratch_load_b128 v[10:13], off, off offset:256
	;; [unrolled: 1-line block ×10, first 2 shown]
	ds_load_b128 v[164:167], v2 offset:1184
	ds_load_b128 v[172:175], v2 offset:1200
	s_clause 0x2
	scratch_load_b128 v[168:171], off, off offset:400
	scratch_load_b128 v[176:179], off, off offset:224
	;; [unrolled: 1-line block ×3, first 2 shown]
	s_mov_b32 s2, exec_lo
	s_wait_loadcnt_dscnt 0xc01
	v_mul_f64_e32 v[184:185], v[166:167], v[6:7]
	v_mul_f64_e32 v[188:189], v[164:165], v[6:7]
	s_wait_loadcnt_dscnt 0xb00
	v_mul_f64_e32 v[190:191], v[172:173], v[12:13]
	v_mul_f64_e32 v[12:13], v[174:175], v[12:13]
	s_delay_alu instid0(VALU_DEP_4) | instskip(NEXT) | instid1(VALU_DEP_4)
	v_fma_f64 v[192:193], v[164:165], v[4:5], -v[184:185]
	v_fmac_f64_e32 v[188:189], v[166:167], v[4:5]
	ds_load_b128 v[4:7], v2 offset:1216
	ds_load_b128 v[164:167], v2 offset:1232
	scratch_load_b128 v[184:187], off, off offset:432
	v_fmac_f64_e32 v[190:191], v[174:175], v[10:11]
	v_fma_f64 v[172:173], v[172:173], v[10:11], -v[12:13]
	scratch_load_b128 v[10:13], off, off offset:448
	s_wait_loadcnt_dscnt 0xc01
	v_mul_f64_e32 v[194:195], v[4:5], v[134:135]
	v_mul_f64_e32 v[134:135], v[6:7], v[134:135]
	v_add_f64_e32 v[174:175], 0, v[192:193]
	v_add_f64_e32 v[188:189], 0, v[188:189]
	s_wait_loadcnt_dscnt 0xb00
	v_mul_f64_e32 v[192:193], v[164:165], v[138:139]
	v_mul_f64_e32 v[138:139], v[166:167], v[138:139]
	v_fmac_f64_e32 v[194:195], v[6:7], v[132:133]
	v_fma_f64 v[196:197], v[4:5], v[132:133], -v[134:135]
	ds_load_b128 v[4:7], v2 offset:1248
	ds_load_b128 v[132:135], v2 offset:1264
	v_add_f64_e32 v[198:199], v[174:175], v[172:173]
	v_add_f64_e32 v[188:189], v[188:189], v[190:191]
	scratch_load_b128 v[172:175], off, off offset:464
	v_fmac_f64_e32 v[192:193], v[166:167], v[136:137]
	v_fma_f64 v[164:165], v[164:165], v[136:137], -v[138:139]
	scratch_load_b128 v[136:139], off, off offset:480
	s_wait_loadcnt_dscnt 0xc01
	v_mul_f64_e32 v[190:191], v[4:5], v[142:143]
	v_mul_f64_e32 v[142:143], v[6:7], v[142:143]
	v_add_f64_e32 v[166:167], v[198:199], v[196:197]
	v_add_f64_e32 v[188:189], v[188:189], v[194:195]
	s_wait_loadcnt_dscnt 0xb00
	v_mul_f64_e32 v[194:195], v[132:133], v[146:147]
	v_mul_f64_e32 v[146:147], v[134:135], v[146:147]
	v_fmac_f64_e32 v[190:191], v[6:7], v[140:141]
	v_fma_f64 v[196:197], v[4:5], v[140:141], -v[142:143]
	ds_load_b128 v[4:7], v2 offset:1280
	ds_load_b128 v[140:143], v2 offset:1296
	v_add_f64_e32 v[198:199], v[166:167], v[164:165]
	v_add_f64_e32 v[188:189], v[188:189], v[192:193]
	scratch_load_b128 v[164:167], off, off offset:496
	s_wait_loadcnt_dscnt 0xb01
	v_mul_f64_e32 v[192:193], v[4:5], v[150:151]
	v_mul_f64_e32 v[150:151], v[6:7], v[150:151]
	v_fmac_f64_e32 v[194:195], v[134:135], v[144:145]
	v_fma_f64 v[144:145], v[132:133], v[144:145], -v[146:147]
	scratch_load_b128 v[132:135], off, off offset:512
	v_add_f64_e32 v[146:147], v[198:199], v[196:197]
	v_add_f64_e32 v[188:189], v[188:189], v[190:191]
	s_wait_loadcnt_dscnt 0xb00
	v_mul_f64_e32 v[190:191], v[140:141], v[154:155]
	v_mul_f64_e32 v[154:155], v[142:143], v[154:155]
	v_fmac_f64_e32 v[192:193], v[6:7], v[148:149]
	v_fma_f64 v[196:197], v[4:5], v[148:149], -v[150:151]
	v_add_f64_e32 v[198:199], v[146:147], v[144:145]
	v_add_f64_e32 v[188:189], v[188:189], v[194:195]
	ds_load_b128 v[4:7], v2 offset:1312
	ds_load_b128 v[144:147], v2 offset:1328
	scratch_load_b128 v[148:151], off, off offset:528
	v_fmac_f64_e32 v[190:191], v[142:143], v[152:153]
	v_fma_f64 v[152:153], v[140:141], v[152:153], -v[154:155]
	scratch_load_b128 v[140:143], off, off offset:544
	s_wait_loadcnt_dscnt 0xc01
	v_mul_f64_e32 v[194:195], v[4:5], v[158:159]
	v_mul_f64_e32 v[158:159], v[6:7], v[158:159]
	v_add_f64_e32 v[154:155], v[198:199], v[196:197]
	v_add_f64_e32 v[188:189], v[188:189], v[192:193]
	s_wait_loadcnt_dscnt 0xb00
	v_mul_f64_e32 v[192:193], v[144:145], v[162:163]
	v_mul_f64_e32 v[162:163], v[146:147], v[162:163]
	v_fmac_f64_e32 v[194:195], v[6:7], v[156:157]
	v_fma_f64 v[196:197], v[4:5], v[156:157], -v[158:159]
	v_add_f64_e32 v[198:199], v[154:155], v[152:153]
	v_add_f64_e32 v[188:189], v[188:189], v[190:191]
	ds_load_b128 v[4:7], v2 offset:1344
	ds_load_b128 v[152:155], v2 offset:1360
	scratch_load_b128 v[156:159], off, off offset:560
	v_fmac_f64_e32 v[192:193], v[146:147], v[160:161]
	v_fma_f64 v[160:161], v[144:145], v[160:161], -v[162:163]
	scratch_load_b128 v[144:147], off, off offset:576
	s_wait_loadcnt_dscnt 0xc01
	v_mul_f64_e32 v[190:191], v[4:5], v[170:171]
	v_mul_f64_e32 v[170:171], v[6:7], v[170:171]
	;; [unrolled: 18-line block ×5, first 2 shown]
	v_add_f64_e32 v[182:183], v[198:199], v[196:197]
	v_add_f64_e32 v[188:189], v[188:189], v[194:195]
	s_wait_loadcnt_dscnt 0xa00
	v_mul_f64_e32 v[194:195], v[160:161], v[134:135]
	v_mul_f64_e32 v[134:135], v[162:163], v[134:135]
	v_fmac_f64_e32 v[190:191], v[6:7], v[164:165]
	v_fma_f64 v[196:197], v[4:5], v[164:165], -v[166:167]
	ds_load_b128 v[4:7], v2 offset:1472
	ds_load_b128 v[164:167], v2 offset:1488
	v_add_f64_e32 v[198:199], v[182:183], v[180:181]
	v_add_f64_e32 v[188:189], v[188:189], v[192:193]
	scratch_load_b128 v[180:183], off, off offset:688
	v_fmac_f64_e32 v[194:195], v[162:163], v[132:133]
	v_fma_f64 v[160:161], v[160:161], v[132:133], -v[134:135]
	scratch_load_b128 v[132:135], off, off offset:704
	s_wait_loadcnt_dscnt 0xb01
	v_mul_f64_e32 v[192:193], v[4:5], v[150:151]
	v_mul_f64_e32 v[150:151], v[6:7], v[150:151]
	v_add_f64_e32 v[162:163], v[198:199], v[196:197]
	v_add_f64_e32 v[188:189], v[188:189], v[190:191]
	s_wait_loadcnt_dscnt 0xa00
	v_mul_f64_e32 v[190:191], v[164:165], v[142:143]
	v_mul_f64_e32 v[142:143], v[166:167], v[142:143]
	v_fmac_f64_e32 v[192:193], v[6:7], v[148:149]
	v_fma_f64 v[196:197], v[4:5], v[148:149], -v[150:151]
	ds_load_b128 v[4:7], v2 offset:1504
	ds_load_b128 v[148:151], v2 offset:1520
	v_add_f64_e32 v[198:199], v[162:163], v[160:161]
	v_add_f64_e32 v[188:189], v[188:189], v[194:195]
	scratch_load_b128 v[160:163], off, off offset:720
	s_wait_loadcnt_dscnt 0xa01
	v_mul_f64_e32 v[194:195], v[4:5], v[158:159]
	v_mul_f64_e32 v[158:159], v[6:7], v[158:159]
	v_fmac_f64_e32 v[190:191], v[166:167], v[140:141]
	v_fma_f64 v[164:165], v[164:165], v[140:141], -v[142:143]
	scratch_load_b128 v[140:143], off, off offset:736
	v_add_f64_e32 v[166:167], v[198:199], v[196:197]
	v_add_f64_e32 v[188:189], v[188:189], v[192:193]
	s_wait_loadcnt_dscnt 0xa00
	v_mul_f64_e32 v[192:193], v[148:149], v[146:147]
	v_mul_f64_e32 v[146:147], v[150:151], v[146:147]
	v_fmac_f64_e32 v[194:195], v[6:7], v[156:157]
	v_fma_f64 v[196:197], v[4:5], v[156:157], -v[158:159]
	ds_load_b128 v[4:7], v2 offset:1536
	ds_load_b128 v[156:159], v2 offset:1552
	v_add_f64_e32 v[198:199], v[166:167], v[164:165]
	v_add_f64_e32 v[188:189], v[188:189], v[190:191]
	scratch_load_b128 v[164:167], off, off offset:752
	s_wait_loadcnt_dscnt 0xa01
	v_mul_f64_e32 v[190:191], v[4:5], v[170:171]
	v_mul_f64_e32 v[170:171], v[6:7], v[170:171]
	v_fmac_f64_e32 v[192:193], v[150:151], v[144:145]
	v_fma_f64 v[148:149], v[148:149], v[144:145], -v[146:147]
	scratch_load_b128 v[144:147], off, off offset:768
	v_add_f64_e32 v[150:151], v[198:199], v[196:197]
	v_add_f64_e32 v[188:189], v[188:189], v[194:195]
	s_wait_loadcnt_dscnt 0xa00
	v_mul_f64_e32 v[194:195], v[156:157], v[154:155]
	v_mul_f64_e32 v[154:155], v[158:159], v[154:155]
	v_fmac_f64_e32 v[190:191], v[6:7], v[168:169]
	v_fma_f64 v[196:197], v[4:5], v[168:169], -v[170:171]
	v_add_f64_e32 v[198:199], v[150:151], v[148:149]
	v_add_f64_e32 v[188:189], v[188:189], v[192:193]
	ds_load_b128 v[4:7], v2 offset:1568
	ds_load_b128 v[148:151], v2 offset:1584
	scratch_load_b128 v[168:171], off, off offset:784
	v_fmac_f64_e32 v[194:195], v[158:159], v[152:153]
	v_fma_f64 v[156:157], v[156:157], v[152:153], -v[154:155]
	scratch_load_b128 v[152:155], off, off offset:800
	s_wait_loadcnt_dscnt 0xb01
	v_mul_f64_e32 v[192:193], v[4:5], v[186:187]
	v_mul_f64_e32 v[186:187], v[6:7], v[186:187]
	v_add_f64_e32 v[158:159], v[198:199], v[196:197]
	v_add_f64_e32 v[188:189], v[188:189], v[190:191]
	s_wait_loadcnt_dscnt 0xa00
	v_mul_f64_e32 v[190:191], v[148:149], v[12:13]
	v_mul_f64_e32 v[12:13], v[150:151], v[12:13]
	v_fmac_f64_e32 v[192:193], v[6:7], v[184:185]
	v_fma_f64 v[196:197], v[4:5], v[184:185], -v[186:187]
	v_add_f64_e32 v[198:199], v[158:159], v[156:157]
	v_add_f64_e32 v[188:189], v[188:189], v[194:195]
	ds_load_b128 v[4:7], v2 offset:1600
	ds_load_b128 v[156:159], v2 offset:1616
	scratch_load_b128 v[184:187], off, off offset:816
	v_fmac_f64_e32 v[190:191], v[150:151], v[10:11]
	v_fma_f64 v[148:149], v[148:149], v[10:11], -v[12:13]
	scratch_load_b128 v[10:13], off, off offset:832
	s_wait_loadcnt_dscnt 0xb01
	v_mul_f64_e32 v[194:195], v[4:5], v[174:175]
	v_mul_f64_e32 v[174:175], v[6:7], v[174:175]
	;; [unrolled: 18-line block ×5, first 2 shown]
	v_add_f64_e32 v[158:159], v[198:199], v[196:197]
	v_add_f64_e32 v[188:189], v[188:189], v[192:193]
	s_wait_loadcnt_dscnt 0xa00
	v_mul_f64_e32 v[192:193], v[148:149], v[146:147]
	v_mul_f64_e32 v[146:147], v[150:151], v[146:147]
	v_fmac_f64_e32 v[194:195], v[6:7], v[164:165]
	v_fma_f64 v[164:165], v[4:5], v[164:165], -v[166:167]
	v_add_f64_e32 v[166:167], v[158:159], v[156:157]
	v_add_f64_e32 v[188:189], v[188:189], v[190:191]
	ds_load_b128 v[4:7], v2 offset:1728
	ds_load_b128 v[156:159], v2 offset:1744
	v_fmac_f64_e32 v[192:193], v[150:151], v[144:145]
	v_fma_f64 v[144:145], v[148:149], v[144:145], -v[146:147]
	s_wait_loadcnt_dscnt 0x901
	v_mul_f64_e32 v[190:191], v[4:5], v[170:171]
	v_mul_f64_e32 v[170:171], v[6:7], v[170:171]
	s_wait_loadcnt_dscnt 0x800
	v_mul_f64_e32 v[150:151], v[156:157], v[154:155]
	v_mul_f64_e32 v[154:155], v[158:159], v[154:155]
	v_add_f64_e32 v[146:147], v[166:167], v[164:165]
	v_add_f64_e32 v[148:149], v[188:189], v[194:195]
	v_fmac_f64_e32 v[190:191], v[6:7], v[168:169]
	v_fma_f64 v[164:165], v[4:5], v[168:169], -v[170:171]
	v_fmac_f64_e32 v[150:151], v[158:159], v[152:153]
	v_fma_f64 v[152:153], v[156:157], v[152:153], -v[154:155]
	v_add_f64_e32 v[166:167], v[146:147], v[144:145]
	v_add_f64_e32 v[148:149], v[148:149], v[192:193]
	ds_load_b128 v[4:7], v2 offset:1760
	ds_load_b128 v[144:147], v2 offset:1776
	s_wait_loadcnt_dscnt 0x701
	v_mul_f64_e32 v[168:169], v[4:5], v[186:187]
	v_mul_f64_e32 v[170:171], v[6:7], v[186:187]
	s_wait_loadcnt_dscnt 0x600
	v_mul_f64_e32 v[156:157], v[144:145], v[12:13]
	v_mul_f64_e32 v[12:13], v[146:147], v[12:13]
	v_add_f64_e32 v[154:155], v[166:167], v[164:165]
	v_add_f64_e32 v[148:149], v[148:149], v[190:191]
	v_fmac_f64_e32 v[168:169], v[6:7], v[184:185]
	v_fma_f64 v[158:159], v[4:5], v[184:185], -v[170:171]
	v_fmac_f64_e32 v[156:157], v[146:147], v[10:11]
	v_fma_f64 v[10:11], v[144:145], v[10:11], -v[12:13]
	v_add_f64_e32 v[152:153], v[154:155], v[152:153]
	v_add_f64_e32 v[154:155], v[148:149], v[150:151]
	ds_load_b128 v[4:7], v2 offset:1792
	ds_load_b128 v[148:151], v2 offset:1808
	;; [unrolled: 16-line block ×4, first 2 shown]
	s_wait_loadcnt_dscnt 0x101
	v_mul_f64_e32 v[2:3], v[4:5], v[162:163]
	v_mul_f64_e32 v[146:147], v[6:7], v[162:163]
	v_add_f64_e32 v[12:13], v[138:139], v[152:153]
	v_add_f64_e32 v[132:133], v[144:145], v[156:157]
	s_wait_loadcnt_dscnt 0x0
	v_mul_f64_e32 v[138:139], v[134:135], v[142:143]
	v_mul_f64_e32 v[142:143], v[136:137], v[142:143]
	v_fmac_f64_e32 v[2:3], v[6:7], v[160:161]
	v_fma_f64 v[4:5], v[4:5], v[160:161], -v[146:147]
	v_add_f64_e32 v[6:7], v[12:13], v[10:11]
	v_add_f64_e32 v[10:11], v[132:133], v[148:149]
	v_fmac_f64_e32 v[138:139], v[136:137], v[140:141]
	v_fma_f64 v[12:13], v[134:135], v[140:141], -v[142:143]
	s_delay_alu instid0(VALU_DEP_4) | instskip(NEXT) | instid1(VALU_DEP_4)
	v_add_f64_e32 v[4:5], v[6:7], v[4:5]
	v_add_f64_e32 v[2:3], v[10:11], v[2:3]
	s_delay_alu instid0(VALU_DEP_2) | instskip(NEXT) | instid1(VALU_DEP_2)
	v_add_f64_e32 v[4:5], v[4:5], v[12:13]
	v_add_f64_e32 v[6:7], v[2:3], v[138:139]
	s_delay_alu instid0(VALU_DEP_2) | instskip(NEXT) | instid1(VALU_DEP_2)
	v_add_f64_e64 v[2:3], v[176:177], -v[4:5]
	v_add_f64_e64 v[4:5], v[178:179], -v[6:7]
	scratch_store_b128 off, v[2:5], off offset:224
	s_wait_xcnt 0x0
	v_cmpx_lt_u32_e32 13, v1
	s_cbranch_execz .LBB122_341
; %bb.340:
	scratch_load_b128 v[2:5], off, s62
	v_mov_b32_e32 v10, 0
	s_delay_alu instid0(VALU_DEP_1)
	v_dual_mov_b32 v11, v10 :: v_dual_mov_b32 v12, v10
	v_mov_b32_e32 v13, v10
	scratch_store_b128 off, v[10:13], off offset:208
	s_wait_loadcnt 0x0
	ds_store_b128 v8, v[2:5]
.LBB122_341:
	s_wait_xcnt 0x0
	s_or_b32 exec_lo, exec_lo, s2
	s_wait_storecnt_dscnt 0x0
	s_barrier_signal -1
	s_barrier_wait -1
	s_clause 0x9
	scratch_load_b128 v[4:7], off, off offset:224
	scratch_load_b128 v[10:13], off, off offset:240
	;; [unrolled: 1-line block ×10, first 2 shown]
	v_mov_b32_e32 v2, 0
	s_mov_b32 s2, exec_lo
	ds_load_b128 v[164:167], v2 offset:1168
	s_clause 0x2
	scratch_load_b128 v[168:171], off, off offset:384
	scratch_load_b128 v[172:175], off, off offset:208
	;; [unrolled: 1-line block ×3, first 2 shown]
	s_wait_loadcnt_dscnt 0xc00
	v_mul_f64_e32 v[184:185], v[166:167], v[6:7]
	v_mul_f64_e32 v[188:189], v[164:165], v[6:7]
	ds_load_b128 v[176:179], v2 offset:1184
	v_fma_f64 v[192:193], v[164:165], v[4:5], -v[184:185]
	v_fmac_f64_e32 v[188:189], v[166:167], v[4:5]
	ds_load_b128 v[4:7], v2 offset:1200
	s_wait_loadcnt_dscnt 0xb01
	v_mul_f64_e32 v[190:191], v[176:177], v[12:13]
	v_mul_f64_e32 v[12:13], v[178:179], v[12:13]
	scratch_load_b128 v[164:167], off, off offset:416
	ds_load_b128 v[184:187], v2 offset:1216
	s_wait_loadcnt_dscnt 0xb01
	v_mul_f64_e32 v[194:195], v[4:5], v[134:135]
	v_mul_f64_e32 v[134:135], v[6:7], v[134:135]
	v_add_f64_e32 v[188:189], 0, v[188:189]
	v_fmac_f64_e32 v[190:191], v[178:179], v[10:11]
	v_fma_f64 v[176:177], v[176:177], v[10:11], -v[12:13]
	v_add_f64_e32 v[178:179], 0, v[192:193]
	scratch_load_b128 v[10:13], off, off offset:432
	v_fmac_f64_e32 v[194:195], v[6:7], v[132:133]
	v_fma_f64 v[196:197], v[4:5], v[132:133], -v[134:135]
	ds_load_b128 v[4:7], v2 offset:1232
	s_wait_loadcnt_dscnt 0xb01
	v_mul_f64_e32 v[192:193], v[184:185], v[138:139]
	v_mul_f64_e32 v[138:139], v[186:187], v[138:139]
	scratch_load_b128 v[132:135], off, off offset:448
	v_add_f64_e32 v[188:189], v[188:189], v[190:191]
	v_add_f64_e32 v[198:199], v[178:179], v[176:177]
	ds_load_b128 v[176:179], v2 offset:1248
	s_wait_loadcnt_dscnt 0xb01
	v_mul_f64_e32 v[190:191], v[4:5], v[142:143]
	v_mul_f64_e32 v[142:143], v[6:7], v[142:143]
	v_fmac_f64_e32 v[192:193], v[186:187], v[136:137]
	v_fma_f64 v[184:185], v[184:185], v[136:137], -v[138:139]
	scratch_load_b128 v[136:139], off, off offset:464
	v_add_f64_e32 v[188:189], v[188:189], v[194:195]
	v_add_f64_e32 v[186:187], v[198:199], v[196:197]
	v_fmac_f64_e32 v[190:191], v[6:7], v[140:141]
	v_fma_f64 v[196:197], v[4:5], v[140:141], -v[142:143]
	ds_load_b128 v[4:7], v2 offset:1264
	s_wait_loadcnt_dscnt 0xb01
	v_mul_f64_e32 v[194:195], v[176:177], v[146:147]
	v_mul_f64_e32 v[146:147], v[178:179], v[146:147]
	scratch_load_b128 v[140:143], off, off offset:480
	v_add_f64_e32 v[188:189], v[188:189], v[192:193]
	s_wait_loadcnt_dscnt 0xb00
	v_mul_f64_e32 v[192:193], v[4:5], v[150:151]
	v_add_f64_e32 v[198:199], v[186:187], v[184:185]
	v_mul_f64_e32 v[150:151], v[6:7], v[150:151]
	ds_load_b128 v[184:187], v2 offset:1280
	v_fmac_f64_e32 v[194:195], v[178:179], v[144:145]
	v_fma_f64 v[176:177], v[176:177], v[144:145], -v[146:147]
	scratch_load_b128 v[144:147], off, off offset:496
	v_add_f64_e32 v[188:189], v[188:189], v[190:191]
	v_fmac_f64_e32 v[192:193], v[6:7], v[148:149]
	v_add_f64_e32 v[178:179], v[198:199], v[196:197]
	v_fma_f64 v[196:197], v[4:5], v[148:149], -v[150:151]
	ds_load_b128 v[4:7], v2 offset:1296
	s_wait_loadcnt_dscnt 0xb01
	v_mul_f64_e32 v[190:191], v[184:185], v[154:155]
	v_mul_f64_e32 v[154:155], v[186:187], v[154:155]
	scratch_load_b128 v[148:151], off, off offset:512
	v_add_f64_e32 v[188:189], v[188:189], v[194:195]
	s_wait_loadcnt_dscnt 0xb00
	v_mul_f64_e32 v[194:195], v[4:5], v[158:159]
	v_add_f64_e32 v[198:199], v[178:179], v[176:177]
	v_mul_f64_e32 v[158:159], v[6:7], v[158:159]
	ds_load_b128 v[176:179], v2 offset:1312
	v_fmac_f64_e32 v[190:191], v[186:187], v[152:153]
	v_fma_f64 v[184:185], v[184:185], v[152:153], -v[154:155]
	scratch_load_b128 v[152:155], off, off offset:528
	v_add_f64_e32 v[188:189], v[188:189], v[192:193]
	v_fmac_f64_e32 v[194:195], v[6:7], v[156:157]
	v_add_f64_e32 v[186:187], v[198:199], v[196:197]
	v_fma_f64 v[196:197], v[4:5], v[156:157], -v[158:159]
	ds_load_b128 v[4:7], v2 offset:1328
	s_wait_loadcnt_dscnt 0xb01
	v_mul_f64_e32 v[192:193], v[176:177], v[162:163]
	v_mul_f64_e32 v[162:163], v[178:179], v[162:163]
	scratch_load_b128 v[156:159], off, off offset:544
	v_add_f64_e32 v[188:189], v[188:189], v[190:191]
	s_wait_loadcnt_dscnt 0xb00
	v_mul_f64_e32 v[190:191], v[4:5], v[170:171]
	v_add_f64_e32 v[198:199], v[186:187], v[184:185]
	v_mul_f64_e32 v[170:171], v[6:7], v[170:171]
	ds_load_b128 v[184:187], v2 offset:1344
	v_fmac_f64_e32 v[192:193], v[178:179], v[160:161]
	v_fma_f64 v[176:177], v[176:177], v[160:161], -v[162:163]
	scratch_load_b128 v[160:163], off, off offset:560
	v_add_f64_e32 v[188:189], v[188:189], v[194:195]
	v_fmac_f64_e32 v[190:191], v[6:7], v[168:169]
	v_add_f64_e32 v[178:179], v[198:199], v[196:197]
	v_fma_f64 v[196:197], v[4:5], v[168:169], -v[170:171]
	ds_load_b128 v[4:7], v2 offset:1360
	s_wait_loadcnt_dscnt 0xa01
	v_mul_f64_e32 v[194:195], v[184:185], v[182:183]
	v_mul_f64_e32 v[182:183], v[186:187], v[182:183]
	scratch_load_b128 v[168:171], off, off offset:576
	v_add_f64_e32 v[188:189], v[188:189], v[192:193]
	v_add_f64_e32 v[198:199], v[178:179], v[176:177]
	s_wait_loadcnt_dscnt 0xa00
	v_mul_f64_e32 v[192:193], v[4:5], v[166:167]
	v_mul_f64_e32 v[166:167], v[6:7], v[166:167]
	v_fmac_f64_e32 v[194:195], v[186:187], v[180:181]
	v_fma_f64 v[184:185], v[184:185], v[180:181], -v[182:183]
	ds_load_b128 v[176:179], v2 offset:1376
	scratch_load_b128 v[180:183], off, off offset:592
	v_add_f64_e32 v[188:189], v[188:189], v[190:191]
	v_add_f64_e32 v[186:187], v[198:199], v[196:197]
	v_fmac_f64_e32 v[192:193], v[6:7], v[164:165]
	v_fma_f64 v[196:197], v[4:5], v[164:165], -v[166:167]
	ds_load_b128 v[4:7], v2 offset:1392
	s_wait_loadcnt_dscnt 0xa01
	v_mul_f64_e32 v[190:191], v[176:177], v[12:13]
	v_mul_f64_e32 v[12:13], v[178:179], v[12:13]
	scratch_load_b128 v[164:167], off, off offset:608
	v_add_f64_e32 v[188:189], v[188:189], v[194:195]
	s_wait_loadcnt_dscnt 0xa00
	v_mul_f64_e32 v[194:195], v[4:5], v[134:135]
	v_add_f64_e32 v[198:199], v[186:187], v[184:185]
	v_mul_f64_e32 v[134:135], v[6:7], v[134:135]
	ds_load_b128 v[184:187], v2 offset:1408
	v_fmac_f64_e32 v[190:191], v[178:179], v[10:11]
	v_fma_f64 v[176:177], v[176:177], v[10:11], -v[12:13]
	scratch_load_b128 v[10:13], off, off offset:624
	v_add_f64_e32 v[188:189], v[188:189], v[192:193]
	v_fmac_f64_e32 v[194:195], v[6:7], v[132:133]
	v_add_f64_e32 v[178:179], v[198:199], v[196:197]
	v_fma_f64 v[196:197], v[4:5], v[132:133], -v[134:135]
	ds_load_b128 v[4:7], v2 offset:1424
	s_wait_loadcnt_dscnt 0xa01
	v_mul_f64_e32 v[192:193], v[184:185], v[138:139]
	v_mul_f64_e32 v[138:139], v[186:187], v[138:139]
	scratch_load_b128 v[132:135], off, off offset:640
	v_add_f64_e32 v[188:189], v[188:189], v[190:191]
	s_wait_loadcnt_dscnt 0xa00
	v_mul_f64_e32 v[190:191], v[4:5], v[142:143]
	v_add_f64_e32 v[198:199], v[178:179], v[176:177]
	v_mul_f64_e32 v[142:143], v[6:7], v[142:143]
	ds_load_b128 v[176:179], v2 offset:1440
	v_fmac_f64_e32 v[192:193], v[186:187], v[136:137]
	v_fma_f64 v[184:185], v[184:185], v[136:137], -v[138:139]
	scratch_load_b128 v[136:139], off, off offset:656
	v_add_f64_e32 v[188:189], v[188:189], v[194:195]
	v_fmac_f64_e32 v[190:191], v[6:7], v[140:141]
	v_add_f64_e32 v[186:187], v[198:199], v[196:197]
	v_fma_f64 v[196:197], v[4:5], v[140:141], -v[142:143]
	ds_load_b128 v[4:7], v2 offset:1456
	s_wait_loadcnt_dscnt 0xa01
	v_mul_f64_e32 v[194:195], v[176:177], v[146:147]
	v_mul_f64_e32 v[146:147], v[178:179], v[146:147]
	scratch_load_b128 v[140:143], off, off offset:672
	v_add_f64_e32 v[188:189], v[188:189], v[192:193]
	s_wait_loadcnt_dscnt 0xa00
	v_mul_f64_e32 v[192:193], v[4:5], v[150:151]
	v_add_f64_e32 v[198:199], v[186:187], v[184:185]
	v_mul_f64_e32 v[150:151], v[6:7], v[150:151]
	ds_load_b128 v[184:187], v2 offset:1472
	v_fmac_f64_e32 v[194:195], v[178:179], v[144:145]
	v_fma_f64 v[176:177], v[176:177], v[144:145], -v[146:147]
	scratch_load_b128 v[144:147], off, off offset:688
	v_add_f64_e32 v[188:189], v[188:189], v[190:191]
	v_fmac_f64_e32 v[192:193], v[6:7], v[148:149]
	v_add_f64_e32 v[178:179], v[198:199], v[196:197]
	v_fma_f64 v[196:197], v[4:5], v[148:149], -v[150:151]
	ds_load_b128 v[4:7], v2 offset:1488
	s_wait_loadcnt_dscnt 0xa01
	v_mul_f64_e32 v[190:191], v[184:185], v[154:155]
	v_mul_f64_e32 v[154:155], v[186:187], v[154:155]
	scratch_load_b128 v[148:151], off, off offset:704
	v_add_f64_e32 v[188:189], v[188:189], v[194:195]
	s_wait_loadcnt_dscnt 0xa00
	v_mul_f64_e32 v[194:195], v[4:5], v[158:159]
	v_add_f64_e32 v[198:199], v[178:179], v[176:177]
	v_mul_f64_e32 v[158:159], v[6:7], v[158:159]
	ds_load_b128 v[176:179], v2 offset:1504
	v_fmac_f64_e32 v[190:191], v[186:187], v[152:153]
	v_fma_f64 v[184:185], v[184:185], v[152:153], -v[154:155]
	scratch_load_b128 v[152:155], off, off offset:720
	v_add_f64_e32 v[188:189], v[188:189], v[192:193]
	v_fmac_f64_e32 v[194:195], v[6:7], v[156:157]
	v_add_f64_e32 v[186:187], v[198:199], v[196:197]
	v_fma_f64 v[196:197], v[4:5], v[156:157], -v[158:159]
	ds_load_b128 v[4:7], v2 offset:1520
	s_wait_loadcnt_dscnt 0xa01
	v_mul_f64_e32 v[192:193], v[176:177], v[162:163]
	v_mul_f64_e32 v[162:163], v[178:179], v[162:163]
	scratch_load_b128 v[156:159], off, off offset:736
	v_add_f64_e32 v[188:189], v[188:189], v[190:191]
	s_wait_loadcnt_dscnt 0xa00
	v_mul_f64_e32 v[190:191], v[4:5], v[170:171]
	v_add_f64_e32 v[198:199], v[186:187], v[184:185]
	v_mul_f64_e32 v[170:171], v[6:7], v[170:171]
	ds_load_b128 v[184:187], v2 offset:1536
	v_fmac_f64_e32 v[192:193], v[178:179], v[160:161]
	v_fma_f64 v[176:177], v[176:177], v[160:161], -v[162:163]
	scratch_load_b128 v[160:163], off, off offset:752
	v_add_f64_e32 v[188:189], v[188:189], v[194:195]
	v_fmac_f64_e32 v[190:191], v[6:7], v[168:169]
	v_add_f64_e32 v[178:179], v[198:199], v[196:197]
	v_fma_f64 v[196:197], v[4:5], v[168:169], -v[170:171]
	ds_load_b128 v[4:7], v2 offset:1552
	s_wait_loadcnt_dscnt 0xa01
	v_mul_f64_e32 v[194:195], v[184:185], v[182:183]
	v_mul_f64_e32 v[182:183], v[186:187], v[182:183]
	scratch_load_b128 v[168:171], off, off offset:768
	v_add_f64_e32 v[188:189], v[188:189], v[192:193]
	s_wait_loadcnt_dscnt 0xa00
	v_mul_f64_e32 v[192:193], v[4:5], v[166:167]
	v_add_f64_e32 v[198:199], v[178:179], v[176:177]
	v_mul_f64_e32 v[166:167], v[6:7], v[166:167]
	ds_load_b128 v[176:179], v2 offset:1568
	v_fmac_f64_e32 v[194:195], v[186:187], v[180:181]
	v_fma_f64 v[184:185], v[184:185], v[180:181], -v[182:183]
	scratch_load_b128 v[180:183], off, off offset:784
	v_add_f64_e32 v[188:189], v[188:189], v[190:191]
	v_fmac_f64_e32 v[192:193], v[6:7], v[164:165]
	v_add_f64_e32 v[186:187], v[198:199], v[196:197]
	v_fma_f64 v[196:197], v[4:5], v[164:165], -v[166:167]
	ds_load_b128 v[4:7], v2 offset:1584
	s_wait_loadcnt_dscnt 0xa01
	v_mul_f64_e32 v[190:191], v[176:177], v[12:13]
	v_mul_f64_e32 v[12:13], v[178:179], v[12:13]
	scratch_load_b128 v[164:167], off, off offset:800
	v_add_f64_e32 v[188:189], v[188:189], v[194:195]
	s_wait_loadcnt_dscnt 0xa00
	v_mul_f64_e32 v[194:195], v[4:5], v[134:135]
	v_add_f64_e32 v[198:199], v[186:187], v[184:185]
	v_mul_f64_e32 v[134:135], v[6:7], v[134:135]
	ds_load_b128 v[184:187], v2 offset:1600
	v_fmac_f64_e32 v[190:191], v[178:179], v[10:11]
	v_fma_f64 v[176:177], v[176:177], v[10:11], -v[12:13]
	scratch_load_b128 v[10:13], off, off offset:816
	v_add_f64_e32 v[188:189], v[188:189], v[192:193]
	v_fmac_f64_e32 v[194:195], v[6:7], v[132:133]
	v_add_f64_e32 v[178:179], v[198:199], v[196:197]
	v_fma_f64 v[196:197], v[4:5], v[132:133], -v[134:135]
	ds_load_b128 v[4:7], v2 offset:1616
	s_wait_loadcnt_dscnt 0xa01
	v_mul_f64_e32 v[192:193], v[184:185], v[138:139]
	v_mul_f64_e32 v[138:139], v[186:187], v[138:139]
	scratch_load_b128 v[132:135], off, off offset:832
	v_add_f64_e32 v[188:189], v[188:189], v[190:191]
	s_wait_loadcnt_dscnt 0xa00
	v_mul_f64_e32 v[190:191], v[4:5], v[142:143]
	v_add_f64_e32 v[198:199], v[178:179], v[176:177]
	v_mul_f64_e32 v[142:143], v[6:7], v[142:143]
	ds_load_b128 v[176:179], v2 offset:1632
	v_fmac_f64_e32 v[192:193], v[186:187], v[136:137]
	v_fma_f64 v[184:185], v[184:185], v[136:137], -v[138:139]
	scratch_load_b128 v[136:139], off, off offset:848
	v_add_f64_e32 v[188:189], v[188:189], v[194:195]
	v_fmac_f64_e32 v[190:191], v[6:7], v[140:141]
	v_add_f64_e32 v[186:187], v[198:199], v[196:197]
	v_fma_f64 v[196:197], v[4:5], v[140:141], -v[142:143]
	ds_load_b128 v[4:7], v2 offset:1648
	s_wait_loadcnt_dscnt 0xa01
	v_mul_f64_e32 v[194:195], v[176:177], v[146:147]
	v_mul_f64_e32 v[146:147], v[178:179], v[146:147]
	scratch_load_b128 v[140:143], off, off offset:864
	v_add_f64_e32 v[188:189], v[188:189], v[192:193]
	s_wait_loadcnt_dscnt 0xa00
	v_mul_f64_e32 v[192:193], v[4:5], v[150:151]
	v_add_f64_e32 v[198:199], v[186:187], v[184:185]
	v_mul_f64_e32 v[150:151], v[6:7], v[150:151]
	ds_load_b128 v[184:187], v2 offset:1664
	v_fmac_f64_e32 v[194:195], v[178:179], v[144:145]
	v_fma_f64 v[176:177], v[176:177], v[144:145], -v[146:147]
	scratch_load_b128 v[144:147], off, off offset:880
	v_add_f64_e32 v[188:189], v[188:189], v[190:191]
	v_fmac_f64_e32 v[192:193], v[6:7], v[148:149]
	v_add_f64_e32 v[178:179], v[198:199], v[196:197]
	v_fma_f64 v[196:197], v[4:5], v[148:149], -v[150:151]
	ds_load_b128 v[4:7], v2 offset:1680
	s_wait_loadcnt_dscnt 0xa01
	v_mul_f64_e32 v[190:191], v[184:185], v[154:155]
	v_mul_f64_e32 v[154:155], v[186:187], v[154:155]
	scratch_load_b128 v[148:151], off, off offset:896
	v_add_f64_e32 v[188:189], v[188:189], v[194:195]
	s_wait_loadcnt_dscnt 0xa00
	v_mul_f64_e32 v[194:195], v[4:5], v[158:159]
	v_add_f64_e32 v[198:199], v[178:179], v[176:177]
	v_mul_f64_e32 v[158:159], v[6:7], v[158:159]
	ds_load_b128 v[176:179], v2 offset:1696
	v_fmac_f64_e32 v[190:191], v[186:187], v[152:153]
	v_fma_f64 v[184:185], v[184:185], v[152:153], -v[154:155]
	scratch_load_b128 v[152:155], off, off offset:912
	v_add_f64_e32 v[188:189], v[188:189], v[192:193]
	v_fmac_f64_e32 v[194:195], v[6:7], v[156:157]
	v_add_f64_e32 v[186:187], v[198:199], v[196:197]
	v_fma_f64 v[196:197], v[4:5], v[156:157], -v[158:159]
	ds_load_b128 v[4:7], v2 offset:1712
	s_wait_loadcnt_dscnt 0xa01
	v_mul_f64_e32 v[192:193], v[176:177], v[162:163]
	v_mul_f64_e32 v[162:163], v[178:179], v[162:163]
	scratch_load_b128 v[156:159], off, off offset:928
	v_add_f64_e32 v[188:189], v[188:189], v[190:191]
	s_wait_loadcnt_dscnt 0xa00
	v_mul_f64_e32 v[190:191], v[4:5], v[170:171]
	v_add_f64_e32 v[198:199], v[186:187], v[184:185]
	v_mul_f64_e32 v[170:171], v[6:7], v[170:171]
	ds_load_b128 v[184:187], v2 offset:1728
	v_fmac_f64_e32 v[192:193], v[178:179], v[160:161]
	v_fma_f64 v[160:161], v[176:177], v[160:161], -v[162:163]
	s_wait_loadcnt_dscnt 0x900
	v_mul_f64_e32 v[178:179], v[184:185], v[182:183]
	v_mul_f64_e32 v[182:183], v[186:187], v[182:183]
	v_add_f64_e32 v[176:177], v[188:189], v[194:195]
	v_fmac_f64_e32 v[190:191], v[6:7], v[168:169]
	v_add_f64_e32 v[162:163], v[198:199], v[196:197]
	v_fma_f64 v[168:169], v[4:5], v[168:169], -v[170:171]
	v_fmac_f64_e32 v[178:179], v[186:187], v[180:181]
	v_fma_f64 v[180:181], v[184:185], v[180:181], -v[182:183]
	v_add_f64_e32 v[176:177], v[176:177], v[192:193]
	v_add_f64_e32 v[170:171], v[162:163], v[160:161]
	ds_load_b128 v[4:7], v2 offset:1744
	ds_load_b128 v[160:163], v2 offset:1760
	s_wait_loadcnt_dscnt 0x801
	v_mul_f64_e32 v[188:189], v[4:5], v[166:167]
	v_mul_f64_e32 v[166:167], v[6:7], v[166:167]
	v_add_f64_e32 v[168:169], v[170:171], v[168:169]
	v_add_f64_e32 v[170:171], v[176:177], v[190:191]
	s_wait_loadcnt_dscnt 0x700
	v_mul_f64_e32 v[176:177], v[160:161], v[12:13]
	v_mul_f64_e32 v[12:13], v[162:163], v[12:13]
	v_fmac_f64_e32 v[188:189], v[6:7], v[164:165]
	v_fma_f64 v[182:183], v[4:5], v[164:165], -v[166:167]
	ds_load_b128 v[4:7], v2 offset:1776
	ds_load_b128 v[164:167], v2 offset:1792
	v_add_f64_e32 v[168:169], v[168:169], v[180:181]
	v_add_f64_e32 v[170:171], v[170:171], v[178:179]
	v_fmac_f64_e32 v[176:177], v[162:163], v[10:11]
	v_fma_f64 v[10:11], v[160:161], v[10:11], -v[12:13]
	s_wait_loadcnt_dscnt 0x601
	v_mul_f64_e32 v[178:179], v[4:5], v[134:135]
	v_mul_f64_e32 v[134:135], v[6:7], v[134:135]
	s_wait_loadcnt_dscnt 0x500
	v_mul_f64_e32 v[162:163], v[164:165], v[138:139]
	v_mul_f64_e32 v[138:139], v[166:167], v[138:139]
	v_add_f64_e32 v[12:13], v[168:169], v[182:183]
	v_add_f64_e32 v[160:161], v[170:171], v[188:189]
	v_fmac_f64_e32 v[178:179], v[6:7], v[132:133]
	v_fma_f64 v[132:133], v[4:5], v[132:133], -v[134:135]
	v_fmac_f64_e32 v[162:163], v[166:167], v[136:137]
	v_fma_f64 v[136:137], v[164:165], v[136:137], -v[138:139]
	v_add_f64_e32 v[134:135], v[12:13], v[10:11]
	v_add_f64_e32 v[160:161], v[160:161], v[176:177]
	ds_load_b128 v[4:7], v2 offset:1808
	ds_load_b128 v[10:13], v2 offset:1824
	s_wait_loadcnt_dscnt 0x401
	v_mul_f64_e32 v[168:169], v[4:5], v[142:143]
	v_mul_f64_e32 v[142:143], v[6:7], v[142:143]
	s_wait_loadcnt_dscnt 0x300
	v_mul_f64_e32 v[138:139], v[10:11], v[146:147]
	v_mul_f64_e32 v[146:147], v[12:13], v[146:147]
	v_add_f64_e32 v[132:133], v[134:135], v[132:133]
	v_add_f64_e32 v[134:135], v[160:161], v[178:179]
	v_fmac_f64_e32 v[168:169], v[6:7], v[140:141]
	v_fma_f64 v[140:141], v[4:5], v[140:141], -v[142:143]
	v_fmac_f64_e32 v[138:139], v[12:13], v[144:145]
	v_fma_f64 v[10:11], v[10:11], v[144:145], -v[146:147]
	v_add_f64_e32 v[136:137], v[132:133], v[136:137]
	v_add_f64_e32 v[142:143], v[134:135], v[162:163]
	ds_load_b128 v[4:7], v2 offset:1840
	ds_load_b128 v[132:135], v2 offset:1856
	s_wait_loadcnt_dscnt 0x201
	v_mul_f64_e32 v[160:161], v[4:5], v[150:151]
	v_mul_f64_e32 v[150:151], v[6:7], v[150:151]
	v_add_f64_e32 v[12:13], v[136:137], v[140:141]
	v_add_f64_e32 v[136:137], v[142:143], v[168:169]
	s_wait_loadcnt_dscnt 0x100
	v_mul_f64_e32 v[140:141], v[132:133], v[154:155]
	v_mul_f64_e32 v[142:143], v[134:135], v[154:155]
	v_fmac_f64_e32 v[160:161], v[6:7], v[148:149]
	v_fma_f64 v[144:145], v[4:5], v[148:149], -v[150:151]
	ds_load_b128 v[4:7], v2 offset:1872
	v_add_f64_e32 v[10:11], v[12:13], v[10:11]
	v_add_f64_e32 v[12:13], v[136:137], v[138:139]
	v_fmac_f64_e32 v[140:141], v[134:135], v[152:153]
	v_fma_f64 v[132:133], v[132:133], v[152:153], -v[142:143]
	s_wait_loadcnt_dscnt 0x0
	v_mul_f64_e32 v[136:137], v[4:5], v[158:159]
	v_mul_f64_e32 v[138:139], v[6:7], v[158:159]
	v_add_f64_e32 v[10:11], v[10:11], v[144:145]
	v_add_f64_e32 v[12:13], v[12:13], v[160:161]
	s_delay_alu instid0(VALU_DEP_4) | instskip(NEXT) | instid1(VALU_DEP_4)
	v_fmac_f64_e32 v[136:137], v[6:7], v[156:157]
	v_fma_f64 v[4:5], v[4:5], v[156:157], -v[138:139]
	s_delay_alu instid0(VALU_DEP_4) | instskip(NEXT) | instid1(VALU_DEP_4)
	v_add_f64_e32 v[6:7], v[10:11], v[132:133]
	v_add_f64_e32 v[10:11], v[12:13], v[140:141]
	s_delay_alu instid0(VALU_DEP_2) | instskip(NEXT) | instid1(VALU_DEP_2)
	v_add_f64_e32 v[4:5], v[6:7], v[4:5]
	v_add_f64_e32 v[6:7], v[10:11], v[136:137]
	s_delay_alu instid0(VALU_DEP_2) | instskip(NEXT) | instid1(VALU_DEP_2)
	v_add_f64_e64 v[4:5], v[172:173], -v[4:5]
	v_add_f64_e64 v[6:7], v[174:175], -v[6:7]
	scratch_store_b128 off, v[4:7], off offset:208
	s_wait_xcnt 0x0
	v_cmpx_lt_u32_e32 12, v1
	s_cbranch_execz .LBB122_343
; %bb.342:
	scratch_load_b128 v[10:13], off, s63
	v_dual_mov_b32 v3, v2 :: v_dual_mov_b32 v4, v2
	v_mov_b32_e32 v5, v2
	scratch_store_b128 off, v[2:5], off offset:192
	s_wait_loadcnt 0x0
	ds_store_b128 v8, v[10:13]
.LBB122_343:
	s_wait_xcnt 0x0
	s_or_b32 exec_lo, exec_lo, s2
	s_wait_storecnt_dscnt 0x0
	s_barrier_signal -1
	s_barrier_wait -1
	s_clause 0x9
	scratch_load_b128 v[4:7], off, off offset:208
	scratch_load_b128 v[10:13], off, off offset:224
	;; [unrolled: 1-line block ×10, first 2 shown]
	ds_load_b128 v[164:167], v2 offset:1152
	ds_load_b128 v[172:175], v2 offset:1168
	s_clause 0x2
	scratch_load_b128 v[168:171], off, off offset:368
	scratch_load_b128 v[176:179], off, off offset:192
	;; [unrolled: 1-line block ×3, first 2 shown]
	s_mov_b32 s2, exec_lo
	s_wait_loadcnt_dscnt 0xc01
	v_mul_f64_e32 v[184:185], v[166:167], v[6:7]
	v_mul_f64_e32 v[188:189], v[164:165], v[6:7]
	s_wait_loadcnt_dscnt 0xb00
	v_mul_f64_e32 v[190:191], v[172:173], v[12:13]
	v_mul_f64_e32 v[12:13], v[174:175], v[12:13]
	s_delay_alu instid0(VALU_DEP_4) | instskip(NEXT) | instid1(VALU_DEP_4)
	v_fma_f64 v[192:193], v[164:165], v[4:5], -v[184:185]
	v_fmac_f64_e32 v[188:189], v[166:167], v[4:5]
	ds_load_b128 v[4:7], v2 offset:1184
	ds_load_b128 v[164:167], v2 offset:1200
	scratch_load_b128 v[184:187], off, off offset:400
	v_fmac_f64_e32 v[190:191], v[174:175], v[10:11]
	v_fma_f64 v[172:173], v[172:173], v[10:11], -v[12:13]
	scratch_load_b128 v[10:13], off, off offset:416
	s_wait_loadcnt_dscnt 0xc01
	v_mul_f64_e32 v[194:195], v[4:5], v[134:135]
	v_mul_f64_e32 v[134:135], v[6:7], v[134:135]
	v_add_f64_e32 v[174:175], 0, v[192:193]
	v_add_f64_e32 v[188:189], 0, v[188:189]
	s_wait_loadcnt_dscnt 0xb00
	v_mul_f64_e32 v[192:193], v[164:165], v[138:139]
	v_mul_f64_e32 v[138:139], v[166:167], v[138:139]
	v_fmac_f64_e32 v[194:195], v[6:7], v[132:133]
	v_fma_f64 v[196:197], v[4:5], v[132:133], -v[134:135]
	ds_load_b128 v[4:7], v2 offset:1216
	ds_load_b128 v[132:135], v2 offset:1232
	v_add_f64_e32 v[198:199], v[174:175], v[172:173]
	v_add_f64_e32 v[188:189], v[188:189], v[190:191]
	scratch_load_b128 v[172:175], off, off offset:432
	v_fmac_f64_e32 v[192:193], v[166:167], v[136:137]
	v_fma_f64 v[164:165], v[164:165], v[136:137], -v[138:139]
	scratch_load_b128 v[136:139], off, off offset:448
	s_wait_loadcnt_dscnt 0xc01
	v_mul_f64_e32 v[190:191], v[4:5], v[142:143]
	v_mul_f64_e32 v[142:143], v[6:7], v[142:143]
	v_add_f64_e32 v[166:167], v[198:199], v[196:197]
	v_add_f64_e32 v[188:189], v[188:189], v[194:195]
	s_wait_loadcnt_dscnt 0xb00
	v_mul_f64_e32 v[194:195], v[132:133], v[146:147]
	v_mul_f64_e32 v[146:147], v[134:135], v[146:147]
	v_fmac_f64_e32 v[190:191], v[6:7], v[140:141]
	v_fma_f64 v[196:197], v[4:5], v[140:141], -v[142:143]
	ds_load_b128 v[4:7], v2 offset:1248
	ds_load_b128 v[140:143], v2 offset:1264
	v_add_f64_e32 v[198:199], v[166:167], v[164:165]
	v_add_f64_e32 v[188:189], v[188:189], v[192:193]
	scratch_load_b128 v[164:167], off, off offset:464
	s_wait_loadcnt_dscnt 0xb01
	v_mul_f64_e32 v[192:193], v[4:5], v[150:151]
	v_mul_f64_e32 v[150:151], v[6:7], v[150:151]
	v_fmac_f64_e32 v[194:195], v[134:135], v[144:145]
	v_fma_f64 v[144:145], v[132:133], v[144:145], -v[146:147]
	scratch_load_b128 v[132:135], off, off offset:480
	v_add_f64_e32 v[146:147], v[198:199], v[196:197]
	v_add_f64_e32 v[188:189], v[188:189], v[190:191]
	s_wait_loadcnt_dscnt 0xb00
	v_mul_f64_e32 v[190:191], v[140:141], v[154:155]
	v_mul_f64_e32 v[154:155], v[142:143], v[154:155]
	v_fmac_f64_e32 v[192:193], v[6:7], v[148:149]
	v_fma_f64 v[196:197], v[4:5], v[148:149], -v[150:151]
	v_add_f64_e32 v[198:199], v[146:147], v[144:145]
	v_add_f64_e32 v[188:189], v[188:189], v[194:195]
	ds_load_b128 v[4:7], v2 offset:1280
	ds_load_b128 v[144:147], v2 offset:1296
	scratch_load_b128 v[148:151], off, off offset:496
	v_fmac_f64_e32 v[190:191], v[142:143], v[152:153]
	v_fma_f64 v[152:153], v[140:141], v[152:153], -v[154:155]
	scratch_load_b128 v[140:143], off, off offset:512
	s_wait_loadcnt_dscnt 0xc01
	v_mul_f64_e32 v[194:195], v[4:5], v[158:159]
	v_mul_f64_e32 v[158:159], v[6:7], v[158:159]
	v_add_f64_e32 v[154:155], v[198:199], v[196:197]
	v_add_f64_e32 v[188:189], v[188:189], v[192:193]
	s_wait_loadcnt_dscnt 0xb00
	v_mul_f64_e32 v[192:193], v[144:145], v[162:163]
	v_mul_f64_e32 v[162:163], v[146:147], v[162:163]
	v_fmac_f64_e32 v[194:195], v[6:7], v[156:157]
	v_fma_f64 v[196:197], v[4:5], v[156:157], -v[158:159]
	v_add_f64_e32 v[198:199], v[154:155], v[152:153]
	v_add_f64_e32 v[188:189], v[188:189], v[190:191]
	ds_load_b128 v[4:7], v2 offset:1312
	ds_load_b128 v[152:155], v2 offset:1328
	scratch_load_b128 v[156:159], off, off offset:528
	v_fmac_f64_e32 v[192:193], v[146:147], v[160:161]
	v_fma_f64 v[160:161], v[144:145], v[160:161], -v[162:163]
	scratch_load_b128 v[144:147], off, off offset:544
	s_wait_loadcnt_dscnt 0xc01
	v_mul_f64_e32 v[190:191], v[4:5], v[170:171]
	v_mul_f64_e32 v[170:171], v[6:7], v[170:171]
	;; [unrolled: 18-line block ×5, first 2 shown]
	v_add_f64_e32 v[182:183], v[198:199], v[196:197]
	v_add_f64_e32 v[188:189], v[188:189], v[194:195]
	s_wait_loadcnt_dscnt 0xa00
	v_mul_f64_e32 v[194:195], v[160:161], v[134:135]
	v_mul_f64_e32 v[134:135], v[162:163], v[134:135]
	v_fmac_f64_e32 v[190:191], v[6:7], v[164:165]
	v_fma_f64 v[196:197], v[4:5], v[164:165], -v[166:167]
	ds_load_b128 v[4:7], v2 offset:1440
	ds_load_b128 v[164:167], v2 offset:1456
	v_add_f64_e32 v[198:199], v[182:183], v[180:181]
	v_add_f64_e32 v[188:189], v[188:189], v[192:193]
	scratch_load_b128 v[180:183], off, off offset:656
	v_fmac_f64_e32 v[194:195], v[162:163], v[132:133]
	v_fma_f64 v[160:161], v[160:161], v[132:133], -v[134:135]
	scratch_load_b128 v[132:135], off, off offset:672
	s_wait_loadcnt_dscnt 0xb01
	v_mul_f64_e32 v[192:193], v[4:5], v[150:151]
	v_mul_f64_e32 v[150:151], v[6:7], v[150:151]
	v_add_f64_e32 v[162:163], v[198:199], v[196:197]
	v_add_f64_e32 v[188:189], v[188:189], v[190:191]
	s_wait_loadcnt_dscnt 0xa00
	v_mul_f64_e32 v[190:191], v[164:165], v[142:143]
	v_mul_f64_e32 v[142:143], v[166:167], v[142:143]
	v_fmac_f64_e32 v[192:193], v[6:7], v[148:149]
	v_fma_f64 v[196:197], v[4:5], v[148:149], -v[150:151]
	ds_load_b128 v[4:7], v2 offset:1472
	ds_load_b128 v[148:151], v2 offset:1488
	v_add_f64_e32 v[198:199], v[162:163], v[160:161]
	v_add_f64_e32 v[188:189], v[188:189], v[194:195]
	scratch_load_b128 v[160:163], off, off offset:688
	s_wait_loadcnt_dscnt 0xa01
	v_mul_f64_e32 v[194:195], v[4:5], v[158:159]
	v_mul_f64_e32 v[158:159], v[6:7], v[158:159]
	v_fmac_f64_e32 v[190:191], v[166:167], v[140:141]
	v_fma_f64 v[164:165], v[164:165], v[140:141], -v[142:143]
	scratch_load_b128 v[140:143], off, off offset:704
	v_add_f64_e32 v[166:167], v[198:199], v[196:197]
	v_add_f64_e32 v[188:189], v[188:189], v[192:193]
	s_wait_loadcnt_dscnt 0xa00
	v_mul_f64_e32 v[192:193], v[148:149], v[146:147]
	v_mul_f64_e32 v[146:147], v[150:151], v[146:147]
	v_fmac_f64_e32 v[194:195], v[6:7], v[156:157]
	v_fma_f64 v[196:197], v[4:5], v[156:157], -v[158:159]
	ds_load_b128 v[4:7], v2 offset:1504
	ds_load_b128 v[156:159], v2 offset:1520
	v_add_f64_e32 v[198:199], v[166:167], v[164:165]
	v_add_f64_e32 v[188:189], v[188:189], v[190:191]
	scratch_load_b128 v[164:167], off, off offset:720
	s_wait_loadcnt_dscnt 0xa01
	v_mul_f64_e32 v[190:191], v[4:5], v[170:171]
	v_mul_f64_e32 v[170:171], v[6:7], v[170:171]
	v_fmac_f64_e32 v[192:193], v[150:151], v[144:145]
	v_fma_f64 v[148:149], v[148:149], v[144:145], -v[146:147]
	scratch_load_b128 v[144:147], off, off offset:736
	v_add_f64_e32 v[150:151], v[198:199], v[196:197]
	v_add_f64_e32 v[188:189], v[188:189], v[194:195]
	s_wait_loadcnt_dscnt 0xa00
	v_mul_f64_e32 v[194:195], v[156:157], v[154:155]
	v_mul_f64_e32 v[154:155], v[158:159], v[154:155]
	v_fmac_f64_e32 v[190:191], v[6:7], v[168:169]
	v_fma_f64 v[196:197], v[4:5], v[168:169], -v[170:171]
	v_add_f64_e32 v[198:199], v[150:151], v[148:149]
	v_add_f64_e32 v[188:189], v[188:189], v[192:193]
	ds_load_b128 v[4:7], v2 offset:1536
	ds_load_b128 v[148:151], v2 offset:1552
	scratch_load_b128 v[168:171], off, off offset:752
	v_fmac_f64_e32 v[194:195], v[158:159], v[152:153]
	v_fma_f64 v[156:157], v[156:157], v[152:153], -v[154:155]
	scratch_load_b128 v[152:155], off, off offset:768
	s_wait_loadcnt_dscnt 0xb01
	v_mul_f64_e32 v[192:193], v[4:5], v[186:187]
	v_mul_f64_e32 v[186:187], v[6:7], v[186:187]
	v_add_f64_e32 v[158:159], v[198:199], v[196:197]
	v_add_f64_e32 v[188:189], v[188:189], v[190:191]
	s_wait_loadcnt_dscnt 0xa00
	v_mul_f64_e32 v[190:191], v[148:149], v[12:13]
	v_mul_f64_e32 v[12:13], v[150:151], v[12:13]
	v_fmac_f64_e32 v[192:193], v[6:7], v[184:185]
	v_fma_f64 v[196:197], v[4:5], v[184:185], -v[186:187]
	v_add_f64_e32 v[198:199], v[158:159], v[156:157]
	v_add_f64_e32 v[188:189], v[188:189], v[194:195]
	ds_load_b128 v[4:7], v2 offset:1568
	ds_load_b128 v[156:159], v2 offset:1584
	scratch_load_b128 v[184:187], off, off offset:784
	v_fmac_f64_e32 v[190:191], v[150:151], v[10:11]
	v_fma_f64 v[148:149], v[148:149], v[10:11], -v[12:13]
	scratch_load_b128 v[10:13], off, off offset:800
	s_wait_loadcnt_dscnt 0xb01
	v_mul_f64_e32 v[194:195], v[4:5], v[174:175]
	v_mul_f64_e32 v[174:175], v[6:7], v[174:175]
	;; [unrolled: 18-line block ×6, first 2 shown]
	v_add_f64_e32 v[150:151], v[198:199], v[196:197]
	v_add_f64_e32 v[188:189], v[188:189], v[194:195]
	s_wait_loadcnt_dscnt 0xa00
	v_mul_f64_e32 v[194:195], v[156:157], v[154:155]
	v_mul_f64_e32 v[154:155], v[158:159], v[154:155]
	v_fmac_f64_e32 v[190:191], v[6:7], v[168:169]
	v_fma_f64 v[168:169], v[4:5], v[168:169], -v[170:171]
	v_add_f64_e32 v[170:171], v[150:151], v[148:149]
	v_add_f64_e32 v[188:189], v[188:189], v[192:193]
	ds_load_b128 v[4:7], v2 offset:1728
	ds_load_b128 v[148:151], v2 offset:1744
	v_fmac_f64_e32 v[194:195], v[158:159], v[152:153]
	v_fma_f64 v[152:153], v[156:157], v[152:153], -v[154:155]
	s_wait_loadcnt_dscnt 0x901
	v_mul_f64_e32 v[192:193], v[4:5], v[186:187]
	v_mul_f64_e32 v[186:187], v[6:7], v[186:187]
	s_wait_loadcnt_dscnt 0x800
	v_mul_f64_e32 v[158:159], v[148:149], v[12:13]
	v_mul_f64_e32 v[12:13], v[150:151], v[12:13]
	v_add_f64_e32 v[154:155], v[170:171], v[168:169]
	v_add_f64_e32 v[156:157], v[188:189], v[190:191]
	v_fmac_f64_e32 v[192:193], v[6:7], v[184:185]
	v_fma_f64 v[168:169], v[4:5], v[184:185], -v[186:187]
	v_fmac_f64_e32 v[158:159], v[150:151], v[10:11]
	v_fma_f64 v[10:11], v[148:149], v[10:11], -v[12:13]
	v_add_f64_e32 v[170:171], v[154:155], v[152:153]
	v_add_f64_e32 v[156:157], v[156:157], v[194:195]
	ds_load_b128 v[4:7], v2 offset:1760
	ds_load_b128 v[152:155], v2 offset:1776
	s_wait_loadcnt_dscnt 0x701
	v_mul_f64_e32 v[184:185], v[4:5], v[174:175]
	v_mul_f64_e32 v[174:175], v[6:7], v[174:175]
	s_wait_loadcnt_dscnt 0x600
	v_mul_f64_e32 v[150:151], v[152:153], v[138:139]
	v_mul_f64_e32 v[138:139], v[154:155], v[138:139]
	v_add_f64_e32 v[12:13], v[170:171], v[168:169]
	v_add_f64_e32 v[148:149], v[156:157], v[192:193]
	v_fmac_f64_e32 v[184:185], v[6:7], v[172:173]
	v_fma_f64 v[156:157], v[4:5], v[172:173], -v[174:175]
	v_fmac_f64_e32 v[150:151], v[154:155], v[136:137]
	v_fma_f64 v[136:137], v[152:153], v[136:137], -v[138:139]
	v_add_f64_e32 v[168:169], v[12:13], v[10:11]
	v_add_f64_e32 v[148:149], v[148:149], v[158:159]
	ds_load_b128 v[4:7], v2 offset:1792
	ds_load_b128 v[10:13], v2 offset:1808
	s_wait_loadcnt_dscnt 0x501
	v_mul_f64_e32 v[158:159], v[4:5], v[182:183]
	v_mul_f64_e32 v[170:171], v[6:7], v[182:183]
	s_wait_loadcnt_dscnt 0x400
	v_mul_f64_e32 v[152:153], v[10:11], v[134:135]
	v_mul_f64_e32 v[154:155], v[12:13], v[134:135]
	v_add_f64_e32 v[138:139], v[168:169], v[156:157]
	v_add_f64_e32 v[148:149], v[148:149], v[184:185]
	v_fmac_f64_e32 v[158:159], v[6:7], v[180:181]
	v_fma_f64 v[156:157], v[4:5], v[180:181], -v[170:171]
	v_fmac_f64_e32 v[152:153], v[12:13], v[132:133]
	v_fma_f64 v[10:11], v[10:11], v[132:133], -v[154:155]
	v_add_f64_e32 v[138:139], v[138:139], v[136:137]
	v_add_f64_e32 v[148:149], v[148:149], v[150:151]
	ds_load_b128 v[4:7], v2 offset:1824
	ds_load_b128 v[134:137], v2 offset:1840
	s_wait_loadcnt_dscnt 0x301
	v_mul_f64_e32 v[150:151], v[4:5], v[162:163]
	v_mul_f64_e32 v[162:163], v[6:7], v[162:163]
	v_add_f64_e32 v[12:13], v[138:139], v[156:157]
	v_add_f64_e32 v[132:133], v[148:149], v[158:159]
	s_wait_loadcnt_dscnt 0x200
	v_mul_f64_e32 v[138:139], v[134:135], v[142:143]
	v_mul_f64_e32 v[142:143], v[136:137], v[142:143]
	v_fmac_f64_e32 v[150:151], v[6:7], v[160:161]
	v_fma_f64 v[148:149], v[4:5], v[160:161], -v[162:163]
	v_add_f64_e32 v[154:155], v[12:13], v[10:11]
	v_add_f64_e32 v[132:133], v[132:133], v[152:153]
	ds_load_b128 v[4:7], v2 offset:1856
	ds_load_b128 v[10:13], v2 offset:1872
	v_fmac_f64_e32 v[138:139], v[136:137], v[140:141]
	v_fma_f64 v[134:135], v[134:135], v[140:141], -v[142:143]
	s_wait_loadcnt_dscnt 0x101
	v_mul_f64_e32 v[2:3], v[4:5], v[166:167]
	v_mul_f64_e32 v[152:153], v[6:7], v[166:167]
	s_wait_loadcnt_dscnt 0x0
	v_mul_f64_e32 v[140:141], v[10:11], v[146:147]
	v_mul_f64_e32 v[142:143], v[12:13], v[146:147]
	v_add_f64_e32 v[136:137], v[154:155], v[148:149]
	v_add_f64_e32 v[132:133], v[132:133], v[150:151]
	v_fmac_f64_e32 v[2:3], v[6:7], v[164:165]
	v_fma_f64 v[4:5], v[4:5], v[164:165], -v[152:153]
	v_fmac_f64_e32 v[140:141], v[12:13], v[144:145]
	v_fma_f64 v[10:11], v[10:11], v[144:145], -v[142:143]
	v_add_f64_e32 v[6:7], v[136:137], v[134:135]
	v_add_f64_e32 v[132:133], v[132:133], v[138:139]
	s_delay_alu instid0(VALU_DEP_2) | instskip(NEXT) | instid1(VALU_DEP_2)
	v_add_f64_e32 v[4:5], v[6:7], v[4:5]
	v_add_f64_e32 v[2:3], v[132:133], v[2:3]
	s_delay_alu instid0(VALU_DEP_2) | instskip(NEXT) | instid1(VALU_DEP_2)
	;; [unrolled: 3-line block ×3, first 2 shown]
	v_add_f64_e64 v[2:3], v[176:177], -v[4:5]
	v_add_f64_e64 v[4:5], v[178:179], -v[6:7]
	scratch_store_b128 off, v[2:5], off offset:192
	s_wait_xcnt 0x0
	v_cmpx_lt_u32_e32 11, v1
	s_cbranch_execz .LBB122_345
; %bb.344:
	scratch_load_b128 v[2:5], off, s64
	v_mov_b32_e32 v10, 0
	s_delay_alu instid0(VALU_DEP_1)
	v_dual_mov_b32 v11, v10 :: v_dual_mov_b32 v12, v10
	v_mov_b32_e32 v13, v10
	scratch_store_b128 off, v[10:13], off offset:176
	s_wait_loadcnt 0x0
	ds_store_b128 v8, v[2:5]
.LBB122_345:
	s_wait_xcnt 0x0
	s_or_b32 exec_lo, exec_lo, s2
	s_wait_storecnt_dscnt 0x0
	s_barrier_signal -1
	s_barrier_wait -1
	s_clause 0x9
	scratch_load_b128 v[4:7], off, off offset:192
	scratch_load_b128 v[10:13], off, off offset:208
	;; [unrolled: 1-line block ×10, first 2 shown]
	v_mov_b32_e32 v2, 0
	s_mov_b32 s2, exec_lo
	ds_load_b128 v[164:167], v2 offset:1136
	s_clause 0x2
	scratch_load_b128 v[168:171], off, off offset:352
	scratch_load_b128 v[172:175], off, off offset:176
	;; [unrolled: 1-line block ×3, first 2 shown]
	s_wait_loadcnt_dscnt 0xc00
	v_mul_f64_e32 v[184:185], v[166:167], v[6:7]
	v_mul_f64_e32 v[188:189], v[164:165], v[6:7]
	ds_load_b128 v[176:179], v2 offset:1152
	v_fma_f64 v[192:193], v[164:165], v[4:5], -v[184:185]
	v_fmac_f64_e32 v[188:189], v[166:167], v[4:5]
	ds_load_b128 v[4:7], v2 offset:1168
	s_wait_loadcnt_dscnt 0xb01
	v_mul_f64_e32 v[190:191], v[176:177], v[12:13]
	v_mul_f64_e32 v[12:13], v[178:179], v[12:13]
	scratch_load_b128 v[164:167], off, off offset:384
	ds_load_b128 v[184:187], v2 offset:1184
	s_wait_loadcnt_dscnt 0xb01
	v_mul_f64_e32 v[194:195], v[4:5], v[134:135]
	v_mul_f64_e32 v[134:135], v[6:7], v[134:135]
	v_add_f64_e32 v[188:189], 0, v[188:189]
	v_fmac_f64_e32 v[190:191], v[178:179], v[10:11]
	v_fma_f64 v[176:177], v[176:177], v[10:11], -v[12:13]
	v_add_f64_e32 v[178:179], 0, v[192:193]
	scratch_load_b128 v[10:13], off, off offset:400
	v_fmac_f64_e32 v[194:195], v[6:7], v[132:133]
	v_fma_f64 v[196:197], v[4:5], v[132:133], -v[134:135]
	ds_load_b128 v[4:7], v2 offset:1200
	s_wait_loadcnt_dscnt 0xb01
	v_mul_f64_e32 v[192:193], v[184:185], v[138:139]
	v_mul_f64_e32 v[138:139], v[186:187], v[138:139]
	scratch_load_b128 v[132:135], off, off offset:416
	v_add_f64_e32 v[188:189], v[188:189], v[190:191]
	v_add_f64_e32 v[198:199], v[178:179], v[176:177]
	ds_load_b128 v[176:179], v2 offset:1216
	s_wait_loadcnt_dscnt 0xb01
	v_mul_f64_e32 v[190:191], v[4:5], v[142:143]
	v_mul_f64_e32 v[142:143], v[6:7], v[142:143]
	v_fmac_f64_e32 v[192:193], v[186:187], v[136:137]
	v_fma_f64 v[184:185], v[184:185], v[136:137], -v[138:139]
	scratch_load_b128 v[136:139], off, off offset:432
	v_add_f64_e32 v[188:189], v[188:189], v[194:195]
	v_add_f64_e32 v[186:187], v[198:199], v[196:197]
	v_fmac_f64_e32 v[190:191], v[6:7], v[140:141]
	v_fma_f64 v[196:197], v[4:5], v[140:141], -v[142:143]
	ds_load_b128 v[4:7], v2 offset:1232
	s_wait_loadcnt_dscnt 0xb01
	v_mul_f64_e32 v[194:195], v[176:177], v[146:147]
	v_mul_f64_e32 v[146:147], v[178:179], v[146:147]
	scratch_load_b128 v[140:143], off, off offset:448
	v_add_f64_e32 v[188:189], v[188:189], v[192:193]
	s_wait_loadcnt_dscnt 0xb00
	v_mul_f64_e32 v[192:193], v[4:5], v[150:151]
	v_add_f64_e32 v[198:199], v[186:187], v[184:185]
	v_mul_f64_e32 v[150:151], v[6:7], v[150:151]
	ds_load_b128 v[184:187], v2 offset:1248
	v_fmac_f64_e32 v[194:195], v[178:179], v[144:145]
	v_fma_f64 v[176:177], v[176:177], v[144:145], -v[146:147]
	scratch_load_b128 v[144:147], off, off offset:464
	v_add_f64_e32 v[188:189], v[188:189], v[190:191]
	v_fmac_f64_e32 v[192:193], v[6:7], v[148:149]
	v_add_f64_e32 v[178:179], v[198:199], v[196:197]
	v_fma_f64 v[196:197], v[4:5], v[148:149], -v[150:151]
	ds_load_b128 v[4:7], v2 offset:1264
	s_wait_loadcnt_dscnt 0xb01
	v_mul_f64_e32 v[190:191], v[184:185], v[154:155]
	v_mul_f64_e32 v[154:155], v[186:187], v[154:155]
	scratch_load_b128 v[148:151], off, off offset:480
	v_add_f64_e32 v[188:189], v[188:189], v[194:195]
	s_wait_loadcnt_dscnt 0xb00
	v_mul_f64_e32 v[194:195], v[4:5], v[158:159]
	v_add_f64_e32 v[198:199], v[178:179], v[176:177]
	v_mul_f64_e32 v[158:159], v[6:7], v[158:159]
	ds_load_b128 v[176:179], v2 offset:1280
	v_fmac_f64_e32 v[190:191], v[186:187], v[152:153]
	v_fma_f64 v[184:185], v[184:185], v[152:153], -v[154:155]
	scratch_load_b128 v[152:155], off, off offset:496
	v_add_f64_e32 v[188:189], v[188:189], v[192:193]
	v_fmac_f64_e32 v[194:195], v[6:7], v[156:157]
	v_add_f64_e32 v[186:187], v[198:199], v[196:197]
	;; [unrolled: 18-line block ×3, first 2 shown]
	v_fma_f64 v[196:197], v[4:5], v[168:169], -v[170:171]
	ds_load_b128 v[4:7], v2 offset:1328
	s_wait_loadcnt_dscnt 0xa01
	v_mul_f64_e32 v[194:195], v[184:185], v[182:183]
	v_mul_f64_e32 v[182:183], v[186:187], v[182:183]
	scratch_load_b128 v[168:171], off, off offset:544
	v_add_f64_e32 v[188:189], v[188:189], v[192:193]
	v_add_f64_e32 v[198:199], v[178:179], v[176:177]
	s_wait_loadcnt_dscnt 0xa00
	v_mul_f64_e32 v[192:193], v[4:5], v[166:167]
	v_mul_f64_e32 v[166:167], v[6:7], v[166:167]
	v_fmac_f64_e32 v[194:195], v[186:187], v[180:181]
	v_fma_f64 v[184:185], v[184:185], v[180:181], -v[182:183]
	ds_load_b128 v[176:179], v2 offset:1344
	scratch_load_b128 v[180:183], off, off offset:560
	v_add_f64_e32 v[188:189], v[188:189], v[190:191]
	v_add_f64_e32 v[186:187], v[198:199], v[196:197]
	v_fmac_f64_e32 v[192:193], v[6:7], v[164:165]
	v_fma_f64 v[196:197], v[4:5], v[164:165], -v[166:167]
	ds_load_b128 v[4:7], v2 offset:1360
	s_wait_loadcnt_dscnt 0xa01
	v_mul_f64_e32 v[190:191], v[176:177], v[12:13]
	v_mul_f64_e32 v[12:13], v[178:179], v[12:13]
	scratch_load_b128 v[164:167], off, off offset:576
	v_add_f64_e32 v[188:189], v[188:189], v[194:195]
	s_wait_loadcnt_dscnt 0xa00
	v_mul_f64_e32 v[194:195], v[4:5], v[134:135]
	v_add_f64_e32 v[198:199], v[186:187], v[184:185]
	v_mul_f64_e32 v[134:135], v[6:7], v[134:135]
	ds_load_b128 v[184:187], v2 offset:1376
	v_fmac_f64_e32 v[190:191], v[178:179], v[10:11]
	v_fma_f64 v[176:177], v[176:177], v[10:11], -v[12:13]
	scratch_load_b128 v[10:13], off, off offset:592
	v_add_f64_e32 v[188:189], v[188:189], v[192:193]
	v_fmac_f64_e32 v[194:195], v[6:7], v[132:133]
	v_add_f64_e32 v[178:179], v[198:199], v[196:197]
	v_fma_f64 v[196:197], v[4:5], v[132:133], -v[134:135]
	ds_load_b128 v[4:7], v2 offset:1392
	s_wait_loadcnt_dscnt 0xa01
	v_mul_f64_e32 v[192:193], v[184:185], v[138:139]
	v_mul_f64_e32 v[138:139], v[186:187], v[138:139]
	scratch_load_b128 v[132:135], off, off offset:608
	v_add_f64_e32 v[188:189], v[188:189], v[190:191]
	s_wait_loadcnt_dscnt 0xa00
	v_mul_f64_e32 v[190:191], v[4:5], v[142:143]
	v_add_f64_e32 v[198:199], v[178:179], v[176:177]
	v_mul_f64_e32 v[142:143], v[6:7], v[142:143]
	ds_load_b128 v[176:179], v2 offset:1408
	v_fmac_f64_e32 v[192:193], v[186:187], v[136:137]
	v_fma_f64 v[184:185], v[184:185], v[136:137], -v[138:139]
	scratch_load_b128 v[136:139], off, off offset:624
	v_add_f64_e32 v[188:189], v[188:189], v[194:195]
	v_fmac_f64_e32 v[190:191], v[6:7], v[140:141]
	v_add_f64_e32 v[186:187], v[198:199], v[196:197]
	;; [unrolled: 18-line block ×11, first 2 shown]
	v_fma_f64 v[196:197], v[4:5], v[168:169], -v[170:171]
	ds_load_b128 v[4:7], v2 offset:1712
	s_wait_loadcnt_dscnt 0xa01
	v_mul_f64_e32 v[194:195], v[184:185], v[182:183]
	v_mul_f64_e32 v[182:183], v[186:187], v[182:183]
	scratch_load_b128 v[168:171], off, off offset:928
	v_add_f64_e32 v[188:189], v[188:189], v[192:193]
	s_wait_loadcnt_dscnt 0xa00
	v_mul_f64_e32 v[192:193], v[4:5], v[166:167]
	v_add_f64_e32 v[198:199], v[178:179], v[176:177]
	v_mul_f64_e32 v[166:167], v[6:7], v[166:167]
	ds_load_b128 v[176:179], v2 offset:1728
	v_fmac_f64_e32 v[194:195], v[186:187], v[180:181]
	v_fma_f64 v[180:181], v[184:185], v[180:181], -v[182:183]
	s_wait_loadcnt_dscnt 0x900
	v_mul_f64_e32 v[186:187], v[176:177], v[12:13]
	v_mul_f64_e32 v[12:13], v[178:179], v[12:13]
	v_add_f64_e32 v[184:185], v[188:189], v[190:191]
	v_fmac_f64_e32 v[192:193], v[6:7], v[164:165]
	v_add_f64_e32 v[182:183], v[198:199], v[196:197]
	v_fma_f64 v[188:189], v[4:5], v[164:165], -v[166:167]
	ds_load_b128 v[4:7], v2 offset:1744
	ds_load_b128 v[164:167], v2 offset:1760
	v_fmac_f64_e32 v[186:187], v[178:179], v[10:11]
	v_fma_f64 v[10:11], v[176:177], v[10:11], -v[12:13]
	v_add_f64_e32 v[180:181], v[182:183], v[180:181]
	v_add_f64_e32 v[182:183], v[184:185], v[194:195]
	s_wait_loadcnt_dscnt 0x801
	v_mul_f64_e32 v[184:185], v[4:5], v[134:135]
	v_mul_f64_e32 v[134:135], v[6:7], v[134:135]
	s_wait_loadcnt_dscnt 0x700
	v_mul_f64_e32 v[178:179], v[164:165], v[138:139]
	v_mul_f64_e32 v[138:139], v[166:167], v[138:139]
	v_add_f64_e32 v[12:13], v[180:181], v[188:189]
	v_add_f64_e32 v[176:177], v[182:183], v[192:193]
	v_fmac_f64_e32 v[184:185], v[6:7], v[132:133]
	v_fma_f64 v[132:133], v[4:5], v[132:133], -v[134:135]
	v_fmac_f64_e32 v[178:179], v[166:167], v[136:137]
	v_fma_f64 v[136:137], v[164:165], v[136:137], -v[138:139]
	v_add_f64_e32 v[134:135], v[12:13], v[10:11]
	v_add_f64_e32 v[176:177], v[176:177], v[186:187]
	ds_load_b128 v[4:7], v2 offset:1776
	ds_load_b128 v[10:13], v2 offset:1792
	s_wait_loadcnt_dscnt 0x601
	v_mul_f64_e32 v[180:181], v[4:5], v[142:143]
	v_mul_f64_e32 v[142:143], v[6:7], v[142:143]
	s_wait_loadcnt_dscnt 0x500
	v_mul_f64_e32 v[138:139], v[10:11], v[146:147]
	v_mul_f64_e32 v[146:147], v[12:13], v[146:147]
	v_add_f64_e32 v[132:133], v[134:135], v[132:133]
	v_add_f64_e32 v[134:135], v[176:177], v[184:185]
	v_fmac_f64_e32 v[180:181], v[6:7], v[140:141]
	v_fma_f64 v[140:141], v[4:5], v[140:141], -v[142:143]
	v_fmac_f64_e32 v[138:139], v[12:13], v[144:145]
	v_fma_f64 v[10:11], v[10:11], v[144:145], -v[146:147]
	v_add_f64_e32 v[136:137], v[132:133], v[136:137]
	v_add_f64_e32 v[142:143], v[134:135], v[178:179]
	ds_load_b128 v[4:7], v2 offset:1808
	ds_load_b128 v[132:135], v2 offset:1824
	s_wait_loadcnt_dscnt 0x401
	v_mul_f64_e32 v[164:165], v[4:5], v[150:151]
	v_mul_f64_e32 v[150:151], v[6:7], v[150:151]
	v_add_f64_e32 v[12:13], v[136:137], v[140:141]
	v_add_f64_e32 v[136:137], v[142:143], v[180:181]
	s_wait_loadcnt_dscnt 0x300
	v_mul_f64_e32 v[140:141], v[132:133], v[154:155]
	v_mul_f64_e32 v[142:143], v[134:135], v[154:155]
	v_fmac_f64_e32 v[164:165], v[6:7], v[148:149]
	v_fma_f64 v[144:145], v[4:5], v[148:149], -v[150:151]
	v_add_f64_e32 v[146:147], v[12:13], v[10:11]
	v_add_f64_e32 v[136:137], v[136:137], v[138:139]
	ds_load_b128 v[4:7], v2 offset:1840
	ds_load_b128 v[10:13], v2 offset:1856
	v_fmac_f64_e32 v[140:141], v[134:135], v[152:153]
	v_fma_f64 v[132:133], v[132:133], v[152:153], -v[142:143]
	s_wait_loadcnt_dscnt 0x201
	v_mul_f64_e32 v[138:139], v[4:5], v[158:159]
	v_mul_f64_e32 v[148:149], v[6:7], v[158:159]
	s_wait_loadcnt_dscnt 0x100
	v_mul_f64_e32 v[142:143], v[10:11], v[162:163]
	v_add_f64_e32 v[134:135], v[146:147], v[144:145]
	v_add_f64_e32 v[136:137], v[136:137], v[164:165]
	v_mul_f64_e32 v[144:145], v[12:13], v[162:163]
	v_fmac_f64_e32 v[138:139], v[6:7], v[156:157]
	v_fma_f64 v[146:147], v[4:5], v[156:157], -v[148:149]
	ds_load_b128 v[4:7], v2 offset:1872
	v_fmac_f64_e32 v[142:143], v[12:13], v[160:161]
	v_add_f64_e32 v[132:133], v[134:135], v[132:133]
	v_add_f64_e32 v[134:135], v[136:137], v[140:141]
	v_fma_f64 v[10:11], v[10:11], v[160:161], -v[144:145]
	s_wait_loadcnt_dscnt 0x0
	v_mul_f64_e32 v[136:137], v[4:5], v[170:171]
	v_mul_f64_e32 v[140:141], v[6:7], v[170:171]
	v_add_f64_e32 v[12:13], v[132:133], v[146:147]
	v_add_f64_e32 v[132:133], v[134:135], v[138:139]
	s_delay_alu instid0(VALU_DEP_4) | instskip(NEXT) | instid1(VALU_DEP_4)
	v_fmac_f64_e32 v[136:137], v[6:7], v[168:169]
	v_fma_f64 v[4:5], v[4:5], v[168:169], -v[140:141]
	s_delay_alu instid0(VALU_DEP_4) | instskip(NEXT) | instid1(VALU_DEP_4)
	v_add_f64_e32 v[6:7], v[12:13], v[10:11]
	v_add_f64_e32 v[10:11], v[132:133], v[142:143]
	s_delay_alu instid0(VALU_DEP_2) | instskip(NEXT) | instid1(VALU_DEP_2)
	v_add_f64_e32 v[4:5], v[6:7], v[4:5]
	v_add_f64_e32 v[6:7], v[10:11], v[136:137]
	s_delay_alu instid0(VALU_DEP_2) | instskip(NEXT) | instid1(VALU_DEP_2)
	v_add_f64_e64 v[4:5], v[172:173], -v[4:5]
	v_add_f64_e64 v[6:7], v[174:175], -v[6:7]
	scratch_store_b128 off, v[4:7], off offset:176
	s_wait_xcnt 0x0
	v_cmpx_lt_u32_e32 10, v1
	s_cbranch_execz .LBB122_347
; %bb.346:
	scratch_load_b128 v[10:13], off, s65
	v_dual_mov_b32 v3, v2 :: v_dual_mov_b32 v4, v2
	v_mov_b32_e32 v5, v2
	scratch_store_b128 off, v[2:5], off offset:160
	s_wait_loadcnt 0x0
	ds_store_b128 v8, v[10:13]
.LBB122_347:
	s_wait_xcnt 0x0
	s_or_b32 exec_lo, exec_lo, s2
	s_wait_storecnt_dscnt 0x0
	s_barrier_signal -1
	s_barrier_wait -1
	s_clause 0x9
	scratch_load_b128 v[4:7], off, off offset:176
	scratch_load_b128 v[10:13], off, off offset:192
	;; [unrolled: 1-line block ×10, first 2 shown]
	ds_load_b128 v[164:167], v2 offset:1120
	ds_load_b128 v[172:175], v2 offset:1136
	s_clause 0x2
	scratch_load_b128 v[168:171], off, off offset:336
	scratch_load_b128 v[176:179], off, off offset:160
	;; [unrolled: 1-line block ×3, first 2 shown]
	s_mov_b32 s2, exec_lo
	s_wait_loadcnt_dscnt 0xc01
	v_mul_f64_e32 v[184:185], v[166:167], v[6:7]
	v_mul_f64_e32 v[188:189], v[164:165], v[6:7]
	s_wait_loadcnt_dscnt 0xb00
	v_mul_f64_e32 v[190:191], v[172:173], v[12:13]
	v_mul_f64_e32 v[12:13], v[174:175], v[12:13]
	s_delay_alu instid0(VALU_DEP_4) | instskip(NEXT) | instid1(VALU_DEP_4)
	v_fma_f64 v[192:193], v[164:165], v[4:5], -v[184:185]
	v_fmac_f64_e32 v[188:189], v[166:167], v[4:5]
	ds_load_b128 v[4:7], v2 offset:1152
	ds_load_b128 v[164:167], v2 offset:1168
	scratch_load_b128 v[184:187], off, off offset:368
	v_fmac_f64_e32 v[190:191], v[174:175], v[10:11]
	v_fma_f64 v[172:173], v[172:173], v[10:11], -v[12:13]
	scratch_load_b128 v[10:13], off, off offset:384
	s_wait_loadcnt_dscnt 0xc01
	v_mul_f64_e32 v[194:195], v[4:5], v[134:135]
	v_mul_f64_e32 v[134:135], v[6:7], v[134:135]
	v_add_f64_e32 v[174:175], 0, v[192:193]
	v_add_f64_e32 v[188:189], 0, v[188:189]
	s_wait_loadcnt_dscnt 0xb00
	v_mul_f64_e32 v[192:193], v[164:165], v[138:139]
	v_mul_f64_e32 v[138:139], v[166:167], v[138:139]
	v_fmac_f64_e32 v[194:195], v[6:7], v[132:133]
	v_fma_f64 v[196:197], v[4:5], v[132:133], -v[134:135]
	ds_load_b128 v[4:7], v2 offset:1184
	ds_load_b128 v[132:135], v2 offset:1200
	v_add_f64_e32 v[198:199], v[174:175], v[172:173]
	v_add_f64_e32 v[188:189], v[188:189], v[190:191]
	scratch_load_b128 v[172:175], off, off offset:400
	v_fmac_f64_e32 v[192:193], v[166:167], v[136:137]
	v_fma_f64 v[164:165], v[164:165], v[136:137], -v[138:139]
	scratch_load_b128 v[136:139], off, off offset:416
	s_wait_loadcnt_dscnt 0xc01
	v_mul_f64_e32 v[190:191], v[4:5], v[142:143]
	v_mul_f64_e32 v[142:143], v[6:7], v[142:143]
	v_add_f64_e32 v[166:167], v[198:199], v[196:197]
	v_add_f64_e32 v[188:189], v[188:189], v[194:195]
	s_wait_loadcnt_dscnt 0xb00
	v_mul_f64_e32 v[194:195], v[132:133], v[146:147]
	v_mul_f64_e32 v[146:147], v[134:135], v[146:147]
	v_fmac_f64_e32 v[190:191], v[6:7], v[140:141]
	v_fma_f64 v[196:197], v[4:5], v[140:141], -v[142:143]
	ds_load_b128 v[4:7], v2 offset:1216
	ds_load_b128 v[140:143], v2 offset:1232
	v_add_f64_e32 v[198:199], v[166:167], v[164:165]
	v_add_f64_e32 v[188:189], v[188:189], v[192:193]
	scratch_load_b128 v[164:167], off, off offset:432
	s_wait_loadcnt_dscnt 0xb01
	v_mul_f64_e32 v[192:193], v[4:5], v[150:151]
	v_mul_f64_e32 v[150:151], v[6:7], v[150:151]
	v_fmac_f64_e32 v[194:195], v[134:135], v[144:145]
	v_fma_f64 v[144:145], v[132:133], v[144:145], -v[146:147]
	scratch_load_b128 v[132:135], off, off offset:448
	v_add_f64_e32 v[146:147], v[198:199], v[196:197]
	v_add_f64_e32 v[188:189], v[188:189], v[190:191]
	s_wait_loadcnt_dscnt 0xb00
	v_mul_f64_e32 v[190:191], v[140:141], v[154:155]
	v_mul_f64_e32 v[154:155], v[142:143], v[154:155]
	v_fmac_f64_e32 v[192:193], v[6:7], v[148:149]
	v_fma_f64 v[196:197], v[4:5], v[148:149], -v[150:151]
	v_add_f64_e32 v[198:199], v[146:147], v[144:145]
	v_add_f64_e32 v[188:189], v[188:189], v[194:195]
	ds_load_b128 v[4:7], v2 offset:1248
	ds_load_b128 v[144:147], v2 offset:1264
	scratch_load_b128 v[148:151], off, off offset:464
	v_fmac_f64_e32 v[190:191], v[142:143], v[152:153]
	v_fma_f64 v[152:153], v[140:141], v[152:153], -v[154:155]
	scratch_load_b128 v[140:143], off, off offset:480
	s_wait_loadcnt_dscnt 0xc01
	v_mul_f64_e32 v[194:195], v[4:5], v[158:159]
	v_mul_f64_e32 v[158:159], v[6:7], v[158:159]
	v_add_f64_e32 v[154:155], v[198:199], v[196:197]
	v_add_f64_e32 v[188:189], v[188:189], v[192:193]
	s_wait_loadcnt_dscnt 0xb00
	v_mul_f64_e32 v[192:193], v[144:145], v[162:163]
	v_mul_f64_e32 v[162:163], v[146:147], v[162:163]
	v_fmac_f64_e32 v[194:195], v[6:7], v[156:157]
	v_fma_f64 v[196:197], v[4:5], v[156:157], -v[158:159]
	v_add_f64_e32 v[198:199], v[154:155], v[152:153]
	v_add_f64_e32 v[188:189], v[188:189], v[190:191]
	ds_load_b128 v[4:7], v2 offset:1280
	ds_load_b128 v[152:155], v2 offset:1296
	scratch_load_b128 v[156:159], off, off offset:496
	v_fmac_f64_e32 v[192:193], v[146:147], v[160:161]
	v_fma_f64 v[160:161], v[144:145], v[160:161], -v[162:163]
	scratch_load_b128 v[144:147], off, off offset:512
	s_wait_loadcnt_dscnt 0xc01
	v_mul_f64_e32 v[190:191], v[4:5], v[170:171]
	v_mul_f64_e32 v[170:171], v[6:7], v[170:171]
	;; [unrolled: 18-line block ×5, first 2 shown]
	v_add_f64_e32 v[182:183], v[198:199], v[196:197]
	v_add_f64_e32 v[188:189], v[188:189], v[194:195]
	s_wait_loadcnt_dscnt 0xa00
	v_mul_f64_e32 v[194:195], v[160:161], v[134:135]
	v_mul_f64_e32 v[134:135], v[162:163], v[134:135]
	v_fmac_f64_e32 v[190:191], v[6:7], v[164:165]
	v_fma_f64 v[196:197], v[4:5], v[164:165], -v[166:167]
	ds_load_b128 v[4:7], v2 offset:1408
	ds_load_b128 v[164:167], v2 offset:1424
	v_add_f64_e32 v[198:199], v[182:183], v[180:181]
	v_add_f64_e32 v[188:189], v[188:189], v[192:193]
	scratch_load_b128 v[180:183], off, off offset:624
	v_fmac_f64_e32 v[194:195], v[162:163], v[132:133]
	v_fma_f64 v[160:161], v[160:161], v[132:133], -v[134:135]
	scratch_load_b128 v[132:135], off, off offset:640
	s_wait_loadcnt_dscnt 0xb01
	v_mul_f64_e32 v[192:193], v[4:5], v[150:151]
	v_mul_f64_e32 v[150:151], v[6:7], v[150:151]
	v_add_f64_e32 v[162:163], v[198:199], v[196:197]
	v_add_f64_e32 v[188:189], v[188:189], v[190:191]
	s_wait_loadcnt_dscnt 0xa00
	v_mul_f64_e32 v[190:191], v[164:165], v[142:143]
	v_mul_f64_e32 v[142:143], v[166:167], v[142:143]
	v_fmac_f64_e32 v[192:193], v[6:7], v[148:149]
	v_fma_f64 v[196:197], v[4:5], v[148:149], -v[150:151]
	ds_load_b128 v[4:7], v2 offset:1440
	ds_load_b128 v[148:151], v2 offset:1456
	v_add_f64_e32 v[198:199], v[162:163], v[160:161]
	v_add_f64_e32 v[188:189], v[188:189], v[194:195]
	scratch_load_b128 v[160:163], off, off offset:656
	s_wait_loadcnt_dscnt 0xa01
	v_mul_f64_e32 v[194:195], v[4:5], v[158:159]
	v_mul_f64_e32 v[158:159], v[6:7], v[158:159]
	v_fmac_f64_e32 v[190:191], v[166:167], v[140:141]
	v_fma_f64 v[164:165], v[164:165], v[140:141], -v[142:143]
	scratch_load_b128 v[140:143], off, off offset:672
	v_add_f64_e32 v[166:167], v[198:199], v[196:197]
	v_add_f64_e32 v[188:189], v[188:189], v[192:193]
	s_wait_loadcnt_dscnt 0xa00
	v_mul_f64_e32 v[192:193], v[148:149], v[146:147]
	v_mul_f64_e32 v[146:147], v[150:151], v[146:147]
	v_fmac_f64_e32 v[194:195], v[6:7], v[156:157]
	v_fma_f64 v[196:197], v[4:5], v[156:157], -v[158:159]
	ds_load_b128 v[4:7], v2 offset:1472
	ds_load_b128 v[156:159], v2 offset:1488
	v_add_f64_e32 v[198:199], v[166:167], v[164:165]
	v_add_f64_e32 v[188:189], v[188:189], v[190:191]
	scratch_load_b128 v[164:167], off, off offset:688
	s_wait_loadcnt_dscnt 0xa01
	v_mul_f64_e32 v[190:191], v[4:5], v[170:171]
	v_mul_f64_e32 v[170:171], v[6:7], v[170:171]
	v_fmac_f64_e32 v[192:193], v[150:151], v[144:145]
	v_fma_f64 v[148:149], v[148:149], v[144:145], -v[146:147]
	scratch_load_b128 v[144:147], off, off offset:704
	v_add_f64_e32 v[150:151], v[198:199], v[196:197]
	v_add_f64_e32 v[188:189], v[188:189], v[194:195]
	s_wait_loadcnt_dscnt 0xa00
	v_mul_f64_e32 v[194:195], v[156:157], v[154:155]
	v_mul_f64_e32 v[154:155], v[158:159], v[154:155]
	v_fmac_f64_e32 v[190:191], v[6:7], v[168:169]
	v_fma_f64 v[196:197], v[4:5], v[168:169], -v[170:171]
	v_add_f64_e32 v[198:199], v[150:151], v[148:149]
	v_add_f64_e32 v[188:189], v[188:189], v[192:193]
	ds_load_b128 v[4:7], v2 offset:1504
	ds_load_b128 v[148:151], v2 offset:1520
	scratch_load_b128 v[168:171], off, off offset:720
	v_fmac_f64_e32 v[194:195], v[158:159], v[152:153]
	v_fma_f64 v[156:157], v[156:157], v[152:153], -v[154:155]
	scratch_load_b128 v[152:155], off, off offset:736
	s_wait_loadcnt_dscnt 0xb01
	v_mul_f64_e32 v[192:193], v[4:5], v[186:187]
	v_mul_f64_e32 v[186:187], v[6:7], v[186:187]
	v_add_f64_e32 v[158:159], v[198:199], v[196:197]
	v_add_f64_e32 v[188:189], v[188:189], v[190:191]
	s_wait_loadcnt_dscnt 0xa00
	v_mul_f64_e32 v[190:191], v[148:149], v[12:13]
	v_mul_f64_e32 v[12:13], v[150:151], v[12:13]
	v_fmac_f64_e32 v[192:193], v[6:7], v[184:185]
	v_fma_f64 v[196:197], v[4:5], v[184:185], -v[186:187]
	v_add_f64_e32 v[198:199], v[158:159], v[156:157]
	v_add_f64_e32 v[188:189], v[188:189], v[194:195]
	ds_load_b128 v[4:7], v2 offset:1536
	ds_load_b128 v[156:159], v2 offset:1552
	scratch_load_b128 v[184:187], off, off offset:752
	v_fmac_f64_e32 v[190:191], v[150:151], v[10:11]
	v_fma_f64 v[148:149], v[148:149], v[10:11], -v[12:13]
	scratch_load_b128 v[10:13], off, off offset:768
	s_wait_loadcnt_dscnt 0xb01
	v_mul_f64_e32 v[194:195], v[4:5], v[174:175]
	v_mul_f64_e32 v[174:175], v[6:7], v[174:175]
	;; [unrolled: 18-line block ×7, first 2 shown]
	v_add_f64_e32 v[158:159], v[198:199], v[196:197]
	v_add_f64_e32 v[188:189], v[188:189], v[190:191]
	s_wait_loadcnt_dscnt 0xa00
	v_mul_f64_e32 v[190:191], v[148:149], v[12:13]
	v_mul_f64_e32 v[12:13], v[150:151], v[12:13]
	v_fmac_f64_e32 v[192:193], v[6:7], v[184:185]
	v_fma_f64 v[184:185], v[4:5], v[184:185], -v[186:187]
	v_add_f64_e32 v[186:187], v[158:159], v[156:157]
	v_add_f64_e32 v[188:189], v[188:189], v[194:195]
	ds_load_b128 v[4:7], v2 offset:1728
	ds_load_b128 v[156:159], v2 offset:1744
	v_fmac_f64_e32 v[190:191], v[150:151], v[10:11]
	v_fma_f64 v[10:11], v[148:149], v[10:11], -v[12:13]
	s_wait_loadcnt_dscnt 0x901
	v_mul_f64_e32 v[194:195], v[4:5], v[174:175]
	v_mul_f64_e32 v[174:175], v[6:7], v[174:175]
	s_wait_loadcnt_dscnt 0x800
	v_mul_f64_e32 v[150:151], v[156:157], v[138:139]
	v_mul_f64_e32 v[138:139], v[158:159], v[138:139]
	v_add_f64_e32 v[12:13], v[186:187], v[184:185]
	v_add_f64_e32 v[148:149], v[188:189], v[192:193]
	v_fmac_f64_e32 v[194:195], v[6:7], v[172:173]
	v_fma_f64 v[172:173], v[4:5], v[172:173], -v[174:175]
	v_fmac_f64_e32 v[150:151], v[158:159], v[136:137]
	v_fma_f64 v[136:137], v[156:157], v[136:137], -v[138:139]
	v_add_f64_e32 v[174:175], v[12:13], v[10:11]
	v_add_f64_e32 v[148:149], v[148:149], v[190:191]
	ds_load_b128 v[4:7], v2 offset:1760
	ds_load_b128 v[10:13], v2 offset:1776
	s_wait_loadcnt_dscnt 0x701
	v_mul_f64_e32 v[184:185], v[4:5], v[182:183]
	v_mul_f64_e32 v[182:183], v[6:7], v[182:183]
	s_wait_loadcnt_dscnt 0x600
	v_mul_f64_e32 v[156:157], v[10:11], v[134:135]
	v_mul_f64_e32 v[158:159], v[12:13], v[134:135]
	v_add_f64_e32 v[138:139], v[174:175], v[172:173]
	v_add_f64_e32 v[148:149], v[148:149], v[194:195]
	v_fmac_f64_e32 v[184:185], v[6:7], v[180:181]
	v_fma_f64 v[172:173], v[4:5], v[180:181], -v[182:183]
	v_fmac_f64_e32 v[156:157], v[12:13], v[132:133]
	v_fma_f64 v[10:11], v[10:11], v[132:133], -v[158:159]
	v_add_f64_e32 v[138:139], v[138:139], v[136:137]
	v_add_f64_e32 v[148:149], v[148:149], v[150:151]
	ds_load_b128 v[4:7], v2 offset:1792
	ds_load_b128 v[134:137], v2 offset:1808
	s_wait_loadcnt_dscnt 0x501
	v_mul_f64_e32 v[150:151], v[4:5], v[162:163]
	v_mul_f64_e32 v[162:163], v[6:7], v[162:163]
	v_add_f64_e32 v[12:13], v[138:139], v[172:173]
	v_add_f64_e32 v[132:133], v[148:149], v[184:185]
	s_wait_loadcnt_dscnt 0x400
	v_mul_f64_e32 v[138:139], v[134:135], v[142:143]
	v_mul_f64_e32 v[142:143], v[136:137], v[142:143]
	v_fmac_f64_e32 v[150:151], v[6:7], v[160:161]
	v_fma_f64 v[148:149], v[4:5], v[160:161], -v[162:163]
	v_add_f64_e32 v[158:159], v[12:13], v[10:11]
	v_add_f64_e32 v[132:133], v[132:133], v[156:157]
	ds_load_b128 v[4:7], v2 offset:1824
	ds_load_b128 v[10:13], v2 offset:1840
	v_fmac_f64_e32 v[138:139], v[136:137], v[140:141]
	v_fma_f64 v[134:135], v[134:135], v[140:141], -v[142:143]
	s_wait_loadcnt_dscnt 0x301
	v_mul_f64_e32 v[156:157], v[4:5], v[166:167]
	v_mul_f64_e32 v[160:161], v[6:7], v[166:167]
	s_wait_loadcnt_dscnt 0x200
	v_mul_f64_e32 v[140:141], v[10:11], v[146:147]
	v_mul_f64_e32 v[142:143], v[12:13], v[146:147]
	v_add_f64_e32 v[136:137], v[158:159], v[148:149]
	v_add_f64_e32 v[132:133], v[132:133], v[150:151]
	v_fmac_f64_e32 v[156:157], v[6:7], v[164:165]
	v_fma_f64 v[146:147], v[4:5], v[164:165], -v[160:161]
	v_fmac_f64_e32 v[140:141], v[12:13], v[144:145]
	v_fma_f64 v[10:11], v[10:11], v[144:145], -v[142:143]
	v_add_f64_e32 v[136:137], v[136:137], v[134:135]
	v_add_f64_e32 v[138:139], v[132:133], v[138:139]
	ds_load_b128 v[4:7], v2 offset:1856
	ds_load_b128 v[132:135], v2 offset:1872
	s_wait_loadcnt_dscnt 0x101
	v_mul_f64_e32 v[2:3], v[4:5], v[170:171]
	v_mul_f64_e32 v[148:149], v[6:7], v[170:171]
	s_wait_loadcnt_dscnt 0x0
	v_mul_f64_e32 v[142:143], v[134:135], v[154:155]
	v_add_f64_e32 v[12:13], v[136:137], v[146:147]
	v_add_f64_e32 v[136:137], v[138:139], v[156:157]
	v_mul_f64_e32 v[138:139], v[132:133], v[154:155]
	v_fmac_f64_e32 v[2:3], v[6:7], v[168:169]
	v_fma_f64 v[4:5], v[4:5], v[168:169], -v[148:149]
	v_add_f64_e32 v[6:7], v[12:13], v[10:11]
	v_add_f64_e32 v[10:11], v[136:137], v[140:141]
	v_fmac_f64_e32 v[138:139], v[134:135], v[152:153]
	v_fma_f64 v[12:13], v[132:133], v[152:153], -v[142:143]
	s_delay_alu instid0(VALU_DEP_4) | instskip(NEXT) | instid1(VALU_DEP_4)
	v_add_f64_e32 v[4:5], v[6:7], v[4:5]
	v_add_f64_e32 v[2:3], v[10:11], v[2:3]
	s_delay_alu instid0(VALU_DEP_2) | instskip(NEXT) | instid1(VALU_DEP_2)
	v_add_f64_e32 v[4:5], v[4:5], v[12:13]
	v_add_f64_e32 v[6:7], v[2:3], v[138:139]
	s_delay_alu instid0(VALU_DEP_2) | instskip(NEXT) | instid1(VALU_DEP_2)
	v_add_f64_e64 v[2:3], v[176:177], -v[4:5]
	v_add_f64_e64 v[4:5], v[178:179], -v[6:7]
	scratch_store_b128 off, v[2:5], off offset:160
	s_wait_xcnt 0x0
	v_cmpx_lt_u32_e32 9, v1
	s_cbranch_execz .LBB122_349
; %bb.348:
	scratch_load_b128 v[2:5], off, s66
	v_mov_b32_e32 v10, 0
	s_delay_alu instid0(VALU_DEP_1)
	v_dual_mov_b32 v11, v10 :: v_dual_mov_b32 v12, v10
	v_mov_b32_e32 v13, v10
	scratch_store_b128 off, v[10:13], off offset:144
	s_wait_loadcnt 0x0
	ds_store_b128 v8, v[2:5]
.LBB122_349:
	s_wait_xcnt 0x0
	s_or_b32 exec_lo, exec_lo, s2
	s_wait_storecnt_dscnt 0x0
	s_barrier_signal -1
	s_barrier_wait -1
	s_clause 0x9
	scratch_load_b128 v[4:7], off, off offset:160
	scratch_load_b128 v[10:13], off, off offset:176
	;; [unrolled: 1-line block ×10, first 2 shown]
	v_mov_b32_e32 v2, 0
	s_mov_b32 s2, exec_lo
	ds_load_b128 v[164:167], v2 offset:1104
	s_clause 0x2
	scratch_load_b128 v[168:171], off, off offset:320
	scratch_load_b128 v[172:175], off, off offset:144
	;; [unrolled: 1-line block ×3, first 2 shown]
	s_wait_loadcnt_dscnt 0xc00
	v_mul_f64_e32 v[184:185], v[166:167], v[6:7]
	v_mul_f64_e32 v[188:189], v[164:165], v[6:7]
	ds_load_b128 v[176:179], v2 offset:1120
	v_fma_f64 v[192:193], v[164:165], v[4:5], -v[184:185]
	v_fmac_f64_e32 v[188:189], v[166:167], v[4:5]
	ds_load_b128 v[4:7], v2 offset:1136
	s_wait_loadcnt_dscnt 0xb01
	v_mul_f64_e32 v[190:191], v[176:177], v[12:13]
	v_mul_f64_e32 v[12:13], v[178:179], v[12:13]
	scratch_load_b128 v[164:167], off, off offset:352
	ds_load_b128 v[184:187], v2 offset:1152
	s_wait_loadcnt_dscnt 0xb01
	v_mul_f64_e32 v[194:195], v[4:5], v[134:135]
	v_mul_f64_e32 v[134:135], v[6:7], v[134:135]
	v_add_f64_e32 v[188:189], 0, v[188:189]
	v_fmac_f64_e32 v[190:191], v[178:179], v[10:11]
	v_fma_f64 v[176:177], v[176:177], v[10:11], -v[12:13]
	v_add_f64_e32 v[178:179], 0, v[192:193]
	scratch_load_b128 v[10:13], off, off offset:368
	v_fmac_f64_e32 v[194:195], v[6:7], v[132:133]
	v_fma_f64 v[196:197], v[4:5], v[132:133], -v[134:135]
	ds_load_b128 v[4:7], v2 offset:1168
	s_wait_loadcnt_dscnt 0xb01
	v_mul_f64_e32 v[192:193], v[184:185], v[138:139]
	v_mul_f64_e32 v[138:139], v[186:187], v[138:139]
	scratch_load_b128 v[132:135], off, off offset:384
	v_add_f64_e32 v[188:189], v[188:189], v[190:191]
	v_add_f64_e32 v[198:199], v[178:179], v[176:177]
	ds_load_b128 v[176:179], v2 offset:1184
	s_wait_loadcnt_dscnt 0xb01
	v_mul_f64_e32 v[190:191], v[4:5], v[142:143]
	v_mul_f64_e32 v[142:143], v[6:7], v[142:143]
	v_fmac_f64_e32 v[192:193], v[186:187], v[136:137]
	v_fma_f64 v[184:185], v[184:185], v[136:137], -v[138:139]
	scratch_load_b128 v[136:139], off, off offset:400
	v_add_f64_e32 v[188:189], v[188:189], v[194:195]
	v_add_f64_e32 v[186:187], v[198:199], v[196:197]
	v_fmac_f64_e32 v[190:191], v[6:7], v[140:141]
	v_fma_f64 v[196:197], v[4:5], v[140:141], -v[142:143]
	ds_load_b128 v[4:7], v2 offset:1200
	s_wait_loadcnt_dscnt 0xb01
	v_mul_f64_e32 v[194:195], v[176:177], v[146:147]
	v_mul_f64_e32 v[146:147], v[178:179], v[146:147]
	scratch_load_b128 v[140:143], off, off offset:416
	v_add_f64_e32 v[188:189], v[188:189], v[192:193]
	s_wait_loadcnt_dscnt 0xb00
	v_mul_f64_e32 v[192:193], v[4:5], v[150:151]
	v_add_f64_e32 v[198:199], v[186:187], v[184:185]
	v_mul_f64_e32 v[150:151], v[6:7], v[150:151]
	ds_load_b128 v[184:187], v2 offset:1216
	v_fmac_f64_e32 v[194:195], v[178:179], v[144:145]
	v_fma_f64 v[176:177], v[176:177], v[144:145], -v[146:147]
	scratch_load_b128 v[144:147], off, off offset:432
	v_add_f64_e32 v[188:189], v[188:189], v[190:191]
	v_fmac_f64_e32 v[192:193], v[6:7], v[148:149]
	v_add_f64_e32 v[178:179], v[198:199], v[196:197]
	v_fma_f64 v[196:197], v[4:5], v[148:149], -v[150:151]
	ds_load_b128 v[4:7], v2 offset:1232
	s_wait_loadcnt_dscnt 0xb01
	v_mul_f64_e32 v[190:191], v[184:185], v[154:155]
	v_mul_f64_e32 v[154:155], v[186:187], v[154:155]
	scratch_load_b128 v[148:151], off, off offset:448
	v_add_f64_e32 v[188:189], v[188:189], v[194:195]
	s_wait_loadcnt_dscnt 0xb00
	v_mul_f64_e32 v[194:195], v[4:5], v[158:159]
	v_add_f64_e32 v[198:199], v[178:179], v[176:177]
	v_mul_f64_e32 v[158:159], v[6:7], v[158:159]
	ds_load_b128 v[176:179], v2 offset:1248
	v_fmac_f64_e32 v[190:191], v[186:187], v[152:153]
	v_fma_f64 v[184:185], v[184:185], v[152:153], -v[154:155]
	scratch_load_b128 v[152:155], off, off offset:464
	v_add_f64_e32 v[188:189], v[188:189], v[192:193]
	v_fmac_f64_e32 v[194:195], v[6:7], v[156:157]
	v_add_f64_e32 v[186:187], v[198:199], v[196:197]
	;; [unrolled: 18-line block ×3, first 2 shown]
	v_fma_f64 v[196:197], v[4:5], v[168:169], -v[170:171]
	ds_load_b128 v[4:7], v2 offset:1296
	s_wait_loadcnt_dscnt 0xa01
	v_mul_f64_e32 v[194:195], v[184:185], v[182:183]
	v_mul_f64_e32 v[182:183], v[186:187], v[182:183]
	scratch_load_b128 v[168:171], off, off offset:512
	v_add_f64_e32 v[188:189], v[188:189], v[192:193]
	v_add_f64_e32 v[198:199], v[178:179], v[176:177]
	s_wait_loadcnt_dscnt 0xa00
	v_mul_f64_e32 v[192:193], v[4:5], v[166:167]
	v_mul_f64_e32 v[166:167], v[6:7], v[166:167]
	v_fmac_f64_e32 v[194:195], v[186:187], v[180:181]
	v_fma_f64 v[184:185], v[184:185], v[180:181], -v[182:183]
	ds_load_b128 v[176:179], v2 offset:1312
	scratch_load_b128 v[180:183], off, off offset:528
	v_add_f64_e32 v[188:189], v[188:189], v[190:191]
	v_add_f64_e32 v[186:187], v[198:199], v[196:197]
	v_fmac_f64_e32 v[192:193], v[6:7], v[164:165]
	v_fma_f64 v[196:197], v[4:5], v[164:165], -v[166:167]
	ds_load_b128 v[4:7], v2 offset:1328
	s_wait_loadcnt_dscnt 0xa01
	v_mul_f64_e32 v[190:191], v[176:177], v[12:13]
	v_mul_f64_e32 v[12:13], v[178:179], v[12:13]
	scratch_load_b128 v[164:167], off, off offset:544
	v_add_f64_e32 v[188:189], v[188:189], v[194:195]
	s_wait_loadcnt_dscnt 0xa00
	v_mul_f64_e32 v[194:195], v[4:5], v[134:135]
	v_add_f64_e32 v[198:199], v[186:187], v[184:185]
	v_mul_f64_e32 v[134:135], v[6:7], v[134:135]
	ds_load_b128 v[184:187], v2 offset:1344
	v_fmac_f64_e32 v[190:191], v[178:179], v[10:11]
	v_fma_f64 v[176:177], v[176:177], v[10:11], -v[12:13]
	scratch_load_b128 v[10:13], off, off offset:560
	v_add_f64_e32 v[188:189], v[188:189], v[192:193]
	v_fmac_f64_e32 v[194:195], v[6:7], v[132:133]
	v_add_f64_e32 v[178:179], v[198:199], v[196:197]
	v_fma_f64 v[196:197], v[4:5], v[132:133], -v[134:135]
	ds_load_b128 v[4:7], v2 offset:1360
	s_wait_loadcnt_dscnt 0xa01
	v_mul_f64_e32 v[192:193], v[184:185], v[138:139]
	v_mul_f64_e32 v[138:139], v[186:187], v[138:139]
	scratch_load_b128 v[132:135], off, off offset:576
	v_add_f64_e32 v[188:189], v[188:189], v[190:191]
	s_wait_loadcnt_dscnt 0xa00
	v_mul_f64_e32 v[190:191], v[4:5], v[142:143]
	v_add_f64_e32 v[198:199], v[178:179], v[176:177]
	v_mul_f64_e32 v[142:143], v[6:7], v[142:143]
	ds_load_b128 v[176:179], v2 offset:1376
	v_fmac_f64_e32 v[192:193], v[186:187], v[136:137]
	v_fma_f64 v[184:185], v[184:185], v[136:137], -v[138:139]
	scratch_load_b128 v[136:139], off, off offset:592
	v_add_f64_e32 v[188:189], v[188:189], v[194:195]
	v_fmac_f64_e32 v[190:191], v[6:7], v[140:141]
	v_add_f64_e32 v[186:187], v[198:199], v[196:197]
	;; [unrolled: 18-line block ×12, first 2 shown]
	v_fma_f64 v[196:197], v[4:5], v[164:165], -v[166:167]
	ds_load_b128 v[4:7], v2 offset:1712
	s_wait_loadcnt_dscnt 0xa01
	v_mul_f64_e32 v[190:191], v[176:177], v[12:13]
	v_mul_f64_e32 v[12:13], v[178:179], v[12:13]
	scratch_load_b128 v[164:167], off, off offset:928
	v_add_f64_e32 v[188:189], v[188:189], v[194:195]
	s_wait_loadcnt_dscnt 0xa00
	v_mul_f64_e32 v[194:195], v[4:5], v[134:135]
	v_add_f64_e32 v[198:199], v[186:187], v[184:185]
	v_mul_f64_e32 v[134:135], v[6:7], v[134:135]
	ds_load_b128 v[184:187], v2 offset:1728
	v_fmac_f64_e32 v[190:191], v[178:179], v[10:11]
	v_fma_f64 v[10:11], v[176:177], v[10:11], -v[12:13]
	s_wait_loadcnt_dscnt 0x900
	v_mul_f64_e32 v[178:179], v[184:185], v[138:139]
	v_mul_f64_e32 v[138:139], v[186:187], v[138:139]
	v_add_f64_e32 v[176:177], v[188:189], v[192:193]
	v_fmac_f64_e32 v[194:195], v[6:7], v[132:133]
	v_add_f64_e32 v[12:13], v[198:199], v[196:197]
	v_fma_f64 v[132:133], v[4:5], v[132:133], -v[134:135]
	v_fmac_f64_e32 v[178:179], v[186:187], v[136:137]
	v_fma_f64 v[136:137], v[184:185], v[136:137], -v[138:139]
	v_add_f64_e32 v[176:177], v[176:177], v[190:191]
	v_add_f64_e32 v[134:135], v[12:13], v[10:11]
	ds_load_b128 v[4:7], v2 offset:1744
	ds_load_b128 v[10:13], v2 offset:1760
	s_wait_loadcnt_dscnt 0x801
	v_mul_f64_e32 v[188:189], v[4:5], v[142:143]
	v_mul_f64_e32 v[142:143], v[6:7], v[142:143]
	s_wait_loadcnt_dscnt 0x700
	v_mul_f64_e32 v[138:139], v[10:11], v[146:147]
	v_mul_f64_e32 v[146:147], v[12:13], v[146:147]
	v_add_f64_e32 v[132:133], v[134:135], v[132:133]
	v_add_f64_e32 v[134:135], v[176:177], v[194:195]
	v_fmac_f64_e32 v[188:189], v[6:7], v[140:141]
	v_fma_f64 v[140:141], v[4:5], v[140:141], -v[142:143]
	v_fmac_f64_e32 v[138:139], v[12:13], v[144:145]
	v_fma_f64 v[10:11], v[10:11], v[144:145], -v[146:147]
	v_add_f64_e32 v[136:137], v[132:133], v[136:137]
	v_add_f64_e32 v[142:143], v[134:135], v[178:179]
	ds_load_b128 v[4:7], v2 offset:1776
	ds_load_b128 v[132:135], v2 offset:1792
	s_wait_loadcnt_dscnt 0x601
	v_mul_f64_e32 v[176:177], v[4:5], v[150:151]
	v_mul_f64_e32 v[150:151], v[6:7], v[150:151]
	v_add_f64_e32 v[12:13], v[136:137], v[140:141]
	v_add_f64_e32 v[136:137], v[142:143], v[188:189]
	s_wait_loadcnt_dscnt 0x500
	v_mul_f64_e32 v[140:141], v[132:133], v[154:155]
	v_mul_f64_e32 v[142:143], v[134:135], v[154:155]
	v_fmac_f64_e32 v[176:177], v[6:7], v[148:149]
	v_fma_f64 v[144:145], v[4:5], v[148:149], -v[150:151]
	v_add_f64_e32 v[146:147], v[12:13], v[10:11]
	v_add_f64_e32 v[136:137], v[136:137], v[138:139]
	ds_load_b128 v[4:7], v2 offset:1808
	ds_load_b128 v[10:13], v2 offset:1824
	v_fmac_f64_e32 v[140:141], v[134:135], v[152:153]
	v_fma_f64 v[132:133], v[132:133], v[152:153], -v[142:143]
	s_wait_loadcnt_dscnt 0x401
	v_mul_f64_e32 v[138:139], v[4:5], v[158:159]
	v_mul_f64_e32 v[148:149], v[6:7], v[158:159]
	s_wait_loadcnt_dscnt 0x300
	v_mul_f64_e32 v[142:143], v[10:11], v[162:163]
	v_add_f64_e32 v[134:135], v[146:147], v[144:145]
	v_add_f64_e32 v[136:137], v[136:137], v[176:177]
	v_mul_f64_e32 v[144:145], v[12:13], v[162:163]
	v_fmac_f64_e32 v[138:139], v[6:7], v[156:157]
	v_fma_f64 v[146:147], v[4:5], v[156:157], -v[148:149]
	v_fmac_f64_e32 v[142:143], v[12:13], v[160:161]
	v_add_f64_e32 v[148:149], v[134:135], v[132:133]
	v_add_f64_e32 v[136:137], v[136:137], v[140:141]
	ds_load_b128 v[4:7], v2 offset:1840
	ds_load_b128 v[132:135], v2 offset:1856
	v_fma_f64 v[10:11], v[10:11], v[160:161], -v[144:145]
	s_wait_loadcnt_dscnt 0x201
	v_mul_f64_e32 v[140:141], v[4:5], v[170:171]
	v_mul_f64_e32 v[150:151], v[6:7], v[170:171]
	s_wait_loadcnt_dscnt 0x100
	v_mul_f64_e32 v[144:145], v[134:135], v[182:183]
	v_add_f64_e32 v[12:13], v[148:149], v[146:147]
	v_add_f64_e32 v[136:137], v[136:137], v[138:139]
	v_mul_f64_e32 v[138:139], v[132:133], v[182:183]
	v_fmac_f64_e32 v[140:141], v[6:7], v[168:169]
	v_fma_f64 v[146:147], v[4:5], v[168:169], -v[150:151]
	ds_load_b128 v[4:7], v2 offset:1872
	v_fma_f64 v[132:133], v[132:133], v[180:181], -v[144:145]
	v_add_f64_e32 v[10:11], v[12:13], v[10:11]
	v_add_f64_e32 v[12:13], v[136:137], v[142:143]
	v_fmac_f64_e32 v[138:139], v[134:135], v[180:181]
	s_wait_loadcnt_dscnt 0x0
	v_mul_f64_e32 v[136:137], v[4:5], v[166:167]
	v_mul_f64_e32 v[142:143], v[6:7], v[166:167]
	v_add_f64_e32 v[10:11], v[10:11], v[146:147]
	v_add_f64_e32 v[12:13], v[12:13], v[140:141]
	s_delay_alu instid0(VALU_DEP_4) | instskip(NEXT) | instid1(VALU_DEP_4)
	v_fmac_f64_e32 v[136:137], v[6:7], v[164:165]
	v_fma_f64 v[4:5], v[4:5], v[164:165], -v[142:143]
	s_delay_alu instid0(VALU_DEP_4) | instskip(NEXT) | instid1(VALU_DEP_4)
	v_add_f64_e32 v[6:7], v[10:11], v[132:133]
	v_add_f64_e32 v[10:11], v[12:13], v[138:139]
	s_delay_alu instid0(VALU_DEP_2) | instskip(NEXT) | instid1(VALU_DEP_2)
	v_add_f64_e32 v[4:5], v[6:7], v[4:5]
	v_add_f64_e32 v[6:7], v[10:11], v[136:137]
	s_delay_alu instid0(VALU_DEP_2) | instskip(NEXT) | instid1(VALU_DEP_2)
	v_add_f64_e64 v[4:5], v[172:173], -v[4:5]
	v_add_f64_e64 v[6:7], v[174:175], -v[6:7]
	scratch_store_b128 off, v[4:7], off offset:144
	s_wait_xcnt 0x0
	v_cmpx_lt_u32_e32 8, v1
	s_cbranch_execz .LBB122_351
; %bb.350:
	scratch_load_b128 v[10:13], off, s67
	v_dual_mov_b32 v3, v2 :: v_dual_mov_b32 v4, v2
	v_mov_b32_e32 v5, v2
	scratch_store_b128 off, v[2:5], off offset:128
	s_wait_loadcnt 0x0
	ds_store_b128 v8, v[10:13]
.LBB122_351:
	s_wait_xcnt 0x0
	s_or_b32 exec_lo, exec_lo, s2
	s_wait_storecnt_dscnt 0x0
	s_barrier_signal -1
	s_barrier_wait -1
	s_clause 0x9
	scratch_load_b128 v[4:7], off, off offset:144
	scratch_load_b128 v[10:13], off, off offset:160
	;; [unrolled: 1-line block ×10, first 2 shown]
	ds_load_b128 v[164:167], v2 offset:1088
	ds_load_b128 v[172:175], v2 offset:1104
	s_clause 0x2
	scratch_load_b128 v[168:171], off, off offset:304
	scratch_load_b128 v[176:179], off, off offset:128
	;; [unrolled: 1-line block ×3, first 2 shown]
	s_mov_b32 s2, exec_lo
	s_wait_loadcnt_dscnt 0xc01
	v_mul_f64_e32 v[184:185], v[166:167], v[6:7]
	v_mul_f64_e32 v[188:189], v[164:165], v[6:7]
	s_wait_loadcnt_dscnt 0xb00
	v_mul_f64_e32 v[190:191], v[172:173], v[12:13]
	v_mul_f64_e32 v[12:13], v[174:175], v[12:13]
	s_delay_alu instid0(VALU_DEP_4) | instskip(NEXT) | instid1(VALU_DEP_4)
	v_fma_f64 v[192:193], v[164:165], v[4:5], -v[184:185]
	v_fmac_f64_e32 v[188:189], v[166:167], v[4:5]
	ds_load_b128 v[4:7], v2 offset:1120
	ds_load_b128 v[164:167], v2 offset:1136
	scratch_load_b128 v[184:187], off, off offset:336
	v_fmac_f64_e32 v[190:191], v[174:175], v[10:11]
	v_fma_f64 v[172:173], v[172:173], v[10:11], -v[12:13]
	scratch_load_b128 v[10:13], off, off offset:352
	s_wait_loadcnt_dscnt 0xc01
	v_mul_f64_e32 v[194:195], v[4:5], v[134:135]
	v_mul_f64_e32 v[134:135], v[6:7], v[134:135]
	v_add_f64_e32 v[174:175], 0, v[192:193]
	v_add_f64_e32 v[188:189], 0, v[188:189]
	s_wait_loadcnt_dscnt 0xb00
	v_mul_f64_e32 v[192:193], v[164:165], v[138:139]
	v_mul_f64_e32 v[138:139], v[166:167], v[138:139]
	v_fmac_f64_e32 v[194:195], v[6:7], v[132:133]
	v_fma_f64 v[196:197], v[4:5], v[132:133], -v[134:135]
	ds_load_b128 v[4:7], v2 offset:1152
	ds_load_b128 v[132:135], v2 offset:1168
	v_add_f64_e32 v[198:199], v[174:175], v[172:173]
	v_add_f64_e32 v[188:189], v[188:189], v[190:191]
	scratch_load_b128 v[172:175], off, off offset:368
	v_fmac_f64_e32 v[192:193], v[166:167], v[136:137]
	v_fma_f64 v[164:165], v[164:165], v[136:137], -v[138:139]
	scratch_load_b128 v[136:139], off, off offset:384
	s_wait_loadcnt_dscnt 0xc01
	v_mul_f64_e32 v[190:191], v[4:5], v[142:143]
	v_mul_f64_e32 v[142:143], v[6:7], v[142:143]
	v_add_f64_e32 v[166:167], v[198:199], v[196:197]
	v_add_f64_e32 v[188:189], v[188:189], v[194:195]
	s_wait_loadcnt_dscnt 0xb00
	v_mul_f64_e32 v[194:195], v[132:133], v[146:147]
	v_mul_f64_e32 v[146:147], v[134:135], v[146:147]
	v_fmac_f64_e32 v[190:191], v[6:7], v[140:141]
	v_fma_f64 v[196:197], v[4:5], v[140:141], -v[142:143]
	ds_load_b128 v[4:7], v2 offset:1184
	ds_load_b128 v[140:143], v2 offset:1200
	v_add_f64_e32 v[198:199], v[166:167], v[164:165]
	v_add_f64_e32 v[188:189], v[188:189], v[192:193]
	scratch_load_b128 v[164:167], off, off offset:400
	s_wait_loadcnt_dscnt 0xb01
	v_mul_f64_e32 v[192:193], v[4:5], v[150:151]
	v_mul_f64_e32 v[150:151], v[6:7], v[150:151]
	v_fmac_f64_e32 v[194:195], v[134:135], v[144:145]
	v_fma_f64 v[144:145], v[132:133], v[144:145], -v[146:147]
	scratch_load_b128 v[132:135], off, off offset:416
	v_add_f64_e32 v[146:147], v[198:199], v[196:197]
	v_add_f64_e32 v[188:189], v[188:189], v[190:191]
	s_wait_loadcnt_dscnt 0xb00
	v_mul_f64_e32 v[190:191], v[140:141], v[154:155]
	v_mul_f64_e32 v[154:155], v[142:143], v[154:155]
	v_fmac_f64_e32 v[192:193], v[6:7], v[148:149]
	v_fma_f64 v[196:197], v[4:5], v[148:149], -v[150:151]
	v_add_f64_e32 v[198:199], v[146:147], v[144:145]
	v_add_f64_e32 v[188:189], v[188:189], v[194:195]
	ds_load_b128 v[4:7], v2 offset:1216
	ds_load_b128 v[144:147], v2 offset:1232
	scratch_load_b128 v[148:151], off, off offset:432
	v_fmac_f64_e32 v[190:191], v[142:143], v[152:153]
	v_fma_f64 v[152:153], v[140:141], v[152:153], -v[154:155]
	scratch_load_b128 v[140:143], off, off offset:448
	s_wait_loadcnt_dscnt 0xc01
	v_mul_f64_e32 v[194:195], v[4:5], v[158:159]
	v_mul_f64_e32 v[158:159], v[6:7], v[158:159]
	v_add_f64_e32 v[154:155], v[198:199], v[196:197]
	v_add_f64_e32 v[188:189], v[188:189], v[192:193]
	s_wait_loadcnt_dscnt 0xb00
	v_mul_f64_e32 v[192:193], v[144:145], v[162:163]
	v_mul_f64_e32 v[162:163], v[146:147], v[162:163]
	v_fmac_f64_e32 v[194:195], v[6:7], v[156:157]
	v_fma_f64 v[196:197], v[4:5], v[156:157], -v[158:159]
	v_add_f64_e32 v[198:199], v[154:155], v[152:153]
	v_add_f64_e32 v[188:189], v[188:189], v[190:191]
	ds_load_b128 v[4:7], v2 offset:1248
	ds_load_b128 v[152:155], v2 offset:1264
	scratch_load_b128 v[156:159], off, off offset:464
	v_fmac_f64_e32 v[192:193], v[146:147], v[160:161]
	v_fma_f64 v[160:161], v[144:145], v[160:161], -v[162:163]
	scratch_load_b128 v[144:147], off, off offset:480
	s_wait_loadcnt_dscnt 0xc01
	v_mul_f64_e32 v[190:191], v[4:5], v[170:171]
	v_mul_f64_e32 v[170:171], v[6:7], v[170:171]
	;; [unrolled: 18-line block ×5, first 2 shown]
	v_add_f64_e32 v[182:183], v[198:199], v[196:197]
	v_add_f64_e32 v[188:189], v[188:189], v[194:195]
	s_wait_loadcnt_dscnt 0xa00
	v_mul_f64_e32 v[194:195], v[160:161], v[134:135]
	v_mul_f64_e32 v[134:135], v[162:163], v[134:135]
	v_fmac_f64_e32 v[190:191], v[6:7], v[164:165]
	v_fma_f64 v[196:197], v[4:5], v[164:165], -v[166:167]
	ds_load_b128 v[4:7], v2 offset:1376
	ds_load_b128 v[164:167], v2 offset:1392
	v_add_f64_e32 v[198:199], v[182:183], v[180:181]
	v_add_f64_e32 v[188:189], v[188:189], v[192:193]
	scratch_load_b128 v[180:183], off, off offset:592
	v_fmac_f64_e32 v[194:195], v[162:163], v[132:133]
	v_fma_f64 v[160:161], v[160:161], v[132:133], -v[134:135]
	scratch_load_b128 v[132:135], off, off offset:608
	s_wait_loadcnt_dscnt 0xb01
	v_mul_f64_e32 v[192:193], v[4:5], v[150:151]
	v_mul_f64_e32 v[150:151], v[6:7], v[150:151]
	v_add_f64_e32 v[162:163], v[198:199], v[196:197]
	v_add_f64_e32 v[188:189], v[188:189], v[190:191]
	s_wait_loadcnt_dscnt 0xa00
	v_mul_f64_e32 v[190:191], v[164:165], v[142:143]
	v_mul_f64_e32 v[142:143], v[166:167], v[142:143]
	v_fmac_f64_e32 v[192:193], v[6:7], v[148:149]
	v_fma_f64 v[196:197], v[4:5], v[148:149], -v[150:151]
	ds_load_b128 v[4:7], v2 offset:1408
	ds_load_b128 v[148:151], v2 offset:1424
	v_add_f64_e32 v[198:199], v[162:163], v[160:161]
	v_add_f64_e32 v[188:189], v[188:189], v[194:195]
	scratch_load_b128 v[160:163], off, off offset:624
	s_wait_loadcnt_dscnt 0xa01
	v_mul_f64_e32 v[194:195], v[4:5], v[158:159]
	v_mul_f64_e32 v[158:159], v[6:7], v[158:159]
	v_fmac_f64_e32 v[190:191], v[166:167], v[140:141]
	v_fma_f64 v[164:165], v[164:165], v[140:141], -v[142:143]
	scratch_load_b128 v[140:143], off, off offset:640
	v_add_f64_e32 v[166:167], v[198:199], v[196:197]
	v_add_f64_e32 v[188:189], v[188:189], v[192:193]
	s_wait_loadcnt_dscnt 0xa00
	v_mul_f64_e32 v[192:193], v[148:149], v[146:147]
	v_mul_f64_e32 v[146:147], v[150:151], v[146:147]
	v_fmac_f64_e32 v[194:195], v[6:7], v[156:157]
	v_fma_f64 v[196:197], v[4:5], v[156:157], -v[158:159]
	ds_load_b128 v[4:7], v2 offset:1440
	ds_load_b128 v[156:159], v2 offset:1456
	v_add_f64_e32 v[198:199], v[166:167], v[164:165]
	v_add_f64_e32 v[188:189], v[188:189], v[190:191]
	scratch_load_b128 v[164:167], off, off offset:656
	s_wait_loadcnt_dscnt 0xa01
	v_mul_f64_e32 v[190:191], v[4:5], v[170:171]
	v_mul_f64_e32 v[170:171], v[6:7], v[170:171]
	v_fmac_f64_e32 v[192:193], v[150:151], v[144:145]
	v_fma_f64 v[148:149], v[148:149], v[144:145], -v[146:147]
	scratch_load_b128 v[144:147], off, off offset:672
	v_add_f64_e32 v[150:151], v[198:199], v[196:197]
	v_add_f64_e32 v[188:189], v[188:189], v[194:195]
	s_wait_loadcnt_dscnt 0xa00
	v_mul_f64_e32 v[194:195], v[156:157], v[154:155]
	v_mul_f64_e32 v[154:155], v[158:159], v[154:155]
	v_fmac_f64_e32 v[190:191], v[6:7], v[168:169]
	v_fma_f64 v[196:197], v[4:5], v[168:169], -v[170:171]
	v_add_f64_e32 v[198:199], v[150:151], v[148:149]
	v_add_f64_e32 v[188:189], v[188:189], v[192:193]
	ds_load_b128 v[4:7], v2 offset:1472
	ds_load_b128 v[148:151], v2 offset:1488
	scratch_load_b128 v[168:171], off, off offset:688
	v_fmac_f64_e32 v[194:195], v[158:159], v[152:153]
	v_fma_f64 v[156:157], v[156:157], v[152:153], -v[154:155]
	scratch_load_b128 v[152:155], off, off offset:704
	s_wait_loadcnt_dscnt 0xb01
	v_mul_f64_e32 v[192:193], v[4:5], v[186:187]
	v_mul_f64_e32 v[186:187], v[6:7], v[186:187]
	v_add_f64_e32 v[158:159], v[198:199], v[196:197]
	v_add_f64_e32 v[188:189], v[188:189], v[190:191]
	s_wait_loadcnt_dscnt 0xa00
	v_mul_f64_e32 v[190:191], v[148:149], v[12:13]
	v_mul_f64_e32 v[12:13], v[150:151], v[12:13]
	v_fmac_f64_e32 v[192:193], v[6:7], v[184:185]
	v_fma_f64 v[196:197], v[4:5], v[184:185], -v[186:187]
	v_add_f64_e32 v[198:199], v[158:159], v[156:157]
	v_add_f64_e32 v[188:189], v[188:189], v[194:195]
	ds_load_b128 v[4:7], v2 offset:1504
	ds_load_b128 v[156:159], v2 offset:1520
	scratch_load_b128 v[184:187], off, off offset:720
	v_fmac_f64_e32 v[190:191], v[150:151], v[10:11]
	v_fma_f64 v[148:149], v[148:149], v[10:11], -v[12:13]
	scratch_load_b128 v[10:13], off, off offset:736
	s_wait_loadcnt_dscnt 0xb01
	v_mul_f64_e32 v[194:195], v[4:5], v[174:175]
	v_mul_f64_e32 v[174:175], v[6:7], v[174:175]
	;; [unrolled: 18-line block ×8, first 2 shown]
	v_add_f64_e32 v[150:151], v[198:199], v[196:197]
	v_add_f64_e32 v[188:189], v[188:189], v[192:193]
	s_wait_loadcnt_dscnt 0xa00
	v_mul_f64_e32 v[192:193], v[156:157], v[138:139]
	v_mul_f64_e32 v[138:139], v[158:159], v[138:139]
	v_fmac_f64_e32 v[194:195], v[6:7], v[172:173]
	v_fma_f64 v[172:173], v[4:5], v[172:173], -v[174:175]
	v_add_f64_e32 v[174:175], v[150:151], v[148:149]
	v_add_f64_e32 v[188:189], v[188:189], v[190:191]
	ds_load_b128 v[4:7], v2 offset:1728
	ds_load_b128 v[148:151], v2 offset:1744
	v_fmac_f64_e32 v[192:193], v[158:159], v[136:137]
	v_fma_f64 v[136:137], v[156:157], v[136:137], -v[138:139]
	s_wait_loadcnt_dscnt 0x901
	v_mul_f64_e32 v[190:191], v[4:5], v[182:183]
	v_mul_f64_e32 v[182:183], v[6:7], v[182:183]
	s_wait_loadcnt_dscnt 0x800
	v_mul_f64_e32 v[158:159], v[148:149], v[134:135]
	v_add_f64_e32 v[138:139], v[174:175], v[172:173]
	v_add_f64_e32 v[156:157], v[188:189], v[194:195]
	v_mul_f64_e32 v[172:173], v[150:151], v[134:135]
	v_fmac_f64_e32 v[190:191], v[6:7], v[180:181]
	v_fma_f64 v[174:175], v[4:5], v[180:181], -v[182:183]
	v_fmac_f64_e32 v[158:159], v[150:151], v[132:133]
	v_add_f64_e32 v[138:139], v[138:139], v[136:137]
	v_add_f64_e32 v[156:157], v[156:157], v[192:193]
	ds_load_b128 v[4:7], v2 offset:1760
	ds_load_b128 v[134:137], v2 offset:1776
	v_fma_f64 v[132:133], v[148:149], v[132:133], -v[172:173]
	s_wait_loadcnt_dscnt 0x701
	v_mul_f64_e32 v[180:181], v[4:5], v[162:163]
	v_mul_f64_e32 v[162:163], v[6:7], v[162:163]
	v_add_f64_e32 v[138:139], v[138:139], v[174:175]
	v_add_f64_e32 v[148:149], v[156:157], v[190:191]
	s_wait_loadcnt_dscnt 0x600
	v_mul_f64_e32 v[156:157], v[134:135], v[142:143]
	v_mul_f64_e32 v[142:143], v[136:137], v[142:143]
	v_fmac_f64_e32 v[180:181], v[6:7], v[160:161]
	v_fma_f64 v[160:161], v[4:5], v[160:161], -v[162:163]
	v_add_f64_e32 v[132:133], v[138:139], v[132:133]
	v_add_f64_e32 v[138:139], v[148:149], v[158:159]
	ds_load_b128 v[4:7], v2 offset:1792
	ds_load_b128 v[148:151], v2 offset:1808
	v_fmac_f64_e32 v[156:157], v[136:137], v[140:141]
	v_fma_f64 v[134:135], v[134:135], v[140:141], -v[142:143]
	s_wait_loadcnt_dscnt 0x501
	v_mul_f64_e32 v[158:159], v[4:5], v[166:167]
	v_mul_f64_e32 v[162:163], v[6:7], v[166:167]
	s_wait_loadcnt_dscnt 0x400
	v_mul_f64_e32 v[140:141], v[150:151], v[146:147]
	v_add_f64_e32 v[132:133], v[132:133], v[160:161]
	v_add_f64_e32 v[136:137], v[138:139], v[180:181]
	v_mul_f64_e32 v[138:139], v[148:149], v[146:147]
	v_fmac_f64_e32 v[158:159], v[6:7], v[164:165]
	v_fma_f64 v[142:143], v[4:5], v[164:165], -v[162:163]
	v_fma_f64 v[140:141], v[148:149], v[144:145], -v[140:141]
	v_add_f64_e32 v[146:147], v[132:133], v[134:135]
	v_add_f64_e32 v[136:137], v[136:137], v[156:157]
	ds_load_b128 v[4:7], v2 offset:1824
	ds_load_b128 v[132:135], v2 offset:1840
	v_fmac_f64_e32 v[138:139], v[150:151], v[144:145]
	s_wait_loadcnt_dscnt 0x301
	v_mul_f64_e32 v[156:157], v[4:5], v[170:171]
	v_mul_f64_e32 v[160:161], v[6:7], v[170:171]
	s_wait_loadcnt_dscnt 0x200
	v_mul_f64_e32 v[144:145], v[132:133], v[154:155]
	v_add_f64_e32 v[142:143], v[146:147], v[142:143]
	v_add_f64_e32 v[136:137], v[136:137], v[158:159]
	v_mul_f64_e32 v[146:147], v[134:135], v[154:155]
	v_fmac_f64_e32 v[156:157], v[6:7], v[168:169]
	v_fma_f64 v[148:149], v[4:5], v[168:169], -v[160:161]
	v_fmac_f64_e32 v[144:145], v[134:135], v[152:153]
	v_add_f64_e32 v[140:141], v[142:143], v[140:141]
	v_add_f64_e32 v[142:143], v[136:137], v[138:139]
	ds_load_b128 v[4:7], v2 offset:1856
	ds_load_b128 v[136:139], v2 offset:1872
	v_fma_f64 v[132:133], v[132:133], v[152:153], -v[146:147]
	s_wait_loadcnt_dscnt 0x101
	v_mul_f64_e32 v[2:3], v[4:5], v[186:187]
	v_mul_f64_e32 v[150:151], v[6:7], v[186:187]
	v_add_f64_e32 v[134:135], v[140:141], v[148:149]
	v_add_f64_e32 v[140:141], v[142:143], v[156:157]
	s_wait_loadcnt_dscnt 0x0
	v_mul_f64_e32 v[142:143], v[136:137], v[12:13]
	v_mul_f64_e32 v[12:13], v[138:139], v[12:13]
	v_fmac_f64_e32 v[2:3], v[6:7], v[184:185]
	v_fma_f64 v[4:5], v[4:5], v[184:185], -v[150:151]
	v_add_f64_e32 v[6:7], v[134:135], v[132:133]
	v_add_f64_e32 v[132:133], v[140:141], v[144:145]
	v_fmac_f64_e32 v[142:143], v[138:139], v[10:11]
	v_fma_f64 v[10:11], v[136:137], v[10:11], -v[12:13]
	s_delay_alu instid0(VALU_DEP_4) | instskip(NEXT) | instid1(VALU_DEP_4)
	v_add_f64_e32 v[4:5], v[6:7], v[4:5]
	v_add_f64_e32 v[2:3], v[132:133], v[2:3]
	s_delay_alu instid0(VALU_DEP_2) | instskip(NEXT) | instid1(VALU_DEP_2)
	v_add_f64_e32 v[4:5], v[4:5], v[10:11]
	v_add_f64_e32 v[6:7], v[2:3], v[142:143]
	s_delay_alu instid0(VALU_DEP_2) | instskip(NEXT) | instid1(VALU_DEP_2)
	v_add_f64_e64 v[2:3], v[176:177], -v[4:5]
	v_add_f64_e64 v[4:5], v[178:179], -v[6:7]
	scratch_store_b128 off, v[2:5], off offset:128
	s_wait_xcnt 0x0
	v_cmpx_lt_u32_e32 7, v1
	s_cbranch_execz .LBB122_353
; %bb.352:
	scratch_load_b128 v[2:5], off, s68
	v_mov_b32_e32 v10, 0
	s_delay_alu instid0(VALU_DEP_1)
	v_dual_mov_b32 v11, v10 :: v_dual_mov_b32 v12, v10
	v_mov_b32_e32 v13, v10
	scratch_store_b128 off, v[10:13], off offset:112
	s_wait_loadcnt 0x0
	ds_store_b128 v8, v[2:5]
.LBB122_353:
	s_wait_xcnt 0x0
	s_or_b32 exec_lo, exec_lo, s2
	s_wait_storecnt_dscnt 0x0
	s_barrier_signal -1
	s_barrier_wait -1
	s_clause 0x9
	scratch_load_b128 v[4:7], off, off offset:128
	scratch_load_b128 v[10:13], off, off offset:144
	;; [unrolled: 1-line block ×10, first 2 shown]
	v_mov_b32_e32 v2, 0
	s_mov_b32 s2, exec_lo
	ds_load_b128 v[164:167], v2 offset:1072
	s_clause 0x2
	scratch_load_b128 v[168:171], off, off offset:288
	scratch_load_b128 v[172:175], off, off offset:112
	;; [unrolled: 1-line block ×3, first 2 shown]
	s_wait_loadcnt_dscnt 0xc00
	v_mul_f64_e32 v[184:185], v[166:167], v[6:7]
	v_mul_f64_e32 v[188:189], v[164:165], v[6:7]
	ds_load_b128 v[176:179], v2 offset:1088
	v_fma_f64 v[192:193], v[164:165], v[4:5], -v[184:185]
	v_fmac_f64_e32 v[188:189], v[166:167], v[4:5]
	ds_load_b128 v[4:7], v2 offset:1104
	s_wait_loadcnt_dscnt 0xb01
	v_mul_f64_e32 v[190:191], v[176:177], v[12:13]
	v_mul_f64_e32 v[12:13], v[178:179], v[12:13]
	scratch_load_b128 v[164:167], off, off offset:320
	ds_load_b128 v[184:187], v2 offset:1120
	s_wait_loadcnt_dscnt 0xb01
	v_mul_f64_e32 v[194:195], v[4:5], v[134:135]
	v_mul_f64_e32 v[134:135], v[6:7], v[134:135]
	v_add_f64_e32 v[188:189], 0, v[188:189]
	v_fmac_f64_e32 v[190:191], v[178:179], v[10:11]
	v_fma_f64 v[176:177], v[176:177], v[10:11], -v[12:13]
	v_add_f64_e32 v[178:179], 0, v[192:193]
	scratch_load_b128 v[10:13], off, off offset:336
	v_fmac_f64_e32 v[194:195], v[6:7], v[132:133]
	v_fma_f64 v[196:197], v[4:5], v[132:133], -v[134:135]
	ds_load_b128 v[4:7], v2 offset:1136
	s_wait_loadcnt_dscnt 0xb01
	v_mul_f64_e32 v[192:193], v[184:185], v[138:139]
	v_mul_f64_e32 v[138:139], v[186:187], v[138:139]
	scratch_load_b128 v[132:135], off, off offset:352
	v_add_f64_e32 v[188:189], v[188:189], v[190:191]
	v_add_f64_e32 v[198:199], v[178:179], v[176:177]
	ds_load_b128 v[176:179], v2 offset:1152
	s_wait_loadcnt_dscnt 0xb01
	v_mul_f64_e32 v[190:191], v[4:5], v[142:143]
	v_mul_f64_e32 v[142:143], v[6:7], v[142:143]
	v_fmac_f64_e32 v[192:193], v[186:187], v[136:137]
	v_fma_f64 v[184:185], v[184:185], v[136:137], -v[138:139]
	scratch_load_b128 v[136:139], off, off offset:368
	v_add_f64_e32 v[188:189], v[188:189], v[194:195]
	v_add_f64_e32 v[186:187], v[198:199], v[196:197]
	v_fmac_f64_e32 v[190:191], v[6:7], v[140:141]
	v_fma_f64 v[196:197], v[4:5], v[140:141], -v[142:143]
	ds_load_b128 v[4:7], v2 offset:1168
	s_wait_loadcnt_dscnt 0xb01
	v_mul_f64_e32 v[194:195], v[176:177], v[146:147]
	v_mul_f64_e32 v[146:147], v[178:179], v[146:147]
	scratch_load_b128 v[140:143], off, off offset:384
	v_add_f64_e32 v[188:189], v[188:189], v[192:193]
	s_wait_loadcnt_dscnt 0xb00
	v_mul_f64_e32 v[192:193], v[4:5], v[150:151]
	v_add_f64_e32 v[198:199], v[186:187], v[184:185]
	v_mul_f64_e32 v[150:151], v[6:7], v[150:151]
	ds_load_b128 v[184:187], v2 offset:1184
	v_fmac_f64_e32 v[194:195], v[178:179], v[144:145]
	v_fma_f64 v[176:177], v[176:177], v[144:145], -v[146:147]
	scratch_load_b128 v[144:147], off, off offset:400
	v_add_f64_e32 v[188:189], v[188:189], v[190:191]
	v_fmac_f64_e32 v[192:193], v[6:7], v[148:149]
	v_add_f64_e32 v[178:179], v[198:199], v[196:197]
	v_fma_f64 v[196:197], v[4:5], v[148:149], -v[150:151]
	ds_load_b128 v[4:7], v2 offset:1200
	s_wait_loadcnt_dscnt 0xb01
	v_mul_f64_e32 v[190:191], v[184:185], v[154:155]
	v_mul_f64_e32 v[154:155], v[186:187], v[154:155]
	scratch_load_b128 v[148:151], off, off offset:416
	v_add_f64_e32 v[188:189], v[188:189], v[194:195]
	s_wait_loadcnt_dscnt 0xb00
	v_mul_f64_e32 v[194:195], v[4:5], v[158:159]
	v_add_f64_e32 v[198:199], v[178:179], v[176:177]
	v_mul_f64_e32 v[158:159], v[6:7], v[158:159]
	ds_load_b128 v[176:179], v2 offset:1216
	v_fmac_f64_e32 v[190:191], v[186:187], v[152:153]
	v_fma_f64 v[184:185], v[184:185], v[152:153], -v[154:155]
	scratch_load_b128 v[152:155], off, off offset:432
	v_add_f64_e32 v[188:189], v[188:189], v[192:193]
	v_fmac_f64_e32 v[194:195], v[6:7], v[156:157]
	v_add_f64_e32 v[186:187], v[198:199], v[196:197]
	;; [unrolled: 18-line block ×3, first 2 shown]
	v_fma_f64 v[196:197], v[4:5], v[168:169], -v[170:171]
	ds_load_b128 v[4:7], v2 offset:1264
	s_wait_loadcnt_dscnt 0xa01
	v_mul_f64_e32 v[194:195], v[184:185], v[182:183]
	v_mul_f64_e32 v[182:183], v[186:187], v[182:183]
	scratch_load_b128 v[168:171], off, off offset:480
	v_add_f64_e32 v[188:189], v[188:189], v[192:193]
	v_add_f64_e32 v[198:199], v[178:179], v[176:177]
	s_wait_loadcnt_dscnt 0xa00
	v_mul_f64_e32 v[192:193], v[4:5], v[166:167]
	v_mul_f64_e32 v[166:167], v[6:7], v[166:167]
	v_fmac_f64_e32 v[194:195], v[186:187], v[180:181]
	v_fma_f64 v[184:185], v[184:185], v[180:181], -v[182:183]
	ds_load_b128 v[176:179], v2 offset:1280
	scratch_load_b128 v[180:183], off, off offset:496
	v_add_f64_e32 v[188:189], v[188:189], v[190:191]
	v_add_f64_e32 v[186:187], v[198:199], v[196:197]
	v_fmac_f64_e32 v[192:193], v[6:7], v[164:165]
	v_fma_f64 v[196:197], v[4:5], v[164:165], -v[166:167]
	ds_load_b128 v[4:7], v2 offset:1296
	s_wait_loadcnt_dscnt 0xa01
	v_mul_f64_e32 v[190:191], v[176:177], v[12:13]
	v_mul_f64_e32 v[12:13], v[178:179], v[12:13]
	scratch_load_b128 v[164:167], off, off offset:512
	v_add_f64_e32 v[188:189], v[188:189], v[194:195]
	s_wait_loadcnt_dscnt 0xa00
	v_mul_f64_e32 v[194:195], v[4:5], v[134:135]
	v_add_f64_e32 v[198:199], v[186:187], v[184:185]
	v_mul_f64_e32 v[134:135], v[6:7], v[134:135]
	ds_load_b128 v[184:187], v2 offset:1312
	v_fmac_f64_e32 v[190:191], v[178:179], v[10:11]
	v_fma_f64 v[176:177], v[176:177], v[10:11], -v[12:13]
	scratch_load_b128 v[10:13], off, off offset:528
	v_add_f64_e32 v[188:189], v[188:189], v[192:193]
	v_fmac_f64_e32 v[194:195], v[6:7], v[132:133]
	v_add_f64_e32 v[178:179], v[198:199], v[196:197]
	v_fma_f64 v[196:197], v[4:5], v[132:133], -v[134:135]
	ds_load_b128 v[4:7], v2 offset:1328
	s_wait_loadcnt_dscnt 0xa01
	v_mul_f64_e32 v[192:193], v[184:185], v[138:139]
	v_mul_f64_e32 v[138:139], v[186:187], v[138:139]
	scratch_load_b128 v[132:135], off, off offset:544
	v_add_f64_e32 v[188:189], v[188:189], v[190:191]
	s_wait_loadcnt_dscnt 0xa00
	v_mul_f64_e32 v[190:191], v[4:5], v[142:143]
	v_add_f64_e32 v[198:199], v[178:179], v[176:177]
	v_mul_f64_e32 v[142:143], v[6:7], v[142:143]
	ds_load_b128 v[176:179], v2 offset:1344
	v_fmac_f64_e32 v[192:193], v[186:187], v[136:137]
	v_fma_f64 v[184:185], v[184:185], v[136:137], -v[138:139]
	scratch_load_b128 v[136:139], off, off offset:560
	v_add_f64_e32 v[188:189], v[188:189], v[194:195]
	v_fmac_f64_e32 v[190:191], v[6:7], v[140:141]
	v_add_f64_e32 v[186:187], v[198:199], v[196:197]
	;; [unrolled: 18-line block ×13, first 2 shown]
	v_fma_f64 v[196:197], v[4:5], v[132:133], -v[134:135]
	ds_load_b128 v[4:7], v2 offset:1712
	s_wait_loadcnt_dscnt 0xa01
	v_mul_f64_e32 v[192:193], v[184:185], v[138:139]
	v_mul_f64_e32 v[138:139], v[186:187], v[138:139]
	scratch_load_b128 v[132:135], off, off offset:928
	v_add_f64_e32 v[188:189], v[188:189], v[190:191]
	s_wait_loadcnt_dscnt 0xa00
	v_mul_f64_e32 v[190:191], v[4:5], v[142:143]
	v_add_f64_e32 v[198:199], v[178:179], v[176:177]
	v_mul_f64_e32 v[142:143], v[6:7], v[142:143]
	ds_load_b128 v[176:179], v2 offset:1728
	v_fmac_f64_e32 v[192:193], v[186:187], v[136:137]
	v_fma_f64 v[136:137], v[184:185], v[136:137], -v[138:139]
	s_wait_loadcnt_dscnt 0x900
	v_mul_f64_e32 v[186:187], v[176:177], v[146:147]
	v_mul_f64_e32 v[146:147], v[178:179], v[146:147]
	v_add_f64_e32 v[184:185], v[188:189], v[194:195]
	v_fmac_f64_e32 v[190:191], v[6:7], v[140:141]
	v_add_f64_e32 v[138:139], v[198:199], v[196:197]
	v_fma_f64 v[140:141], v[4:5], v[140:141], -v[142:143]
	v_fmac_f64_e32 v[186:187], v[178:179], v[144:145]
	v_fma_f64 v[144:145], v[176:177], v[144:145], -v[146:147]
	v_add_f64_e32 v[184:185], v[184:185], v[192:193]
	v_add_f64_e32 v[142:143], v[138:139], v[136:137]
	ds_load_b128 v[4:7], v2 offset:1744
	ds_load_b128 v[136:139], v2 offset:1760
	s_wait_loadcnt_dscnt 0x801
	v_mul_f64_e32 v[188:189], v[4:5], v[150:151]
	v_mul_f64_e32 v[150:151], v[6:7], v[150:151]
	s_wait_loadcnt_dscnt 0x700
	v_mul_f64_e32 v[146:147], v[136:137], v[154:155]
	v_mul_f64_e32 v[154:155], v[138:139], v[154:155]
	v_add_f64_e32 v[140:141], v[142:143], v[140:141]
	v_add_f64_e32 v[142:143], v[184:185], v[190:191]
	v_fmac_f64_e32 v[188:189], v[6:7], v[148:149]
	v_fma_f64 v[148:149], v[4:5], v[148:149], -v[150:151]
	v_fmac_f64_e32 v[146:147], v[138:139], v[152:153]
	v_fma_f64 v[136:137], v[136:137], v[152:153], -v[154:155]
	v_add_f64_e32 v[144:145], v[140:141], v[144:145]
	v_add_f64_e32 v[150:151], v[142:143], v[186:187]
	ds_load_b128 v[4:7], v2 offset:1776
	ds_load_b128 v[140:143], v2 offset:1792
	s_wait_loadcnt_dscnt 0x601
	v_mul_f64_e32 v[176:177], v[4:5], v[158:159]
	v_mul_f64_e32 v[158:159], v[6:7], v[158:159]
	v_add_f64_e32 v[138:139], v[144:145], v[148:149]
	v_add_f64_e32 v[144:145], v[150:151], v[188:189]
	s_wait_loadcnt_dscnt 0x500
	v_mul_f64_e32 v[148:149], v[140:141], v[162:163]
	v_mul_f64_e32 v[150:151], v[142:143], v[162:163]
	v_fmac_f64_e32 v[176:177], v[6:7], v[156:157]
	v_fma_f64 v[152:153], v[4:5], v[156:157], -v[158:159]
	v_add_f64_e32 v[154:155], v[138:139], v[136:137]
	v_add_f64_e32 v[144:145], v[144:145], v[146:147]
	ds_load_b128 v[4:7], v2 offset:1808
	ds_load_b128 v[136:139], v2 offset:1824
	v_fmac_f64_e32 v[148:149], v[142:143], v[160:161]
	v_fma_f64 v[140:141], v[140:141], v[160:161], -v[150:151]
	s_wait_loadcnt_dscnt 0x401
	v_mul_f64_e32 v[146:147], v[4:5], v[170:171]
	v_mul_f64_e32 v[156:157], v[6:7], v[170:171]
	s_wait_loadcnt_dscnt 0x300
	v_mul_f64_e32 v[150:151], v[136:137], v[182:183]
	v_add_f64_e32 v[142:143], v[154:155], v[152:153]
	v_add_f64_e32 v[144:145], v[144:145], v[176:177]
	v_mul_f64_e32 v[152:153], v[138:139], v[182:183]
	v_fmac_f64_e32 v[146:147], v[6:7], v[168:169]
	v_fma_f64 v[154:155], v[4:5], v[168:169], -v[156:157]
	v_fmac_f64_e32 v[150:151], v[138:139], v[180:181]
	v_add_f64_e32 v[156:157], v[142:143], v[140:141]
	v_add_f64_e32 v[144:145], v[144:145], v[148:149]
	ds_load_b128 v[4:7], v2 offset:1840
	ds_load_b128 v[140:143], v2 offset:1856
	v_fma_f64 v[136:137], v[136:137], v[180:181], -v[152:153]
	s_wait_loadcnt_dscnt 0x201
	v_mul_f64_e32 v[148:149], v[4:5], v[166:167]
	v_mul_f64_e32 v[158:159], v[6:7], v[166:167]
	v_add_f64_e32 v[138:139], v[156:157], v[154:155]
	v_add_f64_e32 v[144:145], v[144:145], v[146:147]
	s_wait_loadcnt_dscnt 0x100
	v_mul_f64_e32 v[146:147], v[140:141], v[12:13]
	v_mul_f64_e32 v[12:13], v[142:143], v[12:13]
	v_fmac_f64_e32 v[148:149], v[6:7], v[164:165]
	v_fma_f64 v[152:153], v[4:5], v[164:165], -v[158:159]
	ds_load_b128 v[4:7], v2 offset:1872
	v_add_f64_e32 v[136:137], v[138:139], v[136:137]
	v_add_f64_e32 v[138:139], v[144:145], v[150:151]
	v_fmac_f64_e32 v[146:147], v[142:143], v[10:11]
	v_fma_f64 v[10:11], v[140:141], v[10:11], -v[12:13]
	s_wait_loadcnt_dscnt 0x0
	v_mul_f64_e32 v[144:145], v[4:5], v[134:135]
	v_mul_f64_e32 v[134:135], v[6:7], v[134:135]
	v_add_f64_e32 v[12:13], v[136:137], v[152:153]
	v_add_f64_e32 v[136:137], v[138:139], v[148:149]
	s_delay_alu instid0(VALU_DEP_4) | instskip(NEXT) | instid1(VALU_DEP_4)
	v_fmac_f64_e32 v[144:145], v[6:7], v[132:133]
	v_fma_f64 v[4:5], v[4:5], v[132:133], -v[134:135]
	s_delay_alu instid0(VALU_DEP_4) | instskip(NEXT) | instid1(VALU_DEP_4)
	v_add_f64_e32 v[6:7], v[12:13], v[10:11]
	v_add_f64_e32 v[10:11], v[136:137], v[146:147]
	s_delay_alu instid0(VALU_DEP_2) | instskip(NEXT) | instid1(VALU_DEP_2)
	v_add_f64_e32 v[4:5], v[6:7], v[4:5]
	v_add_f64_e32 v[6:7], v[10:11], v[144:145]
	s_delay_alu instid0(VALU_DEP_2) | instskip(NEXT) | instid1(VALU_DEP_2)
	v_add_f64_e64 v[4:5], v[172:173], -v[4:5]
	v_add_f64_e64 v[6:7], v[174:175], -v[6:7]
	scratch_store_b128 off, v[4:7], off offset:112
	s_wait_xcnt 0x0
	v_cmpx_lt_u32_e32 6, v1
	s_cbranch_execz .LBB122_355
; %bb.354:
	scratch_load_b128 v[10:13], off, s69
	v_dual_mov_b32 v3, v2 :: v_dual_mov_b32 v4, v2
	v_mov_b32_e32 v5, v2
	scratch_store_b128 off, v[2:5], off offset:96
	s_wait_loadcnt 0x0
	ds_store_b128 v8, v[10:13]
.LBB122_355:
	s_wait_xcnt 0x0
	s_or_b32 exec_lo, exec_lo, s2
	s_wait_storecnt_dscnt 0x0
	s_barrier_signal -1
	s_barrier_wait -1
	s_clause 0x9
	scratch_load_b128 v[4:7], off, off offset:112
	scratch_load_b128 v[10:13], off, off offset:128
	;; [unrolled: 1-line block ×10, first 2 shown]
	ds_load_b128 v[164:167], v2 offset:1056
	ds_load_b128 v[172:175], v2 offset:1072
	s_clause 0x2
	scratch_load_b128 v[168:171], off, off offset:272
	scratch_load_b128 v[176:179], off, off offset:96
	;; [unrolled: 1-line block ×3, first 2 shown]
	s_mov_b32 s2, exec_lo
	s_wait_loadcnt_dscnt 0xc01
	v_mul_f64_e32 v[184:185], v[166:167], v[6:7]
	v_mul_f64_e32 v[188:189], v[164:165], v[6:7]
	s_wait_loadcnt_dscnt 0xb00
	v_mul_f64_e32 v[190:191], v[172:173], v[12:13]
	v_mul_f64_e32 v[12:13], v[174:175], v[12:13]
	s_delay_alu instid0(VALU_DEP_4) | instskip(NEXT) | instid1(VALU_DEP_4)
	v_fma_f64 v[192:193], v[164:165], v[4:5], -v[184:185]
	v_fmac_f64_e32 v[188:189], v[166:167], v[4:5]
	ds_load_b128 v[4:7], v2 offset:1088
	ds_load_b128 v[164:167], v2 offset:1104
	scratch_load_b128 v[184:187], off, off offset:304
	v_fmac_f64_e32 v[190:191], v[174:175], v[10:11]
	v_fma_f64 v[172:173], v[172:173], v[10:11], -v[12:13]
	scratch_load_b128 v[10:13], off, off offset:320
	s_wait_loadcnt_dscnt 0xc01
	v_mul_f64_e32 v[194:195], v[4:5], v[134:135]
	v_mul_f64_e32 v[134:135], v[6:7], v[134:135]
	v_add_f64_e32 v[174:175], 0, v[192:193]
	v_add_f64_e32 v[188:189], 0, v[188:189]
	s_wait_loadcnt_dscnt 0xb00
	v_mul_f64_e32 v[192:193], v[164:165], v[138:139]
	v_mul_f64_e32 v[138:139], v[166:167], v[138:139]
	v_fmac_f64_e32 v[194:195], v[6:7], v[132:133]
	v_fma_f64 v[196:197], v[4:5], v[132:133], -v[134:135]
	ds_load_b128 v[4:7], v2 offset:1120
	ds_load_b128 v[132:135], v2 offset:1136
	v_add_f64_e32 v[198:199], v[174:175], v[172:173]
	v_add_f64_e32 v[188:189], v[188:189], v[190:191]
	scratch_load_b128 v[172:175], off, off offset:336
	v_fmac_f64_e32 v[192:193], v[166:167], v[136:137]
	v_fma_f64 v[164:165], v[164:165], v[136:137], -v[138:139]
	scratch_load_b128 v[136:139], off, off offset:352
	s_wait_loadcnt_dscnt 0xc01
	v_mul_f64_e32 v[190:191], v[4:5], v[142:143]
	v_mul_f64_e32 v[142:143], v[6:7], v[142:143]
	v_add_f64_e32 v[166:167], v[198:199], v[196:197]
	v_add_f64_e32 v[188:189], v[188:189], v[194:195]
	s_wait_loadcnt_dscnt 0xb00
	v_mul_f64_e32 v[194:195], v[132:133], v[146:147]
	v_mul_f64_e32 v[146:147], v[134:135], v[146:147]
	v_fmac_f64_e32 v[190:191], v[6:7], v[140:141]
	v_fma_f64 v[196:197], v[4:5], v[140:141], -v[142:143]
	ds_load_b128 v[4:7], v2 offset:1152
	ds_load_b128 v[140:143], v2 offset:1168
	v_add_f64_e32 v[198:199], v[166:167], v[164:165]
	v_add_f64_e32 v[188:189], v[188:189], v[192:193]
	scratch_load_b128 v[164:167], off, off offset:368
	s_wait_loadcnt_dscnt 0xb01
	v_mul_f64_e32 v[192:193], v[4:5], v[150:151]
	v_mul_f64_e32 v[150:151], v[6:7], v[150:151]
	v_fmac_f64_e32 v[194:195], v[134:135], v[144:145]
	v_fma_f64 v[144:145], v[132:133], v[144:145], -v[146:147]
	scratch_load_b128 v[132:135], off, off offset:384
	v_add_f64_e32 v[146:147], v[198:199], v[196:197]
	v_add_f64_e32 v[188:189], v[188:189], v[190:191]
	s_wait_loadcnt_dscnt 0xb00
	v_mul_f64_e32 v[190:191], v[140:141], v[154:155]
	v_mul_f64_e32 v[154:155], v[142:143], v[154:155]
	v_fmac_f64_e32 v[192:193], v[6:7], v[148:149]
	v_fma_f64 v[196:197], v[4:5], v[148:149], -v[150:151]
	v_add_f64_e32 v[198:199], v[146:147], v[144:145]
	v_add_f64_e32 v[188:189], v[188:189], v[194:195]
	ds_load_b128 v[4:7], v2 offset:1184
	ds_load_b128 v[144:147], v2 offset:1200
	scratch_load_b128 v[148:151], off, off offset:400
	v_fmac_f64_e32 v[190:191], v[142:143], v[152:153]
	v_fma_f64 v[152:153], v[140:141], v[152:153], -v[154:155]
	scratch_load_b128 v[140:143], off, off offset:416
	s_wait_loadcnt_dscnt 0xc01
	v_mul_f64_e32 v[194:195], v[4:5], v[158:159]
	v_mul_f64_e32 v[158:159], v[6:7], v[158:159]
	v_add_f64_e32 v[154:155], v[198:199], v[196:197]
	v_add_f64_e32 v[188:189], v[188:189], v[192:193]
	s_wait_loadcnt_dscnt 0xb00
	v_mul_f64_e32 v[192:193], v[144:145], v[162:163]
	v_mul_f64_e32 v[162:163], v[146:147], v[162:163]
	v_fmac_f64_e32 v[194:195], v[6:7], v[156:157]
	v_fma_f64 v[196:197], v[4:5], v[156:157], -v[158:159]
	v_add_f64_e32 v[198:199], v[154:155], v[152:153]
	v_add_f64_e32 v[188:189], v[188:189], v[190:191]
	ds_load_b128 v[4:7], v2 offset:1216
	ds_load_b128 v[152:155], v2 offset:1232
	scratch_load_b128 v[156:159], off, off offset:432
	v_fmac_f64_e32 v[192:193], v[146:147], v[160:161]
	v_fma_f64 v[160:161], v[144:145], v[160:161], -v[162:163]
	scratch_load_b128 v[144:147], off, off offset:448
	s_wait_loadcnt_dscnt 0xc01
	v_mul_f64_e32 v[190:191], v[4:5], v[170:171]
	v_mul_f64_e32 v[170:171], v[6:7], v[170:171]
	;; [unrolled: 18-line block ×5, first 2 shown]
	v_add_f64_e32 v[182:183], v[198:199], v[196:197]
	v_add_f64_e32 v[188:189], v[188:189], v[194:195]
	s_wait_loadcnt_dscnt 0xa00
	v_mul_f64_e32 v[194:195], v[160:161], v[134:135]
	v_mul_f64_e32 v[134:135], v[162:163], v[134:135]
	v_fmac_f64_e32 v[190:191], v[6:7], v[164:165]
	v_fma_f64 v[196:197], v[4:5], v[164:165], -v[166:167]
	ds_load_b128 v[4:7], v2 offset:1344
	ds_load_b128 v[164:167], v2 offset:1360
	v_add_f64_e32 v[198:199], v[182:183], v[180:181]
	v_add_f64_e32 v[188:189], v[188:189], v[192:193]
	scratch_load_b128 v[180:183], off, off offset:560
	v_fmac_f64_e32 v[194:195], v[162:163], v[132:133]
	v_fma_f64 v[160:161], v[160:161], v[132:133], -v[134:135]
	scratch_load_b128 v[132:135], off, off offset:576
	s_wait_loadcnt_dscnt 0xb01
	v_mul_f64_e32 v[192:193], v[4:5], v[150:151]
	v_mul_f64_e32 v[150:151], v[6:7], v[150:151]
	v_add_f64_e32 v[162:163], v[198:199], v[196:197]
	v_add_f64_e32 v[188:189], v[188:189], v[190:191]
	s_wait_loadcnt_dscnt 0xa00
	v_mul_f64_e32 v[190:191], v[164:165], v[142:143]
	v_mul_f64_e32 v[142:143], v[166:167], v[142:143]
	v_fmac_f64_e32 v[192:193], v[6:7], v[148:149]
	v_fma_f64 v[196:197], v[4:5], v[148:149], -v[150:151]
	ds_load_b128 v[4:7], v2 offset:1376
	ds_load_b128 v[148:151], v2 offset:1392
	v_add_f64_e32 v[198:199], v[162:163], v[160:161]
	v_add_f64_e32 v[188:189], v[188:189], v[194:195]
	scratch_load_b128 v[160:163], off, off offset:592
	s_wait_loadcnt_dscnt 0xa01
	v_mul_f64_e32 v[194:195], v[4:5], v[158:159]
	v_mul_f64_e32 v[158:159], v[6:7], v[158:159]
	v_fmac_f64_e32 v[190:191], v[166:167], v[140:141]
	v_fma_f64 v[164:165], v[164:165], v[140:141], -v[142:143]
	scratch_load_b128 v[140:143], off, off offset:608
	v_add_f64_e32 v[166:167], v[198:199], v[196:197]
	v_add_f64_e32 v[188:189], v[188:189], v[192:193]
	s_wait_loadcnt_dscnt 0xa00
	v_mul_f64_e32 v[192:193], v[148:149], v[146:147]
	v_mul_f64_e32 v[146:147], v[150:151], v[146:147]
	v_fmac_f64_e32 v[194:195], v[6:7], v[156:157]
	v_fma_f64 v[196:197], v[4:5], v[156:157], -v[158:159]
	ds_load_b128 v[4:7], v2 offset:1408
	ds_load_b128 v[156:159], v2 offset:1424
	v_add_f64_e32 v[198:199], v[166:167], v[164:165]
	v_add_f64_e32 v[188:189], v[188:189], v[190:191]
	scratch_load_b128 v[164:167], off, off offset:624
	s_wait_loadcnt_dscnt 0xa01
	v_mul_f64_e32 v[190:191], v[4:5], v[170:171]
	v_mul_f64_e32 v[170:171], v[6:7], v[170:171]
	v_fmac_f64_e32 v[192:193], v[150:151], v[144:145]
	v_fma_f64 v[148:149], v[148:149], v[144:145], -v[146:147]
	scratch_load_b128 v[144:147], off, off offset:640
	v_add_f64_e32 v[150:151], v[198:199], v[196:197]
	v_add_f64_e32 v[188:189], v[188:189], v[194:195]
	s_wait_loadcnt_dscnt 0xa00
	v_mul_f64_e32 v[194:195], v[156:157], v[154:155]
	v_mul_f64_e32 v[154:155], v[158:159], v[154:155]
	v_fmac_f64_e32 v[190:191], v[6:7], v[168:169]
	v_fma_f64 v[196:197], v[4:5], v[168:169], -v[170:171]
	v_add_f64_e32 v[198:199], v[150:151], v[148:149]
	v_add_f64_e32 v[188:189], v[188:189], v[192:193]
	ds_load_b128 v[4:7], v2 offset:1440
	ds_load_b128 v[148:151], v2 offset:1456
	scratch_load_b128 v[168:171], off, off offset:656
	v_fmac_f64_e32 v[194:195], v[158:159], v[152:153]
	v_fma_f64 v[156:157], v[156:157], v[152:153], -v[154:155]
	scratch_load_b128 v[152:155], off, off offset:672
	s_wait_loadcnt_dscnt 0xb01
	v_mul_f64_e32 v[192:193], v[4:5], v[186:187]
	v_mul_f64_e32 v[186:187], v[6:7], v[186:187]
	v_add_f64_e32 v[158:159], v[198:199], v[196:197]
	v_add_f64_e32 v[188:189], v[188:189], v[190:191]
	s_wait_loadcnt_dscnt 0xa00
	v_mul_f64_e32 v[190:191], v[148:149], v[12:13]
	v_mul_f64_e32 v[12:13], v[150:151], v[12:13]
	v_fmac_f64_e32 v[192:193], v[6:7], v[184:185]
	v_fma_f64 v[196:197], v[4:5], v[184:185], -v[186:187]
	v_add_f64_e32 v[198:199], v[158:159], v[156:157]
	v_add_f64_e32 v[188:189], v[188:189], v[194:195]
	ds_load_b128 v[4:7], v2 offset:1472
	ds_load_b128 v[156:159], v2 offset:1488
	scratch_load_b128 v[184:187], off, off offset:688
	v_fmac_f64_e32 v[190:191], v[150:151], v[10:11]
	v_fma_f64 v[148:149], v[148:149], v[10:11], -v[12:13]
	scratch_load_b128 v[10:13], off, off offset:704
	s_wait_loadcnt_dscnt 0xb01
	v_mul_f64_e32 v[194:195], v[4:5], v[174:175]
	v_mul_f64_e32 v[174:175], v[6:7], v[174:175]
	;; [unrolled: 18-line block ×9, first 2 shown]
	v_add_f64_e32 v[158:159], v[198:199], v[196:197]
	v_add_f64_e32 v[188:189], v[188:189], v[194:195]
	s_wait_loadcnt_dscnt 0xa00
	v_mul_f64_e32 v[194:195], v[148:149], v[134:135]
	v_mul_f64_e32 v[134:135], v[150:151], v[134:135]
	v_fmac_f64_e32 v[190:191], v[6:7], v[180:181]
	v_fma_f64 v[180:181], v[4:5], v[180:181], -v[182:183]
	v_add_f64_e32 v[182:183], v[158:159], v[156:157]
	v_add_f64_e32 v[188:189], v[188:189], v[192:193]
	ds_load_b128 v[4:7], v2 offset:1728
	ds_load_b128 v[156:159], v2 offset:1744
	v_fmac_f64_e32 v[194:195], v[150:151], v[132:133]
	v_fma_f64 v[132:133], v[148:149], v[132:133], -v[134:135]
	s_wait_loadcnt_dscnt 0x901
	v_mul_f64_e32 v[192:193], v[4:5], v[162:163]
	v_mul_f64_e32 v[162:163], v[6:7], v[162:163]
	s_wait_loadcnt_dscnt 0x800
	v_mul_f64_e32 v[150:151], v[156:157], v[142:143]
	v_mul_f64_e32 v[142:143], v[158:159], v[142:143]
	v_add_f64_e32 v[134:135], v[182:183], v[180:181]
	v_add_f64_e32 v[148:149], v[188:189], v[190:191]
	v_fmac_f64_e32 v[192:193], v[6:7], v[160:161]
	v_fma_f64 v[160:161], v[4:5], v[160:161], -v[162:163]
	v_fmac_f64_e32 v[150:151], v[158:159], v[140:141]
	v_fma_f64 v[140:141], v[156:157], v[140:141], -v[142:143]
	v_add_f64_e32 v[162:163], v[134:135], v[132:133]
	v_add_f64_e32 v[148:149], v[148:149], v[194:195]
	ds_load_b128 v[4:7], v2 offset:1760
	ds_load_b128 v[132:135], v2 offset:1776
	s_wait_loadcnt_dscnt 0x701
	v_mul_f64_e32 v[180:181], v[4:5], v[166:167]
	v_mul_f64_e32 v[166:167], v[6:7], v[166:167]
	s_wait_loadcnt_dscnt 0x600
	v_mul_f64_e32 v[156:157], v[132:133], v[146:147]
	v_mul_f64_e32 v[146:147], v[134:135], v[146:147]
	v_add_f64_e32 v[142:143], v[162:163], v[160:161]
	v_add_f64_e32 v[148:149], v[148:149], v[192:193]
	v_fmac_f64_e32 v[180:181], v[6:7], v[164:165]
	v_fma_f64 v[158:159], v[4:5], v[164:165], -v[166:167]
	v_fmac_f64_e32 v[156:157], v[134:135], v[144:145]
	v_fma_f64 v[132:133], v[132:133], v[144:145], -v[146:147]
	v_add_f64_e32 v[160:161], v[142:143], v[140:141]
	v_add_f64_e32 v[148:149], v[148:149], v[150:151]
	ds_load_b128 v[4:7], v2 offset:1792
	ds_load_b128 v[140:143], v2 offset:1808
	s_wait_loadcnt_dscnt 0x501
	v_mul_f64_e32 v[150:151], v[4:5], v[170:171]
	v_mul_f64_e32 v[162:163], v[6:7], v[170:171]
	s_wait_loadcnt_dscnt 0x400
	v_mul_f64_e32 v[146:147], v[140:141], v[154:155]
	v_add_f64_e32 v[134:135], v[160:161], v[158:159]
	v_add_f64_e32 v[144:145], v[148:149], v[180:181]
	v_mul_f64_e32 v[148:149], v[142:143], v[154:155]
	v_fmac_f64_e32 v[150:151], v[6:7], v[168:169]
	v_fma_f64 v[154:155], v[4:5], v[168:169], -v[162:163]
	v_fmac_f64_e32 v[146:147], v[142:143], v[152:153]
	v_add_f64_e32 v[158:159], v[134:135], v[132:133]
	v_add_f64_e32 v[144:145], v[144:145], v[156:157]
	ds_load_b128 v[4:7], v2 offset:1824
	ds_load_b128 v[132:135], v2 offset:1840
	v_fma_f64 v[140:141], v[140:141], v[152:153], -v[148:149]
	s_wait_loadcnt_dscnt 0x301
	v_mul_f64_e32 v[156:157], v[4:5], v[186:187]
	v_mul_f64_e32 v[160:161], v[6:7], v[186:187]
	s_wait_loadcnt_dscnt 0x200
	v_mul_f64_e32 v[148:149], v[132:133], v[12:13]
	v_mul_f64_e32 v[12:13], v[134:135], v[12:13]
	v_add_f64_e32 v[142:143], v[158:159], v[154:155]
	v_add_f64_e32 v[144:145], v[144:145], v[150:151]
	v_fmac_f64_e32 v[156:157], v[6:7], v[184:185]
	v_fma_f64 v[150:151], v[4:5], v[184:185], -v[160:161]
	v_fmac_f64_e32 v[148:149], v[134:135], v[10:11]
	v_fma_f64 v[10:11], v[132:133], v[10:11], -v[12:13]
	v_add_f64_e32 v[152:153], v[142:143], v[140:141]
	v_add_f64_e32 v[144:145], v[144:145], v[146:147]
	ds_load_b128 v[4:7], v2 offset:1856
	ds_load_b128 v[140:143], v2 offset:1872
	s_wait_loadcnt_dscnt 0x101
	v_mul_f64_e32 v[2:3], v[4:5], v[174:175]
	v_mul_f64_e32 v[146:147], v[6:7], v[174:175]
	s_wait_loadcnt_dscnt 0x0
	v_mul_f64_e32 v[134:135], v[140:141], v[138:139]
	v_mul_f64_e32 v[138:139], v[142:143], v[138:139]
	v_add_f64_e32 v[12:13], v[152:153], v[150:151]
	v_add_f64_e32 v[132:133], v[144:145], v[156:157]
	v_fmac_f64_e32 v[2:3], v[6:7], v[172:173]
	v_fma_f64 v[4:5], v[4:5], v[172:173], -v[146:147]
	v_fmac_f64_e32 v[134:135], v[142:143], v[136:137]
	v_add_f64_e32 v[6:7], v[12:13], v[10:11]
	v_add_f64_e32 v[10:11], v[132:133], v[148:149]
	v_fma_f64 v[12:13], v[140:141], v[136:137], -v[138:139]
	s_delay_alu instid0(VALU_DEP_3) | instskip(NEXT) | instid1(VALU_DEP_3)
	v_add_f64_e32 v[4:5], v[6:7], v[4:5]
	v_add_f64_e32 v[2:3], v[10:11], v[2:3]
	s_delay_alu instid0(VALU_DEP_2) | instskip(NEXT) | instid1(VALU_DEP_2)
	v_add_f64_e32 v[4:5], v[4:5], v[12:13]
	v_add_f64_e32 v[6:7], v[2:3], v[134:135]
	s_delay_alu instid0(VALU_DEP_2) | instskip(NEXT) | instid1(VALU_DEP_2)
	v_add_f64_e64 v[2:3], v[176:177], -v[4:5]
	v_add_f64_e64 v[4:5], v[178:179], -v[6:7]
	scratch_store_b128 off, v[2:5], off offset:96
	s_wait_xcnt 0x0
	v_cmpx_lt_u32_e32 5, v1
	s_cbranch_execz .LBB122_357
; %bb.356:
	scratch_load_b128 v[2:5], off, s70
	v_mov_b32_e32 v10, 0
	s_delay_alu instid0(VALU_DEP_1)
	v_dual_mov_b32 v11, v10 :: v_dual_mov_b32 v12, v10
	v_mov_b32_e32 v13, v10
	scratch_store_b128 off, v[10:13], off offset:80
	s_wait_loadcnt 0x0
	ds_store_b128 v8, v[2:5]
.LBB122_357:
	s_wait_xcnt 0x0
	s_or_b32 exec_lo, exec_lo, s2
	s_wait_storecnt_dscnt 0x0
	s_barrier_signal -1
	s_barrier_wait -1
	s_clause 0x9
	scratch_load_b128 v[4:7], off, off offset:96
	scratch_load_b128 v[10:13], off, off offset:112
	;; [unrolled: 1-line block ×10, first 2 shown]
	v_mov_b32_e32 v2, 0
	s_mov_b32 s2, exec_lo
	ds_load_b128 v[164:167], v2 offset:1040
	s_clause 0x2
	scratch_load_b128 v[168:171], off, off offset:256
	scratch_load_b128 v[172:175], off, off offset:80
	;; [unrolled: 1-line block ×3, first 2 shown]
	s_wait_loadcnt_dscnt 0xc00
	v_mul_f64_e32 v[184:185], v[166:167], v[6:7]
	v_mul_f64_e32 v[188:189], v[164:165], v[6:7]
	ds_load_b128 v[176:179], v2 offset:1056
	v_fma_f64 v[192:193], v[164:165], v[4:5], -v[184:185]
	v_fmac_f64_e32 v[188:189], v[166:167], v[4:5]
	ds_load_b128 v[4:7], v2 offset:1072
	s_wait_loadcnt_dscnt 0xb01
	v_mul_f64_e32 v[190:191], v[176:177], v[12:13]
	v_mul_f64_e32 v[12:13], v[178:179], v[12:13]
	scratch_load_b128 v[164:167], off, off offset:288
	ds_load_b128 v[184:187], v2 offset:1088
	s_wait_loadcnt_dscnt 0xb01
	v_mul_f64_e32 v[194:195], v[4:5], v[134:135]
	v_mul_f64_e32 v[134:135], v[6:7], v[134:135]
	v_add_f64_e32 v[188:189], 0, v[188:189]
	v_fmac_f64_e32 v[190:191], v[178:179], v[10:11]
	v_fma_f64 v[176:177], v[176:177], v[10:11], -v[12:13]
	v_add_f64_e32 v[178:179], 0, v[192:193]
	scratch_load_b128 v[10:13], off, off offset:304
	v_fmac_f64_e32 v[194:195], v[6:7], v[132:133]
	v_fma_f64 v[196:197], v[4:5], v[132:133], -v[134:135]
	ds_load_b128 v[4:7], v2 offset:1104
	s_wait_loadcnt_dscnt 0xb01
	v_mul_f64_e32 v[192:193], v[184:185], v[138:139]
	v_mul_f64_e32 v[138:139], v[186:187], v[138:139]
	scratch_load_b128 v[132:135], off, off offset:320
	v_add_f64_e32 v[188:189], v[188:189], v[190:191]
	v_add_f64_e32 v[198:199], v[178:179], v[176:177]
	ds_load_b128 v[176:179], v2 offset:1120
	s_wait_loadcnt_dscnt 0xb01
	v_mul_f64_e32 v[190:191], v[4:5], v[142:143]
	v_mul_f64_e32 v[142:143], v[6:7], v[142:143]
	v_fmac_f64_e32 v[192:193], v[186:187], v[136:137]
	v_fma_f64 v[184:185], v[184:185], v[136:137], -v[138:139]
	scratch_load_b128 v[136:139], off, off offset:336
	v_add_f64_e32 v[188:189], v[188:189], v[194:195]
	v_add_f64_e32 v[186:187], v[198:199], v[196:197]
	v_fmac_f64_e32 v[190:191], v[6:7], v[140:141]
	v_fma_f64 v[196:197], v[4:5], v[140:141], -v[142:143]
	ds_load_b128 v[4:7], v2 offset:1136
	s_wait_loadcnt_dscnt 0xb01
	v_mul_f64_e32 v[194:195], v[176:177], v[146:147]
	v_mul_f64_e32 v[146:147], v[178:179], v[146:147]
	scratch_load_b128 v[140:143], off, off offset:352
	v_add_f64_e32 v[188:189], v[188:189], v[192:193]
	s_wait_loadcnt_dscnt 0xb00
	v_mul_f64_e32 v[192:193], v[4:5], v[150:151]
	v_add_f64_e32 v[198:199], v[186:187], v[184:185]
	v_mul_f64_e32 v[150:151], v[6:7], v[150:151]
	ds_load_b128 v[184:187], v2 offset:1152
	v_fmac_f64_e32 v[194:195], v[178:179], v[144:145]
	v_fma_f64 v[176:177], v[176:177], v[144:145], -v[146:147]
	scratch_load_b128 v[144:147], off, off offset:368
	v_add_f64_e32 v[188:189], v[188:189], v[190:191]
	v_fmac_f64_e32 v[192:193], v[6:7], v[148:149]
	v_add_f64_e32 v[178:179], v[198:199], v[196:197]
	v_fma_f64 v[196:197], v[4:5], v[148:149], -v[150:151]
	ds_load_b128 v[4:7], v2 offset:1168
	s_wait_loadcnt_dscnt 0xb01
	v_mul_f64_e32 v[190:191], v[184:185], v[154:155]
	v_mul_f64_e32 v[154:155], v[186:187], v[154:155]
	scratch_load_b128 v[148:151], off, off offset:384
	v_add_f64_e32 v[188:189], v[188:189], v[194:195]
	s_wait_loadcnt_dscnt 0xb00
	v_mul_f64_e32 v[194:195], v[4:5], v[158:159]
	v_add_f64_e32 v[198:199], v[178:179], v[176:177]
	v_mul_f64_e32 v[158:159], v[6:7], v[158:159]
	ds_load_b128 v[176:179], v2 offset:1184
	v_fmac_f64_e32 v[190:191], v[186:187], v[152:153]
	v_fma_f64 v[184:185], v[184:185], v[152:153], -v[154:155]
	scratch_load_b128 v[152:155], off, off offset:400
	v_add_f64_e32 v[188:189], v[188:189], v[192:193]
	v_fmac_f64_e32 v[194:195], v[6:7], v[156:157]
	v_add_f64_e32 v[186:187], v[198:199], v[196:197]
	;; [unrolled: 18-line block ×3, first 2 shown]
	v_fma_f64 v[196:197], v[4:5], v[168:169], -v[170:171]
	ds_load_b128 v[4:7], v2 offset:1232
	s_wait_loadcnt_dscnt 0xa01
	v_mul_f64_e32 v[194:195], v[184:185], v[182:183]
	v_mul_f64_e32 v[182:183], v[186:187], v[182:183]
	scratch_load_b128 v[168:171], off, off offset:448
	v_add_f64_e32 v[188:189], v[188:189], v[192:193]
	v_add_f64_e32 v[198:199], v[178:179], v[176:177]
	s_wait_loadcnt_dscnt 0xa00
	v_mul_f64_e32 v[192:193], v[4:5], v[166:167]
	v_mul_f64_e32 v[166:167], v[6:7], v[166:167]
	v_fmac_f64_e32 v[194:195], v[186:187], v[180:181]
	v_fma_f64 v[184:185], v[184:185], v[180:181], -v[182:183]
	ds_load_b128 v[176:179], v2 offset:1248
	scratch_load_b128 v[180:183], off, off offset:464
	v_add_f64_e32 v[188:189], v[188:189], v[190:191]
	v_add_f64_e32 v[186:187], v[198:199], v[196:197]
	v_fmac_f64_e32 v[192:193], v[6:7], v[164:165]
	v_fma_f64 v[196:197], v[4:5], v[164:165], -v[166:167]
	ds_load_b128 v[4:7], v2 offset:1264
	s_wait_loadcnt_dscnt 0xa01
	v_mul_f64_e32 v[190:191], v[176:177], v[12:13]
	v_mul_f64_e32 v[12:13], v[178:179], v[12:13]
	scratch_load_b128 v[164:167], off, off offset:480
	v_add_f64_e32 v[188:189], v[188:189], v[194:195]
	s_wait_loadcnt_dscnt 0xa00
	v_mul_f64_e32 v[194:195], v[4:5], v[134:135]
	v_add_f64_e32 v[198:199], v[186:187], v[184:185]
	v_mul_f64_e32 v[134:135], v[6:7], v[134:135]
	ds_load_b128 v[184:187], v2 offset:1280
	v_fmac_f64_e32 v[190:191], v[178:179], v[10:11]
	v_fma_f64 v[176:177], v[176:177], v[10:11], -v[12:13]
	scratch_load_b128 v[10:13], off, off offset:496
	v_add_f64_e32 v[188:189], v[188:189], v[192:193]
	v_fmac_f64_e32 v[194:195], v[6:7], v[132:133]
	v_add_f64_e32 v[178:179], v[198:199], v[196:197]
	v_fma_f64 v[196:197], v[4:5], v[132:133], -v[134:135]
	ds_load_b128 v[4:7], v2 offset:1296
	s_wait_loadcnt_dscnt 0xa01
	v_mul_f64_e32 v[192:193], v[184:185], v[138:139]
	v_mul_f64_e32 v[138:139], v[186:187], v[138:139]
	scratch_load_b128 v[132:135], off, off offset:512
	v_add_f64_e32 v[188:189], v[188:189], v[190:191]
	s_wait_loadcnt_dscnt 0xa00
	v_mul_f64_e32 v[190:191], v[4:5], v[142:143]
	v_add_f64_e32 v[198:199], v[178:179], v[176:177]
	v_mul_f64_e32 v[142:143], v[6:7], v[142:143]
	ds_load_b128 v[176:179], v2 offset:1312
	v_fmac_f64_e32 v[192:193], v[186:187], v[136:137]
	v_fma_f64 v[184:185], v[184:185], v[136:137], -v[138:139]
	scratch_load_b128 v[136:139], off, off offset:528
	v_add_f64_e32 v[188:189], v[188:189], v[194:195]
	v_fmac_f64_e32 v[190:191], v[6:7], v[140:141]
	v_add_f64_e32 v[186:187], v[198:199], v[196:197]
	;; [unrolled: 18-line block ×14, first 2 shown]
	v_fma_f64 v[196:197], v[4:5], v[140:141], -v[142:143]
	ds_load_b128 v[4:7], v2 offset:1712
	s_wait_loadcnt_dscnt 0xa01
	v_mul_f64_e32 v[194:195], v[176:177], v[146:147]
	v_mul_f64_e32 v[146:147], v[178:179], v[146:147]
	scratch_load_b128 v[140:143], off, off offset:928
	v_add_f64_e32 v[188:189], v[188:189], v[192:193]
	s_wait_loadcnt_dscnt 0xa00
	v_mul_f64_e32 v[192:193], v[4:5], v[150:151]
	v_add_f64_e32 v[198:199], v[186:187], v[184:185]
	v_mul_f64_e32 v[150:151], v[6:7], v[150:151]
	ds_load_b128 v[184:187], v2 offset:1728
	v_fmac_f64_e32 v[194:195], v[178:179], v[144:145]
	v_fma_f64 v[144:145], v[176:177], v[144:145], -v[146:147]
	s_wait_loadcnt_dscnt 0x900
	v_mul_f64_e32 v[178:179], v[184:185], v[154:155]
	v_mul_f64_e32 v[154:155], v[186:187], v[154:155]
	v_add_f64_e32 v[176:177], v[188:189], v[190:191]
	v_fmac_f64_e32 v[192:193], v[6:7], v[148:149]
	v_add_f64_e32 v[146:147], v[198:199], v[196:197]
	v_fma_f64 v[148:149], v[4:5], v[148:149], -v[150:151]
	v_fmac_f64_e32 v[178:179], v[186:187], v[152:153]
	v_fma_f64 v[152:153], v[184:185], v[152:153], -v[154:155]
	v_add_f64_e32 v[176:177], v[176:177], v[194:195]
	v_add_f64_e32 v[150:151], v[146:147], v[144:145]
	ds_load_b128 v[4:7], v2 offset:1744
	ds_load_b128 v[144:147], v2 offset:1760
	s_wait_loadcnt_dscnt 0x801
	v_mul_f64_e32 v[188:189], v[4:5], v[158:159]
	v_mul_f64_e32 v[158:159], v[6:7], v[158:159]
	s_wait_loadcnt_dscnt 0x700
	v_mul_f64_e32 v[154:155], v[144:145], v[162:163]
	v_mul_f64_e32 v[162:163], v[146:147], v[162:163]
	v_add_f64_e32 v[148:149], v[150:151], v[148:149]
	v_add_f64_e32 v[150:151], v[176:177], v[192:193]
	v_fmac_f64_e32 v[188:189], v[6:7], v[156:157]
	v_fma_f64 v[156:157], v[4:5], v[156:157], -v[158:159]
	v_fmac_f64_e32 v[154:155], v[146:147], v[160:161]
	v_fma_f64 v[144:145], v[144:145], v[160:161], -v[162:163]
	v_add_f64_e32 v[152:153], v[148:149], v[152:153]
	v_add_f64_e32 v[158:159], v[150:151], v[178:179]
	ds_load_b128 v[4:7], v2 offset:1776
	ds_load_b128 v[148:151], v2 offset:1792
	s_wait_loadcnt_dscnt 0x601
	v_mul_f64_e32 v[176:177], v[4:5], v[170:171]
	v_mul_f64_e32 v[170:171], v[6:7], v[170:171]
	v_add_f64_e32 v[146:147], v[152:153], v[156:157]
	v_add_f64_e32 v[152:153], v[158:159], v[188:189]
	s_wait_loadcnt_dscnt 0x500
	v_mul_f64_e32 v[156:157], v[148:149], v[182:183]
	v_mul_f64_e32 v[158:159], v[150:151], v[182:183]
	v_fmac_f64_e32 v[176:177], v[6:7], v[168:169]
	v_fma_f64 v[160:161], v[4:5], v[168:169], -v[170:171]
	v_add_f64_e32 v[162:163], v[146:147], v[144:145]
	v_add_f64_e32 v[152:153], v[152:153], v[154:155]
	ds_load_b128 v[4:7], v2 offset:1808
	ds_load_b128 v[144:147], v2 offset:1824
	v_fmac_f64_e32 v[156:157], v[150:151], v[180:181]
	v_fma_f64 v[148:149], v[148:149], v[180:181], -v[158:159]
	s_wait_loadcnt_dscnt 0x401
	v_mul_f64_e32 v[154:155], v[4:5], v[166:167]
	v_mul_f64_e32 v[166:167], v[6:7], v[166:167]
	s_wait_loadcnt_dscnt 0x300
	v_mul_f64_e32 v[158:159], v[144:145], v[12:13]
	v_mul_f64_e32 v[12:13], v[146:147], v[12:13]
	v_add_f64_e32 v[150:151], v[162:163], v[160:161]
	v_add_f64_e32 v[152:153], v[152:153], v[176:177]
	v_fmac_f64_e32 v[154:155], v[6:7], v[164:165]
	v_fma_f64 v[160:161], v[4:5], v[164:165], -v[166:167]
	v_fmac_f64_e32 v[158:159], v[146:147], v[10:11]
	v_fma_f64 v[10:11], v[144:145], v[10:11], -v[12:13]
	v_add_f64_e32 v[162:163], v[150:151], v[148:149]
	v_add_f64_e32 v[152:153], v[152:153], v[156:157]
	ds_load_b128 v[4:7], v2 offset:1840
	ds_load_b128 v[148:151], v2 offset:1856
	s_wait_loadcnt_dscnt 0x201
	v_mul_f64_e32 v[156:157], v[4:5], v[134:135]
	v_mul_f64_e32 v[134:135], v[6:7], v[134:135]
	s_wait_loadcnt_dscnt 0x100
	v_mul_f64_e32 v[146:147], v[148:149], v[138:139]
	v_mul_f64_e32 v[138:139], v[150:151], v[138:139]
	v_add_f64_e32 v[12:13], v[162:163], v[160:161]
	v_add_f64_e32 v[144:145], v[152:153], v[154:155]
	v_fmac_f64_e32 v[156:157], v[6:7], v[132:133]
	v_fma_f64 v[132:133], v[4:5], v[132:133], -v[134:135]
	ds_load_b128 v[4:7], v2 offset:1872
	v_fmac_f64_e32 v[146:147], v[150:151], v[136:137]
	v_fma_f64 v[136:137], v[148:149], v[136:137], -v[138:139]
	v_add_f64_e32 v[10:11], v[12:13], v[10:11]
	v_add_f64_e32 v[12:13], v[144:145], v[158:159]
	s_wait_loadcnt_dscnt 0x0
	v_mul_f64_e32 v[134:135], v[4:5], v[142:143]
	v_mul_f64_e32 v[142:143], v[6:7], v[142:143]
	s_delay_alu instid0(VALU_DEP_4) | instskip(NEXT) | instid1(VALU_DEP_4)
	v_add_f64_e32 v[10:11], v[10:11], v[132:133]
	v_add_f64_e32 v[12:13], v[12:13], v[156:157]
	s_delay_alu instid0(VALU_DEP_4) | instskip(NEXT) | instid1(VALU_DEP_4)
	v_fmac_f64_e32 v[134:135], v[6:7], v[140:141]
	v_fma_f64 v[4:5], v[4:5], v[140:141], -v[142:143]
	s_delay_alu instid0(VALU_DEP_4) | instskip(NEXT) | instid1(VALU_DEP_4)
	v_add_f64_e32 v[6:7], v[10:11], v[136:137]
	v_add_f64_e32 v[10:11], v[12:13], v[146:147]
	s_delay_alu instid0(VALU_DEP_2) | instskip(NEXT) | instid1(VALU_DEP_2)
	v_add_f64_e32 v[4:5], v[6:7], v[4:5]
	v_add_f64_e32 v[6:7], v[10:11], v[134:135]
	s_delay_alu instid0(VALU_DEP_2) | instskip(NEXT) | instid1(VALU_DEP_2)
	v_add_f64_e64 v[4:5], v[172:173], -v[4:5]
	v_add_f64_e64 v[6:7], v[174:175], -v[6:7]
	scratch_store_b128 off, v[4:7], off offset:80
	s_wait_xcnt 0x0
	v_cmpx_lt_u32_e32 4, v1
	s_cbranch_execz .LBB122_359
; %bb.358:
	scratch_load_b128 v[10:13], off, s12
	v_dual_mov_b32 v3, v2 :: v_dual_mov_b32 v4, v2
	v_mov_b32_e32 v5, v2
	scratch_store_b128 off, v[2:5], off offset:64
	s_wait_loadcnt 0x0
	ds_store_b128 v8, v[10:13]
.LBB122_359:
	s_wait_xcnt 0x0
	s_or_b32 exec_lo, exec_lo, s2
	s_wait_storecnt_dscnt 0x0
	s_barrier_signal -1
	s_barrier_wait -1
	s_clause 0x9
	scratch_load_b128 v[4:7], off, off offset:80
	scratch_load_b128 v[10:13], off, off offset:96
	;; [unrolled: 1-line block ×10, first 2 shown]
	ds_load_b128 v[164:167], v2 offset:1024
	ds_load_b128 v[172:175], v2 offset:1040
	s_clause 0x2
	scratch_load_b128 v[168:171], off, off offset:240
	scratch_load_b128 v[176:179], off, off offset:64
	;; [unrolled: 1-line block ×3, first 2 shown]
	s_mov_b32 s2, exec_lo
	s_wait_loadcnt_dscnt 0xc01
	v_mul_f64_e32 v[184:185], v[166:167], v[6:7]
	v_mul_f64_e32 v[188:189], v[164:165], v[6:7]
	s_wait_loadcnt_dscnt 0xb00
	v_mul_f64_e32 v[190:191], v[172:173], v[12:13]
	v_mul_f64_e32 v[12:13], v[174:175], v[12:13]
	s_delay_alu instid0(VALU_DEP_4) | instskip(NEXT) | instid1(VALU_DEP_4)
	v_fma_f64 v[192:193], v[164:165], v[4:5], -v[184:185]
	v_fmac_f64_e32 v[188:189], v[166:167], v[4:5]
	ds_load_b128 v[4:7], v2 offset:1056
	ds_load_b128 v[164:167], v2 offset:1072
	scratch_load_b128 v[184:187], off, off offset:272
	v_fmac_f64_e32 v[190:191], v[174:175], v[10:11]
	v_fma_f64 v[172:173], v[172:173], v[10:11], -v[12:13]
	scratch_load_b128 v[10:13], off, off offset:288
	s_wait_loadcnt_dscnt 0xc01
	v_mul_f64_e32 v[194:195], v[4:5], v[134:135]
	v_mul_f64_e32 v[134:135], v[6:7], v[134:135]
	v_add_f64_e32 v[174:175], 0, v[192:193]
	v_add_f64_e32 v[188:189], 0, v[188:189]
	s_wait_loadcnt_dscnt 0xb00
	v_mul_f64_e32 v[192:193], v[164:165], v[138:139]
	v_mul_f64_e32 v[138:139], v[166:167], v[138:139]
	v_fmac_f64_e32 v[194:195], v[6:7], v[132:133]
	v_fma_f64 v[196:197], v[4:5], v[132:133], -v[134:135]
	ds_load_b128 v[4:7], v2 offset:1088
	ds_load_b128 v[132:135], v2 offset:1104
	v_add_f64_e32 v[198:199], v[174:175], v[172:173]
	v_add_f64_e32 v[188:189], v[188:189], v[190:191]
	scratch_load_b128 v[172:175], off, off offset:304
	v_fmac_f64_e32 v[192:193], v[166:167], v[136:137]
	v_fma_f64 v[164:165], v[164:165], v[136:137], -v[138:139]
	scratch_load_b128 v[136:139], off, off offset:320
	s_wait_loadcnt_dscnt 0xc01
	v_mul_f64_e32 v[190:191], v[4:5], v[142:143]
	v_mul_f64_e32 v[142:143], v[6:7], v[142:143]
	v_add_f64_e32 v[166:167], v[198:199], v[196:197]
	v_add_f64_e32 v[188:189], v[188:189], v[194:195]
	s_wait_loadcnt_dscnt 0xb00
	v_mul_f64_e32 v[194:195], v[132:133], v[146:147]
	v_mul_f64_e32 v[146:147], v[134:135], v[146:147]
	v_fmac_f64_e32 v[190:191], v[6:7], v[140:141]
	v_fma_f64 v[196:197], v[4:5], v[140:141], -v[142:143]
	ds_load_b128 v[4:7], v2 offset:1120
	ds_load_b128 v[140:143], v2 offset:1136
	v_add_f64_e32 v[198:199], v[166:167], v[164:165]
	v_add_f64_e32 v[188:189], v[188:189], v[192:193]
	scratch_load_b128 v[164:167], off, off offset:336
	s_wait_loadcnt_dscnt 0xb01
	v_mul_f64_e32 v[192:193], v[4:5], v[150:151]
	v_mul_f64_e32 v[150:151], v[6:7], v[150:151]
	v_fmac_f64_e32 v[194:195], v[134:135], v[144:145]
	v_fma_f64 v[144:145], v[132:133], v[144:145], -v[146:147]
	scratch_load_b128 v[132:135], off, off offset:352
	v_add_f64_e32 v[146:147], v[198:199], v[196:197]
	v_add_f64_e32 v[188:189], v[188:189], v[190:191]
	s_wait_loadcnt_dscnt 0xb00
	v_mul_f64_e32 v[190:191], v[140:141], v[154:155]
	v_mul_f64_e32 v[154:155], v[142:143], v[154:155]
	v_fmac_f64_e32 v[192:193], v[6:7], v[148:149]
	v_fma_f64 v[196:197], v[4:5], v[148:149], -v[150:151]
	v_add_f64_e32 v[198:199], v[146:147], v[144:145]
	v_add_f64_e32 v[188:189], v[188:189], v[194:195]
	ds_load_b128 v[4:7], v2 offset:1152
	ds_load_b128 v[144:147], v2 offset:1168
	scratch_load_b128 v[148:151], off, off offset:368
	v_fmac_f64_e32 v[190:191], v[142:143], v[152:153]
	v_fma_f64 v[152:153], v[140:141], v[152:153], -v[154:155]
	scratch_load_b128 v[140:143], off, off offset:384
	s_wait_loadcnt_dscnt 0xc01
	v_mul_f64_e32 v[194:195], v[4:5], v[158:159]
	v_mul_f64_e32 v[158:159], v[6:7], v[158:159]
	v_add_f64_e32 v[154:155], v[198:199], v[196:197]
	v_add_f64_e32 v[188:189], v[188:189], v[192:193]
	s_wait_loadcnt_dscnt 0xb00
	v_mul_f64_e32 v[192:193], v[144:145], v[162:163]
	v_mul_f64_e32 v[162:163], v[146:147], v[162:163]
	v_fmac_f64_e32 v[194:195], v[6:7], v[156:157]
	v_fma_f64 v[196:197], v[4:5], v[156:157], -v[158:159]
	v_add_f64_e32 v[198:199], v[154:155], v[152:153]
	v_add_f64_e32 v[188:189], v[188:189], v[190:191]
	ds_load_b128 v[4:7], v2 offset:1184
	ds_load_b128 v[152:155], v2 offset:1200
	scratch_load_b128 v[156:159], off, off offset:400
	v_fmac_f64_e32 v[192:193], v[146:147], v[160:161]
	v_fma_f64 v[160:161], v[144:145], v[160:161], -v[162:163]
	scratch_load_b128 v[144:147], off, off offset:416
	s_wait_loadcnt_dscnt 0xc01
	v_mul_f64_e32 v[190:191], v[4:5], v[170:171]
	v_mul_f64_e32 v[170:171], v[6:7], v[170:171]
	;; [unrolled: 18-line block ×5, first 2 shown]
	v_add_f64_e32 v[182:183], v[198:199], v[196:197]
	v_add_f64_e32 v[188:189], v[188:189], v[194:195]
	s_wait_loadcnt_dscnt 0xa00
	v_mul_f64_e32 v[194:195], v[160:161], v[134:135]
	v_mul_f64_e32 v[134:135], v[162:163], v[134:135]
	v_fmac_f64_e32 v[190:191], v[6:7], v[164:165]
	v_fma_f64 v[196:197], v[4:5], v[164:165], -v[166:167]
	ds_load_b128 v[4:7], v2 offset:1312
	ds_load_b128 v[164:167], v2 offset:1328
	v_add_f64_e32 v[198:199], v[182:183], v[180:181]
	v_add_f64_e32 v[188:189], v[188:189], v[192:193]
	scratch_load_b128 v[180:183], off, off offset:528
	v_fmac_f64_e32 v[194:195], v[162:163], v[132:133]
	v_fma_f64 v[160:161], v[160:161], v[132:133], -v[134:135]
	scratch_load_b128 v[132:135], off, off offset:544
	s_wait_loadcnt_dscnt 0xb01
	v_mul_f64_e32 v[192:193], v[4:5], v[150:151]
	v_mul_f64_e32 v[150:151], v[6:7], v[150:151]
	v_add_f64_e32 v[162:163], v[198:199], v[196:197]
	v_add_f64_e32 v[188:189], v[188:189], v[190:191]
	s_wait_loadcnt_dscnt 0xa00
	v_mul_f64_e32 v[190:191], v[164:165], v[142:143]
	v_mul_f64_e32 v[142:143], v[166:167], v[142:143]
	v_fmac_f64_e32 v[192:193], v[6:7], v[148:149]
	v_fma_f64 v[196:197], v[4:5], v[148:149], -v[150:151]
	ds_load_b128 v[4:7], v2 offset:1344
	ds_load_b128 v[148:151], v2 offset:1360
	v_add_f64_e32 v[198:199], v[162:163], v[160:161]
	v_add_f64_e32 v[188:189], v[188:189], v[194:195]
	scratch_load_b128 v[160:163], off, off offset:560
	s_wait_loadcnt_dscnt 0xa01
	v_mul_f64_e32 v[194:195], v[4:5], v[158:159]
	v_mul_f64_e32 v[158:159], v[6:7], v[158:159]
	v_fmac_f64_e32 v[190:191], v[166:167], v[140:141]
	v_fma_f64 v[164:165], v[164:165], v[140:141], -v[142:143]
	scratch_load_b128 v[140:143], off, off offset:576
	v_add_f64_e32 v[166:167], v[198:199], v[196:197]
	v_add_f64_e32 v[188:189], v[188:189], v[192:193]
	s_wait_loadcnt_dscnt 0xa00
	v_mul_f64_e32 v[192:193], v[148:149], v[146:147]
	v_mul_f64_e32 v[146:147], v[150:151], v[146:147]
	v_fmac_f64_e32 v[194:195], v[6:7], v[156:157]
	v_fma_f64 v[196:197], v[4:5], v[156:157], -v[158:159]
	ds_load_b128 v[4:7], v2 offset:1376
	ds_load_b128 v[156:159], v2 offset:1392
	v_add_f64_e32 v[198:199], v[166:167], v[164:165]
	v_add_f64_e32 v[188:189], v[188:189], v[190:191]
	scratch_load_b128 v[164:167], off, off offset:592
	s_wait_loadcnt_dscnt 0xa01
	v_mul_f64_e32 v[190:191], v[4:5], v[170:171]
	v_mul_f64_e32 v[170:171], v[6:7], v[170:171]
	v_fmac_f64_e32 v[192:193], v[150:151], v[144:145]
	v_fma_f64 v[148:149], v[148:149], v[144:145], -v[146:147]
	scratch_load_b128 v[144:147], off, off offset:608
	v_add_f64_e32 v[150:151], v[198:199], v[196:197]
	v_add_f64_e32 v[188:189], v[188:189], v[194:195]
	s_wait_loadcnt_dscnt 0xa00
	v_mul_f64_e32 v[194:195], v[156:157], v[154:155]
	v_mul_f64_e32 v[154:155], v[158:159], v[154:155]
	v_fmac_f64_e32 v[190:191], v[6:7], v[168:169]
	v_fma_f64 v[196:197], v[4:5], v[168:169], -v[170:171]
	v_add_f64_e32 v[198:199], v[150:151], v[148:149]
	v_add_f64_e32 v[188:189], v[188:189], v[192:193]
	ds_load_b128 v[4:7], v2 offset:1408
	ds_load_b128 v[148:151], v2 offset:1424
	scratch_load_b128 v[168:171], off, off offset:624
	v_fmac_f64_e32 v[194:195], v[158:159], v[152:153]
	v_fma_f64 v[156:157], v[156:157], v[152:153], -v[154:155]
	scratch_load_b128 v[152:155], off, off offset:640
	s_wait_loadcnt_dscnt 0xb01
	v_mul_f64_e32 v[192:193], v[4:5], v[186:187]
	v_mul_f64_e32 v[186:187], v[6:7], v[186:187]
	v_add_f64_e32 v[158:159], v[198:199], v[196:197]
	v_add_f64_e32 v[188:189], v[188:189], v[190:191]
	s_wait_loadcnt_dscnt 0xa00
	v_mul_f64_e32 v[190:191], v[148:149], v[12:13]
	v_mul_f64_e32 v[12:13], v[150:151], v[12:13]
	v_fmac_f64_e32 v[192:193], v[6:7], v[184:185]
	v_fma_f64 v[196:197], v[4:5], v[184:185], -v[186:187]
	v_add_f64_e32 v[198:199], v[158:159], v[156:157]
	v_add_f64_e32 v[188:189], v[188:189], v[194:195]
	ds_load_b128 v[4:7], v2 offset:1440
	ds_load_b128 v[156:159], v2 offset:1456
	scratch_load_b128 v[184:187], off, off offset:656
	v_fmac_f64_e32 v[190:191], v[150:151], v[10:11]
	v_fma_f64 v[148:149], v[148:149], v[10:11], -v[12:13]
	scratch_load_b128 v[10:13], off, off offset:672
	s_wait_loadcnt_dscnt 0xb01
	v_mul_f64_e32 v[194:195], v[4:5], v[174:175]
	v_mul_f64_e32 v[174:175], v[6:7], v[174:175]
	;; [unrolled: 18-line block ×10, first 2 shown]
	v_add_f64_e32 v[150:151], v[198:199], v[196:197]
	v_add_f64_e32 v[188:189], v[188:189], v[190:191]
	s_wait_loadcnt_dscnt 0xa00
	v_mul_f64_e32 v[190:191], v[156:157], v[142:143]
	v_mul_f64_e32 v[142:143], v[158:159], v[142:143]
	v_fmac_f64_e32 v[192:193], v[6:7], v[160:161]
	v_fma_f64 v[160:161], v[4:5], v[160:161], -v[162:163]
	v_add_f64_e32 v[162:163], v[150:151], v[148:149]
	v_add_f64_e32 v[188:189], v[188:189], v[194:195]
	ds_load_b128 v[4:7], v2 offset:1728
	ds_load_b128 v[148:151], v2 offset:1744
	v_fmac_f64_e32 v[190:191], v[158:159], v[140:141]
	v_fma_f64 v[140:141], v[156:157], v[140:141], -v[142:143]
	s_wait_loadcnt_dscnt 0x901
	v_mul_f64_e32 v[194:195], v[4:5], v[166:167]
	v_mul_f64_e32 v[166:167], v[6:7], v[166:167]
	s_wait_loadcnt_dscnt 0x800
	v_mul_f64_e32 v[158:159], v[148:149], v[146:147]
	v_mul_f64_e32 v[146:147], v[150:151], v[146:147]
	v_add_f64_e32 v[142:143], v[162:163], v[160:161]
	v_add_f64_e32 v[156:157], v[188:189], v[192:193]
	v_fmac_f64_e32 v[194:195], v[6:7], v[164:165]
	v_fma_f64 v[160:161], v[4:5], v[164:165], -v[166:167]
	v_fmac_f64_e32 v[158:159], v[150:151], v[144:145]
	v_fma_f64 v[144:145], v[148:149], v[144:145], -v[146:147]
	v_add_f64_e32 v[162:163], v[142:143], v[140:141]
	v_add_f64_e32 v[156:157], v[156:157], v[190:191]
	ds_load_b128 v[4:7], v2 offset:1760
	ds_load_b128 v[140:143], v2 offset:1776
	s_wait_loadcnt_dscnt 0x701
	v_mul_f64_e32 v[164:165], v[4:5], v[170:171]
	v_mul_f64_e32 v[166:167], v[6:7], v[170:171]
	s_wait_loadcnt_dscnt 0x600
	v_mul_f64_e32 v[150:151], v[140:141], v[154:155]
	v_mul_f64_e32 v[154:155], v[142:143], v[154:155]
	v_add_f64_e32 v[146:147], v[162:163], v[160:161]
	v_add_f64_e32 v[148:149], v[156:157], v[194:195]
	v_fmac_f64_e32 v[164:165], v[6:7], v[168:169]
	v_fma_f64 v[156:157], v[4:5], v[168:169], -v[166:167]
	v_fmac_f64_e32 v[150:151], v[142:143], v[152:153]
	v_fma_f64 v[140:141], v[140:141], v[152:153], -v[154:155]
	v_add_f64_e32 v[160:161], v[146:147], v[144:145]
	v_add_f64_e32 v[148:149], v[148:149], v[158:159]
	ds_load_b128 v[4:7], v2 offset:1792
	ds_load_b128 v[144:147], v2 offset:1808
	;; [unrolled: 16-line block ×4, first 2 shown]
	s_wait_loadcnt_dscnt 0x101
	v_mul_f64_e32 v[2:3], v[4:5], v[182:183]
	v_mul_f64_e32 v[152:153], v[6:7], v[182:183]
	s_wait_loadcnt_dscnt 0x0
	v_mul_f64_e32 v[142:143], v[10:11], v[134:135]
	v_mul_f64_e32 v[134:135], v[12:13], v[134:135]
	v_add_f64_e32 v[138:139], v[154:155], v[148:149]
	v_add_f64_e32 v[140:141], v[144:145], v[150:151]
	v_fmac_f64_e32 v[2:3], v[6:7], v[180:181]
	v_fma_f64 v[4:5], v[4:5], v[180:181], -v[152:153]
	v_fmac_f64_e32 v[142:143], v[12:13], v[132:133]
	v_fma_f64 v[10:11], v[10:11], v[132:133], -v[134:135]
	v_add_f64_e32 v[6:7], v[138:139], v[136:137]
	v_add_f64_e32 v[136:137], v[140:141], v[146:147]
	s_delay_alu instid0(VALU_DEP_2) | instskip(NEXT) | instid1(VALU_DEP_2)
	v_add_f64_e32 v[4:5], v[6:7], v[4:5]
	v_add_f64_e32 v[2:3], v[136:137], v[2:3]
	s_delay_alu instid0(VALU_DEP_2) | instskip(NEXT) | instid1(VALU_DEP_2)
	v_add_f64_e32 v[4:5], v[4:5], v[10:11]
	v_add_f64_e32 v[6:7], v[2:3], v[142:143]
	s_delay_alu instid0(VALU_DEP_2) | instskip(NEXT) | instid1(VALU_DEP_2)
	v_add_f64_e64 v[2:3], v[176:177], -v[4:5]
	v_add_f64_e64 v[4:5], v[178:179], -v[6:7]
	scratch_store_b128 off, v[2:5], off offset:64
	s_wait_xcnt 0x0
	v_cmpx_lt_u32_e32 3, v1
	s_cbranch_execz .LBB122_361
; %bb.360:
	scratch_load_b128 v[2:5], off, s14
	v_mov_b32_e32 v10, 0
	s_delay_alu instid0(VALU_DEP_1)
	v_dual_mov_b32 v11, v10 :: v_dual_mov_b32 v12, v10
	v_mov_b32_e32 v13, v10
	scratch_store_b128 off, v[10:13], off offset:48
	s_wait_loadcnt 0x0
	ds_store_b128 v8, v[2:5]
.LBB122_361:
	s_wait_xcnt 0x0
	s_or_b32 exec_lo, exec_lo, s2
	s_wait_storecnt_dscnt 0x0
	s_barrier_signal -1
	s_barrier_wait -1
	s_clause 0x9
	scratch_load_b128 v[4:7], off, off offset:64
	scratch_load_b128 v[10:13], off, off offset:80
	;; [unrolled: 1-line block ×10, first 2 shown]
	v_mov_b32_e32 v2, 0
	s_mov_b32 s2, exec_lo
	ds_load_b128 v[164:167], v2 offset:1008
	s_clause 0x2
	scratch_load_b128 v[168:171], off, off offset:224
	scratch_load_b128 v[172:175], off, off offset:48
	;; [unrolled: 1-line block ×3, first 2 shown]
	s_wait_loadcnt_dscnt 0xc00
	v_mul_f64_e32 v[184:185], v[166:167], v[6:7]
	v_mul_f64_e32 v[188:189], v[164:165], v[6:7]
	ds_load_b128 v[176:179], v2 offset:1024
	v_fma_f64 v[192:193], v[164:165], v[4:5], -v[184:185]
	v_fmac_f64_e32 v[188:189], v[166:167], v[4:5]
	ds_load_b128 v[4:7], v2 offset:1040
	s_wait_loadcnt_dscnt 0xb01
	v_mul_f64_e32 v[190:191], v[176:177], v[12:13]
	v_mul_f64_e32 v[12:13], v[178:179], v[12:13]
	scratch_load_b128 v[164:167], off, off offset:256
	ds_load_b128 v[184:187], v2 offset:1056
	s_wait_loadcnt_dscnt 0xb01
	v_mul_f64_e32 v[194:195], v[4:5], v[134:135]
	v_mul_f64_e32 v[134:135], v[6:7], v[134:135]
	v_add_f64_e32 v[188:189], 0, v[188:189]
	v_fmac_f64_e32 v[190:191], v[178:179], v[10:11]
	v_fma_f64 v[176:177], v[176:177], v[10:11], -v[12:13]
	v_add_f64_e32 v[178:179], 0, v[192:193]
	scratch_load_b128 v[10:13], off, off offset:272
	v_fmac_f64_e32 v[194:195], v[6:7], v[132:133]
	v_fma_f64 v[196:197], v[4:5], v[132:133], -v[134:135]
	ds_load_b128 v[4:7], v2 offset:1072
	s_wait_loadcnt_dscnt 0xb01
	v_mul_f64_e32 v[192:193], v[184:185], v[138:139]
	v_mul_f64_e32 v[138:139], v[186:187], v[138:139]
	scratch_load_b128 v[132:135], off, off offset:288
	v_add_f64_e32 v[188:189], v[188:189], v[190:191]
	v_add_f64_e32 v[198:199], v[178:179], v[176:177]
	ds_load_b128 v[176:179], v2 offset:1088
	s_wait_loadcnt_dscnt 0xb01
	v_mul_f64_e32 v[190:191], v[4:5], v[142:143]
	v_mul_f64_e32 v[142:143], v[6:7], v[142:143]
	v_fmac_f64_e32 v[192:193], v[186:187], v[136:137]
	v_fma_f64 v[184:185], v[184:185], v[136:137], -v[138:139]
	scratch_load_b128 v[136:139], off, off offset:304
	v_add_f64_e32 v[188:189], v[188:189], v[194:195]
	v_add_f64_e32 v[186:187], v[198:199], v[196:197]
	v_fmac_f64_e32 v[190:191], v[6:7], v[140:141]
	v_fma_f64 v[196:197], v[4:5], v[140:141], -v[142:143]
	ds_load_b128 v[4:7], v2 offset:1104
	s_wait_loadcnt_dscnt 0xb01
	v_mul_f64_e32 v[194:195], v[176:177], v[146:147]
	v_mul_f64_e32 v[146:147], v[178:179], v[146:147]
	scratch_load_b128 v[140:143], off, off offset:320
	v_add_f64_e32 v[188:189], v[188:189], v[192:193]
	s_wait_loadcnt_dscnt 0xb00
	v_mul_f64_e32 v[192:193], v[4:5], v[150:151]
	v_add_f64_e32 v[198:199], v[186:187], v[184:185]
	v_mul_f64_e32 v[150:151], v[6:7], v[150:151]
	ds_load_b128 v[184:187], v2 offset:1120
	v_fmac_f64_e32 v[194:195], v[178:179], v[144:145]
	v_fma_f64 v[176:177], v[176:177], v[144:145], -v[146:147]
	scratch_load_b128 v[144:147], off, off offset:336
	v_add_f64_e32 v[188:189], v[188:189], v[190:191]
	v_fmac_f64_e32 v[192:193], v[6:7], v[148:149]
	v_add_f64_e32 v[178:179], v[198:199], v[196:197]
	v_fma_f64 v[196:197], v[4:5], v[148:149], -v[150:151]
	ds_load_b128 v[4:7], v2 offset:1136
	s_wait_loadcnt_dscnt 0xb01
	v_mul_f64_e32 v[190:191], v[184:185], v[154:155]
	v_mul_f64_e32 v[154:155], v[186:187], v[154:155]
	scratch_load_b128 v[148:151], off, off offset:352
	v_add_f64_e32 v[188:189], v[188:189], v[194:195]
	s_wait_loadcnt_dscnt 0xb00
	v_mul_f64_e32 v[194:195], v[4:5], v[158:159]
	v_add_f64_e32 v[198:199], v[178:179], v[176:177]
	v_mul_f64_e32 v[158:159], v[6:7], v[158:159]
	ds_load_b128 v[176:179], v2 offset:1152
	v_fmac_f64_e32 v[190:191], v[186:187], v[152:153]
	v_fma_f64 v[184:185], v[184:185], v[152:153], -v[154:155]
	scratch_load_b128 v[152:155], off, off offset:368
	v_add_f64_e32 v[188:189], v[188:189], v[192:193]
	v_fmac_f64_e32 v[194:195], v[6:7], v[156:157]
	v_add_f64_e32 v[186:187], v[198:199], v[196:197]
	;; [unrolled: 18-line block ×3, first 2 shown]
	v_fma_f64 v[196:197], v[4:5], v[168:169], -v[170:171]
	ds_load_b128 v[4:7], v2 offset:1200
	s_wait_loadcnt_dscnt 0xa01
	v_mul_f64_e32 v[194:195], v[184:185], v[182:183]
	v_mul_f64_e32 v[182:183], v[186:187], v[182:183]
	scratch_load_b128 v[168:171], off, off offset:416
	v_add_f64_e32 v[188:189], v[188:189], v[192:193]
	v_add_f64_e32 v[198:199], v[178:179], v[176:177]
	s_wait_loadcnt_dscnt 0xa00
	v_mul_f64_e32 v[192:193], v[4:5], v[166:167]
	v_mul_f64_e32 v[166:167], v[6:7], v[166:167]
	v_fmac_f64_e32 v[194:195], v[186:187], v[180:181]
	v_fma_f64 v[184:185], v[184:185], v[180:181], -v[182:183]
	ds_load_b128 v[176:179], v2 offset:1216
	scratch_load_b128 v[180:183], off, off offset:432
	v_add_f64_e32 v[188:189], v[188:189], v[190:191]
	v_add_f64_e32 v[186:187], v[198:199], v[196:197]
	v_fmac_f64_e32 v[192:193], v[6:7], v[164:165]
	v_fma_f64 v[196:197], v[4:5], v[164:165], -v[166:167]
	ds_load_b128 v[4:7], v2 offset:1232
	s_wait_loadcnt_dscnt 0xa01
	v_mul_f64_e32 v[190:191], v[176:177], v[12:13]
	v_mul_f64_e32 v[12:13], v[178:179], v[12:13]
	scratch_load_b128 v[164:167], off, off offset:448
	v_add_f64_e32 v[188:189], v[188:189], v[194:195]
	s_wait_loadcnt_dscnt 0xa00
	v_mul_f64_e32 v[194:195], v[4:5], v[134:135]
	v_add_f64_e32 v[198:199], v[186:187], v[184:185]
	v_mul_f64_e32 v[134:135], v[6:7], v[134:135]
	ds_load_b128 v[184:187], v2 offset:1248
	v_fmac_f64_e32 v[190:191], v[178:179], v[10:11]
	v_fma_f64 v[176:177], v[176:177], v[10:11], -v[12:13]
	scratch_load_b128 v[10:13], off, off offset:464
	v_add_f64_e32 v[188:189], v[188:189], v[192:193]
	v_fmac_f64_e32 v[194:195], v[6:7], v[132:133]
	v_add_f64_e32 v[178:179], v[198:199], v[196:197]
	v_fma_f64 v[196:197], v[4:5], v[132:133], -v[134:135]
	ds_load_b128 v[4:7], v2 offset:1264
	s_wait_loadcnt_dscnt 0xa01
	v_mul_f64_e32 v[192:193], v[184:185], v[138:139]
	v_mul_f64_e32 v[138:139], v[186:187], v[138:139]
	scratch_load_b128 v[132:135], off, off offset:480
	v_add_f64_e32 v[188:189], v[188:189], v[190:191]
	s_wait_loadcnt_dscnt 0xa00
	v_mul_f64_e32 v[190:191], v[4:5], v[142:143]
	v_add_f64_e32 v[198:199], v[178:179], v[176:177]
	v_mul_f64_e32 v[142:143], v[6:7], v[142:143]
	ds_load_b128 v[176:179], v2 offset:1280
	v_fmac_f64_e32 v[192:193], v[186:187], v[136:137]
	v_fma_f64 v[184:185], v[184:185], v[136:137], -v[138:139]
	scratch_load_b128 v[136:139], off, off offset:496
	v_add_f64_e32 v[188:189], v[188:189], v[194:195]
	v_fmac_f64_e32 v[190:191], v[6:7], v[140:141]
	v_add_f64_e32 v[186:187], v[198:199], v[196:197]
	;; [unrolled: 18-line block ×15, first 2 shown]
	v_fma_f64 v[196:197], v[4:5], v[148:149], -v[150:151]
	ds_load_b128 v[4:7], v2 offset:1712
	s_wait_loadcnt_dscnt 0xa01
	v_mul_f64_e32 v[190:191], v[184:185], v[154:155]
	v_mul_f64_e32 v[154:155], v[186:187], v[154:155]
	scratch_load_b128 v[148:151], off, off offset:928
	v_add_f64_e32 v[188:189], v[188:189], v[194:195]
	s_wait_loadcnt_dscnt 0xa00
	v_mul_f64_e32 v[194:195], v[4:5], v[158:159]
	v_add_f64_e32 v[198:199], v[178:179], v[176:177]
	v_mul_f64_e32 v[158:159], v[6:7], v[158:159]
	ds_load_b128 v[176:179], v2 offset:1728
	v_fmac_f64_e32 v[190:191], v[186:187], v[152:153]
	v_fma_f64 v[152:153], v[184:185], v[152:153], -v[154:155]
	s_wait_loadcnt_dscnt 0x900
	v_mul_f64_e32 v[186:187], v[176:177], v[162:163]
	v_mul_f64_e32 v[162:163], v[178:179], v[162:163]
	v_add_f64_e32 v[184:185], v[188:189], v[192:193]
	v_fmac_f64_e32 v[194:195], v[6:7], v[156:157]
	v_add_f64_e32 v[154:155], v[198:199], v[196:197]
	v_fma_f64 v[156:157], v[4:5], v[156:157], -v[158:159]
	v_fmac_f64_e32 v[186:187], v[178:179], v[160:161]
	v_fma_f64 v[160:161], v[176:177], v[160:161], -v[162:163]
	v_add_f64_e32 v[184:185], v[184:185], v[190:191]
	v_add_f64_e32 v[158:159], v[154:155], v[152:153]
	ds_load_b128 v[4:7], v2 offset:1744
	ds_load_b128 v[152:155], v2 offset:1760
	s_wait_loadcnt_dscnt 0x801
	v_mul_f64_e32 v[188:189], v[4:5], v[170:171]
	v_mul_f64_e32 v[170:171], v[6:7], v[170:171]
	s_wait_loadcnt_dscnt 0x700
	v_mul_f64_e32 v[162:163], v[152:153], v[182:183]
	v_mul_f64_e32 v[176:177], v[154:155], v[182:183]
	v_add_f64_e32 v[156:157], v[158:159], v[156:157]
	v_add_f64_e32 v[158:159], v[184:185], v[194:195]
	v_fmac_f64_e32 v[188:189], v[6:7], v[168:169]
	v_fma_f64 v[168:169], v[4:5], v[168:169], -v[170:171]
	v_fmac_f64_e32 v[162:163], v[154:155], v[180:181]
	v_fma_f64 v[152:153], v[152:153], v[180:181], -v[176:177]
	v_add_f64_e32 v[160:161], v[156:157], v[160:161]
	v_add_f64_e32 v[170:171], v[158:159], v[186:187]
	ds_load_b128 v[4:7], v2 offset:1776
	ds_load_b128 v[156:159], v2 offset:1792
	s_wait_loadcnt_dscnt 0x601
	v_mul_f64_e32 v[178:179], v[4:5], v[166:167]
	v_mul_f64_e32 v[166:167], v[6:7], v[166:167]
	v_add_f64_e32 v[154:155], v[160:161], v[168:169]
	v_add_f64_e32 v[160:161], v[170:171], v[188:189]
	s_wait_loadcnt_dscnt 0x500
	v_mul_f64_e32 v[168:169], v[156:157], v[12:13]
	v_mul_f64_e32 v[12:13], v[158:159], v[12:13]
	v_fmac_f64_e32 v[178:179], v[6:7], v[164:165]
	v_fma_f64 v[164:165], v[4:5], v[164:165], -v[166:167]
	v_add_f64_e32 v[166:167], v[154:155], v[152:153]
	v_add_f64_e32 v[160:161], v[160:161], v[162:163]
	ds_load_b128 v[4:7], v2 offset:1808
	ds_load_b128 v[152:155], v2 offset:1824
	v_fmac_f64_e32 v[168:169], v[158:159], v[10:11]
	v_fma_f64 v[10:11], v[156:157], v[10:11], -v[12:13]
	s_wait_loadcnt_dscnt 0x401
	v_mul_f64_e32 v[162:163], v[4:5], v[134:135]
	v_mul_f64_e32 v[134:135], v[6:7], v[134:135]
	s_wait_loadcnt_dscnt 0x300
	v_mul_f64_e32 v[158:159], v[152:153], v[138:139]
	v_mul_f64_e32 v[138:139], v[154:155], v[138:139]
	v_add_f64_e32 v[12:13], v[166:167], v[164:165]
	v_add_f64_e32 v[156:157], v[160:161], v[178:179]
	v_fmac_f64_e32 v[162:163], v[6:7], v[132:133]
	v_fma_f64 v[132:133], v[4:5], v[132:133], -v[134:135]
	v_fmac_f64_e32 v[158:159], v[154:155], v[136:137]
	v_fma_f64 v[136:137], v[152:153], v[136:137], -v[138:139]
	v_add_f64_e32 v[134:135], v[12:13], v[10:11]
	v_add_f64_e32 v[156:157], v[156:157], v[168:169]
	ds_load_b128 v[4:7], v2 offset:1840
	ds_load_b128 v[10:13], v2 offset:1856
	s_wait_loadcnt_dscnt 0x201
	v_mul_f64_e32 v[160:161], v[4:5], v[142:143]
	v_mul_f64_e32 v[142:143], v[6:7], v[142:143]
	s_wait_loadcnt_dscnt 0x100
	v_mul_f64_e32 v[138:139], v[10:11], v[146:147]
	v_mul_f64_e32 v[146:147], v[12:13], v[146:147]
	v_add_f64_e32 v[132:133], v[134:135], v[132:133]
	v_add_f64_e32 v[134:135], v[156:157], v[162:163]
	v_fmac_f64_e32 v[160:161], v[6:7], v[140:141]
	v_fma_f64 v[140:141], v[4:5], v[140:141], -v[142:143]
	ds_load_b128 v[4:7], v2 offset:1872
	v_fmac_f64_e32 v[138:139], v[12:13], v[144:145]
	v_fma_f64 v[10:11], v[10:11], v[144:145], -v[146:147]
	v_add_f64_e32 v[132:133], v[132:133], v[136:137]
	v_add_f64_e32 v[134:135], v[134:135], v[158:159]
	s_wait_loadcnt_dscnt 0x0
	v_mul_f64_e32 v[136:137], v[4:5], v[150:151]
	v_mul_f64_e32 v[142:143], v[6:7], v[150:151]
	s_delay_alu instid0(VALU_DEP_4) | instskip(NEXT) | instid1(VALU_DEP_4)
	v_add_f64_e32 v[12:13], v[132:133], v[140:141]
	v_add_f64_e32 v[132:133], v[134:135], v[160:161]
	s_delay_alu instid0(VALU_DEP_4) | instskip(NEXT) | instid1(VALU_DEP_4)
	v_fmac_f64_e32 v[136:137], v[6:7], v[148:149]
	v_fma_f64 v[4:5], v[4:5], v[148:149], -v[142:143]
	s_delay_alu instid0(VALU_DEP_4) | instskip(NEXT) | instid1(VALU_DEP_4)
	v_add_f64_e32 v[6:7], v[12:13], v[10:11]
	v_add_f64_e32 v[10:11], v[132:133], v[138:139]
	s_delay_alu instid0(VALU_DEP_2) | instskip(NEXT) | instid1(VALU_DEP_2)
	v_add_f64_e32 v[4:5], v[6:7], v[4:5]
	v_add_f64_e32 v[6:7], v[10:11], v[136:137]
	s_delay_alu instid0(VALU_DEP_2) | instskip(NEXT) | instid1(VALU_DEP_2)
	v_add_f64_e64 v[4:5], v[172:173], -v[4:5]
	v_add_f64_e64 v[6:7], v[174:175], -v[6:7]
	scratch_store_b128 off, v[4:7], off offset:48
	s_wait_xcnt 0x0
	v_cmpx_lt_u32_e32 2, v1
	s_cbranch_execz .LBB122_363
; %bb.362:
	scratch_load_b128 v[10:13], off, s16
	v_dual_mov_b32 v3, v2 :: v_dual_mov_b32 v4, v2
	v_mov_b32_e32 v5, v2
	scratch_store_b128 off, v[2:5], off offset:32
	s_wait_loadcnt 0x0
	ds_store_b128 v8, v[10:13]
.LBB122_363:
	s_wait_xcnt 0x0
	s_or_b32 exec_lo, exec_lo, s2
	s_wait_storecnt_dscnt 0x0
	s_barrier_signal -1
	s_barrier_wait -1
	s_clause 0x9
	scratch_load_b128 v[4:7], off, off offset:48
	scratch_load_b128 v[10:13], off, off offset:64
	;; [unrolled: 1-line block ×10, first 2 shown]
	ds_load_b128 v[164:167], v2 offset:992
	ds_load_b128 v[172:175], v2 offset:1008
	s_clause 0x2
	scratch_load_b128 v[168:171], off, off offset:208
	scratch_load_b128 v[176:179], off, off offset:32
	;; [unrolled: 1-line block ×3, first 2 shown]
	s_mov_b32 s2, exec_lo
	v_ashrrev_i32_e32 v21, 31, v20
	v_dual_ashrrev_i32 v25, 31, v24 :: v_dual_ashrrev_i32 v19, 31, v18
	v_ashrrev_i32_e32 v23, 31, v22
	v_dual_ashrrev_i32 v27, 31, v26 :: v_dual_ashrrev_i32 v37, 31, v36
	;; [unrolled: 2-line block ×3, first 2 shown]
	v_dual_ashrrev_i32 v35, 31, v34 :: v_dual_ashrrev_i32 v41, 31, v40
	v_dual_ashrrev_i32 v45, 31, v44 :: v_dual_ashrrev_i32 v39, 31, v38
	;; [unrolled: 1-line block ×5, first 2 shown]
	v_ashrrev_i32_e32 v61, 31, v60
	v_ashrrev_i32_e32 v65, 31, v64
	v_dual_ashrrev_i32 v69, 31, v68 :: v_dual_ashrrev_i32 v55, 31, v54
	v_ashrrev_i32_e32 v59, 31, v58
	v_ashrrev_i32_e32 v63, 31, v62
	v_dual_ashrrev_i32 v67, 31, v66 :: v_dual_ashrrev_i32 v73, 31, v72
	v_dual_ashrrev_i32 v77, 31, v76 :: v_dual_ashrrev_i32 v71, 31, v70
	;; [unrolled: 1-line block ×3, first 2 shown]
	v_ashrrev_i32_e32 v85, 31, v84
	v_dual_ashrrev_i32 v89, 31, v88 :: v_dual_ashrrev_i32 v79, 31, v78
	v_dual_ashrrev_i32 v93, 31, v92 :: v_dual_ashrrev_i32 v83, 31, v82
	v_ashrrev_i32_e32 v97, 31, v96
	v_dual_ashrrev_i32 v101, 31, v100 :: v_dual_ashrrev_i32 v87, 31, v86
	v_ashrrev_i32_e32 v91, 31, v90
	v_dual_ashrrev_i32 v95, 31, v94 :: v_dual_ashrrev_i32 v105, 31, v104
	v_dual_ashrrev_i32 v109, 31, v108 :: v_dual_ashrrev_i32 v99, 31, v98
	;; [unrolled: 1-line block ×3, first 2 shown]
	v_ashrrev_i32_e32 v117, 31, v116
	v_dual_ashrrev_i32 v121, 31, v120 :: v_dual_ashrrev_i32 v107, 31, v106
	v_dual_ashrrev_i32 v125, 31, v124 :: v_dual_ashrrev_i32 v111, 31, v110
	;; [unrolled: 1-line block ×3, first 2 shown]
	v_ashrrev_i32_e32 v119, 31, v118
	v_ashrrev_i32_e32 v123, 31, v122
	;; [unrolled: 1-line block ×4, first 2 shown]
	s_wait_loadcnt_dscnt 0xc01
	v_mul_f64_e32 v[184:185], v[166:167], v[6:7]
	v_mul_f64_e32 v[188:189], v[164:165], v[6:7]
	s_wait_loadcnt_dscnt 0xb00
	v_mul_f64_e32 v[190:191], v[172:173], v[12:13]
	v_mul_f64_e32 v[12:13], v[174:175], v[12:13]
	s_delay_alu instid0(VALU_DEP_4) | instskip(NEXT) | instid1(VALU_DEP_4)
	v_fma_f64 v[192:193], v[164:165], v[4:5], -v[184:185]
	v_fmac_f64_e32 v[188:189], v[166:167], v[4:5]
	ds_load_b128 v[4:7], v2 offset:1024
	ds_load_b128 v[184:187], v2 offset:1040
	scratch_load_b128 v[164:167], off, off offset:240
	v_fmac_f64_e32 v[190:191], v[174:175], v[10:11]
	v_fma_f64 v[172:173], v[172:173], v[10:11], -v[12:13]
	scratch_load_b128 v[10:13], off, off offset:256
	s_wait_loadcnt_dscnt 0xc01
	v_mul_f64_e32 v[194:195], v[4:5], v[134:135]
	v_mul_f64_e32 v[134:135], v[6:7], v[134:135]
	v_add_f64_e32 v[174:175], 0, v[192:193]
	v_add_f64_e32 v[188:189], 0, v[188:189]
	s_wait_loadcnt_dscnt 0xb00
	v_mul_f64_e32 v[192:193], v[184:185], v[138:139]
	v_mul_f64_e32 v[138:139], v[186:187], v[138:139]
	v_fmac_f64_e32 v[194:195], v[6:7], v[132:133]
	v_fma_f64 v[196:197], v[4:5], v[132:133], -v[134:135]
	ds_load_b128 v[4:7], v2 offset:1056
	scratch_load_b128 v[132:135], off, off offset:272
	v_add_f64_e32 v[198:199], v[174:175], v[172:173]
	v_add_f64_e32 v[188:189], v[188:189], v[190:191]
	ds_load_b128 v[172:175], v2 offset:1072
	v_fmac_f64_e32 v[192:193], v[186:187], v[136:137]
	v_fma_f64 v[184:185], v[184:185], v[136:137], -v[138:139]
	scratch_load_b128 v[136:139], off, off offset:288
	s_wait_loadcnt_dscnt 0xc01
	v_mul_f64_e32 v[190:191], v[4:5], v[142:143]
	v_mul_f64_e32 v[142:143], v[6:7], v[142:143]
	v_add_f64_e32 v[186:187], v[198:199], v[196:197]
	v_add_f64_e32 v[188:189], v[188:189], v[194:195]
	s_wait_loadcnt_dscnt 0xb00
	v_mul_f64_e32 v[194:195], v[172:173], v[146:147]
	v_mul_f64_e32 v[146:147], v[174:175], v[146:147]
	v_fmac_f64_e32 v[190:191], v[6:7], v[140:141]
	v_fma_f64 v[196:197], v[4:5], v[140:141], -v[142:143]
	ds_load_b128 v[4:7], v2 offset:1088
	scratch_load_b128 v[140:143], off, off offset:304
	v_add_f64_e32 v[198:199], v[186:187], v[184:185]
	v_add_f64_e32 v[188:189], v[188:189], v[192:193]
	ds_load_b128 v[184:187], v2 offset:1104
	s_wait_loadcnt_dscnt 0xb01
	v_mul_f64_e32 v[192:193], v[4:5], v[150:151]
	v_mul_f64_e32 v[150:151], v[6:7], v[150:151]
	v_fmac_f64_e32 v[194:195], v[174:175], v[144:145]
	v_fma_f64 v[172:173], v[172:173], v[144:145], -v[146:147]
	scratch_load_b128 v[144:147], off, off offset:320
	v_add_f64_e32 v[174:175], v[198:199], v[196:197]
	v_add_f64_e32 v[188:189], v[188:189], v[190:191]
	s_wait_loadcnt_dscnt 0xb00
	v_mul_f64_e32 v[190:191], v[184:185], v[154:155]
	v_mul_f64_e32 v[154:155], v[186:187], v[154:155]
	v_fmac_f64_e32 v[192:193], v[6:7], v[148:149]
	v_fma_f64 v[196:197], v[4:5], v[148:149], -v[150:151]
	ds_load_b128 v[4:7], v2 offset:1120
	scratch_load_b128 v[148:151], off, off offset:336
	v_add_f64_e32 v[198:199], v[174:175], v[172:173]
	v_add_f64_e32 v[188:189], v[188:189], v[194:195]
	ds_load_b128 v[172:175], v2 offset:1136
	s_wait_loadcnt_dscnt 0xb01
	v_mul_f64_e32 v[194:195], v[4:5], v[158:159]
	v_mul_f64_e32 v[158:159], v[6:7], v[158:159]
	v_fmac_f64_e32 v[190:191], v[186:187], v[152:153]
	v_fma_f64 v[184:185], v[184:185], v[152:153], -v[154:155]
	scratch_load_b128 v[152:155], off, off offset:352
	;; [unrolled: 18-line block ×3, first 2 shown]
	v_add_f64_e32 v[174:175], v[198:199], v[196:197]
	v_add_f64_e32 v[188:189], v[188:189], v[194:195]
	s_wait_loadcnt_dscnt 0xa00
	v_mul_f64_e32 v[194:195], v[184:185], v[182:183]
	v_mul_f64_e32 v[182:183], v[186:187], v[182:183]
	v_fmac_f64_e32 v[190:191], v[6:7], v[168:169]
	v_fma_f64 v[196:197], v[4:5], v[168:169], -v[170:171]
	ds_load_b128 v[4:7], v2 offset:1184
	scratch_load_b128 v[168:171], off, off offset:400
	v_add_f64_e32 v[198:199], v[174:175], v[172:173]
	v_add_f64_e32 v[188:189], v[188:189], v[192:193]
	ds_load_b128 v[172:175], v2 offset:1200
	v_fmac_f64_e32 v[194:195], v[186:187], v[180:181]
	s_wait_loadcnt_dscnt 0xa01
	v_mul_f64_e32 v[192:193], v[4:5], v[166:167]
	v_mul_f64_e32 v[166:167], v[6:7], v[166:167]
	v_fma_f64 v[184:185], v[184:185], v[180:181], -v[182:183]
	scratch_load_b128 v[180:183], off, off offset:416
	v_add_f64_e32 v[186:187], v[198:199], v[196:197]
	v_add_f64_e32 v[188:189], v[188:189], v[190:191]
	s_wait_loadcnt_dscnt 0xa00
	v_mul_f64_e32 v[190:191], v[172:173], v[12:13]
	v_mul_f64_e32 v[12:13], v[174:175], v[12:13]
	v_fmac_f64_e32 v[192:193], v[6:7], v[164:165]
	v_fma_f64 v[196:197], v[4:5], v[164:165], -v[166:167]
	ds_load_b128 v[4:7], v2 offset:1216
	scratch_load_b128 v[164:167], off, off offset:432
	v_add_f64_e32 v[198:199], v[186:187], v[184:185]
	v_add_f64_e32 v[188:189], v[188:189], v[194:195]
	ds_load_b128 v[184:187], v2 offset:1232
	s_wait_loadcnt_dscnt 0xa01
	v_mul_f64_e32 v[194:195], v[4:5], v[134:135]
	v_mul_f64_e32 v[134:135], v[6:7], v[134:135]
	v_fmac_f64_e32 v[190:191], v[174:175], v[10:11]
	v_fma_f64 v[172:173], v[172:173], v[10:11], -v[12:13]
	scratch_load_b128 v[10:13], off, off offset:448
	v_add_f64_e32 v[174:175], v[198:199], v[196:197]
	v_add_f64_e32 v[188:189], v[188:189], v[192:193]
	s_wait_loadcnt_dscnt 0xa00
	v_mul_f64_e32 v[192:193], v[184:185], v[138:139]
	v_mul_f64_e32 v[138:139], v[186:187], v[138:139]
	v_fmac_f64_e32 v[194:195], v[6:7], v[132:133]
	v_fma_f64 v[196:197], v[4:5], v[132:133], -v[134:135]
	ds_load_b128 v[4:7], v2 offset:1248
	scratch_load_b128 v[132:135], off, off offset:464
	v_add_f64_e32 v[198:199], v[174:175], v[172:173]
	v_add_f64_e32 v[188:189], v[188:189], v[190:191]
	ds_load_b128 v[172:175], v2 offset:1264
	s_wait_loadcnt_dscnt 0xa01
	v_mul_f64_e32 v[190:191], v[4:5], v[142:143]
	v_mul_f64_e32 v[142:143], v[6:7], v[142:143]
	v_fmac_f64_e32 v[192:193], v[186:187], v[136:137]
	;; [unrolled: 18-line block ×16, first 2 shown]
	v_fma_f64 v[184:185], v[184:185], v[152:153], -v[154:155]
	scratch_load_b128 v[152:155], off, off offset:928
	v_add_f64_e32 v[186:187], v[198:199], v[196:197]
	v_add_f64_e32 v[188:189], v[188:189], v[192:193]
	s_wait_loadcnt_dscnt 0xa00
	v_mul_f64_e32 v[192:193], v[172:173], v[162:163]
	v_mul_f64_e32 v[162:163], v[174:175], v[162:163]
	v_fmac_f64_e32 v[194:195], v[6:7], v[156:157]
	v_fma_f64 v[196:197], v[4:5], v[156:157], -v[158:159]
	ds_load_b128 v[4:7], v2 offset:1728
	ds_load_b128 v[156:159], v2 offset:1744
	v_add_f64_e32 v[184:185], v[186:187], v[184:185]
	v_add_f64_e32 v[186:187], v[188:189], v[190:191]
	s_wait_loadcnt_dscnt 0x901
	v_mul_f64_e32 v[188:189], v[4:5], v[170:171]
	v_mul_f64_e32 v[170:171], v[6:7], v[170:171]
	v_fmac_f64_e32 v[192:193], v[174:175], v[160:161]
	v_fma_f64 v[160:161], v[172:173], v[160:161], -v[162:163]
	s_wait_loadcnt_dscnt 0x800
	v_mul_f64_e32 v[174:175], v[156:157], v[182:183]
	v_mul_f64_e32 v[182:183], v[158:159], v[182:183]
	v_add_f64_e32 v[162:163], v[184:185], v[196:197]
	v_add_f64_e32 v[172:173], v[186:187], v[194:195]
	v_fmac_f64_e32 v[188:189], v[6:7], v[168:169]
	v_fma_f64 v[168:169], v[4:5], v[168:169], -v[170:171]
	v_fmac_f64_e32 v[174:175], v[158:159], v[180:181]
	v_fma_f64 v[156:157], v[156:157], v[180:181], -v[182:183]
	v_add_f64_e32 v[170:171], v[162:163], v[160:161]
	v_add_f64_e32 v[172:173], v[172:173], v[192:193]
	ds_load_b128 v[4:7], v2 offset:1760
	ds_load_b128 v[160:163], v2 offset:1776
	s_wait_loadcnt_dscnt 0x701
	v_mul_f64_e32 v[184:185], v[4:5], v[166:167]
	v_mul_f64_e32 v[166:167], v[6:7], v[166:167]
	v_add_f64_e32 v[158:159], v[170:171], v[168:169]
	v_add_f64_e32 v[168:169], v[172:173], v[188:189]
	s_wait_loadcnt_dscnt 0x600
	v_mul_f64_e32 v[170:171], v[160:161], v[12:13]
	v_mul_f64_e32 v[12:13], v[162:163], v[12:13]
	v_fmac_f64_e32 v[184:185], v[6:7], v[164:165]
	v_fma_f64 v[164:165], v[4:5], v[164:165], -v[166:167]
	v_add_f64_e32 v[166:167], v[158:159], v[156:157]
	v_add_f64_e32 v[168:169], v[168:169], v[174:175]
	ds_load_b128 v[4:7], v2 offset:1792
	ds_load_b128 v[156:159], v2 offset:1808
	v_fmac_f64_e32 v[170:171], v[162:163], v[10:11]
	v_fma_f64 v[10:11], v[160:161], v[10:11], -v[12:13]
	s_wait_loadcnt_dscnt 0x501
	v_mul_f64_e32 v[172:173], v[4:5], v[134:135]
	v_mul_f64_e32 v[134:135], v[6:7], v[134:135]
	s_wait_loadcnt_dscnt 0x400
	v_mul_f64_e32 v[162:163], v[156:157], v[138:139]
	v_mul_f64_e32 v[138:139], v[158:159], v[138:139]
	v_add_f64_e32 v[12:13], v[166:167], v[164:165]
	v_add_f64_e32 v[160:161], v[168:169], v[184:185]
	v_fmac_f64_e32 v[172:173], v[6:7], v[132:133]
	v_fma_f64 v[132:133], v[4:5], v[132:133], -v[134:135]
	v_fmac_f64_e32 v[162:163], v[158:159], v[136:137]
	v_fma_f64 v[136:137], v[156:157], v[136:137], -v[138:139]
	v_add_f64_e32 v[134:135], v[12:13], v[10:11]
	v_add_f64_e32 v[160:161], v[160:161], v[170:171]
	ds_load_b128 v[4:7], v2 offset:1824
	ds_load_b128 v[10:13], v2 offset:1840
	s_wait_loadcnt_dscnt 0x301
	v_mul_f64_e32 v[164:165], v[4:5], v[142:143]
	v_mul_f64_e32 v[142:143], v[6:7], v[142:143]
	s_wait_loadcnt_dscnt 0x200
	v_mul_f64_e32 v[138:139], v[10:11], v[146:147]
	v_mul_f64_e32 v[146:147], v[12:13], v[146:147]
	v_add_f64_e32 v[132:133], v[134:135], v[132:133]
	v_add_f64_e32 v[134:135], v[160:161], v[172:173]
	v_fmac_f64_e32 v[164:165], v[6:7], v[140:141]
	v_fma_f64 v[140:141], v[4:5], v[140:141], -v[142:143]
	v_fmac_f64_e32 v[138:139], v[12:13], v[144:145]
	v_fma_f64 v[10:11], v[10:11], v[144:145], -v[146:147]
	v_add_f64_e32 v[136:137], v[132:133], v[136:137]
	v_add_f64_e32 v[142:143], v[134:135], v[162:163]
	ds_load_b128 v[4:7], v2 offset:1856
	ds_load_b128 v[132:135], v2 offset:1872
	s_wait_loadcnt_dscnt 0x101
	v_mul_f64_e32 v[2:3], v[4:5], v[150:151]
	v_mul_f64_e32 v[150:151], v[6:7], v[150:151]
	v_add_f64_e32 v[12:13], v[136:137], v[140:141]
	v_add_f64_e32 v[136:137], v[142:143], v[164:165]
	s_wait_loadcnt_dscnt 0x0
	v_mul_f64_e32 v[140:141], v[132:133], v[154:155]
	v_mul_f64_e32 v[142:143], v[134:135], v[154:155]
	v_fmac_f64_e32 v[2:3], v[6:7], v[148:149]
	v_fma_f64 v[4:5], v[4:5], v[148:149], -v[150:151]
	v_add_f64_e32 v[6:7], v[12:13], v[10:11]
	v_add_f64_e32 v[10:11], v[136:137], v[138:139]
	v_fmac_f64_e32 v[140:141], v[134:135], v[152:153]
	v_fma_f64 v[12:13], v[132:133], v[152:153], -v[142:143]
	s_delay_alu instid0(VALU_DEP_4) | instskip(NEXT) | instid1(VALU_DEP_4)
	v_add_f64_e32 v[4:5], v[6:7], v[4:5]
	v_add_f64_e32 v[2:3], v[10:11], v[2:3]
	s_delay_alu instid0(VALU_DEP_2) | instskip(NEXT) | instid1(VALU_DEP_2)
	v_add_f64_e32 v[4:5], v[4:5], v[12:13]
	v_add_f64_e32 v[6:7], v[2:3], v[140:141]
	s_delay_alu instid0(VALU_DEP_2) | instskip(NEXT) | instid1(VALU_DEP_2)
	v_add_f64_e64 v[2:3], v[176:177], -v[4:5]
	v_add_f64_e64 v[4:5], v[178:179], -v[6:7]
	scratch_store_b128 off, v[2:5], off offset:32
	s_wait_xcnt 0x0
	v_cmpx_lt_u32_e32 1, v1
	s_cbranch_execz .LBB122_365
; %bb.364:
	scratch_load_b128 v[2:5], off, s18
	v_mov_b32_e32 v10, 0
	s_delay_alu instid0(VALU_DEP_1)
	v_dual_mov_b32 v11, v10 :: v_dual_mov_b32 v12, v10
	v_mov_b32_e32 v13, v10
	scratch_store_b128 off, v[10:13], off offset:16
	s_wait_loadcnt 0x0
	ds_store_b128 v8, v[2:5]
.LBB122_365:
	s_wait_xcnt 0x0
	s_or_b32 exec_lo, exec_lo, s2
	s_wait_storecnt_dscnt 0x0
	s_barrier_signal -1
	s_barrier_wait -1
	s_clause 0x9
	scratch_load_b128 v[4:7], off, off offset:32
	scratch_load_b128 v[10:13], off, off offset:48
	;; [unrolled: 1-line block ×10, first 2 shown]
	v_mov_b32_e32 v2, 0
	s_mov_b32 s2, exec_lo
	ds_load_b128 v[164:167], v2 offset:976
	s_clause 0x2
	scratch_load_b128 v[168:171], off, off offset:192
	scratch_load_b128 v[172:175], off, off offset:16
	scratch_load_b128 v[180:183], off, off offset:208
	s_wait_loadcnt_dscnt 0xc00
	v_mul_f64_e32 v[184:185], v[166:167], v[6:7]
	v_mul_f64_e32 v[188:189], v[164:165], v[6:7]
	ds_load_b128 v[176:179], v2 offset:992
	v_fma_f64 v[192:193], v[164:165], v[4:5], -v[184:185]
	v_fmac_f64_e32 v[188:189], v[166:167], v[4:5]
	ds_load_b128 v[4:7], v2 offset:1008
	s_wait_loadcnt_dscnt 0xb01
	v_mul_f64_e32 v[190:191], v[176:177], v[12:13]
	v_mul_f64_e32 v[12:13], v[178:179], v[12:13]
	scratch_load_b128 v[164:167], off, off offset:224
	ds_load_b128 v[184:187], v2 offset:1024
	s_wait_loadcnt_dscnt 0xb01
	v_mul_f64_e32 v[194:195], v[4:5], v[134:135]
	v_mul_f64_e32 v[134:135], v[6:7], v[134:135]
	v_add_f64_e32 v[188:189], 0, v[188:189]
	v_fmac_f64_e32 v[190:191], v[178:179], v[10:11]
	v_fma_f64 v[176:177], v[176:177], v[10:11], -v[12:13]
	v_add_f64_e32 v[178:179], 0, v[192:193]
	scratch_load_b128 v[10:13], off, off offset:240
	v_fmac_f64_e32 v[194:195], v[6:7], v[132:133]
	v_fma_f64 v[196:197], v[4:5], v[132:133], -v[134:135]
	ds_load_b128 v[4:7], v2 offset:1040
	s_wait_loadcnt_dscnt 0xb01
	v_mul_f64_e32 v[192:193], v[184:185], v[138:139]
	v_mul_f64_e32 v[138:139], v[186:187], v[138:139]
	scratch_load_b128 v[132:135], off, off offset:256
	v_add_f64_e32 v[188:189], v[188:189], v[190:191]
	v_add_f64_e32 v[198:199], v[178:179], v[176:177]
	ds_load_b128 v[176:179], v2 offset:1056
	s_wait_loadcnt_dscnt 0xb01
	v_mul_f64_e32 v[190:191], v[4:5], v[142:143]
	v_mul_f64_e32 v[142:143], v[6:7], v[142:143]
	v_fmac_f64_e32 v[192:193], v[186:187], v[136:137]
	v_fma_f64 v[184:185], v[184:185], v[136:137], -v[138:139]
	scratch_load_b128 v[136:139], off, off offset:272
	v_add_f64_e32 v[188:189], v[188:189], v[194:195]
	v_add_f64_e32 v[186:187], v[198:199], v[196:197]
	v_fmac_f64_e32 v[190:191], v[6:7], v[140:141]
	v_fma_f64 v[196:197], v[4:5], v[140:141], -v[142:143]
	ds_load_b128 v[4:7], v2 offset:1072
	s_wait_loadcnt_dscnt 0xb01
	v_mul_f64_e32 v[194:195], v[176:177], v[146:147]
	v_mul_f64_e32 v[146:147], v[178:179], v[146:147]
	scratch_load_b128 v[140:143], off, off offset:288
	v_add_f64_e32 v[188:189], v[188:189], v[192:193]
	s_wait_loadcnt_dscnt 0xb00
	v_mul_f64_e32 v[192:193], v[4:5], v[150:151]
	v_add_f64_e32 v[198:199], v[186:187], v[184:185]
	v_mul_f64_e32 v[150:151], v[6:7], v[150:151]
	ds_load_b128 v[184:187], v2 offset:1088
	v_fmac_f64_e32 v[194:195], v[178:179], v[144:145]
	v_fma_f64 v[176:177], v[176:177], v[144:145], -v[146:147]
	scratch_load_b128 v[144:147], off, off offset:304
	v_add_f64_e32 v[188:189], v[188:189], v[190:191]
	v_fmac_f64_e32 v[192:193], v[6:7], v[148:149]
	v_add_f64_e32 v[178:179], v[198:199], v[196:197]
	v_fma_f64 v[196:197], v[4:5], v[148:149], -v[150:151]
	ds_load_b128 v[4:7], v2 offset:1104
	s_wait_loadcnt_dscnt 0xb01
	v_mul_f64_e32 v[190:191], v[184:185], v[154:155]
	v_mul_f64_e32 v[154:155], v[186:187], v[154:155]
	scratch_load_b128 v[148:151], off, off offset:320
	v_add_f64_e32 v[188:189], v[188:189], v[194:195]
	s_wait_loadcnt_dscnt 0xb00
	v_mul_f64_e32 v[194:195], v[4:5], v[158:159]
	v_add_f64_e32 v[198:199], v[178:179], v[176:177]
	v_mul_f64_e32 v[158:159], v[6:7], v[158:159]
	ds_load_b128 v[176:179], v2 offset:1120
	v_fmac_f64_e32 v[190:191], v[186:187], v[152:153]
	v_fma_f64 v[184:185], v[184:185], v[152:153], -v[154:155]
	scratch_load_b128 v[152:155], off, off offset:336
	v_add_f64_e32 v[188:189], v[188:189], v[192:193]
	v_fmac_f64_e32 v[194:195], v[6:7], v[156:157]
	v_add_f64_e32 v[186:187], v[198:199], v[196:197]
	;; [unrolled: 18-line block ×3, first 2 shown]
	v_fma_f64 v[196:197], v[4:5], v[168:169], -v[170:171]
	ds_load_b128 v[4:7], v2 offset:1168
	s_wait_loadcnt_dscnt 0xa01
	v_mul_f64_e32 v[194:195], v[184:185], v[182:183]
	v_mul_f64_e32 v[182:183], v[186:187], v[182:183]
	scratch_load_b128 v[168:171], off, off offset:384
	v_add_f64_e32 v[188:189], v[188:189], v[192:193]
	v_add_f64_e32 v[198:199], v[178:179], v[176:177]
	s_wait_loadcnt_dscnt 0xa00
	v_mul_f64_e32 v[192:193], v[4:5], v[166:167]
	v_mul_f64_e32 v[166:167], v[6:7], v[166:167]
	v_fmac_f64_e32 v[194:195], v[186:187], v[180:181]
	v_fma_f64 v[184:185], v[184:185], v[180:181], -v[182:183]
	ds_load_b128 v[176:179], v2 offset:1184
	scratch_load_b128 v[180:183], off, off offset:400
	v_add_f64_e32 v[188:189], v[188:189], v[190:191]
	v_add_f64_e32 v[186:187], v[198:199], v[196:197]
	v_fmac_f64_e32 v[192:193], v[6:7], v[164:165]
	v_fma_f64 v[196:197], v[4:5], v[164:165], -v[166:167]
	ds_load_b128 v[4:7], v2 offset:1200
	s_wait_loadcnt_dscnt 0xa01
	v_mul_f64_e32 v[190:191], v[176:177], v[12:13]
	v_mul_f64_e32 v[12:13], v[178:179], v[12:13]
	scratch_load_b128 v[164:167], off, off offset:416
	v_add_f64_e32 v[188:189], v[188:189], v[194:195]
	s_wait_loadcnt_dscnt 0xa00
	v_mul_f64_e32 v[194:195], v[4:5], v[134:135]
	v_add_f64_e32 v[198:199], v[186:187], v[184:185]
	v_mul_f64_e32 v[134:135], v[6:7], v[134:135]
	ds_load_b128 v[184:187], v2 offset:1216
	v_fmac_f64_e32 v[190:191], v[178:179], v[10:11]
	v_fma_f64 v[176:177], v[176:177], v[10:11], -v[12:13]
	scratch_load_b128 v[10:13], off, off offset:432
	v_add_f64_e32 v[188:189], v[188:189], v[192:193]
	v_fmac_f64_e32 v[194:195], v[6:7], v[132:133]
	v_add_f64_e32 v[178:179], v[198:199], v[196:197]
	v_fma_f64 v[196:197], v[4:5], v[132:133], -v[134:135]
	ds_load_b128 v[4:7], v2 offset:1232
	s_wait_loadcnt_dscnt 0xa01
	v_mul_f64_e32 v[192:193], v[184:185], v[138:139]
	v_mul_f64_e32 v[138:139], v[186:187], v[138:139]
	scratch_load_b128 v[132:135], off, off offset:448
	v_add_f64_e32 v[188:189], v[188:189], v[190:191]
	s_wait_loadcnt_dscnt 0xa00
	v_mul_f64_e32 v[190:191], v[4:5], v[142:143]
	v_add_f64_e32 v[198:199], v[178:179], v[176:177]
	v_mul_f64_e32 v[142:143], v[6:7], v[142:143]
	ds_load_b128 v[176:179], v2 offset:1248
	v_fmac_f64_e32 v[192:193], v[186:187], v[136:137]
	v_fma_f64 v[184:185], v[184:185], v[136:137], -v[138:139]
	scratch_load_b128 v[136:139], off, off offset:464
	v_add_f64_e32 v[188:189], v[188:189], v[194:195]
	v_fmac_f64_e32 v[190:191], v[6:7], v[140:141]
	v_add_f64_e32 v[186:187], v[198:199], v[196:197]
	;; [unrolled: 18-line block ×16, first 2 shown]
	v_fma_f64 v[196:197], v[4:5], v[156:157], -v[158:159]
	ds_load_b128 v[4:7], v2 offset:1712
	s_wait_loadcnt_dscnt 0xa01
	v_mul_f64_e32 v[192:193], v[176:177], v[162:163]
	v_mul_f64_e32 v[162:163], v[178:179], v[162:163]
	scratch_load_b128 v[156:159], off, off offset:928
	v_add_f64_e32 v[188:189], v[188:189], v[190:191]
	s_wait_loadcnt_dscnt 0xa00
	v_mul_f64_e32 v[190:191], v[4:5], v[170:171]
	v_add_f64_e32 v[198:199], v[186:187], v[184:185]
	v_mul_f64_e32 v[170:171], v[6:7], v[170:171]
	ds_load_b128 v[184:187], v2 offset:1728
	v_fmac_f64_e32 v[192:193], v[178:179], v[160:161]
	v_fma_f64 v[160:161], v[176:177], v[160:161], -v[162:163]
	s_wait_loadcnt_dscnt 0x900
	v_mul_f64_e32 v[178:179], v[184:185], v[182:183]
	v_mul_f64_e32 v[182:183], v[186:187], v[182:183]
	v_add_f64_e32 v[176:177], v[188:189], v[194:195]
	v_fmac_f64_e32 v[190:191], v[6:7], v[168:169]
	v_add_f64_e32 v[162:163], v[198:199], v[196:197]
	v_fma_f64 v[168:169], v[4:5], v[168:169], -v[170:171]
	v_fmac_f64_e32 v[178:179], v[186:187], v[180:181]
	v_fma_f64 v[180:181], v[184:185], v[180:181], -v[182:183]
	v_add_f64_e32 v[176:177], v[176:177], v[192:193]
	v_add_f64_e32 v[170:171], v[162:163], v[160:161]
	ds_load_b128 v[4:7], v2 offset:1744
	ds_load_b128 v[160:163], v2 offset:1760
	s_wait_loadcnt_dscnt 0x801
	v_mul_f64_e32 v[188:189], v[4:5], v[166:167]
	v_mul_f64_e32 v[166:167], v[6:7], v[166:167]
	v_add_f64_e32 v[168:169], v[170:171], v[168:169]
	v_add_f64_e32 v[170:171], v[176:177], v[190:191]
	s_wait_loadcnt_dscnt 0x700
	v_mul_f64_e32 v[176:177], v[160:161], v[12:13]
	v_mul_f64_e32 v[12:13], v[162:163], v[12:13]
	v_fmac_f64_e32 v[188:189], v[6:7], v[164:165]
	v_fma_f64 v[182:183], v[4:5], v[164:165], -v[166:167]
	ds_load_b128 v[4:7], v2 offset:1776
	ds_load_b128 v[164:167], v2 offset:1792
	v_add_f64_e32 v[168:169], v[168:169], v[180:181]
	v_add_f64_e32 v[170:171], v[170:171], v[178:179]
	v_fmac_f64_e32 v[176:177], v[162:163], v[10:11]
	v_fma_f64 v[10:11], v[160:161], v[10:11], -v[12:13]
	s_wait_loadcnt_dscnt 0x601
	v_mul_f64_e32 v[178:179], v[4:5], v[134:135]
	v_mul_f64_e32 v[134:135], v[6:7], v[134:135]
	s_wait_loadcnt_dscnt 0x500
	v_mul_f64_e32 v[162:163], v[164:165], v[138:139]
	v_mul_f64_e32 v[138:139], v[166:167], v[138:139]
	v_add_f64_e32 v[12:13], v[168:169], v[182:183]
	v_add_f64_e32 v[160:161], v[170:171], v[188:189]
	v_fmac_f64_e32 v[178:179], v[6:7], v[132:133]
	v_fma_f64 v[132:133], v[4:5], v[132:133], -v[134:135]
	v_fmac_f64_e32 v[162:163], v[166:167], v[136:137]
	v_fma_f64 v[136:137], v[164:165], v[136:137], -v[138:139]
	v_add_f64_e32 v[134:135], v[12:13], v[10:11]
	v_add_f64_e32 v[160:161], v[160:161], v[176:177]
	ds_load_b128 v[4:7], v2 offset:1808
	ds_load_b128 v[10:13], v2 offset:1824
	s_wait_loadcnt_dscnt 0x401
	v_mul_f64_e32 v[168:169], v[4:5], v[142:143]
	v_mul_f64_e32 v[142:143], v[6:7], v[142:143]
	s_wait_loadcnt_dscnt 0x300
	v_mul_f64_e32 v[138:139], v[10:11], v[146:147]
	v_mul_f64_e32 v[146:147], v[12:13], v[146:147]
	v_add_f64_e32 v[132:133], v[134:135], v[132:133]
	v_add_f64_e32 v[134:135], v[160:161], v[178:179]
	v_fmac_f64_e32 v[168:169], v[6:7], v[140:141]
	v_fma_f64 v[140:141], v[4:5], v[140:141], -v[142:143]
	v_fmac_f64_e32 v[138:139], v[12:13], v[144:145]
	v_fma_f64 v[10:11], v[10:11], v[144:145], -v[146:147]
	v_add_f64_e32 v[136:137], v[132:133], v[136:137]
	v_add_f64_e32 v[142:143], v[134:135], v[162:163]
	ds_load_b128 v[4:7], v2 offset:1840
	ds_load_b128 v[132:135], v2 offset:1856
	s_wait_loadcnt_dscnt 0x201
	v_mul_f64_e32 v[160:161], v[4:5], v[150:151]
	v_mul_f64_e32 v[150:151], v[6:7], v[150:151]
	v_add_f64_e32 v[12:13], v[136:137], v[140:141]
	v_add_f64_e32 v[136:137], v[142:143], v[168:169]
	s_wait_loadcnt_dscnt 0x100
	v_mul_f64_e32 v[140:141], v[132:133], v[154:155]
	v_mul_f64_e32 v[142:143], v[134:135], v[154:155]
	v_fmac_f64_e32 v[160:161], v[6:7], v[148:149]
	v_fma_f64 v[144:145], v[4:5], v[148:149], -v[150:151]
	ds_load_b128 v[4:7], v2 offset:1872
	v_add_f64_e32 v[10:11], v[12:13], v[10:11]
	v_add_f64_e32 v[12:13], v[136:137], v[138:139]
	v_fmac_f64_e32 v[140:141], v[134:135], v[152:153]
	v_fma_f64 v[132:133], v[132:133], v[152:153], -v[142:143]
	s_wait_loadcnt_dscnt 0x0
	v_mul_f64_e32 v[136:137], v[4:5], v[158:159]
	v_mul_f64_e32 v[138:139], v[6:7], v[158:159]
	v_add_f64_e32 v[10:11], v[10:11], v[144:145]
	v_add_f64_e32 v[12:13], v[12:13], v[160:161]
	s_delay_alu instid0(VALU_DEP_4) | instskip(NEXT) | instid1(VALU_DEP_4)
	v_fmac_f64_e32 v[136:137], v[6:7], v[156:157]
	v_fma_f64 v[4:5], v[4:5], v[156:157], -v[138:139]
	s_delay_alu instid0(VALU_DEP_4) | instskip(NEXT) | instid1(VALU_DEP_4)
	v_add_f64_e32 v[6:7], v[10:11], v[132:133]
	v_add_f64_e32 v[10:11], v[12:13], v[140:141]
	s_delay_alu instid0(VALU_DEP_2) | instskip(NEXT) | instid1(VALU_DEP_2)
	v_add_f64_e32 v[4:5], v[6:7], v[4:5]
	v_add_f64_e32 v[6:7], v[10:11], v[136:137]
	s_delay_alu instid0(VALU_DEP_2) | instskip(NEXT) | instid1(VALU_DEP_2)
	v_add_f64_e64 v[4:5], v[172:173], -v[4:5]
	v_add_f64_e64 v[6:7], v[174:175], -v[6:7]
	scratch_store_b128 off, v[4:7], off offset:16
	s_wait_xcnt 0x0
	v_cmpx_ne_u32_e32 0, v1
	s_cbranch_execz .LBB122_367
; %bb.366:
	scratch_load_b128 v[10:13], off, off
	v_dual_mov_b32 v3, v2 :: v_dual_mov_b32 v4, v2
	v_mov_b32_e32 v5, v2
	scratch_store_b128 off, v[2:5], off
	s_wait_loadcnt 0x0
	ds_store_b128 v8, v[10:13]
.LBB122_367:
	s_wait_xcnt 0x0
	s_or_b32 exec_lo, exec_lo, s2
	s_wait_storecnt_dscnt 0x0
	s_barrier_signal -1
	s_barrier_wait -1
	s_clause 0x9
	scratch_load_b128 v[4:7], off, off offset:16
	scratch_load_b128 v[8:11], off, off offset:32
	;; [unrolled: 1-line block ×10, first 2 shown]
	ds_load_b128 v[164:167], v2 offset:960
	ds_load_b128 v[172:175], v2 offset:976
	s_clause 0x2
	scratch_load_b128 v[168:171], off, off offset:176
	scratch_load_b128 v[180:183], off, off
	scratch_load_b128 v[176:179], off, off offset:192
	v_lshl_add_u64 v[70:71], v[70:71], 4, s[4:5]
	s_and_b32 vcc_lo, exec_lo, s71
	s_wait_loadcnt_dscnt 0xc01
	v_mul_f64_e32 v[12:13], v[166:167], v[6:7]
	v_mul_f64_e32 v[184:185], v[164:165], v[6:7]
	s_wait_loadcnt_dscnt 0xb00
	v_mul_f64_e32 v[186:187], v[172:173], v[10:11]
	v_mul_f64_e32 v[188:189], v[174:175], v[10:11]
	s_delay_alu instid0(VALU_DEP_4) | instskip(NEXT) | instid1(VALU_DEP_4)
	v_fma_f64 v[190:191], v[164:165], v[4:5], -v[12:13]
	v_fmac_f64_e32 v[184:185], v[166:167], v[4:5]
	ds_load_b128 v[4:7], v2 offset:992
	ds_load_b128 v[10:13], v2 offset:1008
	scratch_load_b128 v[164:167], off, off offset:208
	v_fmac_f64_e32 v[186:187], v[174:175], v[8:9]
	v_fma_f64 v[8:9], v[172:173], v[8:9], -v[188:189]
	scratch_load_b128 v[172:175], off, off offset:224
	s_wait_loadcnt_dscnt 0xc01
	v_mul_f64_e32 v[192:193], v[4:5], v[134:135]
	v_mul_f64_e32 v[134:135], v[6:7], v[134:135]
	v_add_f64_e32 v[188:189], 0, v[190:191]
	v_add_f64_e32 v[184:185], 0, v[184:185]
	s_wait_loadcnt_dscnt 0xb00
	v_mul_f64_e32 v[190:191], v[10:11], v[138:139]
	v_mul_f64_e32 v[138:139], v[12:13], v[138:139]
	v_fmac_f64_e32 v[192:193], v[6:7], v[132:133]
	v_fma_f64 v[194:195], v[4:5], v[132:133], -v[134:135]
	ds_load_b128 v[4:7], v2 offset:1024
	ds_load_b128 v[132:135], v2 offset:1040
	v_add_f64_e32 v[8:9], v[188:189], v[8:9]
	v_add_f64_e32 v[188:189], v[184:185], v[186:187]
	scratch_load_b128 v[184:187], off, off offset:240
	v_fmac_f64_e32 v[190:191], v[12:13], v[136:137]
	v_fma_f64 v[12:13], v[10:11], v[136:137], -v[138:139]
	s_wait_loadcnt_dscnt 0xb01
	v_mul_f64_e32 v[196:197], v[4:5], v[142:143]
	v_mul_f64_e32 v[142:143], v[6:7], v[142:143]
	v_add_f64_e32 v[136:137], v[8:9], v[194:195]
	v_add_f64_e32 v[138:139], v[188:189], v[192:193]
	scratch_load_b128 v[8:11], off, off offset:256
	s_wait_loadcnt_dscnt 0xb00
	v_mul_f64_e32 v[188:189], v[132:133], v[146:147]
	v_mul_f64_e32 v[146:147], v[134:135], v[146:147]
	v_fmac_f64_e32 v[196:197], v[6:7], v[140:141]
	v_fma_f64 v[192:193], v[4:5], v[140:141], -v[142:143]
	v_add_f64_e32 v[12:13], v[136:137], v[12:13]
	v_add_f64_e32 v[190:191], v[138:139], v[190:191]
	ds_load_b128 v[4:7], v2 offset:1056
	ds_load_b128 v[136:139], v2 offset:1072
	scratch_load_b128 v[140:143], off, off offset:272
	v_fmac_f64_e32 v[188:189], v[134:135], v[144:145]
	v_fma_f64 v[144:145], v[132:133], v[144:145], -v[146:147]
	scratch_load_b128 v[132:135], off, off offset:288
	s_wait_loadcnt_dscnt 0xc01
	v_mul_f64_e32 v[194:195], v[4:5], v[150:151]
	v_mul_f64_e32 v[150:151], v[6:7], v[150:151]
	v_add_f64_e32 v[12:13], v[12:13], v[192:193]
	v_add_f64_e32 v[146:147], v[190:191], v[196:197]
	s_wait_loadcnt_dscnt 0xb00
	v_mul_f64_e32 v[190:191], v[136:137], v[154:155]
	v_mul_f64_e32 v[154:155], v[138:139], v[154:155]
	v_fmac_f64_e32 v[194:195], v[6:7], v[148:149]
	v_fma_f64 v[192:193], v[4:5], v[148:149], -v[150:151]
	v_add_f64_e32 v[12:13], v[12:13], v[144:145]
	v_add_f64_e32 v[188:189], v[146:147], v[188:189]
	ds_load_b128 v[4:7], v2 offset:1088
	ds_load_b128 v[144:147], v2 offset:1104
	scratch_load_b128 v[148:151], off, off offset:304
	v_fmac_f64_e32 v[190:191], v[138:139], v[152:153]
	v_fma_f64 v[152:153], v[136:137], v[152:153], -v[154:155]
	scratch_load_b128 v[136:139], off, off offset:320
	s_wait_loadcnt_dscnt 0xc01
	v_mul_f64_e32 v[196:197], v[4:5], v[158:159]
	v_mul_f64_e32 v[158:159], v[6:7], v[158:159]
	v_add_f64_e32 v[12:13], v[12:13], v[192:193]
	v_add_f64_e32 v[154:155], v[188:189], v[194:195]
	;; [unrolled: 18-line block ×4, first 2 shown]
	s_wait_loadcnt_dscnt 0xa00
	v_mul_f64_e32 v[188:189], v[160:161], v[174:175]
	v_mul_f64_e32 v[192:193], v[162:163], v[174:175]
	v_fmac_f64_e32 v[196:197], v[6:7], v[164:165]
	v_fma_f64 v[194:195], v[4:5], v[164:165], -v[166:167]
	ds_load_b128 v[4:7], v2 offset:1184
	ds_load_b128 v[164:167], v2 offset:1200
	v_add_f64_e32 v[12:13], v[12:13], v[176:177]
	v_add_f64_e32 v[178:179], v[178:179], v[190:191]
	scratch_load_b128 v[174:177], off, off offset:400
	v_fmac_f64_e32 v[188:189], v[162:163], v[172:173]
	v_fma_f64 v[172:173], v[160:161], v[172:173], -v[192:193]
	scratch_load_b128 v[160:163], off, off offset:416
	s_wait_loadcnt_dscnt 0xb01
	v_mul_f64_e32 v[190:191], v[4:5], v[186:187]
	v_mul_f64_e32 v[186:187], v[6:7], v[186:187]
	v_add_f64_e32 v[12:13], v[12:13], v[194:195]
	v_add_f64_e32 v[178:179], v[178:179], v[196:197]
	s_wait_loadcnt_dscnt 0xa00
	v_mul_f64_e32 v[192:193], v[164:165], v[10:11]
	v_mul_f64_e32 v[194:195], v[166:167], v[10:11]
	v_fmac_f64_e32 v[190:191], v[6:7], v[184:185]
	v_fma_f64 v[196:197], v[4:5], v[184:185], -v[186:187]
	v_add_f64_e32 v[172:173], v[12:13], v[172:173]
	v_add_f64_e32 v[178:179], v[178:179], v[188:189]
	ds_load_b128 v[4:7], v2 offset:1216
	ds_load_b128 v[10:13], v2 offset:1232
	scratch_load_b128 v[184:187], off, off offset:432
	v_fmac_f64_e32 v[192:193], v[166:167], v[8:9]
	v_fma_f64 v[8:9], v[164:165], v[8:9], -v[194:195]
	scratch_load_b128 v[164:167], off, off offset:448
	s_wait_loadcnt_dscnt 0xb01
	v_mul_f64_e32 v[198:199], v[4:5], v[142:143]
	v_mul_f64_e32 v[142:143], v[6:7], v[142:143]
	s_wait_loadcnt_dscnt 0xa00
	v_mul_f64_e32 v[194:195], v[10:11], v[134:135]
	v_mul_f64_e32 v[134:135], v[12:13], v[134:135]
	v_add_f64_e32 v[172:173], v[172:173], v[196:197]
	v_add_f64_e32 v[178:179], v[178:179], v[190:191]
	v_fmac_f64_e32 v[198:199], v[6:7], v[140:141]
	v_fma_f64 v[196:197], v[4:5], v[140:141], -v[142:143]
	ds_load_b128 v[4:7], v2 offset:1248
	ds_load_b128 v[140:143], v2 offset:1264
	scratch_load_b128 v[188:191], off, off offset:464
	v_fmac_f64_e32 v[194:195], v[12:13], v[132:133]
	v_fma_f64 v[12:13], v[10:11], v[132:133], -v[134:135]
	v_add_f64_e32 v[8:9], v[172:173], v[8:9]
	v_add_f64_e32 v[172:173], v[178:179], v[192:193]
	s_wait_loadcnt_dscnt 0xa01
	v_mul_f64_e32 v[178:179], v[4:5], v[150:151]
	v_mul_f64_e32 v[150:151], v[6:7], v[150:151]
	s_delay_alu instid0(VALU_DEP_4) | instskip(NEXT) | instid1(VALU_DEP_4)
	v_add_f64_e32 v[132:133], v[8:9], v[196:197]
	v_add_f64_e32 v[134:135], v[172:173], v[198:199]
	scratch_load_b128 v[8:11], off, off offset:480
	s_wait_loadcnt_dscnt 0xa00
	v_mul_f64_e32 v[172:173], v[140:141], v[138:139]
	v_mul_f64_e32 v[138:139], v[142:143], v[138:139]
	v_fmac_f64_e32 v[178:179], v[6:7], v[148:149]
	v_fma_f64 v[192:193], v[4:5], v[148:149], -v[150:151]
	v_add_f64_e32 v[12:13], v[132:133], v[12:13]
	v_add_f64_e32 v[194:195], v[134:135], v[194:195]
	ds_load_b128 v[4:7], v2 offset:1280
	ds_load_b128 v[132:135], v2 offset:1296
	scratch_load_b128 v[148:151], off, off offset:496
	v_fmac_f64_e32 v[172:173], v[142:143], v[136:137]
	v_fma_f64 v[140:141], v[140:141], v[136:137], -v[138:139]
	scratch_load_b128 v[136:139], off, off offset:512
	s_wait_loadcnt_dscnt 0xb01
	v_mul_f64_e32 v[196:197], v[4:5], v[158:159]
	v_mul_f64_e32 v[158:159], v[6:7], v[158:159]
	v_add_f64_e32 v[12:13], v[12:13], v[192:193]
	v_add_f64_e32 v[142:143], v[194:195], v[178:179]
	s_wait_loadcnt_dscnt 0xa00
	v_mul_f64_e32 v[178:179], v[132:133], v[146:147]
	v_mul_f64_e32 v[146:147], v[134:135], v[146:147]
	v_fmac_f64_e32 v[196:197], v[6:7], v[156:157]
	v_fma_f64 v[192:193], v[4:5], v[156:157], -v[158:159]
	v_add_f64_e32 v[12:13], v[12:13], v[140:141]
	v_add_f64_e32 v[172:173], v[142:143], v[172:173]
	ds_load_b128 v[4:7], v2 offset:1312
	ds_load_b128 v[140:143], v2 offset:1328
	scratch_load_b128 v[156:159], off, off offset:528
	v_fmac_f64_e32 v[178:179], v[134:135], v[144:145]
	v_fma_f64 v[144:145], v[132:133], v[144:145], -v[146:147]
	scratch_load_b128 v[132:135], off, off offset:544
	s_wait_loadcnt_dscnt 0xb01
	v_mul_f64_e32 v[194:195], v[4:5], v[170:171]
	v_mul_f64_e32 v[170:171], v[6:7], v[170:171]
	v_add_f64_e32 v[12:13], v[12:13], v[192:193]
	v_add_f64_e32 v[146:147], v[172:173], v[196:197]
	;; [unrolled: 18-line block ×6, first 2 shown]
	s_wait_loadcnt_dscnt 0xa00
	v_mul_f64_e32 v[190:191], v[10:11], v[138:139]
	v_mul_f64_e32 v[138:139], v[12:13], v[138:139]
	v_fmac_f64_e32 v[194:195], v[6:7], v[148:149]
	v_fma_f64 v[192:193], v[4:5], v[148:149], -v[150:151]
	ds_load_b128 v[4:7], v2 offset:1472
	ds_load_b128 v[148:151], v2 offset:1488
	v_add_f64_e32 v[8:9], v[186:187], v[8:9]
	v_add_f64_e32 v[188:189], v[188:189], v[184:185]
	scratch_load_b128 v[184:187], off, off offset:688
	v_fmac_f64_e32 v[190:191], v[12:13], v[136:137]
	v_fma_f64 v[12:13], v[10:11], v[136:137], -v[138:139]
	s_wait_loadcnt_dscnt 0xa01
	v_mul_f64_e32 v[196:197], v[4:5], v[158:159]
	v_mul_f64_e32 v[158:159], v[6:7], v[158:159]
	v_add_f64_e32 v[136:137], v[8:9], v[192:193]
	v_add_f64_e32 v[138:139], v[188:189], v[194:195]
	scratch_load_b128 v[8:11], off, off offset:704
	s_wait_loadcnt_dscnt 0xa00
	v_mul_f64_e32 v[188:189], v[148:149], v[134:135]
	v_mul_f64_e32 v[192:193], v[150:151], v[134:135]
	v_fmac_f64_e32 v[196:197], v[6:7], v[156:157]
	v_fma_f64 v[194:195], v[4:5], v[156:157], -v[158:159]
	v_add_f64_e32 v[12:13], v[136:137], v[12:13]
	v_add_f64_e32 v[138:139], v[138:139], v[190:191]
	ds_load_b128 v[4:7], v2 offset:1504
	ds_load_b128 v[134:137], v2 offset:1520
	scratch_load_b128 v[156:159], off, off offset:720
	v_fmac_f64_e32 v[188:189], v[150:151], v[132:133]
	v_fma_f64 v[132:133], v[148:149], v[132:133], -v[192:193]
	scratch_load_b128 v[148:151], off, off offset:736
	s_wait_loadcnt_dscnt 0xb01
	v_mul_f64_e32 v[198:199], v[4:5], v[170:171]
	v_mul_f64_e32 v[170:171], v[6:7], v[170:171]
	s_wait_loadcnt_dscnt 0xa00
	v_mul_f64_e32 v[192:193], v[134:135], v[142:143]
	v_mul_f64_e32 v[142:143], v[136:137], v[142:143]
	v_add_f64_e32 v[12:13], v[12:13], v[194:195]
	v_add_f64_e32 v[138:139], v[138:139], v[196:197]
	v_fmac_f64_e32 v[198:199], v[6:7], v[168:169]
	v_fma_f64 v[194:195], v[4:5], v[168:169], -v[170:171]
	ds_load_b128 v[4:7], v2 offset:1536
	ds_load_b128 v[168:171], v2 offset:1552
	v_fmac_f64_e32 v[192:193], v[136:137], v[140:141]
	v_fma_f64 v[136:137], v[134:135], v[140:141], -v[142:143]
	v_add_f64_e32 v[12:13], v[12:13], v[132:133]
	v_add_f64_e32 v[132:133], v[138:139], v[188:189]
	scratch_load_b128 v[188:191], off, off offset:752
	s_wait_loadcnt_dscnt 0xa01
	v_mul_f64_e32 v[196:197], v[4:5], v[174:175]
	v_mul_f64_e32 v[138:139], v[6:7], v[174:175]
	s_wait_loadcnt_dscnt 0x900
	v_mul_f64_e32 v[174:175], v[168:169], v[146:147]
	v_mul_f64_e32 v[146:147], v[170:171], v[146:147]
	v_add_f64_e32 v[12:13], v[12:13], v[194:195]
	v_add_f64_e32 v[140:141], v[132:133], v[198:199]
	scratch_load_b128 v[132:135], off, off offset:768
	v_fmac_f64_e32 v[196:197], v[6:7], v[172:173]
	v_fma_f64 v[172:173], v[4:5], v[172:173], -v[138:139]
	v_fmac_f64_e32 v[174:175], v[170:171], v[144:145]
	v_fma_f64 v[168:169], v[168:169], v[144:145], -v[146:147]
	v_add_f64_e32 v[12:13], v[12:13], v[136:137]
	v_add_f64_e32 v[192:193], v[140:141], v[192:193]
	ds_load_b128 v[4:7], v2 offset:1568
	ds_load_b128 v[136:139], v2 offset:1584
	s_clause 0x1
	scratch_load_b128 v[140:143], off, off offset:784
	scratch_load_b128 v[144:147], off, off offset:800
	s_wait_loadcnt_dscnt 0xb01
	v_mul_f64_e32 v[194:195], v[4:5], v[178:179]
	v_mul_f64_e32 v[178:179], v[6:7], v[178:179]
	v_add_f64_e32 v[12:13], v[12:13], v[172:173]
	v_add_f64_e32 v[170:171], v[192:193], v[196:197]
	s_wait_loadcnt_dscnt 0xa00
	v_mul_f64_e32 v[192:193], v[136:137], v[154:155]
	v_mul_f64_e32 v[154:155], v[138:139], v[154:155]
	v_fmac_f64_e32 v[194:195], v[6:7], v[176:177]
	v_fma_f64 v[176:177], v[4:5], v[176:177], -v[178:179]
	v_add_f64_e32 v[12:13], v[12:13], v[168:169]
	v_add_f64_e32 v[178:179], v[170:171], v[174:175]
	ds_load_b128 v[4:7], v2 offset:1600
	ds_load_b128 v[168:171], v2 offset:1616
	scratch_load_b128 v[172:175], off, off offset:816
	v_fmac_f64_e32 v[192:193], v[138:139], v[152:153]
	v_fma_f64 v[152:153], v[136:137], v[152:153], -v[154:155]
	scratch_load_b128 v[136:139], off, off offset:832
	s_wait_loadcnt_dscnt 0xb01
	v_mul_f64_e32 v[196:197], v[4:5], v[166:167]
	v_mul_f64_e32 v[166:167], v[6:7], v[166:167]
	v_add_f64_e32 v[12:13], v[12:13], v[176:177]
	v_add_f64_e32 v[154:155], v[178:179], v[194:195]
	s_wait_loadcnt_dscnt 0xa00
	v_mul_f64_e32 v[176:177], v[168:169], v[162:163]
	v_mul_f64_e32 v[178:179], v[170:171], v[162:163]
	v_fmac_f64_e32 v[196:197], v[6:7], v[164:165]
	v_fma_f64 v[166:167], v[4:5], v[164:165], -v[166:167]
	v_add_f64_e32 v[12:13], v[12:13], v[152:153]
	v_add_f64_e32 v[192:193], v[154:155], v[192:193]
	ds_load_b128 v[4:7], v2 offset:1632
	ds_load_b128 v[152:155], v2 offset:1648
	scratch_load_b128 v[162:165], off, off offset:848
	v_fmac_f64_e32 v[176:177], v[170:171], v[160:161]
	v_fma_f64 v[160:161], v[168:169], v[160:161], -v[178:179]
	s_wait_loadcnt_dscnt 0xa01
	v_mul_f64_e32 v[194:195], v[4:5], v[186:187]
	v_mul_f64_e32 v[186:187], v[6:7], v[186:187]
	v_add_f64_e32 v[12:13], v[12:13], v[166:167]
	v_add_f64_e32 v[170:171], v[192:193], v[196:197]
	scratch_load_b128 v[166:169], off, off offset:864
	s_wait_loadcnt_dscnt 0xa00
	v_mul_f64_e32 v[192:193], v[152:153], v[10:11]
	v_mul_f64_e32 v[196:197], v[154:155], v[10:11]
	v_fmac_f64_e32 v[194:195], v[6:7], v[184:185]
	v_fma_f64 v[184:185], v[4:5], v[184:185], -v[186:187]
	v_add_f64_e32 v[160:161], v[12:13], v[160:161]
	v_add_f64_e32 v[170:171], v[170:171], v[176:177]
	ds_load_b128 v[4:7], v2 offset:1664
	ds_load_b128 v[10:13], v2 offset:1680
	scratch_load_b128 v[176:179], off, off offset:880
	v_fmac_f64_e32 v[192:193], v[154:155], v[8:9]
	v_fma_f64 v[8:9], v[152:153], v[8:9], -v[196:197]
	scratch_load_b128 v[152:155], off, off offset:896
	s_wait_loadcnt_dscnt 0xb01
	v_mul_f64_e32 v[198:199], v[4:5], v[158:159]
	v_mul_f64_e32 v[158:159], v[6:7], v[158:159]
	v_add_f64_e32 v[160:161], v[160:161], v[184:185]
	v_add_f64_e32 v[170:171], v[170:171], v[194:195]
	s_wait_loadcnt_dscnt 0xa00
	v_mul_f64_e32 v[194:195], v[10:11], v[150:151]
	v_mul_f64_e32 v[150:151], v[12:13], v[150:151]
	v_fmac_f64_e32 v[198:199], v[6:7], v[156:157]
	v_fma_f64 v[196:197], v[4:5], v[156:157], -v[158:159]
	ds_load_b128 v[4:7], v2 offset:1696
	ds_load_b128 v[156:159], v2 offset:1712
	scratch_load_b128 v[184:187], off, off offset:912
	v_add_f64_e32 v[8:9], v[160:161], v[8:9]
	v_add_f64_e32 v[160:161], v[170:171], v[192:193]
	v_fmac_f64_e32 v[194:195], v[12:13], v[148:149]
	v_fma_f64 v[12:13], v[10:11], v[148:149], -v[150:151]
	s_wait_loadcnt_dscnt 0xa01
	v_mul_f64_e32 v[170:171], v[4:5], v[190:191]
	v_mul_f64_e32 v[190:191], v[6:7], v[190:191]
	v_add_f64_e32 v[148:149], v[8:9], v[196:197]
	v_add_f64_e32 v[150:151], v[160:161], v[198:199]
	scratch_load_b128 v[8:11], off, off offset:928
	s_wait_loadcnt_dscnt 0xa00
	v_mul_f64_e32 v[160:161], v[156:157], v[134:135]
	v_mul_f64_e32 v[134:135], v[158:159], v[134:135]
	v_fmac_f64_e32 v[170:171], v[6:7], v[188:189]
	v_fma_f64 v[188:189], v[4:5], v[188:189], -v[190:191]
	v_add_f64_e32 v[12:13], v[148:149], v[12:13]
	v_add_f64_e32 v[190:191], v[150:151], v[194:195]
	ds_load_b128 v[4:7], v2 offset:1728
	ds_load_b128 v[148:151], v2 offset:1744
	v_fmac_f64_e32 v[160:161], v[158:159], v[132:133]
	v_fma_f64 v[132:133], v[156:157], v[132:133], -v[134:135]
	s_wait_loadcnt_dscnt 0x901
	v_mul_f64_e32 v[192:193], v[4:5], v[142:143]
	v_mul_f64_e32 v[142:143], v[6:7], v[142:143]
	s_wait_loadcnt_dscnt 0x800
	v_mul_f64_e32 v[156:157], v[148:149], v[146:147]
	v_mul_f64_e32 v[146:147], v[150:151], v[146:147]
	v_add_f64_e32 v[12:13], v[12:13], v[188:189]
	v_add_f64_e32 v[134:135], v[190:191], v[170:171]
	v_lshl_add_u64 v[170:171], v[26:27], 4, s[4:5]
	v_lshl_add_u64 v[26:27], v[110:111], 4, s[4:5]
	v_fmac_f64_e32 v[192:193], v[6:7], v[140:141]
	v_fma_f64 v[140:141], v[4:5], v[140:141], -v[142:143]
	v_fmac_f64_e32 v[156:157], v[150:151], v[144:145]
	v_fma_f64 v[144:145], v[148:149], v[144:145], -v[146:147]
	v_add_f64_e32 v[12:13], v[12:13], v[132:133]
	v_add_f64_e32 v[142:143], v[134:135], v[160:161]
	ds_load_b128 v[4:7], v2 offset:1760
	ds_load_b128 v[132:135], v2 offset:1776
	s_wait_loadcnt_dscnt 0x701
	v_mul_f64_e32 v[158:159], v[4:5], v[174:175]
	v_mul_f64_e32 v[160:161], v[6:7], v[174:175]
	s_wait_loadcnt_dscnt 0x600
	v_mul_f64_e32 v[146:147], v[134:135], v[138:139]
	v_lshl_add_u64 v[174:175], v[22:23], 4, s[4:5]
	v_lshl_add_u64 v[22:23], v[114:115], 4, s[4:5]
	v_add_f64_e32 v[12:13], v[12:13], v[140:141]
	v_add_f64_e32 v[140:141], v[142:143], v[192:193]
	v_mul_f64_e32 v[142:143], v[132:133], v[138:139]
	v_fmac_f64_e32 v[158:159], v[6:7], v[172:173]
	v_fma_f64 v[148:149], v[4:5], v[172:173], -v[160:161]
	v_fma_f64 v[132:133], v[132:133], v[136:137], -v[146:147]
	v_lshl_add_u64 v[172:173], v[24:25], 4, s[4:5]
	v_lshl_add_u64 v[160:161], v[36:37], 4, s[4:5]
	v_lshl_add_u64 v[36:37], v[100:101], 4, s[4:5]
	v_lshl_add_u64 v[24:25], v[112:113], 4, s[4:5]
	v_add_f64_e32 v[12:13], v[12:13], v[144:145]
	v_add_f64_e32 v[144:145], v[140:141], v[156:157]
	ds_load_b128 v[4:7], v2 offset:1792
	ds_load_b128 v[138:141], v2 offset:1808
	v_fmac_f64_e32 v[142:143], v[134:135], v[136:137]
	s_wait_loadcnt_dscnt 0x501
	v_mul_f64_e32 v[150:151], v[4:5], v[164:165]
	v_mul_f64_e32 v[156:157], v[6:7], v[164:165]
	v_lshl_add_u64 v[164:165], v[32:33], 4, s[4:5]
	v_lshl_add_u64 v[32:33], v[104:105], 4, s[4:5]
	v_add_f64_e32 v[12:13], v[12:13], v[148:149]
	v_add_f64_e32 v[134:135], v[144:145], v[158:159]
	s_wait_loadcnt_dscnt 0x400
	v_mul_f64_e32 v[136:137], v[138:139], v[168:169]
	v_mul_f64_e32 v[144:145], v[140:141], v[168:169]
	v_lshl_add_u64 v[168:169], v[28:29], 4, s[4:5]
	v_lshl_add_u64 v[158:159], v[38:39], 4, s[4:5]
	;; [unrolled: 1-line block ×4, first 2 shown]
	v_fmac_f64_e32 v[150:151], v[6:7], v[162:163]
	v_fma_f64 v[146:147], v[4:5], v[162:163], -v[156:157]
	v_lshl_add_u64 v[162:163], v[34:35], 4, s[4:5]
	v_lshl_add_u64 v[34:35], v[102:103], 4, s[4:5]
	v_add_f64_e32 v[12:13], v[12:13], v[132:133]
	v_add_f64_e32 v[142:143], v[134:135], v[142:143]
	ds_load_b128 v[4:7], v2 offset:1824
	ds_load_b128 v[132:135], v2 offset:1840
	v_fmac_f64_e32 v[136:137], v[140:141], v[166:167]
	v_fma_f64 v[138:139], v[138:139], v[166:167], -v[144:145]
	v_lshl_add_u64 v[166:167], v[30:31], 4, s[4:5]
	v_lshl_add_u64 v[30:31], v[106:107], 4, s[4:5]
	s_wait_loadcnt_dscnt 0x301
	v_mul_f64_e32 v[148:149], v[4:5], v[178:179]
	v_mul_f64_e32 v[156:157], v[6:7], v[178:179]
	s_wait_loadcnt_dscnt 0x200
	v_mul_f64_e32 v[144:145], v[134:135], v[154:155]
	v_lshl_add_u64 v[178:179], v[18:19], 4, s[4:5]
	v_lshl_add_u64 v[18:19], v[118:119], 4, s[4:5]
	v_add_f64_e32 v[12:13], v[12:13], v[146:147]
	v_add_f64_e32 v[140:141], v[142:143], v[150:151]
	v_mul_f64_e32 v[142:143], v[132:133], v[154:155]
	v_lshl_add_u64 v[154:155], v[42:43], 4, s[4:5]
	v_lshl_add_u64 v[42:43], v[94:95], 4, s[4:5]
	v_fmac_f64_e32 v[148:149], v[6:7], v[176:177]
	v_fma_f64 v[146:147], v[4:5], v[176:177], -v[156:157]
	v_fma_f64 v[132:133], v[132:133], v[152:153], -v[144:145]
	v_lshl_add_u64 v[176:177], v[20:21], 4, s[4:5]
	v_lshl_add_u64 v[156:157], v[40:41], 4, s[4:5]
	;; [unrolled: 1-line block ×6, first 2 shown]
	v_add_f64_e32 v[12:13], v[12:13], v[138:139]
	v_add_f64_e32 v[140:141], v[140:141], v[136:137]
	ds_load_b128 v[4:7], v2 offset:1856
	ds_load_b128 v[136:139], v2 offset:1872
	v_fmac_f64_e32 v[142:143], v[134:135], v[152:153]
	v_lshl_add_u64 v[152:153], v[44:45], 4, s[4:5]
	v_lshl_add_u64 v[44:45], v[92:93], 4, s[4:5]
	s_wait_loadcnt_dscnt 0x101
	v_mul_f64_e32 v[2:3], v[4:5], v[186:187]
	v_mul_f64_e32 v[150:151], v[6:7], v[186:187]
	v_add_f64_e32 v[12:13], v[12:13], v[146:147]
	v_add_f64_e32 v[134:135], v[140:141], v[148:149]
	s_wait_loadcnt_dscnt 0x0
	v_mul_f64_e32 v[140:141], v[136:137], v[10:11]
	v_mul_f64_e32 v[10:11], v[138:139], v[10:11]
	v_lshl_add_u64 v[148:149], v[48:49], 4, s[4:5]
	v_lshl_add_u64 v[146:147], v[50:51], 4, s[4:5]
	;; [unrolled: 1-line block ×4, first 2 shown]
	v_fmac_f64_e32 v[2:3], v[6:7], v[184:185]
	v_fma_f64 v[4:5], v[4:5], v[184:185], -v[150:151]
	v_lshl_add_u64 v[150:151], v[46:47], 4, s[4:5]
	v_lshl_add_u64 v[46:47], v[90:91], 4, s[4:5]
	v_add_f64_e32 v[6:7], v[12:13], v[132:133]
	v_add_f64_e32 v[12:13], v[134:135], v[142:143]
	v_fmac_f64_e32 v[140:141], v[138:139], v[8:9]
	v_fma_f64 v[8:9], v[136:137], v[8:9], -v[10:11]
	v_lshl_add_u64 v[142:143], v[54:55], 4, s[4:5]
	v_lshl_add_u64 v[138:139], v[58:59], 4, s[4:5]
	;; [unrolled: 1-line block ×13, first 2 shown]
	v_add_f64_e32 v[4:5], v[6:7], v[4:5]
	v_add_f64_e32 v[2:3], v[12:13], v[2:3]
	v_lshl_add_u64 v[12:13], v[120:121], 4, s[4:5]
	v_lshl_add_u64 v[6:7], v[126:127], 4, s[4:5]
	s_delay_alu instid0(VALU_DEP_4) | instskip(NEXT) | instid1(VALU_DEP_4)
	v_add_f64_e32 v[4:5], v[4:5], v[8:9]
	v_add_f64_e32 v[2:3], v[2:3], v[140:141]
	v_lshl_add_u64 v[140:141], v[56:57], 4, s[4:5]
	v_lshl_add_u64 v[56:57], v[82:83], 4, s[4:5]
	;; [unrolled: 1-line block ×3, first 2 shown]
	v_add_f64_e64 v[180:181], v[180:181], -v[4:5]
	v_add_f64_e64 v[182:183], v[182:183], -v[2:3]
	v_lshl_add_u64 v[4:5], v[128:129], 4, s[4:5]
	v_lshl_add_u64 v[2:3], v[130:131], 4, s[4:5]
	scratch_store_b128 off, v[180:183], off
	s_cbranch_vccz .LBB122_484
; %bb.368:
	v_mov_b32_e32 v72, 0
	s_load_b64 s[2:3], s[0:1], 0x4
	v_bfe_u32 v74, v0, 10, 10
	v_bfe_u32 v0, v0, 20, 10
	global_load_b32 v73, v72, s[8:9] offset:228
	s_wait_kmcnt 0x0
	s_lshr_b32 s0, s2, 16
	v_mul_u32_u24_e32 v74, s3, v74
	s_mul_i32 s0, s0, s3
	s_delay_alu instid0(SALU_CYCLE_1) | instskip(NEXT) | instid1(VALU_DEP_1)
	v_mul_u32_u24_e32 v1, s0, v1
	v_add3_u32 v0, v1, v74, v0
	s_delay_alu instid0(VALU_DEP_1)
	v_lshl_add_u32 v0, v0, 4, 0x768
	s_wait_loadcnt 0x0
	v_cmp_ne_u32_e32 vcc_lo, 58, v73
	s_cbranch_vccz .LBB122_370
; %bb.369:
	v_lshlrev_b32_e32 v1, 4, v73
	s_clause 0x1
	scratch_load_b128 v[74:77], off, s15
	scratch_load_b128 v[78:81], v1, off offset:-16
	s_wait_loadcnt 0x1
	ds_store_2addr_b64 v0, v[74:75], v[76:77] offset1:1
	s_wait_loadcnt 0x0
	s_clause 0x1
	scratch_store_b128 off, v[78:81], s15
	scratch_store_b128 v1, v[74:77], off offset:-16
.LBB122_370:
	global_load_b32 v1, v72, s[8:9] offset:224
	s_wait_loadcnt 0x0
	v_cmp_eq_u32_e32 vcc_lo, 57, v1
	s_cbranch_vccnz .LBB122_372
; %bb.371:
	v_lshlrev_b32_e32 v1, 4, v1
	s_clause 0x1
	scratch_load_b128 v[72:75], off, s17
	scratch_load_b128 v[76:79], v1, off offset:-16
	s_wait_loadcnt 0x1
	ds_store_2addr_b64 v0, v[72:73], v[74:75] offset1:1
	s_wait_loadcnt 0x0
	s_clause 0x1
	scratch_store_b128 off, v[76:79], s17
	scratch_store_b128 v1, v[72:75], off offset:-16
.LBB122_372:
	s_wait_xcnt 0x0
	v_mov_b32_e32 v1, 0
	global_load_b32 v72, v1, s[8:9] offset:220
	s_wait_loadcnt 0x0
	v_cmp_eq_u32_e32 vcc_lo, 56, v72
	s_cbranch_vccnz .LBB122_374
; %bb.373:
	v_lshlrev_b32_e32 v72, 4, v72
	s_delay_alu instid0(VALU_DEP_1)
	v_mov_b32_e32 v80, v72
	s_clause 0x1
	scratch_load_b128 v[72:75], off, s19
	scratch_load_b128 v[76:79], v80, off offset:-16
	s_wait_loadcnt 0x1
	ds_store_2addr_b64 v0, v[72:73], v[74:75] offset1:1
	s_wait_loadcnt 0x0
	s_clause 0x1
	scratch_store_b128 off, v[76:79], s19
	scratch_store_b128 v80, v[72:75], off offset:-16
.LBB122_374:
	global_load_b32 v1, v1, s[8:9] offset:216
	s_wait_loadcnt 0x0
	v_cmp_eq_u32_e32 vcc_lo, 55, v1
	s_cbranch_vccnz .LBB122_376
; %bb.375:
	s_wait_xcnt 0x0
	v_lshlrev_b32_e32 v1, 4, v1
	s_clause 0x1
	scratch_load_b128 v[72:75], off, s20
	scratch_load_b128 v[76:79], v1, off offset:-16
	s_wait_loadcnt 0x1
	ds_store_2addr_b64 v0, v[72:73], v[74:75] offset1:1
	s_wait_loadcnt 0x0
	s_clause 0x1
	scratch_store_b128 off, v[76:79], s20
	scratch_store_b128 v1, v[72:75], off offset:-16
.LBB122_376:
	s_wait_xcnt 0x0
	v_mov_b32_e32 v1, 0
	global_load_b32 v72, v1, s[8:9] offset:212
	s_wait_loadcnt 0x0
	v_cmp_eq_u32_e32 vcc_lo, 54, v72
	s_cbranch_vccnz .LBB122_378
; %bb.377:
	v_lshlrev_b32_e32 v72, 4, v72
	s_delay_alu instid0(VALU_DEP_1)
	v_mov_b32_e32 v80, v72
	s_clause 0x1
	scratch_load_b128 v[72:75], off, s21
	scratch_load_b128 v[76:79], v80, off offset:-16
	s_wait_loadcnt 0x1
	ds_store_2addr_b64 v0, v[72:73], v[74:75] offset1:1
	s_wait_loadcnt 0x0
	s_clause 0x1
	scratch_store_b128 off, v[76:79], s21
	scratch_store_b128 v80, v[72:75], off offset:-16
.LBB122_378:
	global_load_b32 v1, v1, s[8:9] offset:208
	s_wait_loadcnt 0x0
	v_cmp_eq_u32_e32 vcc_lo, 53, v1
	s_cbranch_vccnz .LBB122_380
; %bb.379:
	s_wait_xcnt 0x0
	v_lshlrev_b32_e32 v1, 4, v1
	s_clause 0x1
	scratch_load_b128 v[72:75], off, s22
	scratch_load_b128 v[76:79], v1, off offset:-16
	s_wait_loadcnt 0x1
	ds_store_2addr_b64 v0, v[72:73], v[74:75] offset1:1
	s_wait_loadcnt 0x0
	s_clause 0x1
	scratch_store_b128 off, v[76:79], s22
	scratch_store_b128 v1, v[72:75], off offset:-16
.LBB122_380:
	;; [unrolled: 37-line block ×27, first 2 shown]
	s_wait_xcnt 0x0
	v_mov_b32_e32 v1, 0
	global_load_b32 v72, v1, s[8:9] offset:4
	s_wait_loadcnt 0x0
	v_cmp_eq_u32_e32 vcc_lo, 2, v72
	s_cbranch_vccnz .LBB122_482
; %bb.481:
	v_lshlrev_b32_e32 v72, 4, v72
	s_delay_alu instid0(VALU_DEP_1)
	v_mov_b32_e32 v80, v72
	s_clause 0x1
	scratch_load_b128 v[72:75], off, s18
	scratch_load_b128 v[76:79], v80, off offset:-16
	s_wait_loadcnt 0x1
	ds_store_2addr_b64 v0, v[72:73], v[74:75] offset1:1
	s_wait_loadcnt 0x0
	s_clause 0x1
	scratch_store_b128 off, v[76:79], s18
	scratch_store_b128 v80, v[72:75], off offset:-16
.LBB122_482:
	global_load_b32 v1, v1, s[8:9]
	s_wait_loadcnt 0x0
	v_cmp_eq_u32_e32 vcc_lo, 1, v1
	s_cbranch_vccnz .LBB122_484
; %bb.483:
	s_wait_xcnt 0x0
	v_lshlrev_b32_e32 v1, 4, v1
	scratch_load_b128 v[72:75], off, off
	scratch_load_b128 v[76:79], v1, off offset:-16
	s_wait_loadcnt 0x1
	ds_store_2addr_b64 v0, v[72:73], v[74:75] offset1:1
	s_wait_loadcnt 0x0
	scratch_store_b128 off, v[76:79], off
	scratch_store_b128 v1, v[72:75], off offset:-16
.LBB122_484:
	scratch_load_b128 v[72:75], off, off
	s_wait_loadcnt 0x0
	flat_store_b128 v[14:15], v[72:75]
	scratch_load_b128 v[72:75], off, s18
	s_wait_loadcnt 0x0
	flat_store_b128 v[16:17], v[72:75]
	scratch_load_b128 v[14:17], off, s16
	;; [unrolled: 3-line block ×58, first 2 shown]
	s_wait_loadcnt 0x0
	flat_store_b128 v[2:3], v[4:7]
	s_sendmsg sendmsg(MSG_DEALLOC_VGPRS)
	s_endpgm
	.section	.rodata,"a",@progbits
	.p2align	6, 0x0
	.amdhsa_kernel _ZN9rocsolver6v33100L18getri_kernel_smallILi59E19rocblas_complex_numIdEPKPS3_EEvT1_iilPiilS8_bb
		.amdhsa_group_segment_fixed_size 2920
		.amdhsa_private_segment_fixed_size 960
		.amdhsa_kernarg_size 60
		.amdhsa_user_sgpr_count 4
		.amdhsa_user_sgpr_dispatch_ptr 1
		.amdhsa_user_sgpr_queue_ptr 0
		.amdhsa_user_sgpr_kernarg_segment_ptr 1
		.amdhsa_user_sgpr_dispatch_id 0
		.amdhsa_user_sgpr_kernarg_preload_length 0
		.amdhsa_user_sgpr_kernarg_preload_offset 0
		.amdhsa_user_sgpr_private_segment_size 0
		.amdhsa_wavefront_size32 1
		.amdhsa_uses_dynamic_stack 0
		.amdhsa_enable_private_segment 1
		.amdhsa_system_sgpr_workgroup_id_x 1
		.amdhsa_system_sgpr_workgroup_id_y 0
		.amdhsa_system_sgpr_workgroup_id_z 0
		.amdhsa_system_sgpr_workgroup_info 0
		.amdhsa_system_vgpr_workitem_id 2
		.amdhsa_next_free_vgpr 200
		.amdhsa_next_free_sgpr 99
		.amdhsa_named_barrier_count 0
		.amdhsa_reserve_vcc 1
		.amdhsa_float_round_mode_32 0
		.amdhsa_float_round_mode_16_64 0
		.amdhsa_float_denorm_mode_32 3
		.amdhsa_float_denorm_mode_16_64 3
		.amdhsa_fp16_overflow 0
		.amdhsa_memory_ordered 1
		.amdhsa_forward_progress 1
		.amdhsa_inst_pref_size 255
		.amdhsa_round_robin_scheduling 0
		.amdhsa_exception_fp_ieee_invalid_op 0
		.amdhsa_exception_fp_denorm_src 0
		.amdhsa_exception_fp_ieee_div_zero 0
		.amdhsa_exception_fp_ieee_overflow 0
		.amdhsa_exception_fp_ieee_underflow 0
		.amdhsa_exception_fp_ieee_inexact 0
		.amdhsa_exception_int_div_zero 0
	.end_amdhsa_kernel
	.section	.text._ZN9rocsolver6v33100L18getri_kernel_smallILi59E19rocblas_complex_numIdEPKPS3_EEvT1_iilPiilS8_bb,"axG",@progbits,_ZN9rocsolver6v33100L18getri_kernel_smallILi59E19rocblas_complex_numIdEPKPS3_EEvT1_iilPiilS8_bb,comdat
.Lfunc_end122:
	.size	_ZN9rocsolver6v33100L18getri_kernel_smallILi59E19rocblas_complex_numIdEPKPS3_EEvT1_iilPiilS8_bb, .Lfunc_end122-_ZN9rocsolver6v33100L18getri_kernel_smallILi59E19rocblas_complex_numIdEPKPS3_EEvT1_iilPiilS8_bb
                                        ; -- End function
	.set _ZN9rocsolver6v33100L18getri_kernel_smallILi59E19rocblas_complex_numIdEPKPS3_EEvT1_iilPiilS8_bb.num_vgpr, 200
	.set _ZN9rocsolver6v33100L18getri_kernel_smallILi59E19rocblas_complex_numIdEPKPS3_EEvT1_iilPiilS8_bb.num_agpr, 0
	.set _ZN9rocsolver6v33100L18getri_kernel_smallILi59E19rocblas_complex_numIdEPKPS3_EEvT1_iilPiilS8_bb.numbered_sgpr, 99
	.set _ZN9rocsolver6v33100L18getri_kernel_smallILi59E19rocblas_complex_numIdEPKPS3_EEvT1_iilPiilS8_bb.num_named_barrier, 0
	.set _ZN9rocsolver6v33100L18getri_kernel_smallILi59E19rocblas_complex_numIdEPKPS3_EEvT1_iilPiilS8_bb.private_seg_size, 960
	.set _ZN9rocsolver6v33100L18getri_kernel_smallILi59E19rocblas_complex_numIdEPKPS3_EEvT1_iilPiilS8_bb.uses_vcc, 1
	.set _ZN9rocsolver6v33100L18getri_kernel_smallILi59E19rocblas_complex_numIdEPKPS3_EEvT1_iilPiilS8_bb.uses_flat_scratch, 1
	.set _ZN9rocsolver6v33100L18getri_kernel_smallILi59E19rocblas_complex_numIdEPKPS3_EEvT1_iilPiilS8_bb.has_dyn_sized_stack, 0
	.set _ZN9rocsolver6v33100L18getri_kernel_smallILi59E19rocblas_complex_numIdEPKPS3_EEvT1_iilPiilS8_bb.has_recursion, 0
	.set _ZN9rocsolver6v33100L18getri_kernel_smallILi59E19rocblas_complex_numIdEPKPS3_EEvT1_iilPiilS8_bb.has_indirect_call, 0
	.section	.AMDGPU.csdata,"",@progbits
; Kernel info:
; codeLenInByte = 125536
; TotalNumSgprs: 101
; NumVgprs: 200
; ScratchSize: 960
; MemoryBound: 0
; FloatMode: 240
; IeeeMode: 1
; LDSByteSize: 2920 bytes/workgroup (compile time only)
; SGPRBlocks: 0
; VGPRBlocks: 12
; NumSGPRsForWavesPerEU: 101
; NumVGPRsForWavesPerEU: 200
; NamedBarCnt: 0
; Occupancy: 4
; WaveLimiterHint : 1
; COMPUTE_PGM_RSRC2:SCRATCH_EN: 1
; COMPUTE_PGM_RSRC2:USER_SGPR: 4
; COMPUTE_PGM_RSRC2:TRAP_HANDLER: 0
; COMPUTE_PGM_RSRC2:TGID_X_EN: 1
; COMPUTE_PGM_RSRC2:TGID_Y_EN: 0
; COMPUTE_PGM_RSRC2:TGID_Z_EN: 0
; COMPUTE_PGM_RSRC2:TIDIG_COMP_CNT: 2
	.section	.text._ZN9rocsolver6v33100L18getri_kernel_smallILi60E19rocblas_complex_numIdEPKPS3_EEvT1_iilPiilS8_bb,"axG",@progbits,_ZN9rocsolver6v33100L18getri_kernel_smallILi60E19rocblas_complex_numIdEPKPS3_EEvT1_iilPiilS8_bb,comdat
	.globl	_ZN9rocsolver6v33100L18getri_kernel_smallILi60E19rocblas_complex_numIdEPKPS3_EEvT1_iilPiilS8_bb ; -- Begin function _ZN9rocsolver6v33100L18getri_kernel_smallILi60E19rocblas_complex_numIdEPKPS3_EEvT1_iilPiilS8_bb
	.p2align	8
	.type	_ZN9rocsolver6v33100L18getri_kernel_smallILi60E19rocblas_complex_numIdEPKPS3_EEvT1_iilPiilS8_bb,@function
_ZN9rocsolver6v33100L18getri_kernel_smallILi60E19rocblas_complex_numIdEPKPS3_EEvT1_iilPiilS8_bb: ; @_ZN9rocsolver6v33100L18getri_kernel_smallILi60E19rocblas_complex_numIdEPKPS3_EEvT1_iilPiilS8_bb
; %bb.0:
	v_and_b32_e32 v1, 0x3ff, v0
	s_mov_b32 s4, exec_lo
	s_delay_alu instid0(VALU_DEP_1)
	v_cmpx_gt_u32_e32 60, v1
	s_cbranch_execz .LBB123_254
; %bb.1:
	s_clause 0x1
	s_load_b32 s16, s[2:3], 0x38
	s_load_b64 s[8:9], s[2:3], 0x0
	s_getreg_b32 s6, hwreg(HW_REG_IB_STS2, 6, 4)
	s_wait_kmcnt 0x0
	s_bitcmp1_b32 s16, 8
	s_cselect_b32 s72, -1, 0
	s_bfe_u32 s4, ttmp6, 0x4000c
	s_and_b32 s5, ttmp6, 15
	s_add_co_i32 s4, s4, 1
	s_delay_alu instid0(SALU_CYCLE_1) | instskip(NEXT) | instid1(SALU_CYCLE_1)
	s_mul_i32 s4, ttmp9, s4
	s_add_co_i32 s5, s5, s4
	s_cmp_eq_u32 s6, 0
	s_cselect_b32 s10, ttmp9, s5
	s_load_b128 s[4:7], s[2:3], 0x28
	s_ashr_i32 s11, s10, 31
	s_delay_alu instid0(SALU_CYCLE_1) | instskip(NEXT) | instid1(SALU_CYCLE_1)
	s_lshl_b64 s[12:13], s[10:11], 3
	s_add_nc_u64 s[8:9], s[8:9], s[12:13]
	s_load_b64 s[14:15], s[8:9], 0x0
	s_wait_xcnt 0x0
	s_bfe_u32 s8, s16, 0x10008
	s_delay_alu instid0(SALU_CYCLE_1)
	s_cmp_eq_u32 s8, 0
                                        ; implicit-def: $sgpr8_sgpr9
	s_cbranch_scc1 .LBB123_3
; %bb.2:
	s_load_b96 s[16:18], s[2:3], 0x18
	s_wait_kmcnt 0x0
	s_mul_u64 s[4:5], s[4:5], s[10:11]
	s_delay_alu instid0(SALU_CYCLE_1) | instskip(SKIP_4) | instid1(SALU_CYCLE_1)
	s_lshl_b64 s[4:5], s[4:5], 2
	s_ashr_i32 s9, s18, 31
	s_mov_b32 s8, s18
	s_add_nc_u64 s[4:5], s[16:17], s[4:5]
	s_lshl_b64 s[8:9], s[8:9], 2
	s_add_nc_u64 s[8:9], s[4:5], s[8:9]
.LBB123_3:
	s_clause 0x1
	s_load_b64 s[12:13], s[2:3], 0x8
	s_load_b32 s73, s[2:3], 0x38
	v_dual_mov_b32 v135, 0 :: v_dual_lshlrev_b32 v134, 4, v1
	s_movk_i32 s74, 0x220
	s_movk_i32 s75, 0x230
	;; [unrolled: 1-line block ×16, first 2 shown]
	s_wait_kmcnt 0x0
	s_ashr_i32 s3, s12, 31
	s_mov_b32 s2, s12
	v_add3_u32 v18, s13, s13, v1
	s_lshl_b64 s[2:3], s[2:3], 4
	s_movk_i32 s90, 0x320
	s_add_nc_u64 s[4:5], s[14:15], s[2:3]
	s_ashr_i32 s3, s13, 31
	flat_load_b128 v[2:5], v1, s[4:5] scale_offset
	v_add_nc_u64_e32 v[14:15], s[4:5], v[134:135]
	s_mov_b32 s2, s13
	v_add_nc_u32_e32 v20, s13, v18
	s_movk_i32 s91, 0x330
	s_movk_i32 s92, 0x340
	;; [unrolled: 1-line block ×4, first 2 shown]
	v_lshl_add_u64 v[16:17], s[2:3], 4, v[14:15]
	v_add_nc_u32_e32 v22, s13, v20
	s_movk_i32 s95, 0x370
	s_movk_i32 s96, 0x380
	;; [unrolled: 1-line block ×4, first 2 shown]
	v_add_nc_u32_e32 v24, s13, v22
	s_movk_i32 s99, 0x3b0
	s_mov_b32 s18, 16
	s_mov_b32 s16, 32
	;; [unrolled: 1-line block ×3, first 2 shown]
	v_add_nc_u32_e32 v26, s13, v24
	s_mov_b32 s12, 64
	s_movk_i32 s71, 0x50
	s_movk_i32 s70, 0x60
	s_movk_i32 s69, 0x70
	v_add_nc_u32_e32 v28, s13, v26
	s_movk_i32 s68, 0x80
	s_movk_i32 s67, 0x90
	s_movk_i32 s66, 0xa0
	s_movk_i32 s65, 0xb0
	v_add_nc_u32_e32 v30, s13, v28
	s_movk_i32 s64, 0xc0
	s_movk_i32 s63, 0xd0
	s_movk_i32 s62, 0xe0
	s_movk_i32 s61, 0xf0
	v_add_nc_u32_e32 v32, s13, v30
	s_movk_i32 s60, 0x100
	s_movk_i32 s59, 0x110
	s_movk_i32 s58, 0x120
	s_movk_i32 s57, 0x130
	v_add_nc_u32_e32 v34, s13, v32
	s_movk_i32 s56, 0x140
	s_movk_i32 s55, 0x150
	s_movk_i32 s54, 0x160
	s_movk_i32 s53, 0x170
	v_add_nc_u32_e32 v36, s13, v34
	s_movk_i32 s52, 0x180
	s_movk_i32 s51, 0x190
	s_movk_i32 s50, 0x1a0
	s_movk_i32 s49, 0x1b0
	v_add_nc_u32_e32 v38, s13, v36
	s_movk_i32 s48, 0x1c0
	s_movk_i32 s47, 0x1d0
	s_movk_i32 s46, 0x1e0
	s_movk_i32 s45, 0x1f0
	v_add_nc_u32_e32 v40, s13, v38
	s_movk_i32 s44, 0x200
	s_movk_i32 s43, 0x210
	s_mov_b32 s42, s74
	s_mov_b32 s41, s75
	v_add_nc_u32_e32 v42, s13, v40
	s_mov_b32 s40, s76
	s_mov_b32 s39, s77
	s_mov_b32 s38, s78
	s_mov_b32 s37, s79
	v_add_nc_u32_e32 v44, s13, v42
	s_mov_b32 s36, s80
	s_mov_b32 s35, s81
	;; [unrolled: 5-line block ×6, first 2 shown]
	s_mov_b32 s15, s98
	s_bitcmp0_b32 s73, 0
	v_add_nc_u32_e32 v54, s13, v52
	s_mov_b32 s3, -1
	s_delay_alu instid0(VALU_DEP_1) | instskip(NEXT) | instid1(VALU_DEP_1)
	v_add_nc_u32_e32 v56, s13, v54
	v_add_nc_u32_e32 v58, s13, v56
	s_delay_alu instid0(VALU_DEP_1) | instskip(NEXT) | instid1(VALU_DEP_1)
	v_add_nc_u32_e32 v60, s13, v58
	v_add_nc_u32_e32 v62, s13, v60
	;; [unrolled: 3-line block ×19, first 2 shown]
	s_delay_alu instid0(VALU_DEP_1)
	v_add_nc_u32_e32 v132, s13, v130
	s_mov_b32 s13, s99
	s_wait_loadcnt_dscnt 0x0
	scratch_store_b128 off, v[2:5], off
	flat_load_b128 v[2:5], v[16:17]
	s_wait_loadcnt_dscnt 0x0
	scratch_store_b128 off, v[2:5], off offset:16
	flat_load_b128 v[2:5], v18, s[4:5] scale_offset
	s_wait_loadcnt_dscnt 0x0
	scratch_store_b128 off, v[2:5], off offset:32
	flat_load_b128 v[2:5], v20, s[4:5] scale_offset
	;; [unrolled: 3-line block ×58, first 2 shown]
	s_wait_loadcnt_dscnt 0x0
	scratch_store_b128 off, v[2:5], off offset:944
	s_cbranch_scc1 .LBB123_252
; %bb.4:
	v_cmp_eq_u32_e64 s2, 0, v1
	s_wait_xcnt 0x0
	s_and_saveexec_b32 s3, s2
; %bb.5:
	v_mov_b32_e32 v2, 0
	ds_store_b32 v2, v2 offset:1920
; %bb.6:
	s_or_b32 exec_lo, exec_lo, s3
	s_wait_storecnt_dscnt 0x0
	s_barrier_signal -1
	s_barrier_wait -1
	scratch_load_b128 v[2:5], v1, off scale_offset
	s_wait_loadcnt 0x0
	v_cmp_eq_f64_e32 vcc_lo, 0, v[2:3]
	v_cmp_eq_f64_e64 s3, 0, v[4:5]
	s_and_b32 s3, vcc_lo, s3
	s_delay_alu instid0(SALU_CYCLE_1)
	s_and_saveexec_b32 s73, s3
	s_cbranch_execz .LBB123_10
; %bb.7:
	v_mov_b32_e32 v2, 0
	s_mov_b32 s74, 0
	ds_load_b32 v3, v2 offset:1920
	s_wait_dscnt 0x0
	v_readfirstlane_b32 s3, v3
	v_add_nc_u32_e32 v3, 1, v1
	s_cmp_eq_u32 s3, 0
	s_delay_alu instid0(VALU_DEP_1) | instskip(SKIP_1) | instid1(SALU_CYCLE_1)
	v_cmp_gt_i32_e32 vcc_lo, s3, v3
	s_cselect_b32 s75, -1, 0
	s_or_b32 s75, s75, vcc_lo
	s_delay_alu instid0(SALU_CYCLE_1)
	s_and_b32 exec_lo, exec_lo, s75
	s_cbranch_execz .LBB123_10
; %bb.8:
	v_mov_b32_e32 v4, s3
.LBB123_9:                              ; =>This Inner Loop Header: Depth=1
	ds_cmpstore_rtn_b32 v4, v2, v3, v4 offset:1920
	s_wait_dscnt 0x0
	v_cmp_ne_u32_e32 vcc_lo, 0, v4
	v_cmp_le_i32_e64 s3, v4, v3
	s_and_b32 s3, vcc_lo, s3
	s_delay_alu instid0(SALU_CYCLE_1) | instskip(NEXT) | instid1(SALU_CYCLE_1)
	s_and_b32 s3, exec_lo, s3
	s_or_b32 s74, s3, s74
	s_delay_alu instid0(SALU_CYCLE_1)
	s_and_not1_b32 exec_lo, exec_lo, s74
	s_cbranch_execnz .LBB123_9
.LBB123_10:
	s_or_b32 exec_lo, exec_lo, s73
	v_mov_b32_e32 v2, 0
	s_barrier_signal -1
	s_barrier_wait -1
	ds_load_b32 v3, v2 offset:1920
	s_and_saveexec_b32 s3, s2
	s_cbranch_execz .LBB123_12
; %bb.11:
	s_lshl_b64 s[74:75], s[10:11], 2
	s_delay_alu instid0(SALU_CYCLE_1)
	s_add_nc_u64 s[74:75], s[6:7], s[74:75]
	s_wait_dscnt 0x0
	global_store_b32 v2, v3, s[74:75]
.LBB123_12:
	s_wait_xcnt 0x0
	s_or_b32 exec_lo, exec_lo, s3
	s_wait_dscnt 0x0
	v_cmp_ne_u32_e32 vcc_lo, 0, v3
	s_mov_b32 s3, 0
	s_cbranch_vccnz .LBB123_252
; %bb.13:
	v_lshl_add_u32 v19, v1, 4, 0
                                        ; implicit-def: $vgpr6_vgpr7
                                        ; implicit-def: $vgpr10_vgpr11
	scratch_load_b128 v[2:5], v19, off
	s_wait_loadcnt 0x0
	v_cmp_ngt_f64_e64 s3, |v[2:3]|, |v[4:5]|
	s_wait_xcnt 0x0
	s_and_saveexec_b32 s73, s3
	s_delay_alu instid0(SALU_CYCLE_1)
	s_xor_b32 s3, exec_lo, s73
	s_cbranch_execz .LBB123_15
; %bb.14:
	v_div_scale_f64 v[6:7], null, v[4:5], v[4:5], v[2:3]
	v_div_scale_f64 v[12:13], vcc_lo, v[2:3], v[4:5], v[2:3]
	s_delay_alu instid0(VALU_DEP_2) | instskip(SKIP_1) | instid1(TRANS32_DEP_1)
	v_rcp_f64_e32 v[8:9], v[6:7]
	v_nop
	v_fma_f64 v[10:11], -v[6:7], v[8:9], 1.0
	s_delay_alu instid0(VALU_DEP_1) | instskip(NEXT) | instid1(VALU_DEP_1)
	v_fmac_f64_e32 v[8:9], v[8:9], v[10:11]
	v_fma_f64 v[10:11], -v[6:7], v[8:9], 1.0
	s_delay_alu instid0(VALU_DEP_1) | instskip(NEXT) | instid1(VALU_DEP_1)
	v_fmac_f64_e32 v[8:9], v[8:9], v[10:11]
	v_mul_f64_e32 v[10:11], v[12:13], v[8:9]
	s_delay_alu instid0(VALU_DEP_1) | instskip(NEXT) | instid1(VALU_DEP_1)
	v_fma_f64 v[6:7], -v[6:7], v[10:11], v[12:13]
	v_div_fmas_f64 v[6:7], v[6:7], v[8:9], v[10:11]
	s_delay_alu instid0(VALU_DEP_1) | instskip(NEXT) | instid1(VALU_DEP_1)
	v_div_fixup_f64 v[6:7], v[6:7], v[4:5], v[2:3]
	v_fmac_f64_e32 v[4:5], v[2:3], v[6:7]
	s_delay_alu instid0(VALU_DEP_1) | instskip(SKIP_1) | instid1(VALU_DEP_2)
	v_div_scale_f64 v[2:3], null, v[4:5], v[4:5], 1.0
	v_div_scale_f64 v[12:13], vcc_lo, 1.0, v[4:5], 1.0
	v_rcp_f64_e32 v[8:9], v[2:3]
	v_nop
	s_delay_alu instid0(TRANS32_DEP_1) | instskip(NEXT) | instid1(VALU_DEP_1)
	v_fma_f64 v[10:11], -v[2:3], v[8:9], 1.0
	v_fmac_f64_e32 v[8:9], v[8:9], v[10:11]
	s_delay_alu instid0(VALU_DEP_1) | instskip(NEXT) | instid1(VALU_DEP_1)
	v_fma_f64 v[10:11], -v[2:3], v[8:9], 1.0
	v_fmac_f64_e32 v[8:9], v[8:9], v[10:11]
	s_delay_alu instid0(VALU_DEP_1) | instskip(NEXT) | instid1(VALU_DEP_1)
	v_mul_f64_e32 v[10:11], v[12:13], v[8:9]
	v_fma_f64 v[2:3], -v[2:3], v[10:11], v[12:13]
	s_delay_alu instid0(VALU_DEP_1) | instskip(NEXT) | instid1(VALU_DEP_1)
	v_div_fmas_f64 v[2:3], v[2:3], v[8:9], v[10:11]
	v_div_fixup_f64 v[8:9], v[2:3], v[4:5], 1.0
                                        ; implicit-def: $vgpr2_vgpr3
	s_delay_alu instid0(VALU_DEP_1) | instskip(SKIP_1) | instid1(VALU_DEP_2)
	v_mul_f64_e32 v[6:7], v[6:7], v[8:9]
	v_xor_b32_e32 v9, 0x80000000, v9
	v_xor_b32_e32 v11, 0x80000000, v7
	s_delay_alu instid0(VALU_DEP_3)
	v_mov_b32_e32 v10, v6
.LBB123_15:
	s_and_not1_saveexec_b32 s3, s3
	s_cbranch_execz .LBB123_17
; %bb.16:
	v_div_scale_f64 v[6:7], null, v[2:3], v[2:3], v[4:5]
	v_div_scale_f64 v[12:13], vcc_lo, v[4:5], v[2:3], v[4:5]
	s_delay_alu instid0(VALU_DEP_2) | instskip(SKIP_1) | instid1(TRANS32_DEP_1)
	v_rcp_f64_e32 v[8:9], v[6:7]
	v_nop
	v_fma_f64 v[10:11], -v[6:7], v[8:9], 1.0
	s_delay_alu instid0(VALU_DEP_1) | instskip(NEXT) | instid1(VALU_DEP_1)
	v_fmac_f64_e32 v[8:9], v[8:9], v[10:11]
	v_fma_f64 v[10:11], -v[6:7], v[8:9], 1.0
	s_delay_alu instid0(VALU_DEP_1) | instskip(NEXT) | instid1(VALU_DEP_1)
	v_fmac_f64_e32 v[8:9], v[8:9], v[10:11]
	v_mul_f64_e32 v[10:11], v[12:13], v[8:9]
	s_delay_alu instid0(VALU_DEP_1) | instskip(NEXT) | instid1(VALU_DEP_1)
	v_fma_f64 v[6:7], -v[6:7], v[10:11], v[12:13]
	v_div_fmas_f64 v[6:7], v[6:7], v[8:9], v[10:11]
	s_delay_alu instid0(VALU_DEP_1) | instskip(NEXT) | instid1(VALU_DEP_1)
	v_div_fixup_f64 v[8:9], v[6:7], v[2:3], v[4:5]
	v_fmac_f64_e32 v[2:3], v[4:5], v[8:9]
	s_delay_alu instid0(VALU_DEP_1) | instskip(NEXT) | instid1(VALU_DEP_1)
	v_div_scale_f64 v[4:5], null, v[2:3], v[2:3], 1.0
	v_rcp_f64_e32 v[6:7], v[4:5]
	v_nop
	s_delay_alu instid0(TRANS32_DEP_1) | instskip(NEXT) | instid1(VALU_DEP_1)
	v_fma_f64 v[10:11], -v[4:5], v[6:7], 1.0
	v_fmac_f64_e32 v[6:7], v[6:7], v[10:11]
	s_delay_alu instid0(VALU_DEP_1) | instskip(NEXT) | instid1(VALU_DEP_1)
	v_fma_f64 v[10:11], -v[4:5], v[6:7], 1.0
	v_fmac_f64_e32 v[6:7], v[6:7], v[10:11]
	v_div_scale_f64 v[10:11], vcc_lo, 1.0, v[2:3], 1.0
	s_delay_alu instid0(VALU_DEP_1) | instskip(NEXT) | instid1(VALU_DEP_1)
	v_mul_f64_e32 v[12:13], v[10:11], v[6:7]
	v_fma_f64 v[4:5], -v[4:5], v[12:13], v[10:11]
	s_delay_alu instid0(VALU_DEP_1) | instskip(NEXT) | instid1(VALU_DEP_1)
	v_div_fmas_f64 v[4:5], v[4:5], v[6:7], v[12:13]
	v_div_fixup_f64 v[6:7], v[4:5], v[2:3], 1.0
	s_delay_alu instid0(VALU_DEP_1)
	v_mul_f64_e64 v[8:9], v[8:9], -v[6:7]
	v_xor_b32_e32 v11, 0x80000000, v7
	v_mov_b32_e32 v10, v6
.LBB123_17:
	s_or_b32 exec_lo, exec_lo, s3
	s_clause 0x1
	scratch_store_b128 v19, v[6:9], off
	scratch_load_b128 v[2:5], off, s18
	v_xor_b32_e32 v13, 0x80000000, v9
	v_mov_b32_e32 v12, v8
	s_wait_xcnt 0x1
	v_add_nc_u32_e32 v6, 0x3c0, v134
	ds_store_b128 v134, v[10:13]
	s_wait_loadcnt 0x0
	ds_store_b128 v134, v[2:5] offset:960
	s_wait_storecnt_dscnt 0x0
	s_barrier_signal -1
	s_barrier_wait -1
	s_wait_xcnt 0x0
	s_and_saveexec_b32 s3, s2
	s_cbranch_execz .LBB123_19
; %bb.18:
	scratch_load_b128 v[2:5], v19, off
	ds_load_b128 v[8:11], v6
	v_mov_b32_e32 v7, 0
	ds_load_b128 v[136:139], v7 offset:16
	s_wait_loadcnt_dscnt 0x1
	v_mul_f64_e32 v[12:13], v[8:9], v[4:5]
	v_mul_f64_e32 v[4:5], v[10:11], v[4:5]
	s_delay_alu instid0(VALU_DEP_2) | instskip(NEXT) | instid1(VALU_DEP_2)
	v_fmac_f64_e32 v[12:13], v[10:11], v[2:3]
	v_fma_f64 v[2:3], v[8:9], v[2:3], -v[4:5]
	s_delay_alu instid0(VALU_DEP_2) | instskip(NEXT) | instid1(VALU_DEP_2)
	v_add_f64_e32 v[8:9], 0, v[12:13]
	v_add_f64_e32 v[2:3], 0, v[2:3]
	s_wait_dscnt 0x0
	s_delay_alu instid0(VALU_DEP_2) | instskip(NEXT) | instid1(VALU_DEP_2)
	v_mul_f64_e32 v[10:11], v[8:9], v[138:139]
	v_mul_f64_e32 v[4:5], v[2:3], v[138:139]
	s_delay_alu instid0(VALU_DEP_2) | instskip(NEXT) | instid1(VALU_DEP_2)
	v_fma_f64 v[2:3], v[2:3], v[136:137], -v[10:11]
	v_fmac_f64_e32 v[4:5], v[8:9], v[136:137]
	scratch_store_b128 off, v[2:5], off offset:16
.LBB123_19:
	s_wait_xcnt 0x0
	s_or_b32 exec_lo, exec_lo, s3
	s_wait_storecnt 0x0
	s_barrier_signal -1
	s_barrier_wait -1
	scratch_load_b128 v[2:5], off, s16
	s_mov_b32 s3, exec_lo
	s_wait_loadcnt 0x0
	ds_store_b128 v6, v[2:5]
	s_wait_dscnt 0x0
	s_barrier_signal -1
	s_barrier_wait -1
	v_cmpx_gt_u32_e32 2, v1
	s_cbranch_execz .LBB123_23
; %bb.20:
	scratch_load_b128 v[2:5], v19, off
	ds_load_b128 v[8:11], v6
	s_wait_loadcnt_dscnt 0x0
	v_mul_f64_e32 v[12:13], v[10:11], v[4:5]
	v_mul_f64_e32 v[136:137], v[8:9], v[4:5]
	s_delay_alu instid0(VALU_DEP_2) | instskip(NEXT) | instid1(VALU_DEP_2)
	v_fma_f64 v[4:5], v[8:9], v[2:3], -v[12:13]
	v_fmac_f64_e32 v[136:137], v[10:11], v[2:3]
	s_delay_alu instid0(VALU_DEP_2) | instskip(NEXT) | instid1(VALU_DEP_2)
	v_add_f64_e32 v[4:5], 0, v[4:5]
	v_add_f64_e32 v[2:3], 0, v[136:137]
	s_and_saveexec_b32 s73, s2
	s_cbranch_execz .LBB123_22
; %bb.21:
	scratch_load_b128 v[8:11], off, off offset:16
	v_mov_b32_e32 v7, 0
	ds_load_b128 v[136:139], v7 offset:976
	s_wait_loadcnt_dscnt 0x0
	v_mul_f64_e32 v[12:13], v[136:137], v[10:11]
	v_mul_f64_e32 v[10:11], v[138:139], v[10:11]
	s_delay_alu instid0(VALU_DEP_2) | instskip(NEXT) | instid1(VALU_DEP_2)
	v_fmac_f64_e32 v[12:13], v[138:139], v[8:9]
	v_fma_f64 v[8:9], v[136:137], v[8:9], -v[10:11]
	s_delay_alu instid0(VALU_DEP_2) | instskip(NEXT) | instid1(VALU_DEP_2)
	v_add_f64_e32 v[2:3], v[2:3], v[12:13]
	v_add_f64_e32 v[4:5], v[4:5], v[8:9]
.LBB123_22:
	s_or_b32 exec_lo, exec_lo, s73
	v_mov_b32_e32 v7, 0
	ds_load_b128 v[8:11], v7 offset:32
	s_wait_dscnt 0x0
	v_mul_f64_e32 v[136:137], v[2:3], v[10:11]
	v_mul_f64_e32 v[12:13], v[4:5], v[10:11]
	s_delay_alu instid0(VALU_DEP_2) | instskip(NEXT) | instid1(VALU_DEP_2)
	v_fma_f64 v[10:11], v[4:5], v[8:9], -v[136:137]
	v_fmac_f64_e32 v[12:13], v[2:3], v[8:9]
	scratch_store_b128 off, v[10:13], off offset:32
.LBB123_23:
	s_wait_xcnt 0x0
	s_or_b32 exec_lo, exec_lo, s3
	s_wait_storecnt 0x0
	s_barrier_signal -1
	s_barrier_wait -1
	scratch_load_b128 v[2:5], off, s14
	v_add_nc_u32_e32 v7, -1, v1
	s_mov_b32 s2, exec_lo
	s_wait_loadcnt 0x0
	ds_store_b128 v6, v[2:5]
	s_wait_dscnt 0x0
	s_barrier_signal -1
	s_barrier_wait -1
	v_cmpx_gt_u32_e32 3, v1
	s_cbranch_execz .LBB123_27
; %bb.24:
	v_dual_mov_b32 v10, v134 :: v_dual_add_nc_u32 v8, -1, v1
	v_mov_b64_e32 v[2:3], 0
	v_mov_b64_e32 v[4:5], 0
	v_add_nc_u32_e32 v9, 0x3c0, v134
	s_delay_alu instid0(VALU_DEP_4)
	v_or_b32_e32 v10, 8, v10
	s_mov_b32 s3, 0
.LBB123_25:                             ; =>This Inner Loop Header: Depth=1
	scratch_load_b128 v[136:139], v10, off offset:-8
	ds_load_b128 v[140:143], v9
	v_dual_add_nc_u32 v8, 1, v8 :: v_dual_add_nc_u32 v9, 16, v9
	s_wait_xcnt 0x0
	v_add_nc_u32_e32 v10, 16, v10
	s_delay_alu instid0(VALU_DEP_2) | instskip(SKIP_4) | instid1(VALU_DEP_2)
	v_cmp_lt_u32_e32 vcc_lo, 1, v8
	s_or_b32 s3, vcc_lo, s3
	s_wait_loadcnt_dscnt 0x0
	v_mul_f64_e32 v[12:13], v[142:143], v[138:139]
	v_mul_f64_e32 v[138:139], v[140:141], v[138:139]
	v_fma_f64 v[12:13], v[140:141], v[136:137], -v[12:13]
	s_delay_alu instid0(VALU_DEP_2) | instskip(NEXT) | instid1(VALU_DEP_2)
	v_fmac_f64_e32 v[138:139], v[142:143], v[136:137]
	v_add_f64_e32 v[4:5], v[4:5], v[12:13]
	s_delay_alu instid0(VALU_DEP_2)
	v_add_f64_e32 v[2:3], v[2:3], v[138:139]
	s_and_not1_b32 exec_lo, exec_lo, s3
	s_cbranch_execnz .LBB123_25
; %bb.26:
	s_or_b32 exec_lo, exec_lo, s3
	v_mov_b32_e32 v8, 0
	ds_load_b128 v[8:11], v8 offset:48
	s_wait_dscnt 0x0
	v_mul_f64_e32 v[136:137], v[2:3], v[10:11]
	v_mul_f64_e32 v[12:13], v[4:5], v[10:11]
	s_delay_alu instid0(VALU_DEP_2) | instskip(NEXT) | instid1(VALU_DEP_2)
	v_fma_f64 v[10:11], v[4:5], v[8:9], -v[136:137]
	v_fmac_f64_e32 v[12:13], v[2:3], v[8:9]
	scratch_store_b128 off, v[10:13], off offset:48
.LBB123_27:
	s_wait_xcnt 0x0
	s_or_b32 exec_lo, exec_lo, s2
	s_wait_storecnt 0x0
	s_barrier_signal -1
	s_barrier_wait -1
	scratch_load_b128 v[2:5], off, s12
	s_mov_b32 s2, exec_lo
	s_wait_loadcnt 0x0
	ds_store_b128 v6, v[2:5]
	s_wait_dscnt 0x0
	s_barrier_signal -1
	s_barrier_wait -1
	v_cmpx_gt_u32_e32 4, v1
	s_cbranch_execz .LBB123_31
; %bb.28:
	v_dual_mov_b32 v10, v134 :: v_dual_add_nc_u32 v8, -1, v1
	v_mov_b64_e32 v[2:3], 0
	v_mov_b64_e32 v[4:5], 0
	v_add_nc_u32_e32 v9, 0x3c0, v134
	s_delay_alu instid0(VALU_DEP_4)
	v_or_b32_e32 v10, 8, v10
	s_mov_b32 s3, 0
.LBB123_29:                             ; =>This Inner Loop Header: Depth=1
	scratch_load_b128 v[136:139], v10, off offset:-8
	ds_load_b128 v[140:143], v9
	v_dual_add_nc_u32 v8, 1, v8 :: v_dual_add_nc_u32 v9, 16, v9
	s_wait_xcnt 0x0
	v_add_nc_u32_e32 v10, 16, v10
	s_delay_alu instid0(VALU_DEP_2) | instskip(SKIP_4) | instid1(VALU_DEP_2)
	v_cmp_lt_u32_e32 vcc_lo, 2, v8
	s_or_b32 s3, vcc_lo, s3
	s_wait_loadcnt_dscnt 0x0
	v_mul_f64_e32 v[12:13], v[142:143], v[138:139]
	v_mul_f64_e32 v[138:139], v[140:141], v[138:139]
	v_fma_f64 v[12:13], v[140:141], v[136:137], -v[12:13]
	s_delay_alu instid0(VALU_DEP_2) | instskip(NEXT) | instid1(VALU_DEP_2)
	v_fmac_f64_e32 v[138:139], v[142:143], v[136:137]
	v_add_f64_e32 v[4:5], v[4:5], v[12:13]
	s_delay_alu instid0(VALU_DEP_2)
	v_add_f64_e32 v[2:3], v[2:3], v[138:139]
	s_and_not1_b32 exec_lo, exec_lo, s3
	s_cbranch_execnz .LBB123_29
; %bb.30:
	s_or_b32 exec_lo, exec_lo, s3
	v_mov_b32_e32 v8, 0
	ds_load_b128 v[8:11], v8 offset:64
	s_wait_dscnt 0x0
	v_mul_f64_e32 v[136:137], v[2:3], v[10:11]
	v_mul_f64_e32 v[12:13], v[4:5], v[10:11]
	s_delay_alu instid0(VALU_DEP_2) | instskip(NEXT) | instid1(VALU_DEP_2)
	v_fma_f64 v[10:11], v[4:5], v[8:9], -v[136:137]
	v_fmac_f64_e32 v[12:13], v[2:3], v[8:9]
	scratch_store_b128 off, v[10:13], off offset:64
.LBB123_31:
	s_wait_xcnt 0x0
	s_or_b32 exec_lo, exec_lo, s2
	s_wait_storecnt 0x0
	s_barrier_signal -1
	s_barrier_wait -1
	scratch_load_b128 v[2:5], off, s71
	;; [unrolled: 54-line block ×19, first 2 shown]
	s_mov_b32 s2, exec_lo
	s_wait_loadcnt 0x0
	ds_store_b128 v6, v[2:5]
	s_wait_dscnt 0x0
	s_barrier_signal -1
	s_barrier_wait -1
	v_cmpx_gt_u32_e32 22, v1
	s_cbranch_execz .LBB123_103
; %bb.100:
	v_dual_mov_b32 v10, v134 :: v_dual_add_nc_u32 v8, -1, v1
	v_mov_b64_e32 v[2:3], 0
	v_mov_b64_e32 v[4:5], 0
	v_add_nc_u32_e32 v9, 0x3c0, v134
	s_delay_alu instid0(VALU_DEP_4)
	v_or_b32_e32 v10, 8, v10
	s_mov_b32 s3, 0
.LBB123_101:                            ; =>This Inner Loop Header: Depth=1
	scratch_load_b128 v[136:139], v10, off offset:-8
	ds_load_b128 v[140:143], v9
	v_dual_add_nc_u32 v8, 1, v8 :: v_dual_add_nc_u32 v9, 16, v9
	s_wait_xcnt 0x0
	v_add_nc_u32_e32 v10, 16, v10
	s_delay_alu instid0(VALU_DEP_2) | instskip(SKIP_4) | instid1(VALU_DEP_2)
	v_cmp_lt_u32_e32 vcc_lo, 20, v8
	s_or_b32 s3, vcc_lo, s3
	s_wait_loadcnt_dscnt 0x0
	v_mul_f64_e32 v[12:13], v[142:143], v[138:139]
	v_mul_f64_e32 v[138:139], v[140:141], v[138:139]
	v_fma_f64 v[12:13], v[140:141], v[136:137], -v[12:13]
	s_delay_alu instid0(VALU_DEP_2) | instskip(NEXT) | instid1(VALU_DEP_2)
	v_fmac_f64_e32 v[138:139], v[142:143], v[136:137]
	v_add_f64_e32 v[4:5], v[4:5], v[12:13]
	s_delay_alu instid0(VALU_DEP_2)
	v_add_f64_e32 v[2:3], v[2:3], v[138:139]
	s_and_not1_b32 exec_lo, exec_lo, s3
	s_cbranch_execnz .LBB123_101
; %bb.102:
	s_or_b32 exec_lo, exec_lo, s3
	v_mov_b32_e32 v8, 0
	ds_load_b128 v[8:11], v8 offset:352
	s_wait_dscnt 0x0
	v_mul_f64_e32 v[136:137], v[2:3], v[10:11]
	v_mul_f64_e32 v[12:13], v[4:5], v[10:11]
	s_delay_alu instid0(VALU_DEP_2) | instskip(NEXT) | instid1(VALU_DEP_2)
	v_fma_f64 v[10:11], v[4:5], v[8:9], -v[136:137]
	v_fmac_f64_e32 v[12:13], v[2:3], v[8:9]
	scratch_store_b128 off, v[10:13], off offset:352
.LBB123_103:
	s_wait_xcnt 0x0
	s_or_b32 exec_lo, exec_lo, s2
	s_wait_storecnt 0x0
	s_barrier_signal -1
	s_barrier_wait -1
	scratch_load_b128 v[2:5], off, s53
	s_mov_b32 s2, exec_lo
	s_wait_loadcnt 0x0
	ds_store_b128 v6, v[2:5]
	s_wait_dscnt 0x0
	s_barrier_signal -1
	s_barrier_wait -1
	v_cmpx_gt_u32_e32 23, v1
	s_cbranch_execz .LBB123_107
; %bb.104:
	v_dual_mov_b32 v10, v134 :: v_dual_add_nc_u32 v8, -1, v1
	v_mov_b64_e32 v[2:3], 0
	v_mov_b64_e32 v[4:5], 0
	v_add_nc_u32_e32 v9, 0x3c0, v134
	s_delay_alu instid0(VALU_DEP_4)
	v_or_b32_e32 v10, 8, v10
	s_mov_b32 s3, 0
.LBB123_105:                            ; =>This Inner Loop Header: Depth=1
	scratch_load_b128 v[136:139], v10, off offset:-8
	ds_load_b128 v[140:143], v9
	v_dual_add_nc_u32 v8, 1, v8 :: v_dual_add_nc_u32 v9, 16, v9
	s_wait_xcnt 0x0
	v_add_nc_u32_e32 v10, 16, v10
	s_delay_alu instid0(VALU_DEP_2) | instskip(SKIP_4) | instid1(VALU_DEP_2)
	v_cmp_lt_u32_e32 vcc_lo, 21, v8
	s_or_b32 s3, vcc_lo, s3
	s_wait_loadcnt_dscnt 0x0
	v_mul_f64_e32 v[12:13], v[142:143], v[138:139]
	v_mul_f64_e32 v[138:139], v[140:141], v[138:139]
	v_fma_f64 v[12:13], v[140:141], v[136:137], -v[12:13]
	s_delay_alu instid0(VALU_DEP_2) | instskip(NEXT) | instid1(VALU_DEP_2)
	v_fmac_f64_e32 v[138:139], v[142:143], v[136:137]
	v_add_f64_e32 v[4:5], v[4:5], v[12:13]
	s_delay_alu instid0(VALU_DEP_2)
	v_add_f64_e32 v[2:3], v[2:3], v[138:139]
	s_and_not1_b32 exec_lo, exec_lo, s3
	s_cbranch_execnz .LBB123_105
; %bb.106:
	s_or_b32 exec_lo, exec_lo, s3
	v_mov_b32_e32 v8, 0
	ds_load_b128 v[8:11], v8 offset:368
	s_wait_dscnt 0x0
	v_mul_f64_e32 v[136:137], v[2:3], v[10:11]
	v_mul_f64_e32 v[12:13], v[4:5], v[10:11]
	s_delay_alu instid0(VALU_DEP_2) | instskip(NEXT) | instid1(VALU_DEP_2)
	v_fma_f64 v[10:11], v[4:5], v[8:9], -v[136:137]
	v_fmac_f64_e32 v[12:13], v[2:3], v[8:9]
	scratch_store_b128 off, v[10:13], off offset:368
.LBB123_107:
	s_wait_xcnt 0x0
	s_or_b32 exec_lo, exec_lo, s2
	s_wait_storecnt 0x0
	s_barrier_signal -1
	s_barrier_wait -1
	scratch_load_b128 v[2:5], off, s52
	;; [unrolled: 54-line block ×37, first 2 shown]
	s_mov_b32 s2, exec_lo
	s_wait_loadcnt 0x0
	ds_store_b128 v6, v[2:5]
	s_wait_dscnt 0x0
	s_barrier_signal -1
	s_barrier_wait -1
	v_cmpx_ne_u32_e32 59, v1
	s_cbranch_execz .LBB123_251
; %bb.248:
	v_mov_b32_e32 v8, v134
	v_mov_b64_e32 v[2:3], 0
	v_mov_b64_e32 v[4:5], 0
	s_mov_b32 s3, 0
	s_delay_alu instid0(VALU_DEP_3)
	v_or_b32_e32 v8, 8, v8
.LBB123_249:                            ; =>This Inner Loop Header: Depth=1
	scratch_load_b128 v[10:13], v8, off offset:-8
	ds_load_b128 v[134:137], v6
	v_dual_add_nc_u32 v7, 1, v7 :: v_dual_add_nc_u32 v6, 16, v6
	s_wait_xcnt 0x0
	v_add_nc_u32_e32 v8, 16, v8
	s_delay_alu instid0(VALU_DEP_2) | instskip(SKIP_4) | instid1(VALU_DEP_2)
	v_cmp_lt_u32_e32 vcc_lo, 57, v7
	s_or_b32 s3, vcc_lo, s3
	s_wait_loadcnt_dscnt 0x0
	v_mul_f64_e32 v[138:139], v[136:137], v[12:13]
	v_mul_f64_e32 v[12:13], v[134:135], v[12:13]
	v_fma_f64 v[134:135], v[134:135], v[10:11], -v[138:139]
	s_delay_alu instid0(VALU_DEP_2) | instskip(NEXT) | instid1(VALU_DEP_2)
	v_fmac_f64_e32 v[12:13], v[136:137], v[10:11]
	v_add_f64_e32 v[4:5], v[4:5], v[134:135]
	s_delay_alu instid0(VALU_DEP_2)
	v_add_f64_e32 v[2:3], v[2:3], v[12:13]
	s_and_not1_b32 exec_lo, exec_lo, s3
	s_cbranch_execnz .LBB123_249
; %bb.250:
	s_or_b32 exec_lo, exec_lo, s3
	v_mov_b32_e32 v6, 0
	ds_load_b128 v[6:9], v6 offset:944
	s_wait_dscnt 0x0
	v_mul_f64_e32 v[12:13], v[2:3], v[8:9]
	v_mul_f64_e32 v[10:11], v[4:5], v[8:9]
	s_delay_alu instid0(VALU_DEP_2) | instskip(NEXT) | instid1(VALU_DEP_2)
	v_fma_f64 v[8:9], v[4:5], v[6:7], -v[12:13]
	v_fmac_f64_e32 v[10:11], v[2:3], v[6:7]
	scratch_store_b128 off, v[8:11], off offset:944
.LBB123_251:
	s_wait_xcnt 0x0
	s_or_b32 exec_lo, exec_lo, s2
	s_mov_b32 s3, -1
	s_wait_storecnt 0x0
	s_barrier_signal -1
	s_barrier_wait -1
.LBB123_252:
	s_and_b32 vcc_lo, exec_lo, s3
	s_cbranch_vccz .LBB123_254
; %bb.253:
	s_wait_xcnt 0x0
	v_mov_b32_e32 v2, 0
	s_lshl_b64 s[2:3], s[10:11], 2
	s_delay_alu instid0(SALU_CYCLE_1)
	s_add_nc_u64 s[2:3], s[6:7], s[2:3]
	global_load_b32 v2, v2, s[2:3]
	s_wait_loadcnt 0x0
	v_cmp_ne_u32_e32 vcc_lo, 0, v2
	s_cbranch_vccz .LBB123_255
.LBB123_254:
	s_sendmsg sendmsg(MSG_DEALLOC_VGPRS)
	s_endpgm
.LBB123_255:
	v_lshl_add_u32 v8, v1, 4, 0x3c0
	s_wait_xcnt 0x0
	s_mov_b32 s2, exec_lo
	v_cmpx_eq_u32_e32 59, v1
	s_cbranch_execz .LBB123_257
; %bb.256:
	scratch_load_b128 v[2:5], off, s15
	v_mov_b32_e32 v10, 0
	s_delay_alu instid0(VALU_DEP_1)
	v_dual_mov_b32 v11, v10 :: v_dual_mov_b32 v12, v10
	v_mov_b32_e32 v13, v10
	scratch_store_b128 off, v[10:13], off offset:928
	s_wait_loadcnt 0x0
	ds_store_b128 v8, v[2:5]
.LBB123_257:
	s_wait_xcnt 0x0
	s_or_b32 exec_lo, exec_lo, s2
	s_wait_storecnt_dscnt 0x0
	s_barrier_signal -1
	s_barrier_wait -1
	s_clause 0x1
	scratch_load_b128 v[4:7], off, off offset:944
	scratch_load_b128 v[10:13], off, off offset:928
	v_mov_b32_e32 v2, 0
	s_mov_b32 s2, exec_lo
	ds_load_b128 v[134:137], v2 offset:1904
	s_wait_loadcnt_dscnt 0x100
	v_mul_f64_e32 v[138:139], v[136:137], v[6:7]
	v_mul_f64_e32 v[6:7], v[134:135], v[6:7]
	s_delay_alu instid0(VALU_DEP_2) | instskip(NEXT) | instid1(VALU_DEP_2)
	v_fma_f64 v[134:135], v[134:135], v[4:5], -v[138:139]
	v_fmac_f64_e32 v[6:7], v[136:137], v[4:5]
	s_delay_alu instid0(VALU_DEP_2) | instskip(NEXT) | instid1(VALU_DEP_2)
	v_add_f64_e32 v[4:5], 0, v[134:135]
	v_add_f64_e32 v[6:7], 0, v[6:7]
	s_wait_loadcnt 0x0
	s_delay_alu instid0(VALU_DEP_2) | instskip(NEXT) | instid1(VALU_DEP_2)
	v_add_f64_e64 v[4:5], v[10:11], -v[4:5]
	v_add_f64_e64 v[6:7], v[12:13], -v[6:7]
	scratch_store_b128 off, v[4:7], off offset:928
	s_wait_xcnt 0x0
	v_cmpx_lt_u32_e32 57, v1
	s_cbranch_execz .LBB123_259
; %bb.258:
	scratch_load_b128 v[10:13], off, s17
	v_dual_mov_b32 v3, v2 :: v_dual_mov_b32 v4, v2
	v_mov_b32_e32 v5, v2
	scratch_store_b128 off, v[2:5], off offset:912
	s_wait_loadcnt 0x0
	ds_store_b128 v8, v[10:13]
.LBB123_259:
	s_wait_xcnt 0x0
	s_or_b32 exec_lo, exec_lo, s2
	s_wait_storecnt_dscnt 0x0
	s_barrier_signal -1
	s_barrier_wait -1
	s_clause 0x2
	scratch_load_b128 v[4:7], off, off offset:928
	scratch_load_b128 v[10:13], off, off offset:944
	;; [unrolled: 1-line block ×3, first 2 shown]
	ds_load_b128 v[138:141], v2 offset:1888
	ds_load_b128 v[142:145], v2 offset:1904
	s_mov_b32 s2, exec_lo
	s_wait_loadcnt_dscnt 0x201
	v_mul_f64_e32 v[2:3], v[140:141], v[6:7]
	v_mul_f64_e32 v[6:7], v[138:139], v[6:7]
	s_wait_loadcnt_dscnt 0x100
	v_mul_f64_e32 v[146:147], v[142:143], v[12:13]
	v_mul_f64_e32 v[12:13], v[144:145], v[12:13]
	s_delay_alu instid0(VALU_DEP_4) | instskip(NEXT) | instid1(VALU_DEP_4)
	v_fma_f64 v[2:3], v[138:139], v[4:5], -v[2:3]
	v_fmac_f64_e32 v[6:7], v[140:141], v[4:5]
	s_delay_alu instid0(VALU_DEP_4) | instskip(NEXT) | instid1(VALU_DEP_4)
	v_fmac_f64_e32 v[146:147], v[144:145], v[10:11]
	v_fma_f64 v[4:5], v[142:143], v[10:11], -v[12:13]
	s_delay_alu instid0(VALU_DEP_4) | instskip(NEXT) | instid1(VALU_DEP_4)
	v_add_f64_e32 v[2:3], 0, v[2:3]
	v_add_f64_e32 v[6:7], 0, v[6:7]
	s_delay_alu instid0(VALU_DEP_2) | instskip(NEXT) | instid1(VALU_DEP_2)
	v_add_f64_e32 v[2:3], v[2:3], v[4:5]
	v_add_f64_e32 v[4:5], v[6:7], v[146:147]
	s_wait_loadcnt 0x0
	s_delay_alu instid0(VALU_DEP_2) | instskip(NEXT) | instid1(VALU_DEP_2)
	v_add_f64_e64 v[2:3], v[134:135], -v[2:3]
	v_add_f64_e64 v[4:5], v[136:137], -v[4:5]
	scratch_store_b128 off, v[2:5], off offset:912
	s_wait_xcnt 0x0
	v_cmpx_lt_u32_e32 56, v1
	s_cbranch_execz .LBB123_261
; %bb.260:
	scratch_load_b128 v[2:5], off, s19
	v_mov_b32_e32 v10, 0
	s_delay_alu instid0(VALU_DEP_1)
	v_dual_mov_b32 v11, v10 :: v_dual_mov_b32 v12, v10
	v_mov_b32_e32 v13, v10
	scratch_store_b128 off, v[10:13], off offset:896
	s_wait_loadcnt 0x0
	ds_store_b128 v8, v[2:5]
.LBB123_261:
	s_wait_xcnt 0x0
	s_or_b32 exec_lo, exec_lo, s2
	s_wait_storecnt_dscnt 0x0
	s_barrier_signal -1
	s_barrier_wait -1
	s_clause 0x3
	scratch_load_b128 v[4:7], off, off offset:912
	scratch_load_b128 v[10:13], off, off offset:928
	;; [unrolled: 1-line block ×4, first 2 shown]
	v_mov_b32_e32 v2, 0
	ds_load_b128 v[142:145], v2 offset:1872
	ds_load_b128 v[146:149], v2 offset:1888
	s_mov_b32 s2, exec_lo
	s_wait_loadcnt_dscnt 0x301
	v_mul_f64_e32 v[150:151], v[144:145], v[6:7]
	v_mul_f64_e32 v[152:153], v[142:143], v[6:7]
	s_wait_loadcnt_dscnt 0x200
	v_mul_f64_e32 v[154:155], v[146:147], v[12:13]
	v_mul_f64_e32 v[12:13], v[148:149], v[12:13]
	s_delay_alu instid0(VALU_DEP_4) | instskip(NEXT) | instid1(VALU_DEP_4)
	v_fma_f64 v[142:143], v[142:143], v[4:5], -v[150:151]
	v_fmac_f64_e32 v[152:153], v[144:145], v[4:5]
	ds_load_b128 v[4:7], v2 offset:1904
	v_fmac_f64_e32 v[154:155], v[148:149], v[10:11]
	v_fma_f64 v[10:11], v[146:147], v[10:11], -v[12:13]
	s_wait_loadcnt_dscnt 0x100
	v_mul_f64_e32 v[144:145], v[4:5], v[136:137]
	v_mul_f64_e32 v[136:137], v[6:7], v[136:137]
	v_add_f64_e32 v[12:13], 0, v[142:143]
	v_add_f64_e32 v[142:143], 0, v[152:153]
	s_delay_alu instid0(VALU_DEP_4) | instskip(NEXT) | instid1(VALU_DEP_4)
	v_fmac_f64_e32 v[144:145], v[6:7], v[134:135]
	v_fma_f64 v[4:5], v[4:5], v[134:135], -v[136:137]
	s_delay_alu instid0(VALU_DEP_4) | instskip(NEXT) | instid1(VALU_DEP_4)
	v_add_f64_e32 v[6:7], v[12:13], v[10:11]
	v_add_f64_e32 v[10:11], v[142:143], v[154:155]
	s_delay_alu instid0(VALU_DEP_2) | instskip(NEXT) | instid1(VALU_DEP_2)
	v_add_f64_e32 v[4:5], v[6:7], v[4:5]
	v_add_f64_e32 v[6:7], v[10:11], v[144:145]
	s_wait_loadcnt 0x0
	s_delay_alu instid0(VALU_DEP_2) | instskip(NEXT) | instid1(VALU_DEP_2)
	v_add_f64_e64 v[4:5], v[138:139], -v[4:5]
	v_add_f64_e64 v[6:7], v[140:141], -v[6:7]
	scratch_store_b128 off, v[4:7], off offset:896
	s_wait_xcnt 0x0
	v_cmpx_lt_u32_e32 55, v1
	s_cbranch_execz .LBB123_263
; %bb.262:
	scratch_load_b128 v[10:13], off, s20
	v_dual_mov_b32 v3, v2 :: v_dual_mov_b32 v4, v2
	v_mov_b32_e32 v5, v2
	scratch_store_b128 off, v[2:5], off offset:880
	s_wait_loadcnt 0x0
	ds_store_b128 v8, v[10:13]
.LBB123_263:
	s_wait_xcnt 0x0
	s_or_b32 exec_lo, exec_lo, s2
	s_wait_storecnt_dscnt 0x0
	s_barrier_signal -1
	s_barrier_wait -1
	s_clause 0x4
	scratch_load_b128 v[4:7], off, off offset:896
	scratch_load_b128 v[10:13], off, off offset:912
	;; [unrolled: 1-line block ×5, first 2 shown]
	ds_load_b128 v[146:149], v2 offset:1856
	ds_load_b128 v[150:153], v2 offset:1872
	s_mov_b32 s2, exec_lo
	s_wait_loadcnt_dscnt 0x401
	v_mul_f64_e32 v[154:155], v[148:149], v[6:7]
	v_mul_f64_e32 v[156:157], v[146:147], v[6:7]
	s_wait_loadcnt_dscnt 0x300
	v_mul_f64_e32 v[158:159], v[150:151], v[12:13]
	v_mul_f64_e32 v[12:13], v[152:153], v[12:13]
	s_delay_alu instid0(VALU_DEP_4) | instskip(NEXT) | instid1(VALU_DEP_4)
	v_fma_f64 v[154:155], v[146:147], v[4:5], -v[154:155]
	v_fmac_f64_e32 v[156:157], v[148:149], v[4:5]
	ds_load_b128 v[4:7], v2 offset:1888
	ds_load_b128 v[146:149], v2 offset:1904
	v_fmac_f64_e32 v[158:159], v[152:153], v[10:11]
	v_fma_f64 v[10:11], v[150:151], v[10:11], -v[12:13]
	s_wait_loadcnt_dscnt 0x201
	v_mul_f64_e32 v[2:3], v[4:5], v[136:137]
	v_mul_f64_e32 v[136:137], v[6:7], v[136:137]
	s_wait_loadcnt_dscnt 0x100
	v_mul_f64_e32 v[152:153], v[146:147], v[140:141]
	v_mul_f64_e32 v[140:141], v[148:149], v[140:141]
	v_add_f64_e32 v[12:13], 0, v[154:155]
	v_add_f64_e32 v[150:151], 0, v[156:157]
	v_fmac_f64_e32 v[2:3], v[6:7], v[134:135]
	v_fma_f64 v[4:5], v[4:5], v[134:135], -v[136:137]
	v_fmac_f64_e32 v[152:153], v[148:149], v[138:139]
	v_add_f64_e32 v[6:7], v[12:13], v[10:11]
	v_add_f64_e32 v[10:11], v[150:151], v[158:159]
	v_fma_f64 v[12:13], v[146:147], v[138:139], -v[140:141]
	s_delay_alu instid0(VALU_DEP_3) | instskip(NEXT) | instid1(VALU_DEP_3)
	v_add_f64_e32 v[4:5], v[6:7], v[4:5]
	v_add_f64_e32 v[2:3], v[10:11], v[2:3]
	s_delay_alu instid0(VALU_DEP_2) | instskip(NEXT) | instid1(VALU_DEP_2)
	v_add_f64_e32 v[4:5], v[4:5], v[12:13]
	v_add_f64_e32 v[6:7], v[2:3], v[152:153]
	s_wait_loadcnt 0x0
	s_delay_alu instid0(VALU_DEP_2) | instskip(NEXT) | instid1(VALU_DEP_2)
	v_add_f64_e64 v[2:3], v[142:143], -v[4:5]
	v_add_f64_e64 v[4:5], v[144:145], -v[6:7]
	scratch_store_b128 off, v[2:5], off offset:880
	s_wait_xcnt 0x0
	v_cmpx_lt_u32_e32 54, v1
	s_cbranch_execz .LBB123_265
; %bb.264:
	scratch_load_b128 v[2:5], off, s21
	v_mov_b32_e32 v10, 0
	s_delay_alu instid0(VALU_DEP_1)
	v_dual_mov_b32 v11, v10 :: v_dual_mov_b32 v12, v10
	v_mov_b32_e32 v13, v10
	scratch_store_b128 off, v[10:13], off offset:864
	s_wait_loadcnt 0x0
	ds_store_b128 v8, v[2:5]
.LBB123_265:
	s_wait_xcnt 0x0
	s_or_b32 exec_lo, exec_lo, s2
	s_wait_storecnt_dscnt 0x0
	s_barrier_signal -1
	s_barrier_wait -1
	s_clause 0x5
	scratch_load_b128 v[4:7], off, off offset:880
	scratch_load_b128 v[10:13], off, off offset:896
	;; [unrolled: 1-line block ×6, first 2 shown]
	v_mov_b32_e32 v2, 0
	ds_load_b128 v[150:153], v2 offset:1840
	ds_load_b128 v[154:157], v2 offset:1856
	s_mov_b32 s2, exec_lo
	s_wait_loadcnt_dscnt 0x501
	v_mul_f64_e32 v[158:159], v[152:153], v[6:7]
	v_mul_f64_e32 v[160:161], v[150:151], v[6:7]
	s_wait_loadcnt_dscnt 0x400
	v_mul_f64_e32 v[162:163], v[154:155], v[12:13]
	v_mul_f64_e32 v[12:13], v[156:157], v[12:13]
	s_delay_alu instid0(VALU_DEP_4) | instskip(NEXT) | instid1(VALU_DEP_4)
	v_fma_f64 v[158:159], v[150:151], v[4:5], -v[158:159]
	v_fmac_f64_e32 v[160:161], v[152:153], v[4:5]
	ds_load_b128 v[4:7], v2 offset:1872
	ds_load_b128 v[150:153], v2 offset:1888
	v_fmac_f64_e32 v[162:163], v[156:157], v[10:11]
	v_fma_f64 v[10:11], v[154:155], v[10:11], -v[12:13]
	s_wait_loadcnt_dscnt 0x301
	v_mul_f64_e32 v[164:165], v[4:5], v[136:137]
	v_mul_f64_e32 v[136:137], v[6:7], v[136:137]
	s_wait_loadcnt_dscnt 0x200
	v_mul_f64_e32 v[156:157], v[150:151], v[140:141]
	v_mul_f64_e32 v[140:141], v[152:153], v[140:141]
	v_add_f64_e32 v[12:13], 0, v[158:159]
	v_add_f64_e32 v[154:155], 0, v[160:161]
	v_fmac_f64_e32 v[164:165], v[6:7], v[134:135]
	v_fma_f64 v[134:135], v[4:5], v[134:135], -v[136:137]
	ds_load_b128 v[4:7], v2 offset:1904
	v_fmac_f64_e32 v[156:157], v[152:153], v[138:139]
	v_fma_f64 v[138:139], v[150:151], v[138:139], -v[140:141]
	v_add_f64_e32 v[10:11], v[12:13], v[10:11]
	v_add_f64_e32 v[12:13], v[154:155], v[162:163]
	s_wait_loadcnt_dscnt 0x100
	v_mul_f64_e32 v[136:137], v[4:5], v[144:145]
	v_mul_f64_e32 v[144:145], v[6:7], v[144:145]
	s_delay_alu instid0(VALU_DEP_4) | instskip(NEXT) | instid1(VALU_DEP_4)
	v_add_f64_e32 v[10:11], v[10:11], v[134:135]
	v_add_f64_e32 v[12:13], v[12:13], v[164:165]
	s_delay_alu instid0(VALU_DEP_4) | instskip(NEXT) | instid1(VALU_DEP_4)
	v_fmac_f64_e32 v[136:137], v[6:7], v[142:143]
	v_fma_f64 v[4:5], v[4:5], v[142:143], -v[144:145]
	s_delay_alu instid0(VALU_DEP_4) | instskip(NEXT) | instid1(VALU_DEP_4)
	v_add_f64_e32 v[6:7], v[10:11], v[138:139]
	v_add_f64_e32 v[10:11], v[12:13], v[156:157]
	s_delay_alu instid0(VALU_DEP_2) | instskip(NEXT) | instid1(VALU_DEP_2)
	v_add_f64_e32 v[4:5], v[6:7], v[4:5]
	v_add_f64_e32 v[6:7], v[10:11], v[136:137]
	s_wait_loadcnt 0x0
	s_delay_alu instid0(VALU_DEP_2) | instskip(NEXT) | instid1(VALU_DEP_2)
	v_add_f64_e64 v[4:5], v[146:147], -v[4:5]
	v_add_f64_e64 v[6:7], v[148:149], -v[6:7]
	scratch_store_b128 off, v[4:7], off offset:864
	s_wait_xcnt 0x0
	v_cmpx_lt_u32_e32 53, v1
	s_cbranch_execz .LBB123_267
; %bb.266:
	scratch_load_b128 v[10:13], off, s22
	v_dual_mov_b32 v3, v2 :: v_dual_mov_b32 v4, v2
	v_mov_b32_e32 v5, v2
	scratch_store_b128 off, v[2:5], off offset:848
	s_wait_loadcnt 0x0
	ds_store_b128 v8, v[10:13]
.LBB123_267:
	s_wait_xcnt 0x0
	s_or_b32 exec_lo, exec_lo, s2
	s_wait_storecnt_dscnt 0x0
	s_barrier_signal -1
	s_barrier_wait -1
	s_clause 0x6
	scratch_load_b128 v[4:7], off, off offset:864
	scratch_load_b128 v[10:13], off, off offset:880
	;; [unrolled: 1-line block ×7, first 2 shown]
	ds_load_b128 v[154:157], v2 offset:1824
	ds_load_b128 v[158:161], v2 offset:1840
	s_mov_b32 s2, exec_lo
	s_wait_loadcnt_dscnt 0x601
	v_mul_f64_e32 v[162:163], v[156:157], v[6:7]
	v_mul_f64_e32 v[164:165], v[154:155], v[6:7]
	s_wait_loadcnt_dscnt 0x500
	v_mul_f64_e32 v[166:167], v[158:159], v[12:13]
	v_mul_f64_e32 v[12:13], v[160:161], v[12:13]
	s_delay_alu instid0(VALU_DEP_4) | instskip(NEXT) | instid1(VALU_DEP_4)
	v_fma_f64 v[162:163], v[154:155], v[4:5], -v[162:163]
	v_fmac_f64_e32 v[164:165], v[156:157], v[4:5]
	ds_load_b128 v[4:7], v2 offset:1856
	ds_load_b128 v[154:157], v2 offset:1872
	v_fmac_f64_e32 v[166:167], v[160:161], v[10:11]
	v_fma_f64 v[10:11], v[158:159], v[10:11], -v[12:13]
	s_wait_loadcnt_dscnt 0x401
	v_mul_f64_e32 v[168:169], v[4:5], v[136:137]
	v_mul_f64_e32 v[136:137], v[6:7], v[136:137]
	s_wait_loadcnt_dscnt 0x300
	v_mul_f64_e32 v[160:161], v[154:155], v[140:141]
	v_mul_f64_e32 v[140:141], v[156:157], v[140:141]
	v_add_f64_e32 v[12:13], 0, v[162:163]
	v_add_f64_e32 v[158:159], 0, v[164:165]
	v_fmac_f64_e32 v[168:169], v[6:7], v[134:135]
	v_fma_f64 v[134:135], v[4:5], v[134:135], -v[136:137]
	v_fmac_f64_e32 v[160:161], v[156:157], v[138:139]
	v_fma_f64 v[138:139], v[154:155], v[138:139], -v[140:141]
	v_add_f64_e32 v[136:137], v[12:13], v[10:11]
	v_add_f64_e32 v[158:159], v[158:159], v[166:167]
	ds_load_b128 v[4:7], v2 offset:1888
	ds_load_b128 v[10:13], v2 offset:1904
	s_wait_loadcnt_dscnt 0x201
	v_mul_f64_e32 v[2:3], v[4:5], v[144:145]
	v_mul_f64_e32 v[144:145], v[6:7], v[144:145]
	s_wait_loadcnt_dscnt 0x100
	v_mul_f64_e32 v[140:141], v[10:11], v[148:149]
	v_mul_f64_e32 v[148:149], v[12:13], v[148:149]
	v_add_f64_e32 v[134:135], v[136:137], v[134:135]
	v_add_f64_e32 v[136:137], v[158:159], v[168:169]
	v_fmac_f64_e32 v[2:3], v[6:7], v[142:143]
	v_fma_f64 v[4:5], v[4:5], v[142:143], -v[144:145]
	v_fmac_f64_e32 v[140:141], v[12:13], v[146:147]
	v_fma_f64 v[10:11], v[10:11], v[146:147], -v[148:149]
	v_add_f64_e32 v[6:7], v[134:135], v[138:139]
	v_add_f64_e32 v[134:135], v[136:137], v[160:161]
	s_delay_alu instid0(VALU_DEP_2) | instskip(NEXT) | instid1(VALU_DEP_2)
	v_add_f64_e32 v[4:5], v[6:7], v[4:5]
	v_add_f64_e32 v[2:3], v[134:135], v[2:3]
	s_delay_alu instid0(VALU_DEP_2) | instskip(NEXT) | instid1(VALU_DEP_2)
	v_add_f64_e32 v[4:5], v[4:5], v[10:11]
	v_add_f64_e32 v[6:7], v[2:3], v[140:141]
	s_wait_loadcnt 0x0
	s_delay_alu instid0(VALU_DEP_2) | instskip(NEXT) | instid1(VALU_DEP_2)
	v_add_f64_e64 v[2:3], v[150:151], -v[4:5]
	v_add_f64_e64 v[4:5], v[152:153], -v[6:7]
	scratch_store_b128 off, v[2:5], off offset:848
	s_wait_xcnt 0x0
	v_cmpx_lt_u32_e32 52, v1
	s_cbranch_execz .LBB123_269
; %bb.268:
	scratch_load_b128 v[2:5], off, s23
	v_mov_b32_e32 v10, 0
	s_delay_alu instid0(VALU_DEP_1)
	v_dual_mov_b32 v11, v10 :: v_dual_mov_b32 v12, v10
	v_mov_b32_e32 v13, v10
	scratch_store_b128 off, v[10:13], off offset:832
	s_wait_loadcnt 0x0
	ds_store_b128 v8, v[2:5]
.LBB123_269:
	s_wait_xcnt 0x0
	s_or_b32 exec_lo, exec_lo, s2
	s_wait_storecnt_dscnt 0x0
	s_barrier_signal -1
	s_barrier_wait -1
	s_clause 0x7
	scratch_load_b128 v[4:7], off, off offset:848
	scratch_load_b128 v[10:13], off, off offset:864
	;; [unrolled: 1-line block ×8, first 2 shown]
	v_mov_b32_e32 v2, 0
	ds_load_b128 v[158:161], v2 offset:1808
	ds_load_b128 v[162:165], v2 offset:1824
	s_mov_b32 s2, exec_lo
	s_wait_loadcnt_dscnt 0x701
	v_mul_f64_e32 v[166:167], v[160:161], v[6:7]
	v_mul_f64_e32 v[168:169], v[158:159], v[6:7]
	s_wait_loadcnt_dscnt 0x600
	v_mul_f64_e32 v[170:171], v[162:163], v[12:13]
	v_mul_f64_e32 v[12:13], v[164:165], v[12:13]
	s_delay_alu instid0(VALU_DEP_4) | instskip(NEXT) | instid1(VALU_DEP_4)
	v_fma_f64 v[166:167], v[158:159], v[4:5], -v[166:167]
	v_fmac_f64_e32 v[168:169], v[160:161], v[4:5]
	ds_load_b128 v[4:7], v2 offset:1840
	ds_load_b128 v[158:161], v2 offset:1856
	v_fmac_f64_e32 v[170:171], v[164:165], v[10:11]
	v_fma_f64 v[10:11], v[162:163], v[10:11], -v[12:13]
	s_wait_loadcnt_dscnt 0x501
	v_mul_f64_e32 v[172:173], v[4:5], v[136:137]
	v_mul_f64_e32 v[136:137], v[6:7], v[136:137]
	s_wait_loadcnt_dscnt 0x400
	v_mul_f64_e32 v[164:165], v[158:159], v[140:141]
	v_mul_f64_e32 v[140:141], v[160:161], v[140:141]
	v_add_f64_e32 v[12:13], 0, v[166:167]
	v_add_f64_e32 v[162:163], 0, v[168:169]
	v_fmac_f64_e32 v[172:173], v[6:7], v[134:135]
	v_fma_f64 v[134:135], v[4:5], v[134:135], -v[136:137]
	v_fmac_f64_e32 v[164:165], v[160:161], v[138:139]
	v_fma_f64 v[138:139], v[158:159], v[138:139], -v[140:141]
	v_add_f64_e32 v[136:137], v[12:13], v[10:11]
	v_add_f64_e32 v[162:163], v[162:163], v[170:171]
	ds_load_b128 v[4:7], v2 offset:1872
	ds_load_b128 v[10:13], v2 offset:1888
	s_wait_loadcnt_dscnt 0x301
	v_mul_f64_e32 v[166:167], v[4:5], v[144:145]
	v_mul_f64_e32 v[144:145], v[6:7], v[144:145]
	s_wait_loadcnt_dscnt 0x200
	v_mul_f64_e32 v[140:141], v[10:11], v[148:149]
	v_mul_f64_e32 v[148:149], v[12:13], v[148:149]
	v_add_f64_e32 v[134:135], v[136:137], v[134:135]
	v_add_f64_e32 v[136:137], v[162:163], v[172:173]
	v_fmac_f64_e32 v[166:167], v[6:7], v[142:143]
	v_fma_f64 v[142:143], v[4:5], v[142:143], -v[144:145]
	ds_load_b128 v[4:7], v2 offset:1904
	v_fmac_f64_e32 v[140:141], v[12:13], v[146:147]
	v_fma_f64 v[10:11], v[10:11], v[146:147], -v[148:149]
	v_add_f64_e32 v[134:135], v[134:135], v[138:139]
	v_add_f64_e32 v[136:137], v[136:137], v[164:165]
	s_wait_loadcnt_dscnt 0x100
	v_mul_f64_e32 v[138:139], v[4:5], v[152:153]
	v_mul_f64_e32 v[144:145], v[6:7], v[152:153]
	s_delay_alu instid0(VALU_DEP_4) | instskip(NEXT) | instid1(VALU_DEP_4)
	v_add_f64_e32 v[12:13], v[134:135], v[142:143]
	v_add_f64_e32 v[134:135], v[136:137], v[166:167]
	s_delay_alu instid0(VALU_DEP_4) | instskip(NEXT) | instid1(VALU_DEP_4)
	v_fmac_f64_e32 v[138:139], v[6:7], v[150:151]
	v_fma_f64 v[4:5], v[4:5], v[150:151], -v[144:145]
	s_delay_alu instid0(VALU_DEP_4) | instskip(NEXT) | instid1(VALU_DEP_4)
	v_add_f64_e32 v[6:7], v[12:13], v[10:11]
	v_add_f64_e32 v[10:11], v[134:135], v[140:141]
	s_delay_alu instid0(VALU_DEP_2) | instskip(NEXT) | instid1(VALU_DEP_2)
	v_add_f64_e32 v[4:5], v[6:7], v[4:5]
	v_add_f64_e32 v[6:7], v[10:11], v[138:139]
	s_wait_loadcnt 0x0
	s_delay_alu instid0(VALU_DEP_2) | instskip(NEXT) | instid1(VALU_DEP_2)
	v_add_f64_e64 v[4:5], v[154:155], -v[4:5]
	v_add_f64_e64 v[6:7], v[156:157], -v[6:7]
	scratch_store_b128 off, v[4:7], off offset:832
	s_wait_xcnt 0x0
	v_cmpx_lt_u32_e32 51, v1
	s_cbranch_execz .LBB123_271
; %bb.270:
	scratch_load_b128 v[10:13], off, s24
	v_dual_mov_b32 v3, v2 :: v_dual_mov_b32 v4, v2
	v_mov_b32_e32 v5, v2
	scratch_store_b128 off, v[2:5], off offset:816
	s_wait_loadcnt 0x0
	ds_store_b128 v8, v[10:13]
.LBB123_271:
	s_wait_xcnt 0x0
	s_or_b32 exec_lo, exec_lo, s2
	s_wait_storecnt_dscnt 0x0
	s_barrier_signal -1
	s_barrier_wait -1
	s_clause 0x7
	scratch_load_b128 v[4:7], off, off offset:832
	scratch_load_b128 v[10:13], off, off offset:848
	;; [unrolled: 1-line block ×8, first 2 shown]
	ds_load_b128 v[158:161], v2 offset:1792
	ds_load_b128 v[162:165], v2 offset:1808
	scratch_load_b128 v[166:169], off, off offset:816
	s_mov_b32 s2, exec_lo
	s_wait_loadcnt_dscnt 0x801
	v_mul_f64_e32 v[170:171], v[160:161], v[6:7]
	v_mul_f64_e32 v[172:173], v[158:159], v[6:7]
	s_wait_loadcnt_dscnt 0x700
	v_mul_f64_e32 v[174:175], v[162:163], v[12:13]
	v_mul_f64_e32 v[12:13], v[164:165], v[12:13]
	s_delay_alu instid0(VALU_DEP_4) | instskip(NEXT) | instid1(VALU_DEP_4)
	v_fma_f64 v[170:171], v[158:159], v[4:5], -v[170:171]
	v_fmac_f64_e32 v[172:173], v[160:161], v[4:5]
	ds_load_b128 v[4:7], v2 offset:1824
	ds_load_b128 v[158:161], v2 offset:1840
	v_fmac_f64_e32 v[174:175], v[164:165], v[10:11]
	v_fma_f64 v[10:11], v[162:163], v[10:11], -v[12:13]
	s_wait_loadcnt_dscnt 0x601
	v_mul_f64_e32 v[176:177], v[4:5], v[136:137]
	v_mul_f64_e32 v[136:137], v[6:7], v[136:137]
	s_wait_loadcnt_dscnt 0x500
	v_mul_f64_e32 v[164:165], v[158:159], v[140:141]
	v_mul_f64_e32 v[140:141], v[160:161], v[140:141]
	v_add_f64_e32 v[12:13], 0, v[170:171]
	v_add_f64_e32 v[162:163], 0, v[172:173]
	v_fmac_f64_e32 v[176:177], v[6:7], v[134:135]
	v_fma_f64 v[134:135], v[4:5], v[134:135], -v[136:137]
	v_fmac_f64_e32 v[164:165], v[160:161], v[138:139]
	v_fma_f64 v[138:139], v[158:159], v[138:139], -v[140:141]
	v_add_f64_e32 v[136:137], v[12:13], v[10:11]
	v_add_f64_e32 v[162:163], v[162:163], v[174:175]
	ds_load_b128 v[4:7], v2 offset:1856
	ds_load_b128 v[10:13], v2 offset:1872
	s_wait_loadcnt_dscnt 0x401
	v_mul_f64_e32 v[170:171], v[4:5], v[144:145]
	v_mul_f64_e32 v[144:145], v[6:7], v[144:145]
	s_wait_loadcnt_dscnt 0x300
	v_mul_f64_e32 v[140:141], v[10:11], v[148:149]
	v_mul_f64_e32 v[148:149], v[12:13], v[148:149]
	v_add_f64_e32 v[134:135], v[136:137], v[134:135]
	v_add_f64_e32 v[136:137], v[162:163], v[176:177]
	v_fmac_f64_e32 v[170:171], v[6:7], v[142:143]
	v_fma_f64 v[142:143], v[4:5], v[142:143], -v[144:145]
	v_fmac_f64_e32 v[140:141], v[12:13], v[146:147]
	v_fma_f64 v[10:11], v[10:11], v[146:147], -v[148:149]
	v_add_f64_e32 v[138:139], v[134:135], v[138:139]
	v_add_f64_e32 v[144:145], v[136:137], v[164:165]
	ds_load_b128 v[4:7], v2 offset:1888
	ds_load_b128 v[134:137], v2 offset:1904
	s_wait_loadcnt_dscnt 0x201
	v_mul_f64_e32 v[2:3], v[4:5], v[152:153]
	v_mul_f64_e32 v[152:153], v[6:7], v[152:153]
	v_add_f64_e32 v[12:13], v[138:139], v[142:143]
	v_add_f64_e32 v[138:139], v[144:145], v[170:171]
	s_wait_loadcnt_dscnt 0x100
	v_mul_f64_e32 v[142:143], v[134:135], v[156:157]
	v_mul_f64_e32 v[144:145], v[136:137], v[156:157]
	v_fmac_f64_e32 v[2:3], v[6:7], v[150:151]
	v_fma_f64 v[4:5], v[4:5], v[150:151], -v[152:153]
	v_add_f64_e32 v[6:7], v[12:13], v[10:11]
	v_add_f64_e32 v[10:11], v[138:139], v[140:141]
	v_fmac_f64_e32 v[142:143], v[136:137], v[154:155]
	v_fma_f64 v[12:13], v[134:135], v[154:155], -v[144:145]
	s_delay_alu instid0(VALU_DEP_4) | instskip(NEXT) | instid1(VALU_DEP_4)
	v_add_f64_e32 v[4:5], v[6:7], v[4:5]
	v_add_f64_e32 v[2:3], v[10:11], v[2:3]
	s_delay_alu instid0(VALU_DEP_2) | instskip(NEXT) | instid1(VALU_DEP_2)
	v_add_f64_e32 v[4:5], v[4:5], v[12:13]
	v_add_f64_e32 v[6:7], v[2:3], v[142:143]
	s_wait_loadcnt 0x0
	s_delay_alu instid0(VALU_DEP_2) | instskip(NEXT) | instid1(VALU_DEP_2)
	v_add_f64_e64 v[2:3], v[166:167], -v[4:5]
	v_add_f64_e64 v[4:5], v[168:169], -v[6:7]
	scratch_store_b128 off, v[2:5], off offset:816
	s_wait_xcnt 0x0
	v_cmpx_lt_u32_e32 50, v1
	s_cbranch_execz .LBB123_273
; %bb.272:
	scratch_load_b128 v[2:5], off, s25
	v_mov_b32_e32 v10, 0
	s_delay_alu instid0(VALU_DEP_1)
	v_dual_mov_b32 v11, v10 :: v_dual_mov_b32 v12, v10
	v_mov_b32_e32 v13, v10
	scratch_store_b128 off, v[10:13], off offset:800
	s_wait_loadcnt 0x0
	ds_store_b128 v8, v[2:5]
.LBB123_273:
	s_wait_xcnt 0x0
	s_or_b32 exec_lo, exec_lo, s2
	s_wait_storecnt_dscnt 0x0
	s_barrier_signal -1
	s_barrier_wait -1
	s_clause 0x8
	scratch_load_b128 v[4:7], off, off offset:816
	scratch_load_b128 v[10:13], off, off offset:832
	;; [unrolled: 1-line block ×9, first 2 shown]
	v_mov_b32_e32 v2, 0
	scratch_load_b128 v[166:169], off, off offset:800
	s_mov_b32 s2, exec_lo
	ds_load_b128 v[162:165], v2 offset:1776
	ds_load_b128 v[170:173], v2 offset:1792
	s_wait_loadcnt_dscnt 0x901
	v_mul_f64_e32 v[174:175], v[164:165], v[6:7]
	v_mul_f64_e32 v[176:177], v[162:163], v[6:7]
	s_wait_loadcnt_dscnt 0x800
	v_mul_f64_e32 v[178:179], v[170:171], v[12:13]
	v_mul_f64_e32 v[12:13], v[172:173], v[12:13]
	s_delay_alu instid0(VALU_DEP_4) | instskip(NEXT) | instid1(VALU_DEP_4)
	v_fma_f64 v[174:175], v[162:163], v[4:5], -v[174:175]
	v_fmac_f64_e32 v[176:177], v[164:165], v[4:5]
	ds_load_b128 v[4:7], v2 offset:1808
	ds_load_b128 v[162:165], v2 offset:1824
	v_fmac_f64_e32 v[178:179], v[172:173], v[10:11]
	v_fma_f64 v[10:11], v[170:171], v[10:11], -v[12:13]
	s_wait_loadcnt_dscnt 0x701
	v_mul_f64_e32 v[180:181], v[4:5], v[136:137]
	v_mul_f64_e32 v[136:137], v[6:7], v[136:137]
	s_wait_loadcnt_dscnt 0x600
	v_mul_f64_e32 v[172:173], v[162:163], v[140:141]
	v_mul_f64_e32 v[140:141], v[164:165], v[140:141]
	v_add_f64_e32 v[12:13], 0, v[174:175]
	v_add_f64_e32 v[170:171], 0, v[176:177]
	v_fmac_f64_e32 v[180:181], v[6:7], v[134:135]
	v_fma_f64 v[134:135], v[4:5], v[134:135], -v[136:137]
	v_fmac_f64_e32 v[172:173], v[164:165], v[138:139]
	v_fma_f64 v[138:139], v[162:163], v[138:139], -v[140:141]
	v_add_f64_e32 v[136:137], v[12:13], v[10:11]
	v_add_f64_e32 v[170:171], v[170:171], v[178:179]
	ds_load_b128 v[4:7], v2 offset:1840
	ds_load_b128 v[10:13], v2 offset:1856
	s_wait_loadcnt_dscnt 0x501
	v_mul_f64_e32 v[174:175], v[4:5], v[144:145]
	v_mul_f64_e32 v[144:145], v[6:7], v[144:145]
	s_wait_loadcnt_dscnt 0x400
	v_mul_f64_e32 v[140:141], v[10:11], v[148:149]
	v_mul_f64_e32 v[148:149], v[12:13], v[148:149]
	v_add_f64_e32 v[134:135], v[136:137], v[134:135]
	v_add_f64_e32 v[136:137], v[170:171], v[180:181]
	v_fmac_f64_e32 v[174:175], v[6:7], v[142:143]
	v_fma_f64 v[142:143], v[4:5], v[142:143], -v[144:145]
	v_fmac_f64_e32 v[140:141], v[12:13], v[146:147]
	v_fma_f64 v[10:11], v[10:11], v[146:147], -v[148:149]
	v_add_f64_e32 v[138:139], v[134:135], v[138:139]
	v_add_f64_e32 v[144:145], v[136:137], v[172:173]
	ds_load_b128 v[4:7], v2 offset:1872
	ds_load_b128 v[134:137], v2 offset:1888
	s_wait_loadcnt_dscnt 0x301
	v_mul_f64_e32 v[162:163], v[4:5], v[152:153]
	v_mul_f64_e32 v[152:153], v[6:7], v[152:153]
	v_add_f64_e32 v[12:13], v[138:139], v[142:143]
	v_add_f64_e32 v[138:139], v[144:145], v[174:175]
	s_wait_loadcnt_dscnt 0x200
	v_mul_f64_e32 v[142:143], v[134:135], v[156:157]
	v_mul_f64_e32 v[144:145], v[136:137], v[156:157]
	v_fmac_f64_e32 v[162:163], v[6:7], v[150:151]
	v_fma_f64 v[146:147], v[4:5], v[150:151], -v[152:153]
	ds_load_b128 v[4:7], v2 offset:1904
	v_add_f64_e32 v[10:11], v[12:13], v[10:11]
	v_add_f64_e32 v[12:13], v[138:139], v[140:141]
	v_fmac_f64_e32 v[142:143], v[136:137], v[154:155]
	v_fma_f64 v[134:135], v[134:135], v[154:155], -v[144:145]
	s_wait_loadcnt_dscnt 0x100
	v_mul_f64_e32 v[138:139], v[4:5], v[160:161]
	v_mul_f64_e32 v[140:141], v[6:7], v[160:161]
	v_add_f64_e32 v[10:11], v[10:11], v[146:147]
	v_add_f64_e32 v[12:13], v[12:13], v[162:163]
	s_delay_alu instid0(VALU_DEP_4) | instskip(NEXT) | instid1(VALU_DEP_4)
	v_fmac_f64_e32 v[138:139], v[6:7], v[158:159]
	v_fma_f64 v[4:5], v[4:5], v[158:159], -v[140:141]
	s_delay_alu instid0(VALU_DEP_4) | instskip(NEXT) | instid1(VALU_DEP_4)
	v_add_f64_e32 v[6:7], v[10:11], v[134:135]
	v_add_f64_e32 v[10:11], v[12:13], v[142:143]
	s_delay_alu instid0(VALU_DEP_2) | instskip(NEXT) | instid1(VALU_DEP_2)
	v_add_f64_e32 v[4:5], v[6:7], v[4:5]
	v_add_f64_e32 v[6:7], v[10:11], v[138:139]
	s_wait_loadcnt 0x0
	s_delay_alu instid0(VALU_DEP_2) | instskip(NEXT) | instid1(VALU_DEP_2)
	v_add_f64_e64 v[4:5], v[166:167], -v[4:5]
	v_add_f64_e64 v[6:7], v[168:169], -v[6:7]
	scratch_store_b128 off, v[4:7], off offset:800
	s_wait_xcnt 0x0
	v_cmpx_lt_u32_e32 49, v1
	s_cbranch_execz .LBB123_275
; %bb.274:
	scratch_load_b128 v[10:13], off, s26
	v_dual_mov_b32 v3, v2 :: v_dual_mov_b32 v4, v2
	v_mov_b32_e32 v5, v2
	scratch_store_b128 off, v[2:5], off offset:784
	s_wait_loadcnt 0x0
	ds_store_b128 v8, v[10:13]
.LBB123_275:
	s_wait_xcnt 0x0
	s_or_b32 exec_lo, exec_lo, s2
	s_wait_storecnt_dscnt 0x0
	s_barrier_signal -1
	s_barrier_wait -1
	s_clause 0x9
	scratch_load_b128 v[4:7], off, off offset:800
	scratch_load_b128 v[10:13], off, off offset:816
	;; [unrolled: 1-line block ×10, first 2 shown]
	ds_load_b128 v[166:169], v2 offset:1760
	ds_load_b128 v[170:173], v2 offset:1776
	scratch_load_b128 v[174:177], off, off offset:784
	s_mov_b32 s2, exec_lo
	s_wait_loadcnt_dscnt 0xa01
	v_mul_f64_e32 v[178:179], v[168:169], v[6:7]
	v_mul_f64_e32 v[180:181], v[166:167], v[6:7]
	s_wait_loadcnt_dscnt 0x900
	v_mul_f64_e32 v[182:183], v[170:171], v[12:13]
	v_mul_f64_e32 v[12:13], v[172:173], v[12:13]
	s_delay_alu instid0(VALU_DEP_4) | instskip(NEXT) | instid1(VALU_DEP_4)
	v_fma_f64 v[178:179], v[166:167], v[4:5], -v[178:179]
	v_fmac_f64_e32 v[180:181], v[168:169], v[4:5]
	ds_load_b128 v[4:7], v2 offset:1792
	ds_load_b128 v[166:169], v2 offset:1808
	v_fmac_f64_e32 v[182:183], v[172:173], v[10:11]
	v_fma_f64 v[10:11], v[170:171], v[10:11], -v[12:13]
	s_wait_loadcnt_dscnt 0x801
	v_mul_f64_e32 v[184:185], v[4:5], v[136:137]
	v_mul_f64_e32 v[136:137], v[6:7], v[136:137]
	s_wait_loadcnt_dscnt 0x700
	v_mul_f64_e32 v[172:173], v[166:167], v[140:141]
	v_mul_f64_e32 v[140:141], v[168:169], v[140:141]
	v_add_f64_e32 v[12:13], 0, v[178:179]
	v_add_f64_e32 v[170:171], 0, v[180:181]
	v_fmac_f64_e32 v[184:185], v[6:7], v[134:135]
	v_fma_f64 v[134:135], v[4:5], v[134:135], -v[136:137]
	v_fmac_f64_e32 v[172:173], v[168:169], v[138:139]
	v_fma_f64 v[138:139], v[166:167], v[138:139], -v[140:141]
	v_add_f64_e32 v[136:137], v[12:13], v[10:11]
	v_add_f64_e32 v[170:171], v[170:171], v[182:183]
	ds_load_b128 v[4:7], v2 offset:1824
	ds_load_b128 v[10:13], v2 offset:1840
	s_wait_loadcnt_dscnt 0x601
	v_mul_f64_e32 v[178:179], v[4:5], v[144:145]
	v_mul_f64_e32 v[144:145], v[6:7], v[144:145]
	s_wait_loadcnt_dscnt 0x500
	v_mul_f64_e32 v[140:141], v[10:11], v[148:149]
	v_mul_f64_e32 v[148:149], v[12:13], v[148:149]
	v_add_f64_e32 v[134:135], v[136:137], v[134:135]
	v_add_f64_e32 v[136:137], v[170:171], v[184:185]
	v_fmac_f64_e32 v[178:179], v[6:7], v[142:143]
	v_fma_f64 v[142:143], v[4:5], v[142:143], -v[144:145]
	v_fmac_f64_e32 v[140:141], v[12:13], v[146:147]
	v_fma_f64 v[10:11], v[10:11], v[146:147], -v[148:149]
	v_add_f64_e32 v[138:139], v[134:135], v[138:139]
	v_add_f64_e32 v[144:145], v[136:137], v[172:173]
	ds_load_b128 v[4:7], v2 offset:1856
	ds_load_b128 v[134:137], v2 offset:1872
	s_wait_loadcnt_dscnt 0x401
	v_mul_f64_e32 v[166:167], v[4:5], v[152:153]
	v_mul_f64_e32 v[152:153], v[6:7], v[152:153]
	v_add_f64_e32 v[12:13], v[138:139], v[142:143]
	v_add_f64_e32 v[138:139], v[144:145], v[178:179]
	s_wait_loadcnt_dscnt 0x300
	v_mul_f64_e32 v[142:143], v[134:135], v[156:157]
	v_mul_f64_e32 v[144:145], v[136:137], v[156:157]
	v_fmac_f64_e32 v[166:167], v[6:7], v[150:151]
	v_fma_f64 v[146:147], v[4:5], v[150:151], -v[152:153]
	v_add_f64_e32 v[148:149], v[12:13], v[10:11]
	v_add_f64_e32 v[138:139], v[138:139], v[140:141]
	ds_load_b128 v[4:7], v2 offset:1888
	ds_load_b128 v[10:13], v2 offset:1904
	v_fmac_f64_e32 v[142:143], v[136:137], v[154:155]
	v_fma_f64 v[134:135], v[134:135], v[154:155], -v[144:145]
	s_wait_loadcnt_dscnt 0x201
	v_mul_f64_e32 v[2:3], v[4:5], v[160:161]
	v_mul_f64_e32 v[140:141], v[6:7], v[160:161]
	s_wait_loadcnt_dscnt 0x100
	v_mul_f64_e32 v[144:145], v[10:11], v[164:165]
	v_add_f64_e32 v[136:137], v[148:149], v[146:147]
	v_add_f64_e32 v[138:139], v[138:139], v[166:167]
	v_mul_f64_e32 v[146:147], v[12:13], v[164:165]
	v_fmac_f64_e32 v[2:3], v[6:7], v[158:159]
	v_fma_f64 v[4:5], v[4:5], v[158:159], -v[140:141]
	v_fmac_f64_e32 v[144:145], v[12:13], v[162:163]
	v_add_f64_e32 v[6:7], v[136:137], v[134:135]
	v_add_f64_e32 v[134:135], v[138:139], v[142:143]
	v_fma_f64 v[10:11], v[10:11], v[162:163], -v[146:147]
	s_delay_alu instid0(VALU_DEP_3) | instskip(NEXT) | instid1(VALU_DEP_3)
	v_add_f64_e32 v[4:5], v[6:7], v[4:5]
	v_add_f64_e32 v[2:3], v[134:135], v[2:3]
	s_delay_alu instid0(VALU_DEP_2) | instskip(NEXT) | instid1(VALU_DEP_2)
	v_add_f64_e32 v[4:5], v[4:5], v[10:11]
	v_add_f64_e32 v[6:7], v[2:3], v[144:145]
	s_wait_loadcnt 0x0
	s_delay_alu instid0(VALU_DEP_2) | instskip(NEXT) | instid1(VALU_DEP_2)
	v_add_f64_e64 v[2:3], v[174:175], -v[4:5]
	v_add_f64_e64 v[4:5], v[176:177], -v[6:7]
	scratch_store_b128 off, v[2:5], off offset:784
	s_wait_xcnt 0x0
	v_cmpx_lt_u32_e32 48, v1
	s_cbranch_execz .LBB123_277
; %bb.276:
	scratch_load_b128 v[2:5], off, s27
	v_mov_b32_e32 v10, 0
	s_delay_alu instid0(VALU_DEP_1)
	v_dual_mov_b32 v11, v10 :: v_dual_mov_b32 v12, v10
	v_mov_b32_e32 v13, v10
	scratch_store_b128 off, v[10:13], off offset:768
	s_wait_loadcnt 0x0
	ds_store_b128 v8, v[2:5]
.LBB123_277:
	s_wait_xcnt 0x0
	s_or_b32 exec_lo, exec_lo, s2
	s_wait_storecnt_dscnt 0x0
	s_barrier_signal -1
	s_barrier_wait -1
	s_clause 0x9
	scratch_load_b128 v[4:7], off, off offset:784
	scratch_load_b128 v[10:13], off, off offset:800
	scratch_load_b128 v[134:137], off, off offset:816
	scratch_load_b128 v[138:141], off, off offset:832
	scratch_load_b128 v[142:145], off, off offset:848
	scratch_load_b128 v[146:149], off, off offset:864
	scratch_load_b128 v[150:153], off, off offset:880
	scratch_load_b128 v[154:157], off, off offset:896
	scratch_load_b128 v[158:161], off, off offset:912
	scratch_load_b128 v[162:165], off, off offset:928
	v_mov_b32_e32 v2, 0
	s_mov_b32 s2, exec_lo
	ds_load_b128 v[166:169], v2 offset:1744
	s_clause 0x1
	scratch_load_b128 v[170:173], off, off offset:944
	scratch_load_b128 v[174:177], off, off offset:768
	s_wait_loadcnt_dscnt 0xb00
	v_mul_f64_e32 v[182:183], v[168:169], v[6:7]
	v_mul_f64_e32 v[184:185], v[166:167], v[6:7]
	ds_load_b128 v[178:181], v2 offset:1760
	s_wait_loadcnt_dscnt 0xa00
	v_mul_f64_e32 v[186:187], v[178:179], v[12:13]
	v_mul_f64_e32 v[12:13], v[180:181], v[12:13]
	v_fma_f64 v[182:183], v[166:167], v[4:5], -v[182:183]
	v_fmac_f64_e32 v[184:185], v[168:169], v[4:5]
	ds_load_b128 v[4:7], v2 offset:1776
	ds_load_b128 v[166:169], v2 offset:1792
	s_wait_loadcnt_dscnt 0x901
	v_mul_f64_e32 v[188:189], v[4:5], v[136:137]
	v_mul_f64_e32 v[136:137], v[6:7], v[136:137]
	v_fmac_f64_e32 v[186:187], v[180:181], v[10:11]
	v_fma_f64 v[10:11], v[178:179], v[10:11], -v[12:13]
	s_wait_loadcnt_dscnt 0x800
	v_mul_f64_e32 v[180:181], v[166:167], v[140:141]
	v_mul_f64_e32 v[140:141], v[168:169], v[140:141]
	v_add_f64_e32 v[12:13], 0, v[182:183]
	v_add_f64_e32 v[178:179], 0, v[184:185]
	v_fmac_f64_e32 v[188:189], v[6:7], v[134:135]
	v_fma_f64 v[134:135], v[4:5], v[134:135], -v[136:137]
	v_fmac_f64_e32 v[180:181], v[168:169], v[138:139]
	v_fma_f64 v[138:139], v[166:167], v[138:139], -v[140:141]
	v_add_f64_e32 v[136:137], v[12:13], v[10:11]
	v_add_f64_e32 v[178:179], v[178:179], v[186:187]
	ds_load_b128 v[4:7], v2 offset:1808
	ds_load_b128 v[10:13], v2 offset:1824
	s_wait_loadcnt_dscnt 0x701
	v_mul_f64_e32 v[182:183], v[4:5], v[144:145]
	v_mul_f64_e32 v[144:145], v[6:7], v[144:145]
	s_wait_loadcnt_dscnt 0x600
	v_mul_f64_e32 v[140:141], v[10:11], v[148:149]
	v_mul_f64_e32 v[148:149], v[12:13], v[148:149]
	v_add_f64_e32 v[134:135], v[136:137], v[134:135]
	v_add_f64_e32 v[136:137], v[178:179], v[188:189]
	v_fmac_f64_e32 v[182:183], v[6:7], v[142:143]
	v_fma_f64 v[142:143], v[4:5], v[142:143], -v[144:145]
	v_fmac_f64_e32 v[140:141], v[12:13], v[146:147]
	v_fma_f64 v[10:11], v[10:11], v[146:147], -v[148:149]
	v_add_f64_e32 v[138:139], v[134:135], v[138:139]
	v_add_f64_e32 v[144:145], v[136:137], v[180:181]
	ds_load_b128 v[4:7], v2 offset:1840
	ds_load_b128 v[134:137], v2 offset:1856
	s_wait_loadcnt_dscnt 0x501
	v_mul_f64_e32 v[166:167], v[4:5], v[152:153]
	v_mul_f64_e32 v[152:153], v[6:7], v[152:153]
	v_add_f64_e32 v[12:13], v[138:139], v[142:143]
	v_add_f64_e32 v[138:139], v[144:145], v[182:183]
	s_wait_loadcnt_dscnt 0x400
	v_mul_f64_e32 v[142:143], v[134:135], v[156:157]
	v_mul_f64_e32 v[144:145], v[136:137], v[156:157]
	v_fmac_f64_e32 v[166:167], v[6:7], v[150:151]
	v_fma_f64 v[146:147], v[4:5], v[150:151], -v[152:153]
	v_add_f64_e32 v[148:149], v[12:13], v[10:11]
	v_add_f64_e32 v[138:139], v[138:139], v[140:141]
	ds_load_b128 v[4:7], v2 offset:1872
	ds_load_b128 v[10:13], v2 offset:1888
	v_fmac_f64_e32 v[142:143], v[136:137], v[154:155]
	v_fma_f64 v[134:135], v[134:135], v[154:155], -v[144:145]
	s_wait_loadcnt_dscnt 0x301
	v_mul_f64_e32 v[140:141], v[4:5], v[160:161]
	v_mul_f64_e32 v[150:151], v[6:7], v[160:161]
	s_wait_loadcnt_dscnt 0x200
	v_mul_f64_e32 v[144:145], v[10:11], v[164:165]
	v_add_f64_e32 v[136:137], v[148:149], v[146:147]
	v_add_f64_e32 v[138:139], v[138:139], v[166:167]
	v_mul_f64_e32 v[146:147], v[12:13], v[164:165]
	v_fmac_f64_e32 v[140:141], v[6:7], v[158:159]
	v_fma_f64 v[148:149], v[4:5], v[158:159], -v[150:151]
	ds_load_b128 v[4:7], v2 offset:1904
	v_fmac_f64_e32 v[144:145], v[12:13], v[162:163]
	v_add_f64_e32 v[134:135], v[136:137], v[134:135]
	v_add_f64_e32 v[136:137], v[138:139], v[142:143]
	v_fma_f64 v[10:11], v[10:11], v[162:163], -v[146:147]
	s_wait_loadcnt_dscnt 0x100
	v_mul_f64_e32 v[138:139], v[4:5], v[172:173]
	v_mul_f64_e32 v[142:143], v[6:7], v[172:173]
	v_add_f64_e32 v[12:13], v[134:135], v[148:149]
	v_add_f64_e32 v[134:135], v[136:137], v[140:141]
	s_delay_alu instid0(VALU_DEP_4) | instskip(NEXT) | instid1(VALU_DEP_4)
	v_fmac_f64_e32 v[138:139], v[6:7], v[170:171]
	v_fma_f64 v[4:5], v[4:5], v[170:171], -v[142:143]
	s_delay_alu instid0(VALU_DEP_4) | instskip(NEXT) | instid1(VALU_DEP_4)
	v_add_f64_e32 v[6:7], v[12:13], v[10:11]
	v_add_f64_e32 v[10:11], v[134:135], v[144:145]
	s_delay_alu instid0(VALU_DEP_2) | instskip(NEXT) | instid1(VALU_DEP_2)
	v_add_f64_e32 v[4:5], v[6:7], v[4:5]
	v_add_f64_e32 v[6:7], v[10:11], v[138:139]
	s_wait_loadcnt 0x0
	s_delay_alu instid0(VALU_DEP_2) | instskip(NEXT) | instid1(VALU_DEP_2)
	v_add_f64_e64 v[4:5], v[174:175], -v[4:5]
	v_add_f64_e64 v[6:7], v[176:177], -v[6:7]
	scratch_store_b128 off, v[4:7], off offset:768
	s_wait_xcnt 0x0
	v_cmpx_lt_u32_e32 47, v1
	s_cbranch_execz .LBB123_279
; %bb.278:
	scratch_load_b128 v[10:13], off, s28
	v_dual_mov_b32 v3, v2 :: v_dual_mov_b32 v4, v2
	v_mov_b32_e32 v5, v2
	scratch_store_b128 off, v[2:5], off offset:752
	s_wait_loadcnt 0x0
	ds_store_b128 v8, v[10:13]
.LBB123_279:
	s_wait_xcnt 0x0
	s_or_b32 exec_lo, exec_lo, s2
	s_wait_storecnt_dscnt 0x0
	s_barrier_signal -1
	s_barrier_wait -1
	s_clause 0x9
	scratch_load_b128 v[4:7], off, off offset:768
	scratch_load_b128 v[10:13], off, off offset:784
	;; [unrolled: 1-line block ×10, first 2 shown]
	ds_load_b128 v[166:169], v2 offset:1728
	ds_load_b128 v[174:177], v2 offset:1744
	s_clause 0x2
	scratch_load_b128 v[170:173], off, off offset:928
	scratch_load_b128 v[178:181], off, off offset:752
	scratch_load_b128 v[182:185], off, off offset:944
	s_mov_b32 s2, exec_lo
	s_wait_loadcnt_dscnt 0xc01
	v_mul_f64_e32 v[186:187], v[168:169], v[6:7]
	v_mul_f64_e32 v[188:189], v[166:167], v[6:7]
	s_wait_loadcnt_dscnt 0xb00
	v_mul_f64_e32 v[190:191], v[174:175], v[12:13]
	v_mul_f64_e32 v[12:13], v[176:177], v[12:13]
	s_delay_alu instid0(VALU_DEP_4) | instskip(NEXT) | instid1(VALU_DEP_4)
	v_fma_f64 v[186:187], v[166:167], v[4:5], -v[186:187]
	v_fmac_f64_e32 v[188:189], v[168:169], v[4:5]
	ds_load_b128 v[4:7], v2 offset:1760
	ds_load_b128 v[166:169], v2 offset:1776
	v_fmac_f64_e32 v[190:191], v[176:177], v[10:11]
	v_fma_f64 v[10:11], v[174:175], v[10:11], -v[12:13]
	s_wait_loadcnt_dscnt 0xa01
	v_mul_f64_e32 v[192:193], v[4:5], v[136:137]
	v_mul_f64_e32 v[136:137], v[6:7], v[136:137]
	s_wait_loadcnt_dscnt 0x900
	v_mul_f64_e32 v[176:177], v[166:167], v[140:141]
	v_mul_f64_e32 v[140:141], v[168:169], v[140:141]
	v_add_f64_e32 v[12:13], 0, v[186:187]
	v_add_f64_e32 v[174:175], 0, v[188:189]
	v_fmac_f64_e32 v[192:193], v[6:7], v[134:135]
	v_fma_f64 v[134:135], v[4:5], v[134:135], -v[136:137]
	v_fmac_f64_e32 v[176:177], v[168:169], v[138:139]
	v_fma_f64 v[138:139], v[166:167], v[138:139], -v[140:141]
	v_add_f64_e32 v[136:137], v[12:13], v[10:11]
	v_add_f64_e32 v[174:175], v[174:175], v[190:191]
	ds_load_b128 v[4:7], v2 offset:1792
	ds_load_b128 v[10:13], v2 offset:1808
	s_wait_loadcnt_dscnt 0x801
	v_mul_f64_e32 v[186:187], v[4:5], v[144:145]
	v_mul_f64_e32 v[144:145], v[6:7], v[144:145]
	s_wait_loadcnt_dscnt 0x700
	v_mul_f64_e32 v[140:141], v[10:11], v[148:149]
	v_mul_f64_e32 v[148:149], v[12:13], v[148:149]
	v_add_f64_e32 v[134:135], v[136:137], v[134:135]
	v_add_f64_e32 v[136:137], v[174:175], v[192:193]
	v_fmac_f64_e32 v[186:187], v[6:7], v[142:143]
	v_fma_f64 v[142:143], v[4:5], v[142:143], -v[144:145]
	v_fmac_f64_e32 v[140:141], v[12:13], v[146:147]
	v_fma_f64 v[10:11], v[10:11], v[146:147], -v[148:149]
	v_add_f64_e32 v[138:139], v[134:135], v[138:139]
	v_add_f64_e32 v[144:145], v[136:137], v[176:177]
	ds_load_b128 v[4:7], v2 offset:1824
	ds_load_b128 v[134:137], v2 offset:1840
	s_wait_loadcnt_dscnt 0x601
	v_mul_f64_e32 v[166:167], v[4:5], v[152:153]
	v_mul_f64_e32 v[152:153], v[6:7], v[152:153]
	v_add_f64_e32 v[12:13], v[138:139], v[142:143]
	v_add_f64_e32 v[138:139], v[144:145], v[186:187]
	s_wait_loadcnt_dscnt 0x500
	v_mul_f64_e32 v[142:143], v[134:135], v[156:157]
	v_mul_f64_e32 v[144:145], v[136:137], v[156:157]
	v_fmac_f64_e32 v[166:167], v[6:7], v[150:151]
	v_fma_f64 v[146:147], v[4:5], v[150:151], -v[152:153]
	v_add_f64_e32 v[148:149], v[12:13], v[10:11]
	v_add_f64_e32 v[138:139], v[138:139], v[140:141]
	ds_load_b128 v[4:7], v2 offset:1856
	ds_load_b128 v[10:13], v2 offset:1872
	v_fmac_f64_e32 v[142:143], v[136:137], v[154:155]
	v_fma_f64 v[134:135], v[134:135], v[154:155], -v[144:145]
	s_wait_loadcnt_dscnt 0x401
	v_mul_f64_e32 v[140:141], v[4:5], v[160:161]
	v_mul_f64_e32 v[150:151], v[6:7], v[160:161]
	s_wait_loadcnt_dscnt 0x300
	v_mul_f64_e32 v[144:145], v[10:11], v[164:165]
	v_add_f64_e32 v[136:137], v[148:149], v[146:147]
	v_add_f64_e32 v[138:139], v[138:139], v[166:167]
	v_mul_f64_e32 v[146:147], v[12:13], v[164:165]
	v_fmac_f64_e32 v[140:141], v[6:7], v[158:159]
	v_fma_f64 v[148:149], v[4:5], v[158:159], -v[150:151]
	v_fmac_f64_e32 v[144:145], v[12:13], v[162:163]
	v_add_f64_e32 v[150:151], v[136:137], v[134:135]
	v_add_f64_e32 v[138:139], v[138:139], v[142:143]
	ds_load_b128 v[4:7], v2 offset:1888
	ds_load_b128 v[134:137], v2 offset:1904
	v_fma_f64 v[10:11], v[10:11], v[162:163], -v[146:147]
	s_wait_loadcnt_dscnt 0x201
	v_mul_f64_e32 v[2:3], v[4:5], v[172:173]
	v_mul_f64_e32 v[142:143], v[6:7], v[172:173]
	s_wait_loadcnt_dscnt 0x0
	v_mul_f64_e32 v[146:147], v[136:137], v[184:185]
	v_add_f64_e32 v[12:13], v[150:151], v[148:149]
	v_add_f64_e32 v[138:139], v[138:139], v[140:141]
	v_mul_f64_e32 v[140:141], v[134:135], v[184:185]
	v_fmac_f64_e32 v[2:3], v[6:7], v[170:171]
	v_fma_f64 v[4:5], v[4:5], v[170:171], -v[142:143]
	v_add_f64_e32 v[6:7], v[12:13], v[10:11]
	v_add_f64_e32 v[10:11], v[138:139], v[144:145]
	v_fmac_f64_e32 v[140:141], v[136:137], v[182:183]
	v_fma_f64 v[12:13], v[134:135], v[182:183], -v[146:147]
	s_delay_alu instid0(VALU_DEP_4) | instskip(NEXT) | instid1(VALU_DEP_4)
	v_add_f64_e32 v[4:5], v[6:7], v[4:5]
	v_add_f64_e32 v[2:3], v[10:11], v[2:3]
	s_delay_alu instid0(VALU_DEP_2) | instskip(NEXT) | instid1(VALU_DEP_2)
	v_add_f64_e32 v[4:5], v[4:5], v[12:13]
	v_add_f64_e32 v[6:7], v[2:3], v[140:141]
	s_delay_alu instid0(VALU_DEP_2) | instskip(NEXT) | instid1(VALU_DEP_2)
	v_add_f64_e64 v[2:3], v[178:179], -v[4:5]
	v_add_f64_e64 v[4:5], v[180:181], -v[6:7]
	scratch_store_b128 off, v[2:5], off offset:752
	s_wait_xcnt 0x0
	v_cmpx_lt_u32_e32 46, v1
	s_cbranch_execz .LBB123_281
; %bb.280:
	scratch_load_b128 v[2:5], off, s29
	v_mov_b32_e32 v10, 0
	s_delay_alu instid0(VALU_DEP_1)
	v_dual_mov_b32 v11, v10 :: v_dual_mov_b32 v12, v10
	v_mov_b32_e32 v13, v10
	scratch_store_b128 off, v[10:13], off offset:736
	s_wait_loadcnt 0x0
	ds_store_b128 v8, v[2:5]
.LBB123_281:
	s_wait_xcnt 0x0
	s_or_b32 exec_lo, exec_lo, s2
	s_wait_storecnt_dscnt 0x0
	s_barrier_signal -1
	s_barrier_wait -1
	s_clause 0x9
	scratch_load_b128 v[4:7], off, off offset:752
	scratch_load_b128 v[10:13], off, off offset:768
	;; [unrolled: 1-line block ×10, first 2 shown]
	v_mov_b32_e32 v2, 0
	s_mov_b32 s2, exec_lo
	ds_load_b128 v[166:169], v2 offset:1712
	s_clause 0x2
	scratch_load_b128 v[170:173], off, off offset:912
	scratch_load_b128 v[174:177], off, off offset:736
	;; [unrolled: 1-line block ×3, first 2 shown]
	s_wait_loadcnt_dscnt 0xc00
	v_mul_f64_e32 v[186:187], v[168:169], v[6:7]
	v_mul_f64_e32 v[190:191], v[166:167], v[6:7]
	ds_load_b128 v[178:181], v2 offset:1728
	v_fma_f64 v[194:195], v[166:167], v[4:5], -v[186:187]
	v_fmac_f64_e32 v[190:191], v[168:169], v[4:5]
	ds_load_b128 v[4:7], v2 offset:1744
	s_wait_loadcnt_dscnt 0xb01
	v_mul_f64_e32 v[192:193], v[178:179], v[12:13]
	v_mul_f64_e32 v[12:13], v[180:181], v[12:13]
	scratch_load_b128 v[166:169], off, off offset:944
	ds_load_b128 v[186:189], v2 offset:1760
	s_wait_loadcnt_dscnt 0xb01
	v_mul_f64_e32 v[196:197], v[4:5], v[136:137]
	v_mul_f64_e32 v[136:137], v[6:7], v[136:137]
	v_fmac_f64_e32 v[192:193], v[180:181], v[10:11]
	v_fma_f64 v[10:11], v[178:179], v[10:11], -v[12:13]
	v_add_f64_e32 v[12:13], 0, v[194:195]
	v_add_f64_e32 v[178:179], 0, v[190:191]
	s_wait_loadcnt_dscnt 0xa00
	v_mul_f64_e32 v[180:181], v[186:187], v[140:141]
	v_mul_f64_e32 v[140:141], v[188:189], v[140:141]
	v_fmac_f64_e32 v[196:197], v[6:7], v[134:135]
	v_fma_f64 v[134:135], v[4:5], v[134:135], -v[136:137]
	v_add_f64_e32 v[136:137], v[12:13], v[10:11]
	v_add_f64_e32 v[178:179], v[178:179], v[192:193]
	ds_load_b128 v[4:7], v2 offset:1776
	ds_load_b128 v[10:13], v2 offset:1792
	v_fmac_f64_e32 v[180:181], v[188:189], v[138:139]
	v_fma_f64 v[138:139], v[186:187], v[138:139], -v[140:141]
	s_wait_loadcnt_dscnt 0x901
	v_mul_f64_e32 v[190:191], v[4:5], v[144:145]
	v_mul_f64_e32 v[144:145], v[6:7], v[144:145]
	s_wait_loadcnt_dscnt 0x800
	v_mul_f64_e32 v[140:141], v[10:11], v[148:149]
	v_mul_f64_e32 v[148:149], v[12:13], v[148:149]
	v_add_f64_e32 v[134:135], v[136:137], v[134:135]
	v_add_f64_e32 v[136:137], v[178:179], v[196:197]
	v_fmac_f64_e32 v[190:191], v[6:7], v[142:143]
	v_fma_f64 v[142:143], v[4:5], v[142:143], -v[144:145]
	v_fmac_f64_e32 v[140:141], v[12:13], v[146:147]
	v_fma_f64 v[10:11], v[10:11], v[146:147], -v[148:149]
	v_add_f64_e32 v[138:139], v[134:135], v[138:139]
	v_add_f64_e32 v[144:145], v[136:137], v[180:181]
	ds_load_b128 v[4:7], v2 offset:1808
	ds_load_b128 v[134:137], v2 offset:1824
	s_wait_loadcnt_dscnt 0x701
	v_mul_f64_e32 v[178:179], v[4:5], v[152:153]
	v_mul_f64_e32 v[152:153], v[6:7], v[152:153]
	v_add_f64_e32 v[12:13], v[138:139], v[142:143]
	v_add_f64_e32 v[138:139], v[144:145], v[190:191]
	s_wait_loadcnt_dscnt 0x600
	v_mul_f64_e32 v[142:143], v[134:135], v[156:157]
	v_mul_f64_e32 v[144:145], v[136:137], v[156:157]
	v_fmac_f64_e32 v[178:179], v[6:7], v[150:151]
	v_fma_f64 v[146:147], v[4:5], v[150:151], -v[152:153]
	v_add_f64_e32 v[148:149], v[12:13], v[10:11]
	v_add_f64_e32 v[138:139], v[138:139], v[140:141]
	ds_load_b128 v[4:7], v2 offset:1840
	ds_load_b128 v[10:13], v2 offset:1856
	v_fmac_f64_e32 v[142:143], v[136:137], v[154:155]
	v_fma_f64 v[134:135], v[134:135], v[154:155], -v[144:145]
	s_wait_loadcnt_dscnt 0x501
	v_mul_f64_e32 v[140:141], v[4:5], v[160:161]
	v_mul_f64_e32 v[150:151], v[6:7], v[160:161]
	s_wait_loadcnt_dscnt 0x400
	v_mul_f64_e32 v[144:145], v[10:11], v[164:165]
	v_add_f64_e32 v[136:137], v[148:149], v[146:147]
	v_add_f64_e32 v[138:139], v[138:139], v[178:179]
	v_mul_f64_e32 v[146:147], v[12:13], v[164:165]
	v_fmac_f64_e32 v[140:141], v[6:7], v[158:159]
	v_fma_f64 v[148:149], v[4:5], v[158:159], -v[150:151]
	v_fmac_f64_e32 v[144:145], v[12:13], v[162:163]
	v_add_f64_e32 v[150:151], v[136:137], v[134:135]
	v_add_f64_e32 v[138:139], v[138:139], v[142:143]
	ds_load_b128 v[4:7], v2 offset:1872
	ds_load_b128 v[134:137], v2 offset:1888
	v_fma_f64 v[10:11], v[10:11], v[162:163], -v[146:147]
	s_wait_loadcnt_dscnt 0x301
	v_mul_f64_e32 v[142:143], v[4:5], v[172:173]
	v_mul_f64_e32 v[152:153], v[6:7], v[172:173]
	s_wait_loadcnt_dscnt 0x100
	v_mul_f64_e32 v[146:147], v[136:137], v[184:185]
	v_add_f64_e32 v[12:13], v[150:151], v[148:149]
	v_add_f64_e32 v[138:139], v[138:139], v[140:141]
	v_mul_f64_e32 v[140:141], v[134:135], v[184:185]
	v_fmac_f64_e32 v[142:143], v[6:7], v[170:171]
	v_fma_f64 v[148:149], v[4:5], v[170:171], -v[152:153]
	ds_load_b128 v[4:7], v2 offset:1904
	v_fma_f64 v[134:135], v[134:135], v[182:183], -v[146:147]
	v_add_f64_e32 v[10:11], v[12:13], v[10:11]
	v_add_f64_e32 v[12:13], v[138:139], v[144:145]
	v_fmac_f64_e32 v[140:141], v[136:137], v[182:183]
	s_wait_loadcnt_dscnt 0x0
	v_mul_f64_e32 v[138:139], v[4:5], v[168:169]
	v_mul_f64_e32 v[144:145], v[6:7], v[168:169]
	v_add_f64_e32 v[10:11], v[10:11], v[148:149]
	v_add_f64_e32 v[12:13], v[12:13], v[142:143]
	s_delay_alu instid0(VALU_DEP_4) | instskip(NEXT) | instid1(VALU_DEP_4)
	v_fmac_f64_e32 v[138:139], v[6:7], v[166:167]
	v_fma_f64 v[4:5], v[4:5], v[166:167], -v[144:145]
	s_delay_alu instid0(VALU_DEP_4) | instskip(NEXT) | instid1(VALU_DEP_4)
	v_add_f64_e32 v[6:7], v[10:11], v[134:135]
	v_add_f64_e32 v[10:11], v[12:13], v[140:141]
	s_delay_alu instid0(VALU_DEP_2) | instskip(NEXT) | instid1(VALU_DEP_2)
	v_add_f64_e32 v[4:5], v[6:7], v[4:5]
	v_add_f64_e32 v[6:7], v[10:11], v[138:139]
	s_delay_alu instid0(VALU_DEP_2) | instskip(NEXT) | instid1(VALU_DEP_2)
	v_add_f64_e64 v[4:5], v[174:175], -v[4:5]
	v_add_f64_e64 v[6:7], v[176:177], -v[6:7]
	scratch_store_b128 off, v[4:7], off offset:736
	s_wait_xcnt 0x0
	v_cmpx_lt_u32_e32 45, v1
	s_cbranch_execz .LBB123_283
; %bb.282:
	scratch_load_b128 v[10:13], off, s30
	v_dual_mov_b32 v3, v2 :: v_dual_mov_b32 v4, v2
	v_mov_b32_e32 v5, v2
	scratch_store_b128 off, v[2:5], off offset:720
	s_wait_loadcnt 0x0
	ds_store_b128 v8, v[10:13]
.LBB123_283:
	s_wait_xcnt 0x0
	s_or_b32 exec_lo, exec_lo, s2
	s_wait_storecnt_dscnt 0x0
	s_barrier_signal -1
	s_barrier_wait -1
	s_clause 0x9
	scratch_load_b128 v[4:7], off, off offset:736
	scratch_load_b128 v[10:13], off, off offset:752
	scratch_load_b128 v[134:137], off, off offset:768
	scratch_load_b128 v[138:141], off, off offset:784
	scratch_load_b128 v[142:145], off, off offset:800
	scratch_load_b128 v[146:149], off, off offset:816
	scratch_load_b128 v[150:153], off, off offset:832
	scratch_load_b128 v[154:157], off, off offset:848
	scratch_load_b128 v[158:161], off, off offset:864
	scratch_load_b128 v[162:165], off, off offset:880
	ds_load_b128 v[166:169], v2 offset:1696
	ds_load_b128 v[174:177], v2 offset:1712
	s_clause 0x2
	scratch_load_b128 v[170:173], off, off offset:896
	scratch_load_b128 v[178:181], off, off offset:720
	;; [unrolled: 1-line block ×3, first 2 shown]
	s_mov_b32 s2, exec_lo
	s_wait_loadcnt_dscnt 0xc01
	v_mul_f64_e32 v[186:187], v[168:169], v[6:7]
	v_mul_f64_e32 v[190:191], v[166:167], v[6:7]
	s_wait_loadcnt_dscnt 0xb00
	v_mul_f64_e32 v[192:193], v[174:175], v[12:13]
	v_mul_f64_e32 v[12:13], v[176:177], v[12:13]
	s_delay_alu instid0(VALU_DEP_4) | instskip(NEXT) | instid1(VALU_DEP_4)
	v_fma_f64 v[194:195], v[166:167], v[4:5], -v[186:187]
	v_fmac_f64_e32 v[190:191], v[168:169], v[4:5]
	ds_load_b128 v[4:7], v2 offset:1728
	ds_load_b128 v[166:169], v2 offset:1744
	scratch_load_b128 v[186:189], off, off offset:928
	v_fmac_f64_e32 v[192:193], v[176:177], v[10:11]
	v_fma_f64 v[174:175], v[174:175], v[10:11], -v[12:13]
	scratch_load_b128 v[10:13], off, off offset:944
	s_wait_loadcnt_dscnt 0xc01
	v_mul_f64_e32 v[196:197], v[4:5], v[136:137]
	v_mul_f64_e32 v[136:137], v[6:7], v[136:137]
	v_add_f64_e32 v[176:177], 0, v[194:195]
	v_add_f64_e32 v[190:191], 0, v[190:191]
	s_wait_loadcnt_dscnt 0xb00
	v_mul_f64_e32 v[194:195], v[166:167], v[140:141]
	v_mul_f64_e32 v[140:141], v[168:169], v[140:141]
	v_fmac_f64_e32 v[196:197], v[6:7], v[134:135]
	v_fma_f64 v[198:199], v[4:5], v[134:135], -v[136:137]
	ds_load_b128 v[4:7], v2 offset:1760
	ds_load_b128 v[134:137], v2 offset:1776
	v_add_f64_e32 v[174:175], v[176:177], v[174:175]
	v_add_f64_e32 v[176:177], v[190:191], v[192:193]
	v_fmac_f64_e32 v[194:195], v[168:169], v[138:139]
	v_fma_f64 v[138:139], v[166:167], v[138:139], -v[140:141]
	s_wait_loadcnt_dscnt 0xa01
	v_mul_f64_e32 v[190:191], v[4:5], v[144:145]
	v_mul_f64_e32 v[144:145], v[6:7], v[144:145]
	s_wait_loadcnt_dscnt 0x900
	v_mul_f64_e32 v[168:169], v[134:135], v[148:149]
	v_mul_f64_e32 v[148:149], v[136:137], v[148:149]
	v_add_f64_e32 v[140:141], v[174:175], v[198:199]
	v_add_f64_e32 v[166:167], v[176:177], v[196:197]
	v_fmac_f64_e32 v[190:191], v[6:7], v[142:143]
	v_fma_f64 v[142:143], v[4:5], v[142:143], -v[144:145]
	v_fmac_f64_e32 v[168:169], v[136:137], v[146:147]
	v_fma_f64 v[134:135], v[134:135], v[146:147], -v[148:149]
	v_add_f64_e32 v[144:145], v[140:141], v[138:139]
	v_add_f64_e32 v[166:167], v[166:167], v[194:195]
	ds_load_b128 v[4:7], v2 offset:1792
	ds_load_b128 v[138:141], v2 offset:1808
	s_wait_loadcnt_dscnt 0x801
	v_mul_f64_e32 v[174:175], v[4:5], v[152:153]
	v_mul_f64_e32 v[152:153], v[6:7], v[152:153]
	s_wait_loadcnt_dscnt 0x700
	v_mul_f64_e32 v[146:147], v[140:141], v[156:157]
	v_add_f64_e32 v[136:137], v[144:145], v[142:143]
	v_add_f64_e32 v[142:143], v[166:167], v[190:191]
	v_mul_f64_e32 v[144:145], v[138:139], v[156:157]
	v_fmac_f64_e32 v[174:175], v[6:7], v[150:151]
	v_fma_f64 v[148:149], v[4:5], v[150:151], -v[152:153]
	v_fma_f64 v[138:139], v[138:139], v[154:155], -v[146:147]
	v_add_f64_e32 v[150:151], v[136:137], v[134:135]
	v_add_f64_e32 v[142:143], v[142:143], v[168:169]
	ds_load_b128 v[4:7], v2 offset:1824
	ds_load_b128 v[134:137], v2 offset:1840
	v_fmac_f64_e32 v[144:145], v[140:141], v[154:155]
	s_wait_loadcnt_dscnt 0x601
	v_mul_f64_e32 v[152:153], v[4:5], v[160:161]
	v_mul_f64_e32 v[156:157], v[6:7], v[160:161]
	s_wait_loadcnt_dscnt 0x500
	v_mul_f64_e32 v[146:147], v[134:135], v[164:165]
	v_add_f64_e32 v[140:141], v[150:151], v[148:149]
	v_add_f64_e32 v[142:143], v[142:143], v[174:175]
	v_mul_f64_e32 v[148:149], v[136:137], v[164:165]
	v_fmac_f64_e32 v[152:153], v[6:7], v[158:159]
	v_fma_f64 v[150:151], v[4:5], v[158:159], -v[156:157]
	v_fmac_f64_e32 v[146:147], v[136:137], v[162:163]
	v_add_f64_e32 v[154:155], v[140:141], v[138:139]
	v_add_f64_e32 v[142:143], v[142:143], v[144:145]
	ds_load_b128 v[4:7], v2 offset:1856
	ds_load_b128 v[138:141], v2 offset:1872
	v_fma_f64 v[134:135], v[134:135], v[162:163], -v[148:149]
	s_wait_loadcnt_dscnt 0x401
	v_mul_f64_e32 v[144:145], v[4:5], v[172:173]
	v_mul_f64_e32 v[156:157], v[6:7], v[172:173]
	s_wait_loadcnt_dscnt 0x200
	v_mul_f64_e32 v[148:149], v[138:139], v[184:185]
	v_add_f64_e32 v[136:137], v[154:155], v[150:151]
	v_add_f64_e32 v[142:143], v[142:143], v[152:153]
	v_mul_f64_e32 v[150:151], v[140:141], v[184:185]
	v_fmac_f64_e32 v[144:145], v[6:7], v[170:171]
	v_fma_f64 v[152:153], v[4:5], v[170:171], -v[156:157]
	v_fmac_f64_e32 v[148:149], v[140:141], v[182:183]
	v_add_f64_e32 v[154:155], v[136:137], v[134:135]
	v_add_f64_e32 v[142:143], v[142:143], v[146:147]
	ds_load_b128 v[4:7], v2 offset:1888
	ds_load_b128 v[134:137], v2 offset:1904
	v_fma_f64 v[138:139], v[138:139], v[182:183], -v[150:151]
	s_wait_loadcnt_dscnt 0x101
	v_mul_f64_e32 v[2:3], v[4:5], v[188:189]
	v_mul_f64_e32 v[146:147], v[6:7], v[188:189]
	v_add_f64_e32 v[140:141], v[154:155], v[152:153]
	v_add_f64_e32 v[142:143], v[142:143], v[144:145]
	s_wait_loadcnt_dscnt 0x0
	v_mul_f64_e32 v[144:145], v[134:135], v[12:13]
	v_mul_f64_e32 v[12:13], v[136:137], v[12:13]
	v_fmac_f64_e32 v[2:3], v[6:7], v[186:187]
	v_fma_f64 v[4:5], v[4:5], v[186:187], -v[146:147]
	v_add_f64_e32 v[6:7], v[140:141], v[138:139]
	v_add_f64_e32 v[138:139], v[142:143], v[148:149]
	v_fmac_f64_e32 v[144:145], v[136:137], v[10:11]
	v_fma_f64 v[10:11], v[134:135], v[10:11], -v[12:13]
	s_delay_alu instid0(VALU_DEP_4) | instskip(NEXT) | instid1(VALU_DEP_4)
	v_add_f64_e32 v[4:5], v[6:7], v[4:5]
	v_add_f64_e32 v[2:3], v[138:139], v[2:3]
	s_delay_alu instid0(VALU_DEP_2) | instskip(NEXT) | instid1(VALU_DEP_2)
	v_add_f64_e32 v[4:5], v[4:5], v[10:11]
	v_add_f64_e32 v[6:7], v[2:3], v[144:145]
	s_delay_alu instid0(VALU_DEP_2) | instskip(NEXT) | instid1(VALU_DEP_2)
	v_add_f64_e64 v[2:3], v[178:179], -v[4:5]
	v_add_f64_e64 v[4:5], v[180:181], -v[6:7]
	scratch_store_b128 off, v[2:5], off offset:720
	s_wait_xcnt 0x0
	v_cmpx_lt_u32_e32 44, v1
	s_cbranch_execz .LBB123_285
; %bb.284:
	scratch_load_b128 v[2:5], off, s31
	v_mov_b32_e32 v10, 0
	s_delay_alu instid0(VALU_DEP_1)
	v_dual_mov_b32 v11, v10 :: v_dual_mov_b32 v12, v10
	v_mov_b32_e32 v13, v10
	scratch_store_b128 off, v[10:13], off offset:704
	s_wait_loadcnt 0x0
	ds_store_b128 v8, v[2:5]
.LBB123_285:
	s_wait_xcnt 0x0
	s_or_b32 exec_lo, exec_lo, s2
	s_wait_storecnt_dscnt 0x0
	s_barrier_signal -1
	s_barrier_wait -1
	s_clause 0x9
	scratch_load_b128 v[4:7], off, off offset:720
	scratch_load_b128 v[10:13], off, off offset:736
	;; [unrolled: 1-line block ×10, first 2 shown]
	v_mov_b32_e32 v2, 0
	s_mov_b32 s2, exec_lo
	ds_load_b128 v[166:169], v2 offset:1680
	s_clause 0x2
	scratch_load_b128 v[170:173], off, off offset:880
	scratch_load_b128 v[174:177], off, off offset:704
	;; [unrolled: 1-line block ×3, first 2 shown]
	s_wait_loadcnt_dscnt 0xc00
	v_mul_f64_e32 v[186:187], v[168:169], v[6:7]
	v_mul_f64_e32 v[190:191], v[166:167], v[6:7]
	ds_load_b128 v[178:181], v2 offset:1696
	v_fma_f64 v[194:195], v[166:167], v[4:5], -v[186:187]
	v_fmac_f64_e32 v[190:191], v[168:169], v[4:5]
	ds_load_b128 v[4:7], v2 offset:1712
	s_wait_loadcnt_dscnt 0xb01
	v_mul_f64_e32 v[192:193], v[178:179], v[12:13]
	v_mul_f64_e32 v[12:13], v[180:181], v[12:13]
	scratch_load_b128 v[166:169], off, off offset:912
	ds_load_b128 v[186:189], v2 offset:1728
	s_wait_loadcnt_dscnt 0xb01
	v_mul_f64_e32 v[196:197], v[4:5], v[136:137]
	v_mul_f64_e32 v[136:137], v[6:7], v[136:137]
	v_add_f64_e32 v[190:191], 0, v[190:191]
	v_fmac_f64_e32 v[192:193], v[180:181], v[10:11]
	v_fma_f64 v[178:179], v[178:179], v[10:11], -v[12:13]
	v_add_f64_e32 v[180:181], 0, v[194:195]
	scratch_load_b128 v[10:13], off, off offset:928
	v_fmac_f64_e32 v[196:197], v[6:7], v[134:135]
	v_fma_f64 v[198:199], v[4:5], v[134:135], -v[136:137]
	ds_load_b128 v[4:7], v2 offset:1744
	s_wait_loadcnt_dscnt 0xb01
	v_mul_f64_e32 v[194:195], v[186:187], v[140:141]
	v_mul_f64_e32 v[140:141], v[188:189], v[140:141]
	scratch_load_b128 v[134:137], off, off offset:944
	v_add_f64_e32 v[190:191], v[190:191], v[192:193]
	v_add_f64_e32 v[200:201], v[180:181], v[178:179]
	ds_load_b128 v[178:181], v2 offset:1760
	s_wait_loadcnt_dscnt 0xb01
	v_mul_f64_e32 v[192:193], v[4:5], v[144:145]
	v_mul_f64_e32 v[144:145], v[6:7], v[144:145]
	v_fmac_f64_e32 v[194:195], v[188:189], v[138:139]
	v_fma_f64 v[138:139], v[186:187], v[138:139], -v[140:141]
	s_wait_loadcnt_dscnt 0xa00
	v_mul_f64_e32 v[188:189], v[178:179], v[148:149]
	v_mul_f64_e32 v[148:149], v[180:181], v[148:149]
	v_add_f64_e32 v[186:187], v[190:191], v[196:197]
	v_add_f64_e32 v[140:141], v[200:201], v[198:199]
	v_fmac_f64_e32 v[192:193], v[6:7], v[142:143]
	v_fma_f64 v[142:143], v[4:5], v[142:143], -v[144:145]
	v_fmac_f64_e32 v[188:189], v[180:181], v[146:147]
	v_fma_f64 v[146:147], v[178:179], v[146:147], -v[148:149]
	v_add_f64_e32 v[186:187], v[186:187], v[194:195]
	v_add_f64_e32 v[144:145], v[140:141], v[138:139]
	ds_load_b128 v[4:7], v2 offset:1776
	ds_load_b128 v[138:141], v2 offset:1792
	s_wait_loadcnt_dscnt 0x901
	v_mul_f64_e32 v[190:191], v[4:5], v[152:153]
	v_mul_f64_e32 v[152:153], v[6:7], v[152:153]
	s_wait_loadcnt_dscnt 0x800
	v_mul_f64_e32 v[148:149], v[138:139], v[156:157]
	v_mul_f64_e32 v[156:157], v[140:141], v[156:157]
	v_add_f64_e32 v[142:143], v[144:145], v[142:143]
	v_add_f64_e32 v[144:145], v[186:187], v[192:193]
	v_fmac_f64_e32 v[190:191], v[6:7], v[150:151]
	v_fma_f64 v[150:151], v[4:5], v[150:151], -v[152:153]
	v_fmac_f64_e32 v[148:149], v[140:141], v[154:155]
	v_fma_f64 v[138:139], v[138:139], v[154:155], -v[156:157]
	v_add_f64_e32 v[146:147], v[142:143], v[146:147]
	v_add_f64_e32 v[152:153], v[144:145], v[188:189]
	ds_load_b128 v[4:7], v2 offset:1808
	ds_load_b128 v[142:145], v2 offset:1824
	s_wait_loadcnt_dscnt 0x701
	v_mul_f64_e32 v[178:179], v[4:5], v[160:161]
	v_mul_f64_e32 v[160:161], v[6:7], v[160:161]
	v_add_f64_e32 v[140:141], v[146:147], v[150:151]
	v_add_f64_e32 v[146:147], v[152:153], v[190:191]
	s_wait_loadcnt_dscnt 0x600
	v_mul_f64_e32 v[150:151], v[142:143], v[164:165]
	v_mul_f64_e32 v[152:153], v[144:145], v[164:165]
	v_fmac_f64_e32 v[178:179], v[6:7], v[158:159]
	v_fma_f64 v[154:155], v[4:5], v[158:159], -v[160:161]
	v_add_f64_e32 v[156:157], v[140:141], v[138:139]
	v_add_f64_e32 v[146:147], v[146:147], v[148:149]
	ds_load_b128 v[4:7], v2 offset:1840
	ds_load_b128 v[138:141], v2 offset:1856
	v_fmac_f64_e32 v[150:151], v[144:145], v[162:163]
	v_fma_f64 v[142:143], v[142:143], v[162:163], -v[152:153]
	s_wait_loadcnt_dscnt 0x501
	v_mul_f64_e32 v[148:149], v[4:5], v[172:173]
	v_mul_f64_e32 v[158:159], v[6:7], v[172:173]
	s_wait_loadcnt_dscnt 0x300
	v_mul_f64_e32 v[152:153], v[138:139], v[184:185]
	v_add_f64_e32 v[144:145], v[156:157], v[154:155]
	v_add_f64_e32 v[146:147], v[146:147], v[178:179]
	v_mul_f64_e32 v[154:155], v[140:141], v[184:185]
	v_fmac_f64_e32 v[148:149], v[6:7], v[170:171]
	v_fma_f64 v[156:157], v[4:5], v[170:171], -v[158:159]
	v_fmac_f64_e32 v[152:153], v[140:141], v[182:183]
	v_add_f64_e32 v[158:159], v[144:145], v[142:143]
	v_add_f64_e32 v[146:147], v[146:147], v[150:151]
	ds_load_b128 v[4:7], v2 offset:1872
	ds_load_b128 v[142:145], v2 offset:1888
	v_fma_f64 v[138:139], v[138:139], v[182:183], -v[154:155]
	s_wait_loadcnt_dscnt 0x201
	v_mul_f64_e32 v[150:151], v[4:5], v[168:169]
	v_mul_f64_e32 v[160:161], v[6:7], v[168:169]
	v_add_f64_e32 v[140:141], v[158:159], v[156:157]
	v_add_f64_e32 v[146:147], v[146:147], v[148:149]
	s_wait_loadcnt_dscnt 0x100
	v_mul_f64_e32 v[148:149], v[142:143], v[12:13]
	v_mul_f64_e32 v[12:13], v[144:145], v[12:13]
	v_fmac_f64_e32 v[150:151], v[6:7], v[166:167]
	v_fma_f64 v[154:155], v[4:5], v[166:167], -v[160:161]
	ds_load_b128 v[4:7], v2 offset:1904
	v_add_f64_e32 v[138:139], v[140:141], v[138:139]
	v_add_f64_e32 v[140:141], v[146:147], v[152:153]
	v_fmac_f64_e32 v[148:149], v[144:145], v[10:11]
	v_fma_f64 v[10:11], v[142:143], v[10:11], -v[12:13]
	s_wait_loadcnt_dscnt 0x0
	v_mul_f64_e32 v[146:147], v[4:5], v[136:137]
	v_mul_f64_e32 v[136:137], v[6:7], v[136:137]
	v_add_f64_e32 v[12:13], v[138:139], v[154:155]
	v_add_f64_e32 v[138:139], v[140:141], v[150:151]
	s_delay_alu instid0(VALU_DEP_4) | instskip(NEXT) | instid1(VALU_DEP_4)
	v_fmac_f64_e32 v[146:147], v[6:7], v[134:135]
	v_fma_f64 v[4:5], v[4:5], v[134:135], -v[136:137]
	s_delay_alu instid0(VALU_DEP_4) | instskip(NEXT) | instid1(VALU_DEP_4)
	v_add_f64_e32 v[6:7], v[12:13], v[10:11]
	v_add_f64_e32 v[10:11], v[138:139], v[148:149]
	s_delay_alu instid0(VALU_DEP_2) | instskip(NEXT) | instid1(VALU_DEP_2)
	v_add_f64_e32 v[4:5], v[6:7], v[4:5]
	v_add_f64_e32 v[6:7], v[10:11], v[146:147]
	s_delay_alu instid0(VALU_DEP_2) | instskip(NEXT) | instid1(VALU_DEP_2)
	v_add_f64_e64 v[4:5], v[174:175], -v[4:5]
	v_add_f64_e64 v[6:7], v[176:177], -v[6:7]
	scratch_store_b128 off, v[4:7], off offset:704
	s_wait_xcnt 0x0
	v_cmpx_lt_u32_e32 43, v1
	s_cbranch_execz .LBB123_287
; %bb.286:
	scratch_load_b128 v[10:13], off, s33
	v_dual_mov_b32 v3, v2 :: v_dual_mov_b32 v4, v2
	v_mov_b32_e32 v5, v2
	scratch_store_b128 off, v[2:5], off offset:688
	s_wait_loadcnt 0x0
	ds_store_b128 v8, v[10:13]
.LBB123_287:
	s_wait_xcnt 0x0
	s_or_b32 exec_lo, exec_lo, s2
	s_wait_storecnt_dscnt 0x0
	s_barrier_signal -1
	s_barrier_wait -1
	s_clause 0x9
	scratch_load_b128 v[4:7], off, off offset:704
	scratch_load_b128 v[10:13], off, off offset:720
	scratch_load_b128 v[134:137], off, off offset:736
	scratch_load_b128 v[138:141], off, off offset:752
	scratch_load_b128 v[142:145], off, off offset:768
	scratch_load_b128 v[146:149], off, off offset:784
	scratch_load_b128 v[150:153], off, off offset:800
	scratch_load_b128 v[154:157], off, off offset:816
	scratch_load_b128 v[158:161], off, off offset:832
	scratch_load_b128 v[162:165], off, off offset:848
	ds_load_b128 v[166:169], v2 offset:1664
	ds_load_b128 v[174:177], v2 offset:1680
	s_clause 0x2
	scratch_load_b128 v[170:173], off, off offset:864
	scratch_load_b128 v[178:181], off, off offset:688
	;; [unrolled: 1-line block ×3, first 2 shown]
	s_mov_b32 s2, exec_lo
	s_wait_loadcnt_dscnt 0xc01
	v_mul_f64_e32 v[186:187], v[168:169], v[6:7]
	v_mul_f64_e32 v[190:191], v[166:167], v[6:7]
	s_wait_loadcnt_dscnt 0xb00
	v_mul_f64_e32 v[192:193], v[174:175], v[12:13]
	v_mul_f64_e32 v[12:13], v[176:177], v[12:13]
	s_delay_alu instid0(VALU_DEP_4) | instskip(NEXT) | instid1(VALU_DEP_4)
	v_fma_f64 v[194:195], v[166:167], v[4:5], -v[186:187]
	v_fmac_f64_e32 v[190:191], v[168:169], v[4:5]
	ds_load_b128 v[4:7], v2 offset:1696
	ds_load_b128 v[166:169], v2 offset:1712
	scratch_load_b128 v[186:189], off, off offset:896
	v_fmac_f64_e32 v[192:193], v[176:177], v[10:11]
	v_fma_f64 v[174:175], v[174:175], v[10:11], -v[12:13]
	scratch_load_b128 v[10:13], off, off offset:912
	s_wait_loadcnt_dscnt 0xc01
	v_mul_f64_e32 v[196:197], v[4:5], v[136:137]
	v_mul_f64_e32 v[136:137], v[6:7], v[136:137]
	v_add_f64_e32 v[176:177], 0, v[194:195]
	v_add_f64_e32 v[190:191], 0, v[190:191]
	s_wait_loadcnt_dscnt 0xb00
	v_mul_f64_e32 v[194:195], v[166:167], v[140:141]
	v_mul_f64_e32 v[140:141], v[168:169], v[140:141]
	v_fmac_f64_e32 v[196:197], v[6:7], v[134:135]
	v_fma_f64 v[198:199], v[4:5], v[134:135], -v[136:137]
	ds_load_b128 v[4:7], v2 offset:1728
	ds_load_b128 v[134:137], v2 offset:1744
	v_add_f64_e32 v[200:201], v[176:177], v[174:175]
	v_add_f64_e32 v[190:191], v[190:191], v[192:193]
	scratch_load_b128 v[174:177], off, off offset:928
	v_fmac_f64_e32 v[194:195], v[168:169], v[138:139]
	v_fma_f64 v[166:167], v[166:167], v[138:139], -v[140:141]
	scratch_load_b128 v[138:141], off, off offset:944
	s_wait_loadcnt_dscnt 0xc01
	v_mul_f64_e32 v[192:193], v[4:5], v[144:145]
	v_mul_f64_e32 v[144:145], v[6:7], v[144:145]
	v_add_f64_e32 v[168:169], v[200:201], v[198:199]
	v_add_f64_e32 v[190:191], v[190:191], v[196:197]
	s_wait_loadcnt_dscnt 0xb00
	v_mul_f64_e32 v[196:197], v[134:135], v[148:149]
	v_mul_f64_e32 v[148:149], v[136:137], v[148:149]
	v_fmac_f64_e32 v[192:193], v[6:7], v[142:143]
	v_fma_f64 v[198:199], v[4:5], v[142:143], -v[144:145]
	ds_load_b128 v[4:7], v2 offset:1760
	ds_load_b128 v[142:145], v2 offset:1776
	v_add_f64_e32 v[166:167], v[168:169], v[166:167]
	v_add_f64_e32 v[168:169], v[190:191], v[194:195]
	s_wait_loadcnt_dscnt 0xa01
	v_mul_f64_e32 v[190:191], v[4:5], v[152:153]
	v_mul_f64_e32 v[152:153], v[6:7], v[152:153]
	v_fmac_f64_e32 v[196:197], v[136:137], v[146:147]
	v_fma_f64 v[134:135], v[134:135], v[146:147], -v[148:149]
	s_wait_loadcnt_dscnt 0x900
	v_mul_f64_e32 v[148:149], v[142:143], v[156:157]
	v_mul_f64_e32 v[156:157], v[144:145], v[156:157]
	v_add_f64_e32 v[136:137], v[166:167], v[198:199]
	v_add_f64_e32 v[146:147], v[168:169], v[192:193]
	v_fmac_f64_e32 v[190:191], v[6:7], v[150:151]
	v_fma_f64 v[150:151], v[4:5], v[150:151], -v[152:153]
	v_fmac_f64_e32 v[148:149], v[144:145], v[154:155]
	v_fma_f64 v[142:143], v[142:143], v[154:155], -v[156:157]
	v_add_f64_e32 v[152:153], v[136:137], v[134:135]
	v_add_f64_e32 v[146:147], v[146:147], v[196:197]
	ds_load_b128 v[4:7], v2 offset:1792
	ds_load_b128 v[134:137], v2 offset:1808
	s_wait_loadcnt_dscnt 0x801
	v_mul_f64_e32 v[166:167], v[4:5], v[160:161]
	v_mul_f64_e32 v[160:161], v[6:7], v[160:161]
	v_add_f64_e32 v[144:145], v[152:153], v[150:151]
	v_add_f64_e32 v[146:147], v[146:147], v[190:191]
	s_wait_loadcnt_dscnt 0x700
	v_mul_f64_e32 v[150:151], v[134:135], v[164:165]
	v_mul_f64_e32 v[152:153], v[136:137], v[164:165]
	v_fmac_f64_e32 v[166:167], v[6:7], v[158:159]
	v_fma_f64 v[154:155], v[4:5], v[158:159], -v[160:161]
	v_add_f64_e32 v[156:157], v[144:145], v[142:143]
	v_add_f64_e32 v[146:147], v[146:147], v[148:149]
	ds_load_b128 v[4:7], v2 offset:1824
	ds_load_b128 v[142:145], v2 offset:1840
	v_fmac_f64_e32 v[150:151], v[136:137], v[162:163]
	v_fma_f64 v[134:135], v[134:135], v[162:163], -v[152:153]
	s_wait_loadcnt_dscnt 0x601
	v_mul_f64_e32 v[148:149], v[4:5], v[172:173]
	v_mul_f64_e32 v[158:159], v[6:7], v[172:173]
	s_wait_loadcnt_dscnt 0x400
	v_mul_f64_e32 v[152:153], v[142:143], v[184:185]
	v_add_f64_e32 v[136:137], v[156:157], v[154:155]
	v_add_f64_e32 v[146:147], v[146:147], v[166:167]
	v_mul_f64_e32 v[154:155], v[144:145], v[184:185]
	v_fmac_f64_e32 v[148:149], v[6:7], v[170:171]
	v_fma_f64 v[156:157], v[4:5], v[170:171], -v[158:159]
	v_fmac_f64_e32 v[152:153], v[144:145], v[182:183]
	v_add_f64_e32 v[158:159], v[136:137], v[134:135]
	v_add_f64_e32 v[146:147], v[146:147], v[150:151]
	ds_load_b128 v[4:7], v2 offset:1856
	ds_load_b128 v[134:137], v2 offset:1872
	v_fma_f64 v[142:143], v[142:143], v[182:183], -v[154:155]
	s_wait_loadcnt_dscnt 0x301
	v_mul_f64_e32 v[150:151], v[4:5], v[188:189]
	v_mul_f64_e32 v[160:161], v[6:7], v[188:189]
	v_add_f64_e32 v[144:145], v[158:159], v[156:157]
	v_add_f64_e32 v[146:147], v[146:147], v[148:149]
	s_wait_loadcnt_dscnt 0x200
	v_mul_f64_e32 v[148:149], v[134:135], v[12:13]
	v_mul_f64_e32 v[12:13], v[136:137], v[12:13]
	v_fmac_f64_e32 v[150:151], v[6:7], v[186:187]
	v_fma_f64 v[154:155], v[4:5], v[186:187], -v[160:161]
	v_add_f64_e32 v[156:157], v[144:145], v[142:143]
	v_add_f64_e32 v[146:147], v[146:147], v[152:153]
	ds_load_b128 v[4:7], v2 offset:1888
	ds_load_b128 v[142:145], v2 offset:1904
	v_fmac_f64_e32 v[148:149], v[136:137], v[10:11]
	v_fma_f64 v[10:11], v[134:135], v[10:11], -v[12:13]
	s_wait_loadcnt_dscnt 0x101
	v_mul_f64_e32 v[2:3], v[4:5], v[176:177]
	v_mul_f64_e32 v[152:153], v[6:7], v[176:177]
	s_wait_loadcnt_dscnt 0x0
	v_mul_f64_e32 v[136:137], v[142:143], v[140:141]
	v_mul_f64_e32 v[140:141], v[144:145], v[140:141]
	v_add_f64_e32 v[12:13], v[156:157], v[154:155]
	v_add_f64_e32 v[134:135], v[146:147], v[150:151]
	v_fmac_f64_e32 v[2:3], v[6:7], v[174:175]
	v_fma_f64 v[4:5], v[4:5], v[174:175], -v[152:153]
	v_fmac_f64_e32 v[136:137], v[144:145], v[138:139]
	v_add_f64_e32 v[6:7], v[12:13], v[10:11]
	v_add_f64_e32 v[10:11], v[134:135], v[148:149]
	v_fma_f64 v[12:13], v[142:143], v[138:139], -v[140:141]
	s_delay_alu instid0(VALU_DEP_3) | instskip(NEXT) | instid1(VALU_DEP_3)
	v_add_f64_e32 v[4:5], v[6:7], v[4:5]
	v_add_f64_e32 v[2:3], v[10:11], v[2:3]
	s_delay_alu instid0(VALU_DEP_2) | instskip(NEXT) | instid1(VALU_DEP_2)
	v_add_f64_e32 v[4:5], v[4:5], v[12:13]
	v_add_f64_e32 v[6:7], v[2:3], v[136:137]
	s_delay_alu instid0(VALU_DEP_2) | instskip(NEXT) | instid1(VALU_DEP_2)
	v_add_f64_e64 v[2:3], v[178:179], -v[4:5]
	v_add_f64_e64 v[4:5], v[180:181], -v[6:7]
	scratch_store_b128 off, v[2:5], off offset:688
	s_wait_xcnt 0x0
	v_cmpx_lt_u32_e32 42, v1
	s_cbranch_execz .LBB123_289
; %bb.288:
	scratch_load_b128 v[2:5], off, s34
	v_mov_b32_e32 v10, 0
	s_delay_alu instid0(VALU_DEP_1)
	v_dual_mov_b32 v11, v10 :: v_dual_mov_b32 v12, v10
	v_mov_b32_e32 v13, v10
	scratch_store_b128 off, v[10:13], off offset:672
	s_wait_loadcnt 0x0
	ds_store_b128 v8, v[2:5]
.LBB123_289:
	s_wait_xcnt 0x0
	s_or_b32 exec_lo, exec_lo, s2
	s_wait_storecnt_dscnt 0x0
	s_barrier_signal -1
	s_barrier_wait -1
	s_clause 0x9
	scratch_load_b128 v[4:7], off, off offset:688
	scratch_load_b128 v[10:13], off, off offset:704
	;; [unrolled: 1-line block ×10, first 2 shown]
	v_mov_b32_e32 v2, 0
	s_mov_b32 s2, exec_lo
	ds_load_b128 v[166:169], v2 offset:1648
	s_clause 0x2
	scratch_load_b128 v[170:173], off, off offset:848
	scratch_load_b128 v[174:177], off, off offset:672
	;; [unrolled: 1-line block ×3, first 2 shown]
	s_wait_loadcnt_dscnt 0xc00
	v_mul_f64_e32 v[186:187], v[168:169], v[6:7]
	v_mul_f64_e32 v[190:191], v[166:167], v[6:7]
	ds_load_b128 v[178:181], v2 offset:1664
	v_fma_f64 v[194:195], v[166:167], v[4:5], -v[186:187]
	v_fmac_f64_e32 v[190:191], v[168:169], v[4:5]
	ds_load_b128 v[4:7], v2 offset:1680
	s_wait_loadcnt_dscnt 0xb01
	v_mul_f64_e32 v[192:193], v[178:179], v[12:13]
	v_mul_f64_e32 v[12:13], v[180:181], v[12:13]
	scratch_load_b128 v[166:169], off, off offset:880
	ds_load_b128 v[186:189], v2 offset:1696
	s_wait_loadcnt_dscnt 0xb01
	v_mul_f64_e32 v[196:197], v[4:5], v[136:137]
	v_mul_f64_e32 v[136:137], v[6:7], v[136:137]
	v_add_f64_e32 v[190:191], 0, v[190:191]
	v_fmac_f64_e32 v[192:193], v[180:181], v[10:11]
	v_fma_f64 v[178:179], v[178:179], v[10:11], -v[12:13]
	v_add_f64_e32 v[180:181], 0, v[194:195]
	scratch_load_b128 v[10:13], off, off offset:896
	v_fmac_f64_e32 v[196:197], v[6:7], v[134:135]
	v_fma_f64 v[198:199], v[4:5], v[134:135], -v[136:137]
	ds_load_b128 v[4:7], v2 offset:1712
	s_wait_loadcnt_dscnt 0xb01
	v_mul_f64_e32 v[194:195], v[186:187], v[140:141]
	v_mul_f64_e32 v[140:141], v[188:189], v[140:141]
	scratch_load_b128 v[134:137], off, off offset:912
	v_add_f64_e32 v[190:191], v[190:191], v[192:193]
	v_add_f64_e32 v[200:201], v[180:181], v[178:179]
	ds_load_b128 v[178:181], v2 offset:1728
	s_wait_loadcnt_dscnt 0xb01
	v_mul_f64_e32 v[192:193], v[4:5], v[144:145]
	v_mul_f64_e32 v[144:145], v[6:7], v[144:145]
	v_fmac_f64_e32 v[194:195], v[188:189], v[138:139]
	v_fma_f64 v[186:187], v[186:187], v[138:139], -v[140:141]
	scratch_load_b128 v[138:141], off, off offset:928
	v_add_f64_e32 v[190:191], v[190:191], v[196:197]
	v_add_f64_e32 v[188:189], v[200:201], v[198:199]
	v_fmac_f64_e32 v[192:193], v[6:7], v[142:143]
	v_fma_f64 v[198:199], v[4:5], v[142:143], -v[144:145]
	ds_load_b128 v[4:7], v2 offset:1744
	s_wait_loadcnt_dscnt 0xb01
	v_mul_f64_e32 v[196:197], v[178:179], v[148:149]
	v_mul_f64_e32 v[148:149], v[180:181], v[148:149]
	scratch_load_b128 v[142:145], off, off offset:944
	v_add_f64_e32 v[190:191], v[190:191], v[194:195]
	s_wait_loadcnt_dscnt 0xb00
	v_mul_f64_e32 v[194:195], v[4:5], v[152:153]
	v_add_f64_e32 v[200:201], v[188:189], v[186:187]
	v_mul_f64_e32 v[152:153], v[6:7], v[152:153]
	ds_load_b128 v[186:189], v2 offset:1760
	v_fmac_f64_e32 v[196:197], v[180:181], v[146:147]
	v_fma_f64 v[146:147], v[178:179], v[146:147], -v[148:149]
	s_wait_loadcnt_dscnt 0xa00
	v_mul_f64_e32 v[180:181], v[186:187], v[156:157]
	v_mul_f64_e32 v[156:157], v[188:189], v[156:157]
	v_add_f64_e32 v[178:179], v[190:191], v[192:193]
	v_fmac_f64_e32 v[194:195], v[6:7], v[150:151]
	v_add_f64_e32 v[148:149], v[200:201], v[198:199]
	v_fma_f64 v[150:151], v[4:5], v[150:151], -v[152:153]
	v_fmac_f64_e32 v[180:181], v[188:189], v[154:155]
	v_fma_f64 v[154:155], v[186:187], v[154:155], -v[156:157]
	v_add_f64_e32 v[178:179], v[178:179], v[196:197]
	v_add_f64_e32 v[152:153], v[148:149], v[146:147]
	ds_load_b128 v[4:7], v2 offset:1776
	ds_load_b128 v[146:149], v2 offset:1792
	s_wait_loadcnt_dscnt 0x901
	v_mul_f64_e32 v[190:191], v[4:5], v[160:161]
	v_mul_f64_e32 v[160:161], v[6:7], v[160:161]
	s_wait_loadcnt_dscnt 0x800
	v_mul_f64_e32 v[156:157], v[146:147], v[164:165]
	v_mul_f64_e32 v[164:165], v[148:149], v[164:165]
	v_add_f64_e32 v[150:151], v[152:153], v[150:151]
	v_add_f64_e32 v[152:153], v[178:179], v[194:195]
	v_fmac_f64_e32 v[190:191], v[6:7], v[158:159]
	v_fma_f64 v[158:159], v[4:5], v[158:159], -v[160:161]
	v_fmac_f64_e32 v[156:157], v[148:149], v[162:163]
	v_fma_f64 v[146:147], v[146:147], v[162:163], -v[164:165]
	v_add_f64_e32 v[154:155], v[150:151], v[154:155]
	v_add_f64_e32 v[160:161], v[152:153], v[180:181]
	ds_load_b128 v[4:7], v2 offset:1808
	ds_load_b128 v[150:153], v2 offset:1824
	s_wait_loadcnt_dscnt 0x701
	v_mul_f64_e32 v[178:179], v[4:5], v[172:173]
	v_mul_f64_e32 v[172:173], v[6:7], v[172:173]
	v_add_f64_e32 v[148:149], v[154:155], v[158:159]
	v_add_f64_e32 v[154:155], v[160:161], v[190:191]
	s_wait_loadcnt_dscnt 0x500
	v_mul_f64_e32 v[158:159], v[150:151], v[184:185]
	v_mul_f64_e32 v[160:161], v[152:153], v[184:185]
	v_fmac_f64_e32 v[178:179], v[6:7], v[170:171]
	v_fma_f64 v[162:163], v[4:5], v[170:171], -v[172:173]
	v_add_f64_e32 v[164:165], v[148:149], v[146:147]
	v_add_f64_e32 v[154:155], v[154:155], v[156:157]
	ds_load_b128 v[4:7], v2 offset:1840
	ds_load_b128 v[146:149], v2 offset:1856
	v_fmac_f64_e32 v[158:159], v[152:153], v[182:183]
	v_fma_f64 v[150:151], v[150:151], v[182:183], -v[160:161]
	s_wait_loadcnt_dscnt 0x401
	v_mul_f64_e32 v[156:157], v[4:5], v[168:169]
	v_mul_f64_e32 v[168:169], v[6:7], v[168:169]
	v_add_f64_e32 v[152:153], v[164:165], v[162:163]
	v_add_f64_e32 v[154:155], v[154:155], v[178:179]
	s_wait_loadcnt_dscnt 0x300
	v_mul_f64_e32 v[160:161], v[146:147], v[12:13]
	v_mul_f64_e32 v[12:13], v[148:149], v[12:13]
	v_fmac_f64_e32 v[156:157], v[6:7], v[166:167]
	v_fma_f64 v[162:163], v[4:5], v[166:167], -v[168:169]
	v_add_f64_e32 v[164:165], v[152:153], v[150:151]
	v_add_f64_e32 v[154:155], v[154:155], v[158:159]
	ds_load_b128 v[4:7], v2 offset:1872
	ds_load_b128 v[150:153], v2 offset:1888
	v_fmac_f64_e32 v[160:161], v[148:149], v[10:11]
	v_fma_f64 v[10:11], v[146:147], v[10:11], -v[12:13]
	s_wait_loadcnt_dscnt 0x201
	v_mul_f64_e32 v[158:159], v[4:5], v[136:137]
	v_mul_f64_e32 v[136:137], v[6:7], v[136:137]
	s_wait_loadcnt_dscnt 0x100
	v_mul_f64_e32 v[148:149], v[150:151], v[140:141]
	v_mul_f64_e32 v[140:141], v[152:153], v[140:141]
	v_add_f64_e32 v[12:13], v[164:165], v[162:163]
	v_add_f64_e32 v[146:147], v[154:155], v[156:157]
	v_fmac_f64_e32 v[158:159], v[6:7], v[134:135]
	v_fma_f64 v[134:135], v[4:5], v[134:135], -v[136:137]
	ds_load_b128 v[4:7], v2 offset:1904
	v_fmac_f64_e32 v[148:149], v[152:153], v[138:139]
	v_fma_f64 v[138:139], v[150:151], v[138:139], -v[140:141]
	v_add_f64_e32 v[10:11], v[12:13], v[10:11]
	v_add_f64_e32 v[12:13], v[146:147], v[160:161]
	s_wait_loadcnt_dscnt 0x0
	v_mul_f64_e32 v[136:137], v[4:5], v[144:145]
	v_mul_f64_e32 v[144:145], v[6:7], v[144:145]
	s_delay_alu instid0(VALU_DEP_4) | instskip(NEXT) | instid1(VALU_DEP_4)
	v_add_f64_e32 v[10:11], v[10:11], v[134:135]
	v_add_f64_e32 v[12:13], v[12:13], v[158:159]
	s_delay_alu instid0(VALU_DEP_4) | instskip(NEXT) | instid1(VALU_DEP_4)
	v_fmac_f64_e32 v[136:137], v[6:7], v[142:143]
	v_fma_f64 v[4:5], v[4:5], v[142:143], -v[144:145]
	s_delay_alu instid0(VALU_DEP_4) | instskip(NEXT) | instid1(VALU_DEP_4)
	v_add_f64_e32 v[6:7], v[10:11], v[138:139]
	v_add_f64_e32 v[10:11], v[12:13], v[148:149]
	s_delay_alu instid0(VALU_DEP_2) | instskip(NEXT) | instid1(VALU_DEP_2)
	v_add_f64_e32 v[4:5], v[6:7], v[4:5]
	v_add_f64_e32 v[6:7], v[10:11], v[136:137]
	s_delay_alu instid0(VALU_DEP_2) | instskip(NEXT) | instid1(VALU_DEP_2)
	v_add_f64_e64 v[4:5], v[174:175], -v[4:5]
	v_add_f64_e64 v[6:7], v[176:177], -v[6:7]
	scratch_store_b128 off, v[4:7], off offset:672
	s_wait_xcnt 0x0
	v_cmpx_lt_u32_e32 41, v1
	s_cbranch_execz .LBB123_291
; %bb.290:
	scratch_load_b128 v[10:13], off, s35
	v_dual_mov_b32 v3, v2 :: v_dual_mov_b32 v4, v2
	v_mov_b32_e32 v5, v2
	scratch_store_b128 off, v[2:5], off offset:656
	s_wait_loadcnt 0x0
	ds_store_b128 v8, v[10:13]
.LBB123_291:
	s_wait_xcnt 0x0
	s_or_b32 exec_lo, exec_lo, s2
	s_wait_storecnt_dscnt 0x0
	s_barrier_signal -1
	s_barrier_wait -1
	s_clause 0x9
	scratch_load_b128 v[4:7], off, off offset:672
	scratch_load_b128 v[10:13], off, off offset:688
	;; [unrolled: 1-line block ×10, first 2 shown]
	ds_load_b128 v[166:169], v2 offset:1632
	ds_load_b128 v[174:177], v2 offset:1648
	s_clause 0x2
	scratch_load_b128 v[170:173], off, off offset:832
	scratch_load_b128 v[178:181], off, off offset:656
	scratch_load_b128 v[182:185], off, off offset:848
	s_mov_b32 s2, exec_lo
	s_wait_loadcnt_dscnt 0xc01
	v_mul_f64_e32 v[186:187], v[168:169], v[6:7]
	v_mul_f64_e32 v[190:191], v[166:167], v[6:7]
	s_wait_loadcnt_dscnt 0xb00
	v_mul_f64_e32 v[192:193], v[174:175], v[12:13]
	v_mul_f64_e32 v[12:13], v[176:177], v[12:13]
	s_delay_alu instid0(VALU_DEP_4) | instskip(NEXT) | instid1(VALU_DEP_4)
	v_fma_f64 v[194:195], v[166:167], v[4:5], -v[186:187]
	v_fmac_f64_e32 v[190:191], v[168:169], v[4:5]
	ds_load_b128 v[4:7], v2 offset:1664
	ds_load_b128 v[166:169], v2 offset:1680
	scratch_load_b128 v[186:189], off, off offset:864
	v_fmac_f64_e32 v[192:193], v[176:177], v[10:11]
	v_fma_f64 v[174:175], v[174:175], v[10:11], -v[12:13]
	scratch_load_b128 v[10:13], off, off offset:880
	s_wait_loadcnt_dscnt 0xc01
	v_mul_f64_e32 v[196:197], v[4:5], v[136:137]
	v_mul_f64_e32 v[136:137], v[6:7], v[136:137]
	v_add_f64_e32 v[176:177], 0, v[194:195]
	v_add_f64_e32 v[190:191], 0, v[190:191]
	s_wait_loadcnt_dscnt 0xb00
	v_mul_f64_e32 v[194:195], v[166:167], v[140:141]
	v_mul_f64_e32 v[140:141], v[168:169], v[140:141]
	v_fmac_f64_e32 v[196:197], v[6:7], v[134:135]
	v_fma_f64 v[198:199], v[4:5], v[134:135], -v[136:137]
	ds_load_b128 v[4:7], v2 offset:1696
	ds_load_b128 v[134:137], v2 offset:1712
	v_add_f64_e32 v[200:201], v[176:177], v[174:175]
	v_add_f64_e32 v[190:191], v[190:191], v[192:193]
	scratch_load_b128 v[174:177], off, off offset:896
	v_fmac_f64_e32 v[194:195], v[168:169], v[138:139]
	v_fma_f64 v[166:167], v[166:167], v[138:139], -v[140:141]
	scratch_load_b128 v[138:141], off, off offset:912
	s_wait_loadcnt_dscnt 0xc01
	v_mul_f64_e32 v[192:193], v[4:5], v[144:145]
	v_mul_f64_e32 v[144:145], v[6:7], v[144:145]
	v_add_f64_e32 v[168:169], v[200:201], v[198:199]
	v_add_f64_e32 v[190:191], v[190:191], v[196:197]
	s_wait_loadcnt_dscnt 0xb00
	v_mul_f64_e32 v[196:197], v[134:135], v[148:149]
	v_mul_f64_e32 v[148:149], v[136:137], v[148:149]
	v_fmac_f64_e32 v[192:193], v[6:7], v[142:143]
	v_fma_f64 v[198:199], v[4:5], v[142:143], -v[144:145]
	ds_load_b128 v[4:7], v2 offset:1728
	ds_load_b128 v[142:145], v2 offset:1744
	v_add_f64_e32 v[200:201], v[168:169], v[166:167]
	v_add_f64_e32 v[190:191], v[190:191], v[194:195]
	scratch_load_b128 v[166:169], off, off offset:928
	s_wait_loadcnt_dscnt 0xb01
	v_mul_f64_e32 v[194:195], v[4:5], v[152:153]
	v_mul_f64_e32 v[152:153], v[6:7], v[152:153]
	v_fmac_f64_e32 v[196:197], v[136:137], v[146:147]
	v_fma_f64 v[146:147], v[134:135], v[146:147], -v[148:149]
	scratch_load_b128 v[134:137], off, off offset:944
	v_add_f64_e32 v[148:149], v[200:201], v[198:199]
	v_add_f64_e32 v[190:191], v[190:191], v[192:193]
	s_wait_loadcnt_dscnt 0xb00
	v_mul_f64_e32 v[192:193], v[142:143], v[156:157]
	v_mul_f64_e32 v[156:157], v[144:145], v[156:157]
	v_fmac_f64_e32 v[194:195], v[6:7], v[150:151]
	v_fma_f64 v[150:151], v[4:5], v[150:151], -v[152:153]
	v_add_f64_e32 v[152:153], v[148:149], v[146:147]
	v_add_f64_e32 v[190:191], v[190:191], v[196:197]
	ds_load_b128 v[4:7], v2 offset:1760
	ds_load_b128 v[146:149], v2 offset:1776
	v_fmac_f64_e32 v[192:193], v[144:145], v[154:155]
	v_fma_f64 v[142:143], v[142:143], v[154:155], -v[156:157]
	s_wait_loadcnt_dscnt 0xa01
	v_mul_f64_e32 v[196:197], v[4:5], v[160:161]
	v_mul_f64_e32 v[160:161], v[6:7], v[160:161]
	s_wait_loadcnt_dscnt 0x900
	v_mul_f64_e32 v[154:155], v[148:149], v[164:165]
	v_add_f64_e32 v[144:145], v[152:153], v[150:151]
	v_add_f64_e32 v[150:151], v[190:191], v[194:195]
	v_mul_f64_e32 v[152:153], v[146:147], v[164:165]
	v_fmac_f64_e32 v[196:197], v[6:7], v[158:159]
	v_fma_f64 v[156:157], v[4:5], v[158:159], -v[160:161]
	v_fma_f64 v[146:147], v[146:147], v[162:163], -v[154:155]
	v_add_f64_e32 v[158:159], v[144:145], v[142:143]
	v_add_f64_e32 v[150:151], v[150:151], v[192:193]
	ds_load_b128 v[4:7], v2 offset:1792
	ds_load_b128 v[142:145], v2 offset:1808
	v_fmac_f64_e32 v[152:153], v[148:149], v[162:163]
	s_wait_loadcnt_dscnt 0x801
	v_mul_f64_e32 v[160:161], v[4:5], v[172:173]
	v_mul_f64_e32 v[164:165], v[6:7], v[172:173]
	s_wait_loadcnt_dscnt 0x600
	v_mul_f64_e32 v[154:155], v[142:143], v[184:185]
	v_add_f64_e32 v[148:149], v[158:159], v[156:157]
	v_add_f64_e32 v[150:151], v[150:151], v[196:197]
	v_mul_f64_e32 v[156:157], v[144:145], v[184:185]
	v_fmac_f64_e32 v[160:161], v[6:7], v[170:171]
	v_fma_f64 v[158:159], v[4:5], v[170:171], -v[164:165]
	v_fmac_f64_e32 v[154:155], v[144:145], v[182:183]
	v_add_f64_e32 v[162:163], v[148:149], v[146:147]
	v_add_f64_e32 v[150:151], v[150:151], v[152:153]
	ds_load_b128 v[4:7], v2 offset:1824
	ds_load_b128 v[146:149], v2 offset:1840
	v_fma_f64 v[142:143], v[142:143], v[182:183], -v[156:157]
	s_wait_loadcnt_dscnt 0x501
	v_mul_f64_e32 v[152:153], v[4:5], v[188:189]
	v_mul_f64_e32 v[164:165], v[6:7], v[188:189]
	s_wait_loadcnt_dscnt 0x400
	v_mul_f64_e32 v[156:157], v[146:147], v[12:13]
	v_mul_f64_e32 v[12:13], v[148:149], v[12:13]
	v_add_f64_e32 v[144:145], v[162:163], v[158:159]
	v_add_f64_e32 v[150:151], v[150:151], v[160:161]
	v_fmac_f64_e32 v[152:153], v[6:7], v[186:187]
	v_fma_f64 v[158:159], v[4:5], v[186:187], -v[164:165]
	v_fmac_f64_e32 v[156:157], v[148:149], v[10:11]
	v_fma_f64 v[10:11], v[146:147], v[10:11], -v[12:13]
	v_add_f64_e32 v[160:161], v[144:145], v[142:143]
	v_add_f64_e32 v[150:151], v[150:151], v[154:155]
	ds_load_b128 v[4:7], v2 offset:1856
	ds_load_b128 v[142:145], v2 offset:1872
	s_wait_loadcnt_dscnt 0x301
	v_mul_f64_e32 v[154:155], v[4:5], v[176:177]
	v_mul_f64_e32 v[162:163], v[6:7], v[176:177]
	s_wait_loadcnt_dscnt 0x200
	v_mul_f64_e32 v[148:149], v[142:143], v[140:141]
	v_mul_f64_e32 v[140:141], v[144:145], v[140:141]
	v_add_f64_e32 v[12:13], v[160:161], v[158:159]
	v_add_f64_e32 v[146:147], v[150:151], v[152:153]
	v_fmac_f64_e32 v[154:155], v[6:7], v[174:175]
	v_fma_f64 v[150:151], v[4:5], v[174:175], -v[162:163]
	v_fmac_f64_e32 v[148:149], v[144:145], v[138:139]
	v_fma_f64 v[138:139], v[142:143], v[138:139], -v[140:141]
	v_add_f64_e32 v[152:153], v[12:13], v[10:11]
	v_add_f64_e32 v[146:147], v[146:147], v[156:157]
	ds_load_b128 v[4:7], v2 offset:1888
	ds_load_b128 v[10:13], v2 offset:1904
	s_wait_loadcnt_dscnt 0x101
	v_mul_f64_e32 v[2:3], v[4:5], v[168:169]
	v_mul_f64_e32 v[156:157], v[6:7], v[168:169]
	s_wait_loadcnt_dscnt 0x0
	v_mul_f64_e32 v[144:145], v[10:11], v[136:137]
	v_mul_f64_e32 v[136:137], v[12:13], v[136:137]
	v_add_f64_e32 v[140:141], v[152:153], v[150:151]
	v_add_f64_e32 v[142:143], v[146:147], v[154:155]
	v_fmac_f64_e32 v[2:3], v[6:7], v[166:167]
	v_fma_f64 v[4:5], v[4:5], v[166:167], -v[156:157]
	v_fmac_f64_e32 v[144:145], v[12:13], v[134:135]
	v_fma_f64 v[10:11], v[10:11], v[134:135], -v[136:137]
	v_add_f64_e32 v[6:7], v[140:141], v[138:139]
	v_add_f64_e32 v[138:139], v[142:143], v[148:149]
	s_delay_alu instid0(VALU_DEP_2) | instskip(NEXT) | instid1(VALU_DEP_2)
	v_add_f64_e32 v[4:5], v[6:7], v[4:5]
	v_add_f64_e32 v[2:3], v[138:139], v[2:3]
	s_delay_alu instid0(VALU_DEP_2) | instskip(NEXT) | instid1(VALU_DEP_2)
	;; [unrolled: 3-line block ×3, first 2 shown]
	v_add_f64_e64 v[2:3], v[178:179], -v[4:5]
	v_add_f64_e64 v[4:5], v[180:181], -v[6:7]
	scratch_store_b128 off, v[2:5], off offset:656
	s_wait_xcnt 0x0
	v_cmpx_lt_u32_e32 40, v1
	s_cbranch_execz .LBB123_293
; %bb.292:
	scratch_load_b128 v[2:5], off, s36
	v_mov_b32_e32 v10, 0
	s_delay_alu instid0(VALU_DEP_1)
	v_dual_mov_b32 v11, v10 :: v_dual_mov_b32 v12, v10
	v_mov_b32_e32 v13, v10
	scratch_store_b128 off, v[10:13], off offset:640
	s_wait_loadcnt 0x0
	ds_store_b128 v8, v[2:5]
.LBB123_293:
	s_wait_xcnt 0x0
	s_or_b32 exec_lo, exec_lo, s2
	s_wait_storecnt_dscnt 0x0
	s_barrier_signal -1
	s_barrier_wait -1
	s_clause 0x9
	scratch_load_b128 v[4:7], off, off offset:656
	scratch_load_b128 v[10:13], off, off offset:672
	;; [unrolled: 1-line block ×10, first 2 shown]
	v_mov_b32_e32 v2, 0
	s_mov_b32 s2, exec_lo
	ds_load_b128 v[166:169], v2 offset:1616
	s_clause 0x2
	scratch_load_b128 v[170:173], off, off offset:816
	scratch_load_b128 v[174:177], off, off offset:640
	;; [unrolled: 1-line block ×3, first 2 shown]
	s_wait_loadcnt_dscnt 0xc00
	v_mul_f64_e32 v[186:187], v[168:169], v[6:7]
	v_mul_f64_e32 v[190:191], v[166:167], v[6:7]
	ds_load_b128 v[178:181], v2 offset:1632
	v_fma_f64 v[194:195], v[166:167], v[4:5], -v[186:187]
	v_fmac_f64_e32 v[190:191], v[168:169], v[4:5]
	ds_load_b128 v[4:7], v2 offset:1648
	s_wait_loadcnt_dscnt 0xb01
	v_mul_f64_e32 v[192:193], v[178:179], v[12:13]
	v_mul_f64_e32 v[12:13], v[180:181], v[12:13]
	scratch_load_b128 v[166:169], off, off offset:848
	ds_load_b128 v[186:189], v2 offset:1664
	s_wait_loadcnt_dscnt 0xb01
	v_mul_f64_e32 v[196:197], v[4:5], v[136:137]
	v_mul_f64_e32 v[136:137], v[6:7], v[136:137]
	v_add_f64_e32 v[190:191], 0, v[190:191]
	v_fmac_f64_e32 v[192:193], v[180:181], v[10:11]
	v_fma_f64 v[178:179], v[178:179], v[10:11], -v[12:13]
	v_add_f64_e32 v[180:181], 0, v[194:195]
	scratch_load_b128 v[10:13], off, off offset:864
	v_fmac_f64_e32 v[196:197], v[6:7], v[134:135]
	v_fma_f64 v[198:199], v[4:5], v[134:135], -v[136:137]
	ds_load_b128 v[4:7], v2 offset:1680
	s_wait_loadcnt_dscnt 0xb01
	v_mul_f64_e32 v[194:195], v[186:187], v[140:141]
	v_mul_f64_e32 v[140:141], v[188:189], v[140:141]
	scratch_load_b128 v[134:137], off, off offset:880
	v_add_f64_e32 v[190:191], v[190:191], v[192:193]
	v_add_f64_e32 v[200:201], v[180:181], v[178:179]
	ds_load_b128 v[178:181], v2 offset:1696
	s_wait_loadcnt_dscnt 0xb01
	v_mul_f64_e32 v[192:193], v[4:5], v[144:145]
	v_mul_f64_e32 v[144:145], v[6:7], v[144:145]
	v_fmac_f64_e32 v[194:195], v[188:189], v[138:139]
	v_fma_f64 v[186:187], v[186:187], v[138:139], -v[140:141]
	scratch_load_b128 v[138:141], off, off offset:896
	v_add_f64_e32 v[190:191], v[190:191], v[196:197]
	v_add_f64_e32 v[188:189], v[200:201], v[198:199]
	v_fmac_f64_e32 v[192:193], v[6:7], v[142:143]
	v_fma_f64 v[198:199], v[4:5], v[142:143], -v[144:145]
	ds_load_b128 v[4:7], v2 offset:1712
	s_wait_loadcnt_dscnt 0xb01
	v_mul_f64_e32 v[196:197], v[178:179], v[148:149]
	v_mul_f64_e32 v[148:149], v[180:181], v[148:149]
	scratch_load_b128 v[142:145], off, off offset:912
	v_add_f64_e32 v[190:191], v[190:191], v[194:195]
	s_wait_loadcnt_dscnt 0xb00
	v_mul_f64_e32 v[194:195], v[4:5], v[152:153]
	v_add_f64_e32 v[200:201], v[188:189], v[186:187]
	v_mul_f64_e32 v[152:153], v[6:7], v[152:153]
	ds_load_b128 v[186:189], v2 offset:1728
	v_fmac_f64_e32 v[196:197], v[180:181], v[146:147]
	v_fma_f64 v[178:179], v[178:179], v[146:147], -v[148:149]
	scratch_load_b128 v[146:149], off, off offset:928
	v_add_f64_e32 v[190:191], v[190:191], v[192:193]
	v_fmac_f64_e32 v[194:195], v[6:7], v[150:151]
	v_add_f64_e32 v[180:181], v[200:201], v[198:199]
	v_fma_f64 v[198:199], v[4:5], v[150:151], -v[152:153]
	ds_load_b128 v[4:7], v2 offset:1744
	s_wait_loadcnt_dscnt 0xb01
	v_mul_f64_e32 v[192:193], v[186:187], v[156:157]
	v_mul_f64_e32 v[156:157], v[188:189], v[156:157]
	scratch_load_b128 v[150:153], off, off offset:944
	v_add_f64_e32 v[190:191], v[190:191], v[196:197]
	s_wait_loadcnt_dscnt 0xb00
	v_mul_f64_e32 v[196:197], v[4:5], v[160:161]
	v_add_f64_e32 v[200:201], v[180:181], v[178:179]
	v_mul_f64_e32 v[160:161], v[6:7], v[160:161]
	ds_load_b128 v[178:181], v2 offset:1760
	v_fmac_f64_e32 v[192:193], v[188:189], v[154:155]
	v_fma_f64 v[154:155], v[186:187], v[154:155], -v[156:157]
	s_wait_loadcnt_dscnt 0xa00
	v_mul_f64_e32 v[188:189], v[178:179], v[164:165]
	v_mul_f64_e32 v[164:165], v[180:181], v[164:165]
	v_add_f64_e32 v[186:187], v[190:191], v[194:195]
	v_fmac_f64_e32 v[196:197], v[6:7], v[158:159]
	v_add_f64_e32 v[156:157], v[200:201], v[198:199]
	v_fma_f64 v[158:159], v[4:5], v[158:159], -v[160:161]
	v_fmac_f64_e32 v[188:189], v[180:181], v[162:163]
	v_fma_f64 v[162:163], v[178:179], v[162:163], -v[164:165]
	v_add_f64_e32 v[186:187], v[186:187], v[192:193]
	v_add_f64_e32 v[160:161], v[156:157], v[154:155]
	ds_load_b128 v[4:7], v2 offset:1776
	ds_load_b128 v[154:157], v2 offset:1792
	s_wait_loadcnt_dscnt 0x901
	v_mul_f64_e32 v[190:191], v[4:5], v[172:173]
	v_mul_f64_e32 v[172:173], v[6:7], v[172:173]
	s_wait_loadcnt_dscnt 0x700
	v_mul_f64_e32 v[164:165], v[154:155], v[184:185]
	v_mul_f64_e32 v[178:179], v[156:157], v[184:185]
	v_add_f64_e32 v[158:159], v[160:161], v[158:159]
	v_add_f64_e32 v[160:161], v[186:187], v[196:197]
	v_fmac_f64_e32 v[190:191], v[6:7], v[170:171]
	v_fma_f64 v[170:171], v[4:5], v[170:171], -v[172:173]
	v_fmac_f64_e32 v[164:165], v[156:157], v[182:183]
	v_fma_f64 v[154:155], v[154:155], v[182:183], -v[178:179]
	v_add_f64_e32 v[162:163], v[158:159], v[162:163]
	v_add_f64_e32 v[172:173], v[160:161], v[188:189]
	ds_load_b128 v[4:7], v2 offset:1808
	ds_load_b128 v[158:161], v2 offset:1824
	s_wait_loadcnt_dscnt 0x601
	v_mul_f64_e32 v[180:181], v[4:5], v[168:169]
	v_mul_f64_e32 v[168:169], v[6:7], v[168:169]
	v_add_f64_e32 v[156:157], v[162:163], v[170:171]
	v_add_f64_e32 v[162:163], v[172:173], v[190:191]
	s_wait_loadcnt_dscnt 0x500
	v_mul_f64_e32 v[170:171], v[158:159], v[12:13]
	v_mul_f64_e32 v[12:13], v[160:161], v[12:13]
	v_fmac_f64_e32 v[180:181], v[6:7], v[166:167]
	v_fma_f64 v[166:167], v[4:5], v[166:167], -v[168:169]
	v_add_f64_e32 v[168:169], v[156:157], v[154:155]
	v_add_f64_e32 v[162:163], v[162:163], v[164:165]
	ds_load_b128 v[4:7], v2 offset:1840
	ds_load_b128 v[154:157], v2 offset:1856
	v_fmac_f64_e32 v[170:171], v[160:161], v[10:11]
	v_fma_f64 v[10:11], v[158:159], v[10:11], -v[12:13]
	s_wait_loadcnt_dscnt 0x401
	v_mul_f64_e32 v[164:165], v[4:5], v[136:137]
	v_mul_f64_e32 v[136:137], v[6:7], v[136:137]
	s_wait_loadcnt_dscnt 0x300
	v_mul_f64_e32 v[160:161], v[154:155], v[140:141]
	v_mul_f64_e32 v[140:141], v[156:157], v[140:141]
	v_add_f64_e32 v[12:13], v[168:169], v[166:167]
	v_add_f64_e32 v[158:159], v[162:163], v[180:181]
	v_fmac_f64_e32 v[164:165], v[6:7], v[134:135]
	v_fma_f64 v[134:135], v[4:5], v[134:135], -v[136:137]
	v_fmac_f64_e32 v[160:161], v[156:157], v[138:139]
	v_fma_f64 v[138:139], v[154:155], v[138:139], -v[140:141]
	v_add_f64_e32 v[136:137], v[12:13], v[10:11]
	v_add_f64_e32 v[158:159], v[158:159], v[170:171]
	ds_load_b128 v[4:7], v2 offset:1872
	ds_load_b128 v[10:13], v2 offset:1888
	s_wait_loadcnt_dscnt 0x201
	v_mul_f64_e32 v[162:163], v[4:5], v[144:145]
	v_mul_f64_e32 v[144:145], v[6:7], v[144:145]
	s_wait_loadcnt_dscnt 0x100
	v_mul_f64_e32 v[140:141], v[10:11], v[148:149]
	v_mul_f64_e32 v[148:149], v[12:13], v[148:149]
	v_add_f64_e32 v[134:135], v[136:137], v[134:135]
	v_add_f64_e32 v[136:137], v[158:159], v[164:165]
	v_fmac_f64_e32 v[162:163], v[6:7], v[142:143]
	v_fma_f64 v[142:143], v[4:5], v[142:143], -v[144:145]
	ds_load_b128 v[4:7], v2 offset:1904
	v_fmac_f64_e32 v[140:141], v[12:13], v[146:147]
	v_fma_f64 v[10:11], v[10:11], v[146:147], -v[148:149]
	v_add_f64_e32 v[134:135], v[134:135], v[138:139]
	v_add_f64_e32 v[136:137], v[136:137], v[160:161]
	s_wait_loadcnt_dscnt 0x0
	v_mul_f64_e32 v[138:139], v[4:5], v[152:153]
	v_mul_f64_e32 v[144:145], v[6:7], v[152:153]
	s_delay_alu instid0(VALU_DEP_4) | instskip(NEXT) | instid1(VALU_DEP_4)
	v_add_f64_e32 v[12:13], v[134:135], v[142:143]
	v_add_f64_e32 v[134:135], v[136:137], v[162:163]
	s_delay_alu instid0(VALU_DEP_4) | instskip(NEXT) | instid1(VALU_DEP_4)
	v_fmac_f64_e32 v[138:139], v[6:7], v[150:151]
	v_fma_f64 v[4:5], v[4:5], v[150:151], -v[144:145]
	s_delay_alu instid0(VALU_DEP_4) | instskip(NEXT) | instid1(VALU_DEP_4)
	v_add_f64_e32 v[6:7], v[12:13], v[10:11]
	v_add_f64_e32 v[10:11], v[134:135], v[140:141]
	s_delay_alu instid0(VALU_DEP_2) | instskip(NEXT) | instid1(VALU_DEP_2)
	v_add_f64_e32 v[4:5], v[6:7], v[4:5]
	v_add_f64_e32 v[6:7], v[10:11], v[138:139]
	s_delay_alu instid0(VALU_DEP_2) | instskip(NEXT) | instid1(VALU_DEP_2)
	v_add_f64_e64 v[4:5], v[174:175], -v[4:5]
	v_add_f64_e64 v[6:7], v[176:177], -v[6:7]
	scratch_store_b128 off, v[4:7], off offset:640
	s_wait_xcnt 0x0
	v_cmpx_lt_u32_e32 39, v1
	s_cbranch_execz .LBB123_295
; %bb.294:
	scratch_load_b128 v[10:13], off, s37
	v_dual_mov_b32 v3, v2 :: v_dual_mov_b32 v4, v2
	v_mov_b32_e32 v5, v2
	scratch_store_b128 off, v[2:5], off offset:624
	s_wait_loadcnt 0x0
	ds_store_b128 v8, v[10:13]
.LBB123_295:
	s_wait_xcnt 0x0
	s_or_b32 exec_lo, exec_lo, s2
	s_wait_storecnt_dscnt 0x0
	s_barrier_signal -1
	s_barrier_wait -1
	s_clause 0x9
	scratch_load_b128 v[4:7], off, off offset:640
	scratch_load_b128 v[10:13], off, off offset:656
	;; [unrolled: 1-line block ×10, first 2 shown]
	ds_load_b128 v[166:169], v2 offset:1600
	ds_load_b128 v[174:177], v2 offset:1616
	s_clause 0x2
	scratch_load_b128 v[170:173], off, off offset:800
	scratch_load_b128 v[178:181], off, off offset:624
	;; [unrolled: 1-line block ×3, first 2 shown]
	s_mov_b32 s2, exec_lo
	s_wait_loadcnt_dscnt 0xc01
	v_mul_f64_e32 v[186:187], v[168:169], v[6:7]
	v_mul_f64_e32 v[190:191], v[166:167], v[6:7]
	s_wait_loadcnt_dscnt 0xb00
	v_mul_f64_e32 v[192:193], v[174:175], v[12:13]
	v_mul_f64_e32 v[12:13], v[176:177], v[12:13]
	s_delay_alu instid0(VALU_DEP_4) | instskip(NEXT) | instid1(VALU_DEP_4)
	v_fma_f64 v[194:195], v[166:167], v[4:5], -v[186:187]
	v_fmac_f64_e32 v[190:191], v[168:169], v[4:5]
	ds_load_b128 v[4:7], v2 offset:1632
	ds_load_b128 v[166:169], v2 offset:1648
	scratch_load_b128 v[186:189], off, off offset:832
	v_fmac_f64_e32 v[192:193], v[176:177], v[10:11]
	v_fma_f64 v[174:175], v[174:175], v[10:11], -v[12:13]
	scratch_load_b128 v[10:13], off, off offset:848
	s_wait_loadcnt_dscnt 0xc01
	v_mul_f64_e32 v[196:197], v[4:5], v[136:137]
	v_mul_f64_e32 v[136:137], v[6:7], v[136:137]
	v_add_f64_e32 v[176:177], 0, v[194:195]
	v_add_f64_e32 v[190:191], 0, v[190:191]
	s_wait_loadcnt_dscnt 0xb00
	v_mul_f64_e32 v[194:195], v[166:167], v[140:141]
	v_mul_f64_e32 v[140:141], v[168:169], v[140:141]
	v_fmac_f64_e32 v[196:197], v[6:7], v[134:135]
	v_fma_f64 v[198:199], v[4:5], v[134:135], -v[136:137]
	ds_load_b128 v[4:7], v2 offset:1664
	ds_load_b128 v[134:137], v2 offset:1680
	v_add_f64_e32 v[200:201], v[176:177], v[174:175]
	v_add_f64_e32 v[190:191], v[190:191], v[192:193]
	scratch_load_b128 v[174:177], off, off offset:864
	v_fmac_f64_e32 v[194:195], v[168:169], v[138:139]
	v_fma_f64 v[166:167], v[166:167], v[138:139], -v[140:141]
	scratch_load_b128 v[138:141], off, off offset:880
	s_wait_loadcnt_dscnt 0xc01
	v_mul_f64_e32 v[192:193], v[4:5], v[144:145]
	v_mul_f64_e32 v[144:145], v[6:7], v[144:145]
	v_add_f64_e32 v[168:169], v[200:201], v[198:199]
	v_add_f64_e32 v[190:191], v[190:191], v[196:197]
	s_wait_loadcnt_dscnt 0xb00
	v_mul_f64_e32 v[196:197], v[134:135], v[148:149]
	v_mul_f64_e32 v[148:149], v[136:137], v[148:149]
	v_fmac_f64_e32 v[192:193], v[6:7], v[142:143]
	v_fma_f64 v[198:199], v[4:5], v[142:143], -v[144:145]
	ds_load_b128 v[4:7], v2 offset:1696
	ds_load_b128 v[142:145], v2 offset:1712
	v_add_f64_e32 v[200:201], v[168:169], v[166:167]
	v_add_f64_e32 v[190:191], v[190:191], v[194:195]
	scratch_load_b128 v[166:169], off, off offset:896
	s_wait_loadcnt_dscnt 0xb01
	v_mul_f64_e32 v[194:195], v[4:5], v[152:153]
	v_mul_f64_e32 v[152:153], v[6:7], v[152:153]
	v_fmac_f64_e32 v[196:197], v[136:137], v[146:147]
	v_fma_f64 v[146:147], v[134:135], v[146:147], -v[148:149]
	scratch_load_b128 v[134:137], off, off offset:912
	v_add_f64_e32 v[148:149], v[200:201], v[198:199]
	v_add_f64_e32 v[190:191], v[190:191], v[192:193]
	s_wait_loadcnt_dscnt 0xb00
	v_mul_f64_e32 v[192:193], v[142:143], v[156:157]
	v_mul_f64_e32 v[156:157], v[144:145], v[156:157]
	v_fmac_f64_e32 v[194:195], v[6:7], v[150:151]
	v_fma_f64 v[198:199], v[4:5], v[150:151], -v[152:153]
	v_add_f64_e32 v[200:201], v[148:149], v[146:147]
	v_add_f64_e32 v[190:191], v[190:191], v[196:197]
	ds_load_b128 v[4:7], v2 offset:1728
	ds_load_b128 v[146:149], v2 offset:1744
	scratch_load_b128 v[150:153], off, off offset:928
	v_fmac_f64_e32 v[192:193], v[144:145], v[154:155]
	v_fma_f64 v[154:155], v[142:143], v[154:155], -v[156:157]
	scratch_load_b128 v[142:145], off, off offset:944
	s_wait_loadcnt_dscnt 0xc01
	v_mul_f64_e32 v[196:197], v[4:5], v[160:161]
	v_mul_f64_e32 v[160:161], v[6:7], v[160:161]
	v_add_f64_e32 v[156:157], v[200:201], v[198:199]
	v_add_f64_e32 v[190:191], v[190:191], v[194:195]
	s_wait_loadcnt_dscnt 0xb00
	v_mul_f64_e32 v[194:195], v[146:147], v[164:165]
	v_mul_f64_e32 v[164:165], v[148:149], v[164:165]
	v_fmac_f64_e32 v[196:197], v[6:7], v[158:159]
	v_fma_f64 v[158:159], v[4:5], v[158:159], -v[160:161]
	v_add_f64_e32 v[160:161], v[156:157], v[154:155]
	v_add_f64_e32 v[190:191], v[190:191], v[192:193]
	ds_load_b128 v[4:7], v2 offset:1760
	ds_load_b128 v[154:157], v2 offset:1776
	v_fmac_f64_e32 v[194:195], v[148:149], v[162:163]
	v_fma_f64 v[146:147], v[146:147], v[162:163], -v[164:165]
	s_wait_loadcnt_dscnt 0xa01
	v_mul_f64_e32 v[192:193], v[4:5], v[172:173]
	v_mul_f64_e32 v[172:173], v[6:7], v[172:173]
	s_wait_loadcnt_dscnt 0x800
	v_mul_f64_e32 v[162:163], v[156:157], v[184:185]
	v_add_f64_e32 v[148:149], v[160:161], v[158:159]
	v_add_f64_e32 v[158:159], v[190:191], v[196:197]
	v_mul_f64_e32 v[160:161], v[154:155], v[184:185]
	v_fmac_f64_e32 v[192:193], v[6:7], v[170:171]
	v_fma_f64 v[164:165], v[4:5], v[170:171], -v[172:173]
	v_fma_f64 v[154:155], v[154:155], v[182:183], -v[162:163]
	v_add_f64_e32 v[170:171], v[148:149], v[146:147]
	v_add_f64_e32 v[158:159], v[158:159], v[194:195]
	ds_load_b128 v[4:7], v2 offset:1792
	ds_load_b128 v[146:149], v2 offset:1808
	v_fmac_f64_e32 v[160:161], v[156:157], v[182:183]
	s_wait_loadcnt_dscnt 0x701
	v_mul_f64_e32 v[172:173], v[4:5], v[188:189]
	v_mul_f64_e32 v[184:185], v[6:7], v[188:189]
	s_wait_loadcnt_dscnt 0x600
	v_mul_f64_e32 v[162:163], v[146:147], v[12:13]
	v_mul_f64_e32 v[12:13], v[148:149], v[12:13]
	v_add_f64_e32 v[156:157], v[170:171], v[164:165]
	v_add_f64_e32 v[158:159], v[158:159], v[192:193]
	v_fmac_f64_e32 v[172:173], v[6:7], v[186:187]
	v_fma_f64 v[164:165], v[4:5], v[186:187], -v[184:185]
	v_fmac_f64_e32 v[162:163], v[148:149], v[10:11]
	v_fma_f64 v[10:11], v[146:147], v[10:11], -v[12:13]
	v_add_f64_e32 v[170:171], v[156:157], v[154:155]
	v_add_f64_e32 v[158:159], v[158:159], v[160:161]
	ds_load_b128 v[4:7], v2 offset:1824
	ds_load_b128 v[154:157], v2 offset:1840
	s_wait_loadcnt_dscnt 0x501
	v_mul_f64_e32 v[160:161], v[4:5], v[176:177]
	v_mul_f64_e32 v[176:177], v[6:7], v[176:177]
	s_wait_loadcnt_dscnt 0x400
	v_mul_f64_e32 v[148:149], v[154:155], v[140:141]
	v_mul_f64_e32 v[140:141], v[156:157], v[140:141]
	v_add_f64_e32 v[12:13], v[170:171], v[164:165]
	v_add_f64_e32 v[146:147], v[158:159], v[172:173]
	v_fmac_f64_e32 v[160:161], v[6:7], v[174:175]
	v_fma_f64 v[158:159], v[4:5], v[174:175], -v[176:177]
	v_fmac_f64_e32 v[148:149], v[156:157], v[138:139]
	v_fma_f64 v[138:139], v[154:155], v[138:139], -v[140:141]
	v_add_f64_e32 v[164:165], v[12:13], v[10:11]
	v_add_f64_e32 v[146:147], v[146:147], v[162:163]
	ds_load_b128 v[4:7], v2 offset:1856
	ds_load_b128 v[10:13], v2 offset:1872
	;; [unrolled: 16-line block ×3, first 2 shown]
	s_wait_loadcnt_dscnt 0x101
	v_mul_f64_e32 v[2:3], v[4:5], v[152:153]
	v_mul_f64_e32 v[148:149], v[6:7], v[152:153]
	v_add_f64_e32 v[12:13], v[140:141], v[158:159]
	v_add_f64_e32 v[134:135], v[146:147], v[162:163]
	s_wait_loadcnt_dscnt 0x0
	v_mul_f64_e32 v[140:141], v[136:137], v[144:145]
	v_mul_f64_e32 v[144:145], v[138:139], v[144:145]
	v_fmac_f64_e32 v[2:3], v[6:7], v[150:151]
	v_fma_f64 v[4:5], v[4:5], v[150:151], -v[148:149]
	v_add_f64_e32 v[6:7], v[12:13], v[10:11]
	v_add_f64_e32 v[10:11], v[134:135], v[154:155]
	v_fmac_f64_e32 v[140:141], v[138:139], v[142:143]
	v_fma_f64 v[12:13], v[136:137], v[142:143], -v[144:145]
	s_delay_alu instid0(VALU_DEP_4) | instskip(NEXT) | instid1(VALU_DEP_4)
	v_add_f64_e32 v[4:5], v[6:7], v[4:5]
	v_add_f64_e32 v[2:3], v[10:11], v[2:3]
	s_delay_alu instid0(VALU_DEP_2) | instskip(NEXT) | instid1(VALU_DEP_2)
	v_add_f64_e32 v[4:5], v[4:5], v[12:13]
	v_add_f64_e32 v[6:7], v[2:3], v[140:141]
	s_delay_alu instid0(VALU_DEP_2) | instskip(NEXT) | instid1(VALU_DEP_2)
	v_add_f64_e64 v[2:3], v[178:179], -v[4:5]
	v_add_f64_e64 v[4:5], v[180:181], -v[6:7]
	scratch_store_b128 off, v[2:5], off offset:624
	s_wait_xcnt 0x0
	v_cmpx_lt_u32_e32 38, v1
	s_cbranch_execz .LBB123_297
; %bb.296:
	scratch_load_b128 v[2:5], off, s38
	v_mov_b32_e32 v10, 0
	s_delay_alu instid0(VALU_DEP_1)
	v_dual_mov_b32 v11, v10 :: v_dual_mov_b32 v12, v10
	v_mov_b32_e32 v13, v10
	scratch_store_b128 off, v[10:13], off offset:608
	s_wait_loadcnt 0x0
	ds_store_b128 v8, v[2:5]
.LBB123_297:
	s_wait_xcnt 0x0
	s_or_b32 exec_lo, exec_lo, s2
	s_wait_storecnt_dscnt 0x0
	s_barrier_signal -1
	s_barrier_wait -1
	s_clause 0x9
	scratch_load_b128 v[4:7], off, off offset:624
	scratch_load_b128 v[10:13], off, off offset:640
	;; [unrolled: 1-line block ×10, first 2 shown]
	v_mov_b32_e32 v2, 0
	s_mov_b32 s2, exec_lo
	ds_load_b128 v[166:169], v2 offset:1584
	s_clause 0x2
	scratch_load_b128 v[170:173], off, off offset:784
	scratch_load_b128 v[174:177], off, off offset:608
	;; [unrolled: 1-line block ×3, first 2 shown]
	s_wait_loadcnt_dscnt 0xc00
	v_mul_f64_e32 v[186:187], v[168:169], v[6:7]
	v_mul_f64_e32 v[190:191], v[166:167], v[6:7]
	ds_load_b128 v[178:181], v2 offset:1600
	v_fma_f64 v[194:195], v[166:167], v[4:5], -v[186:187]
	v_fmac_f64_e32 v[190:191], v[168:169], v[4:5]
	ds_load_b128 v[4:7], v2 offset:1616
	s_wait_loadcnt_dscnt 0xb01
	v_mul_f64_e32 v[192:193], v[178:179], v[12:13]
	v_mul_f64_e32 v[12:13], v[180:181], v[12:13]
	scratch_load_b128 v[166:169], off, off offset:816
	ds_load_b128 v[186:189], v2 offset:1632
	s_wait_loadcnt_dscnt 0xb01
	v_mul_f64_e32 v[196:197], v[4:5], v[136:137]
	v_mul_f64_e32 v[136:137], v[6:7], v[136:137]
	v_add_f64_e32 v[190:191], 0, v[190:191]
	v_fmac_f64_e32 v[192:193], v[180:181], v[10:11]
	v_fma_f64 v[178:179], v[178:179], v[10:11], -v[12:13]
	v_add_f64_e32 v[180:181], 0, v[194:195]
	scratch_load_b128 v[10:13], off, off offset:832
	v_fmac_f64_e32 v[196:197], v[6:7], v[134:135]
	v_fma_f64 v[198:199], v[4:5], v[134:135], -v[136:137]
	ds_load_b128 v[4:7], v2 offset:1648
	s_wait_loadcnt_dscnt 0xb01
	v_mul_f64_e32 v[194:195], v[186:187], v[140:141]
	v_mul_f64_e32 v[140:141], v[188:189], v[140:141]
	scratch_load_b128 v[134:137], off, off offset:848
	v_add_f64_e32 v[190:191], v[190:191], v[192:193]
	v_add_f64_e32 v[200:201], v[180:181], v[178:179]
	ds_load_b128 v[178:181], v2 offset:1664
	s_wait_loadcnt_dscnt 0xb01
	v_mul_f64_e32 v[192:193], v[4:5], v[144:145]
	v_mul_f64_e32 v[144:145], v[6:7], v[144:145]
	v_fmac_f64_e32 v[194:195], v[188:189], v[138:139]
	v_fma_f64 v[186:187], v[186:187], v[138:139], -v[140:141]
	scratch_load_b128 v[138:141], off, off offset:864
	v_add_f64_e32 v[190:191], v[190:191], v[196:197]
	v_add_f64_e32 v[188:189], v[200:201], v[198:199]
	v_fmac_f64_e32 v[192:193], v[6:7], v[142:143]
	v_fma_f64 v[198:199], v[4:5], v[142:143], -v[144:145]
	ds_load_b128 v[4:7], v2 offset:1680
	s_wait_loadcnt_dscnt 0xb01
	v_mul_f64_e32 v[196:197], v[178:179], v[148:149]
	v_mul_f64_e32 v[148:149], v[180:181], v[148:149]
	scratch_load_b128 v[142:145], off, off offset:880
	v_add_f64_e32 v[190:191], v[190:191], v[194:195]
	s_wait_loadcnt_dscnt 0xb00
	v_mul_f64_e32 v[194:195], v[4:5], v[152:153]
	v_add_f64_e32 v[200:201], v[188:189], v[186:187]
	v_mul_f64_e32 v[152:153], v[6:7], v[152:153]
	ds_load_b128 v[186:189], v2 offset:1696
	v_fmac_f64_e32 v[196:197], v[180:181], v[146:147]
	v_fma_f64 v[178:179], v[178:179], v[146:147], -v[148:149]
	scratch_load_b128 v[146:149], off, off offset:896
	v_add_f64_e32 v[190:191], v[190:191], v[192:193]
	v_fmac_f64_e32 v[194:195], v[6:7], v[150:151]
	v_add_f64_e32 v[180:181], v[200:201], v[198:199]
	v_fma_f64 v[198:199], v[4:5], v[150:151], -v[152:153]
	ds_load_b128 v[4:7], v2 offset:1712
	s_wait_loadcnt_dscnt 0xb01
	v_mul_f64_e32 v[192:193], v[186:187], v[156:157]
	v_mul_f64_e32 v[156:157], v[188:189], v[156:157]
	scratch_load_b128 v[150:153], off, off offset:912
	v_add_f64_e32 v[190:191], v[190:191], v[196:197]
	s_wait_loadcnt_dscnt 0xb00
	v_mul_f64_e32 v[196:197], v[4:5], v[160:161]
	v_add_f64_e32 v[200:201], v[180:181], v[178:179]
	v_mul_f64_e32 v[160:161], v[6:7], v[160:161]
	ds_load_b128 v[178:181], v2 offset:1728
	v_fmac_f64_e32 v[192:193], v[188:189], v[154:155]
	v_fma_f64 v[186:187], v[186:187], v[154:155], -v[156:157]
	scratch_load_b128 v[154:157], off, off offset:928
	v_add_f64_e32 v[190:191], v[190:191], v[194:195]
	v_fmac_f64_e32 v[196:197], v[6:7], v[158:159]
	v_add_f64_e32 v[188:189], v[200:201], v[198:199]
	v_fma_f64 v[198:199], v[4:5], v[158:159], -v[160:161]
	ds_load_b128 v[4:7], v2 offset:1744
	s_wait_loadcnt_dscnt 0xb01
	v_mul_f64_e32 v[194:195], v[178:179], v[164:165]
	v_mul_f64_e32 v[164:165], v[180:181], v[164:165]
	scratch_load_b128 v[158:161], off, off offset:944
	v_add_f64_e32 v[190:191], v[190:191], v[192:193]
	s_wait_loadcnt_dscnt 0xb00
	v_mul_f64_e32 v[192:193], v[4:5], v[172:173]
	v_add_f64_e32 v[200:201], v[188:189], v[186:187]
	v_mul_f64_e32 v[172:173], v[6:7], v[172:173]
	ds_load_b128 v[186:189], v2 offset:1760
	v_fmac_f64_e32 v[194:195], v[180:181], v[162:163]
	v_fma_f64 v[162:163], v[178:179], v[162:163], -v[164:165]
	s_wait_loadcnt_dscnt 0x900
	v_mul_f64_e32 v[180:181], v[186:187], v[184:185]
	v_mul_f64_e32 v[184:185], v[188:189], v[184:185]
	v_add_f64_e32 v[178:179], v[190:191], v[196:197]
	v_fmac_f64_e32 v[192:193], v[6:7], v[170:171]
	v_add_f64_e32 v[164:165], v[200:201], v[198:199]
	v_fma_f64 v[170:171], v[4:5], v[170:171], -v[172:173]
	v_fmac_f64_e32 v[180:181], v[188:189], v[182:183]
	v_fma_f64 v[182:183], v[186:187], v[182:183], -v[184:185]
	v_add_f64_e32 v[178:179], v[178:179], v[194:195]
	v_add_f64_e32 v[172:173], v[164:165], v[162:163]
	ds_load_b128 v[4:7], v2 offset:1776
	ds_load_b128 v[162:165], v2 offset:1792
	s_wait_loadcnt_dscnt 0x801
	v_mul_f64_e32 v[190:191], v[4:5], v[168:169]
	v_mul_f64_e32 v[168:169], v[6:7], v[168:169]
	v_add_f64_e32 v[170:171], v[172:173], v[170:171]
	v_add_f64_e32 v[172:173], v[178:179], v[192:193]
	s_wait_loadcnt_dscnt 0x700
	v_mul_f64_e32 v[178:179], v[162:163], v[12:13]
	v_mul_f64_e32 v[12:13], v[164:165], v[12:13]
	v_fmac_f64_e32 v[190:191], v[6:7], v[166:167]
	v_fma_f64 v[184:185], v[4:5], v[166:167], -v[168:169]
	ds_load_b128 v[4:7], v2 offset:1808
	ds_load_b128 v[166:169], v2 offset:1824
	v_add_f64_e32 v[170:171], v[170:171], v[182:183]
	v_add_f64_e32 v[172:173], v[172:173], v[180:181]
	v_fmac_f64_e32 v[178:179], v[164:165], v[10:11]
	v_fma_f64 v[10:11], v[162:163], v[10:11], -v[12:13]
	s_wait_loadcnt_dscnt 0x601
	v_mul_f64_e32 v[180:181], v[4:5], v[136:137]
	v_mul_f64_e32 v[136:137], v[6:7], v[136:137]
	s_wait_loadcnt_dscnt 0x500
	v_mul_f64_e32 v[164:165], v[166:167], v[140:141]
	v_mul_f64_e32 v[140:141], v[168:169], v[140:141]
	v_add_f64_e32 v[12:13], v[170:171], v[184:185]
	v_add_f64_e32 v[162:163], v[172:173], v[190:191]
	v_fmac_f64_e32 v[180:181], v[6:7], v[134:135]
	v_fma_f64 v[134:135], v[4:5], v[134:135], -v[136:137]
	v_fmac_f64_e32 v[164:165], v[168:169], v[138:139]
	v_fma_f64 v[138:139], v[166:167], v[138:139], -v[140:141]
	v_add_f64_e32 v[136:137], v[12:13], v[10:11]
	v_add_f64_e32 v[162:163], v[162:163], v[178:179]
	ds_load_b128 v[4:7], v2 offset:1840
	ds_load_b128 v[10:13], v2 offset:1856
	s_wait_loadcnt_dscnt 0x401
	v_mul_f64_e32 v[170:171], v[4:5], v[144:145]
	v_mul_f64_e32 v[144:145], v[6:7], v[144:145]
	s_wait_loadcnt_dscnt 0x300
	v_mul_f64_e32 v[140:141], v[10:11], v[148:149]
	v_mul_f64_e32 v[148:149], v[12:13], v[148:149]
	v_add_f64_e32 v[134:135], v[136:137], v[134:135]
	v_add_f64_e32 v[136:137], v[162:163], v[180:181]
	v_fmac_f64_e32 v[170:171], v[6:7], v[142:143]
	v_fma_f64 v[142:143], v[4:5], v[142:143], -v[144:145]
	v_fmac_f64_e32 v[140:141], v[12:13], v[146:147]
	v_fma_f64 v[10:11], v[10:11], v[146:147], -v[148:149]
	v_add_f64_e32 v[138:139], v[134:135], v[138:139]
	v_add_f64_e32 v[144:145], v[136:137], v[164:165]
	ds_load_b128 v[4:7], v2 offset:1872
	ds_load_b128 v[134:137], v2 offset:1888
	s_wait_loadcnt_dscnt 0x201
	v_mul_f64_e32 v[162:163], v[4:5], v[152:153]
	v_mul_f64_e32 v[152:153], v[6:7], v[152:153]
	v_add_f64_e32 v[12:13], v[138:139], v[142:143]
	v_add_f64_e32 v[138:139], v[144:145], v[170:171]
	s_wait_loadcnt_dscnt 0x100
	v_mul_f64_e32 v[142:143], v[134:135], v[156:157]
	v_mul_f64_e32 v[144:145], v[136:137], v[156:157]
	v_fmac_f64_e32 v[162:163], v[6:7], v[150:151]
	v_fma_f64 v[146:147], v[4:5], v[150:151], -v[152:153]
	ds_load_b128 v[4:7], v2 offset:1904
	v_add_f64_e32 v[10:11], v[12:13], v[10:11]
	v_add_f64_e32 v[12:13], v[138:139], v[140:141]
	v_fmac_f64_e32 v[142:143], v[136:137], v[154:155]
	v_fma_f64 v[134:135], v[134:135], v[154:155], -v[144:145]
	s_wait_loadcnt_dscnt 0x0
	v_mul_f64_e32 v[138:139], v[4:5], v[160:161]
	v_mul_f64_e32 v[140:141], v[6:7], v[160:161]
	v_add_f64_e32 v[10:11], v[10:11], v[146:147]
	v_add_f64_e32 v[12:13], v[12:13], v[162:163]
	s_delay_alu instid0(VALU_DEP_4) | instskip(NEXT) | instid1(VALU_DEP_4)
	v_fmac_f64_e32 v[138:139], v[6:7], v[158:159]
	v_fma_f64 v[4:5], v[4:5], v[158:159], -v[140:141]
	s_delay_alu instid0(VALU_DEP_4) | instskip(NEXT) | instid1(VALU_DEP_4)
	v_add_f64_e32 v[6:7], v[10:11], v[134:135]
	v_add_f64_e32 v[10:11], v[12:13], v[142:143]
	s_delay_alu instid0(VALU_DEP_2) | instskip(NEXT) | instid1(VALU_DEP_2)
	v_add_f64_e32 v[4:5], v[6:7], v[4:5]
	v_add_f64_e32 v[6:7], v[10:11], v[138:139]
	s_delay_alu instid0(VALU_DEP_2) | instskip(NEXT) | instid1(VALU_DEP_2)
	v_add_f64_e64 v[4:5], v[174:175], -v[4:5]
	v_add_f64_e64 v[6:7], v[176:177], -v[6:7]
	scratch_store_b128 off, v[4:7], off offset:608
	s_wait_xcnt 0x0
	v_cmpx_lt_u32_e32 37, v1
	s_cbranch_execz .LBB123_299
; %bb.298:
	scratch_load_b128 v[10:13], off, s39
	v_dual_mov_b32 v3, v2 :: v_dual_mov_b32 v4, v2
	v_mov_b32_e32 v5, v2
	scratch_store_b128 off, v[2:5], off offset:592
	s_wait_loadcnt 0x0
	ds_store_b128 v8, v[10:13]
.LBB123_299:
	s_wait_xcnt 0x0
	s_or_b32 exec_lo, exec_lo, s2
	s_wait_storecnt_dscnt 0x0
	s_barrier_signal -1
	s_barrier_wait -1
	s_clause 0x9
	scratch_load_b128 v[4:7], off, off offset:608
	scratch_load_b128 v[10:13], off, off offset:624
	;; [unrolled: 1-line block ×10, first 2 shown]
	ds_load_b128 v[166:169], v2 offset:1568
	ds_load_b128 v[174:177], v2 offset:1584
	s_clause 0x2
	scratch_load_b128 v[170:173], off, off offset:768
	scratch_load_b128 v[178:181], off, off offset:592
	;; [unrolled: 1-line block ×3, first 2 shown]
	s_mov_b32 s2, exec_lo
	s_wait_loadcnt_dscnt 0xc01
	v_mul_f64_e32 v[186:187], v[168:169], v[6:7]
	v_mul_f64_e32 v[190:191], v[166:167], v[6:7]
	s_wait_loadcnt_dscnt 0xb00
	v_mul_f64_e32 v[192:193], v[174:175], v[12:13]
	v_mul_f64_e32 v[12:13], v[176:177], v[12:13]
	s_delay_alu instid0(VALU_DEP_4) | instskip(NEXT) | instid1(VALU_DEP_4)
	v_fma_f64 v[194:195], v[166:167], v[4:5], -v[186:187]
	v_fmac_f64_e32 v[190:191], v[168:169], v[4:5]
	ds_load_b128 v[4:7], v2 offset:1600
	ds_load_b128 v[166:169], v2 offset:1616
	scratch_load_b128 v[186:189], off, off offset:800
	v_fmac_f64_e32 v[192:193], v[176:177], v[10:11]
	v_fma_f64 v[174:175], v[174:175], v[10:11], -v[12:13]
	scratch_load_b128 v[10:13], off, off offset:816
	s_wait_loadcnt_dscnt 0xc01
	v_mul_f64_e32 v[196:197], v[4:5], v[136:137]
	v_mul_f64_e32 v[136:137], v[6:7], v[136:137]
	v_add_f64_e32 v[176:177], 0, v[194:195]
	v_add_f64_e32 v[190:191], 0, v[190:191]
	s_wait_loadcnt_dscnt 0xb00
	v_mul_f64_e32 v[194:195], v[166:167], v[140:141]
	v_mul_f64_e32 v[140:141], v[168:169], v[140:141]
	v_fmac_f64_e32 v[196:197], v[6:7], v[134:135]
	v_fma_f64 v[198:199], v[4:5], v[134:135], -v[136:137]
	ds_load_b128 v[4:7], v2 offset:1632
	ds_load_b128 v[134:137], v2 offset:1648
	v_add_f64_e32 v[200:201], v[176:177], v[174:175]
	v_add_f64_e32 v[190:191], v[190:191], v[192:193]
	scratch_load_b128 v[174:177], off, off offset:832
	v_fmac_f64_e32 v[194:195], v[168:169], v[138:139]
	v_fma_f64 v[166:167], v[166:167], v[138:139], -v[140:141]
	scratch_load_b128 v[138:141], off, off offset:848
	s_wait_loadcnt_dscnt 0xc01
	v_mul_f64_e32 v[192:193], v[4:5], v[144:145]
	v_mul_f64_e32 v[144:145], v[6:7], v[144:145]
	v_add_f64_e32 v[168:169], v[200:201], v[198:199]
	v_add_f64_e32 v[190:191], v[190:191], v[196:197]
	s_wait_loadcnt_dscnt 0xb00
	v_mul_f64_e32 v[196:197], v[134:135], v[148:149]
	v_mul_f64_e32 v[148:149], v[136:137], v[148:149]
	v_fmac_f64_e32 v[192:193], v[6:7], v[142:143]
	v_fma_f64 v[198:199], v[4:5], v[142:143], -v[144:145]
	ds_load_b128 v[4:7], v2 offset:1664
	ds_load_b128 v[142:145], v2 offset:1680
	v_add_f64_e32 v[200:201], v[168:169], v[166:167]
	v_add_f64_e32 v[190:191], v[190:191], v[194:195]
	scratch_load_b128 v[166:169], off, off offset:864
	s_wait_loadcnt_dscnt 0xb01
	v_mul_f64_e32 v[194:195], v[4:5], v[152:153]
	v_mul_f64_e32 v[152:153], v[6:7], v[152:153]
	v_fmac_f64_e32 v[196:197], v[136:137], v[146:147]
	v_fma_f64 v[146:147], v[134:135], v[146:147], -v[148:149]
	scratch_load_b128 v[134:137], off, off offset:880
	v_add_f64_e32 v[148:149], v[200:201], v[198:199]
	v_add_f64_e32 v[190:191], v[190:191], v[192:193]
	s_wait_loadcnt_dscnt 0xb00
	v_mul_f64_e32 v[192:193], v[142:143], v[156:157]
	v_mul_f64_e32 v[156:157], v[144:145], v[156:157]
	v_fmac_f64_e32 v[194:195], v[6:7], v[150:151]
	v_fma_f64 v[198:199], v[4:5], v[150:151], -v[152:153]
	v_add_f64_e32 v[200:201], v[148:149], v[146:147]
	v_add_f64_e32 v[190:191], v[190:191], v[196:197]
	ds_load_b128 v[4:7], v2 offset:1696
	ds_load_b128 v[146:149], v2 offset:1712
	scratch_load_b128 v[150:153], off, off offset:896
	v_fmac_f64_e32 v[192:193], v[144:145], v[154:155]
	v_fma_f64 v[154:155], v[142:143], v[154:155], -v[156:157]
	scratch_load_b128 v[142:145], off, off offset:912
	s_wait_loadcnt_dscnt 0xc01
	v_mul_f64_e32 v[196:197], v[4:5], v[160:161]
	v_mul_f64_e32 v[160:161], v[6:7], v[160:161]
	v_add_f64_e32 v[156:157], v[200:201], v[198:199]
	v_add_f64_e32 v[190:191], v[190:191], v[194:195]
	s_wait_loadcnt_dscnt 0xb00
	v_mul_f64_e32 v[194:195], v[146:147], v[164:165]
	v_mul_f64_e32 v[164:165], v[148:149], v[164:165]
	v_fmac_f64_e32 v[196:197], v[6:7], v[158:159]
	v_fma_f64 v[198:199], v[4:5], v[158:159], -v[160:161]
	v_add_f64_e32 v[200:201], v[156:157], v[154:155]
	v_add_f64_e32 v[190:191], v[190:191], v[192:193]
	ds_load_b128 v[4:7], v2 offset:1728
	ds_load_b128 v[154:157], v2 offset:1744
	scratch_load_b128 v[158:161], off, off offset:928
	v_fmac_f64_e32 v[194:195], v[148:149], v[162:163]
	v_fma_f64 v[162:163], v[146:147], v[162:163], -v[164:165]
	scratch_load_b128 v[146:149], off, off offset:944
	s_wait_loadcnt_dscnt 0xc01
	v_mul_f64_e32 v[192:193], v[4:5], v[172:173]
	v_mul_f64_e32 v[172:173], v[6:7], v[172:173]
	v_add_f64_e32 v[164:165], v[200:201], v[198:199]
	v_add_f64_e32 v[190:191], v[190:191], v[196:197]
	s_wait_loadcnt_dscnt 0xa00
	v_mul_f64_e32 v[196:197], v[154:155], v[184:185]
	v_mul_f64_e32 v[184:185], v[156:157], v[184:185]
	v_fmac_f64_e32 v[192:193], v[6:7], v[170:171]
	v_fma_f64 v[170:171], v[4:5], v[170:171], -v[172:173]
	v_add_f64_e32 v[172:173], v[164:165], v[162:163]
	v_add_f64_e32 v[190:191], v[190:191], v[194:195]
	ds_load_b128 v[4:7], v2 offset:1760
	ds_load_b128 v[162:165], v2 offset:1776
	v_fmac_f64_e32 v[196:197], v[156:157], v[182:183]
	v_fma_f64 v[154:155], v[154:155], v[182:183], -v[184:185]
	s_wait_loadcnt_dscnt 0x901
	v_mul_f64_e32 v[194:195], v[4:5], v[188:189]
	v_mul_f64_e32 v[188:189], v[6:7], v[188:189]
	v_add_f64_e32 v[156:157], v[172:173], v[170:171]
	v_add_f64_e32 v[170:171], v[190:191], v[192:193]
	s_wait_loadcnt_dscnt 0x800
	v_mul_f64_e32 v[172:173], v[162:163], v[12:13]
	v_mul_f64_e32 v[12:13], v[164:165], v[12:13]
	v_fmac_f64_e32 v[194:195], v[6:7], v[186:187]
	v_fma_f64 v[182:183], v[4:5], v[186:187], -v[188:189]
	v_add_f64_e32 v[184:185], v[156:157], v[154:155]
	v_add_f64_e32 v[170:171], v[170:171], v[196:197]
	ds_load_b128 v[4:7], v2 offset:1792
	ds_load_b128 v[154:157], v2 offset:1808
	v_fmac_f64_e32 v[172:173], v[164:165], v[10:11]
	v_fma_f64 v[10:11], v[162:163], v[10:11], -v[12:13]
	s_wait_loadcnt_dscnt 0x701
	v_mul_f64_e32 v[186:187], v[4:5], v[176:177]
	v_mul_f64_e32 v[176:177], v[6:7], v[176:177]
	s_wait_loadcnt_dscnt 0x600
	v_mul_f64_e32 v[164:165], v[154:155], v[140:141]
	v_mul_f64_e32 v[140:141], v[156:157], v[140:141]
	v_add_f64_e32 v[12:13], v[184:185], v[182:183]
	v_add_f64_e32 v[162:163], v[170:171], v[194:195]
	v_fmac_f64_e32 v[186:187], v[6:7], v[174:175]
	v_fma_f64 v[170:171], v[4:5], v[174:175], -v[176:177]
	v_fmac_f64_e32 v[164:165], v[156:157], v[138:139]
	v_fma_f64 v[138:139], v[154:155], v[138:139], -v[140:141]
	v_add_f64_e32 v[174:175], v[12:13], v[10:11]
	v_add_f64_e32 v[162:163], v[162:163], v[172:173]
	ds_load_b128 v[4:7], v2 offset:1824
	ds_load_b128 v[10:13], v2 offset:1840
	s_wait_loadcnt_dscnt 0x501
	v_mul_f64_e32 v[172:173], v[4:5], v[168:169]
	v_mul_f64_e32 v[168:169], v[6:7], v[168:169]
	s_wait_loadcnt_dscnt 0x400
	v_mul_f64_e32 v[156:157], v[10:11], v[136:137]
	v_add_f64_e32 v[140:141], v[174:175], v[170:171]
	v_add_f64_e32 v[154:155], v[162:163], v[186:187]
	v_mul_f64_e32 v[162:163], v[12:13], v[136:137]
	v_fmac_f64_e32 v[172:173], v[6:7], v[166:167]
	v_fma_f64 v[166:167], v[4:5], v[166:167], -v[168:169]
	v_fmac_f64_e32 v[156:157], v[12:13], v[134:135]
	v_add_f64_e32 v[140:141], v[140:141], v[138:139]
	v_add_f64_e32 v[154:155], v[154:155], v[164:165]
	ds_load_b128 v[4:7], v2 offset:1856
	ds_load_b128 v[136:139], v2 offset:1872
	v_fma_f64 v[10:11], v[10:11], v[134:135], -v[162:163]
	s_wait_loadcnt_dscnt 0x301
	v_mul_f64_e32 v[164:165], v[4:5], v[152:153]
	v_mul_f64_e32 v[152:153], v[6:7], v[152:153]
	v_add_f64_e32 v[12:13], v[140:141], v[166:167]
	v_add_f64_e32 v[134:135], v[154:155], v[172:173]
	s_wait_loadcnt_dscnt 0x200
	v_mul_f64_e32 v[140:141], v[136:137], v[144:145]
	v_mul_f64_e32 v[144:145], v[138:139], v[144:145]
	v_fmac_f64_e32 v[164:165], v[6:7], v[150:151]
	v_fma_f64 v[150:151], v[4:5], v[150:151], -v[152:153]
	v_add_f64_e32 v[152:153], v[12:13], v[10:11]
	v_add_f64_e32 v[134:135], v[134:135], v[156:157]
	ds_load_b128 v[4:7], v2 offset:1888
	ds_load_b128 v[10:13], v2 offset:1904
	v_fmac_f64_e32 v[140:141], v[138:139], v[142:143]
	v_fma_f64 v[136:137], v[136:137], v[142:143], -v[144:145]
	s_wait_loadcnt_dscnt 0x101
	v_mul_f64_e32 v[2:3], v[4:5], v[160:161]
	v_mul_f64_e32 v[154:155], v[6:7], v[160:161]
	s_wait_loadcnt_dscnt 0x0
	v_mul_f64_e32 v[142:143], v[10:11], v[148:149]
	v_mul_f64_e32 v[144:145], v[12:13], v[148:149]
	v_add_f64_e32 v[138:139], v[152:153], v[150:151]
	v_add_f64_e32 v[134:135], v[134:135], v[164:165]
	v_fmac_f64_e32 v[2:3], v[6:7], v[158:159]
	v_fma_f64 v[4:5], v[4:5], v[158:159], -v[154:155]
	v_fmac_f64_e32 v[142:143], v[12:13], v[146:147]
	v_fma_f64 v[10:11], v[10:11], v[146:147], -v[144:145]
	v_add_f64_e32 v[6:7], v[138:139], v[136:137]
	v_add_f64_e32 v[134:135], v[134:135], v[140:141]
	s_delay_alu instid0(VALU_DEP_2) | instskip(NEXT) | instid1(VALU_DEP_2)
	v_add_f64_e32 v[4:5], v[6:7], v[4:5]
	v_add_f64_e32 v[2:3], v[134:135], v[2:3]
	s_delay_alu instid0(VALU_DEP_2) | instskip(NEXT) | instid1(VALU_DEP_2)
	;; [unrolled: 3-line block ×3, first 2 shown]
	v_add_f64_e64 v[2:3], v[178:179], -v[4:5]
	v_add_f64_e64 v[4:5], v[180:181], -v[6:7]
	scratch_store_b128 off, v[2:5], off offset:592
	s_wait_xcnt 0x0
	v_cmpx_lt_u32_e32 36, v1
	s_cbranch_execz .LBB123_301
; %bb.300:
	scratch_load_b128 v[2:5], off, s40
	v_mov_b32_e32 v10, 0
	s_delay_alu instid0(VALU_DEP_1)
	v_dual_mov_b32 v11, v10 :: v_dual_mov_b32 v12, v10
	v_mov_b32_e32 v13, v10
	scratch_store_b128 off, v[10:13], off offset:576
	s_wait_loadcnt 0x0
	ds_store_b128 v8, v[2:5]
.LBB123_301:
	s_wait_xcnt 0x0
	s_or_b32 exec_lo, exec_lo, s2
	s_wait_storecnt_dscnt 0x0
	s_barrier_signal -1
	s_barrier_wait -1
	s_clause 0x9
	scratch_load_b128 v[4:7], off, off offset:592
	scratch_load_b128 v[10:13], off, off offset:608
	;; [unrolled: 1-line block ×10, first 2 shown]
	v_mov_b32_e32 v2, 0
	s_mov_b32 s2, exec_lo
	ds_load_b128 v[166:169], v2 offset:1552
	s_clause 0x2
	scratch_load_b128 v[170:173], off, off offset:752
	scratch_load_b128 v[174:177], off, off offset:576
	;; [unrolled: 1-line block ×3, first 2 shown]
	s_wait_loadcnt_dscnt 0xc00
	v_mul_f64_e32 v[186:187], v[168:169], v[6:7]
	v_mul_f64_e32 v[190:191], v[166:167], v[6:7]
	ds_load_b128 v[178:181], v2 offset:1568
	v_fma_f64 v[194:195], v[166:167], v[4:5], -v[186:187]
	v_fmac_f64_e32 v[190:191], v[168:169], v[4:5]
	ds_load_b128 v[4:7], v2 offset:1584
	s_wait_loadcnt_dscnt 0xb01
	v_mul_f64_e32 v[192:193], v[178:179], v[12:13]
	v_mul_f64_e32 v[12:13], v[180:181], v[12:13]
	scratch_load_b128 v[166:169], off, off offset:784
	ds_load_b128 v[186:189], v2 offset:1600
	s_wait_loadcnt_dscnt 0xb01
	v_mul_f64_e32 v[196:197], v[4:5], v[136:137]
	v_mul_f64_e32 v[136:137], v[6:7], v[136:137]
	v_add_f64_e32 v[190:191], 0, v[190:191]
	v_fmac_f64_e32 v[192:193], v[180:181], v[10:11]
	v_fma_f64 v[178:179], v[178:179], v[10:11], -v[12:13]
	v_add_f64_e32 v[180:181], 0, v[194:195]
	scratch_load_b128 v[10:13], off, off offset:800
	v_fmac_f64_e32 v[196:197], v[6:7], v[134:135]
	v_fma_f64 v[198:199], v[4:5], v[134:135], -v[136:137]
	ds_load_b128 v[4:7], v2 offset:1616
	s_wait_loadcnt_dscnt 0xb01
	v_mul_f64_e32 v[194:195], v[186:187], v[140:141]
	v_mul_f64_e32 v[140:141], v[188:189], v[140:141]
	scratch_load_b128 v[134:137], off, off offset:816
	v_add_f64_e32 v[190:191], v[190:191], v[192:193]
	v_add_f64_e32 v[200:201], v[180:181], v[178:179]
	ds_load_b128 v[178:181], v2 offset:1632
	s_wait_loadcnt_dscnt 0xb01
	v_mul_f64_e32 v[192:193], v[4:5], v[144:145]
	v_mul_f64_e32 v[144:145], v[6:7], v[144:145]
	v_fmac_f64_e32 v[194:195], v[188:189], v[138:139]
	v_fma_f64 v[186:187], v[186:187], v[138:139], -v[140:141]
	scratch_load_b128 v[138:141], off, off offset:832
	v_add_f64_e32 v[190:191], v[190:191], v[196:197]
	v_add_f64_e32 v[188:189], v[200:201], v[198:199]
	v_fmac_f64_e32 v[192:193], v[6:7], v[142:143]
	v_fma_f64 v[198:199], v[4:5], v[142:143], -v[144:145]
	ds_load_b128 v[4:7], v2 offset:1648
	s_wait_loadcnt_dscnt 0xb01
	v_mul_f64_e32 v[196:197], v[178:179], v[148:149]
	v_mul_f64_e32 v[148:149], v[180:181], v[148:149]
	scratch_load_b128 v[142:145], off, off offset:848
	v_add_f64_e32 v[190:191], v[190:191], v[194:195]
	s_wait_loadcnt_dscnt 0xb00
	v_mul_f64_e32 v[194:195], v[4:5], v[152:153]
	v_add_f64_e32 v[200:201], v[188:189], v[186:187]
	v_mul_f64_e32 v[152:153], v[6:7], v[152:153]
	ds_load_b128 v[186:189], v2 offset:1664
	v_fmac_f64_e32 v[196:197], v[180:181], v[146:147]
	v_fma_f64 v[178:179], v[178:179], v[146:147], -v[148:149]
	scratch_load_b128 v[146:149], off, off offset:864
	v_add_f64_e32 v[190:191], v[190:191], v[192:193]
	v_fmac_f64_e32 v[194:195], v[6:7], v[150:151]
	v_add_f64_e32 v[180:181], v[200:201], v[198:199]
	v_fma_f64 v[198:199], v[4:5], v[150:151], -v[152:153]
	ds_load_b128 v[4:7], v2 offset:1680
	s_wait_loadcnt_dscnt 0xb01
	v_mul_f64_e32 v[192:193], v[186:187], v[156:157]
	v_mul_f64_e32 v[156:157], v[188:189], v[156:157]
	scratch_load_b128 v[150:153], off, off offset:880
	v_add_f64_e32 v[190:191], v[190:191], v[196:197]
	s_wait_loadcnt_dscnt 0xb00
	v_mul_f64_e32 v[196:197], v[4:5], v[160:161]
	v_add_f64_e32 v[200:201], v[180:181], v[178:179]
	v_mul_f64_e32 v[160:161], v[6:7], v[160:161]
	ds_load_b128 v[178:181], v2 offset:1696
	v_fmac_f64_e32 v[192:193], v[188:189], v[154:155]
	v_fma_f64 v[186:187], v[186:187], v[154:155], -v[156:157]
	scratch_load_b128 v[154:157], off, off offset:896
	v_add_f64_e32 v[190:191], v[190:191], v[194:195]
	v_fmac_f64_e32 v[196:197], v[6:7], v[158:159]
	v_add_f64_e32 v[188:189], v[200:201], v[198:199]
	;; [unrolled: 18-line block ×3, first 2 shown]
	v_fma_f64 v[198:199], v[4:5], v[170:171], -v[172:173]
	ds_load_b128 v[4:7], v2 offset:1744
	s_wait_loadcnt_dscnt 0xa01
	v_mul_f64_e32 v[196:197], v[186:187], v[184:185]
	v_mul_f64_e32 v[184:185], v[188:189], v[184:185]
	scratch_load_b128 v[170:173], off, off offset:944
	v_add_f64_e32 v[190:191], v[190:191], v[194:195]
	v_add_f64_e32 v[200:201], v[180:181], v[178:179]
	s_wait_loadcnt_dscnt 0xa00
	v_mul_f64_e32 v[194:195], v[4:5], v[168:169]
	v_mul_f64_e32 v[168:169], v[6:7], v[168:169]
	v_fmac_f64_e32 v[196:197], v[188:189], v[182:183]
	v_fma_f64 v[182:183], v[186:187], v[182:183], -v[184:185]
	ds_load_b128 v[178:181], v2 offset:1760
	v_add_f64_e32 v[186:187], v[190:191], v[192:193]
	v_add_f64_e32 v[184:185], v[200:201], v[198:199]
	s_wait_loadcnt_dscnt 0x900
	v_mul_f64_e32 v[188:189], v[178:179], v[12:13]
	v_mul_f64_e32 v[12:13], v[180:181], v[12:13]
	v_fmac_f64_e32 v[194:195], v[6:7], v[166:167]
	v_fma_f64 v[190:191], v[4:5], v[166:167], -v[168:169]
	ds_load_b128 v[4:7], v2 offset:1776
	ds_load_b128 v[166:169], v2 offset:1792
	v_add_f64_e32 v[182:183], v[184:185], v[182:183]
	v_add_f64_e32 v[184:185], v[186:187], v[196:197]
	s_wait_loadcnt_dscnt 0x801
	v_mul_f64_e32 v[186:187], v[4:5], v[136:137]
	v_mul_f64_e32 v[136:137], v[6:7], v[136:137]
	v_fmac_f64_e32 v[188:189], v[180:181], v[10:11]
	v_fma_f64 v[10:11], v[178:179], v[10:11], -v[12:13]
	s_wait_loadcnt_dscnt 0x700
	v_mul_f64_e32 v[180:181], v[166:167], v[140:141]
	v_mul_f64_e32 v[140:141], v[168:169], v[140:141]
	v_add_f64_e32 v[12:13], v[182:183], v[190:191]
	v_add_f64_e32 v[178:179], v[184:185], v[194:195]
	v_fmac_f64_e32 v[186:187], v[6:7], v[134:135]
	v_fma_f64 v[134:135], v[4:5], v[134:135], -v[136:137]
	v_fmac_f64_e32 v[180:181], v[168:169], v[138:139]
	v_fma_f64 v[138:139], v[166:167], v[138:139], -v[140:141]
	v_add_f64_e32 v[136:137], v[12:13], v[10:11]
	v_add_f64_e32 v[178:179], v[178:179], v[188:189]
	ds_load_b128 v[4:7], v2 offset:1808
	ds_load_b128 v[10:13], v2 offset:1824
	s_wait_loadcnt_dscnt 0x601
	v_mul_f64_e32 v[182:183], v[4:5], v[144:145]
	v_mul_f64_e32 v[144:145], v[6:7], v[144:145]
	s_wait_loadcnt_dscnt 0x500
	v_mul_f64_e32 v[140:141], v[10:11], v[148:149]
	v_mul_f64_e32 v[148:149], v[12:13], v[148:149]
	v_add_f64_e32 v[134:135], v[136:137], v[134:135]
	v_add_f64_e32 v[136:137], v[178:179], v[186:187]
	v_fmac_f64_e32 v[182:183], v[6:7], v[142:143]
	v_fma_f64 v[142:143], v[4:5], v[142:143], -v[144:145]
	v_fmac_f64_e32 v[140:141], v[12:13], v[146:147]
	v_fma_f64 v[10:11], v[10:11], v[146:147], -v[148:149]
	v_add_f64_e32 v[138:139], v[134:135], v[138:139]
	v_add_f64_e32 v[144:145], v[136:137], v[180:181]
	ds_load_b128 v[4:7], v2 offset:1840
	ds_load_b128 v[134:137], v2 offset:1856
	s_wait_loadcnt_dscnt 0x401
	v_mul_f64_e32 v[166:167], v[4:5], v[152:153]
	v_mul_f64_e32 v[152:153], v[6:7], v[152:153]
	v_add_f64_e32 v[12:13], v[138:139], v[142:143]
	v_add_f64_e32 v[138:139], v[144:145], v[182:183]
	s_wait_loadcnt_dscnt 0x300
	v_mul_f64_e32 v[142:143], v[134:135], v[156:157]
	v_mul_f64_e32 v[144:145], v[136:137], v[156:157]
	v_fmac_f64_e32 v[166:167], v[6:7], v[150:151]
	v_fma_f64 v[146:147], v[4:5], v[150:151], -v[152:153]
	v_add_f64_e32 v[148:149], v[12:13], v[10:11]
	v_add_f64_e32 v[138:139], v[138:139], v[140:141]
	ds_load_b128 v[4:7], v2 offset:1872
	ds_load_b128 v[10:13], v2 offset:1888
	v_fmac_f64_e32 v[142:143], v[136:137], v[154:155]
	v_fma_f64 v[134:135], v[134:135], v[154:155], -v[144:145]
	s_wait_loadcnt_dscnt 0x201
	v_mul_f64_e32 v[140:141], v[4:5], v[160:161]
	v_mul_f64_e32 v[150:151], v[6:7], v[160:161]
	s_wait_loadcnt_dscnt 0x100
	v_mul_f64_e32 v[144:145], v[10:11], v[164:165]
	v_add_f64_e32 v[136:137], v[148:149], v[146:147]
	v_add_f64_e32 v[138:139], v[138:139], v[166:167]
	v_mul_f64_e32 v[146:147], v[12:13], v[164:165]
	v_fmac_f64_e32 v[140:141], v[6:7], v[158:159]
	v_fma_f64 v[148:149], v[4:5], v[158:159], -v[150:151]
	ds_load_b128 v[4:7], v2 offset:1904
	v_fmac_f64_e32 v[144:145], v[12:13], v[162:163]
	v_add_f64_e32 v[134:135], v[136:137], v[134:135]
	v_add_f64_e32 v[136:137], v[138:139], v[142:143]
	v_fma_f64 v[10:11], v[10:11], v[162:163], -v[146:147]
	s_wait_loadcnt_dscnt 0x0
	v_mul_f64_e32 v[138:139], v[4:5], v[172:173]
	v_mul_f64_e32 v[142:143], v[6:7], v[172:173]
	v_add_f64_e32 v[12:13], v[134:135], v[148:149]
	v_add_f64_e32 v[134:135], v[136:137], v[140:141]
	s_delay_alu instid0(VALU_DEP_4) | instskip(NEXT) | instid1(VALU_DEP_4)
	v_fmac_f64_e32 v[138:139], v[6:7], v[170:171]
	v_fma_f64 v[4:5], v[4:5], v[170:171], -v[142:143]
	s_delay_alu instid0(VALU_DEP_4) | instskip(NEXT) | instid1(VALU_DEP_4)
	v_add_f64_e32 v[6:7], v[12:13], v[10:11]
	v_add_f64_e32 v[10:11], v[134:135], v[144:145]
	s_delay_alu instid0(VALU_DEP_2) | instskip(NEXT) | instid1(VALU_DEP_2)
	v_add_f64_e32 v[4:5], v[6:7], v[4:5]
	v_add_f64_e32 v[6:7], v[10:11], v[138:139]
	s_delay_alu instid0(VALU_DEP_2) | instskip(NEXT) | instid1(VALU_DEP_2)
	v_add_f64_e64 v[4:5], v[174:175], -v[4:5]
	v_add_f64_e64 v[6:7], v[176:177], -v[6:7]
	scratch_store_b128 off, v[4:7], off offset:576
	s_wait_xcnt 0x0
	v_cmpx_lt_u32_e32 35, v1
	s_cbranch_execz .LBB123_303
; %bb.302:
	scratch_load_b128 v[10:13], off, s41
	v_dual_mov_b32 v3, v2 :: v_dual_mov_b32 v4, v2
	v_mov_b32_e32 v5, v2
	scratch_store_b128 off, v[2:5], off offset:560
	s_wait_loadcnt 0x0
	ds_store_b128 v8, v[10:13]
.LBB123_303:
	s_wait_xcnt 0x0
	s_or_b32 exec_lo, exec_lo, s2
	s_wait_storecnt_dscnt 0x0
	s_barrier_signal -1
	s_barrier_wait -1
	s_clause 0x9
	scratch_load_b128 v[4:7], off, off offset:576
	scratch_load_b128 v[10:13], off, off offset:592
	;; [unrolled: 1-line block ×10, first 2 shown]
	ds_load_b128 v[166:169], v2 offset:1536
	ds_load_b128 v[174:177], v2 offset:1552
	s_clause 0x2
	scratch_load_b128 v[170:173], off, off offset:736
	scratch_load_b128 v[178:181], off, off offset:560
	;; [unrolled: 1-line block ×3, first 2 shown]
	s_mov_b32 s2, exec_lo
	s_wait_loadcnt_dscnt 0xc01
	v_mul_f64_e32 v[186:187], v[168:169], v[6:7]
	v_mul_f64_e32 v[190:191], v[166:167], v[6:7]
	s_wait_loadcnt_dscnt 0xb00
	v_mul_f64_e32 v[192:193], v[174:175], v[12:13]
	v_mul_f64_e32 v[12:13], v[176:177], v[12:13]
	s_delay_alu instid0(VALU_DEP_4) | instskip(NEXT) | instid1(VALU_DEP_4)
	v_fma_f64 v[194:195], v[166:167], v[4:5], -v[186:187]
	v_fmac_f64_e32 v[190:191], v[168:169], v[4:5]
	ds_load_b128 v[4:7], v2 offset:1568
	ds_load_b128 v[166:169], v2 offset:1584
	scratch_load_b128 v[186:189], off, off offset:768
	v_fmac_f64_e32 v[192:193], v[176:177], v[10:11]
	v_fma_f64 v[174:175], v[174:175], v[10:11], -v[12:13]
	scratch_load_b128 v[10:13], off, off offset:784
	s_wait_loadcnt_dscnt 0xc01
	v_mul_f64_e32 v[196:197], v[4:5], v[136:137]
	v_mul_f64_e32 v[136:137], v[6:7], v[136:137]
	v_add_f64_e32 v[176:177], 0, v[194:195]
	v_add_f64_e32 v[190:191], 0, v[190:191]
	s_wait_loadcnt_dscnt 0xb00
	v_mul_f64_e32 v[194:195], v[166:167], v[140:141]
	v_mul_f64_e32 v[140:141], v[168:169], v[140:141]
	v_fmac_f64_e32 v[196:197], v[6:7], v[134:135]
	v_fma_f64 v[198:199], v[4:5], v[134:135], -v[136:137]
	ds_load_b128 v[4:7], v2 offset:1600
	ds_load_b128 v[134:137], v2 offset:1616
	v_add_f64_e32 v[200:201], v[176:177], v[174:175]
	v_add_f64_e32 v[190:191], v[190:191], v[192:193]
	scratch_load_b128 v[174:177], off, off offset:800
	v_fmac_f64_e32 v[194:195], v[168:169], v[138:139]
	v_fma_f64 v[166:167], v[166:167], v[138:139], -v[140:141]
	scratch_load_b128 v[138:141], off, off offset:816
	s_wait_loadcnt_dscnt 0xc01
	v_mul_f64_e32 v[192:193], v[4:5], v[144:145]
	v_mul_f64_e32 v[144:145], v[6:7], v[144:145]
	v_add_f64_e32 v[168:169], v[200:201], v[198:199]
	v_add_f64_e32 v[190:191], v[190:191], v[196:197]
	s_wait_loadcnt_dscnt 0xb00
	v_mul_f64_e32 v[196:197], v[134:135], v[148:149]
	v_mul_f64_e32 v[148:149], v[136:137], v[148:149]
	v_fmac_f64_e32 v[192:193], v[6:7], v[142:143]
	v_fma_f64 v[198:199], v[4:5], v[142:143], -v[144:145]
	ds_load_b128 v[4:7], v2 offset:1632
	ds_load_b128 v[142:145], v2 offset:1648
	v_add_f64_e32 v[200:201], v[168:169], v[166:167]
	v_add_f64_e32 v[190:191], v[190:191], v[194:195]
	scratch_load_b128 v[166:169], off, off offset:832
	s_wait_loadcnt_dscnt 0xb01
	v_mul_f64_e32 v[194:195], v[4:5], v[152:153]
	v_mul_f64_e32 v[152:153], v[6:7], v[152:153]
	v_fmac_f64_e32 v[196:197], v[136:137], v[146:147]
	v_fma_f64 v[146:147], v[134:135], v[146:147], -v[148:149]
	scratch_load_b128 v[134:137], off, off offset:848
	v_add_f64_e32 v[148:149], v[200:201], v[198:199]
	v_add_f64_e32 v[190:191], v[190:191], v[192:193]
	s_wait_loadcnt_dscnt 0xb00
	v_mul_f64_e32 v[192:193], v[142:143], v[156:157]
	v_mul_f64_e32 v[156:157], v[144:145], v[156:157]
	v_fmac_f64_e32 v[194:195], v[6:7], v[150:151]
	v_fma_f64 v[198:199], v[4:5], v[150:151], -v[152:153]
	v_add_f64_e32 v[200:201], v[148:149], v[146:147]
	v_add_f64_e32 v[190:191], v[190:191], v[196:197]
	ds_load_b128 v[4:7], v2 offset:1664
	ds_load_b128 v[146:149], v2 offset:1680
	scratch_load_b128 v[150:153], off, off offset:864
	v_fmac_f64_e32 v[192:193], v[144:145], v[154:155]
	v_fma_f64 v[154:155], v[142:143], v[154:155], -v[156:157]
	scratch_load_b128 v[142:145], off, off offset:880
	s_wait_loadcnt_dscnt 0xc01
	v_mul_f64_e32 v[196:197], v[4:5], v[160:161]
	v_mul_f64_e32 v[160:161], v[6:7], v[160:161]
	v_add_f64_e32 v[156:157], v[200:201], v[198:199]
	v_add_f64_e32 v[190:191], v[190:191], v[194:195]
	s_wait_loadcnt_dscnt 0xb00
	v_mul_f64_e32 v[194:195], v[146:147], v[164:165]
	v_mul_f64_e32 v[164:165], v[148:149], v[164:165]
	v_fmac_f64_e32 v[196:197], v[6:7], v[158:159]
	v_fma_f64 v[198:199], v[4:5], v[158:159], -v[160:161]
	v_add_f64_e32 v[200:201], v[156:157], v[154:155]
	v_add_f64_e32 v[190:191], v[190:191], v[192:193]
	ds_load_b128 v[4:7], v2 offset:1696
	ds_load_b128 v[154:157], v2 offset:1712
	scratch_load_b128 v[158:161], off, off offset:896
	v_fmac_f64_e32 v[194:195], v[148:149], v[162:163]
	v_fma_f64 v[162:163], v[146:147], v[162:163], -v[164:165]
	scratch_load_b128 v[146:149], off, off offset:912
	s_wait_loadcnt_dscnt 0xc01
	v_mul_f64_e32 v[192:193], v[4:5], v[172:173]
	v_mul_f64_e32 v[172:173], v[6:7], v[172:173]
	;; [unrolled: 18-line block ×3, first 2 shown]
	v_add_f64_e32 v[184:185], v[200:201], v[198:199]
	v_add_f64_e32 v[190:191], v[190:191], v[192:193]
	s_wait_loadcnt_dscnt 0xa00
	v_mul_f64_e32 v[192:193], v[162:163], v[12:13]
	v_mul_f64_e32 v[12:13], v[164:165], v[12:13]
	v_fmac_f64_e32 v[194:195], v[6:7], v[186:187]
	v_fma_f64 v[186:187], v[4:5], v[186:187], -v[188:189]
	v_add_f64_e32 v[188:189], v[184:185], v[182:183]
	v_add_f64_e32 v[190:191], v[190:191], v[196:197]
	ds_load_b128 v[4:7], v2 offset:1760
	ds_load_b128 v[182:185], v2 offset:1776
	v_fmac_f64_e32 v[192:193], v[164:165], v[10:11]
	v_fma_f64 v[10:11], v[162:163], v[10:11], -v[12:13]
	s_wait_loadcnt_dscnt 0x901
	v_mul_f64_e32 v[196:197], v[4:5], v[176:177]
	v_mul_f64_e32 v[176:177], v[6:7], v[176:177]
	s_wait_loadcnt_dscnt 0x800
	v_mul_f64_e32 v[164:165], v[182:183], v[140:141]
	v_mul_f64_e32 v[140:141], v[184:185], v[140:141]
	v_add_f64_e32 v[12:13], v[188:189], v[186:187]
	v_add_f64_e32 v[162:163], v[190:191], v[194:195]
	v_fmac_f64_e32 v[196:197], v[6:7], v[174:175]
	v_fma_f64 v[174:175], v[4:5], v[174:175], -v[176:177]
	v_fmac_f64_e32 v[164:165], v[184:185], v[138:139]
	v_fma_f64 v[138:139], v[182:183], v[138:139], -v[140:141]
	v_add_f64_e32 v[176:177], v[12:13], v[10:11]
	v_add_f64_e32 v[162:163], v[162:163], v[192:193]
	ds_load_b128 v[4:7], v2 offset:1792
	ds_load_b128 v[10:13], v2 offset:1808
	s_wait_loadcnt_dscnt 0x701
	v_mul_f64_e32 v[186:187], v[4:5], v[168:169]
	v_mul_f64_e32 v[168:169], v[6:7], v[168:169]
	v_add_f64_e32 v[140:141], v[176:177], v[174:175]
	v_add_f64_e32 v[162:163], v[162:163], v[196:197]
	s_wait_loadcnt_dscnt 0x600
	v_mul_f64_e32 v[174:175], v[10:11], v[136:137]
	v_mul_f64_e32 v[176:177], v[12:13], v[136:137]
	v_fmac_f64_e32 v[186:187], v[6:7], v[166:167]
	v_fma_f64 v[166:167], v[4:5], v[166:167], -v[168:169]
	v_add_f64_e32 v[140:141], v[140:141], v[138:139]
	v_add_f64_e32 v[162:163], v[162:163], v[164:165]
	ds_load_b128 v[4:7], v2 offset:1824
	ds_load_b128 v[136:139], v2 offset:1840
	v_fmac_f64_e32 v[174:175], v[12:13], v[134:135]
	v_fma_f64 v[10:11], v[10:11], v[134:135], -v[176:177]
	s_wait_loadcnt_dscnt 0x501
	v_mul_f64_e32 v[164:165], v[4:5], v[152:153]
	v_mul_f64_e32 v[152:153], v[6:7], v[152:153]
	v_add_f64_e32 v[12:13], v[140:141], v[166:167]
	v_add_f64_e32 v[134:135], v[162:163], v[186:187]
	s_wait_loadcnt_dscnt 0x400
	v_mul_f64_e32 v[140:141], v[136:137], v[144:145]
	v_mul_f64_e32 v[144:145], v[138:139], v[144:145]
	v_fmac_f64_e32 v[164:165], v[6:7], v[150:151]
	v_fma_f64 v[150:151], v[4:5], v[150:151], -v[152:153]
	v_add_f64_e32 v[152:153], v[12:13], v[10:11]
	v_add_f64_e32 v[134:135], v[134:135], v[174:175]
	ds_load_b128 v[4:7], v2 offset:1856
	ds_load_b128 v[10:13], v2 offset:1872
	v_fmac_f64_e32 v[140:141], v[138:139], v[142:143]
	v_fma_f64 v[136:137], v[136:137], v[142:143], -v[144:145]
	s_wait_loadcnt_dscnt 0x301
	v_mul_f64_e32 v[162:163], v[4:5], v[160:161]
	v_mul_f64_e32 v[160:161], v[6:7], v[160:161]
	s_wait_loadcnt_dscnt 0x200
	v_mul_f64_e32 v[142:143], v[10:11], v[148:149]
	v_mul_f64_e32 v[144:145], v[12:13], v[148:149]
	v_add_f64_e32 v[138:139], v[152:153], v[150:151]
	v_add_f64_e32 v[134:135], v[134:135], v[164:165]
	v_fmac_f64_e32 v[162:163], v[6:7], v[158:159]
	v_fma_f64 v[148:149], v[4:5], v[158:159], -v[160:161]
	v_fmac_f64_e32 v[142:143], v[12:13], v[146:147]
	v_fma_f64 v[10:11], v[10:11], v[146:147], -v[144:145]
	v_add_f64_e32 v[138:139], v[138:139], v[136:137]
	v_add_f64_e32 v[140:141], v[134:135], v[140:141]
	ds_load_b128 v[4:7], v2 offset:1888
	ds_load_b128 v[134:137], v2 offset:1904
	s_wait_loadcnt_dscnt 0x101
	v_mul_f64_e32 v[2:3], v[4:5], v[172:173]
	v_mul_f64_e32 v[150:151], v[6:7], v[172:173]
	s_wait_loadcnt_dscnt 0x0
	v_mul_f64_e32 v[144:145], v[136:137], v[156:157]
	v_add_f64_e32 v[12:13], v[138:139], v[148:149]
	v_add_f64_e32 v[138:139], v[140:141], v[162:163]
	v_mul_f64_e32 v[140:141], v[134:135], v[156:157]
	v_fmac_f64_e32 v[2:3], v[6:7], v[170:171]
	v_fma_f64 v[4:5], v[4:5], v[170:171], -v[150:151]
	v_add_f64_e32 v[6:7], v[12:13], v[10:11]
	v_add_f64_e32 v[10:11], v[138:139], v[142:143]
	v_fmac_f64_e32 v[140:141], v[136:137], v[154:155]
	v_fma_f64 v[12:13], v[134:135], v[154:155], -v[144:145]
	s_delay_alu instid0(VALU_DEP_4) | instskip(NEXT) | instid1(VALU_DEP_4)
	v_add_f64_e32 v[4:5], v[6:7], v[4:5]
	v_add_f64_e32 v[2:3], v[10:11], v[2:3]
	s_delay_alu instid0(VALU_DEP_2) | instskip(NEXT) | instid1(VALU_DEP_2)
	v_add_f64_e32 v[4:5], v[4:5], v[12:13]
	v_add_f64_e32 v[6:7], v[2:3], v[140:141]
	s_delay_alu instid0(VALU_DEP_2) | instskip(NEXT) | instid1(VALU_DEP_2)
	v_add_f64_e64 v[2:3], v[178:179], -v[4:5]
	v_add_f64_e64 v[4:5], v[180:181], -v[6:7]
	scratch_store_b128 off, v[2:5], off offset:560
	s_wait_xcnt 0x0
	v_cmpx_lt_u32_e32 34, v1
	s_cbranch_execz .LBB123_305
; %bb.304:
	scratch_load_b128 v[2:5], off, s42
	v_mov_b32_e32 v10, 0
	s_delay_alu instid0(VALU_DEP_1)
	v_dual_mov_b32 v11, v10 :: v_dual_mov_b32 v12, v10
	v_mov_b32_e32 v13, v10
	scratch_store_b128 off, v[10:13], off offset:544
	s_wait_loadcnt 0x0
	ds_store_b128 v8, v[2:5]
.LBB123_305:
	s_wait_xcnt 0x0
	s_or_b32 exec_lo, exec_lo, s2
	s_wait_storecnt_dscnt 0x0
	s_barrier_signal -1
	s_barrier_wait -1
	s_clause 0x9
	scratch_load_b128 v[4:7], off, off offset:560
	scratch_load_b128 v[10:13], off, off offset:576
	;; [unrolled: 1-line block ×10, first 2 shown]
	v_mov_b32_e32 v2, 0
	s_mov_b32 s2, exec_lo
	ds_load_b128 v[166:169], v2 offset:1520
	s_clause 0x2
	scratch_load_b128 v[170:173], off, off offset:720
	scratch_load_b128 v[174:177], off, off offset:544
	;; [unrolled: 1-line block ×3, first 2 shown]
	s_wait_loadcnt_dscnt 0xc00
	v_mul_f64_e32 v[186:187], v[168:169], v[6:7]
	v_mul_f64_e32 v[190:191], v[166:167], v[6:7]
	ds_load_b128 v[178:181], v2 offset:1536
	v_fma_f64 v[194:195], v[166:167], v[4:5], -v[186:187]
	v_fmac_f64_e32 v[190:191], v[168:169], v[4:5]
	ds_load_b128 v[4:7], v2 offset:1552
	s_wait_loadcnt_dscnt 0xb01
	v_mul_f64_e32 v[192:193], v[178:179], v[12:13]
	v_mul_f64_e32 v[12:13], v[180:181], v[12:13]
	scratch_load_b128 v[166:169], off, off offset:752
	ds_load_b128 v[186:189], v2 offset:1568
	s_wait_loadcnt_dscnt 0xb01
	v_mul_f64_e32 v[196:197], v[4:5], v[136:137]
	v_mul_f64_e32 v[136:137], v[6:7], v[136:137]
	v_add_f64_e32 v[190:191], 0, v[190:191]
	v_fmac_f64_e32 v[192:193], v[180:181], v[10:11]
	v_fma_f64 v[178:179], v[178:179], v[10:11], -v[12:13]
	v_add_f64_e32 v[180:181], 0, v[194:195]
	scratch_load_b128 v[10:13], off, off offset:768
	v_fmac_f64_e32 v[196:197], v[6:7], v[134:135]
	v_fma_f64 v[198:199], v[4:5], v[134:135], -v[136:137]
	ds_load_b128 v[4:7], v2 offset:1584
	s_wait_loadcnt_dscnt 0xb01
	v_mul_f64_e32 v[194:195], v[186:187], v[140:141]
	v_mul_f64_e32 v[140:141], v[188:189], v[140:141]
	scratch_load_b128 v[134:137], off, off offset:784
	v_add_f64_e32 v[190:191], v[190:191], v[192:193]
	v_add_f64_e32 v[200:201], v[180:181], v[178:179]
	ds_load_b128 v[178:181], v2 offset:1600
	s_wait_loadcnt_dscnt 0xb01
	v_mul_f64_e32 v[192:193], v[4:5], v[144:145]
	v_mul_f64_e32 v[144:145], v[6:7], v[144:145]
	v_fmac_f64_e32 v[194:195], v[188:189], v[138:139]
	v_fma_f64 v[186:187], v[186:187], v[138:139], -v[140:141]
	scratch_load_b128 v[138:141], off, off offset:800
	v_add_f64_e32 v[190:191], v[190:191], v[196:197]
	v_add_f64_e32 v[188:189], v[200:201], v[198:199]
	v_fmac_f64_e32 v[192:193], v[6:7], v[142:143]
	v_fma_f64 v[198:199], v[4:5], v[142:143], -v[144:145]
	ds_load_b128 v[4:7], v2 offset:1616
	s_wait_loadcnt_dscnt 0xb01
	v_mul_f64_e32 v[196:197], v[178:179], v[148:149]
	v_mul_f64_e32 v[148:149], v[180:181], v[148:149]
	scratch_load_b128 v[142:145], off, off offset:816
	v_add_f64_e32 v[190:191], v[190:191], v[194:195]
	s_wait_loadcnt_dscnt 0xb00
	v_mul_f64_e32 v[194:195], v[4:5], v[152:153]
	v_add_f64_e32 v[200:201], v[188:189], v[186:187]
	v_mul_f64_e32 v[152:153], v[6:7], v[152:153]
	ds_load_b128 v[186:189], v2 offset:1632
	v_fmac_f64_e32 v[196:197], v[180:181], v[146:147]
	v_fma_f64 v[178:179], v[178:179], v[146:147], -v[148:149]
	scratch_load_b128 v[146:149], off, off offset:832
	v_add_f64_e32 v[190:191], v[190:191], v[192:193]
	v_fmac_f64_e32 v[194:195], v[6:7], v[150:151]
	v_add_f64_e32 v[180:181], v[200:201], v[198:199]
	v_fma_f64 v[198:199], v[4:5], v[150:151], -v[152:153]
	ds_load_b128 v[4:7], v2 offset:1648
	s_wait_loadcnt_dscnt 0xb01
	v_mul_f64_e32 v[192:193], v[186:187], v[156:157]
	v_mul_f64_e32 v[156:157], v[188:189], v[156:157]
	scratch_load_b128 v[150:153], off, off offset:848
	v_add_f64_e32 v[190:191], v[190:191], v[196:197]
	s_wait_loadcnt_dscnt 0xb00
	v_mul_f64_e32 v[196:197], v[4:5], v[160:161]
	v_add_f64_e32 v[200:201], v[180:181], v[178:179]
	v_mul_f64_e32 v[160:161], v[6:7], v[160:161]
	ds_load_b128 v[178:181], v2 offset:1664
	v_fmac_f64_e32 v[192:193], v[188:189], v[154:155]
	v_fma_f64 v[186:187], v[186:187], v[154:155], -v[156:157]
	scratch_load_b128 v[154:157], off, off offset:864
	v_add_f64_e32 v[190:191], v[190:191], v[194:195]
	v_fmac_f64_e32 v[196:197], v[6:7], v[158:159]
	v_add_f64_e32 v[188:189], v[200:201], v[198:199]
	;; [unrolled: 18-line block ×3, first 2 shown]
	v_fma_f64 v[198:199], v[4:5], v[170:171], -v[172:173]
	ds_load_b128 v[4:7], v2 offset:1712
	s_wait_loadcnt_dscnt 0xa01
	v_mul_f64_e32 v[196:197], v[186:187], v[184:185]
	v_mul_f64_e32 v[184:185], v[188:189], v[184:185]
	scratch_load_b128 v[170:173], off, off offset:912
	v_add_f64_e32 v[190:191], v[190:191], v[194:195]
	v_add_f64_e32 v[200:201], v[180:181], v[178:179]
	s_wait_loadcnt_dscnt 0xa00
	v_mul_f64_e32 v[194:195], v[4:5], v[168:169]
	v_mul_f64_e32 v[168:169], v[6:7], v[168:169]
	v_fmac_f64_e32 v[196:197], v[188:189], v[182:183]
	v_fma_f64 v[186:187], v[186:187], v[182:183], -v[184:185]
	ds_load_b128 v[178:181], v2 offset:1728
	scratch_load_b128 v[182:185], off, off offset:928
	v_add_f64_e32 v[190:191], v[190:191], v[192:193]
	v_add_f64_e32 v[188:189], v[200:201], v[198:199]
	v_fmac_f64_e32 v[194:195], v[6:7], v[166:167]
	v_fma_f64 v[198:199], v[4:5], v[166:167], -v[168:169]
	ds_load_b128 v[4:7], v2 offset:1744
	s_wait_loadcnt_dscnt 0xa01
	v_mul_f64_e32 v[192:193], v[178:179], v[12:13]
	v_mul_f64_e32 v[12:13], v[180:181], v[12:13]
	scratch_load_b128 v[166:169], off, off offset:944
	v_add_f64_e32 v[190:191], v[190:191], v[196:197]
	s_wait_loadcnt_dscnt 0xa00
	v_mul_f64_e32 v[196:197], v[4:5], v[136:137]
	v_add_f64_e32 v[200:201], v[188:189], v[186:187]
	v_mul_f64_e32 v[136:137], v[6:7], v[136:137]
	ds_load_b128 v[186:189], v2 offset:1760
	v_fmac_f64_e32 v[192:193], v[180:181], v[10:11]
	v_fma_f64 v[10:11], v[178:179], v[10:11], -v[12:13]
	s_wait_loadcnt_dscnt 0x900
	v_mul_f64_e32 v[180:181], v[186:187], v[140:141]
	v_mul_f64_e32 v[140:141], v[188:189], v[140:141]
	v_add_f64_e32 v[178:179], v[190:191], v[194:195]
	v_fmac_f64_e32 v[196:197], v[6:7], v[134:135]
	v_add_f64_e32 v[12:13], v[200:201], v[198:199]
	v_fma_f64 v[134:135], v[4:5], v[134:135], -v[136:137]
	v_fmac_f64_e32 v[180:181], v[188:189], v[138:139]
	v_fma_f64 v[138:139], v[186:187], v[138:139], -v[140:141]
	v_add_f64_e32 v[178:179], v[178:179], v[192:193]
	v_add_f64_e32 v[136:137], v[12:13], v[10:11]
	ds_load_b128 v[4:7], v2 offset:1776
	ds_load_b128 v[10:13], v2 offset:1792
	s_wait_loadcnt_dscnt 0x801
	v_mul_f64_e32 v[190:191], v[4:5], v[144:145]
	v_mul_f64_e32 v[144:145], v[6:7], v[144:145]
	s_wait_loadcnt_dscnt 0x700
	v_mul_f64_e32 v[140:141], v[10:11], v[148:149]
	v_mul_f64_e32 v[148:149], v[12:13], v[148:149]
	v_add_f64_e32 v[134:135], v[136:137], v[134:135]
	v_add_f64_e32 v[136:137], v[178:179], v[196:197]
	v_fmac_f64_e32 v[190:191], v[6:7], v[142:143]
	v_fma_f64 v[142:143], v[4:5], v[142:143], -v[144:145]
	v_fmac_f64_e32 v[140:141], v[12:13], v[146:147]
	v_fma_f64 v[10:11], v[10:11], v[146:147], -v[148:149]
	v_add_f64_e32 v[138:139], v[134:135], v[138:139]
	v_add_f64_e32 v[144:145], v[136:137], v[180:181]
	ds_load_b128 v[4:7], v2 offset:1808
	ds_load_b128 v[134:137], v2 offset:1824
	s_wait_loadcnt_dscnt 0x601
	v_mul_f64_e32 v[178:179], v[4:5], v[152:153]
	v_mul_f64_e32 v[152:153], v[6:7], v[152:153]
	v_add_f64_e32 v[12:13], v[138:139], v[142:143]
	v_add_f64_e32 v[138:139], v[144:145], v[190:191]
	s_wait_loadcnt_dscnt 0x500
	v_mul_f64_e32 v[142:143], v[134:135], v[156:157]
	v_mul_f64_e32 v[144:145], v[136:137], v[156:157]
	v_fmac_f64_e32 v[178:179], v[6:7], v[150:151]
	v_fma_f64 v[146:147], v[4:5], v[150:151], -v[152:153]
	v_add_f64_e32 v[148:149], v[12:13], v[10:11]
	v_add_f64_e32 v[138:139], v[138:139], v[140:141]
	ds_load_b128 v[4:7], v2 offset:1840
	ds_load_b128 v[10:13], v2 offset:1856
	v_fmac_f64_e32 v[142:143], v[136:137], v[154:155]
	v_fma_f64 v[134:135], v[134:135], v[154:155], -v[144:145]
	s_wait_loadcnt_dscnt 0x401
	v_mul_f64_e32 v[140:141], v[4:5], v[160:161]
	v_mul_f64_e32 v[150:151], v[6:7], v[160:161]
	s_wait_loadcnt_dscnt 0x300
	v_mul_f64_e32 v[144:145], v[10:11], v[164:165]
	v_add_f64_e32 v[136:137], v[148:149], v[146:147]
	v_add_f64_e32 v[138:139], v[138:139], v[178:179]
	v_mul_f64_e32 v[146:147], v[12:13], v[164:165]
	v_fmac_f64_e32 v[140:141], v[6:7], v[158:159]
	v_fma_f64 v[148:149], v[4:5], v[158:159], -v[150:151]
	v_fmac_f64_e32 v[144:145], v[12:13], v[162:163]
	v_add_f64_e32 v[150:151], v[136:137], v[134:135]
	v_add_f64_e32 v[138:139], v[138:139], v[142:143]
	ds_load_b128 v[4:7], v2 offset:1872
	ds_load_b128 v[134:137], v2 offset:1888
	v_fma_f64 v[10:11], v[10:11], v[162:163], -v[146:147]
	s_wait_loadcnt_dscnt 0x201
	v_mul_f64_e32 v[142:143], v[4:5], v[172:173]
	v_mul_f64_e32 v[152:153], v[6:7], v[172:173]
	s_wait_loadcnt_dscnt 0x100
	v_mul_f64_e32 v[146:147], v[136:137], v[184:185]
	v_add_f64_e32 v[12:13], v[150:151], v[148:149]
	v_add_f64_e32 v[138:139], v[138:139], v[140:141]
	v_mul_f64_e32 v[140:141], v[134:135], v[184:185]
	v_fmac_f64_e32 v[142:143], v[6:7], v[170:171]
	v_fma_f64 v[148:149], v[4:5], v[170:171], -v[152:153]
	ds_load_b128 v[4:7], v2 offset:1904
	v_fma_f64 v[134:135], v[134:135], v[182:183], -v[146:147]
	v_add_f64_e32 v[10:11], v[12:13], v[10:11]
	v_add_f64_e32 v[12:13], v[138:139], v[144:145]
	v_fmac_f64_e32 v[140:141], v[136:137], v[182:183]
	s_wait_loadcnt_dscnt 0x0
	v_mul_f64_e32 v[138:139], v[4:5], v[168:169]
	v_mul_f64_e32 v[144:145], v[6:7], v[168:169]
	v_add_f64_e32 v[10:11], v[10:11], v[148:149]
	v_add_f64_e32 v[12:13], v[12:13], v[142:143]
	s_delay_alu instid0(VALU_DEP_4) | instskip(NEXT) | instid1(VALU_DEP_4)
	v_fmac_f64_e32 v[138:139], v[6:7], v[166:167]
	v_fma_f64 v[4:5], v[4:5], v[166:167], -v[144:145]
	s_delay_alu instid0(VALU_DEP_4) | instskip(NEXT) | instid1(VALU_DEP_4)
	v_add_f64_e32 v[6:7], v[10:11], v[134:135]
	v_add_f64_e32 v[10:11], v[12:13], v[140:141]
	s_delay_alu instid0(VALU_DEP_2) | instskip(NEXT) | instid1(VALU_DEP_2)
	v_add_f64_e32 v[4:5], v[6:7], v[4:5]
	v_add_f64_e32 v[6:7], v[10:11], v[138:139]
	s_delay_alu instid0(VALU_DEP_2) | instskip(NEXT) | instid1(VALU_DEP_2)
	v_add_f64_e64 v[4:5], v[174:175], -v[4:5]
	v_add_f64_e64 v[6:7], v[176:177], -v[6:7]
	scratch_store_b128 off, v[4:7], off offset:544
	s_wait_xcnt 0x0
	v_cmpx_lt_u32_e32 33, v1
	s_cbranch_execz .LBB123_307
; %bb.306:
	scratch_load_b128 v[10:13], off, s43
	v_dual_mov_b32 v3, v2 :: v_dual_mov_b32 v4, v2
	v_mov_b32_e32 v5, v2
	scratch_store_b128 off, v[2:5], off offset:528
	s_wait_loadcnt 0x0
	ds_store_b128 v8, v[10:13]
.LBB123_307:
	s_wait_xcnt 0x0
	s_or_b32 exec_lo, exec_lo, s2
	s_wait_storecnt_dscnt 0x0
	s_barrier_signal -1
	s_barrier_wait -1
	s_clause 0x9
	scratch_load_b128 v[4:7], off, off offset:544
	scratch_load_b128 v[10:13], off, off offset:560
	scratch_load_b128 v[134:137], off, off offset:576
	scratch_load_b128 v[138:141], off, off offset:592
	scratch_load_b128 v[142:145], off, off offset:608
	scratch_load_b128 v[146:149], off, off offset:624
	scratch_load_b128 v[150:153], off, off offset:640
	scratch_load_b128 v[154:157], off, off offset:656
	scratch_load_b128 v[158:161], off, off offset:672
	scratch_load_b128 v[162:165], off, off offset:688
	ds_load_b128 v[166:169], v2 offset:1504
	ds_load_b128 v[174:177], v2 offset:1520
	s_clause 0x2
	scratch_load_b128 v[170:173], off, off offset:704
	scratch_load_b128 v[178:181], off, off offset:528
	;; [unrolled: 1-line block ×3, first 2 shown]
	s_mov_b32 s2, exec_lo
	s_wait_loadcnt_dscnt 0xc01
	v_mul_f64_e32 v[186:187], v[168:169], v[6:7]
	v_mul_f64_e32 v[190:191], v[166:167], v[6:7]
	s_wait_loadcnt_dscnt 0xb00
	v_mul_f64_e32 v[192:193], v[174:175], v[12:13]
	v_mul_f64_e32 v[12:13], v[176:177], v[12:13]
	s_delay_alu instid0(VALU_DEP_4) | instskip(NEXT) | instid1(VALU_DEP_4)
	v_fma_f64 v[194:195], v[166:167], v[4:5], -v[186:187]
	v_fmac_f64_e32 v[190:191], v[168:169], v[4:5]
	ds_load_b128 v[4:7], v2 offset:1536
	ds_load_b128 v[166:169], v2 offset:1552
	scratch_load_b128 v[186:189], off, off offset:736
	v_fmac_f64_e32 v[192:193], v[176:177], v[10:11]
	v_fma_f64 v[174:175], v[174:175], v[10:11], -v[12:13]
	scratch_load_b128 v[10:13], off, off offset:752
	s_wait_loadcnt_dscnt 0xc01
	v_mul_f64_e32 v[196:197], v[4:5], v[136:137]
	v_mul_f64_e32 v[136:137], v[6:7], v[136:137]
	v_add_f64_e32 v[176:177], 0, v[194:195]
	v_add_f64_e32 v[190:191], 0, v[190:191]
	s_wait_loadcnt_dscnt 0xb00
	v_mul_f64_e32 v[194:195], v[166:167], v[140:141]
	v_mul_f64_e32 v[140:141], v[168:169], v[140:141]
	v_fmac_f64_e32 v[196:197], v[6:7], v[134:135]
	v_fma_f64 v[198:199], v[4:5], v[134:135], -v[136:137]
	ds_load_b128 v[4:7], v2 offset:1568
	ds_load_b128 v[134:137], v2 offset:1584
	v_add_f64_e32 v[200:201], v[176:177], v[174:175]
	v_add_f64_e32 v[190:191], v[190:191], v[192:193]
	scratch_load_b128 v[174:177], off, off offset:768
	v_fmac_f64_e32 v[194:195], v[168:169], v[138:139]
	v_fma_f64 v[166:167], v[166:167], v[138:139], -v[140:141]
	scratch_load_b128 v[138:141], off, off offset:784
	s_wait_loadcnt_dscnt 0xc01
	v_mul_f64_e32 v[192:193], v[4:5], v[144:145]
	v_mul_f64_e32 v[144:145], v[6:7], v[144:145]
	v_add_f64_e32 v[168:169], v[200:201], v[198:199]
	v_add_f64_e32 v[190:191], v[190:191], v[196:197]
	s_wait_loadcnt_dscnt 0xb00
	v_mul_f64_e32 v[196:197], v[134:135], v[148:149]
	v_mul_f64_e32 v[148:149], v[136:137], v[148:149]
	v_fmac_f64_e32 v[192:193], v[6:7], v[142:143]
	v_fma_f64 v[198:199], v[4:5], v[142:143], -v[144:145]
	ds_load_b128 v[4:7], v2 offset:1600
	ds_load_b128 v[142:145], v2 offset:1616
	v_add_f64_e32 v[200:201], v[168:169], v[166:167]
	v_add_f64_e32 v[190:191], v[190:191], v[194:195]
	scratch_load_b128 v[166:169], off, off offset:800
	s_wait_loadcnt_dscnt 0xb01
	v_mul_f64_e32 v[194:195], v[4:5], v[152:153]
	v_mul_f64_e32 v[152:153], v[6:7], v[152:153]
	v_fmac_f64_e32 v[196:197], v[136:137], v[146:147]
	v_fma_f64 v[146:147], v[134:135], v[146:147], -v[148:149]
	scratch_load_b128 v[134:137], off, off offset:816
	v_add_f64_e32 v[148:149], v[200:201], v[198:199]
	v_add_f64_e32 v[190:191], v[190:191], v[192:193]
	s_wait_loadcnt_dscnt 0xb00
	v_mul_f64_e32 v[192:193], v[142:143], v[156:157]
	v_mul_f64_e32 v[156:157], v[144:145], v[156:157]
	v_fmac_f64_e32 v[194:195], v[6:7], v[150:151]
	v_fma_f64 v[198:199], v[4:5], v[150:151], -v[152:153]
	v_add_f64_e32 v[200:201], v[148:149], v[146:147]
	v_add_f64_e32 v[190:191], v[190:191], v[196:197]
	ds_load_b128 v[4:7], v2 offset:1632
	ds_load_b128 v[146:149], v2 offset:1648
	scratch_load_b128 v[150:153], off, off offset:832
	v_fmac_f64_e32 v[192:193], v[144:145], v[154:155]
	v_fma_f64 v[154:155], v[142:143], v[154:155], -v[156:157]
	scratch_load_b128 v[142:145], off, off offset:848
	s_wait_loadcnt_dscnt 0xc01
	v_mul_f64_e32 v[196:197], v[4:5], v[160:161]
	v_mul_f64_e32 v[160:161], v[6:7], v[160:161]
	v_add_f64_e32 v[156:157], v[200:201], v[198:199]
	v_add_f64_e32 v[190:191], v[190:191], v[194:195]
	s_wait_loadcnt_dscnt 0xb00
	v_mul_f64_e32 v[194:195], v[146:147], v[164:165]
	v_mul_f64_e32 v[164:165], v[148:149], v[164:165]
	v_fmac_f64_e32 v[196:197], v[6:7], v[158:159]
	v_fma_f64 v[198:199], v[4:5], v[158:159], -v[160:161]
	v_add_f64_e32 v[200:201], v[156:157], v[154:155]
	v_add_f64_e32 v[190:191], v[190:191], v[192:193]
	ds_load_b128 v[4:7], v2 offset:1664
	ds_load_b128 v[154:157], v2 offset:1680
	scratch_load_b128 v[158:161], off, off offset:864
	v_fmac_f64_e32 v[194:195], v[148:149], v[162:163]
	v_fma_f64 v[162:163], v[146:147], v[162:163], -v[164:165]
	scratch_load_b128 v[146:149], off, off offset:880
	s_wait_loadcnt_dscnt 0xc01
	v_mul_f64_e32 v[192:193], v[4:5], v[172:173]
	v_mul_f64_e32 v[172:173], v[6:7], v[172:173]
	;; [unrolled: 18-line block ×4, first 2 shown]
	v_add_f64_e32 v[164:165], v[200:201], v[198:199]
	v_add_f64_e32 v[190:191], v[190:191], v[194:195]
	s_wait_loadcnt_dscnt 0xa00
	v_mul_f64_e32 v[194:195], v[182:183], v[140:141]
	v_mul_f64_e32 v[140:141], v[184:185], v[140:141]
	v_fmac_f64_e32 v[196:197], v[6:7], v[174:175]
	v_fma_f64 v[174:175], v[4:5], v[174:175], -v[176:177]
	v_add_f64_e32 v[176:177], v[164:165], v[162:163]
	v_add_f64_e32 v[190:191], v[190:191], v[192:193]
	ds_load_b128 v[4:7], v2 offset:1760
	ds_load_b128 v[162:165], v2 offset:1776
	v_fmac_f64_e32 v[194:195], v[184:185], v[138:139]
	v_fma_f64 v[138:139], v[182:183], v[138:139], -v[140:141]
	s_wait_loadcnt_dscnt 0x901
	v_mul_f64_e32 v[192:193], v[4:5], v[168:169]
	v_mul_f64_e32 v[168:169], v[6:7], v[168:169]
	s_wait_loadcnt_dscnt 0x800
	v_mul_f64_e32 v[182:183], v[164:165], v[136:137]
	v_add_f64_e32 v[140:141], v[176:177], v[174:175]
	v_add_f64_e32 v[174:175], v[190:191], v[196:197]
	v_mul_f64_e32 v[176:177], v[162:163], v[136:137]
	v_fmac_f64_e32 v[192:193], v[6:7], v[166:167]
	v_fma_f64 v[166:167], v[4:5], v[166:167], -v[168:169]
	v_add_f64_e32 v[140:141], v[140:141], v[138:139]
	v_add_f64_e32 v[168:169], v[174:175], v[194:195]
	ds_load_b128 v[4:7], v2 offset:1792
	ds_load_b128 v[136:139], v2 offset:1808
	v_fmac_f64_e32 v[176:177], v[164:165], v[134:135]
	v_fma_f64 v[134:135], v[162:163], v[134:135], -v[182:183]
	s_wait_loadcnt_dscnt 0x701
	v_mul_f64_e32 v[174:175], v[4:5], v[152:153]
	v_mul_f64_e32 v[152:153], v[6:7], v[152:153]
	s_wait_loadcnt_dscnt 0x600
	v_mul_f64_e32 v[164:165], v[136:137], v[144:145]
	v_mul_f64_e32 v[144:145], v[138:139], v[144:145]
	v_add_f64_e32 v[140:141], v[140:141], v[166:167]
	v_add_f64_e32 v[162:163], v[168:169], v[192:193]
	v_fmac_f64_e32 v[174:175], v[6:7], v[150:151]
	v_fma_f64 v[166:167], v[4:5], v[150:151], -v[152:153]
	ds_load_b128 v[4:7], v2 offset:1824
	ds_load_b128 v[150:153], v2 offset:1840
	v_fmac_f64_e32 v[164:165], v[138:139], v[142:143]
	v_fma_f64 v[136:137], v[136:137], v[142:143], -v[144:145]
	v_add_f64_e32 v[134:135], v[140:141], v[134:135]
	v_add_f64_e32 v[140:141], v[162:163], v[176:177]
	s_wait_loadcnt_dscnt 0x501
	v_mul_f64_e32 v[162:163], v[4:5], v[160:161]
	v_mul_f64_e32 v[160:161], v[6:7], v[160:161]
	s_wait_loadcnt_dscnt 0x400
	v_mul_f64_e32 v[142:143], v[152:153], v[148:149]
	v_add_f64_e32 v[134:135], v[134:135], v[166:167]
	v_add_f64_e32 v[138:139], v[140:141], v[174:175]
	v_mul_f64_e32 v[140:141], v[150:151], v[148:149]
	v_fmac_f64_e32 v[162:163], v[6:7], v[158:159]
	v_fma_f64 v[144:145], v[4:5], v[158:159], -v[160:161]
	v_fma_f64 v[142:143], v[150:151], v[146:147], -v[142:143]
	v_add_f64_e32 v[148:149], v[134:135], v[136:137]
	v_add_f64_e32 v[138:139], v[138:139], v[164:165]
	ds_load_b128 v[4:7], v2 offset:1856
	ds_load_b128 v[134:137], v2 offset:1872
	v_fmac_f64_e32 v[140:141], v[152:153], v[146:147]
	s_wait_loadcnt_dscnt 0x301
	v_mul_f64_e32 v[158:159], v[4:5], v[172:173]
	v_mul_f64_e32 v[160:161], v[6:7], v[172:173]
	s_wait_loadcnt_dscnt 0x200
	v_mul_f64_e32 v[146:147], v[134:135], v[156:157]
	v_add_f64_e32 v[144:145], v[148:149], v[144:145]
	v_add_f64_e32 v[138:139], v[138:139], v[162:163]
	v_mul_f64_e32 v[148:149], v[136:137], v[156:157]
	v_fmac_f64_e32 v[158:159], v[6:7], v[170:171]
	v_fma_f64 v[150:151], v[4:5], v[170:171], -v[160:161]
	v_fmac_f64_e32 v[146:147], v[136:137], v[154:155]
	v_add_f64_e32 v[142:143], v[144:145], v[142:143]
	v_add_f64_e32 v[144:145], v[138:139], v[140:141]
	ds_load_b128 v[4:7], v2 offset:1888
	ds_load_b128 v[138:141], v2 offset:1904
	v_fma_f64 v[134:135], v[134:135], v[154:155], -v[148:149]
	s_wait_loadcnt_dscnt 0x101
	v_mul_f64_e32 v[2:3], v[4:5], v[188:189]
	v_mul_f64_e32 v[152:153], v[6:7], v[188:189]
	v_add_f64_e32 v[136:137], v[142:143], v[150:151]
	v_add_f64_e32 v[142:143], v[144:145], v[158:159]
	s_wait_loadcnt_dscnt 0x0
	v_mul_f64_e32 v[144:145], v[138:139], v[12:13]
	v_mul_f64_e32 v[12:13], v[140:141], v[12:13]
	v_fmac_f64_e32 v[2:3], v[6:7], v[186:187]
	v_fma_f64 v[4:5], v[4:5], v[186:187], -v[152:153]
	v_add_f64_e32 v[6:7], v[136:137], v[134:135]
	v_add_f64_e32 v[134:135], v[142:143], v[146:147]
	v_fmac_f64_e32 v[144:145], v[140:141], v[10:11]
	v_fma_f64 v[10:11], v[138:139], v[10:11], -v[12:13]
	s_delay_alu instid0(VALU_DEP_4) | instskip(NEXT) | instid1(VALU_DEP_4)
	v_add_f64_e32 v[4:5], v[6:7], v[4:5]
	v_add_f64_e32 v[2:3], v[134:135], v[2:3]
	s_delay_alu instid0(VALU_DEP_2) | instskip(NEXT) | instid1(VALU_DEP_2)
	v_add_f64_e32 v[4:5], v[4:5], v[10:11]
	v_add_f64_e32 v[6:7], v[2:3], v[144:145]
	s_delay_alu instid0(VALU_DEP_2) | instskip(NEXT) | instid1(VALU_DEP_2)
	v_add_f64_e64 v[2:3], v[178:179], -v[4:5]
	v_add_f64_e64 v[4:5], v[180:181], -v[6:7]
	scratch_store_b128 off, v[2:5], off offset:528
	s_wait_xcnt 0x0
	v_cmpx_lt_u32_e32 32, v1
	s_cbranch_execz .LBB123_309
; %bb.308:
	scratch_load_b128 v[2:5], off, s44
	v_mov_b32_e32 v10, 0
	s_delay_alu instid0(VALU_DEP_1)
	v_dual_mov_b32 v11, v10 :: v_dual_mov_b32 v12, v10
	v_mov_b32_e32 v13, v10
	scratch_store_b128 off, v[10:13], off offset:512
	s_wait_loadcnt 0x0
	ds_store_b128 v8, v[2:5]
.LBB123_309:
	s_wait_xcnt 0x0
	s_or_b32 exec_lo, exec_lo, s2
	s_wait_storecnt_dscnt 0x0
	s_barrier_signal -1
	s_barrier_wait -1
	s_clause 0x9
	scratch_load_b128 v[4:7], off, off offset:528
	scratch_load_b128 v[10:13], off, off offset:544
	scratch_load_b128 v[134:137], off, off offset:560
	scratch_load_b128 v[138:141], off, off offset:576
	scratch_load_b128 v[142:145], off, off offset:592
	scratch_load_b128 v[146:149], off, off offset:608
	scratch_load_b128 v[150:153], off, off offset:624
	scratch_load_b128 v[154:157], off, off offset:640
	scratch_load_b128 v[158:161], off, off offset:656
	scratch_load_b128 v[162:165], off, off offset:672
	v_mov_b32_e32 v2, 0
	s_mov_b32 s2, exec_lo
	ds_load_b128 v[166:169], v2 offset:1488
	s_clause 0x2
	scratch_load_b128 v[170:173], off, off offset:688
	scratch_load_b128 v[174:177], off, off offset:512
	;; [unrolled: 1-line block ×3, first 2 shown]
	s_wait_loadcnt_dscnt 0xc00
	v_mul_f64_e32 v[186:187], v[168:169], v[6:7]
	v_mul_f64_e32 v[190:191], v[166:167], v[6:7]
	ds_load_b128 v[178:181], v2 offset:1504
	v_fma_f64 v[194:195], v[166:167], v[4:5], -v[186:187]
	v_fmac_f64_e32 v[190:191], v[168:169], v[4:5]
	ds_load_b128 v[4:7], v2 offset:1520
	s_wait_loadcnt_dscnt 0xb01
	v_mul_f64_e32 v[192:193], v[178:179], v[12:13]
	v_mul_f64_e32 v[12:13], v[180:181], v[12:13]
	scratch_load_b128 v[166:169], off, off offset:720
	ds_load_b128 v[186:189], v2 offset:1536
	s_wait_loadcnt_dscnt 0xb01
	v_mul_f64_e32 v[196:197], v[4:5], v[136:137]
	v_mul_f64_e32 v[136:137], v[6:7], v[136:137]
	v_add_f64_e32 v[190:191], 0, v[190:191]
	v_fmac_f64_e32 v[192:193], v[180:181], v[10:11]
	v_fma_f64 v[178:179], v[178:179], v[10:11], -v[12:13]
	v_add_f64_e32 v[180:181], 0, v[194:195]
	scratch_load_b128 v[10:13], off, off offset:736
	v_fmac_f64_e32 v[196:197], v[6:7], v[134:135]
	v_fma_f64 v[198:199], v[4:5], v[134:135], -v[136:137]
	ds_load_b128 v[4:7], v2 offset:1552
	s_wait_loadcnt_dscnt 0xb01
	v_mul_f64_e32 v[194:195], v[186:187], v[140:141]
	v_mul_f64_e32 v[140:141], v[188:189], v[140:141]
	scratch_load_b128 v[134:137], off, off offset:752
	v_add_f64_e32 v[190:191], v[190:191], v[192:193]
	v_add_f64_e32 v[200:201], v[180:181], v[178:179]
	ds_load_b128 v[178:181], v2 offset:1568
	s_wait_loadcnt_dscnt 0xb01
	v_mul_f64_e32 v[192:193], v[4:5], v[144:145]
	v_mul_f64_e32 v[144:145], v[6:7], v[144:145]
	v_fmac_f64_e32 v[194:195], v[188:189], v[138:139]
	v_fma_f64 v[186:187], v[186:187], v[138:139], -v[140:141]
	scratch_load_b128 v[138:141], off, off offset:768
	v_add_f64_e32 v[190:191], v[190:191], v[196:197]
	v_add_f64_e32 v[188:189], v[200:201], v[198:199]
	v_fmac_f64_e32 v[192:193], v[6:7], v[142:143]
	v_fma_f64 v[198:199], v[4:5], v[142:143], -v[144:145]
	ds_load_b128 v[4:7], v2 offset:1584
	s_wait_loadcnt_dscnt 0xb01
	v_mul_f64_e32 v[196:197], v[178:179], v[148:149]
	v_mul_f64_e32 v[148:149], v[180:181], v[148:149]
	scratch_load_b128 v[142:145], off, off offset:784
	v_add_f64_e32 v[190:191], v[190:191], v[194:195]
	s_wait_loadcnt_dscnt 0xb00
	v_mul_f64_e32 v[194:195], v[4:5], v[152:153]
	v_add_f64_e32 v[200:201], v[188:189], v[186:187]
	v_mul_f64_e32 v[152:153], v[6:7], v[152:153]
	ds_load_b128 v[186:189], v2 offset:1600
	v_fmac_f64_e32 v[196:197], v[180:181], v[146:147]
	v_fma_f64 v[178:179], v[178:179], v[146:147], -v[148:149]
	scratch_load_b128 v[146:149], off, off offset:800
	v_add_f64_e32 v[190:191], v[190:191], v[192:193]
	v_fmac_f64_e32 v[194:195], v[6:7], v[150:151]
	v_add_f64_e32 v[180:181], v[200:201], v[198:199]
	v_fma_f64 v[198:199], v[4:5], v[150:151], -v[152:153]
	ds_load_b128 v[4:7], v2 offset:1616
	s_wait_loadcnt_dscnt 0xb01
	v_mul_f64_e32 v[192:193], v[186:187], v[156:157]
	v_mul_f64_e32 v[156:157], v[188:189], v[156:157]
	scratch_load_b128 v[150:153], off, off offset:816
	v_add_f64_e32 v[190:191], v[190:191], v[196:197]
	s_wait_loadcnt_dscnt 0xb00
	v_mul_f64_e32 v[196:197], v[4:5], v[160:161]
	v_add_f64_e32 v[200:201], v[180:181], v[178:179]
	v_mul_f64_e32 v[160:161], v[6:7], v[160:161]
	ds_load_b128 v[178:181], v2 offset:1632
	v_fmac_f64_e32 v[192:193], v[188:189], v[154:155]
	v_fma_f64 v[186:187], v[186:187], v[154:155], -v[156:157]
	scratch_load_b128 v[154:157], off, off offset:832
	v_add_f64_e32 v[190:191], v[190:191], v[194:195]
	v_fmac_f64_e32 v[196:197], v[6:7], v[158:159]
	v_add_f64_e32 v[188:189], v[200:201], v[198:199]
	;; [unrolled: 18-line block ×3, first 2 shown]
	v_fma_f64 v[198:199], v[4:5], v[170:171], -v[172:173]
	ds_load_b128 v[4:7], v2 offset:1680
	s_wait_loadcnt_dscnt 0xa01
	v_mul_f64_e32 v[196:197], v[186:187], v[184:185]
	v_mul_f64_e32 v[184:185], v[188:189], v[184:185]
	scratch_load_b128 v[170:173], off, off offset:880
	v_add_f64_e32 v[190:191], v[190:191], v[194:195]
	v_add_f64_e32 v[200:201], v[180:181], v[178:179]
	s_wait_loadcnt_dscnt 0xa00
	v_mul_f64_e32 v[194:195], v[4:5], v[168:169]
	v_mul_f64_e32 v[168:169], v[6:7], v[168:169]
	v_fmac_f64_e32 v[196:197], v[188:189], v[182:183]
	v_fma_f64 v[186:187], v[186:187], v[182:183], -v[184:185]
	ds_load_b128 v[178:181], v2 offset:1696
	scratch_load_b128 v[182:185], off, off offset:896
	v_add_f64_e32 v[190:191], v[190:191], v[192:193]
	v_add_f64_e32 v[188:189], v[200:201], v[198:199]
	v_fmac_f64_e32 v[194:195], v[6:7], v[166:167]
	v_fma_f64 v[198:199], v[4:5], v[166:167], -v[168:169]
	ds_load_b128 v[4:7], v2 offset:1712
	s_wait_loadcnt_dscnt 0xa01
	v_mul_f64_e32 v[192:193], v[178:179], v[12:13]
	v_mul_f64_e32 v[12:13], v[180:181], v[12:13]
	scratch_load_b128 v[166:169], off, off offset:912
	v_add_f64_e32 v[190:191], v[190:191], v[196:197]
	s_wait_loadcnt_dscnt 0xa00
	v_mul_f64_e32 v[196:197], v[4:5], v[136:137]
	v_add_f64_e32 v[200:201], v[188:189], v[186:187]
	v_mul_f64_e32 v[136:137], v[6:7], v[136:137]
	ds_load_b128 v[186:189], v2 offset:1728
	v_fmac_f64_e32 v[192:193], v[180:181], v[10:11]
	v_fma_f64 v[178:179], v[178:179], v[10:11], -v[12:13]
	scratch_load_b128 v[10:13], off, off offset:928
	v_add_f64_e32 v[190:191], v[190:191], v[194:195]
	v_fmac_f64_e32 v[196:197], v[6:7], v[134:135]
	v_add_f64_e32 v[180:181], v[200:201], v[198:199]
	v_fma_f64 v[198:199], v[4:5], v[134:135], -v[136:137]
	ds_load_b128 v[4:7], v2 offset:1744
	s_wait_loadcnt_dscnt 0xa01
	v_mul_f64_e32 v[194:195], v[186:187], v[140:141]
	v_mul_f64_e32 v[140:141], v[188:189], v[140:141]
	scratch_load_b128 v[134:137], off, off offset:944
	v_add_f64_e32 v[190:191], v[190:191], v[192:193]
	s_wait_loadcnt_dscnt 0xa00
	v_mul_f64_e32 v[192:193], v[4:5], v[144:145]
	v_add_f64_e32 v[200:201], v[180:181], v[178:179]
	v_mul_f64_e32 v[144:145], v[6:7], v[144:145]
	ds_load_b128 v[178:181], v2 offset:1760
	v_fmac_f64_e32 v[194:195], v[188:189], v[138:139]
	v_fma_f64 v[138:139], v[186:187], v[138:139], -v[140:141]
	s_wait_loadcnt_dscnt 0x900
	v_mul_f64_e32 v[188:189], v[178:179], v[148:149]
	v_mul_f64_e32 v[148:149], v[180:181], v[148:149]
	v_add_f64_e32 v[186:187], v[190:191], v[196:197]
	v_fmac_f64_e32 v[192:193], v[6:7], v[142:143]
	v_add_f64_e32 v[140:141], v[200:201], v[198:199]
	v_fma_f64 v[142:143], v[4:5], v[142:143], -v[144:145]
	v_fmac_f64_e32 v[188:189], v[180:181], v[146:147]
	v_fma_f64 v[146:147], v[178:179], v[146:147], -v[148:149]
	v_add_f64_e32 v[186:187], v[186:187], v[194:195]
	v_add_f64_e32 v[144:145], v[140:141], v[138:139]
	ds_load_b128 v[4:7], v2 offset:1776
	ds_load_b128 v[138:141], v2 offset:1792
	s_wait_loadcnt_dscnt 0x801
	v_mul_f64_e32 v[190:191], v[4:5], v[152:153]
	v_mul_f64_e32 v[152:153], v[6:7], v[152:153]
	s_wait_loadcnt_dscnt 0x700
	v_mul_f64_e32 v[148:149], v[138:139], v[156:157]
	v_mul_f64_e32 v[156:157], v[140:141], v[156:157]
	v_add_f64_e32 v[142:143], v[144:145], v[142:143]
	v_add_f64_e32 v[144:145], v[186:187], v[192:193]
	v_fmac_f64_e32 v[190:191], v[6:7], v[150:151]
	v_fma_f64 v[150:151], v[4:5], v[150:151], -v[152:153]
	v_fmac_f64_e32 v[148:149], v[140:141], v[154:155]
	v_fma_f64 v[138:139], v[138:139], v[154:155], -v[156:157]
	v_add_f64_e32 v[146:147], v[142:143], v[146:147]
	v_add_f64_e32 v[152:153], v[144:145], v[188:189]
	ds_load_b128 v[4:7], v2 offset:1808
	ds_load_b128 v[142:145], v2 offset:1824
	s_wait_loadcnt_dscnt 0x601
	v_mul_f64_e32 v[178:179], v[4:5], v[160:161]
	v_mul_f64_e32 v[160:161], v[6:7], v[160:161]
	v_add_f64_e32 v[140:141], v[146:147], v[150:151]
	v_add_f64_e32 v[146:147], v[152:153], v[190:191]
	s_wait_loadcnt_dscnt 0x500
	v_mul_f64_e32 v[150:151], v[142:143], v[164:165]
	v_mul_f64_e32 v[152:153], v[144:145], v[164:165]
	v_fmac_f64_e32 v[178:179], v[6:7], v[158:159]
	v_fma_f64 v[154:155], v[4:5], v[158:159], -v[160:161]
	v_add_f64_e32 v[156:157], v[140:141], v[138:139]
	v_add_f64_e32 v[146:147], v[146:147], v[148:149]
	ds_load_b128 v[4:7], v2 offset:1840
	ds_load_b128 v[138:141], v2 offset:1856
	v_fmac_f64_e32 v[150:151], v[144:145], v[162:163]
	v_fma_f64 v[142:143], v[142:143], v[162:163], -v[152:153]
	s_wait_loadcnt_dscnt 0x401
	v_mul_f64_e32 v[148:149], v[4:5], v[172:173]
	v_mul_f64_e32 v[158:159], v[6:7], v[172:173]
	s_wait_loadcnt_dscnt 0x300
	v_mul_f64_e32 v[152:153], v[138:139], v[184:185]
	v_add_f64_e32 v[144:145], v[156:157], v[154:155]
	v_add_f64_e32 v[146:147], v[146:147], v[178:179]
	v_mul_f64_e32 v[154:155], v[140:141], v[184:185]
	v_fmac_f64_e32 v[148:149], v[6:7], v[170:171]
	v_fma_f64 v[156:157], v[4:5], v[170:171], -v[158:159]
	v_fmac_f64_e32 v[152:153], v[140:141], v[182:183]
	v_add_f64_e32 v[158:159], v[144:145], v[142:143]
	v_add_f64_e32 v[146:147], v[146:147], v[150:151]
	ds_load_b128 v[4:7], v2 offset:1872
	ds_load_b128 v[142:145], v2 offset:1888
	v_fma_f64 v[138:139], v[138:139], v[182:183], -v[154:155]
	s_wait_loadcnt_dscnt 0x201
	v_mul_f64_e32 v[150:151], v[4:5], v[168:169]
	v_mul_f64_e32 v[160:161], v[6:7], v[168:169]
	v_add_f64_e32 v[140:141], v[158:159], v[156:157]
	v_add_f64_e32 v[146:147], v[146:147], v[148:149]
	s_wait_loadcnt_dscnt 0x100
	v_mul_f64_e32 v[148:149], v[142:143], v[12:13]
	v_mul_f64_e32 v[12:13], v[144:145], v[12:13]
	v_fmac_f64_e32 v[150:151], v[6:7], v[166:167]
	v_fma_f64 v[154:155], v[4:5], v[166:167], -v[160:161]
	ds_load_b128 v[4:7], v2 offset:1904
	v_add_f64_e32 v[138:139], v[140:141], v[138:139]
	v_add_f64_e32 v[140:141], v[146:147], v[152:153]
	v_fmac_f64_e32 v[148:149], v[144:145], v[10:11]
	v_fma_f64 v[10:11], v[142:143], v[10:11], -v[12:13]
	s_wait_loadcnt_dscnt 0x0
	v_mul_f64_e32 v[146:147], v[4:5], v[136:137]
	v_mul_f64_e32 v[136:137], v[6:7], v[136:137]
	v_add_f64_e32 v[12:13], v[138:139], v[154:155]
	v_add_f64_e32 v[138:139], v[140:141], v[150:151]
	s_delay_alu instid0(VALU_DEP_4) | instskip(NEXT) | instid1(VALU_DEP_4)
	v_fmac_f64_e32 v[146:147], v[6:7], v[134:135]
	v_fma_f64 v[4:5], v[4:5], v[134:135], -v[136:137]
	s_delay_alu instid0(VALU_DEP_4) | instskip(NEXT) | instid1(VALU_DEP_4)
	v_add_f64_e32 v[6:7], v[12:13], v[10:11]
	v_add_f64_e32 v[10:11], v[138:139], v[148:149]
	s_delay_alu instid0(VALU_DEP_2) | instskip(NEXT) | instid1(VALU_DEP_2)
	v_add_f64_e32 v[4:5], v[6:7], v[4:5]
	v_add_f64_e32 v[6:7], v[10:11], v[146:147]
	s_delay_alu instid0(VALU_DEP_2) | instskip(NEXT) | instid1(VALU_DEP_2)
	v_add_f64_e64 v[4:5], v[174:175], -v[4:5]
	v_add_f64_e64 v[6:7], v[176:177], -v[6:7]
	scratch_store_b128 off, v[4:7], off offset:512
	s_wait_xcnt 0x0
	v_cmpx_lt_u32_e32 31, v1
	s_cbranch_execz .LBB123_311
; %bb.310:
	scratch_load_b128 v[10:13], off, s45
	v_dual_mov_b32 v3, v2 :: v_dual_mov_b32 v4, v2
	v_mov_b32_e32 v5, v2
	scratch_store_b128 off, v[2:5], off offset:496
	s_wait_loadcnt 0x0
	ds_store_b128 v8, v[10:13]
.LBB123_311:
	s_wait_xcnt 0x0
	s_or_b32 exec_lo, exec_lo, s2
	s_wait_storecnt_dscnt 0x0
	s_barrier_signal -1
	s_barrier_wait -1
	s_clause 0x9
	scratch_load_b128 v[4:7], off, off offset:512
	scratch_load_b128 v[10:13], off, off offset:528
	scratch_load_b128 v[134:137], off, off offset:544
	scratch_load_b128 v[138:141], off, off offset:560
	scratch_load_b128 v[142:145], off, off offset:576
	scratch_load_b128 v[146:149], off, off offset:592
	scratch_load_b128 v[150:153], off, off offset:608
	scratch_load_b128 v[154:157], off, off offset:624
	scratch_load_b128 v[158:161], off, off offset:640
	scratch_load_b128 v[162:165], off, off offset:656
	ds_load_b128 v[166:169], v2 offset:1472
	ds_load_b128 v[174:177], v2 offset:1488
	s_clause 0x2
	scratch_load_b128 v[170:173], off, off offset:672
	scratch_load_b128 v[178:181], off, off offset:496
	;; [unrolled: 1-line block ×3, first 2 shown]
	s_mov_b32 s2, exec_lo
	s_wait_loadcnt_dscnt 0xc01
	v_mul_f64_e32 v[186:187], v[168:169], v[6:7]
	v_mul_f64_e32 v[190:191], v[166:167], v[6:7]
	s_wait_loadcnt_dscnt 0xb00
	v_mul_f64_e32 v[192:193], v[174:175], v[12:13]
	v_mul_f64_e32 v[12:13], v[176:177], v[12:13]
	s_delay_alu instid0(VALU_DEP_4) | instskip(NEXT) | instid1(VALU_DEP_4)
	v_fma_f64 v[194:195], v[166:167], v[4:5], -v[186:187]
	v_fmac_f64_e32 v[190:191], v[168:169], v[4:5]
	ds_load_b128 v[4:7], v2 offset:1504
	ds_load_b128 v[166:169], v2 offset:1520
	scratch_load_b128 v[186:189], off, off offset:704
	v_fmac_f64_e32 v[192:193], v[176:177], v[10:11]
	v_fma_f64 v[174:175], v[174:175], v[10:11], -v[12:13]
	scratch_load_b128 v[10:13], off, off offset:720
	s_wait_loadcnt_dscnt 0xc01
	v_mul_f64_e32 v[196:197], v[4:5], v[136:137]
	v_mul_f64_e32 v[136:137], v[6:7], v[136:137]
	v_add_f64_e32 v[176:177], 0, v[194:195]
	v_add_f64_e32 v[190:191], 0, v[190:191]
	s_wait_loadcnt_dscnt 0xb00
	v_mul_f64_e32 v[194:195], v[166:167], v[140:141]
	v_mul_f64_e32 v[140:141], v[168:169], v[140:141]
	v_fmac_f64_e32 v[196:197], v[6:7], v[134:135]
	v_fma_f64 v[198:199], v[4:5], v[134:135], -v[136:137]
	ds_load_b128 v[4:7], v2 offset:1536
	ds_load_b128 v[134:137], v2 offset:1552
	v_add_f64_e32 v[200:201], v[176:177], v[174:175]
	v_add_f64_e32 v[190:191], v[190:191], v[192:193]
	scratch_load_b128 v[174:177], off, off offset:736
	v_fmac_f64_e32 v[194:195], v[168:169], v[138:139]
	v_fma_f64 v[166:167], v[166:167], v[138:139], -v[140:141]
	scratch_load_b128 v[138:141], off, off offset:752
	s_wait_loadcnt_dscnt 0xc01
	v_mul_f64_e32 v[192:193], v[4:5], v[144:145]
	v_mul_f64_e32 v[144:145], v[6:7], v[144:145]
	v_add_f64_e32 v[168:169], v[200:201], v[198:199]
	v_add_f64_e32 v[190:191], v[190:191], v[196:197]
	s_wait_loadcnt_dscnt 0xb00
	v_mul_f64_e32 v[196:197], v[134:135], v[148:149]
	v_mul_f64_e32 v[148:149], v[136:137], v[148:149]
	v_fmac_f64_e32 v[192:193], v[6:7], v[142:143]
	v_fma_f64 v[198:199], v[4:5], v[142:143], -v[144:145]
	ds_load_b128 v[4:7], v2 offset:1568
	ds_load_b128 v[142:145], v2 offset:1584
	v_add_f64_e32 v[200:201], v[168:169], v[166:167]
	v_add_f64_e32 v[190:191], v[190:191], v[194:195]
	scratch_load_b128 v[166:169], off, off offset:768
	s_wait_loadcnt_dscnt 0xb01
	v_mul_f64_e32 v[194:195], v[4:5], v[152:153]
	v_mul_f64_e32 v[152:153], v[6:7], v[152:153]
	v_fmac_f64_e32 v[196:197], v[136:137], v[146:147]
	v_fma_f64 v[146:147], v[134:135], v[146:147], -v[148:149]
	scratch_load_b128 v[134:137], off, off offset:784
	v_add_f64_e32 v[148:149], v[200:201], v[198:199]
	v_add_f64_e32 v[190:191], v[190:191], v[192:193]
	s_wait_loadcnt_dscnt 0xb00
	v_mul_f64_e32 v[192:193], v[142:143], v[156:157]
	v_mul_f64_e32 v[156:157], v[144:145], v[156:157]
	v_fmac_f64_e32 v[194:195], v[6:7], v[150:151]
	v_fma_f64 v[198:199], v[4:5], v[150:151], -v[152:153]
	v_add_f64_e32 v[200:201], v[148:149], v[146:147]
	v_add_f64_e32 v[190:191], v[190:191], v[196:197]
	ds_load_b128 v[4:7], v2 offset:1600
	ds_load_b128 v[146:149], v2 offset:1616
	scratch_load_b128 v[150:153], off, off offset:800
	v_fmac_f64_e32 v[192:193], v[144:145], v[154:155]
	v_fma_f64 v[154:155], v[142:143], v[154:155], -v[156:157]
	scratch_load_b128 v[142:145], off, off offset:816
	s_wait_loadcnt_dscnt 0xc01
	v_mul_f64_e32 v[196:197], v[4:5], v[160:161]
	v_mul_f64_e32 v[160:161], v[6:7], v[160:161]
	v_add_f64_e32 v[156:157], v[200:201], v[198:199]
	v_add_f64_e32 v[190:191], v[190:191], v[194:195]
	s_wait_loadcnt_dscnt 0xb00
	v_mul_f64_e32 v[194:195], v[146:147], v[164:165]
	v_mul_f64_e32 v[164:165], v[148:149], v[164:165]
	v_fmac_f64_e32 v[196:197], v[6:7], v[158:159]
	v_fma_f64 v[198:199], v[4:5], v[158:159], -v[160:161]
	v_add_f64_e32 v[200:201], v[156:157], v[154:155]
	v_add_f64_e32 v[190:191], v[190:191], v[192:193]
	ds_load_b128 v[4:7], v2 offset:1632
	ds_load_b128 v[154:157], v2 offset:1648
	scratch_load_b128 v[158:161], off, off offset:832
	v_fmac_f64_e32 v[194:195], v[148:149], v[162:163]
	v_fma_f64 v[162:163], v[146:147], v[162:163], -v[164:165]
	scratch_load_b128 v[146:149], off, off offset:848
	s_wait_loadcnt_dscnt 0xc01
	v_mul_f64_e32 v[192:193], v[4:5], v[172:173]
	v_mul_f64_e32 v[172:173], v[6:7], v[172:173]
	v_add_f64_e32 v[164:165], v[200:201], v[198:199]
	v_add_f64_e32 v[190:191], v[190:191], v[196:197]
	s_wait_loadcnt_dscnt 0xa00
	v_mul_f64_e32 v[196:197], v[154:155], v[184:185]
	v_mul_f64_e32 v[184:185], v[156:157], v[184:185]
	v_fmac_f64_e32 v[192:193], v[6:7], v[170:171]
	v_fma_f64 v[198:199], v[4:5], v[170:171], -v[172:173]
	v_add_f64_e32 v[200:201], v[164:165], v[162:163]
	v_add_f64_e32 v[190:191], v[190:191], v[194:195]
	ds_load_b128 v[4:7], v2 offset:1664
	ds_load_b128 v[162:165], v2 offset:1680
	scratch_load_b128 v[170:173], off, off offset:864
	v_fmac_f64_e32 v[196:197], v[156:157], v[182:183]
	v_fma_f64 v[182:183], v[154:155], v[182:183], -v[184:185]
	scratch_load_b128 v[154:157], off, off offset:880
	s_wait_loadcnt_dscnt 0xb01
	v_mul_f64_e32 v[194:195], v[4:5], v[188:189]
	v_mul_f64_e32 v[188:189], v[6:7], v[188:189]
	v_add_f64_e32 v[184:185], v[200:201], v[198:199]
	v_add_f64_e32 v[190:191], v[190:191], v[192:193]
	s_wait_loadcnt_dscnt 0xa00
	v_mul_f64_e32 v[192:193], v[162:163], v[12:13]
	v_mul_f64_e32 v[12:13], v[164:165], v[12:13]
	v_fmac_f64_e32 v[194:195], v[6:7], v[186:187]
	v_fma_f64 v[198:199], v[4:5], v[186:187], -v[188:189]
	v_add_f64_e32 v[200:201], v[184:185], v[182:183]
	v_add_f64_e32 v[190:191], v[190:191], v[196:197]
	ds_load_b128 v[4:7], v2 offset:1696
	ds_load_b128 v[182:185], v2 offset:1712
	scratch_load_b128 v[186:189], off, off offset:896
	v_fmac_f64_e32 v[192:193], v[164:165], v[10:11]
	v_fma_f64 v[162:163], v[162:163], v[10:11], -v[12:13]
	scratch_load_b128 v[10:13], off, off offset:912
	s_wait_loadcnt_dscnt 0xb01
	v_mul_f64_e32 v[196:197], v[4:5], v[176:177]
	v_mul_f64_e32 v[176:177], v[6:7], v[176:177]
	v_add_f64_e32 v[164:165], v[200:201], v[198:199]
	v_add_f64_e32 v[190:191], v[190:191], v[194:195]
	s_wait_loadcnt_dscnt 0xa00
	v_mul_f64_e32 v[194:195], v[182:183], v[140:141]
	v_mul_f64_e32 v[140:141], v[184:185], v[140:141]
	v_fmac_f64_e32 v[196:197], v[6:7], v[174:175]
	v_fma_f64 v[198:199], v[4:5], v[174:175], -v[176:177]
	v_add_f64_e32 v[200:201], v[164:165], v[162:163]
	v_add_f64_e32 v[190:191], v[190:191], v[192:193]
	ds_load_b128 v[4:7], v2 offset:1728
	ds_load_b128 v[162:165], v2 offset:1744
	scratch_load_b128 v[174:177], off, off offset:928
	v_fmac_f64_e32 v[194:195], v[184:185], v[138:139]
	v_fma_f64 v[182:183], v[182:183], v[138:139], -v[140:141]
	scratch_load_b128 v[138:141], off, off offset:944
	s_wait_loadcnt_dscnt 0xb01
	v_mul_f64_e32 v[192:193], v[4:5], v[168:169]
	v_mul_f64_e32 v[168:169], v[6:7], v[168:169]
	v_add_f64_e32 v[184:185], v[200:201], v[198:199]
	v_add_f64_e32 v[190:191], v[190:191], v[196:197]
	s_wait_loadcnt_dscnt 0xa00
	v_mul_f64_e32 v[196:197], v[162:163], v[136:137]
	v_mul_f64_e32 v[136:137], v[164:165], v[136:137]
	v_fmac_f64_e32 v[192:193], v[6:7], v[166:167]
	v_fma_f64 v[198:199], v[4:5], v[166:167], -v[168:169]
	ds_load_b128 v[4:7], v2 offset:1760
	ds_load_b128 v[166:169], v2 offset:1776
	v_add_f64_e32 v[182:183], v[184:185], v[182:183]
	v_add_f64_e32 v[184:185], v[190:191], v[194:195]
	v_fmac_f64_e32 v[196:197], v[164:165], v[134:135]
	v_fma_f64 v[134:135], v[162:163], v[134:135], -v[136:137]
	s_wait_loadcnt_dscnt 0x901
	v_mul_f64_e32 v[190:191], v[4:5], v[152:153]
	v_mul_f64_e32 v[152:153], v[6:7], v[152:153]
	s_wait_loadcnt_dscnt 0x800
	v_mul_f64_e32 v[164:165], v[166:167], v[144:145]
	v_mul_f64_e32 v[144:145], v[168:169], v[144:145]
	v_add_f64_e32 v[136:137], v[182:183], v[198:199]
	v_add_f64_e32 v[162:163], v[184:185], v[192:193]
	v_fmac_f64_e32 v[190:191], v[6:7], v[150:151]
	v_fma_f64 v[150:151], v[4:5], v[150:151], -v[152:153]
	v_fmac_f64_e32 v[164:165], v[168:169], v[142:143]
	v_fma_f64 v[142:143], v[166:167], v[142:143], -v[144:145]
	v_add_f64_e32 v[152:153], v[136:137], v[134:135]
	v_add_f64_e32 v[162:163], v[162:163], v[196:197]
	ds_load_b128 v[4:7], v2 offset:1792
	ds_load_b128 v[134:137], v2 offset:1808
	s_wait_loadcnt_dscnt 0x701
	v_mul_f64_e32 v[182:183], v[4:5], v[160:161]
	v_mul_f64_e32 v[160:161], v[6:7], v[160:161]
	v_add_f64_e32 v[144:145], v[152:153], v[150:151]
	v_add_f64_e32 v[150:151], v[162:163], v[190:191]
	s_wait_loadcnt_dscnt 0x600
	v_mul_f64_e32 v[152:153], v[134:135], v[148:149]
	v_mul_f64_e32 v[148:149], v[136:137], v[148:149]
	v_fmac_f64_e32 v[182:183], v[6:7], v[158:159]
	v_fma_f64 v[158:159], v[4:5], v[158:159], -v[160:161]
	v_add_f64_e32 v[160:161], v[144:145], v[142:143]
	v_add_f64_e32 v[150:151], v[150:151], v[164:165]
	ds_load_b128 v[4:7], v2 offset:1824
	ds_load_b128 v[142:145], v2 offset:1840
	v_fmac_f64_e32 v[152:153], v[136:137], v[146:147]
	v_fma_f64 v[134:135], v[134:135], v[146:147], -v[148:149]
	s_wait_loadcnt_dscnt 0x501
	v_mul_f64_e32 v[162:163], v[4:5], v[172:173]
	v_mul_f64_e32 v[164:165], v[6:7], v[172:173]
	s_wait_loadcnt_dscnt 0x400
	v_mul_f64_e32 v[148:149], v[142:143], v[156:157]
	v_add_f64_e32 v[136:137], v[160:161], v[158:159]
	v_add_f64_e32 v[146:147], v[150:151], v[182:183]
	v_mul_f64_e32 v[150:151], v[144:145], v[156:157]
	v_fmac_f64_e32 v[162:163], v[6:7], v[170:171]
	v_fma_f64 v[156:157], v[4:5], v[170:171], -v[164:165]
	v_fmac_f64_e32 v[148:149], v[144:145], v[154:155]
	v_add_f64_e32 v[158:159], v[136:137], v[134:135]
	v_add_f64_e32 v[146:147], v[146:147], v[152:153]
	ds_load_b128 v[4:7], v2 offset:1856
	ds_load_b128 v[134:137], v2 offset:1872
	v_fma_f64 v[142:143], v[142:143], v[154:155], -v[150:151]
	s_wait_loadcnt_dscnt 0x301
	v_mul_f64_e32 v[152:153], v[4:5], v[188:189]
	v_mul_f64_e32 v[160:161], v[6:7], v[188:189]
	s_wait_loadcnt_dscnt 0x200
	v_mul_f64_e32 v[150:151], v[134:135], v[12:13]
	v_mul_f64_e32 v[12:13], v[136:137], v[12:13]
	v_add_f64_e32 v[144:145], v[158:159], v[156:157]
	v_add_f64_e32 v[146:147], v[146:147], v[162:163]
	v_fmac_f64_e32 v[152:153], v[6:7], v[186:187]
	v_fma_f64 v[154:155], v[4:5], v[186:187], -v[160:161]
	v_fmac_f64_e32 v[150:151], v[136:137], v[10:11]
	v_fma_f64 v[10:11], v[134:135], v[10:11], -v[12:13]
	v_add_f64_e32 v[156:157], v[144:145], v[142:143]
	v_add_f64_e32 v[146:147], v[146:147], v[148:149]
	ds_load_b128 v[4:7], v2 offset:1888
	ds_load_b128 v[142:145], v2 offset:1904
	s_wait_loadcnt_dscnt 0x101
	v_mul_f64_e32 v[2:3], v[4:5], v[176:177]
	v_mul_f64_e32 v[148:149], v[6:7], v[176:177]
	s_wait_loadcnt_dscnt 0x0
	v_mul_f64_e32 v[136:137], v[142:143], v[140:141]
	v_mul_f64_e32 v[140:141], v[144:145], v[140:141]
	v_add_f64_e32 v[12:13], v[156:157], v[154:155]
	v_add_f64_e32 v[134:135], v[146:147], v[152:153]
	v_fmac_f64_e32 v[2:3], v[6:7], v[174:175]
	v_fma_f64 v[4:5], v[4:5], v[174:175], -v[148:149]
	v_fmac_f64_e32 v[136:137], v[144:145], v[138:139]
	v_add_f64_e32 v[6:7], v[12:13], v[10:11]
	v_add_f64_e32 v[10:11], v[134:135], v[150:151]
	v_fma_f64 v[12:13], v[142:143], v[138:139], -v[140:141]
	s_delay_alu instid0(VALU_DEP_3) | instskip(NEXT) | instid1(VALU_DEP_3)
	v_add_f64_e32 v[4:5], v[6:7], v[4:5]
	v_add_f64_e32 v[2:3], v[10:11], v[2:3]
	s_delay_alu instid0(VALU_DEP_2) | instskip(NEXT) | instid1(VALU_DEP_2)
	v_add_f64_e32 v[4:5], v[4:5], v[12:13]
	v_add_f64_e32 v[6:7], v[2:3], v[136:137]
	s_delay_alu instid0(VALU_DEP_2) | instskip(NEXT) | instid1(VALU_DEP_2)
	v_add_f64_e64 v[2:3], v[178:179], -v[4:5]
	v_add_f64_e64 v[4:5], v[180:181], -v[6:7]
	scratch_store_b128 off, v[2:5], off offset:496
	s_wait_xcnt 0x0
	v_cmpx_lt_u32_e32 30, v1
	s_cbranch_execz .LBB123_313
; %bb.312:
	scratch_load_b128 v[2:5], off, s46
	v_mov_b32_e32 v10, 0
	s_delay_alu instid0(VALU_DEP_1)
	v_dual_mov_b32 v11, v10 :: v_dual_mov_b32 v12, v10
	v_mov_b32_e32 v13, v10
	scratch_store_b128 off, v[10:13], off offset:480
	s_wait_loadcnt 0x0
	ds_store_b128 v8, v[2:5]
.LBB123_313:
	s_wait_xcnt 0x0
	s_or_b32 exec_lo, exec_lo, s2
	s_wait_storecnt_dscnt 0x0
	s_barrier_signal -1
	s_barrier_wait -1
	s_clause 0x9
	scratch_load_b128 v[4:7], off, off offset:496
	scratch_load_b128 v[10:13], off, off offset:512
	scratch_load_b128 v[134:137], off, off offset:528
	scratch_load_b128 v[138:141], off, off offset:544
	scratch_load_b128 v[142:145], off, off offset:560
	scratch_load_b128 v[146:149], off, off offset:576
	scratch_load_b128 v[150:153], off, off offset:592
	scratch_load_b128 v[154:157], off, off offset:608
	scratch_load_b128 v[158:161], off, off offset:624
	scratch_load_b128 v[162:165], off, off offset:640
	v_mov_b32_e32 v2, 0
	s_mov_b32 s2, exec_lo
	ds_load_b128 v[166:169], v2 offset:1456
	s_clause 0x2
	scratch_load_b128 v[170:173], off, off offset:656
	scratch_load_b128 v[174:177], off, off offset:480
	;; [unrolled: 1-line block ×3, first 2 shown]
	s_wait_loadcnt_dscnt 0xc00
	v_mul_f64_e32 v[186:187], v[168:169], v[6:7]
	v_mul_f64_e32 v[190:191], v[166:167], v[6:7]
	ds_load_b128 v[178:181], v2 offset:1472
	v_fma_f64 v[194:195], v[166:167], v[4:5], -v[186:187]
	v_fmac_f64_e32 v[190:191], v[168:169], v[4:5]
	ds_load_b128 v[4:7], v2 offset:1488
	s_wait_loadcnt_dscnt 0xb01
	v_mul_f64_e32 v[192:193], v[178:179], v[12:13]
	v_mul_f64_e32 v[12:13], v[180:181], v[12:13]
	scratch_load_b128 v[166:169], off, off offset:688
	ds_load_b128 v[186:189], v2 offset:1504
	s_wait_loadcnt_dscnt 0xb01
	v_mul_f64_e32 v[196:197], v[4:5], v[136:137]
	v_mul_f64_e32 v[136:137], v[6:7], v[136:137]
	v_add_f64_e32 v[190:191], 0, v[190:191]
	v_fmac_f64_e32 v[192:193], v[180:181], v[10:11]
	v_fma_f64 v[178:179], v[178:179], v[10:11], -v[12:13]
	v_add_f64_e32 v[180:181], 0, v[194:195]
	scratch_load_b128 v[10:13], off, off offset:704
	v_fmac_f64_e32 v[196:197], v[6:7], v[134:135]
	v_fma_f64 v[198:199], v[4:5], v[134:135], -v[136:137]
	ds_load_b128 v[4:7], v2 offset:1520
	s_wait_loadcnt_dscnt 0xb01
	v_mul_f64_e32 v[194:195], v[186:187], v[140:141]
	v_mul_f64_e32 v[140:141], v[188:189], v[140:141]
	scratch_load_b128 v[134:137], off, off offset:720
	v_add_f64_e32 v[190:191], v[190:191], v[192:193]
	v_add_f64_e32 v[200:201], v[180:181], v[178:179]
	ds_load_b128 v[178:181], v2 offset:1536
	s_wait_loadcnt_dscnt 0xb01
	v_mul_f64_e32 v[192:193], v[4:5], v[144:145]
	v_mul_f64_e32 v[144:145], v[6:7], v[144:145]
	v_fmac_f64_e32 v[194:195], v[188:189], v[138:139]
	v_fma_f64 v[186:187], v[186:187], v[138:139], -v[140:141]
	scratch_load_b128 v[138:141], off, off offset:736
	v_add_f64_e32 v[190:191], v[190:191], v[196:197]
	v_add_f64_e32 v[188:189], v[200:201], v[198:199]
	v_fmac_f64_e32 v[192:193], v[6:7], v[142:143]
	v_fma_f64 v[198:199], v[4:5], v[142:143], -v[144:145]
	ds_load_b128 v[4:7], v2 offset:1552
	s_wait_loadcnt_dscnt 0xb01
	v_mul_f64_e32 v[196:197], v[178:179], v[148:149]
	v_mul_f64_e32 v[148:149], v[180:181], v[148:149]
	scratch_load_b128 v[142:145], off, off offset:752
	v_add_f64_e32 v[190:191], v[190:191], v[194:195]
	s_wait_loadcnt_dscnt 0xb00
	v_mul_f64_e32 v[194:195], v[4:5], v[152:153]
	v_add_f64_e32 v[200:201], v[188:189], v[186:187]
	v_mul_f64_e32 v[152:153], v[6:7], v[152:153]
	ds_load_b128 v[186:189], v2 offset:1568
	v_fmac_f64_e32 v[196:197], v[180:181], v[146:147]
	v_fma_f64 v[178:179], v[178:179], v[146:147], -v[148:149]
	scratch_load_b128 v[146:149], off, off offset:768
	v_add_f64_e32 v[190:191], v[190:191], v[192:193]
	v_fmac_f64_e32 v[194:195], v[6:7], v[150:151]
	v_add_f64_e32 v[180:181], v[200:201], v[198:199]
	v_fma_f64 v[198:199], v[4:5], v[150:151], -v[152:153]
	ds_load_b128 v[4:7], v2 offset:1584
	s_wait_loadcnt_dscnt 0xb01
	v_mul_f64_e32 v[192:193], v[186:187], v[156:157]
	v_mul_f64_e32 v[156:157], v[188:189], v[156:157]
	scratch_load_b128 v[150:153], off, off offset:784
	v_add_f64_e32 v[190:191], v[190:191], v[196:197]
	s_wait_loadcnt_dscnt 0xb00
	v_mul_f64_e32 v[196:197], v[4:5], v[160:161]
	v_add_f64_e32 v[200:201], v[180:181], v[178:179]
	v_mul_f64_e32 v[160:161], v[6:7], v[160:161]
	ds_load_b128 v[178:181], v2 offset:1600
	v_fmac_f64_e32 v[192:193], v[188:189], v[154:155]
	v_fma_f64 v[186:187], v[186:187], v[154:155], -v[156:157]
	scratch_load_b128 v[154:157], off, off offset:800
	v_add_f64_e32 v[190:191], v[190:191], v[194:195]
	v_fmac_f64_e32 v[196:197], v[6:7], v[158:159]
	v_add_f64_e32 v[188:189], v[200:201], v[198:199]
	;; [unrolled: 18-line block ×3, first 2 shown]
	v_fma_f64 v[198:199], v[4:5], v[170:171], -v[172:173]
	ds_load_b128 v[4:7], v2 offset:1648
	s_wait_loadcnt_dscnt 0xa01
	v_mul_f64_e32 v[196:197], v[186:187], v[184:185]
	v_mul_f64_e32 v[184:185], v[188:189], v[184:185]
	scratch_load_b128 v[170:173], off, off offset:848
	v_add_f64_e32 v[190:191], v[190:191], v[194:195]
	v_add_f64_e32 v[200:201], v[180:181], v[178:179]
	s_wait_loadcnt_dscnt 0xa00
	v_mul_f64_e32 v[194:195], v[4:5], v[168:169]
	v_mul_f64_e32 v[168:169], v[6:7], v[168:169]
	v_fmac_f64_e32 v[196:197], v[188:189], v[182:183]
	v_fma_f64 v[186:187], v[186:187], v[182:183], -v[184:185]
	ds_load_b128 v[178:181], v2 offset:1664
	scratch_load_b128 v[182:185], off, off offset:864
	v_add_f64_e32 v[190:191], v[190:191], v[192:193]
	v_add_f64_e32 v[188:189], v[200:201], v[198:199]
	v_fmac_f64_e32 v[194:195], v[6:7], v[166:167]
	v_fma_f64 v[198:199], v[4:5], v[166:167], -v[168:169]
	ds_load_b128 v[4:7], v2 offset:1680
	s_wait_loadcnt_dscnt 0xa01
	v_mul_f64_e32 v[192:193], v[178:179], v[12:13]
	v_mul_f64_e32 v[12:13], v[180:181], v[12:13]
	scratch_load_b128 v[166:169], off, off offset:880
	v_add_f64_e32 v[190:191], v[190:191], v[196:197]
	s_wait_loadcnt_dscnt 0xa00
	v_mul_f64_e32 v[196:197], v[4:5], v[136:137]
	v_add_f64_e32 v[200:201], v[188:189], v[186:187]
	v_mul_f64_e32 v[136:137], v[6:7], v[136:137]
	ds_load_b128 v[186:189], v2 offset:1696
	v_fmac_f64_e32 v[192:193], v[180:181], v[10:11]
	v_fma_f64 v[178:179], v[178:179], v[10:11], -v[12:13]
	scratch_load_b128 v[10:13], off, off offset:896
	v_add_f64_e32 v[190:191], v[190:191], v[194:195]
	v_fmac_f64_e32 v[196:197], v[6:7], v[134:135]
	v_add_f64_e32 v[180:181], v[200:201], v[198:199]
	v_fma_f64 v[198:199], v[4:5], v[134:135], -v[136:137]
	ds_load_b128 v[4:7], v2 offset:1712
	s_wait_loadcnt_dscnt 0xa01
	v_mul_f64_e32 v[194:195], v[186:187], v[140:141]
	v_mul_f64_e32 v[140:141], v[188:189], v[140:141]
	scratch_load_b128 v[134:137], off, off offset:912
	v_add_f64_e32 v[190:191], v[190:191], v[192:193]
	s_wait_loadcnt_dscnt 0xa00
	v_mul_f64_e32 v[192:193], v[4:5], v[144:145]
	v_add_f64_e32 v[200:201], v[180:181], v[178:179]
	v_mul_f64_e32 v[144:145], v[6:7], v[144:145]
	ds_load_b128 v[178:181], v2 offset:1728
	v_fmac_f64_e32 v[194:195], v[188:189], v[138:139]
	v_fma_f64 v[186:187], v[186:187], v[138:139], -v[140:141]
	scratch_load_b128 v[138:141], off, off offset:928
	v_add_f64_e32 v[190:191], v[190:191], v[196:197]
	v_fmac_f64_e32 v[192:193], v[6:7], v[142:143]
	v_add_f64_e32 v[188:189], v[200:201], v[198:199]
	v_fma_f64 v[198:199], v[4:5], v[142:143], -v[144:145]
	ds_load_b128 v[4:7], v2 offset:1744
	s_wait_loadcnt_dscnt 0xa01
	v_mul_f64_e32 v[196:197], v[178:179], v[148:149]
	v_mul_f64_e32 v[148:149], v[180:181], v[148:149]
	scratch_load_b128 v[142:145], off, off offset:944
	v_add_f64_e32 v[190:191], v[190:191], v[194:195]
	s_wait_loadcnt_dscnt 0xa00
	v_mul_f64_e32 v[194:195], v[4:5], v[152:153]
	v_add_f64_e32 v[200:201], v[188:189], v[186:187]
	v_mul_f64_e32 v[152:153], v[6:7], v[152:153]
	ds_load_b128 v[186:189], v2 offset:1760
	v_fmac_f64_e32 v[196:197], v[180:181], v[146:147]
	v_fma_f64 v[146:147], v[178:179], v[146:147], -v[148:149]
	s_wait_loadcnt_dscnt 0x900
	v_mul_f64_e32 v[180:181], v[186:187], v[156:157]
	v_mul_f64_e32 v[156:157], v[188:189], v[156:157]
	v_add_f64_e32 v[178:179], v[190:191], v[192:193]
	v_fmac_f64_e32 v[194:195], v[6:7], v[150:151]
	v_add_f64_e32 v[148:149], v[200:201], v[198:199]
	v_fma_f64 v[150:151], v[4:5], v[150:151], -v[152:153]
	v_fmac_f64_e32 v[180:181], v[188:189], v[154:155]
	v_fma_f64 v[154:155], v[186:187], v[154:155], -v[156:157]
	v_add_f64_e32 v[178:179], v[178:179], v[196:197]
	v_add_f64_e32 v[152:153], v[148:149], v[146:147]
	ds_load_b128 v[4:7], v2 offset:1776
	ds_load_b128 v[146:149], v2 offset:1792
	s_wait_loadcnt_dscnt 0x801
	v_mul_f64_e32 v[190:191], v[4:5], v[160:161]
	v_mul_f64_e32 v[160:161], v[6:7], v[160:161]
	s_wait_loadcnt_dscnt 0x700
	v_mul_f64_e32 v[156:157], v[146:147], v[164:165]
	v_mul_f64_e32 v[164:165], v[148:149], v[164:165]
	v_add_f64_e32 v[150:151], v[152:153], v[150:151]
	v_add_f64_e32 v[152:153], v[178:179], v[194:195]
	v_fmac_f64_e32 v[190:191], v[6:7], v[158:159]
	v_fma_f64 v[158:159], v[4:5], v[158:159], -v[160:161]
	v_fmac_f64_e32 v[156:157], v[148:149], v[162:163]
	v_fma_f64 v[146:147], v[146:147], v[162:163], -v[164:165]
	v_add_f64_e32 v[154:155], v[150:151], v[154:155]
	v_add_f64_e32 v[160:161], v[152:153], v[180:181]
	ds_load_b128 v[4:7], v2 offset:1808
	ds_load_b128 v[150:153], v2 offset:1824
	s_wait_loadcnt_dscnt 0x601
	v_mul_f64_e32 v[178:179], v[4:5], v[172:173]
	v_mul_f64_e32 v[172:173], v[6:7], v[172:173]
	v_add_f64_e32 v[148:149], v[154:155], v[158:159]
	v_add_f64_e32 v[154:155], v[160:161], v[190:191]
	s_wait_loadcnt_dscnt 0x500
	v_mul_f64_e32 v[158:159], v[150:151], v[184:185]
	v_mul_f64_e32 v[160:161], v[152:153], v[184:185]
	v_fmac_f64_e32 v[178:179], v[6:7], v[170:171]
	v_fma_f64 v[162:163], v[4:5], v[170:171], -v[172:173]
	v_add_f64_e32 v[164:165], v[148:149], v[146:147]
	v_add_f64_e32 v[154:155], v[154:155], v[156:157]
	ds_load_b128 v[4:7], v2 offset:1840
	ds_load_b128 v[146:149], v2 offset:1856
	v_fmac_f64_e32 v[158:159], v[152:153], v[182:183]
	v_fma_f64 v[150:151], v[150:151], v[182:183], -v[160:161]
	s_wait_loadcnt_dscnt 0x401
	v_mul_f64_e32 v[156:157], v[4:5], v[168:169]
	v_mul_f64_e32 v[168:169], v[6:7], v[168:169]
	s_wait_loadcnt_dscnt 0x300
	v_mul_f64_e32 v[160:161], v[146:147], v[12:13]
	v_mul_f64_e32 v[12:13], v[148:149], v[12:13]
	v_add_f64_e32 v[152:153], v[164:165], v[162:163]
	v_add_f64_e32 v[154:155], v[154:155], v[178:179]
	v_fmac_f64_e32 v[156:157], v[6:7], v[166:167]
	v_fma_f64 v[162:163], v[4:5], v[166:167], -v[168:169]
	v_fmac_f64_e32 v[160:161], v[148:149], v[10:11]
	v_fma_f64 v[10:11], v[146:147], v[10:11], -v[12:13]
	v_add_f64_e32 v[164:165], v[152:153], v[150:151]
	v_add_f64_e32 v[154:155], v[154:155], v[158:159]
	ds_load_b128 v[4:7], v2 offset:1872
	ds_load_b128 v[150:153], v2 offset:1888
	s_wait_loadcnt_dscnt 0x201
	v_mul_f64_e32 v[158:159], v[4:5], v[136:137]
	v_mul_f64_e32 v[136:137], v[6:7], v[136:137]
	s_wait_loadcnt_dscnt 0x100
	v_mul_f64_e32 v[148:149], v[150:151], v[140:141]
	v_mul_f64_e32 v[140:141], v[152:153], v[140:141]
	v_add_f64_e32 v[12:13], v[164:165], v[162:163]
	v_add_f64_e32 v[146:147], v[154:155], v[156:157]
	v_fmac_f64_e32 v[158:159], v[6:7], v[134:135]
	v_fma_f64 v[134:135], v[4:5], v[134:135], -v[136:137]
	ds_load_b128 v[4:7], v2 offset:1904
	v_fmac_f64_e32 v[148:149], v[152:153], v[138:139]
	v_fma_f64 v[138:139], v[150:151], v[138:139], -v[140:141]
	v_add_f64_e32 v[10:11], v[12:13], v[10:11]
	v_add_f64_e32 v[12:13], v[146:147], v[160:161]
	s_wait_loadcnt_dscnt 0x0
	v_mul_f64_e32 v[136:137], v[4:5], v[144:145]
	v_mul_f64_e32 v[144:145], v[6:7], v[144:145]
	s_delay_alu instid0(VALU_DEP_4) | instskip(NEXT) | instid1(VALU_DEP_4)
	v_add_f64_e32 v[10:11], v[10:11], v[134:135]
	v_add_f64_e32 v[12:13], v[12:13], v[158:159]
	s_delay_alu instid0(VALU_DEP_4) | instskip(NEXT) | instid1(VALU_DEP_4)
	v_fmac_f64_e32 v[136:137], v[6:7], v[142:143]
	v_fma_f64 v[4:5], v[4:5], v[142:143], -v[144:145]
	s_delay_alu instid0(VALU_DEP_4) | instskip(NEXT) | instid1(VALU_DEP_4)
	v_add_f64_e32 v[6:7], v[10:11], v[138:139]
	v_add_f64_e32 v[10:11], v[12:13], v[148:149]
	s_delay_alu instid0(VALU_DEP_2) | instskip(NEXT) | instid1(VALU_DEP_2)
	v_add_f64_e32 v[4:5], v[6:7], v[4:5]
	v_add_f64_e32 v[6:7], v[10:11], v[136:137]
	s_delay_alu instid0(VALU_DEP_2) | instskip(NEXT) | instid1(VALU_DEP_2)
	v_add_f64_e64 v[4:5], v[174:175], -v[4:5]
	v_add_f64_e64 v[6:7], v[176:177], -v[6:7]
	scratch_store_b128 off, v[4:7], off offset:480
	s_wait_xcnt 0x0
	v_cmpx_lt_u32_e32 29, v1
	s_cbranch_execz .LBB123_315
; %bb.314:
	scratch_load_b128 v[10:13], off, s47
	v_dual_mov_b32 v3, v2 :: v_dual_mov_b32 v4, v2
	v_mov_b32_e32 v5, v2
	scratch_store_b128 off, v[2:5], off offset:464
	s_wait_loadcnt 0x0
	ds_store_b128 v8, v[10:13]
.LBB123_315:
	s_wait_xcnt 0x0
	s_or_b32 exec_lo, exec_lo, s2
	s_wait_storecnt_dscnt 0x0
	s_barrier_signal -1
	s_barrier_wait -1
	s_clause 0x9
	scratch_load_b128 v[4:7], off, off offset:480
	scratch_load_b128 v[10:13], off, off offset:496
	;; [unrolled: 1-line block ×10, first 2 shown]
	ds_load_b128 v[166:169], v2 offset:1440
	ds_load_b128 v[174:177], v2 offset:1456
	s_clause 0x2
	scratch_load_b128 v[170:173], off, off offset:640
	scratch_load_b128 v[178:181], off, off offset:464
	;; [unrolled: 1-line block ×3, first 2 shown]
	s_mov_b32 s2, exec_lo
	s_wait_loadcnt_dscnt 0xc01
	v_mul_f64_e32 v[186:187], v[168:169], v[6:7]
	v_mul_f64_e32 v[190:191], v[166:167], v[6:7]
	s_wait_loadcnt_dscnt 0xb00
	v_mul_f64_e32 v[192:193], v[174:175], v[12:13]
	v_mul_f64_e32 v[12:13], v[176:177], v[12:13]
	s_delay_alu instid0(VALU_DEP_4) | instskip(NEXT) | instid1(VALU_DEP_4)
	v_fma_f64 v[194:195], v[166:167], v[4:5], -v[186:187]
	v_fmac_f64_e32 v[190:191], v[168:169], v[4:5]
	ds_load_b128 v[4:7], v2 offset:1472
	ds_load_b128 v[166:169], v2 offset:1488
	scratch_load_b128 v[186:189], off, off offset:672
	v_fmac_f64_e32 v[192:193], v[176:177], v[10:11]
	v_fma_f64 v[174:175], v[174:175], v[10:11], -v[12:13]
	scratch_load_b128 v[10:13], off, off offset:688
	s_wait_loadcnt_dscnt 0xc01
	v_mul_f64_e32 v[196:197], v[4:5], v[136:137]
	v_mul_f64_e32 v[136:137], v[6:7], v[136:137]
	v_add_f64_e32 v[176:177], 0, v[194:195]
	v_add_f64_e32 v[190:191], 0, v[190:191]
	s_wait_loadcnt_dscnt 0xb00
	v_mul_f64_e32 v[194:195], v[166:167], v[140:141]
	v_mul_f64_e32 v[140:141], v[168:169], v[140:141]
	v_fmac_f64_e32 v[196:197], v[6:7], v[134:135]
	v_fma_f64 v[198:199], v[4:5], v[134:135], -v[136:137]
	ds_load_b128 v[4:7], v2 offset:1504
	ds_load_b128 v[134:137], v2 offset:1520
	v_add_f64_e32 v[200:201], v[176:177], v[174:175]
	v_add_f64_e32 v[190:191], v[190:191], v[192:193]
	scratch_load_b128 v[174:177], off, off offset:704
	v_fmac_f64_e32 v[194:195], v[168:169], v[138:139]
	v_fma_f64 v[166:167], v[166:167], v[138:139], -v[140:141]
	scratch_load_b128 v[138:141], off, off offset:720
	s_wait_loadcnt_dscnt 0xc01
	v_mul_f64_e32 v[192:193], v[4:5], v[144:145]
	v_mul_f64_e32 v[144:145], v[6:7], v[144:145]
	v_add_f64_e32 v[168:169], v[200:201], v[198:199]
	v_add_f64_e32 v[190:191], v[190:191], v[196:197]
	s_wait_loadcnt_dscnt 0xb00
	v_mul_f64_e32 v[196:197], v[134:135], v[148:149]
	v_mul_f64_e32 v[148:149], v[136:137], v[148:149]
	v_fmac_f64_e32 v[192:193], v[6:7], v[142:143]
	v_fma_f64 v[198:199], v[4:5], v[142:143], -v[144:145]
	ds_load_b128 v[4:7], v2 offset:1536
	ds_load_b128 v[142:145], v2 offset:1552
	v_add_f64_e32 v[200:201], v[168:169], v[166:167]
	v_add_f64_e32 v[190:191], v[190:191], v[194:195]
	scratch_load_b128 v[166:169], off, off offset:736
	s_wait_loadcnt_dscnt 0xb01
	v_mul_f64_e32 v[194:195], v[4:5], v[152:153]
	v_mul_f64_e32 v[152:153], v[6:7], v[152:153]
	v_fmac_f64_e32 v[196:197], v[136:137], v[146:147]
	v_fma_f64 v[146:147], v[134:135], v[146:147], -v[148:149]
	scratch_load_b128 v[134:137], off, off offset:752
	v_add_f64_e32 v[148:149], v[200:201], v[198:199]
	v_add_f64_e32 v[190:191], v[190:191], v[192:193]
	s_wait_loadcnt_dscnt 0xb00
	v_mul_f64_e32 v[192:193], v[142:143], v[156:157]
	v_mul_f64_e32 v[156:157], v[144:145], v[156:157]
	v_fmac_f64_e32 v[194:195], v[6:7], v[150:151]
	v_fma_f64 v[198:199], v[4:5], v[150:151], -v[152:153]
	v_add_f64_e32 v[200:201], v[148:149], v[146:147]
	v_add_f64_e32 v[190:191], v[190:191], v[196:197]
	ds_load_b128 v[4:7], v2 offset:1568
	ds_load_b128 v[146:149], v2 offset:1584
	scratch_load_b128 v[150:153], off, off offset:768
	v_fmac_f64_e32 v[192:193], v[144:145], v[154:155]
	v_fma_f64 v[154:155], v[142:143], v[154:155], -v[156:157]
	scratch_load_b128 v[142:145], off, off offset:784
	s_wait_loadcnt_dscnt 0xc01
	v_mul_f64_e32 v[196:197], v[4:5], v[160:161]
	v_mul_f64_e32 v[160:161], v[6:7], v[160:161]
	v_add_f64_e32 v[156:157], v[200:201], v[198:199]
	v_add_f64_e32 v[190:191], v[190:191], v[194:195]
	s_wait_loadcnt_dscnt 0xb00
	v_mul_f64_e32 v[194:195], v[146:147], v[164:165]
	v_mul_f64_e32 v[164:165], v[148:149], v[164:165]
	v_fmac_f64_e32 v[196:197], v[6:7], v[158:159]
	v_fma_f64 v[198:199], v[4:5], v[158:159], -v[160:161]
	v_add_f64_e32 v[200:201], v[156:157], v[154:155]
	v_add_f64_e32 v[190:191], v[190:191], v[192:193]
	ds_load_b128 v[4:7], v2 offset:1600
	ds_load_b128 v[154:157], v2 offset:1616
	scratch_load_b128 v[158:161], off, off offset:800
	v_fmac_f64_e32 v[194:195], v[148:149], v[162:163]
	v_fma_f64 v[162:163], v[146:147], v[162:163], -v[164:165]
	scratch_load_b128 v[146:149], off, off offset:816
	s_wait_loadcnt_dscnt 0xc01
	v_mul_f64_e32 v[192:193], v[4:5], v[172:173]
	v_mul_f64_e32 v[172:173], v[6:7], v[172:173]
	;; [unrolled: 18-line block ×5, first 2 shown]
	v_add_f64_e32 v[184:185], v[200:201], v[198:199]
	v_add_f64_e32 v[190:191], v[190:191], v[196:197]
	s_wait_loadcnt_dscnt 0xa00
	v_mul_f64_e32 v[196:197], v[162:163], v[136:137]
	v_mul_f64_e32 v[136:137], v[164:165], v[136:137]
	v_fmac_f64_e32 v[192:193], v[6:7], v[166:167]
	v_fma_f64 v[198:199], v[4:5], v[166:167], -v[168:169]
	ds_load_b128 v[4:7], v2 offset:1728
	ds_load_b128 v[166:169], v2 offset:1744
	v_add_f64_e32 v[200:201], v[184:185], v[182:183]
	v_add_f64_e32 v[190:191], v[190:191], v[194:195]
	scratch_load_b128 v[182:185], off, off offset:928
	v_fmac_f64_e32 v[196:197], v[164:165], v[134:135]
	v_fma_f64 v[162:163], v[162:163], v[134:135], -v[136:137]
	scratch_load_b128 v[134:137], off, off offset:944
	s_wait_loadcnt_dscnt 0xb01
	v_mul_f64_e32 v[194:195], v[4:5], v[152:153]
	v_mul_f64_e32 v[152:153], v[6:7], v[152:153]
	v_add_f64_e32 v[164:165], v[200:201], v[198:199]
	v_add_f64_e32 v[190:191], v[190:191], v[192:193]
	s_wait_loadcnt_dscnt 0xa00
	v_mul_f64_e32 v[192:193], v[166:167], v[144:145]
	v_mul_f64_e32 v[144:145], v[168:169], v[144:145]
	v_fmac_f64_e32 v[194:195], v[6:7], v[150:151]
	v_fma_f64 v[198:199], v[4:5], v[150:151], -v[152:153]
	ds_load_b128 v[4:7], v2 offset:1760
	ds_load_b128 v[150:153], v2 offset:1776
	v_add_f64_e32 v[162:163], v[164:165], v[162:163]
	v_add_f64_e32 v[164:165], v[190:191], v[196:197]
	v_fmac_f64_e32 v[192:193], v[168:169], v[142:143]
	s_wait_loadcnt_dscnt 0x901
	v_mul_f64_e32 v[190:191], v[4:5], v[160:161]
	v_mul_f64_e32 v[160:161], v[6:7], v[160:161]
	v_fma_f64 v[142:143], v[166:167], v[142:143], -v[144:145]
	v_add_f64_e32 v[144:145], v[162:163], v[198:199]
	v_add_f64_e32 v[162:163], v[164:165], v[194:195]
	s_wait_loadcnt_dscnt 0x800
	v_mul_f64_e32 v[164:165], v[150:151], v[148:149]
	v_mul_f64_e32 v[148:149], v[152:153], v[148:149]
	v_fmac_f64_e32 v[190:191], v[6:7], v[158:159]
	v_fma_f64 v[158:159], v[4:5], v[158:159], -v[160:161]
	v_add_f64_e32 v[160:161], v[144:145], v[142:143]
	v_add_f64_e32 v[162:163], v[162:163], v[192:193]
	ds_load_b128 v[4:7], v2 offset:1792
	ds_load_b128 v[142:145], v2 offset:1808
	v_fmac_f64_e32 v[164:165], v[152:153], v[146:147]
	v_fma_f64 v[146:147], v[150:151], v[146:147], -v[148:149]
	s_wait_loadcnt_dscnt 0x701
	v_mul_f64_e32 v[166:167], v[4:5], v[172:173]
	v_mul_f64_e32 v[168:169], v[6:7], v[172:173]
	s_wait_loadcnt_dscnt 0x600
	v_mul_f64_e32 v[152:153], v[142:143], v[156:157]
	v_mul_f64_e32 v[156:157], v[144:145], v[156:157]
	v_add_f64_e32 v[148:149], v[160:161], v[158:159]
	v_add_f64_e32 v[150:151], v[162:163], v[190:191]
	v_fmac_f64_e32 v[166:167], v[6:7], v[170:171]
	v_fma_f64 v[158:159], v[4:5], v[170:171], -v[168:169]
	v_fmac_f64_e32 v[152:153], v[144:145], v[154:155]
	v_fma_f64 v[142:143], v[142:143], v[154:155], -v[156:157]
	v_add_f64_e32 v[160:161], v[148:149], v[146:147]
	v_add_f64_e32 v[150:151], v[150:151], v[164:165]
	ds_load_b128 v[4:7], v2 offset:1824
	ds_load_b128 v[146:149], v2 offset:1840
	s_wait_loadcnt_dscnt 0x501
	v_mul_f64_e32 v[162:163], v[4:5], v[188:189]
	v_mul_f64_e32 v[164:165], v[6:7], v[188:189]
	s_wait_loadcnt_dscnt 0x400
	v_mul_f64_e32 v[154:155], v[146:147], v[12:13]
	v_mul_f64_e32 v[12:13], v[148:149], v[12:13]
	v_add_f64_e32 v[144:145], v[160:161], v[158:159]
	v_add_f64_e32 v[150:151], v[150:151], v[166:167]
	v_fmac_f64_e32 v[162:163], v[6:7], v[186:187]
	v_fma_f64 v[156:157], v[4:5], v[186:187], -v[164:165]
	v_fmac_f64_e32 v[154:155], v[148:149], v[10:11]
	v_fma_f64 v[10:11], v[146:147], v[10:11], -v[12:13]
	v_add_f64_e32 v[158:159], v[144:145], v[142:143]
	v_add_f64_e32 v[150:151], v[150:151], v[152:153]
	ds_load_b128 v[4:7], v2 offset:1856
	ds_load_b128 v[142:145], v2 offset:1872
	;; [unrolled: 16-line block ×3, first 2 shown]
	s_wait_loadcnt_dscnt 0x101
	v_mul_f64_e32 v[2:3], v[4:5], v[184:185]
	v_mul_f64_e32 v[154:155], v[6:7], v[184:185]
	s_wait_loadcnt_dscnt 0x0
	v_mul_f64_e32 v[144:145], v[10:11], v[136:137]
	v_mul_f64_e32 v[136:137], v[12:13], v[136:137]
	v_add_f64_e32 v[140:141], v[156:157], v[150:151]
	v_add_f64_e32 v[142:143], v[146:147], v[152:153]
	v_fmac_f64_e32 v[2:3], v[6:7], v[182:183]
	v_fma_f64 v[4:5], v[4:5], v[182:183], -v[154:155]
	v_fmac_f64_e32 v[144:145], v[12:13], v[134:135]
	v_fma_f64 v[10:11], v[10:11], v[134:135], -v[136:137]
	v_add_f64_e32 v[6:7], v[140:141], v[138:139]
	v_add_f64_e32 v[138:139], v[142:143], v[148:149]
	s_delay_alu instid0(VALU_DEP_2) | instskip(NEXT) | instid1(VALU_DEP_2)
	v_add_f64_e32 v[4:5], v[6:7], v[4:5]
	v_add_f64_e32 v[2:3], v[138:139], v[2:3]
	s_delay_alu instid0(VALU_DEP_2) | instskip(NEXT) | instid1(VALU_DEP_2)
	;; [unrolled: 3-line block ×3, first 2 shown]
	v_add_f64_e64 v[2:3], v[178:179], -v[4:5]
	v_add_f64_e64 v[4:5], v[180:181], -v[6:7]
	scratch_store_b128 off, v[2:5], off offset:464
	s_wait_xcnt 0x0
	v_cmpx_lt_u32_e32 28, v1
	s_cbranch_execz .LBB123_317
; %bb.316:
	scratch_load_b128 v[2:5], off, s48
	v_mov_b32_e32 v10, 0
	s_delay_alu instid0(VALU_DEP_1)
	v_dual_mov_b32 v11, v10 :: v_dual_mov_b32 v12, v10
	v_mov_b32_e32 v13, v10
	scratch_store_b128 off, v[10:13], off offset:448
	s_wait_loadcnt 0x0
	ds_store_b128 v8, v[2:5]
.LBB123_317:
	s_wait_xcnt 0x0
	s_or_b32 exec_lo, exec_lo, s2
	s_wait_storecnt_dscnt 0x0
	s_barrier_signal -1
	s_barrier_wait -1
	s_clause 0x9
	scratch_load_b128 v[4:7], off, off offset:464
	scratch_load_b128 v[10:13], off, off offset:480
	;; [unrolled: 1-line block ×10, first 2 shown]
	v_mov_b32_e32 v2, 0
	s_mov_b32 s2, exec_lo
	ds_load_b128 v[166:169], v2 offset:1424
	s_clause 0x2
	scratch_load_b128 v[170:173], off, off offset:624
	scratch_load_b128 v[174:177], off, off offset:448
	;; [unrolled: 1-line block ×3, first 2 shown]
	s_wait_loadcnt_dscnt 0xc00
	v_mul_f64_e32 v[186:187], v[168:169], v[6:7]
	v_mul_f64_e32 v[190:191], v[166:167], v[6:7]
	ds_load_b128 v[178:181], v2 offset:1440
	v_fma_f64 v[194:195], v[166:167], v[4:5], -v[186:187]
	v_fmac_f64_e32 v[190:191], v[168:169], v[4:5]
	ds_load_b128 v[4:7], v2 offset:1456
	s_wait_loadcnt_dscnt 0xb01
	v_mul_f64_e32 v[192:193], v[178:179], v[12:13]
	v_mul_f64_e32 v[12:13], v[180:181], v[12:13]
	scratch_load_b128 v[166:169], off, off offset:656
	ds_load_b128 v[186:189], v2 offset:1472
	s_wait_loadcnt_dscnt 0xb01
	v_mul_f64_e32 v[196:197], v[4:5], v[136:137]
	v_mul_f64_e32 v[136:137], v[6:7], v[136:137]
	v_add_f64_e32 v[190:191], 0, v[190:191]
	v_fmac_f64_e32 v[192:193], v[180:181], v[10:11]
	v_fma_f64 v[178:179], v[178:179], v[10:11], -v[12:13]
	v_add_f64_e32 v[180:181], 0, v[194:195]
	scratch_load_b128 v[10:13], off, off offset:672
	v_fmac_f64_e32 v[196:197], v[6:7], v[134:135]
	v_fma_f64 v[198:199], v[4:5], v[134:135], -v[136:137]
	ds_load_b128 v[4:7], v2 offset:1488
	s_wait_loadcnt_dscnt 0xb01
	v_mul_f64_e32 v[194:195], v[186:187], v[140:141]
	v_mul_f64_e32 v[140:141], v[188:189], v[140:141]
	scratch_load_b128 v[134:137], off, off offset:688
	v_add_f64_e32 v[190:191], v[190:191], v[192:193]
	v_add_f64_e32 v[200:201], v[180:181], v[178:179]
	ds_load_b128 v[178:181], v2 offset:1504
	s_wait_loadcnt_dscnt 0xb01
	v_mul_f64_e32 v[192:193], v[4:5], v[144:145]
	v_mul_f64_e32 v[144:145], v[6:7], v[144:145]
	v_fmac_f64_e32 v[194:195], v[188:189], v[138:139]
	v_fma_f64 v[186:187], v[186:187], v[138:139], -v[140:141]
	scratch_load_b128 v[138:141], off, off offset:704
	v_add_f64_e32 v[190:191], v[190:191], v[196:197]
	v_add_f64_e32 v[188:189], v[200:201], v[198:199]
	v_fmac_f64_e32 v[192:193], v[6:7], v[142:143]
	v_fma_f64 v[198:199], v[4:5], v[142:143], -v[144:145]
	ds_load_b128 v[4:7], v2 offset:1520
	s_wait_loadcnt_dscnt 0xb01
	v_mul_f64_e32 v[196:197], v[178:179], v[148:149]
	v_mul_f64_e32 v[148:149], v[180:181], v[148:149]
	scratch_load_b128 v[142:145], off, off offset:720
	v_add_f64_e32 v[190:191], v[190:191], v[194:195]
	s_wait_loadcnt_dscnt 0xb00
	v_mul_f64_e32 v[194:195], v[4:5], v[152:153]
	v_add_f64_e32 v[200:201], v[188:189], v[186:187]
	v_mul_f64_e32 v[152:153], v[6:7], v[152:153]
	ds_load_b128 v[186:189], v2 offset:1536
	v_fmac_f64_e32 v[196:197], v[180:181], v[146:147]
	v_fma_f64 v[178:179], v[178:179], v[146:147], -v[148:149]
	scratch_load_b128 v[146:149], off, off offset:736
	v_add_f64_e32 v[190:191], v[190:191], v[192:193]
	v_fmac_f64_e32 v[194:195], v[6:7], v[150:151]
	v_add_f64_e32 v[180:181], v[200:201], v[198:199]
	v_fma_f64 v[198:199], v[4:5], v[150:151], -v[152:153]
	ds_load_b128 v[4:7], v2 offset:1552
	s_wait_loadcnt_dscnt 0xb01
	v_mul_f64_e32 v[192:193], v[186:187], v[156:157]
	v_mul_f64_e32 v[156:157], v[188:189], v[156:157]
	scratch_load_b128 v[150:153], off, off offset:752
	v_add_f64_e32 v[190:191], v[190:191], v[196:197]
	s_wait_loadcnt_dscnt 0xb00
	v_mul_f64_e32 v[196:197], v[4:5], v[160:161]
	v_add_f64_e32 v[200:201], v[180:181], v[178:179]
	v_mul_f64_e32 v[160:161], v[6:7], v[160:161]
	ds_load_b128 v[178:181], v2 offset:1568
	v_fmac_f64_e32 v[192:193], v[188:189], v[154:155]
	v_fma_f64 v[186:187], v[186:187], v[154:155], -v[156:157]
	scratch_load_b128 v[154:157], off, off offset:768
	v_add_f64_e32 v[190:191], v[190:191], v[194:195]
	v_fmac_f64_e32 v[196:197], v[6:7], v[158:159]
	v_add_f64_e32 v[188:189], v[200:201], v[198:199]
	;; [unrolled: 18-line block ×3, first 2 shown]
	v_fma_f64 v[198:199], v[4:5], v[170:171], -v[172:173]
	ds_load_b128 v[4:7], v2 offset:1616
	s_wait_loadcnt_dscnt 0xa01
	v_mul_f64_e32 v[196:197], v[186:187], v[184:185]
	v_mul_f64_e32 v[184:185], v[188:189], v[184:185]
	scratch_load_b128 v[170:173], off, off offset:816
	v_add_f64_e32 v[190:191], v[190:191], v[194:195]
	v_add_f64_e32 v[200:201], v[180:181], v[178:179]
	s_wait_loadcnt_dscnt 0xa00
	v_mul_f64_e32 v[194:195], v[4:5], v[168:169]
	v_mul_f64_e32 v[168:169], v[6:7], v[168:169]
	v_fmac_f64_e32 v[196:197], v[188:189], v[182:183]
	v_fma_f64 v[186:187], v[186:187], v[182:183], -v[184:185]
	ds_load_b128 v[178:181], v2 offset:1632
	scratch_load_b128 v[182:185], off, off offset:832
	v_add_f64_e32 v[190:191], v[190:191], v[192:193]
	v_add_f64_e32 v[188:189], v[200:201], v[198:199]
	v_fmac_f64_e32 v[194:195], v[6:7], v[166:167]
	v_fma_f64 v[198:199], v[4:5], v[166:167], -v[168:169]
	ds_load_b128 v[4:7], v2 offset:1648
	s_wait_loadcnt_dscnt 0xa01
	v_mul_f64_e32 v[192:193], v[178:179], v[12:13]
	v_mul_f64_e32 v[12:13], v[180:181], v[12:13]
	scratch_load_b128 v[166:169], off, off offset:848
	v_add_f64_e32 v[190:191], v[190:191], v[196:197]
	s_wait_loadcnt_dscnt 0xa00
	v_mul_f64_e32 v[196:197], v[4:5], v[136:137]
	v_add_f64_e32 v[200:201], v[188:189], v[186:187]
	v_mul_f64_e32 v[136:137], v[6:7], v[136:137]
	ds_load_b128 v[186:189], v2 offset:1664
	v_fmac_f64_e32 v[192:193], v[180:181], v[10:11]
	v_fma_f64 v[178:179], v[178:179], v[10:11], -v[12:13]
	scratch_load_b128 v[10:13], off, off offset:864
	v_add_f64_e32 v[190:191], v[190:191], v[194:195]
	v_fmac_f64_e32 v[196:197], v[6:7], v[134:135]
	v_add_f64_e32 v[180:181], v[200:201], v[198:199]
	v_fma_f64 v[198:199], v[4:5], v[134:135], -v[136:137]
	ds_load_b128 v[4:7], v2 offset:1680
	s_wait_loadcnt_dscnt 0xa01
	v_mul_f64_e32 v[194:195], v[186:187], v[140:141]
	v_mul_f64_e32 v[140:141], v[188:189], v[140:141]
	scratch_load_b128 v[134:137], off, off offset:880
	v_add_f64_e32 v[190:191], v[190:191], v[192:193]
	s_wait_loadcnt_dscnt 0xa00
	v_mul_f64_e32 v[192:193], v[4:5], v[144:145]
	v_add_f64_e32 v[200:201], v[180:181], v[178:179]
	v_mul_f64_e32 v[144:145], v[6:7], v[144:145]
	ds_load_b128 v[178:181], v2 offset:1696
	v_fmac_f64_e32 v[194:195], v[188:189], v[138:139]
	v_fma_f64 v[186:187], v[186:187], v[138:139], -v[140:141]
	scratch_load_b128 v[138:141], off, off offset:896
	v_add_f64_e32 v[190:191], v[190:191], v[196:197]
	v_fmac_f64_e32 v[192:193], v[6:7], v[142:143]
	v_add_f64_e32 v[188:189], v[200:201], v[198:199]
	;; [unrolled: 18-line block ×3, first 2 shown]
	v_fma_f64 v[198:199], v[4:5], v[150:151], -v[152:153]
	ds_load_b128 v[4:7], v2 offset:1744
	s_wait_loadcnt_dscnt 0xa01
	v_mul_f64_e32 v[192:193], v[186:187], v[156:157]
	v_mul_f64_e32 v[156:157], v[188:189], v[156:157]
	scratch_load_b128 v[150:153], off, off offset:944
	v_add_f64_e32 v[190:191], v[190:191], v[196:197]
	s_wait_loadcnt_dscnt 0xa00
	v_mul_f64_e32 v[196:197], v[4:5], v[160:161]
	v_add_f64_e32 v[200:201], v[180:181], v[178:179]
	v_mul_f64_e32 v[160:161], v[6:7], v[160:161]
	ds_load_b128 v[178:181], v2 offset:1760
	v_fmac_f64_e32 v[192:193], v[188:189], v[154:155]
	v_fma_f64 v[154:155], v[186:187], v[154:155], -v[156:157]
	s_wait_loadcnt_dscnt 0x900
	v_mul_f64_e32 v[188:189], v[178:179], v[164:165]
	v_mul_f64_e32 v[164:165], v[180:181], v[164:165]
	v_add_f64_e32 v[186:187], v[190:191], v[194:195]
	v_fmac_f64_e32 v[196:197], v[6:7], v[158:159]
	v_add_f64_e32 v[156:157], v[200:201], v[198:199]
	v_fma_f64 v[158:159], v[4:5], v[158:159], -v[160:161]
	v_fmac_f64_e32 v[188:189], v[180:181], v[162:163]
	v_fma_f64 v[162:163], v[178:179], v[162:163], -v[164:165]
	v_add_f64_e32 v[186:187], v[186:187], v[192:193]
	v_add_f64_e32 v[160:161], v[156:157], v[154:155]
	ds_load_b128 v[4:7], v2 offset:1776
	ds_load_b128 v[154:157], v2 offset:1792
	s_wait_loadcnt_dscnt 0x801
	v_mul_f64_e32 v[190:191], v[4:5], v[172:173]
	v_mul_f64_e32 v[172:173], v[6:7], v[172:173]
	s_wait_loadcnt_dscnt 0x700
	v_mul_f64_e32 v[164:165], v[154:155], v[184:185]
	v_mul_f64_e32 v[178:179], v[156:157], v[184:185]
	v_add_f64_e32 v[158:159], v[160:161], v[158:159]
	v_add_f64_e32 v[160:161], v[186:187], v[196:197]
	v_fmac_f64_e32 v[190:191], v[6:7], v[170:171]
	v_fma_f64 v[170:171], v[4:5], v[170:171], -v[172:173]
	v_fmac_f64_e32 v[164:165], v[156:157], v[182:183]
	v_fma_f64 v[154:155], v[154:155], v[182:183], -v[178:179]
	v_add_f64_e32 v[162:163], v[158:159], v[162:163]
	v_add_f64_e32 v[172:173], v[160:161], v[188:189]
	ds_load_b128 v[4:7], v2 offset:1808
	ds_load_b128 v[158:161], v2 offset:1824
	s_wait_loadcnt_dscnt 0x601
	v_mul_f64_e32 v[180:181], v[4:5], v[168:169]
	v_mul_f64_e32 v[168:169], v[6:7], v[168:169]
	v_add_f64_e32 v[156:157], v[162:163], v[170:171]
	v_add_f64_e32 v[162:163], v[172:173], v[190:191]
	s_wait_loadcnt_dscnt 0x500
	v_mul_f64_e32 v[170:171], v[158:159], v[12:13]
	v_mul_f64_e32 v[12:13], v[160:161], v[12:13]
	v_fmac_f64_e32 v[180:181], v[6:7], v[166:167]
	v_fma_f64 v[166:167], v[4:5], v[166:167], -v[168:169]
	v_add_f64_e32 v[168:169], v[156:157], v[154:155]
	v_add_f64_e32 v[162:163], v[162:163], v[164:165]
	ds_load_b128 v[4:7], v2 offset:1840
	ds_load_b128 v[154:157], v2 offset:1856
	v_fmac_f64_e32 v[170:171], v[160:161], v[10:11]
	v_fma_f64 v[10:11], v[158:159], v[10:11], -v[12:13]
	s_wait_loadcnt_dscnt 0x401
	v_mul_f64_e32 v[164:165], v[4:5], v[136:137]
	v_mul_f64_e32 v[136:137], v[6:7], v[136:137]
	s_wait_loadcnt_dscnt 0x300
	v_mul_f64_e32 v[160:161], v[154:155], v[140:141]
	v_mul_f64_e32 v[140:141], v[156:157], v[140:141]
	v_add_f64_e32 v[12:13], v[168:169], v[166:167]
	v_add_f64_e32 v[158:159], v[162:163], v[180:181]
	v_fmac_f64_e32 v[164:165], v[6:7], v[134:135]
	v_fma_f64 v[134:135], v[4:5], v[134:135], -v[136:137]
	v_fmac_f64_e32 v[160:161], v[156:157], v[138:139]
	v_fma_f64 v[138:139], v[154:155], v[138:139], -v[140:141]
	v_add_f64_e32 v[136:137], v[12:13], v[10:11]
	v_add_f64_e32 v[158:159], v[158:159], v[170:171]
	ds_load_b128 v[4:7], v2 offset:1872
	ds_load_b128 v[10:13], v2 offset:1888
	s_wait_loadcnt_dscnt 0x201
	v_mul_f64_e32 v[162:163], v[4:5], v[144:145]
	v_mul_f64_e32 v[144:145], v[6:7], v[144:145]
	s_wait_loadcnt_dscnt 0x100
	v_mul_f64_e32 v[140:141], v[10:11], v[148:149]
	v_mul_f64_e32 v[148:149], v[12:13], v[148:149]
	v_add_f64_e32 v[134:135], v[136:137], v[134:135]
	v_add_f64_e32 v[136:137], v[158:159], v[164:165]
	v_fmac_f64_e32 v[162:163], v[6:7], v[142:143]
	v_fma_f64 v[142:143], v[4:5], v[142:143], -v[144:145]
	ds_load_b128 v[4:7], v2 offset:1904
	v_fmac_f64_e32 v[140:141], v[12:13], v[146:147]
	v_fma_f64 v[10:11], v[10:11], v[146:147], -v[148:149]
	v_add_f64_e32 v[134:135], v[134:135], v[138:139]
	v_add_f64_e32 v[136:137], v[136:137], v[160:161]
	s_wait_loadcnt_dscnt 0x0
	v_mul_f64_e32 v[138:139], v[4:5], v[152:153]
	v_mul_f64_e32 v[144:145], v[6:7], v[152:153]
	s_delay_alu instid0(VALU_DEP_4) | instskip(NEXT) | instid1(VALU_DEP_4)
	v_add_f64_e32 v[12:13], v[134:135], v[142:143]
	v_add_f64_e32 v[134:135], v[136:137], v[162:163]
	s_delay_alu instid0(VALU_DEP_4) | instskip(NEXT) | instid1(VALU_DEP_4)
	v_fmac_f64_e32 v[138:139], v[6:7], v[150:151]
	v_fma_f64 v[4:5], v[4:5], v[150:151], -v[144:145]
	s_delay_alu instid0(VALU_DEP_4) | instskip(NEXT) | instid1(VALU_DEP_4)
	v_add_f64_e32 v[6:7], v[12:13], v[10:11]
	v_add_f64_e32 v[10:11], v[134:135], v[140:141]
	s_delay_alu instid0(VALU_DEP_2) | instskip(NEXT) | instid1(VALU_DEP_2)
	v_add_f64_e32 v[4:5], v[6:7], v[4:5]
	v_add_f64_e32 v[6:7], v[10:11], v[138:139]
	s_delay_alu instid0(VALU_DEP_2) | instskip(NEXT) | instid1(VALU_DEP_2)
	v_add_f64_e64 v[4:5], v[174:175], -v[4:5]
	v_add_f64_e64 v[6:7], v[176:177], -v[6:7]
	scratch_store_b128 off, v[4:7], off offset:448
	s_wait_xcnt 0x0
	v_cmpx_lt_u32_e32 27, v1
	s_cbranch_execz .LBB123_319
; %bb.318:
	scratch_load_b128 v[10:13], off, s49
	v_dual_mov_b32 v3, v2 :: v_dual_mov_b32 v4, v2
	v_mov_b32_e32 v5, v2
	scratch_store_b128 off, v[2:5], off offset:432
	s_wait_loadcnt 0x0
	ds_store_b128 v8, v[10:13]
.LBB123_319:
	s_wait_xcnt 0x0
	s_or_b32 exec_lo, exec_lo, s2
	s_wait_storecnt_dscnt 0x0
	s_barrier_signal -1
	s_barrier_wait -1
	s_clause 0x9
	scratch_load_b128 v[4:7], off, off offset:448
	scratch_load_b128 v[10:13], off, off offset:464
	scratch_load_b128 v[134:137], off, off offset:480
	scratch_load_b128 v[138:141], off, off offset:496
	scratch_load_b128 v[142:145], off, off offset:512
	scratch_load_b128 v[146:149], off, off offset:528
	scratch_load_b128 v[150:153], off, off offset:544
	scratch_load_b128 v[154:157], off, off offset:560
	scratch_load_b128 v[158:161], off, off offset:576
	scratch_load_b128 v[162:165], off, off offset:592
	ds_load_b128 v[166:169], v2 offset:1408
	ds_load_b128 v[174:177], v2 offset:1424
	s_clause 0x2
	scratch_load_b128 v[170:173], off, off offset:608
	scratch_load_b128 v[178:181], off, off offset:432
	;; [unrolled: 1-line block ×3, first 2 shown]
	s_mov_b32 s2, exec_lo
	s_wait_loadcnt_dscnt 0xc01
	v_mul_f64_e32 v[186:187], v[168:169], v[6:7]
	v_mul_f64_e32 v[190:191], v[166:167], v[6:7]
	s_wait_loadcnt_dscnt 0xb00
	v_mul_f64_e32 v[192:193], v[174:175], v[12:13]
	v_mul_f64_e32 v[12:13], v[176:177], v[12:13]
	s_delay_alu instid0(VALU_DEP_4) | instskip(NEXT) | instid1(VALU_DEP_4)
	v_fma_f64 v[194:195], v[166:167], v[4:5], -v[186:187]
	v_fmac_f64_e32 v[190:191], v[168:169], v[4:5]
	ds_load_b128 v[4:7], v2 offset:1440
	ds_load_b128 v[166:169], v2 offset:1456
	scratch_load_b128 v[186:189], off, off offset:640
	v_fmac_f64_e32 v[192:193], v[176:177], v[10:11]
	v_fma_f64 v[174:175], v[174:175], v[10:11], -v[12:13]
	scratch_load_b128 v[10:13], off, off offset:656
	s_wait_loadcnt_dscnt 0xc01
	v_mul_f64_e32 v[196:197], v[4:5], v[136:137]
	v_mul_f64_e32 v[136:137], v[6:7], v[136:137]
	v_add_f64_e32 v[176:177], 0, v[194:195]
	v_add_f64_e32 v[190:191], 0, v[190:191]
	s_wait_loadcnt_dscnt 0xb00
	v_mul_f64_e32 v[194:195], v[166:167], v[140:141]
	v_mul_f64_e32 v[140:141], v[168:169], v[140:141]
	v_fmac_f64_e32 v[196:197], v[6:7], v[134:135]
	v_fma_f64 v[198:199], v[4:5], v[134:135], -v[136:137]
	ds_load_b128 v[4:7], v2 offset:1472
	ds_load_b128 v[134:137], v2 offset:1488
	v_add_f64_e32 v[200:201], v[176:177], v[174:175]
	v_add_f64_e32 v[190:191], v[190:191], v[192:193]
	scratch_load_b128 v[174:177], off, off offset:672
	v_fmac_f64_e32 v[194:195], v[168:169], v[138:139]
	v_fma_f64 v[166:167], v[166:167], v[138:139], -v[140:141]
	scratch_load_b128 v[138:141], off, off offset:688
	s_wait_loadcnt_dscnt 0xc01
	v_mul_f64_e32 v[192:193], v[4:5], v[144:145]
	v_mul_f64_e32 v[144:145], v[6:7], v[144:145]
	v_add_f64_e32 v[168:169], v[200:201], v[198:199]
	v_add_f64_e32 v[190:191], v[190:191], v[196:197]
	s_wait_loadcnt_dscnt 0xb00
	v_mul_f64_e32 v[196:197], v[134:135], v[148:149]
	v_mul_f64_e32 v[148:149], v[136:137], v[148:149]
	v_fmac_f64_e32 v[192:193], v[6:7], v[142:143]
	v_fma_f64 v[198:199], v[4:5], v[142:143], -v[144:145]
	ds_load_b128 v[4:7], v2 offset:1504
	ds_load_b128 v[142:145], v2 offset:1520
	v_add_f64_e32 v[200:201], v[168:169], v[166:167]
	v_add_f64_e32 v[190:191], v[190:191], v[194:195]
	scratch_load_b128 v[166:169], off, off offset:704
	s_wait_loadcnt_dscnt 0xb01
	v_mul_f64_e32 v[194:195], v[4:5], v[152:153]
	v_mul_f64_e32 v[152:153], v[6:7], v[152:153]
	v_fmac_f64_e32 v[196:197], v[136:137], v[146:147]
	v_fma_f64 v[146:147], v[134:135], v[146:147], -v[148:149]
	scratch_load_b128 v[134:137], off, off offset:720
	v_add_f64_e32 v[148:149], v[200:201], v[198:199]
	v_add_f64_e32 v[190:191], v[190:191], v[192:193]
	s_wait_loadcnt_dscnt 0xb00
	v_mul_f64_e32 v[192:193], v[142:143], v[156:157]
	v_mul_f64_e32 v[156:157], v[144:145], v[156:157]
	v_fmac_f64_e32 v[194:195], v[6:7], v[150:151]
	v_fma_f64 v[198:199], v[4:5], v[150:151], -v[152:153]
	v_add_f64_e32 v[200:201], v[148:149], v[146:147]
	v_add_f64_e32 v[190:191], v[190:191], v[196:197]
	ds_load_b128 v[4:7], v2 offset:1536
	ds_load_b128 v[146:149], v2 offset:1552
	scratch_load_b128 v[150:153], off, off offset:736
	v_fmac_f64_e32 v[192:193], v[144:145], v[154:155]
	v_fma_f64 v[154:155], v[142:143], v[154:155], -v[156:157]
	scratch_load_b128 v[142:145], off, off offset:752
	s_wait_loadcnt_dscnt 0xc01
	v_mul_f64_e32 v[196:197], v[4:5], v[160:161]
	v_mul_f64_e32 v[160:161], v[6:7], v[160:161]
	v_add_f64_e32 v[156:157], v[200:201], v[198:199]
	v_add_f64_e32 v[190:191], v[190:191], v[194:195]
	s_wait_loadcnt_dscnt 0xb00
	v_mul_f64_e32 v[194:195], v[146:147], v[164:165]
	v_mul_f64_e32 v[164:165], v[148:149], v[164:165]
	v_fmac_f64_e32 v[196:197], v[6:7], v[158:159]
	v_fma_f64 v[198:199], v[4:5], v[158:159], -v[160:161]
	v_add_f64_e32 v[200:201], v[156:157], v[154:155]
	v_add_f64_e32 v[190:191], v[190:191], v[192:193]
	ds_load_b128 v[4:7], v2 offset:1568
	ds_load_b128 v[154:157], v2 offset:1584
	scratch_load_b128 v[158:161], off, off offset:768
	v_fmac_f64_e32 v[194:195], v[148:149], v[162:163]
	v_fma_f64 v[162:163], v[146:147], v[162:163], -v[164:165]
	scratch_load_b128 v[146:149], off, off offset:784
	s_wait_loadcnt_dscnt 0xc01
	v_mul_f64_e32 v[192:193], v[4:5], v[172:173]
	v_mul_f64_e32 v[172:173], v[6:7], v[172:173]
	;; [unrolled: 18-line block ×5, first 2 shown]
	v_add_f64_e32 v[184:185], v[200:201], v[198:199]
	v_add_f64_e32 v[190:191], v[190:191], v[196:197]
	s_wait_loadcnt_dscnt 0xa00
	v_mul_f64_e32 v[196:197], v[162:163], v[136:137]
	v_mul_f64_e32 v[136:137], v[164:165], v[136:137]
	v_fmac_f64_e32 v[192:193], v[6:7], v[166:167]
	v_fma_f64 v[198:199], v[4:5], v[166:167], -v[168:169]
	ds_load_b128 v[4:7], v2 offset:1696
	ds_load_b128 v[166:169], v2 offset:1712
	v_add_f64_e32 v[200:201], v[184:185], v[182:183]
	v_add_f64_e32 v[190:191], v[190:191], v[194:195]
	scratch_load_b128 v[182:185], off, off offset:896
	v_fmac_f64_e32 v[196:197], v[164:165], v[134:135]
	v_fma_f64 v[162:163], v[162:163], v[134:135], -v[136:137]
	scratch_load_b128 v[134:137], off, off offset:912
	s_wait_loadcnt_dscnt 0xb01
	v_mul_f64_e32 v[194:195], v[4:5], v[152:153]
	v_mul_f64_e32 v[152:153], v[6:7], v[152:153]
	v_add_f64_e32 v[164:165], v[200:201], v[198:199]
	v_add_f64_e32 v[190:191], v[190:191], v[192:193]
	s_wait_loadcnt_dscnt 0xa00
	v_mul_f64_e32 v[192:193], v[166:167], v[144:145]
	v_mul_f64_e32 v[144:145], v[168:169], v[144:145]
	v_fmac_f64_e32 v[194:195], v[6:7], v[150:151]
	v_fma_f64 v[198:199], v[4:5], v[150:151], -v[152:153]
	ds_load_b128 v[4:7], v2 offset:1728
	ds_load_b128 v[150:153], v2 offset:1744
	v_add_f64_e32 v[200:201], v[164:165], v[162:163]
	v_add_f64_e32 v[190:191], v[190:191], v[196:197]
	scratch_load_b128 v[162:165], off, off offset:928
	s_wait_loadcnt_dscnt 0xa01
	v_mul_f64_e32 v[196:197], v[4:5], v[160:161]
	v_mul_f64_e32 v[160:161], v[6:7], v[160:161]
	v_fmac_f64_e32 v[192:193], v[168:169], v[142:143]
	v_fma_f64 v[166:167], v[166:167], v[142:143], -v[144:145]
	scratch_load_b128 v[142:145], off, off offset:944
	v_add_f64_e32 v[168:169], v[200:201], v[198:199]
	v_add_f64_e32 v[190:191], v[190:191], v[194:195]
	s_wait_loadcnt_dscnt 0xa00
	v_mul_f64_e32 v[194:195], v[150:151], v[148:149]
	v_mul_f64_e32 v[148:149], v[152:153], v[148:149]
	v_fmac_f64_e32 v[196:197], v[6:7], v[158:159]
	v_fma_f64 v[198:199], v[4:5], v[158:159], -v[160:161]
	ds_load_b128 v[4:7], v2 offset:1760
	ds_load_b128 v[158:161], v2 offset:1776
	v_add_f64_e32 v[166:167], v[168:169], v[166:167]
	v_add_f64_e32 v[168:169], v[190:191], v[192:193]
	v_fmac_f64_e32 v[194:195], v[152:153], v[146:147]
	s_wait_loadcnt_dscnt 0x901
	v_mul_f64_e32 v[190:191], v[4:5], v[172:173]
	v_mul_f64_e32 v[172:173], v[6:7], v[172:173]
	v_fma_f64 v[146:147], v[150:151], v[146:147], -v[148:149]
	s_wait_loadcnt_dscnt 0x800
	v_mul_f64_e32 v[152:153], v[158:159], v[156:157]
	v_mul_f64_e32 v[156:157], v[160:161], v[156:157]
	v_add_f64_e32 v[148:149], v[166:167], v[198:199]
	v_add_f64_e32 v[150:151], v[168:169], v[196:197]
	v_fmac_f64_e32 v[190:191], v[6:7], v[170:171]
	v_fma_f64 v[166:167], v[4:5], v[170:171], -v[172:173]
	v_fmac_f64_e32 v[152:153], v[160:161], v[154:155]
	v_fma_f64 v[154:155], v[158:159], v[154:155], -v[156:157]
	v_add_f64_e32 v[168:169], v[148:149], v[146:147]
	v_add_f64_e32 v[150:151], v[150:151], v[194:195]
	ds_load_b128 v[4:7], v2 offset:1792
	ds_load_b128 v[146:149], v2 offset:1808
	s_wait_loadcnt_dscnt 0x701
	v_mul_f64_e32 v[170:171], v[4:5], v[188:189]
	v_mul_f64_e32 v[172:173], v[6:7], v[188:189]
	s_wait_loadcnt_dscnt 0x600
	v_mul_f64_e32 v[158:159], v[146:147], v[12:13]
	v_mul_f64_e32 v[12:13], v[148:149], v[12:13]
	v_add_f64_e32 v[156:157], v[168:169], v[166:167]
	v_add_f64_e32 v[150:151], v[150:151], v[190:191]
	v_fmac_f64_e32 v[170:171], v[6:7], v[186:187]
	v_fma_f64 v[160:161], v[4:5], v[186:187], -v[172:173]
	v_fmac_f64_e32 v[158:159], v[148:149], v[10:11]
	v_fma_f64 v[10:11], v[146:147], v[10:11], -v[12:13]
	v_add_f64_e32 v[154:155], v[156:157], v[154:155]
	v_add_f64_e32 v[156:157], v[150:151], v[152:153]
	ds_load_b128 v[4:7], v2 offset:1824
	ds_load_b128 v[150:153], v2 offset:1840
	s_wait_loadcnt_dscnt 0x501
	v_mul_f64_e32 v[166:167], v[4:5], v[176:177]
	v_mul_f64_e32 v[168:169], v[6:7], v[176:177]
	;; [unrolled: 16-line block ×4, first 2 shown]
	v_add_f64_e32 v[12:13], v[140:141], v[154:155]
	v_add_f64_e32 v[134:135], v[146:147], v[158:159]
	s_wait_loadcnt_dscnt 0x0
	v_mul_f64_e32 v[140:141], v[136:137], v[144:145]
	v_mul_f64_e32 v[144:145], v[138:139], v[144:145]
	v_fmac_f64_e32 v[2:3], v[6:7], v[162:163]
	v_fma_f64 v[4:5], v[4:5], v[162:163], -v[148:149]
	v_add_f64_e32 v[6:7], v[12:13], v[10:11]
	v_add_f64_e32 v[10:11], v[134:135], v[150:151]
	v_fmac_f64_e32 v[140:141], v[138:139], v[142:143]
	v_fma_f64 v[12:13], v[136:137], v[142:143], -v[144:145]
	s_delay_alu instid0(VALU_DEP_4) | instskip(NEXT) | instid1(VALU_DEP_4)
	v_add_f64_e32 v[4:5], v[6:7], v[4:5]
	v_add_f64_e32 v[2:3], v[10:11], v[2:3]
	s_delay_alu instid0(VALU_DEP_2) | instskip(NEXT) | instid1(VALU_DEP_2)
	v_add_f64_e32 v[4:5], v[4:5], v[12:13]
	v_add_f64_e32 v[6:7], v[2:3], v[140:141]
	s_delay_alu instid0(VALU_DEP_2) | instskip(NEXT) | instid1(VALU_DEP_2)
	v_add_f64_e64 v[2:3], v[178:179], -v[4:5]
	v_add_f64_e64 v[4:5], v[180:181], -v[6:7]
	scratch_store_b128 off, v[2:5], off offset:432
	s_wait_xcnt 0x0
	v_cmpx_lt_u32_e32 26, v1
	s_cbranch_execz .LBB123_321
; %bb.320:
	scratch_load_b128 v[2:5], off, s50
	v_mov_b32_e32 v10, 0
	s_delay_alu instid0(VALU_DEP_1)
	v_dual_mov_b32 v11, v10 :: v_dual_mov_b32 v12, v10
	v_mov_b32_e32 v13, v10
	scratch_store_b128 off, v[10:13], off offset:416
	s_wait_loadcnt 0x0
	ds_store_b128 v8, v[2:5]
.LBB123_321:
	s_wait_xcnt 0x0
	s_or_b32 exec_lo, exec_lo, s2
	s_wait_storecnt_dscnt 0x0
	s_barrier_signal -1
	s_barrier_wait -1
	s_clause 0x9
	scratch_load_b128 v[4:7], off, off offset:432
	scratch_load_b128 v[10:13], off, off offset:448
	;; [unrolled: 1-line block ×10, first 2 shown]
	v_mov_b32_e32 v2, 0
	s_mov_b32 s2, exec_lo
	ds_load_b128 v[166:169], v2 offset:1392
	s_clause 0x2
	scratch_load_b128 v[170:173], off, off offset:592
	scratch_load_b128 v[174:177], off, off offset:416
	;; [unrolled: 1-line block ×3, first 2 shown]
	s_wait_loadcnt_dscnt 0xc00
	v_mul_f64_e32 v[186:187], v[168:169], v[6:7]
	v_mul_f64_e32 v[190:191], v[166:167], v[6:7]
	ds_load_b128 v[178:181], v2 offset:1408
	v_fma_f64 v[194:195], v[166:167], v[4:5], -v[186:187]
	v_fmac_f64_e32 v[190:191], v[168:169], v[4:5]
	ds_load_b128 v[4:7], v2 offset:1424
	s_wait_loadcnt_dscnt 0xb01
	v_mul_f64_e32 v[192:193], v[178:179], v[12:13]
	v_mul_f64_e32 v[12:13], v[180:181], v[12:13]
	scratch_load_b128 v[166:169], off, off offset:624
	ds_load_b128 v[186:189], v2 offset:1440
	s_wait_loadcnt_dscnt 0xb01
	v_mul_f64_e32 v[196:197], v[4:5], v[136:137]
	v_mul_f64_e32 v[136:137], v[6:7], v[136:137]
	v_add_f64_e32 v[190:191], 0, v[190:191]
	v_fmac_f64_e32 v[192:193], v[180:181], v[10:11]
	v_fma_f64 v[178:179], v[178:179], v[10:11], -v[12:13]
	v_add_f64_e32 v[180:181], 0, v[194:195]
	scratch_load_b128 v[10:13], off, off offset:640
	v_fmac_f64_e32 v[196:197], v[6:7], v[134:135]
	v_fma_f64 v[198:199], v[4:5], v[134:135], -v[136:137]
	ds_load_b128 v[4:7], v2 offset:1456
	s_wait_loadcnt_dscnt 0xb01
	v_mul_f64_e32 v[194:195], v[186:187], v[140:141]
	v_mul_f64_e32 v[140:141], v[188:189], v[140:141]
	scratch_load_b128 v[134:137], off, off offset:656
	v_add_f64_e32 v[190:191], v[190:191], v[192:193]
	v_add_f64_e32 v[200:201], v[180:181], v[178:179]
	ds_load_b128 v[178:181], v2 offset:1472
	s_wait_loadcnt_dscnt 0xb01
	v_mul_f64_e32 v[192:193], v[4:5], v[144:145]
	v_mul_f64_e32 v[144:145], v[6:7], v[144:145]
	v_fmac_f64_e32 v[194:195], v[188:189], v[138:139]
	v_fma_f64 v[186:187], v[186:187], v[138:139], -v[140:141]
	scratch_load_b128 v[138:141], off, off offset:672
	v_add_f64_e32 v[190:191], v[190:191], v[196:197]
	v_add_f64_e32 v[188:189], v[200:201], v[198:199]
	v_fmac_f64_e32 v[192:193], v[6:7], v[142:143]
	v_fma_f64 v[198:199], v[4:5], v[142:143], -v[144:145]
	ds_load_b128 v[4:7], v2 offset:1488
	s_wait_loadcnt_dscnt 0xb01
	v_mul_f64_e32 v[196:197], v[178:179], v[148:149]
	v_mul_f64_e32 v[148:149], v[180:181], v[148:149]
	scratch_load_b128 v[142:145], off, off offset:688
	v_add_f64_e32 v[190:191], v[190:191], v[194:195]
	s_wait_loadcnt_dscnt 0xb00
	v_mul_f64_e32 v[194:195], v[4:5], v[152:153]
	v_add_f64_e32 v[200:201], v[188:189], v[186:187]
	v_mul_f64_e32 v[152:153], v[6:7], v[152:153]
	ds_load_b128 v[186:189], v2 offset:1504
	v_fmac_f64_e32 v[196:197], v[180:181], v[146:147]
	v_fma_f64 v[178:179], v[178:179], v[146:147], -v[148:149]
	scratch_load_b128 v[146:149], off, off offset:704
	v_add_f64_e32 v[190:191], v[190:191], v[192:193]
	v_fmac_f64_e32 v[194:195], v[6:7], v[150:151]
	v_add_f64_e32 v[180:181], v[200:201], v[198:199]
	v_fma_f64 v[198:199], v[4:5], v[150:151], -v[152:153]
	ds_load_b128 v[4:7], v2 offset:1520
	s_wait_loadcnt_dscnt 0xb01
	v_mul_f64_e32 v[192:193], v[186:187], v[156:157]
	v_mul_f64_e32 v[156:157], v[188:189], v[156:157]
	scratch_load_b128 v[150:153], off, off offset:720
	v_add_f64_e32 v[190:191], v[190:191], v[196:197]
	s_wait_loadcnt_dscnt 0xb00
	v_mul_f64_e32 v[196:197], v[4:5], v[160:161]
	v_add_f64_e32 v[200:201], v[180:181], v[178:179]
	v_mul_f64_e32 v[160:161], v[6:7], v[160:161]
	ds_load_b128 v[178:181], v2 offset:1536
	v_fmac_f64_e32 v[192:193], v[188:189], v[154:155]
	v_fma_f64 v[186:187], v[186:187], v[154:155], -v[156:157]
	scratch_load_b128 v[154:157], off, off offset:736
	v_add_f64_e32 v[190:191], v[190:191], v[194:195]
	v_fmac_f64_e32 v[196:197], v[6:7], v[158:159]
	v_add_f64_e32 v[188:189], v[200:201], v[198:199]
	;; [unrolled: 18-line block ×3, first 2 shown]
	v_fma_f64 v[198:199], v[4:5], v[170:171], -v[172:173]
	ds_load_b128 v[4:7], v2 offset:1584
	s_wait_loadcnt_dscnt 0xa01
	v_mul_f64_e32 v[196:197], v[186:187], v[184:185]
	v_mul_f64_e32 v[184:185], v[188:189], v[184:185]
	scratch_load_b128 v[170:173], off, off offset:784
	v_add_f64_e32 v[190:191], v[190:191], v[194:195]
	v_add_f64_e32 v[200:201], v[180:181], v[178:179]
	s_wait_loadcnt_dscnt 0xa00
	v_mul_f64_e32 v[194:195], v[4:5], v[168:169]
	v_mul_f64_e32 v[168:169], v[6:7], v[168:169]
	v_fmac_f64_e32 v[196:197], v[188:189], v[182:183]
	v_fma_f64 v[186:187], v[186:187], v[182:183], -v[184:185]
	ds_load_b128 v[178:181], v2 offset:1600
	scratch_load_b128 v[182:185], off, off offset:800
	v_add_f64_e32 v[190:191], v[190:191], v[192:193]
	v_add_f64_e32 v[188:189], v[200:201], v[198:199]
	v_fmac_f64_e32 v[194:195], v[6:7], v[166:167]
	v_fma_f64 v[198:199], v[4:5], v[166:167], -v[168:169]
	ds_load_b128 v[4:7], v2 offset:1616
	s_wait_loadcnt_dscnt 0xa01
	v_mul_f64_e32 v[192:193], v[178:179], v[12:13]
	v_mul_f64_e32 v[12:13], v[180:181], v[12:13]
	scratch_load_b128 v[166:169], off, off offset:816
	v_add_f64_e32 v[190:191], v[190:191], v[196:197]
	s_wait_loadcnt_dscnt 0xa00
	v_mul_f64_e32 v[196:197], v[4:5], v[136:137]
	v_add_f64_e32 v[200:201], v[188:189], v[186:187]
	v_mul_f64_e32 v[136:137], v[6:7], v[136:137]
	ds_load_b128 v[186:189], v2 offset:1632
	v_fmac_f64_e32 v[192:193], v[180:181], v[10:11]
	v_fma_f64 v[178:179], v[178:179], v[10:11], -v[12:13]
	scratch_load_b128 v[10:13], off, off offset:832
	v_add_f64_e32 v[190:191], v[190:191], v[194:195]
	v_fmac_f64_e32 v[196:197], v[6:7], v[134:135]
	v_add_f64_e32 v[180:181], v[200:201], v[198:199]
	v_fma_f64 v[198:199], v[4:5], v[134:135], -v[136:137]
	ds_load_b128 v[4:7], v2 offset:1648
	s_wait_loadcnt_dscnt 0xa01
	v_mul_f64_e32 v[194:195], v[186:187], v[140:141]
	v_mul_f64_e32 v[140:141], v[188:189], v[140:141]
	scratch_load_b128 v[134:137], off, off offset:848
	v_add_f64_e32 v[190:191], v[190:191], v[192:193]
	s_wait_loadcnt_dscnt 0xa00
	v_mul_f64_e32 v[192:193], v[4:5], v[144:145]
	v_add_f64_e32 v[200:201], v[180:181], v[178:179]
	v_mul_f64_e32 v[144:145], v[6:7], v[144:145]
	ds_load_b128 v[178:181], v2 offset:1664
	v_fmac_f64_e32 v[194:195], v[188:189], v[138:139]
	v_fma_f64 v[186:187], v[186:187], v[138:139], -v[140:141]
	scratch_load_b128 v[138:141], off, off offset:864
	v_add_f64_e32 v[190:191], v[190:191], v[196:197]
	v_fmac_f64_e32 v[192:193], v[6:7], v[142:143]
	v_add_f64_e32 v[188:189], v[200:201], v[198:199]
	;; [unrolled: 18-line block ×4, first 2 shown]
	v_fma_f64 v[198:199], v[4:5], v[158:159], -v[160:161]
	ds_load_b128 v[4:7], v2 offset:1744
	s_wait_loadcnt_dscnt 0xa01
	v_mul_f64_e32 v[194:195], v[178:179], v[164:165]
	v_mul_f64_e32 v[164:165], v[180:181], v[164:165]
	scratch_load_b128 v[158:161], off, off offset:944
	v_add_f64_e32 v[190:191], v[190:191], v[192:193]
	s_wait_loadcnt_dscnt 0xa00
	v_mul_f64_e32 v[192:193], v[4:5], v[172:173]
	v_add_f64_e32 v[200:201], v[188:189], v[186:187]
	v_mul_f64_e32 v[172:173], v[6:7], v[172:173]
	ds_load_b128 v[186:189], v2 offset:1760
	v_fmac_f64_e32 v[194:195], v[180:181], v[162:163]
	v_fma_f64 v[162:163], v[178:179], v[162:163], -v[164:165]
	s_wait_loadcnt_dscnt 0x900
	v_mul_f64_e32 v[180:181], v[186:187], v[184:185]
	v_mul_f64_e32 v[184:185], v[188:189], v[184:185]
	v_add_f64_e32 v[178:179], v[190:191], v[196:197]
	v_fmac_f64_e32 v[192:193], v[6:7], v[170:171]
	v_add_f64_e32 v[164:165], v[200:201], v[198:199]
	v_fma_f64 v[170:171], v[4:5], v[170:171], -v[172:173]
	v_fmac_f64_e32 v[180:181], v[188:189], v[182:183]
	v_fma_f64 v[182:183], v[186:187], v[182:183], -v[184:185]
	v_add_f64_e32 v[178:179], v[178:179], v[194:195]
	v_add_f64_e32 v[172:173], v[164:165], v[162:163]
	ds_load_b128 v[4:7], v2 offset:1776
	ds_load_b128 v[162:165], v2 offset:1792
	s_wait_loadcnt_dscnt 0x801
	v_mul_f64_e32 v[190:191], v[4:5], v[168:169]
	v_mul_f64_e32 v[168:169], v[6:7], v[168:169]
	v_add_f64_e32 v[170:171], v[172:173], v[170:171]
	v_add_f64_e32 v[172:173], v[178:179], v[192:193]
	s_wait_loadcnt_dscnt 0x700
	v_mul_f64_e32 v[178:179], v[162:163], v[12:13]
	v_mul_f64_e32 v[12:13], v[164:165], v[12:13]
	v_fmac_f64_e32 v[190:191], v[6:7], v[166:167]
	v_fma_f64 v[184:185], v[4:5], v[166:167], -v[168:169]
	ds_load_b128 v[4:7], v2 offset:1808
	ds_load_b128 v[166:169], v2 offset:1824
	v_add_f64_e32 v[170:171], v[170:171], v[182:183]
	v_add_f64_e32 v[172:173], v[172:173], v[180:181]
	v_fmac_f64_e32 v[178:179], v[164:165], v[10:11]
	v_fma_f64 v[10:11], v[162:163], v[10:11], -v[12:13]
	s_wait_loadcnt_dscnt 0x601
	v_mul_f64_e32 v[180:181], v[4:5], v[136:137]
	v_mul_f64_e32 v[136:137], v[6:7], v[136:137]
	s_wait_loadcnt_dscnt 0x500
	v_mul_f64_e32 v[164:165], v[166:167], v[140:141]
	v_mul_f64_e32 v[140:141], v[168:169], v[140:141]
	v_add_f64_e32 v[12:13], v[170:171], v[184:185]
	v_add_f64_e32 v[162:163], v[172:173], v[190:191]
	v_fmac_f64_e32 v[180:181], v[6:7], v[134:135]
	v_fma_f64 v[134:135], v[4:5], v[134:135], -v[136:137]
	v_fmac_f64_e32 v[164:165], v[168:169], v[138:139]
	v_fma_f64 v[138:139], v[166:167], v[138:139], -v[140:141]
	v_add_f64_e32 v[136:137], v[12:13], v[10:11]
	v_add_f64_e32 v[162:163], v[162:163], v[178:179]
	ds_load_b128 v[4:7], v2 offset:1840
	ds_load_b128 v[10:13], v2 offset:1856
	s_wait_loadcnt_dscnt 0x401
	v_mul_f64_e32 v[170:171], v[4:5], v[144:145]
	v_mul_f64_e32 v[144:145], v[6:7], v[144:145]
	s_wait_loadcnt_dscnt 0x300
	v_mul_f64_e32 v[140:141], v[10:11], v[148:149]
	v_mul_f64_e32 v[148:149], v[12:13], v[148:149]
	v_add_f64_e32 v[134:135], v[136:137], v[134:135]
	v_add_f64_e32 v[136:137], v[162:163], v[180:181]
	v_fmac_f64_e32 v[170:171], v[6:7], v[142:143]
	v_fma_f64 v[142:143], v[4:5], v[142:143], -v[144:145]
	v_fmac_f64_e32 v[140:141], v[12:13], v[146:147]
	v_fma_f64 v[10:11], v[10:11], v[146:147], -v[148:149]
	v_add_f64_e32 v[138:139], v[134:135], v[138:139]
	v_add_f64_e32 v[144:145], v[136:137], v[164:165]
	ds_load_b128 v[4:7], v2 offset:1872
	ds_load_b128 v[134:137], v2 offset:1888
	s_wait_loadcnt_dscnt 0x201
	v_mul_f64_e32 v[162:163], v[4:5], v[152:153]
	v_mul_f64_e32 v[152:153], v[6:7], v[152:153]
	v_add_f64_e32 v[12:13], v[138:139], v[142:143]
	v_add_f64_e32 v[138:139], v[144:145], v[170:171]
	s_wait_loadcnt_dscnt 0x100
	v_mul_f64_e32 v[142:143], v[134:135], v[156:157]
	v_mul_f64_e32 v[144:145], v[136:137], v[156:157]
	v_fmac_f64_e32 v[162:163], v[6:7], v[150:151]
	v_fma_f64 v[146:147], v[4:5], v[150:151], -v[152:153]
	ds_load_b128 v[4:7], v2 offset:1904
	v_add_f64_e32 v[10:11], v[12:13], v[10:11]
	v_add_f64_e32 v[12:13], v[138:139], v[140:141]
	v_fmac_f64_e32 v[142:143], v[136:137], v[154:155]
	v_fma_f64 v[134:135], v[134:135], v[154:155], -v[144:145]
	s_wait_loadcnt_dscnt 0x0
	v_mul_f64_e32 v[138:139], v[4:5], v[160:161]
	v_mul_f64_e32 v[140:141], v[6:7], v[160:161]
	v_add_f64_e32 v[10:11], v[10:11], v[146:147]
	v_add_f64_e32 v[12:13], v[12:13], v[162:163]
	s_delay_alu instid0(VALU_DEP_4) | instskip(NEXT) | instid1(VALU_DEP_4)
	v_fmac_f64_e32 v[138:139], v[6:7], v[158:159]
	v_fma_f64 v[4:5], v[4:5], v[158:159], -v[140:141]
	s_delay_alu instid0(VALU_DEP_4) | instskip(NEXT) | instid1(VALU_DEP_4)
	v_add_f64_e32 v[6:7], v[10:11], v[134:135]
	v_add_f64_e32 v[10:11], v[12:13], v[142:143]
	s_delay_alu instid0(VALU_DEP_2) | instskip(NEXT) | instid1(VALU_DEP_2)
	v_add_f64_e32 v[4:5], v[6:7], v[4:5]
	v_add_f64_e32 v[6:7], v[10:11], v[138:139]
	s_delay_alu instid0(VALU_DEP_2) | instskip(NEXT) | instid1(VALU_DEP_2)
	v_add_f64_e64 v[4:5], v[174:175], -v[4:5]
	v_add_f64_e64 v[6:7], v[176:177], -v[6:7]
	scratch_store_b128 off, v[4:7], off offset:416
	s_wait_xcnt 0x0
	v_cmpx_lt_u32_e32 25, v1
	s_cbranch_execz .LBB123_323
; %bb.322:
	scratch_load_b128 v[10:13], off, s51
	v_dual_mov_b32 v3, v2 :: v_dual_mov_b32 v4, v2
	v_mov_b32_e32 v5, v2
	scratch_store_b128 off, v[2:5], off offset:400
	s_wait_loadcnt 0x0
	ds_store_b128 v8, v[10:13]
.LBB123_323:
	s_wait_xcnt 0x0
	s_or_b32 exec_lo, exec_lo, s2
	s_wait_storecnt_dscnt 0x0
	s_barrier_signal -1
	s_barrier_wait -1
	s_clause 0x9
	scratch_load_b128 v[4:7], off, off offset:416
	scratch_load_b128 v[10:13], off, off offset:432
	;; [unrolled: 1-line block ×10, first 2 shown]
	ds_load_b128 v[166:169], v2 offset:1376
	ds_load_b128 v[174:177], v2 offset:1392
	s_clause 0x2
	scratch_load_b128 v[170:173], off, off offset:576
	scratch_load_b128 v[178:181], off, off offset:400
	;; [unrolled: 1-line block ×3, first 2 shown]
	s_mov_b32 s2, exec_lo
	s_wait_loadcnt_dscnt 0xc01
	v_mul_f64_e32 v[186:187], v[168:169], v[6:7]
	v_mul_f64_e32 v[190:191], v[166:167], v[6:7]
	s_wait_loadcnt_dscnt 0xb00
	v_mul_f64_e32 v[192:193], v[174:175], v[12:13]
	v_mul_f64_e32 v[12:13], v[176:177], v[12:13]
	s_delay_alu instid0(VALU_DEP_4) | instskip(NEXT) | instid1(VALU_DEP_4)
	v_fma_f64 v[194:195], v[166:167], v[4:5], -v[186:187]
	v_fmac_f64_e32 v[190:191], v[168:169], v[4:5]
	ds_load_b128 v[4:7], v2 offset:1408
	ds_load_b128 v[166:169], v2 offset:1424
	scratch_load_b128 v[186:189], off, off offset:608
	v_fmac_f64_e32 v[192:193], v[176:177], v[10:11]
	v_fma_f64 v[174:175], v[174:175], v[10:11], -v[12:13]
	scratch_load_b128 v[10:13], off, off offset:624
	s_wait_loadcnt_dscnt 0xc01
	v_mul_f64_e32 v[196:197], v[4:5], v[136:137]
	v_mul_f64_e32 v[136:137], v[6:7], v[136:137]
	v_add_f64_e32 v[176:177], 0, v[194:195]
	v_add_f64_e32 v[190:191], 0, v[190:191]
	s_wait_loadcnt_dscnt 0xb00
	v_mul_f64_e32 v[194:195], v[166:167], v[140:141]
	v_mul_f64_e32 v[140:141], v[168:169], v[140:141]
	v_fmac_f64_e32 v[196:197], v[6:7], v[134:135]
	v_fma_f64 v[198:199], v[4:5], v[134:135], -v[136:137]
	ds_load_b128 v[4:7], v2 offset:1440
	ds_load_b128 v[134:137], v2 offset:1456
	v_add_f64_e32 v[200:201], v[176:177], v[174:175]
	v_add_f64_e32 v[190:191], v[190:191], v[192:193]
	scratch_load_b128 v[174:177], off, off offset:640
	v_fmac_f64_e32 v[194:195], v[168:169], v[138:139]
	v_fma_f64 v[166:167], v[166:167], v[138:139], -v[140:141]
	scratch_load_b128 v[138:141], off, off offset:656
	s_wait_loadcnt_dscnt 0xc01
	v_mul_f64_e32 v[192:193], v[4:5], v[144:145]
	v_mul_f64_e32 v[144:145], v[6:7], v[144:145]
	v_add_f64_e32 v[168:169], v[200:201], v[198:199]
	v_add_f64_e32 v[190:191], v[190:191], v[196:197]
	s_wait_loadcnt_dscnt 0xb00
	v_mul_f64_e32 v[196:197], v[134:135], v[148:149]
	v_mul_f64_e32 v[148:149], v[136:137], v[148:149]
	v_fmac_f64_e32 v[192:193], v[6:7], v[142:143]
	v_fma_f64 v[198:199], v[4:5], v[142:143], -v[144:145]
	ds_load_b128 v[4:7], v2 offset:1472
	ds_load_b128 v[142:145], v2 offset:1488
	v_add_f64_e32 v[200:201], v[168:169], v[166:167]
	v_add_f64_e32 v[190:191], v[190:191], v[194:195]
	scratch_load_b128 v[166:169], off, off offset:672
	s_wait_loadcnt_dscnt 0xb01
	v_mul_f64_e32 v[194:195], v[4:5], v[152:153]
	v_mul_f64_e32 v[152:153], v[6:7], v[152:153]
	v_fmac_f64_e32 v[196:197], v[136:137], v[146:147]
	v_fma_f64 v[146:147], v[134:135], v[146:147], -v[148:149]
	scratch_load_b128 v[134:137], off, off offset:688
	v_add_f64_e32 v[148:149], v[200:201], v[198:199]
	v_add_f64_e32 v[190:191], v[190:191], v[192:193]
	s_wait_loadcnt_dscnt 0xb00
	v_mul_f64_e32 v[192:193], v[142:143], v[156:157]
	v_mul_f64_e32 v[156:157], v[144:145], v[156:157]
	v_fmac_f64_e32 v[194:195], v[6:7], v[150:151]
	v_fma_f64 v[198:199], v[4:5], v[150:151], -v[152:153]
	v_add_f64_e32 v[200:201], v[148:149], v[146:147]
	v_add_f64_e32 v[190:191], v[190:191], v[196:197]
	ds_load_b128 v[4:7], v2 offset:1504
	ds_load_b128 v[146:149], v2 offset:1520
	scratch_load_b128 v[150:153], off, off offset:704
	v_fmac_f64_e32 v[192:193], v[144:145], v[154:155]
	v_fma_f64 v[154:155], v[142:143], v[154:155], -v[156:157]
	scratch_load_b128 v[142:145], off, off offset:720
	s_wait_loadcnt_dscnt 0xc01
	v_mul_f64_e32 v[196:197], v[4:5], v[160:161]
	v_mul_f64_e32 v[160:161], v[6:7], v[160:161]
	v_add_f64_e32 v[156:157], v[200:201], v[198:199]
	v_add_f64_e32 v[190:191], v[190:191], v[194:195]
	s_wait_loadcnt_dscnt 0xb00
	v_mul_f64_e32 v[194:195], v[146:147], v[164:165]
	v_mul_f64_e32 v[164:165], v[148:149], v[164:165]
	v_fmac_f64_e32 v[196:197], v[6:7], v[158:159]
	v_fma_f64 v[198:199], v[4:5], v[158:159], -v[160:161]
	v_add_f64_e32 v[200:201], v[156:157], v[154:155]
	v_add_f64_e32 v[190:191], v[190:191], v[192:193]
	ds_load_b128 v[4:7], v2 offset:1536
	ds_load_b128 v[154:157], v2 offset:1552
	scratch_load_b128 v[158:161], off, off offset:736
	v_fmac_f64_e32 v[194:195], v[148:149], v[162:163]
	v_fma_f64 v[162:163], v[146:147], v[162:163], -v[164:165]
	scratch_load_b128 v[146:149], off, off offset:752
	s_wait_loadcnt_dscnt 0xc01
	v_mul_f64_e32 v[192:193], v[4:5], v[172:173]
	v_mul_f64_e32 v[172:173], v[6:7], v[172:173]
	;; [unrolled: 18-line block ×5, first 2 shown]
	v_add_f64_e32 v[184:185], v[200:201], v[198:199]
	v_add_f64_e32 v[190:191], v[190:191], v[196:197]
	s_wait_loadcnt_dscnt 0xa00
	v_mul_f64_e32 v[196:197], v[162:163], v[136:137]
	v_mul_f64_e32 v[136:137], v[164:165], v[136:137]
	v_fmac_f64_e32 v[192:193], v[6:7], v[166:167]
	v_fma_f64 v[198:199], v[4:5], v[166:167], -v[168:169]
	ds_load_b128 v[4:7], v2 offset:1664
	ds_load_b128 v[166:169], v2 offset:1680
	v_add_f64_e32 v[200:201], v[184:185], v[182:183]
	v_add_f64_e32 v[190:191], v[190:191], v[194:195]
	scratch_load_b128 v[182:185], off, off offset:864
	v_fmac_f64_e32 v[196:197], v[164:165], v[134:135]
	v_fma_f64 v[162:163], v[162:163], v[134:135], -v[136:137]
	scratch_load_b128 v[134:137], off, off offset:880
	s_wait_loadcnt_dscnt 0xb01
	v_mul_f64_e32 v[194:195], v[4:5], v[152:153]
	v_mul_f64_e32 v[152:153], v[6:7], v[152:153]
	v_add_f64_e32 v[164:165], v[200:201], v[198:199]
	v_add_f64_e32 v[190:191], v[190:191], v[192:193]
	s_wait_loadcnt_dscnt 0xa00
	v_mul_f64_e32 v[192:193], v[166:167], v[144:145]
	v_mul_f64_e32 v[144:145], v[168:169], v[144:145]
	v_fmac_f64_e32 v[194:195], v[6:7], v[150:151]
	v_fma_f64 v[198:199], v[4:5], v[150:151], -v[152:153]
	ds_load_b128 v[4:7], v2 offset:1696
	ds_load_b128 v[150:153], v2 offset:1712
	v_add_f64_e32 v[200:201], v[164:165], v[162:163]
	v_add_f64_e32 v[190:191], v[190:191], v[196:197]
	scratch_load_b128 v[162:165], off, off offset:896
	s_wait_loadcnt_dscnt 0xa01
	v_mul_f64_e32 v[196:197], v[4:5], v[160:161]
	v_mul_f64_e32 v[160:161], v[6:7], v[160:161]
	v_fmac_f64_e32 v[192:193], v[168:169], v[142:143]
	v_fma_f64 v[166:167], v[166:167], v[142:143], -v[144:145]
	scratch_load_b128 v[142:145], off, off offset:912
	v_add_f64_e32 v[168:169], v[200:201], v[198:199]
	v_add_f64_e32 v[190:191], v[190:191], v[194:195]
	s_wait_loadcnt_dscnt 0xa00
	v_mul_f64_e32 v[194:195], v[150:151], v[148:149]
	v_mul_f64_e32 v[148:149], v[152:153], v[148:149]
	v_fmac_f64_e32 v[196:197], v[6:7], v[158:159]
	v_fma_f64 v[198:199], v[4:5], v[158:159], -v[160:161]
	ds_load_b128 v[4:7], v2 offset:1728
	ds_load_b128 v[158:161], v2 offset:1744
	v_add_f64_e32 v[200:201], v[168:169], v[166:167]
	v_add_f64_e32 v[190:191], v[190:191], v[192:193]
	scratch_load_b128 v[166:169], off, off offset:928
	s_wait_loadcnt_dscnt 0xa01
	v_mul_f64_e32 v[192:193], v[4:5], v[172:173]
	v_mul_f64_e32 v[172:173], v[6:7], v[172:173]
	v_fmac_f64_e32 v[194:195], v[152:153], v[146:147]
	v_fma_f64 v[150:151], v[150:151], v[146:147], -v[148:149]
	scratch_load_b128 v[146:149], off, off offset:944
	v_add_f64_e32 v[152:153], v[200:201], v[198:199]
	v_add_f64_e32 v[190:191], v[190:191], v[196:197]
	s_wait_loadcnt_dscnt 0xa00
	v_mul_f64_e32 v[196:197], v[158:159], v[156:157]
	v_mul_f64_e32 v[156:157], v[160:161], v[156:157]
	v_fmac_f64_e32 v[192:193], v[6:7], v[170:171]
	v_fma_f64 v[170:171], v[4:5], v[170:171], -v[172:173]
	v_add_f64_e32 v[172:173], v[152:153], v[150:151]
	v_add_f64_e32 v[190:191], v[190:191], v[194:195]
	ds_load_b128 v[4:7], v2 offset:1760
	ds_load_b128 v[150:153], v2 offset:1776
	v_fmac_f64_e32 v[196:197], v[160:161], v[154:155]
	v_fma_f64 v[154:155], v[158:159], v[154:155], -v[156:157]
	s_wait_loadcnt_dscnt 0x901
	v_mul_f64_e32 v[194:195], v[4:5], v[188:189]
	v_mul_f64_e32 v[188:189], v[6:7], v[188:189]
	s_wait_loadcnt_dscnt 0x800
	v_mul_f64_e32 v[160:161], v[150:151], v[12:13]
	v_mul_f64_e32 v[12:13], v[152:153], v[12:13]
	v_add_f64_e32 v[156:157], v[172:173], v[170:171]
	v_add_f64_e32 v[158:159], v[190:191], v[192:193]
	v_fmac_f64_e32 v[194:195], v[6:7], v[186:187]
	v_fma_f64 v[170:171], v[4:5], v[186:187], -v[188:189]
	v_fmac_f64_e32 v[160:161], v[152:153], v[10:11]
	v_fma_f64 v[10:11], v[150:151], v[10:11], -v[12:13]
	v_add_f64_e32 v[172:173], v[156:157], v[154:155]
	v_add_f64_e32 v[158:159], v[158:159], v[196:197]
	ds_load_b128 v[4:7], v2 offset:1792
	ds_load_b128 v[154:157], v2 offset:1808
	s_wait_loadcnt_dscnt 0x701
	v_mul_f64_e32 v[186:187], v[4:5], v[176:177]
	v_mul_f64_e32 v[176:177], v[6:7], v[176:177]
	s_wait_loadcnt_dscnt 0x600
	v_mul_f64_e32 v[152:153], v[154:155], v[140:141]
	v_mul_f64_e32 v[140:141], v[156:157], v[140:141]
	v_add_f64_e32 v[12:13], v[172:173], v[170:171]
	v_add_f64_e32 v[150:151], v[158:159], v[194:195]
	v_fmac_f64_e32 v[186:187], v[6:7], v[174:175]
	v_fma_f64 v[158:159], v[4:5], v[174:175], -v[176:177]
	v_fmac_f64_e32 v[152:153], v[156:157], v[138:139]
	v_fma_f64 v[138:139], v[154:155], v[138:139], -v[140:141]
	v_add_f64_e32 v[170:171], v[12:13], v[10:11]
	v_add_f64_e32 v[150:151], v[150:151], v[160:161]
	ds_load_b128 v[4:7], v2 offset:1824
	ds_load_b128 v[10:13], v2 offset:1840
	s_wait_loadcnt_dscnt 0x501
	v_mul_f64_e32 v[160:161], v[4:5], v[184:185]
	v_mul_f64_e32 v[172:173], v[6:7], v[184:185]
	s_wait_loadcnt_dscnt 0x400
	v_mul_f64_e32 v[154:155], v[10:11], v[136:137]
	v_mul_f64_e32 v[156:157], v[12:13], v[136:137]
	v_add_f64_e32 v[140:141], v[170:171], v[158:159]
	v_add_f64_e32 v[150:151], v[150:151], v[186:187]
	v_fmac_f64_e32 v[160:161], v[6:7], v[182:183]
	v_fma_f64 v[158:159], v[4:5], v[182:183], -v[172:173]
	v_fmac_f64_e32 v[154:155], v[12:13], v[134:135]
	v_fma_f64 v[10:11], v[10:11], v[134:135], -v[156:157]
	v_add_f64_e32 v[140:141], v[140:141], v[138:139]
	v_add_f64_e32 v[150:151], v[150:151], v[152:153]
	ds_load_b128 v[4:7], v2 offset:1856
	ds_load_b128 v[136:139], v2 offset:1872
	s_wait_loadcnt_dscnt 0x301
	v_mul_f64_e32 v[152:153], v[4:5], v[164:165]
	v_mul_f64_e32 v[164:165], v[6:7], v[164:165]
	v_add_f64_e32 v[12:13], v[140:141], v[158:159]
	v_add_f64_e32 v[134:135], v[150:151], v[160:161]
	s_wait_loadcnt_dscnt 0x200
	v_mul_f64_e32 v[140:141], v[136:137], v[144:145]
	v_mul_f64_e32 v[144:145], v[138:139], v[144:145]
	v_fmac_f64_e32 v[152:153], v[6:7], v[162:163]
	v_fma_f64 v[150:151], v[4:5], v[162:163], -v[164:165]
	v_add_f64_e32 v[156:157], v[12:13], v[10:11]
	v_add_f64_e32 v[134:135], v[134:135], v[154:155]
	ds_load_b128 v[4:7], v2 offset:1888
	ds_load_b128 v[10:13], v2 offset:1904
	v_fmac_f64_e32 v[140:141], v[138:139], v[142:143]
	v_fma_f64 v[136:137], v[136:137], v[142:143], -v[144:145]
	s_wait_loadcnt_dscnt 0x101
	v_mul_f64_e32 v[2:3], v[4:5], v[168:169]
	v_mul_f64_e32 v[154:155], v[6:7], v[168:169]
	s_wait_loadcnt_dscnt 0x0
	v_mul_f64_e32 v[142:143], v[10:11], v[148:149]
	v_mul_f64_e32 v[144:145], v[12:13], v[148:149]
	v_add_f64_e32 v[138:139], v[156:157], v[150:151]
	v_add_f64_e32 v[134:135], v[134:135], v[152:153]
	v_fmac_f64_e32 v[2:3], v[6:7], v[166:167]
	v_fma_f64 v[4:5], v[4:5], v[166:167], -v[154:155]
	v_fmac_f64_e32 v[142:143], v[12:13], v[146:147]
	v_fma_f64 v[10:11], v[10:11], v[146:147], -v[144:145]
	v_add_f64_e32 v[6:7], v[138:139], v[136:137]
	v_add_f64_e32 v[134:135], v[134:135], v[140:141]
	s_delay_alu instid0(VALU_DEP_2) | instskip(NEXT) | instid1(VALU_DEP_2)
	v_add_f64_e32 v[4:5], v[6:7], v[4:5]
	v_add_f64_e32 v[2:3], v[134:135], v[2:3]
	s_delay_alu instid0(VALU_DEP_2) | instskip(NEXT) | instid1(VALU_DEP_2)
	;; [unrolled: 3-line block ×3, first 2 shown]
	v_add_f64_e64 v[2:3], v[178:179], -v[4:5]
	v_add_f64_e64 v[4:5], v[180:181], -v[6:7]
	scratch_store_b128 off, v[2:5], off offset:400
	s_wait_xcnt 0x0
	v_cmpx_lt_u32_e32 24, v1
	s_cbranch_execz .LBB123_325
; %bb.324:
	scratch_load_b128 v[2:5], off, s52
	v_mov_b32_e32 v10, 0
	s_delay_alu instid0(VALU_DEP_1)
	v_dual_mov_b32 v11, v10 :: v_dual_mov_b32 v12, v10
	v_mov_b32_e32 v13, v10
	scratch_store_b128 off, v[10:13], off offset:384
	s_wait_loadcnt 0x0
	ds_store_b128 v8, v[2:5]
.LBB123_325:
	s_wait_xcnt 0x0
	s_or_b32 exec_lo, exec_lo, s2
	s_wait_storecnt_dscnt 0x0
	s_barrier_signal -1
	s_barrier_wait -1
	s_clause 0x9
	scratch_load_b128 v[4:7], off, off offset:400
	scratch_load_b128 v[10:13], off, off offset:416
	;; [unrolled: 1-line block ×10, first 2 shown]
	v_mov_b32_e32 v2, 0
	s_mov_b32 s2, exec_lo
	ds_load_b128 v[166:169], v2 offset:1360
	s_clause 0x2
	scratch_load_b128 v[170:173], off, off offset:560
	scratch_load_b128 v[174:177], off, off offset:384
	scratch_load_b128 v[182:185], off, off offset:576
	s_wait_loadcnt_dscnt 0xc00
	v_mul_f64_e32 v[186:187], v[168:169], v[6:7]
	v_mul_f64_e32 v[190:191], v[166:167], v[6:7]
	ds_load_b128 v[178:181], v2 offset:1376
	v_fma_f64 v[194:195], v[166:167], v[4:5], -v[186:187]
	v_fmac_f64_e32 v[190:191], v[168:169], v[4:5]
	ds_load_b128 v[4:7], v2 offset:1392
	s_wait_loadcnt_dscnt 0xb01
	v_mul_f64_e32 v[192:193], v[178:179], v[12:13]
	v_mul_f64_e32 v[12:13], v[180:181], v[12:13]
	scratch_load_b128 v[166:169], off, off offset:592
	ds_load_b128 v[186:189], v2 offset:1408
	s_wait_loadcnt_dscnt 0xb01
	v_mul_f64_e32 v[196:197], v[4:5], v[136:137]
	v_mul_f64_e32 v[136:137], v[6:7], v[136:137]
	v_add_f64_e32 v[190:191], 0, v[190:191]
	v_fmac_f64_e32 v[192:193], v[180:181], v[10:11]
	v_fma_f64 v[178:179], v[178:179], v[10:11], -v[12:13]
	v_add_f64_e32 v[180:181], 0, v[194:195]
	scratch_load_b128 v[10:13], off, off offset:608
	v_fmac_f64_e32 v[196:197], v[6:7], v[134:135]
	v_fma_f64 v[198:199], v[4:5], v[134:135], -v[136:137]
	ds_load_b128 v[4:7], v2 offset:1424
	s_wait_loadcnt_dscnt 0xb01
	v_mul_f64_e32 v[194:195], v[186:187], v[140:141]
	v_mul_f64_e32 v[140:141], v[188:189], v[140:141]
	scratch_load_b128 v[134:137], off, off offset:624
	v_add_f64_e32 v[190:191], v[190:191], v[192:193]
	v_add_f64_e32 v[200:201], v[180:181], v[178:179]
	ds_load_b128 v[178:181], v2 offset:1440
	s_wait_loadcnt_dscnt 0xb01
	v_mul_f64_e32 v[192:193], v[4:5], v[144:145]
	v_mul_f64_e32 v[144:145], v[6:7], v[144:145]
	v_fmac_f64_e32 v[194:195], v[188:189], v[138:139]
	v_fma_f64 v[186:187], v[186:187], v[138:139], -v[140:141]
	scratch_load_b128 v[138:141], off, off offset:640
	v_add_f64_e32 v[190:191], v[190:191], v[196:197]
	v_add_f64_e32 v[188:189], v[200:201], v[198:199]
	v_fmac_f64_e32 v[192:193], v[6:7], v[142:143]
	v_fma_f64 v[198:199], v[4:5], v[142:143], -v[144:145]
	ds_load_b128 v[4:7], v2 offset:1456
	s_wait_loadcnt_dscnt 0xb01
	v_mul_f64_e32 v[196:197], v[178:179], v[148:149]
	v_mul_f64_e32 v[148:149], v[180:181], v[148:149]
	scratch_load_b128 v[142:145], off, off offset:656
	v_add_f64_e32 v[190:191], v[190:191], v[194:195]
	s_wait_loadcnt_dscnt 0xb00
	v_mul_f64_e32 v[194:195], v[4:5], v[152:153]
	v_add_f64_e32 v[200:201], v[188:189], v[186:187]
	v_mul_f64_e32 v[152:153], v[6:7], v[152:153]
	ds_load_b128 v[186:189], v2 offset:1472
	v_fmac_f64_e32 v[196:197], v[180:181], v[146:147]
	v_fma_f64 v[178:179], v[178:179], v[146:147], -v[148:149]
	scratch_load_b128 v[146:149], off, off offset:672
	v_add_f64_e32 v[190:191], v[190:191], v[192:193]
	v_fmac_f64_e32 v[194:195], v[6:7], v[150:151]
	v_add_f64_e32 v[180:181], v[200:201], v[198:199]
	v_fma_f64 v[198:199], v[4:5], v[150:151], -v[152:153]
	ds_load_b128 v[4:7], v2 offset:1488
	s_wait_loadcnt_dscnt 0xb01
	v_mul_f64_e32 v[192:193], v[186:187], v[156:157]
	v_mul_f64_e32 v[156:157], v[188:189], v[156:157]
	scratch_load_b128 v[150:153], off, off offset:688
	v_add_f64_e32 v[190:191], v[190:191], v[196:197]
	s_wait_loadcnt_dscnt 0xb00
	v_mul_f64_e32 v[196:197], v[4:5], v[160:161]
	v_add_f64_e32 v[200:201], v[180:181], v[178:179]
	v_mul_f64_e32 v[160:161], v[6:7], v[160:161]
	ds_load_b128 v[178:181], v2 offset:1504
	v_fmac_f64_e32 v[192:193], v[188:189], v[154:155]
	v_fma_f64 v[186:187], v[186:187], v[154:155], -v[156:157]
	scratch_load_b128 v[154:157], off, off offset:704
	v_add_f64_e32 v[190:191], v[190:191], v[194:195]
	v_fmac_f64_e32 v[196:197], v[6:7], v[158:159]
	v_add_f64_e32 v[188:189], v[200:201], v[198:199]
	v_fma_f64 v[198:199], v[4:5], v[158:159], -v[160:161]
	ds_load_b128 v[4:7], v2 offset:1520
	s_wait_loadcnt_dscnt 0xb01
	v_mul_f64_e32 v[194:195], v[178:179], v[164:165]
	v_mul_f64_e32 v[164:165], v[180:181], v[164:165]
	scratch_load_b128 v[158:161], off, off offset:720
	v_add_f64_e32 v[190:191], v[190:191], v[192:193]
	s_wait_loadcnt_dscnt 0xb00
	v_mul_f64_e32 v[192:193], v[4:5], v[172:173]
	v_add_f64_e32 v[200:201], v[188:189], v[186:187]
	v_mul_f64_e32 v[172:173], v[6:7], v[172:173]
	ds_load_b128 v[186:189], v2 offset:1536
	v_fmac_f64_e32 v[194:195], v[180:181], v[162:163]
	v_fma_f64 v[178:179], v[178:179], v[162:163], -v[164:165]
	scratch_load_b128 v[162:165], off, off offset:736
	v_add_f64_e32 v[190:191], v[190:191], v[196:197]
	v_fmac_f64_e32 v[192:193], v[6:7], v[170:171]
	v_add_f64_e32 v[180:181], v[200:201], v[198:199]
	v_fma_f64 v[198:199], v[4:5], v[170:171], -v[172:173]
	ds_load_b128 v[4:7], v2 offset:1552
	s_wait_loadcnt_dscnt 0xa01
	v_mul_f64_e32 v[196:197], v[186:187], v[184:185]
	v_mul_f64_e32 v[184:185], v[188:189], v[184:185]
	scratch_load_b128 v[170:173], off, off offset:752
	v_add_f64_e32 v[190:191], v[190:191], v[194:195]
	v_add_f64_e32 v[200:201], v[180:181], v[178:179]
	s_wait_loadcnt_dscnt 0xa00
	v_mul_f64_e32 v[194:195], v[4:5], v[168:169]
	v_mul_f64_e32 v[168:169], v[6:7], v[168:169]
	v_fmac_f64_e32 v[196:197], v[188:189], v[182:183]
	v_fma_f64 v[186:187], v[186:187], v[182:183], -v[184:185]
	ds_load_b128 v[178:181], v2 offset:1568
	scratch_load_b128 v[182:185], off, off offset:768
	v_add_f64_e32 v[190:191], v[190:191], v[192:193]
	v_add_f64_e32 v[188:189], v[200:201], v[198:199]
	v_fmac_f64_e32 v[194:195], v[6:7], v[166:167]
	v_fma_f64 v[198:199], v[4:5], v[166:167], -v[168:169]
	ds_load_b128 v[4:7], v2 offset:1584
	s_wait_loadcnt_dscnt 0xa01
	v_mul_f64_e32 v[192:193], v[178:179], v[12:13]
	v_mul_f64_e32 v[12:13], v[180:181], v[12:13]
	scratch_load_b128 v[166:169], off, off offset:784
	v_add_f64_e32 v[190:191], v[190:191], v[196:197]
	s_wait_loadcnt_dscnt 0xa00
	v_mul_f64_e32 v[196:197], v[4:5], v[136:137]
	v_add_f64_e32 v[200:201], v[188:189], v[186:187]
	v_mul_f64_e32 v[136:137], v[6:7], v[136:137]
	ds_load_b128 v[186:189], v2 offset:1600
	v_fmac_f64_e32 v[192:193], v[180:181], v[10:11]
	v_fma_f64 v[178:179], v[178:179], v[10:11], -v[12:13]
	scratch_load_b128 v[10:13], off, off offset:800
	v_add_f64_e32 v[190:191], v[190:191], v[194:195]
	v_fmac_f64_e32 v[196:197], v[6:7], v[134:135]
	v_add_f64_e32 v[180:181], v[200:201], v[198:199]
	v_fma_f64 v[198:199], v[4:5], v[134:135], -v[136:137]
	ds_load_b128 v[4:7], v2 offset:1616
	s_wait_loadcnt_dscnt 0xa01
	v_mul_f64_e32 v[194:195], v[186:187], v[140:141]
	v_mul_f64_e32 v[140:141], v[188:189], v[140:141]
	scratch_load_b128 v[134:137], off, off offset:816
	v_add_f64_e32 v[190:191], v[190:191], v[192:193]
	s_wait_loadcnt_dscnt 0xa00
	v_mul_f64_e32 v[192:193], v[4:5], v[144:145]
	v_add_f64_e32 v[200:201], v[180:181], v[178:179]
	v_mul_f64_e32 v[144:145], v[6:7], v[144:145]
	ds_load_b128 v[178:181], v2 offset:1632
	v_fmac_f64_e32 v[194:195], v[188:189], v[138:139]
	v_fma_f64 v[186:187], v[186:187], v[138:139], -v[140:141]
	scratch_load_b128 v[138:141], off, off offset:832
	v_add_f64_e32 v[190:191], v[190:191], v[196:197]
	v_fmac_f64_e32 v[192:193], v[6:7], v[142:143]
	v_add_f64_e32 v[188:189], v[200:201], v[198:199]
	;; [unrolled: 18-line block ×5, first 2 shown]
	v_fma_f64 v[198:199], v[4:5], v[170:171], -v[172:173]
	ds_load_b128 v[4:7], v2 offset:1744
	s_wait_loadcnt_dscnt 0xa01
	v_mul_f64_e32 v[196:197], v[186:187], v[184:185]
	v_mul_f64_e32 v[184:185], v[188:189], v[184:185]
	scratch_load_b128 v[170:173], off, off offset:944
	v_add_f64_e32 v[190:191], v[190:191], v[194:195]
	s_wait_loadcnt_dscnt 0xa00
	v_mul_f64_e32 v[194:195], v[4:5], v[168:169]
	v_add_f64_e32 v[200:201], v[180:181], v[178:179]
	v_mul_f64_e32 v[168:169], v[6:7], v[168:169]
	ds_load_b128 v[178:181], v2 offset:1760
	v_fmac_f64_e32 v[196:197], v[188:189], v[182:183]
	v_fma_f64 v[182:183], v[186:187], v[182:183], -v[184:185]
	s_wait_loadcnt_dscnt 0x900
	v_mul_f64_e32 v[188:189], v[178:179], v[12:13]
	v_mul_f64_e32 v[12:13], v[180:181], v[12:13]
	v_add_f64_e32 v[186:187], v[190:191], v[192:193]
	v_fmac_f64_e32 v[194:195], v[6:7], v[166:167]
	v_add_f64_e32 v[184:185], v[200:201], v[198:199]
	v_fma_f64 v[190:191], v[4:5], v[166:167], -v[168:169]
	ds_load_b128 v[4:7], v2 offset:1776
	ds_load_b128 v[166:169], v2 offset:1792
	v_fmac_f64_e32 v[188:189], v[180:181], v[10:11]
	v_fma_f64 v[10:11], v[178:179], v[10:11], -v[12:13]
	v_add_f64_e32 v[182:183], v[184:185], v[182:183]
	v_add_f64_e32 v[184:185], v[186:187], v[196:197]
	s_wait_loadcnt_dscnt 0x801
	v_mul_f64_e32 v[186:187], v[4:5], v[136:137]
	v_mul_f64_e32 v[136:137], v[6:7], v[136:137]
	s_wait_loadcnt_dscnt 0x700
	v_mul_f64_e32 v[180:181], v[166:167], v[140:141]
	v_mul_f64_e32 v[140:141], v[168:169], v[140:141]
	v_add_f64_e32 v[12:13], v[182:183], v[190:191]
	v_add_f64_e32 v[178:179], v[184:185], v[194:195]
	v_fmac_f64_e32 v[186:187], v[6:7], v[134:135]
	v_fma_f64 v[134:135], v[4:5], v[134:135], -v[136:137]
	v_fmac_f64_e32 v[180:181], v[168:169], v[138:139]
	v_fma_f64 v[138:139], v[166:167], v[138:139], -v[140:141]
	v_add_f64_e32 v[136:137], v[12:13], v[10:11]
	v_add_f64_e32 v[178:179], v[178:179], v[188:189]
	ds_load_b128 v[4:7], v2 offset:1808
	ds_load_b128 v[10:13], v2 offset:1824
	s_wait_loadcnt_dscnt 0x601
	v_mul_f64_e32 v[182:183], v[4:5], v[144:145]
	v_mul_f64_e32 v[144:145], v[6:7], v[144:145]
	s_wait_loadcnt_dscnt 0x500
	v_mul_f64_e32 v[140:141], v[10:11], v[148:149]
	v_mul_f64_e32 v[148:149], v[12:13], v[148:149]
	v_add_f64_e32 v[134:135], v[136:137], v[134:135]
	v_add_f64_e32 v[136:137], v[178:179], v[186:187]
	v_fmac_f64_e32 v[182:183], v[6:7], v[142:143]
	v_fma_f64 v[142:143], v[4:5], v[142:143], -v[144:145]
	v_fmac_f64_e32 v[140:141], v[12:13], v[146:147]
	v_fma_f64 v[10:11], v[10:11], v[146:147], -v[148:149]
	v_add_f64_e32 v[138:139], v[134:135], v[138:139]
	v_add_f64_e32 v[144:145], v[136:137], v[180:181]
	ds_load_b128 v[4:7], v2 offset:1840
	ds_load_b128 v[134:137], v2 offset:1856
	s_wait_loadcnt_dscnt 0x401
	v_mul_f64_e32 v[166:167], v[4:5], v[152:153]
	v_mul_f64_e32 v[152:153], v[6:7], v[152:153]
	v_add_f64_e32 v[12:13], v[138:139], v[142:143]
	v_add_f64_e32 v[138:139], v[144:145], v[182:183]
	s_wait_loadcnt_dscnt 0x300
	v_mul_f64_e32 v[142:143], v[134:135], v[156:157]
	v_mul_f64_e32 v[144:145], v[136:137], v[156:157]
	v_fmac_f64_e32 v[166:167], v[6:7], v[150:151]
	v_fma_f64 v[146:147], v[4:5], v[150:151], -v[152:153]
	v_add_f64_e32 v[148:149], v[12:13], v[10:11]
	v_add_f64_e32 v[138:139], v[138:139], v[140:141]
	ds_load_b128 v[4:7], v2 offset:1872
	ds_load_b128 v[10:13], v2 offset:1888
	v_fmac_f64_e32 v[142:143], v[136:137], v[154:155]
	v_fma_f64 v[134:135], v[134:135], v[154:155], -v[144:145]
	s_wait_loadcnt_dscnt 0x201
	v_mul_f64_e32 v[140:141], v[4:5], v[160:161]
	v_mul_f64_e32 v[150:151], v[6:7], v[160:161]
	s_wait_loadcnt_dscnt 0x100
	v_mul_f64_e32 v[144:145], v[10:11], v[164:165]
	v_add_f64_e32 v[136:137], v[148:149], v[146:147]
	v_add_f64_e32 v[138:139], v[138:139], v[166:167]
	v_mul_f64_e32 v[146:147], v[12:13], v[164:165]
	v_fmac_f64_e32 v[140:141], v[6:7], v[158:159]
	v_fma_f64 v[148:149], v[4:5], v[158:159], -v[150:151]
	ds_load_b128 v[4:7], v2 offset:1904
	v_fmac_f64_e32 v[144:145], v[12:13], v[162:163]
	v_add_f64_e32 v[134:135], v[136:137], v[134:135]
	v_add_f64_e32 v[136:137], v[138:139], v[142:143]
	v_fma_f64 v[10:11], v[10:11], v[162:163], -v[146:147]
	s_wait_loadcnt_dscnt 0x0
	v_mul_f64_e32 v[138:139], v[4:5], v[172:173]
	v_mul_f64_e32 v[142:143], v[6:7], v[172:173]
	v_add_f64_e32 v[12:13], v[134:135], v[148:149]
	v_add_f64_e32 v[134:135], v[136:137], v[140:141]
	s_delay_alu instid0(VALU_DEP_4) | instskip(NEXT) | instid1(VALU_DEP_4)
	v_fmac_f64_e32 v[138:139], v[6:7], v[170:171]
	v_fma_f64 v[4:5], v[4:5], v[170:171], -v[142:143]
	s_delay_alu instid0(VALU_DEP_4) | instskip(NEXT) | instid1(VALU_DEP_4)
	v_add_f64_e32 v[6:7], v[12:13], v[10:11]
	v_add_f64_e32 v[10:11], v[134:135], v[144:145]
	s_delay_alu instid0(VALU_DEP_2) | instskip(NEXT) | instid1(VALU_DEP_2)
	v_add_f64_e32 v[4:5], v[6:7], v[4:5]
	v_add_f64_e32 v[6:7], v[10:11], v[138:139]
	s_delay_alu instid0(VALU_DEP_2) | instskip(NEXT) | instid1(VALU_DEP_2)
	v_add_f64_e64 v[4:5], v[174:175], -v[4:5]
	v_add_f64_e64 v[6:7], v[176:177], -v[6:7]
	scratch_store_b128 off, v[4:7], off offset:384
	s_wait_xcnt 0x0
	v_cmpx_lt_u32_e32 23, v1
	s_cbranch_execz .LBB123_327
; %bb.326:
	scratch_load_b128 v[10:13], off, s53
	v_dual_mov_b32 v3, v2 :: v_dual_mov_b32 v4, v2
	v_mov_b32_e32 v5, v2
	scratch_store_b128 off, v[2:5], off offset:368
	s_wait_loadcnt 0x0
	ds_store_b128 v8, v[10:13]
.LBB123_327:
	s_wait_xcnt 0x0
	s_or_b32 exec_lo, exec_lo, s2
	s_wait_storecnt_dscnt 0x0
	s_barrier_signal -1
	s_barrier_wait -1
	s_clause 0x9
	scratch_load_b128 v[4:7], off, off offset:384
	scratch_load_b128 v[10:13], off, off offset:400
	;; [unrolled: 1-line block ×10, first 2 shown]
	ds_load_b128 v[166:169], v2 offset:1344
	ds_load_b128 v[174:177], v2 offset:1360
	s_clause 0x2
	scratch_load_b128 v[170:173], off, off offset:544
	scratch_load_b128 v[178:181], off, off offset:368
	;; [unrolled: 1-line block ×3, first 2 shown]
	s_mov_b32 s2, exec_lo
	s_wait_loadcnt_dscnt 0xc01
	v_mul_f64_e32 v[186:187], v[168:169], v[6:7]
	v_mul_f64_e32 v[190:191], v[166:167], v[6:7]
	s_wait_loadcnt_dscnt 0xb00
	v_mul_f64_e32 v[192:193], v[174:175], v[12:13]
	v_mul_f64_e32 v[12:13], v[176:177], v[12:13]
	s_delay_alu instid0(VALU_DEP_4) | instskip(NEXT) | instid1(VALU_DEP_4)
	v_fma_f64 v[194:195], v[166:167], v[4:5], -v[186:187]
	v_fmac_f64_e32 v[190:191], v[168:169], v[4:5]
	ds_load_b128 v[4:7], v2 offset:1376
	ds_load_b128 v[166:169], v2 offset:1392
	scratch_load_b128 v[186:189], off, off offset:576
	v_fmac_f64_e32 v[192:193], v[176:177], v[10:11]
	v_fma_f64 v[174:175], v[174:175], v[10:11], -v[12:13]
	scratch_load_b128 v[10:13], off, off offset:592
	s_wait_loadcnt_dscnt 0xc01
	v_mul_f64_e32 v[196:197], v[4:5], v[136:137]
	v_mul_f64_e32 v[136:137], v[6:7], v[136:137]
	v_add_f64_e32 v[176:177], 0, v[194:195]
	v_add_f64_e32 v[190:191], 0, v[190:191]
	s_wait_loadcnt_dscnt 0xb00
	v_mul_f64_e32 v[194:195], v[166:167], v[140:141]
	v_mul_f64_e32 v[140:141], v[168:169], v[140:141]
	v_fmac_f64_e32 v[196:197], v[6:7], v[134:135]
	v_fma_f64 v[198:199], v[4:5], v[134:135], -v[136:137]
	ds_load_b128 v[4:7], v2 offset:1408
	ds_load_b128 v[134:137], v2 offset:1424
	v_add_f64_e32 v[200:201], v[176:177], v[174:175]
	v_add_f64_e32 v[190:191], v[190:191], v[192:193]
	scratch_load_b128 v[174:177], off, off offset:608
	v_fmac_f64_e32 v[194:195], v[168:169], v[138:139]
	v_fma_f64 v[166:167], v[166:167], v[138:139], -v[140:141]
	scratch_load_b128 v[138:141], off, off offset:624
	s_wait_loadcnt_dscnt 0xc01
	v_mul_f64_e32 v[192:193], v[4:5], v[144:145]
	v_mul_f64_e32 v[144:145], v[6:7], v[144:145]
	v_add_f64_e32 v[168:169], v[200:201], v[198:199]
	v_add_f64_e32 v[190:191], v[190:191], v[196:197]
	s_wait_loadcnt_dscnt 0xb00
	v_mul_f64_e32 v[196:197], v[134:135], v[148:149]
	v_mul_f64_e32 v[148:149], v[136:137], v[148:149]
	v_fmac_f64_e32 v[192:193], v[6:7], v[142:143]
	v_fma_f64 v[198:199], v[4:5], v[142:143], -v[144:145]
	ds_load_b128 v[4:7], v2 offset:1440
	ds_load_b128 v[142:145], v2 offset:1456
	v_add_f64_e32 v[200:201], v[168:169], v[166:167]
	v_add_f64_e32 v[190:191], v[190:191], v[194:195]
	scratch_load_b128 v[166:169], off, off offset:640
	s_wait_loadcnt_dscnt 0xb01
	v_mul_f64_e32 v[194:195], v[4:5], v[152:153]
	v_mul_f64_e32 v[152:153], v[6:7], v[152:153]
	v_fmac_f64_e32 v[196:197], v[136:137], v[146:147]
	v_fma_f64 v[146:147], v[134:135], v[146:147], -v[148:149]
	scratch_load_b128 v[134:137], off, off offset:656
	v_add_f64_e32 v[148:149], v[200:201], v[198:199]
	v_add_f64_e32 v[190:191], v[190:191], v[192:193]
	s_wait_loadcnt_dscnt 0xb00
	v_mul_f64_e32 v[192:193], v[142:143], v[156:157]
	v_mul_f64_e32 v[156:157], v[144:145], v[156:157]
	v_fmac_f64_e32 v[194:195], v[6:7], v[150:151]
	v_fma_f64 v[198:199], v[4:5], v[150:151], -v[152:153]
	v_add_f64_e32 v[200:201], v[148:149], v[146:147]
	v_add_f64_e32 v[190:191], v[190:191], v[196:197]
	ds_load_b128 v[4:7], v2 offset:1472
	ds_load_b128 v[146:149], v2 offset:1488
	scratch_load_b128 v[150:153], off, off offset:672
	v_fmac_f64_e32 v[192:193], v[144:145], v[154:155]
	v_fma_f64 v[154:155], v[142:143], v[154:155], -v[156:157]
	scratch_load_b128 v[142:145], off, off offset:688
	s_wait_loadcnt_dscnt 0xc01
	v_mul_f64_e32 v[196:197], v[4:5], v[160:161]
	v_mul_f64_e32 v[160:161], v[6:7], v[160:161]
	v_add_f64_e32 v[156:157], v[200:201], v[198:199]
	v_add_f64_e32 v[190:191], v[190:191], v[194:195]
	s_wait_loadcnt_dscnt 0xb00
	v_mul_f64_e32 v[194:195], v[146:147], v[164:165]
	v_mul_f64_e32 v[164:165], v[148:149], v[164:165]
	v_fmac_f64_e32 v[196:197], v[6:7], v[158:159]
	v_fma_f64 v[198:199], v[4:5], v[158:159], -v[160:161]
	v_add_f64_e32 v[200:201], v[156:157], v[154:155]
	v_add_f64_e32 v[190:191], v[190:191], v[192:193]
	ds_load_b128 v[4:7], v2 offset:1504
	ds_load_b128 v[154:157], v2 offset:1520
	scratch_load_b128 v[158:161], off, off offset:704
	v_fmac_f64_e32 v[194:195], v[148:149], v[162:163]
	v_fma_f64 v[162:163], v[146:147], v[162:163], -v[164:165]
	scratch_load_b128 v[146:149], off, off offset:720
	s_wait_loadcnt_dscnt 0xc01
	v_mul_f64_e32 v[192:193], v[4:5], v[172:173]
	v_mul_f64_e32 v[172:173], v[6:7], v[172:173]
	;; [unrolled: 18-line block ×5, first 2 shown]
	v_add_f64_e32 v[184:185], v[200:201], v[198:199]
	v_add_f64_e32 v[190:191], v[190:191], v[196:197]
	s_wait_loadcnt_dscnt 0xa00
	v_mul_f64_e32 v[196:197], v[162:163], v[136:137]
	v_mul_f64_e32 v[136:137], v[164:165], v[136:137]
	v_fmac_f64_e32 v[192:193], v[6:7], v[166:167]
	v_fma_f64 v[198:199], v[4:5], v[166:167], -v[168:169]
	ds_load_b128 v[4:7], v2 offset:1632
	ds_load_b128 v[166:169], v2 offset:1648
	v_add_f64_e32 v[200:201], v[184:185], v[182:183]
	v_add_f64_e32 v[190:191], v[190:191], v[194:195]
	scratch_load_b128 v[182:185], off, off offset:832
	v_fmac_f64_e32 v[196:197], v[164:165], v[134:135]
	v_fma_f64 v[162:163], v[162:163], v[134:135], -v[136:137]
	scratch_load_b128 v[134:137], off, off offset:848
	s_wait_loadcnt_dscnt 0xb01
	v_mul_f64_e32 v[194:195], v[4:5], v[152:153]
	v_mul_f64_e32 v[152:153], v[6:7], v[152:153]
	v_add_f64_e32 v[164:165], v[200:201], v[198:199]
	v_add_f64_e32 v[190:191], v[190:191], v[192:193]
	s_wait_loadcnt_dscnt 0xa00
	v_mul_f64_e32 v[192:193], v[166:167], v[144:145]
	v_mul_f64_e32 v[144:145], v[168:169], v[144:145]
	v_fmac_f64_e32 v[194:195], v[6:7], v[150:151]
	v_fma_f64 v[198:199], v[4:5], v[150:151], -v[152:153]
	ds_load_b128 v[4:7], v2 offset:1664
	ds_load_b128 v[150:153], v2 offset:1680
	v_add_f64_e32 v[200:201], v[164:165], v[162:163]
	v_add_f64_e32 v[190:191], v[190:191], v[196:197]
	scratch_load_b128 v[162:165], off, off offset:864
	s_wait_loadcnt_dscnt 0xa01
	v_mul_f64_e32 v[196:197], v[4:5], v[160:161]
	v_mul_f64_e32 v[160:161], v[6:7], v[160:161]
	v_fmac_f64_e32 v[192:193], v[168:169], v[142:143]
	v_fma_f64 v[166:167], v[166:167], v[142:143], -v[144:145]
	scratch_load_b128 v[142:145], off, off offset:880
	v_add_f64_e32 v[168:169], v[200:201], v[198:199]
	v_add_f64_e32 v[190:191], v[190:191], v[194:195]
	s_wait_loadcnt_dscnt 0xa00
	v_mul_f64_e32 v[194:195], v[150:151], v[148:149]
	v_mul_f64_e32 v[148:149], v[152:153], v[148:149]
	v_fmac_f64_e32 v[196:197], v[6:7], v[158:159]
	v_fma_f64 v[198:199], v[4:5], v[158:159], -v[160:161]
	ds_load_b128 v[4:7], v2 offset:1696
	ds_load_b128 v[158:161], v2 offset:1712
	v_add_f64_e32 v[200:201], v[168:169], v[166:167]
	v_add_f64_e32 v[190:191], v[190:191], v[192:193]
	scratch_load_b128 v[166:169], off, off offset:896
	s_wait_loadcnt_dscnt 0xa01
	v_mul_f64_e32 v[192:193], v[4:5], v[172:173]
	v_mul_f64_e32 v[172:173], v[6:7], v[172:173]
	v_fmac_f64_e32 v[194:195], v[152:153], v[146:147]
	v_fma_f64 v[150:151], v[150:151], v[146:147], -v[148:149]
	scratch_load_b128 v[146:149], off, off offset:912
	v_add_f64_e32 v[152:153], v[200:201], v[198:199]
	v_add_f64_e32 v[190:191], v[190:191], v[196:197]
	s_wait_loadcnt_dscnt 0xa00
	v_mul_f64_e32 v[196:197], v[158:159], v[156:157]
	v_mul_f64_e32 v[156:157], v[160:161], v[156:157]
	v_fmac_f64_e32 v[192:193], v[6:7], v[170:171]
	v_fma_f64 v[198:199], v[4:5], v[170:171], -v[172:173]
	v_add_f64_e32 v[200:201], v[152:153], v[150:151]
	v_add_f64_e32 v[190:191], v[190:191], v[194:195]
	ds_load_b128 v[4:7], v2 offset:1728
	ds_load_b128 v[150:153], v2 offset:1744
	scratch_load_b128 v[170:173], off, off offset:928
	v_fmac_f64_e32 v[196:197], v[160:161], v[154:155]
	v_fma_f64 v[158:159], v[158:159], v[154:155], -v[156:157]
	scratch_load_b128 v[154:157], off, off offset:944
	s_wait_loadcnt_dscnt 0xb01
	v_mul_f64_e32 v[194:195], v[4:5], v[188:189]
	v_mul_f64_e32 v[188:189], v[6:7], v[188:189]
	v_add_f64_e32 v[160:161], v[200:201], v[198:199]
	v_add_f64_e32 v[190:191], v[190:191], v[192:193]
	s_wait_loadcnt_dscnt 0xa00
	v_mul_f64_e32 v[192:193], v[150:151], v[12:13]
	v_mul_f64_e32 v[12:13], v[152:153], v[12:13]
	v_fmac_f64_e32 v[194:195], v[6:7], v[186:187]
	v_fma_f64 v[186:187], v[4:5], v[186:187], -v[188:189]
	v_add_f64_e32 v[188:189], v[160:161], v[158:159]
	v_add_f64_e32 v[190:191], v[190:191], v[196:197]
	ds_load_b128 v[4:7], v2 offset:1760
	ds_load_b128 v[158:161], v2 offset:1776
	v_fmac_f64_e32 v[192:193], v[152:153], v[10:11]
	v_fma_f64 v[10:11], v[150:151], v[10:11], -v[12:13]
	s_wait_loadcnt_dscnt 0x901
	v_mul_f64_e32 v[196:197], v[4:5], v[176:177]
	v_mul_f64_e32 v[176:177], v[6:7], v[176:177]
	s_wait_loadcnt_dscnt 0x800
	v_mul_f64_e32 v[152:153], v[158:159], v[140:141]
	v_mul_f64_e32 v[140:141], v[160:161], v[140:141]
	v_add_f64_e32 v[12:13], v[188:189], v[186:187]
	v_add_f64_e32 v[150:151], v[190:191], v[194:195]
	v_fmac_f64_e32 v[196:197], v[6:7], v[174:175]
	v_fma_f64 v[174:175], v[4:5], v[174:175], -v[176:177]
	v_fmac_f64_e32 v[152:153], v[160:161], v[138:139]
	v_fma_f64 v[138:139], v[158:159], v[138:139], -v[140:141]
	v_add_f64_e32 v[176:177], v[12:13], v[10:11]
	v_add_f64_e32 v[150:151], v[150:151], v[192:193]
	ds_load_b128 v[4:7], v2 offset:1792
	ds_load_b128 v[10:13], v2 offset:1808
	s_wait_loadcnt_dscnt 0x701
	v_mul_f64_e32 v[186:187], v[4:5], v[184:185]
	v_mul_f64_e32 v[184:185], v[6:7], v[184:185]
	s_wait_loadcnt_dscnt 0x600
	v_mul_f64_e32 v[158:159], v[10:11], v[136:137]
	v_mul_f64_e32 v[160:161], v[12:13], v[136:137]
	v_add_f64_e32 v[140:141], v[176:177], v[174:175]
	v_add_f64_e32 v[150:151], v[150:151], v[196:197]
	v_fmac_f64_e32 v[186:187], v[6:7], v[182:183]
	v_fma_f64 v[174:175], v[4:5], v[182:183], -v[184:185]
	v_fmac_f64_e32 v[158:159], v[12:13], v[134:135]
	v_fma_f64 v[10:11], v[10:11], v[134:135], -v[160:161]
	v_add_f64_e32 v[140:141], v[140:141], v[138:139]
	v_add_f64_e32 v[150:151], v[150:151], v[152:153]
	ds_load_b128 v[4:7], v2 offset:1824
	ds_load_b128 v[136:139], v2 offset:1840
	s_wait_loadcnt_dscnt 0x501
	v_mul_f64_e32 v[152:153], v[4:5], v[164:165]
	v_mul_f64_e32 v[164:165], v[6:7], v[164:165]
	v_add_f64_e32 v[12:13], v[140:141], v[174:175]
	v_add_f64_e32 v[134:135], v[150:151], v[186:187]
	s_wait_loadcnt_dscnt 0x400
	v_mul_f64_e32 v[140:141], v[136:137], v[144:145]
	v_mul_f64_e32 v[144:145], v[138:139], v[144:145]
	v_fmac_f64_e32 v[152:153], v[6:7], v[162:163]
	v_fma_f64 v[150:151], v[4:5], v[162:163], -v[164:165]
	v_add_f64_e32 v[160:161], v[12:13], v[10:11]
	v_add_f64_e32 v[134:135], v[134:135], v[158:159]
	ds_load_b128 v[4:7], v2 offset:1856
	ds_load_b128 v[10:13], v2 offset:1872
	v_fmac_f64_e32 v[140:141], v[138:139], v[142:143]
	v_fma_f64 v[136:137], v[136:137], v[142:143], -v[144:145]
	s_wait_loadcnt_dscnt 0x301
	v_mul_f64_e32 v[158:159], v[4:5], v[168:169]
	v_mul_f64_e32 v[162:163], v[6:7], v[168:169]
	s_wait_loadcnt_dscnt 0x200
	v_mul_f64_e32 v[142:143], v[10:11], v[148:149]
	v_mul_f64_e32 v[144:145], v[12:13], v[148:149]
	v_add_f64_e32 v[138:139], v[160:161], v[150:151]
	v_add_f64_e32 v[134:135], v[134:135], v[152:153]
	v_fmac_f64_e32 v[158:159], v[6:7], v[166:167]
	v_fma_f64 v[148:149], v[4:5], v[166:167], -v[162:163]
	v_fmac_f64_e32 v[142:143], v[12:13], v[146:147]
	v_fma_f64 v[10:11], v[10:11], v[146:147], -v[144:145]
	v_add_f64_e32 v[138:139], v[138:139], v[136:137]
	v_add_f64_e32 v[140:141], v[134:135], v[140:141]
	ds_load_b128 v[4:7], v2 offset:1888
	ds_load_b128 v[134:137], v2 offset:1904
	s_wait_loadcnt_dscnt 0x101
	v_mul_f64_e32 v[2:3], v[4:5], v[172:173]
	v_mul_f64_e32 v[150:151], v[6:7], v[172:173]
	s_wait_loadcnt_dscnt 0x0
	v_mul_f64_e32 v[144:145], v[136:137], v[156:157]
	v_add_f64_e32 v[12:13], v[138:139], v[148:149]
	v_add_f64_e32 v[138:139], v[140:141], v[158:159]
	v_mul_f64_e32 v[140:141], v[134:135], v[156:157]
	v_fmac_f64_e32 v[2:3], v[6:7], v[170:171]
	v_fma_f64 v[4:5], v[4:5], v[170:171], -v[150:151]
	v_add_f64_e32 v[6:7], v[12:13], v[10:11]
	v_add_f64_e32 v[10:11], v[138:139], v[142:143]
	v_fmac_f64_e32 v[140:141], v[136:137], v[154:155]
	v_fma_f64 v[12:13], v[134:135], v[154:155], -v[144:145]
	s_delay_alu instid0(VALU_DEP_4) | instskip(NEXT) | instid1(VALU_DEP_4)
	v_add_f64_e32 v[4:5], v[6:7], v[4:5]
	v_add_f64_e32 v[2:3], v[10:11], v[2:3]
	s_delay_alu instid0(VALU_DEP_2) | instskip(NEXT) | instid1(VALU_DEP_2)
	v_add_f64_e32 v[4:5], v[4:5], v[12:13]
	v_add_f64_e32 v[6:7], v[2:3], v[140:141]
	s_delay_alu instid0(VALU_DEP_2) | instskip(NEXT) | instid1(VALU_DEP_2)
	v_add_f64_e64 v[2:3], v[178:179], -v[4:5]
	v_add_f64_e64 v[4:5], v[180:181], -v[6:7]
	scratch_store_b128 off, v[2:5], off offset:368
	s_wait_xcnt 0x0
	v_cmpx_lt_u32_e32 22, v1
	s_cbranch_execz .LBB123_329
; %bb.328:
	scratch_load_b128 v[2:5], off, s54
	v_mov_b32_e32 v10, 0
	s_delay_alu instid0(VALU_DEP_1)
	v_dual_mov_b32 v11, v10 :: v_dual_mov_b32 v12, v10
	v_mov_b32_e32 v13, v10
	scratch_store_b128 off, v[10:13], off offset:352
	s_wait_loadcnt 0x0
	ds_store_b128 v8, v[2:5]
.LBB123_329:
	s_wait_xcnt 0x0
	s_or_b32 exec_lo, exec_lo, s2
	s_wait_storecnt_dscnt 0x0
	s_barrier_signal -1
	s_barrier_wait -1
	s_clause 0x9
	scratch_load_b128 v[4:7], off, off offset:368
	scratch_load_b128 v[10:13], off, off offset:384
	;; [unrolled: 1-line block ×10, first 2 shown]
	v_mov_b32_e32 v2, 0
	s_mov_b32 s2, exec_lo
	ds_load_b128 v[166:169], v2 offset:1328
	s_clause 0x2
	scratch_load_b128 v[170:173], off, off offset:528
	scratch_load_b128 v[174:177], off, off offset:352
	;; [unrolled: 1-line block ×3, first 2 shown]
	s_wait_loadcnt_dscnt 0xc00
	v_mul_f64_e32 v[186:187], v[168:169], v[6:7]
	v_mul_f64_e32 v[190:191], v[166:167], v[6:7]
	ds_load_b128 v[178:181], v2 offset:1344
	v_fma_f64 v[194:195], v[166:167], v[4:5], -v[186:187]
	v_fmac_f64_e32 v[190:191], v[168:169], v[4:5]
	ds_load_b128 v[4:7], v2 offset:1360
	s_wait_loadcnt_dscnt 0xb01
	v_mul_f64_e32 v[192:193], v[178:179], v[12:13]
	v_mul_f64_e32 v[12:13], v[180:181], v[12:13]
	scratch_load_b128 v[166:169], off, off offset:560
	ds_load_b128 v[186:189], v2 offset:1376
	s_wait_loadcnt_dscnt 0xb01
	v_mul_f64_e32 v[196:197], v[4:5], v[136:137]
	v_mul_f64_e32 v[136:137], v[6:7], v[136:137]
	v_add_f64_e32 v[190:191], 0, v[190:191]
	v_fmac_f64_e32 v[192:193], v[180:181], v[10:11]
	v_fma_f64 v[178:179], v[178:179], v[10:11], -v[12:13]
	v_add_f64_e32 v[180:181], 0, v[194:195]
	scratch_load_b128 v[10:13], off, off offset:576
	v_fmac_f64_e32 v[196:197], v[6:7], v[134:135]
	v_fma_f64 v[198:199], v[4:5], v[134:135], -v[136:137]
	ds_load_b128 v[4:7], v2 offset:1392
	s_wait_loadcnt_dscnt 0xb01
	v_mul_f64_e32 v[194:195], v[186:187], v[140:141]
	v_mul_f64_e32 v[140:141], v[188:189], v[140:141]
	scratch_load_b128 v[134:137], off, off offset:592
	v_add_f64_e32 v[190:191], v[190:191], v[192:193]
	v_add_f64_e32 v[200:201], v[180:181], v[178:179]
	ds_load_b128 v[178:181], v2 offset:1408
	s_wait_loadcnt_dscnt 0xb01
	v_mul_f64_e32 v[192:193], v[4:5], v[144:145]
	v_mul_f64_e32 v[144:145], v[6:7], v[144:145]
	v_fmac_f64_e32 v[194:195], v[188:189], v[138:139]
	v_fma_f64 v[186:187], v[186:187], v[138:139], -v[140:141]
	scratch_load_b128 v[138:141], off, off offset:608
	v_add_f64_e32 v[190:191], v[190:191], v[196:197]
	v_add_f64_e32 v[188:189], v[200:201], v[198:199]
	v_fmac_f64_e32 v[192:193], v[6:7], v[142:143]
	v_fma_f64 v[198:199], v[4:5], v[142:143], -v[144:145]
	ds_load_b128 v[4:7], v2 offset:1424
	s_wait_loadcnt_dscnt 0xb01
	v_mul_f64_e32 v[196:197], v[178:179], v[148:149]
	v_mul_f64_e32 v[148:149], v[180:181], v[148:149]
	scratch_load_b128 v[142:145], off, off offset:624
	v_add_f64_e32 v[190:191], v[190:191], v[194:195]
	s_wait_loadcnt_dscnt 0xb00
	v_mul_f64_e32 v[194:195], v[4:5], v[152:153]
	v_add_f64_e32 v[200:201], v[188:189], v[186:187]
	v_mul_f64_e32 v[152:153], v[6:7], v[152:153]
	ds_load_b128 v[186:189], v2 offset:1440
	v_fmac_f64_e32 v[196:197], v[180:181], v[146:147]
	v_fma_f64 v[178:179], v[178:179], v[146:147], -v[148:149]
	scratch_load_b128 v[146:149], off, off offset:640
	v_add_f64_e32 v[190:191], v[190:191], v[192:193]
	v_fmac_f64_e32 v[194:195], v[6:7], v[150:151]
	v_add_f64_e32 v[180:181], v[200:201], v[198:199]
	v_fma_f64 v[198:199], v[4:5], v[150:151], -v[152:153]
	ds_load_b128 v[4:7], v2 offset:1456
	s_wait_loadcnt_dscnt 0xb01
	v_mul_f64_e32 v[192:193], v[186:187], v[156:157]
	v_mul_f64_e32 v[156:157], v[188:189], v[156:157]
	scratch_load_b128 v[150:153], off, off offset:656
	v_add_f64_e32 v[190:191], v[190:191], v[196:197]
	s_wait_loadcnt_dscnt 0xb00
	v_mul_f64_e32 v[196:197], v[4:5], v[160:161]
	v_add_f64_e32 v[200:201], v[180:181], v[178:179]
	v_mul_f64_e32 v[160:161], v[6:7], v[160:161]
	ds_load_b128 v[178:181], v2 offset:1472
	v_fmac_f64_e32 v[192:193], v[188:189], v[154:155]
	v_fma_f64 v[186:187], v[186:187], v[154:155], -v[156:157]
	scratch_load_b128 v[154:157], off, off offset:672
	v_add_f64_e32 v[190:191], v[190:191], v[194:195]
	v_fmac_f64_e32 v[196:197], v[6:7], v[158:159]
	v_add_f64_e32 v[188:189], v[200:201], v[198:199]
	v_fma_f64 v[198:199], v[4:5], v[158:159], -v[160:161]
	ds_load_b128 v[4:7], v2 offset:1488
	s_wait_loadcnt_dscnt 0xb01
	v_mul_f64_e32 v[194:195], v[178:179], v[164:165]
	v_mul_f64_e32 v[164:165], v[180:181], v[164:165]
	scratch_load_b128 v[158:161], off, off offset:688
	v_add_f64_e32 v[190:191], v[190:191], v[192:193]
	s_wait_loadcnt_dscnt 0xb00
	v_mul_f64_e32 v[192:193], v[4:5], v[172:173]
	v_add_f64_e32 v[200:201], v[188:189], v[186:187]
	v_mul_f64_e32 v[172:173], v[6:7], v[172:173]
	ds_load_b128 v[186:189], v2 offset:1504
	v_fmac_f64_e32 v[194:195], v[180:181], v[162:163]
	v_fma_f64 v[178:179], v[178:179], v[162:163], -v[164:165]
	scratch_load_b128 v[162:165], off, off offset:704
	v_add_f64_e32 v[190:191], v[190:191], v[196:197]
	v_fmac_f64_e32 v[192:193], v[6:7], v[170:171]
	v_add_f64_e32 v[180:181], v[200:201], v[198:199]
	v_fma_f64 v[198:199], v[4:5], v[170:171], -v[172:173]
	ds_load_b128 v[4:7], v2 offset:1520
	s_wait_loadcnt_dscnt 0xa01
	v_mul_f64_e32 v[196:197], v[186:187], v[184:185]
	v_mul_f64_e32 v[184:185], v[188:189], v[184:185]
	scratch_load_b128 v[170:173], off, off offset:720
	v_add_f64_e32 v[190:191], v[190:191], v[194:195]
	v_add_f64_e32 v[200:201], v[180:181], v[178:179]
	s_wait_loadcnt_dscnt 0xa00
	v_mul_f64_e32 v[194:195], v[4:5], v[168:169]
	v_mul_f64_e32 v[168:169], v[6:7], v[168:169]
	v_fmac_f64_e32 v[196:197], v[188:189], v[182:183]
	v_fma_f64 v[186:187], v[186:187], v[182:183], -v[184:185]
	ds_load_b128 v[178:181], v2 offset:1536
	scratch_load_b128 v[182:185], off, off offset:736
	v_add_f64_e32 v[190:191], v[190:191], v[192:193]
	v_add_f64_e32 v[188:189], v[200:201], v[198:199]
	v_fmac_f64_e32 v[194:195], v[6:7], v[166:167]
	v_fma_f64 v[198:199], v[4:5], v[166:167], -v[168:169]
	ds_load_b128 v[4:7], v2 offset:1552
	s_wait_loadcnt_dscnt 0xa01
	v_mul_f64_e32 v[192:193], v[178:179], v[12:13]
	v_mul_f64_e32 v[12:13], v[180:181], v[12:13]
	scratch_load_b128 v[166:169], off, off offset:752
	v_add_f64_e32 v[190:191], v[190:191], v[196:197]
	s_wait_loadcnt_dscnt 0xa00
	v_mul_f64_e32 v[196:197], v[4:5], v[136:137]
	v_add_f64_e32 v[200:201], v[188:189], v[186:187]
	v_mul_f64_e32 v[136:137], v[6:7], v[136:137]
	ds_load_b128 v[186:189], v2 offset:1568
	v_fmac_f64_e32 v[192:193], v[180:181], v[10:11]
	v_fma_f64 v[178:179], v[178:179], v[10:11], -v[12:13]
	scratch_load_b128 v[10:13], off, off offset:768
	v_add_f64_e32 v[190:191], v[190:191], v[194:195]
	v_fmac_f64_e32 v[196:197], v[6:7], v[134:135]
	v_add_f64_e32 v[180:181], v[200:201], v[198:199]
	v_fma_f64 v[198:199], v[4:5], v[134:135], -v[136:137]
	ds_load_b128 v[4:7], v2 offset:1584
	s_wait_loadcnt_dscnt 0xa01
	v_mul_f64_e32 v[194:195], v[186:187], v[140:141]
	v_mul_f64_e32 v[140:141], v[188:189], v[140:141]
	scratch_load_b128 v[134:137], off, off offset:784
	v_add_f64_e32 v[190:191], v[190:191], v[192:193]
	s_wait_loadcnt_dscnt 0xa00
	v_mul_f64_e32 v[192:193], v[4:5], v[144:145]
	v_add_f64_e32 v[200:201], v[180:181], v[178:179]
	v_mul_f64_e32 v[144:145], v[6:7], v[144:145]
	ds_load_b128 v[178:181], v2 offset:1600
	v_fmac_f64_e32 v[194:195], v[188:189], v[138:139]
	v_fma_f64 v[186:187], v[186:187], v[138:139], -v[140:141]
	scratch_load_b128 v[138:141], off, off offset:800
	v_add_f64_e32 v[190:191], v[190:191], v[196:197]
	v_fmac_f64_e32 v[192:193], v[6:7], v[142:143]
	v_add_f64_e32 v[188:189], v[200:201], v[198:199]
	;; [unrolled: 18-line block ×6, first 2 shown]
	v_fma_f64 v[198:199], v[4:5], v[166:167], -v[168:169]
	ds_load_b128 v[4:7], v2 offset:1744
	s_wait_loadcnt_dscnt 0xa01
	v_mul_f64_e32 v[192:193], v[178:179], v[12:13]
	v_mul_f64_e32 v[12:13], v[180:181], v[12:13]
	scratch_load_b128 v[166:169], off, off offset:944
	v_add_f64_e32 v[190:191], v[190:191], v[196:197]
	s_wait_loadcnt_dscnt 0xa00
	v_mul_f64_e32 v[196:197], v[4:5], v[136:137]
	v_add_f64_e32 v[200:201], v[188:189], v[186:187]
	v_mul_f64_e32 v[136:137], v[6:7], v[136:137]
	ds_load_b128 v[186:189], v2 offset:1760
	v_fmac_f64_e32 v[192:193], v[180:181], v[10:11]
	v_fma_f64 v[10:11], v[178:179], v[10:11], -v[12:13]
	s_wait_loadcnt_dscnt 0x900
	v_mul_f64_e32 v[180:181], v[186:187], v[140:141]
	v_mul_f64_e32 v[140:141], v[188:189], v[140:141]
	v_add_f64_e32 v[178:179], v[190:191], v[194:195]
	v_fmac_f64_e32 v[196:197], v[6:7], v[134:135]
	v_add_f64_e32 v[12:13], v[200:201], v[198:199]
	v_fma_f64 v[134:135], v[4:5], v[134:135], -v[136:137]
	v_fmac_f64_e32 v[180:181], v[188:189], v[138:139]
	v_fma_f64 v[138:139], v[186:187], v[138:139], -v[140:141]
	v_add_f64_e32 v[178:179], v[178:179], v[192:193]
	v_add_f64_e32 v[136:137], v[12:13], v[10:11]
	ds_load_b128 v[4:7], v2 offset:1776
	ds_load_b128 v[10:13], v2 offset:1792
	s_wait_loadcnt_dscnt 0x801
	v_mul_f64_e32 v[190:191], v[4:5], v[144:145]
	v_mul_f64_e32 v[144:145], v[6:7], v[144:145]
	s_wait_loadcnt_dscnt 0x700
	v_mul_f64_e32 v[140:141], v[10:11], v[148:149]
	v_mul_f64_e32 v[148:149], v[12:13], v[148:149]
	v_add_f64_e32 v[134:135], v[136:137], v[134:135]
	v_add_f64_e32 v[136:137], v[178:179], v[196:197]
	v_fmac_f64_e32 v[190:191], v[6:7], v[142:143]
	v_fma_f64 v[142:143], v[4:5], v[142:143], -v[144:145]
	v_fmac_f64_e32 v[140:141], v[12:13], v[146:147]
	v_fma_f64 v[10:11], v[10:11], v[146:147], -v[148:149]
	v_add_f64_e32 v[138:139], v[134:135], v[138:139]
	v_add_f64_e32 v[144:145], v[136:137], v[180:181]
	ds_load_b128 v[4:7], v2 offset:1808
	ds_load_b128 v[134:137], v2 offset:1824
	s_wait_loadcnt_dscnt 0x601
	v_mul_f64_e32 v[178:179], v[4:5], v[152:153]
	v_mul_f64_e32 v[152:153], v[6:7], v[152:153]
	v_add_f64_e32 v[12:13], v[138:139], v[142:143]
	v_add_f64_e32 v[138:139], v[144:145], v[190:191]
	s_wait_loadcnt_dscnt 0x500
	v_mul_f64_e32 v[142:143], v[134:135], v[156:157]
	v_mul_f64_e32 v[144:145], v[136:137], v[156:157]
	v_fmac_f64_e32 v[178:179], v[6:7], v[150:151]
	v_fma_f64 v[146:147], v[4:5], v[150:151], -v[152:153]
	v_add_f64_e32 v[148:149], v[12:13], v[10:11]
	v_add_f64_e32 v[138:139], v[138:139], v[140:141]
	ds_load_b128 v[4:7], v2 offset:1840
	ds_load_b128 v[10:13], v2 offset:1856
	v_fmac_f64_e32 v[142:143], v[136:137], v[154:155]
	v_fma_f64 v[134:135], v[134:135], v[154:155], -v[144:145]
	s_wait_loadcnt_dscnt 0x401
	v_mul_f64_e32 v[140:141], v[4:5], v[160:161]
	v_mul_f64_e32 v[150:151], v[6:7], v[160:161]
	s_wait_loadcnt_dscnt 0x300
	v_mul_f64_e32 v[144:145], v[10:11], v[164:165]
	v_add_f64_e32 v[136:137], v[148:149], v[146:147]
	v_add_f64_e32 v[138:139], v[138:139], v[178:179]
	v_mul_f64_e32 v[146:147], v[12:13], v[164:165]
	v_fmac_f64_e32 v[140:141], v[6:7], v[158:159]
	v_fma_f64 v[148:149], v[4:5], v[158:159], -v[150:151]
	v_fmac_f64_e32 v[144:145], v[12:13], v[162:163]
	v_add_f64_e32 v[150:151], v[136:137], v[134:135]
	v_add_f64_e32 v[138:139], v[138:139], v[142:143]
	ds_load_b128 v[4:7], v2 offset:1872
	ds_load_b128 v[134:137], v2 offset:1888
	v_fma_f64 v[10:11], v[10:11], v[162:163], -v[146:147]
	s_wait_loadcnt_dscnt 0x201
	v_mul_f64_e32 v[142:143], v[4:5], v[172:173]
	v_mul_f64_e32 v[152:153], v[6:7], v[172:173]
	s_wait_loadcnt_dscnt 0x100
	v_mul_f64_e32 v[146:147], v[136:137], v[184:185]
	v_add_f64_e32 v[12:13], v[150:151], v[148:149]
	v_add_f64_e32 v[138:139], v[138:139], v[140:141]
	v_mul_f64_e32 v[140:141], v[134:135], v[184:185]
	v_fmac_f64_e32 v[142:143], v[6:7], v[170:171]
	v_fma_f64 v[148:149], v[4:5], v[170:171], -v[152:153]
	ds_load_b128 v[4:7], v2 offset:1904
	v_fma_f64 v[134:135], v[134:135], v[182:183], -v[146:147]
	v_add_f64_e32 v[10:11], v[12:13], v[10:11]
	v_add_f64_e32 v[12:13], v[138:139], v[144:145]
	v_fmac_f64_e32 v[140:141], v[136:137], v[182:183]
	s_wait_loadcnt_dscnt 0x0
	v_mul_f64_e32 v[138:139], v[4:5], v[168:169]
	v_mul_f64_e32 v[144:145], v[6:7], v[168:169]
	v_add_f64_e32 v[10:11], v[10:11], v[148:149]
	v_add_f64_e32 v[12:13], v[12:13], v[142:143]
	s_delay_alu instid0(VALU_DEP_4) | instskip(NEXT) | instid1(VALU_DEP_4)
	v_fmac_f64_e32 v[138:139], v[6:7], v[166:167]
	v_fma_f64 v[4:5], v[4:5], v[166:167], -v[144:145]
	s_delay_alu instid0(VALU_DEP_4) | instskip(NEXT) | instid1(VALU_DEP_4)
	v_add_f64_e32 v[6:7], v[10:11], v[134:135]
	v_add_f64_e32 v[10:11], v[12:13], v[140:141]
	s_delay_alu instid0(VALU_DEP_2) | instskip(NEXT) | instid1(VALU_DEP_2)
	v_add_f64_e32 v[4:5], v[6:7], v[4:5]
	v_add_f64_e32 v[6:7], v[10:11], v[138:139]
	s_delay_alu instid0(VALU_DEP_2) | instskip(NEXT) | instid1(VALU_DEP_2)
	v_add_f64_e64 v[4:5], v[174:175], -v[4:5]
	v_add_f64_e64 v[6:7], v[176:177], -v[6:7]
	scratch_store_b128 off, v[4:7], off offset:352
	s_wait_xcnt 0x0
	v_cmpx_lt_u32_e32 21, v1
	s_cbranch_execz .LBB123_331
; %bb.330:
	scratch_load_b128 v[10:13], off, s55
	v_dual_mov_b32 v3, v2 :: v_dual_mov_b32 v4, v2
	v_mov_b32_e32 v5, v2
	scratch_store_b128 off, v[2:5], off offset:336
	s_wait_loadcnt 0x0
	ds_store_b128 v8, v[10:13]
.LBB123_331:
	s_wait_xcnt 0x0
	s_or_b32 exec_lo, exec_lo, s2
	s_wait_storecnt_dscnt 0x0
	s_barrier_signal -1
	s_barrier_wait -1
	s_clause 0x9
	scratch_load_b128 v[4:7], off, off offset:352
	scratch_load_b128 v[10:13], off, off offset:368
	;; [unrolled: 1-line block ×10, first 2 shown]
	ds_load_b128 v[166:169], v2 offset:1312
	ds_load_b128 v[174:177], v2 offset:1328
	s_clause 0x2
	scratch_load_b128 v[170:173], off, off offset:512
	scratch_load_b128 v[178:181], off, off offset:336
	;; [unrolled: 1-line block ×3, first 2 shown]
	s_mov_b32 s2, exec_lo
	s_wait_loadcnt_dscnt 0xc01
	v_mul_f64_e32 v[186:187], v[168:169], v[6:7]
	v_mul_f64_e32 v[190:191], v[166:167], v[6:7]
	s_wait_loadcnt_dscnt 0xb00
	v_mul_f64_e32 v[192:193], v[174:175], v[12:13]
	v_mul_f64_e32 v[12:13], v[176:177], v[12:13]
	s_delay_alu instid0(VALU_DEP_4) | instskip(NEXT) | instid1(VALU_DEP_4)
	v_fma_f64 v[194:195], v[166:167], v[4:5], -v[186:187]
	v_fmac_f64_e32 v[190:191], v[168:169], v[4:5]
	ds_load_b128 v[4:7], v2 offset:1344
	ds_load_b128 v[166:169], v2 offset:1360
	scratch_load_b128 v[186:189], off, off offset:544
	v_fmac_f64_e32 v[192:193], v[176:177], v[10:11]
	v_fma_f64 v[174:175], v[174:175], v[10:11], -v[12:13]
	scratch_load_b128 v[10:13], off, off offset:560
	s_wait_loadcnt_dscnt 0xc01
	v_mul_f64_e32 v[196:197], v[4:5], v[136:137]
	v_mul_f64_e32 v[136:137], v[6:7], v[136:137]
	v_add_f64_e32 v[176:177], 0, v[194:195]
	v_add_f64_e32 v[190:191], 0, v[190:191]
	s_wait_loadcnt_dscnt 0xb00
	v_mul_f64_e32 v[194:195], v[166:167], v[140:141]
	v_mul_f64_e32 v[140:141], v[168:169], v[140:141]
	v_fmac_f64_e32 v[196:197], v[6:7], v[134:135]
	v_fma_f64 v[198:199], v[4:5], v[134:135], -v[136:137]
	ds_load_b128 v[4:7], v2 offset:1376
	ds_load_b128 v[134:137], v2 offset:1392
	v_add_f64_e32 v[200:201], v[176:177], v[174:175]
	v_add_f64_e32 v[190:191], v[190:191], v[192:193]
	scratch_load_b128 v[174:177], off, off offset:576
	v_fmac_f64_e32 v[194:195], v[168:169], v[138:139]
	v_fma_f64 v[166:167], v[166:167], v[138:139], -v[140:141]
	scratch_load_b128 v[138:141], off, off offset:592
	s_wait_loadcnt_dscnt 0xc01
	v_mul_f64_e32 v[192:193], v[4:5], v[144:145]
	v_mul_f64_e32 v[144:145], v[6:7], v[144:145]
	v_add_f64_e32 v[168:169], v[200:201], v[198:199]
	v_add_f64_e32 v[190:191], v[190:191], v[196:197]
	s_wait_loadcnt_dscnt 0xb00
	v_mul_f64_e32 v[196:197], v[134:135], v[148:149]
	v_mul_f64_e32 v[148:149], v[136:137], v[148:149]
	v_fmac_f64_e32 v[192:193], v[6:7], v[142:143]
	v_fma_f64 v[198:199], v[4:5], v[142:143], -v[144:145]
	ds_load_b128 v[4:7], v2 offset:1408
	ds_load_b128 v[142:145], v2 offset:1424
	v_add_f64_e32 v[200:201], v[168:169], v[166:167]
	v_add_f64_e32 v[190:191], v[190:191], v[194:195]
	scratch_load_b128 v[166:169], off, off offset:608
	s_wait_loadcnt_dscnt 0xb01
	v_mul_f64_e32 v[194:195], v[4:5], v[152:153]
	v_mul_f64_e32 v[152:153], v[6:7], v[152:153]
	v_fmac_f64_e32 v[196:197], v[136:137], v[146:147]
	v_fma_f64 v[146:147], v[134:135], v[146:147], -v[148:149]
	scratch_load_b128 v[134:137], off, off offset:624
	v_add_f64_e32 v[148:149], v[200:201], v[198:199]
	v_add_f64_e32 v[190:191], v[190:191], v[192:193]
	s_wait_loadcnt_dscnt 0xb00
	v_mul_f64_e32 v[192:193], v[142:143], v[156:157]
	v_mul_f64_e32 v[156:157], v[144:145], v[156:157]
	v_fmac_f64_e32 v[194:195], v[6:7], v[150:151]
	v_fma_f64 v[198:199], v[4:5], v[150:151], -v[152:153]
	v_add_f64_e32 v[200:201], v[148:149], v[146:147]
	v_add_f64_e32 v[190:191], v[190:191], v[196:197]
	ds_load_b128 v[4:7], v2 offset:1440
	ds_load_b128 v[146:149], v2 offset:1456
	scratch_load_b128 v[150:153], off, off offset:640
	v_fmac_f64_e32 v[192:193], v[144:145], v[154:155]
	v_fma_f64 v[154:155], v[142:143], v[154:155], -v[156:157]
	scratch_load_b128 v[142:145], off, off offset:656
	s_wait_loadcnt_dscnt 0xc01
	v_mul_f64_e32 v[196:197], v[4:5], v[160:161]
	v_mul_f64_e32 v[160:161], v[6:7], v[160:161]
	v_add_f64_e32 v[156:157], v[200:201], v[198:199]
	v_add_f64_e32 v[190:191], v[190:191], v[194:195]
	s_wait_loadcnt_dscnt 0xb00
	v_mul_f64_e32 v[194:195], v[146:147], v[164:165]
	v_mul_f64_e32 v[164:165], v[148:149], v[164:165]
	v_fmac_f64_e32 v[196:197], v[6:7], v[158:159]
	v_fma_f64 v[198:199], v[4:5], v[158:159], -v[160:161]
	v_add_f64_e32 v[200:201], v[156:157], v[154:155]
	v_add_f64_e32 v[190:191], v[190:191], v[192:193]
	ds_load_b128 v[4:7], v2 offset:1472
	ds_load_b128 v[154:157], v2 offset:1488
	scratch_load_b128 v[158:161], off, off offset:672
	v_fmac_f64_e32 v[194:195], v[148:149], v[162:163]
	v_fma_f64 v[162:163], v[146:147], v[162:163], -v[164:165]
	scratch_load_b128 v[146:149], off, off offset:688
	s_wait_loadcnt_dscnt 0xc01
	v_mul_f64_e32 v[192:193], v[4:5], v[172:173]
	v_mul_f64_e32 v[172:173], v[6:7], v[172:173]
	;; [unrolled: 18-line block ×5, first 2 shown]
	v_add_f64_e32 v[184:185], v[200:201], v[198:199]
	v_add_f64_e32 v[190:191], v[190:191], v[196:197]
	s_wait_loadcnt_dscnt 0xa00
	v_mul_f64_e32 v[196:197], v[162:163], v[136:137]
	v_mul_f64_e32 v[136:137], v[164:165], v[136:137]
	v_fmac_f64_e32 v[192:193], v[6:7], v[166:167]
	v_fma_f64 v[198:199], v[4:5], v[166:167], -v[168:169]
	ds_load_b128 v[4:7], v2 offset:1600
	ds_load_b128 v[166:169], v2 offset:1616
	v_add_f64_e32 v[200:201], v[184:185], v[182:183]
	v_add_f64_e32 v[190:191], v[190:191], v[194:195]
	scratch_load_b128 v[182:185], off, off offset:800
	v_fmac_f64_e32 v[196:197], v[164:165], v[134:135]
	v_fma_f64 v[162:163], v[162:163], v[134:135], -v[136:137]
	scratch_load_b128 v[134:137], off, off offset:816
	s_wait_loadcnt_dscnt 0xb01
	v_mul_f64_e32 v[194:195], v[4:5], v[152:153]
	v_mul_f64_e32 v[152:153], v[6:7], v[152:153]
	v_add_f64_e32 v[164:165], v[200:201], v[198:199]
	v_add_f64_e32 v[190:191], v[190:191], v[192:193]
	s_wait_loadcnt_dscnt 0xa00
	v_mul_f64_e32 v[192:193], v[166:167], v[144:145]
	v_mul_f64_e32 v[144:145], v[168:169], v[144:145]
	v_fmac_f64_e32 v[194:195], v[6:7], v[150:151]
	v_fma_f64 v[198:199], v[4:5], v[150:151], -v[152:153]
	ds_load_b128 v[4:7], v2 offset:1632
	ds_load_b128 v[150:153], v2 offset:1648
	v_add_f64_e32 v[200:201], v[164:165], v[162:163]
	v_add_f64_e32 v[190:191], v[190:191], v[196:197]
	scratch_load_b128 v[162:165], off, off offset:832
	s_wait_loadcnt_dscnt 0xa01
	v_mul_f64_e32 v[196:197], v[4:5], v[160:161]
	v_mul_f64_e32 v[160:161], v[6:7], v[160:161]
	v_fmac_f64_e32 v[192:193], v[168:169], v[142:143]
	v_fma_f64 v[166:167], v[166:167], v[142:143], -v[144:145]
	scratch_load_b128 v[142:145], off, off offset:848
	v_add_f64_e32 v[168:169], v[200:201], v[198:199]
	v_add_f64_e32 v[190:191], v[190:191], v[194:195]
	s_wait_loadcnt_dscnt 0xa00
	v_mul_f64_e32 v[194:195], v[150:151], v[148:149]
	v_mul_f64_e32 v[148:149], v[152:153], v[148:149]
	v_fmac_f64_e32 v[196:197], v[6:7], v[158:159]
	v_fma_f64 v[198:199], v[4:5], v[158:159], -v[160:161]
	ds_load_b128 v[4:7], v2 offset:1664
	ds_load_b128 v[158:161], v2 offset:1680
	v_add_f64_e32 v[200:201], v[168:169], v[166:167]
	v_add_f64_e32 v[190:191], v[190:191], v[192:193]
	scratch_load_b128 v[166:169], off, off offset:864
	s_wait_loadcnt_dscnt 0xa01
	v_mul_f64_e32 v[192:193], v[4:5], v[172:173]
	v_mul_f64_e32 v[172:173], v[6:7], v[172:173]
	v_fmac_f64_e32 v[194:195], v[152:153], v[146:147]
	v_fma_f64 v[150:151], v[150:151], v[146:147], -v[148:149]
	scratch_load_b128 v[146:149], off, off offset:880
	v_add_f64_e32 v[152:153], v[200:201], v[198:199]
	v_add_f64_e32 v[190:191], v[190:191], v[196:197]
	s_wait_loadcnt_dscnt 0xa00
	v_mul_f64_e32 v[196:197], v[158:159], v[156:157]
	v_mul_f64_e32 v[156:157], v[160:161], v[156:157]
	v_fmac_f64_e32 v[192:193], v[6:7], v[170:171]
	v_fma_f64 v[198:199], v[4:5], v[170:171], -v[172:173]
	v_add_f64_e32 v[200:201], v[152:153], v[150:151]
	v_add_f64_e32 v[190:191], v[190:191], v[194:195]
	ds_load_b128 v[4:7], v2 offset:1696
	ds_load_b128 v[150:153], v2 offset:1712
	scratch_load_b128 v[170:173], off, off offset:896
	v_fmac_f64_e32 v[196:197], v[160:161], v[154:155]
	v_fma_f64 v[158:159], v[158:159], v[154:155], -v[156:157]
	scratch_load_b128 v[154:157], off, off offset:912
	s_wait_loadcnt_dscnt 0xb01
	v_mul_f64_e32 v[194:195], v[4:5], v[188:189]
	v_mul_f64_e32 v[188:189], v[6:7], v[188:189]
	v_add_f64_e32 v[160:161], v[200:201], v[198:199]
	v_add_f64_e32 v[190:191], v[190:191], v[192:193]
	s_wait_loadcnt_dscnt 0xa00
	v_mul_f64_e32 v[192:193], v[150:151], v[12:13]
	v_mul_f64_e32 v[12:13], v[152:153], v[12:13]
	v_fmac_f64_e32 v[194:195], v[6:7], v[186:187]
	v_fma_f64 v[198:199], v[4:5], v[186:187], -v[188:189]
	v_add_f64_e32 v[200:201], v[160:161], v[158:159]
	v_add_f64_e32 v[190:191], v[190:191], v[196:197]
	ds_load_b128 v[4:7], v2 offset:1728
	ds_load_b128 v[158:161], v2 offset:1744
	scratch_load_b128 v[186:189], off, off offset:928
	v_fmac_f64_e32 v[192:193], v[152:153], v[10:11]
	v_fma_f64 v[150:151], v[150:151], v[10:11], -v[12:13]
	scratch_load_b128 v[10:13], off, off offset:944
	s_wait_loadcnt_dscnt 0xb01
	v_mul_f64_e32 v[196:197], v[4:5], v[176:177]
	v_mul_f64_e32 v[176:177], v[6:7], v[176:177]
	v_add_f64_e32 v[152:153], v[200:201], v[198:199]
	v_add_f64_e32 v[190:191], v[190:191], v[194:195]
	s_wait_loadcnt_dscnt 0xa00
	v_mul_f64_e32 v[194:195], v[158:159], v[140:141]
	v_mul_f64_e32 v[140:141], v[160:161], v[140:141]
	v_fmac_f64_e32 v[196:197], v[6:7], v[174:175]
	v_fma_f64 v[174:175], v[4:5], v[174:175], -v[176:177]
	v_add_f64_e32 v[176:177], v[152:153], v[150:151]
	v_add_f64_e32 v[190:191], v[190:191], v[192:193]
	ds_load_b128 v[4:7], v2 offset:1760
	ds_load_b128 v[150:153], v2 offset:1776
	v_fmac_f64_e32 v[194:195], v[160:161], v[138:139]
	v_fma_f64 v[138:139], v[158:159], v[138:139], -v[140:141]
	s_wait_loadcnt_dscnt 0x901
	v_mul_f64_e32 v[192:193], v[4:5], v[184:185]
	v_mul_f64_e32 v[184:185], v[6:7], v[184:185]
	s_wait_loadcnt_dscnt 0x800
	v_mul_f64_e32 v[160:161], v[150:151], v[136:137]
	v_add_f64_e32 v[140:141], v[176:177], v[174:175]
	v_add_f64_e32 v[158:159], v[190:191], v[196:197]
	v_mul_f64_e32 v[174:175], v[152:153], v[136:137]
	v_fmac_f64_e32 v[192:193], v[6:7], v[182:183]
	v_fma_f64 v[176:177], v[4:5], v[182:183], -v[184:185]
	v_fmac_f64_e32 v[160:161], v[152:153], v[134:135]
	v_add_f64_e32 v[140:141], v[140:141], v[138:139]
	v_add_f64_e32 v[158:159], v[158:159], v[194:195]
	ds_load_b128 v[4:7], v2 offset:1792
	ds_load_b128 v[136:139], v2 offset:1808
	v_fma_f64 v[134:135], v[150:151], v[134:135], -v[174:175]
	s_wait_loadcnt_dscnt 0x701
	v_mul_f64_e32 v[182:183], v[4:5], v[164:165]
	v_mul_f64_e32 v[164:165], v[6:7], v[164:165]
	v_add_f64_e32 v[140:141], v[140:141], v[176:177]
	v_add_f64_e32 v[150:151], v[158:159], v[192:193]
	s_wait_loadcnt_dscnt 0x600
	v_mul_f64_e32 v[158:159], v[136:137], v[144:145]
	v_mul_f64_e32 v[144:145], v[138:139], v[144:145]
	v_fmac_f64_e32 v[182:183], v[6:7], v[162:163]
	v_fma_f64 v[162:163], v[4:5], v[162:163], -v[164:165]
	v_add_f64_e32 v[134:135], v[140:141], v[134:135]
	v_add_f64_e32 v[140:141], v[150:151], v[160:161]
	ds_load_b128 v[4:7], v2 offset:1824
	ds_load_b128 v[150:153], v2 offset:1840
	v_fmac_f64_e32 v[158:159], v[138:139], v[142:143]
	v_fma_f64 v[136:137], v[136:137], v[142:143], -v[144:145]
	s_wait_loadcnt_dscnt 0x501
	v_mul_f64_e32 v[160:161], v[4:5], v[168:169]
	v_mul_f64_e32 v[164:165], v[6:7], v[168:169]
	s_wait_loadcnt_dscnt 0x400
	v_mul_f64_e32 v[142:143], v[152:153], v[148:149]
	v_add_f64_e32 v[134:135], v[134:135], v[162:163]
	v_add_f64_e32 v[138:139], v[140:141], v[182:183]
	v_mul_f64_e32 v[140:141], v[150:151], v[148:149]
	v_fmac_f64_e32 v[160:161], v[6:7], v[166:167]
	v_fma_f64 v[144:145], v[4:5], v[166:167], -v[164:165]
	v_fma_f64 v[142:143], v[150:151], v[146:147], -v[142:143]
	v_add_f64_e32 v[148:149], v[134:135], v[136:137]
	v_add_f64_e32 v[138:139], v[138:139], v[158:159]
	ds_load_b128 v[4:7], v2 offset:1856
	ds_load_b128 v[134:137], v2 offset:1872
	v_fmac_f64_e32 v[140:141], v[152:153], v[146:147]
	s_wait_loadcnt_dscnt 0x301
	v_mul_f64_e32 v[158:159], v[4:5], v[172:173]
	v_mul_f64_e32 v[162:163], v[6:7], v[172:173]
	s_wait_loadcnt_dscnt 0x200
	v_mul_f64_e32 v[146:147], v[134:135], v[156:157]
	v_add_f64_e32 v[144:145], v[148:149], v[144:145]
	v_add_f64_e32 v[138:139], v[138:139], v[160:161]
	v_mul_f64_e32 v[148:149], v[136:137], v[156:157]
	v_fmac_f64_e32 v[158:159], v[6:7], v[170:171]
	v_fma_f64 v[150:151], v[4:5], v[170:171], -v[162:163]
	v_fmac_f64_e32 v[146:147], v[136:137], v[154:155]
	v_add_f64_e32 v[142:143], v[144:145], v[142:143]
	v_add_f64_e32 v[144:145], v[138:139], v[140:141]
	ds_load_b128 v[4:7], v2 offset:1888
	ds_load_b128 v[138:141], v2 offset:1904
	v_fma_f64 v[134:135], v[134:135], v[154:155], -v[148:149]
	s_wait_loadcnt_dscnt 0x101
	v_mul_f64_e32 v[2:3], v[4:5], v[188:189]
	v_mul_f64_e32 v[152:153], v[6:7], v[188:189]
	v_add_f64_e32 v[136:137], v[142:143], v[150:151]
	v_add_f64_e32 v[142:143], v[144:145], v[158:159]
	s_wait_loadcnt_dscnt 0x0
	v_mul_f64_e32 v[144:145], v[138:139], v[12:13]
	v_mul_f64_e32 v[12:13], v[140:141], v[12:13]
	v_fmac_f64_e32 v[2:3], v[6:7], v[186:187]
	v_fma_f64 v[4:5], v[4:5], v[186:187], -v[152:153]
	v_add_f64_e32 v[6:7], v[136:137], v[134:135]
	v_add_f64_e32 v[134:135], v[142:143], v[146:147]
	v_fmac_f64_e32 v[144:145], v[140:141], v[10:11]
	v_fma_f64 v[10:11], v[138:139], v[10:11], -v[12:13]
	s_delay_alu instid0(VALU_DEP_4) | instskip(NEXT) | instid1(VALU_DEP_4)
	v_add_f64_e32 v[4:5], v[6:7], v[4:5]
	v_add_f64_e32 v[2:3], v[134:135], v[2:3]
	s_delay_alu instid0(VALU_DEP_2) | instskip(NEXT) | instid1(VALU_DEP_2)
	v_add_f64_e32 v[4:5], v[4:5], v[10:11]
	v_add_f64_e32 v[6:7], v[2:3], v[144:145]
	s_delay_alu instid0(VALU_DEP_2) | instskip(NEXT) | instid1(VALU_DEP_2)
	v_add_f64_e64 v[2:3], v[178:179], -v[4:5]
	v_add_f64_e64 v[4:5], v[180:181], -v[6:7]
	scratch_store_b128 off, v[2:5], off offset:336
	s_wait_xcnt 0x0
	v_cmpx_lt_u32_e32 20, v1
	s_cbranch_execz .LBB123_333
; %bb.332:
	scratch_load_b128 v[2:5], off, s56
	v_mov_b32_e32 v10, 0
	s_delay_alu instid0(VALU_DEP_1)
	v_dual_mov_b32 v11, v10 :: v_dual_mov_b32 v12, v10
	v_mov_b32_e32 v13, v10
	scratch_store_b128 off, v[10:13], off offset:320
	s_wait_loadcnt 0x0
	ds_store_b128 v8, v[2:5]
.LBB123_333:
	s_wait_xcnt 0x0
	s_or_b32 exec_lo, exec_lo, s2
	s_wait_storecnt_dscnt 0x0
	s_barrier_signal -1
	s_barrier_wait -1
	s_clause 0x9
	scratch_load_b128 v[4:7], off, off offset:336
	scratch_load_b128 v[10:13], off, off offset:352
	;; [unrolled: 1-line block ×10, first 2 shown]
	v_mov_b32_e32 v2, 0
	s_mov_b32 s2, exec_lo
	ds_load_b128 v[166:169], v2 offset:1296
	s_clause 0x2
	scratch_load_b128 v[170:173], off, off offset:496
	scratch_load_b128 v[174:177], off, off offset:320
	;; [unrolled: 1-line block ×3, first 2 shown]
	s_wait_loadcnt_dscnt 0xc00
	v_mul_f64_e32 v[186:187], v[168:169], v[6:7]
	v_mul_f64_e32 v[190:191], v[166:167], v[6:7]
	ds_load_b128 v[178:181], v2 offset:1312
	v_fma_f64 v[194:195], v[166:167], v[4:5], -v[186:187]
	v_fmac_f64_e32 v[190:191], v[168:169], v[4:5]
	ds_load_b128 v[4:7], v2 offset:1328
	s_wait_loadcnt_dscnt 0xb01
	v_mul_f64_e32 v[192:193], v[178:179], v[12:13]
	v_mul_f64_e32 v[12:13], v[180:181], v[12:13]
	scratch_load_b128 v[166:169], off, off offset:528
	ds_load_b128 v[186:189], v2 offset:1344
	s_wait_loadcnt_dscnt 0xb01
	v_mul_f64_e32 v[196:197], v[4:5], v[136:137]
	v_mul_f64_e32 v[136:137], v[6:7], v[136:137]
	v_add_f64_e32 v[190:191], 0, v[190:191]
	v_fmac_f64_e32 v[192:193], v[180:181], v[10:11]
	v_fma_f64 v[178:179], v[178:179], v[10:11], -v[12:13]
	v_add_f64_e32 v[180:181], 0, v[194:195]
	scratch_load_b128 v[10:13], off, off offset:544
	v_fmac_f64_e32 v[196:197], v[6:7], v[134:135]
	v_fma_f64 v[198:199], v[4:5], v[134:135], -v[136:137]
	ds_load_b128 v[4:7], v2 offset:1360
	s_wait_loadcnt_dscnt 0xb01
	v_mul_f64_e32 v[194:195], v[186:187], v[140:141]
	v_mul_f64_e32 v[140:141], v[188:189], v[140:141]
	scratch_load_b128 v[134:137], off, off offset:560
	v_add_f64_e32 v[190:191], v[190:191], v[192:193]
	v_add_f64_e32 v[200:201], v[180:181], v[178:179]
	ds_load_b128 v[178:181], v2 offset:1376
	s_wait_loadcnt_dscnt 0xb01
	v_mul_f64_e32 v[192:193], v[4:5], v[144:145]
	v_mul_f64_e32 v[144:145], v[6:7], v[144:145]
	v_fmac_f64_e32 v[194:195], v[188:189], v[138:139]
	v_fma_f64 v[186:187], v[186:187], v[138:139], -v[140:141]
	scratch_load_b128 v[138:141], off, off offset:576
	v_add_f64_e32 v[190:191], v[190:191], v[196:197]
	v_add_f64_e32 v[188:189], v[200:201], v[198:199]
	v_fmac_f64_e32 v[192:193], v[6:7], v[142:143]
	v_fma_f64 v[198:199], v[4:5], v[142:143], -v[144:145]
	ds_load_b128 v[4:7], v2 offset:1392
	s_wait_loadcnt_dscnt 0xb01
	v_mul_f64_e32 v[196:197], v[178:179], v[148:149]
	v_mul_f64_e32 v[148:149], v[180:181], v[148:149]
	scratch_load_b128 v[142:145], off, off offset:592
	v_add_f64_e32 v[190:191], v[190:191], v[194:195]
	s_wait_loadcnt_dscnt 0xb00
	v_mul_f64_e32 v[194:195], v[4:5], v[152:153]
	v_add_f64_e32 v[200:201], v[188:189], v[186:187]
	v_mul_f64_e32 v[152:153], v[6:7], v[152:153]
	ds_load_b128 v[186:189], v2 offset:1408
	v_fmac_f64_e32 v[196:197], v[180:181], v[146:147]
	v_fma_f64 v[178:179], v[178:179], v[146:147], -v[148:149]
	scratch_load_b128 v[146:149], off, off offset:608
	v_add_f64_e32 v[190:191], v[190:191], v[192:193]
	v_fmac_f64_e32 v[194:195], v[6:7], v[150:151]
	v_add_f64_e32 v[180:181], v[200:201], v[198:199]
	v_fma_f64 v[198:199], v[4:5], v[150:151], -v[152:153]
	ds_load_b128 v[4:7], v2 offset:1424
	s_wait_loadcnt_dscnt 0xb01
	v_mul_f64_e32 v[192:193], v[186:187], v[156:157]
	v_mul_f64_e32 v[156:157], v[188:189], v[156:157]
	scratch_load_b128 v[150:153], off, off offset:624
	v_add_f64_e32 v[190:191], v[190:191], v[196:197]
	s_wait_loadcnt_dscnt 0xb00
	v_mul_f64_e32 v[196:197], v[4:5], v[160:161]
	v_add_f64_e32 v[200:201], v[180:181], v[178:179]
	v_mul_f64_e32 v[160:161], v[6:7], v[160:161]
	ds_load_b128 v[178:181], v2 offset:1440
	v_fmac_f64_e32 v[192:193], v[188:189], v[154:155]
	v_fma_f64 v[186:187], v[186:187], v[154:155], -v[156:157]
	scratch_load_b128 v[154:157], off, off offset:640
	v_add_f64_e32 v[190:191], v[190:191], v[194:195]
	v_fmac_f64_e32 v[196:197], v[6:7], v[158:159]
	v_add_f64_e32 v[188:189], v[200:201], v[198:199]
	v_fma_f64 v[198:199], v[4:5], v[158:159], -v[160:161]
	ds_load_b128 v[4:7], v2 offset:1456
	s_wait_loadcnt_dscnt 0xb01
	v_mul_f64_e32 v[194:195], v[178:179], v[164:165]
	v_mul_f64_e32 v[164:165], v[180:181], v[164:165]
	scratch_load_b128 v[158:161], off, off offset:656
	v_add_f64_e32 v[190:191], v[190:191], v[192:193]
	s_wait_loadcnt_dscnt 0xb00
	v_mul_f64_e32 v[192:193], v[4:5], v[172:173]
	v_add_f64_e32 v[200:201], v[188:189], v[186:187]
	v_mul_f64_e32 v[172:173], v[6:7], v[172:173]
	ds_load_b128 v[186:189], v2 offset:1472
	v_fmac_f64_e32 v[194:195], v[180:181], v[162:163]
	v_fma_f64 v[178:179], v[178:179], v[162:163], -v[164:165]
	scratch_load_b128 v[162:165], off, off offset:672
	v_add_f64_e32 v[190:191], v[190:191], v[196:197]
	v_fmac_f64_e32 v[192:193], v[6:7], v[170:171]
	v_add_f64_e32 v[180:181], v[200:201], v[198:199]
	v_fma_f64 v[198:199], v[4:5], v[170:171], -v[172:173]
	ds_load_b128 v[4:7], v2 offset:1488
	s_wait_loadcnt_dscnt 0xa01
	v_mul_f64_e32 v[196:197], v[186:187], v[184:185]
	v_mul_f64_e32 v[184:185], v[188:189], v[184:185]
	scratch_load_b128 v[170:173], off, off offset:688
	v_add_f64_e32 v[190:191], v[190:191], v[194:195]
	v_add_f64_e32 v[200:201], v[180:181], v[178:179]
	s_wait_loadcnt_dscnt 0xa00
	v_mul_f64_e32 v[194:195], v[4:5], v[168:169]
	v_mul_f64_e32 v[168:169], v[6:7], v[168:169]
	v_fmac_f64_e32 v[196:197], v[188:189], v[182:183]
	v_fma_f64 v[186:187], v[186:187], v[182:183], -v[184:185]
	ds_load_b128 v[178:181], v2 offset:1504
	scratch_load_b128 v[182:185], off, off offset:704
	v_add_f64_e32 v[190:191], v[190:191], v[192:193]
	v_add_f64_e32 v[188:189], v[200:201], v[198:199]
	v_fmac_f64_e32 v[194:195], v[6:7], v[166:167]
	v_fma_f64 v[198:199], v[4:5], v[166:167], -v[168:169]
	ds_load_b128 v[4:7], v2 offset:1520
	s_wait_loadcnt_dscnt 0xa01
	v_mul_f64_e32 v[192:193], v[178:179], v[12:13]
	v_mul_f64_e32 v[12:13], v[180:181], v[12:13]
	scratch_load_b128 v[166:169], off, off offset:720
	v_add_f64_e32 v[190:191], v[190:191], v[196:197]
	s_wait_loadcnt_dscnt 0xa00
	v_mul_f64_e32 v[196:197], v[4:5], v[136:137]
	v_add_f64_e32 v[200:201], v[188:189], v[186:187]
	v_mul_f64_e32 v[136:137], v[6:7], v[136:137]
	ds_load_b128 v[186:189], v2 offset:1536
	v_fmac_f64_e32 v[192:193], v[180:181], v[10:11]
	v_fma_f64 v[178:179], v[178:179], v[10:11], -v[12:13]
	scratch_load_b128 v[10:13], off, off offset:736
	v_add_f64_e32 v[190:191], v[190:191], v[194:195]
	v_fmac_f64_e32 v[196:197], v[6:7], v[134:135]
	v_add_f64_e32 v[180:181], v[200:201], v[198:199]
	v_fma_f64 v[198:199], v[4:5], v[134:135], -v[136:137]
	ds_load_b128 v[4:7], v2 offset:1552
	s_wait_loadcnt_dscnt 0xa01
	v_mul_f64_e32 v[194:195], v[186:187], v[140:141]
	v_mul_f64_e32 v[140:141], v[188:189], v[140:141]
	scratch_load_b128 v[134:137], off, off offset:752
	v_add_f64_e32 v[190:191], v[190:191], v[192:193]
	s_wait_loadcnt_dscnt 0xa00
	v_mul_f64_e32 v[192:193], v[4:5], v[144:145]
	v_add_f64_e32 v[200:201], v[180:181], v[178:179]
	v_mul_f64_e32 v[144:145], v[6:7], v[144:145]
	ds_load_b128 v[178:181], v2 offset:1568
	v_fmac_f64_e32 v[194:195], v[188:189], v[138:139]
	v_fma_f64 v[186:187], v[186:187], v[138:139], -v[140:141]
	scratch_load_b128 v[138:141], off, off offset:768
	v_add_f64_e32 v[190:191], v[190:191], v[196:197]
	v_fmac_f64_e32 v[192:193], v[6:7], v[142:143]
	v_add_f64_e32 v[188:189], v[200:201], v[198:199]
	;; [unrolled: 18-line block ×7, first 2 shown]
	v_fma_f64 v[198:199], v[4:5], v[134:135], -v[136:137]
	ds_load_b128 v[4:7], v2 offset:1744
	s_wait_loadcnt_dscnt 0xa01
	v_mul_f64_e32 v[194:195], v[186:187], v[140:141]
	v_mul_f64_e32 v[140:141], v[188:189], v[140:141]
	scratch_load_b128 v[134:137], off, off offset:944
	v_add_f64_e32 v[190:191], v[190:191], v[192:193]
	s_wait_loadcnt_dscnt 0xa00
	v_mul_f64_e32 v[192:193], v[4:5], v[144:145]
	v_add_f64_e32 v[200:201], v[180:181], v[178:179]
	v_mul_f64_e32 v[144:145], v[6:7], v[144:145]
	ds_load_b128 v[178:181], v2 offset:1760
	v_fmac_f64_e32 v[194:195], v[188:189], v[138:139]
	v_fma_f64 v[138:139], v[186:187], v[138:139], -v[140:141]
	s_wait_loadcnt_dscnt 0x900
	v_mul_f64_e32 v[188:189], v[178:179], v[148:149]
	v_mul_f64_e32 v[148:149], v[180:181], v[148:149]
	v_add_f64_e32 v[186:187], v[190:191], v[196:197]
	v_fmac_f64_e32 v[192:193], v[6:7], v[142:143]
	v_add_f64_e32 v[140:141], v[200:201], v[198:199]
	v_fma_f64 v[142:143], v[4:5], v[142:143], -v[144:145]
	v_fmac_f64_e32 v[188:189], v[180:181], v[146:147]
	v_fma_f64 v[146:147], v[178:179], v[146:147], -v[148:149]
	v_add_f64_e32 v[186:187], v[186:187], v[194:195]
	v_add_f64_e32 v[144:145], v[140:141], v[138:139]
	ds_load_b128 v[4:7], v2 offset:1776
	ds_load_b128 v[138:141], v2 offset:1792
	s_wait_loadcnt_dscnt 0x801
	v_mul_f64_e32 v[190:191], v[4:5], v[152:153]
	v_mul_f64_e32 v[152:153], v[6:7], v[152:153]
	s_wait_loadcnt_dscnt 0x700
	v_mul_f64_e32 v[148:149], v[138:139], v[156:157]
	v_mul_f64_e32 v[156:157], v[140:141], v[156:157]
	v_add_f64_e32 v[142:143], v[144:145], v[142:143]
	v_add_f64_e32 v[144:145], v[186:187], v[192:193]
	v_fmac_f64_e32 v[190:191], v[6:7], v[150:151]
	v_fma_f64 v[150:151], v[4:5], v[150:151], -v[152:153]
	v_fmac_f64_e32 v[148:149], v[140:141], v[154:155]
	v_fma_f64 v[138:139], v[138:139], v[154:155], -v[156:157]
	v_add_f64_e32 v[146:147], v[142:143], v[146:147]
	v_add_f64_e32 v[152:153], v[144:145], v[188:189]
	ds_load_b128 v[4:7], v2 offset:1808
	ds_load_b128 v[142:145], v2 offset:1824
	s_wait_loadcnt_dscnt 0x601
	v_mul_f64_e32 v[178:179], v[4:5], v[160:161]
	v_mul_f64_e32 v[160:161], v[6:7], v[160:161]
	v_add_f64_e32 v[140:141], v[146:147], v[150:151]
	v_add_f64_e32 v[146:147], v[152:153], v[190:191]
	s_wait_loadcnt_dscnt 0x500
	v_mul_f64_e32 v[150:151], v[142:143], v[164:165]
	v_mul_f64_e32 v[152:153], v[144:145], v[164:165]
	v_fmac_f64_e32 v[178:179], v[6:7], v[158:159]
	v_fma_f64 v[154:155], v[4:5], v[158:159], -v[160:161]
	v_add_f64_e32 v[156:157], v[140:141], v[138:139]
	v_add_f64_e32 v[146:147], v[146:147], v[148:149]
	ds_load_b128 v[4:7], v2 offset:1840
	ds_load_b128 v[138:141], v2 offset:1856
	v_fmac_f64_e32 v[150:151], v[144:145], v[162:163]
	v_fma_f64 v[142:143], v[142:143], v[162:163], -v[152:153]
	s_wait_loadcnt_dscnt 0x401
	v_mul_f64_e32 v[148:149], v[4:5], v[172:173]
	v_mul_f64_e32 v[158:159], v[6:7], v[172:173]
	s_wait_loadcnt_dscnt 0x300
	v_mul_f64_e32 v[152:153], v[138:139], v[184:185]
	v_add_f64_e32 v[144:145], v[156:157], v[154:155]
	v_add_f64_e32 v[146:147], v[146:147], v[178:179]
	v_mul_f64_e32 v[154:155], v[140:141], v[184:185]
	v_fmac_f64_e32 v[148:149], v[6:7], v[170:171]
	v_fma_f64 v[156:157], v[4:5], v[170:171], -v[158:159]
	v_fmac_f64_e32 v[152:153], v[140:141], v[182:183]
	v_add_f64_e32 v[158:159], v[144:145], v[142:143]
	v_add_f64_e32 v[146:147], v[146:147], v[150:151]
	ds_load_b128 v[4:7], v2 offset:1872
	ds_load_b128 v[142:145], v2 offset:1888
	v_fma_f64 v[138:139], v[138:139], v[182:183], -v[154:155]
	s_wait_loadcnt_dscnt 0x201
	v_mul_f64_e32 v[150:151], v[4:5], v[168:169]
	v_mul_f64_e32 v[160:161], v[6:7], v[168:169]
	v_add_f64_e32 v[140:141], v[158:159], v[156:157]
	v_add_f64_e32 v[146:147], v[146:147], v[148:149]
	s_wait_loadcnt_dscnt 0x100
	v_mul_f64_e32 v[148:149], v[142:143], v[12:13]
	v_mul_f64_e32 v[12:13], v[144:145], v[12:13]
	v_fmac_f64_e32 v[150:151], v[6:7], v[166:167]
	v_fma_f64 v[154:155], v[4:5], v[166:167], -v[160:161]
	ds_load_b128 v[4:7], v2 offset:1904
	v_add_f64_e32 v[138:139], v[140:141], v[138:139]
	v_add_f64_e32 v[140:141], v[146:147], v[152:153]
	v_fmac_f64_e32 v[148:149], v[144:145], v[10:11]
	v_fma_f64 v[10:11], v[142:143], v[10:11], -v[12:13]
	s_wait_loadcnt_dscnt 0x0
	v_mul_f64_e32 v[146:147], v[4:5], v[136:137]
	v_mul_f64_e32 v[136:137], v[6:7], v[136:137]
	v_add_f64_e32 v[12:13], v[138:139], v[154:155]
	v_add_f64_e32 v[138:139], v[140:141], v[150:151]
	s_delay_alu instid0(VALU_DEP_4) | instskip(NEXT) | instid1(VALU_DEP_4)
	v_fmac_f64_e32 v[146:147], v[6:7], v[134:135]
	v_fma_f64 v[4:5], v[4:5], v[134:135], -v[136:137]
	s_delay_alu instid0(VALU_DEP_4) | instskip(NEXT) | instid1(VALU_DEP_4)
	v_add_f64_e32 v[6:7], v[12:13], v[10:11]
	v_add_f64_e32 v[10:11], v[138:139], v[148:149]
	s_delay_alu instid0(VALU_DEP_2) | instskip(NEXT) | instid1(VALU_DEP_2)
	v_add_f64_e32 v[4:5], v[6:7], v[4:5]
	v_add_f64_e32 v[6:7], v[10:11], v[146:147]
	s_delay_alu instid0(VALU_DEP_2) | instskip(NEXT) | instid1(VALU_DEP_2)
	v_add_f64_e64 v[4:5], v[174:175], -v[4:5]
	v_add_f64_e64 v[6:7], v[176:177], -v[6:7]
	scratch_store_b128 off, v[4:7], off offset:320
	s_wait_xcnt 0x0
	v_cmpx_lt_u32_e32 19, v1
	s_cbranch_execz .LBB123_335
; %bb.334:
	scratch_load_b128 v[10:13], off, s57
	v_dual_mov_b32 v3, v2 :: v_dual_mov_b32 v4, v2
	v_mov_b32_e32 v5, v2
	scratch_store_b128 off, v[2:5], off offset:304
	s_wait_loadcnt 0x0
	ds_store_b128 v8, v[10:13]
.LBB123_335:
	s_wait_xcnt 0x0
	s_or_b32 exec_lo, exec_lo, s2
	s_wait_storecnt_dscnt 0x0
	s_barrier_signal -1
	s_barrier_wait -1
	s_clause 0x9
	scratch_load_b128 v[4:7], off, off offset:320
	scratch_load_b128 v[10:13], off, off offset:336
	;; [unrolled: 1-line block ×10, first 2 shown]
	ds_load_b128 v[166:169], v2 offset:1280
	ds_load_b128 v[174:177], v2 offset:1296
	s_clause 0x2
	scratch_load_b128 v[170:173], off, off offset:480
	scratch_load_b128 v[178:181], off, off offset:304
	;; [unrolled: 1-line block ×3, first 2 shown]
	s_mov_b32 s2, exec_lo
	s_wait_loadcnt_dscnt 0xc01
	v_mul_f64_e32 v[186:187], v[168:169], v[6:7]
	v_mul_f64_e32 v[190:191], v[166:167], v[6:7]
	s_wait_loadcnt_dscnt 0xb00
	v_mul_f64_e32 v[192:193], v[174:175], v[12:13]
	v_mul_f64_e32 v[12:13], v[176:177], v[12:13]
	s_delay_alu instid0(VALU_DEP_4) | instskip(NEXT) | instid1(VALU_DEP_4)
	v_fma_f64 v[194:195], v[166:167], v[4:5], -v[186:187]
	v_fmac_f64_e32 v[190:191], v[168:169], v[4:5]
	ds_load_b128 v[4:7], v2 offset:1312
	ds_load_b128 v[166:169], v2 offset:1328
	scratch_load_b128 v[186:189], off, off offset:512
	v_fmac_f64_e32 v[192:193], v[176:177], v[10:11]
	v_fma_f64 v[174:175], v[174:175], v[10:11], -v[12:13]
	scratch_load_b128 v[10:13], off, off offset:528
	s_wait_loadcnt_dscnt 0xc01
	v_mul_f64_e32 v[196:197], v[4:5], v[136:137]
	v_mul_f64_e32 v[136:137], v[6:7], v[136:137]
	v_add_f64_e32 v[176:177], 0, v[194:195]
	v_add_f64_e32 v[190:191], 0, v[190:191]
	s_wait_loadcnt_dscnt 0xb00
	v_mul_f64_e32 v[194:195], v[166:167], v[140:141]
	v_mul_f64_e32 v[140:141], v[168:169], v[140:141]
	v_fmac_f64_e32 v[196:197], v[6:7], v[134:135]
	v_fma_f64 v[198:199], v[4:5], v[134:135], -v[136:137]
	ds_load_b128 v[4:7], v2 offset:1344
	ds_load_b128 v[134:137], v2 offset:1360
	v_add_f64_e32 v[200:201], v[176:177], v[174:175]
	v_add_f64_e32 v[190:191], v[190:191], v[192:193]
	scratch_load_b128 v[174:177], off, off offset:544
	v_fmac_f64_e32 v[194:195], v[168:169], v[138:139]
	v_fma_f64 v[166:167], v[166:167], v[138:139], -v[140:141]
	scratch_load_b128 v[138:141], off, off offset:560
	s_wait_loadcnt_dscnt 0xc01
	v_mul_f64_e32 v[192:193], v[4:5], v[144:145]
	v_mul_f64_e32 v[144:145], v[6:7], v[144:145]
	v_add_f64_e32 v[168:169], v[200:201], v[198:199]
	v_add_f64_e32 v[190:191], v[190:191], v[196:197]
	s_wait_loadcnt_dscnt 0xb00
	v_mul_f64_e32 v[196:197], v[134:135], v[148:149]
	v_mul_f64_e32 v[148:149], v[136:137], v[148:149]
	v_fmac_f64_e32 v[192:193], v[6:7], v[142:143]
	v_fma_f64 v[198:199], v[4:5], v[142:143], -v[144:145]
	ds_load_b128 v[4:7], v2 offset:1376
	ds_load_b128 v[142:145], v2 offset:1392
	v_add_f64_e32 v[200:201], v[168:169], v[166:167]
	v_add_f64_e32 v[190:191], v[190:191], v[194:195]
	scratch_load_b128 v[166:169], off, off offset:576
	s_wait_loadcnt_dscnt 0xb01
	v_mul_f64_e32 v[194:195], v[4:5], v[152:153]
	v_mul_f64_e32 v[152:153], v[6:7], v[152:153]
	v_fmac_f64_e32 v[196:197], v[136:137], v[146:147]
	v_fma_f64 v[146:147], v[134:135], v[146:147], -v[148:149]
	scratch_load_b128 v[134:137], off, off offset:592
	v_add_f64_e32 v[148:149], v[200:201], v[198:199]
	v_add_f64_e32 v[190:191], v[190:191], v[192:193]
	s_wait_loadcnt_dscnt 0xb00
	v_mul_f64_e32 v[192:193], v[142:143], v[156:157]
	v_mul_f64_e32 v[156:157], v[144:145], v[156:157]
	v_fmac_f64_e32 v[194:195], v[6:7], v[150:151]
	v_fma_f64 v[198:199], v[4:5], v[150:151], -v[152:153]
	v_add_f64_e32 v[200:201], v[148:149], v[146:147]
	v_add_f64_e32 v[190:191], v[190:191], v[196:197]
	ds_load_b128 v[4:7], v2 offset:1408
	ds_load_b128 v[146:149], v2 offset:1424
	scratch_load_b128 v[150:153], off, off offset:608
	v_fmac_f64_e32 v[192:193], v[144:145], v[154:155]
	v_fma_f64 v[154:155], v[142:143], v[154:155], -v[156:157]
	scratch_load_b128 v[142:145], off, off offset:624
	s_wait_loadcnt_dscnt 0xc01
	v_mul_f64_e32 v[196:197], v[4:5], v[160:161]
	v_mul_f64_e32 v[160:161], v[6:7], v[160:161]
	v_add_f64_e32 v[156:157], v[200:201], v[198:199]
	v_add_f64_e32 v[190:191], v[190:191], v[194:195]
	s_wait_loadcnt_dscnt 0xb00
	v_mul_f64_e32 v[194:195], v[146:147], v[164:165]
	v_mul_f64_e32 v[164:165], v[148:149], v[164:165]
	v_fmac_f64_e32 v[196:197], v[6:7], v[158:159]
	v_fma_f64 v[198:199], v[4:5], v[158:159], -v[160:161]
	v_add_f64_e32 v[200:201], v[156:157], v[154:155]
	v_add_f64_e32 v[190:191], v[190:191], v[192:193]
	ds_load_b128 v[4:7], v2 offset:1440
	ds_load_b128 v[154:157], v2 offset:1456
	scratch_load_b128 v[158:161], off, off offset:640
	v_fmac_f64_e32 v[194:195], v[148:149], v[162:163]
	v_fma_f64 v[162:163], v[146:147], v[162:163], -v[164:165]
	scratch_load_b128 v[146:149], off, off offset:656
	s_wait_loadcnt_dscnt 0xc01
	v_mul_f64_e32 v[192:193], v[4:5], v[172:173]
	v_mul_f64_e32 v[172:173], v[6:7], v[172:173]
	;; [unrolled: 18-line block ×5, first 2 shown]
	v_add_f64_e32 v[184:185], v[200:201], v[198:199]
	v_add_f64_e32 v[190:191], v[190:191], v[196:197]
	s_wait_loadcnt_dscnt 0xa00
	v_mul_f64_e32 v[196:197], v[162:163], v[136:137]
	v_mul_f64_e32 v[136:137], v[164:165], v[136:137]
	v_fmac_f64_e32 v[192:193], v[6:7], v[166:167]
	v_fma_f64 v[198:199], v[4:5], v[166:167], -v[168:169]
	ds_load_b128 v[4:7], v2 offset:1568
	ds_load_b128 v[166:169], v2 offset:1584
	v_add_f64_e32 v[200:201], v[184:185], v[182:183]
	v_add_f64_e32 v[190:191], v[190:191], v[194:195]
	scratch_load_b128 v[182:185], off, off offset:768
	v_fmac_f64_e32 v[196:197], v[164:165], v[134:135]
	v_fma_f64 v[162:163], v[162:163], v[134:135], -v[136:137]
	scratch_load_b128 v[134:137], off, off offset:784
	s_wait_loadcnt_dscnt 0xb01
	v_mul_f64_e32 v[194:195], v[4:5], v[152:153]
	v_mul_f64_e32 v[152:153], v[6:7], v[152:153]
	v_add_f64_e32 v[164:165], v[200:201], v[198:199]
	v_add_f64_e32 v[190:191], v[190:191], v[192:193]
	s_wait_loadcnt_dscnt 0xa00
	v_mul_f64_e32 v[192:193], v[166:167], v[144:145]
	v_mul_f64_e32 v[144:145], v[168:169], v[144:145]
	v_fmac_f64_e32 v[194:195], v[6:7], v[150:151]
	v_fma_f64 v[198:199], v[4:5], v[150:151], -v[152:153]
	ds_load_b128 v[4:7], v2 offset:1600
	ds_load_b128 v[150:153], v2 offset:1616
	v_add_f64_e32 v[200:201], v[164:165], v[162:163]
	v_add_f64_e32 v[190:191], v[190:191], v[196:197]
	scratch_load_b128 v[162:165], off, off offset:800
	s_wait_loadcnt_dscnt 0xa01
	v_mul_f64_e32 v[196:197], v[4:5], v[160:161]
	v_mul_f64_e32 v[160:161], v[6:7], v[160:161]
	v_fmac_f64_e32 v[192:193], v[168:169], v[142:143]
	v_fma_f64 v[166:167], v[166:167], v[142:143], -v[144:145]
	scratch_load_b128 v[142:145], off, off offset:816
	v_add_f64_e32 v[168:169], v[200:201], v[198:199]
	v_add_f64_e32 v[190:191], v[190:191], v[194:195]
	s_wait_loadcnt_dscnt 0xa00
	v_mul_f64_e32 v[194:195], v[150:151], v[148:149]
	v_mul_f64_e32 v[148:149], v[152:153], v[148:149]
	v_fmac_f64_e32 v[196:197], v[6:7], v[158:159]
	v_fma_f64 v[198:199], v[4:5], v[158:159], -v[160:161]
	ds_load_b128 v[4:7], v2 offset:1632
	ds_load_b128 v[158:161], v2 offset:1648
	v_add_f64_e32 v[200:201], v[168:169], v[166:167]
	v_add_f64_e32 v[190:191], v[190:191], v[192:193]
	scratch_load_b128 v[166:169], off, off offset:832
	s_wait_loadcnt_dscnt 0xa01
	v_mul_f64_e32 v[192:193], v[4:5], v[172:173]
	v_mul_f64_e32 v[172:173], v[6:7], v[172:173]
	v_fmac_f64_e32 v[194:195], v[152:153], v[146:147]
	v_fma_f64 v[150:151], v[150:151], v[146:147], -v[148:149]
	scratch_load_b128 v[146:149], off, off offset:848
	v_add_f64_e32 v[152:153], v[200:201], v[198:199]
	v_add_f64_e32 v[190:191], v[190:191], v[196:197]
	s_wait_loadcnt_dscnt 0xa00
	v_mul_f64_e32 v[196:197], v[158:159], v[156:157]
	v_mul_f64_e32 v[156:157], v[160:161], v[156:157]
	v_fmac_f64_e32 v[192:193], v[6:7], v[170:171]
	v_fma_f64 v[198:199], v[4:5], v[170:171], -v[172:173]
	v_add_f64_e32 v[200:201], v[152:153], v[150:151]
	v_add_f64_e32 v[190:191], v[190:191], v[194:195]
	ds_load_b128 v[4:7], v2 offset:1664
	ds_load_b128 v[150:153], v2 offset:1680
	scratch_load_b128 v[170:173], off, off offset:864
	v_fmac_f64_e32 v[196:197], v[160:161], v[154:155]
	v_fma_f64 v[158:159], v[158:159], v[154:155], -v[156:157]
	scratch_load_b128 v[154:157], off, off offset:880
	s_wait_loadcnt_dscnt 0xb01
	v_mul_f64_e32 v[194:195], v[4:5], v[188:189]
	v_mul_f64_e32 v[188:189], v[6:7], v[188:189]
	v_add_f64_e32 v[160:161], v[200:201], v[198:199]
	v_add_f64_e32 v[190:191], v[190:191], v[192:193]
	s_wait_loadcnt_dscnt 0xa00
	v_mul_f64_e32 v[192:193], v[150:151], v[12:13]
	v_mul_f64_e32 v[12:13], v[152:153], v[12:13]
	v_fmac_f64_e32 v[194:195], v[6:7], v[186:187]
	v_fma_f64 v[198:199], v[4:5], v[186:187], -v[188:189]
	v_add_f64_e32 v[200:201], v[160:161], v[158:159]
	v_add_f64_e32 v[190:191], v[190:191], v[196:197]
	ds_load_b128 v[4:7], v2 offset:1696
	ds_load_b128 v[158:161], v2 offset:1712
	scratch_load_b128 v[186:189], off, off offset:896
	v_fmac_f64_e32 v[192:193], v[152:153], v[10:11]
	v_fma_f64 v[150:151], v[150:151], v[10:11], -v[12:13]
	scratch_load_b128 v[10:13], off, off offset:912
	s_wait_loadcnt_dscnt 0xb01
	v_mul_f64_e32 v[196:197], v[4:5], v[176:177]
	v_mul_f64_e32 v[176:177], v[6:7], v[176:177]
	;; [unrolled: 18-line block ×3, first 2 shown]
	v_add_f64_e32 v[160:161], v[200:201], v[198:199]
	v_add_f64_e32 v[190:191], v[190:191], v[196:197]
	s_wait_loadcnt_dscnt 0xa00
	v_mul_f64_e32 v[196:197], v[150:151], v[136:137]
	v_mul_f64_e32 v[136:137], v[152:153], v[136:137]
	v_fmac_f64_e32 v[192:193], v[6:7], v[182:183]
	v_fma_f64 v[182:183], v[4:5], v[182:183], -v[184:185]
	v_add_f64_e32 v[184:185], v[160:161], v[158:159]
	v_add_f64_e32 v[190:191], v[190:191], v[194:195]
	ds_load_b128 v[4:7], v2 offset:1760
	ds_load_b128 v[158:161], v2 offset:1776
	v_fmac_f64_e32 v[196:197], v[152:153], v[134:135]
	v_fma_f64 v[134:135], v[150:151], v[134:135], -v[136:137]
	s_wait_loadcnt_dscnt 0x901
	v_mul_f64_e32 v[194:195], v[4:5], v[164:165]
	v_mul_f64_e32 v[164:165], v[6:7], v[164:165]
	s_wait_loadcnt_dscnt 0x800
	v_mul_f64_e32 v[152:153], v[158:159], v[144:145]
	v_mul_f64_e32 v[144:145], v[160:161], v[144:145]
	v_add_f64_e32 v[136:137], v[184:185], v[182:183]
	v_add_f64_e32 v[150:151], v[190:191], v[192:193]
	v_fmac_f64_e32 v[194:195], v[6:7], v[162:163]
	v_fma_f64 v[162:163], v[4:5], v[162:163], -v[164:165]
	v_fmac_f64_e32 v[152:153], v[160:161], v[142:143]
	v_fma_f64 v[142:143], v[158:159], v[142:143], -v[144:145]
	v_add_f64_e32 v[164:165], v[136:137], v[134:135]
	v_add_f64_e32 v[150:151], v[150:151], v[196:197]
	ds_load_b128 v[4:7], v2 offset:1792
	ds_load_b128 v[134:137], v2 offset:1808
	s_wait_loadcnt_dscnt 0x701
	v_mul_f64_e32 v[182:183], v[4:5], v[168:169]
	v_mul_f64_e32 v[168:169], v[6:7], v[168:169]
	s_wait_loadcnt_dscnt 0x600
	v_mul_f64_e32 v[158:159], v[134:135], v[148:149]
	v_mul_f64_e32 v[148:149], v[136:137], v[148:149]
	v_add_f64_e32 v[144:145], v[164:165], v[162:163]
	v_add_f64_e32 v[150:151], v[150:151], v[194:195]
	v_fmac_f64_e32 v[182:183], v[6:7], v[166:167]
	v_fma_f64 v[160:161], v[4:5], v[166:167], -v[168:169]
	v_fmac_f64_e32 v[158:159], v[136:137], v[146:147]
	v_fma_f64 v[134:135], v[134:135], v[146:147], -v[148:149]
	v_add_f64_e32 v[162:163], v[144:145], v[142:143]
	v_add_f64_e32 v[150:151], v[150:151], v[152:153]
	ds_load_b128 v[4:7], v2 offset:1824
	ds_load_b128 v[142:145], v2 offset:1840
	s_wait_loadcnt_dscnt 0x501
	v_mul_f64_e32 v[152:153], v[4:5], v[172:173]
	v_mul_f64_e32 v[164:165], v[6:7], v[172:173]
	s_wait_loadcnt_dscnt 0x400
	v_mul_f64_e32 v[148:149], v[142:143], v[156:157]
	v_add_f64_e32 v[136:137], v[162:163], v[160:161]
	v_add_f64_e32 v[146:147], v[150:151], v[182:183]
	v_mul_f64_e32 v[150:151], v[144:145], v[156:157]
	v_fmac_f64_e32 v[152:153], v[6:7], v[170:171]
	v_fma_f64 v[156:157], v[4:5], v[170:171], -v[164:165]
	v_fmac_f64_e32 v[148:149], v[144:145], v[154:155]
	v_add_f64_e32 v[160:161], v[136:137], v[134:135]
	v_add_f64_e32 v[146:147], v[146:147], v[158:159]
	ds_load_b128 v[4:7], v2 offset:1856
	ds_load_b128 v[134:137], v2 offset:1872
	v_fma_f64 v[142:143], v[142:143], v[154:155], -v[150:151]
	s_wait_loadcnt_dscnt 0x301
	v_mul_f64_e32 v[158:159], v[4:5], v[188:189]
	v_mul_f64_e32 v[162:163], v[6:7], v[188:189]
	s_wait_loadcnt_dscnt 0x200
	v_mul_f64_e32 v[150:151], v[134:135], v[12:13]
	v_mul_f64_e32 v[12:13], v[136:137], v[12:13]
	v_add_f64_e32 v[144:145], v[160:161], v[156:157]
	v_add_f64_e32 v[146:147], v[146:147], v[152:153]
	v_fmac_f64_e32 v[158:159], v[6:7], v[186:187]
	v_fma_f64 v[152:153], v[4:5], v[186:187], -v[162:163]
	v_fmac_f64_e32 v[150:151], v[136:137], v[10:11]
	v_fma_f64 v[10:11], v[134:135], v[10:11], -v[12:13]
	v_add_f64_e32 v[154:155], v[144:145], v[142:143]
	v_add_f64_e32 v[146:147], v[146:147], v[148:149]
	ds_load_b128 v[4:7], v2 offset:1888
	ds_load_b128 v[142:145], v2 offset:1904
	s_wait_loadcnt_dscnt 0x101
	v_mul_f64_e32 v[2:3], v[4:5], v[176:177]
	v_mul_f64_e32 v[148:149], v[6:7], v[176:177]
	s_wait_loadcnt_dscnt 0x0
	v_mul_f64_e32 v[136:137], v[142:143], v[140:141]
	v_mul_f64_e32 v[140:141], v[144:145], v[140:141]
	v_add_f64_e32 v[12:13], v[154:155], v[152:153]
	v_add_f64_e32 v[134:135], v[146:147], v[158:159]
	v_fmac_f64_e32 v[2:3], v[6:7], v[174:175]
	v_fma_f64 v[4:5], v[4:5], v[174:175], -v[148:149]
	v_fmac_f64_e32 v[136:137], v[144:145], v[138:139]
	v_add_f64_e32 v[6:7], v[12:13], v[10:11]
	v_add_f64_e32 v[10:11], v[134:135], v[150:151]
	v_fma_f64 v[12:13], v[142:143], v[138:139], -v[140:141]
	s_delay_alu instid0(VALU_DEP_3) | instskip(NEXT) | instid1(VALU_DEP_3)
	v_add_f64_e32 v[4:5], v[6:7], v[4:5]
	v_add_f64_e32 v[2:3], v[10:11], v[2:3]
	s_delay_alu instid0(VALU_DEP_2) | instskip(NEXT) | instid1(VALU_DEP_2)
	v_add_f64_e32 v[4:5], v[4:5], v[12:13]
	v_add_f64_e32 v[6:7], v[2:3], v[136:137]
	s_delay_alu instid0(VALU_DEP_2) | instskip(NEXT) | instid1(VALU_DEP_2)
	v_add_f64_e64 v[2:3], v[178:179], -v[4:5]
	v_add_f64_e64 v[4:5], v[180:181], -v[6:7]
	scratch_store_b128 off, v[2:5], off offset:304
	s_wait_xcnt 0x0
	v_cmpx_lt_u32_e32 18, v1
	s_cbranch_execz .LBB123_337
; %bb.336:
	scratch_load_b128 v[2:5], off, s58
	v_mov_b32_e32 v10, 0
	s_delay_alu instid0(VALU_DEP_1)
	v_dual_mov_b32 v11, v10 :: v_dual_mov_b32 v12, v10
	v_mov_b32_e32 v13, v10
	scratch_store_b128 off, v[10:13], off offset:288
	s_wait_loadcnt 0x0
	ds_store_b128 v8, v[2:5]
.LBB123_337:
	s_wait_xcnt 0x0
	s_or_b32 exec_lo, exec_lo, s2
	s_wait_storecnt_dscnt 0x0
	s_barrier_signal -1
	s_barrier_wait -1
	s_clause 0x9
	scratch_load_b128 v[4:7], off, off offset:304
	scratch_load_b128 v[10:13], off, off offset:320
	;; [unrolled: 1-line block ×10, first 2 shown]
	v_mov_b32_e32 v2, 0
	s_mov_b32 s2, exec_lo
	ds_load_b128 v[166:169], v2 offset:1264
	s_clause 0x2
	scratch_load_b128 v[170:173], off, off offset:464
	scratch_load_b128 v[174:177], off, off offset:288
	;; [unrolled: 1-line block ×3, first 2 shown]
	s_wait_loadcnt_dscnt 0xc00
	v_mul_f64_e32 v[186:187], v[168:169], v[6:7]
	v_mul_f64_e32 v[190:191], v[166:167], v[6:7]
	ds_load_b128 v[178:181], v2 offset:1280
	v_fma_f64 v[194:195], v[166:167], v[4:5], -v[186:187]
	v_fmac_f64_e32 v[190:191], v[168:169], v[4:5]
	ds_load_b128 v[4:7], v2 offset:1296
	s_wait_loadcnt_dscnt 0xb01
	v_mul_f64_e32 v[192:193], v[178:179], v[12:13]
	v_mul_f64_e32 v[12:13], v[180:181], v[12:13]
	scratch_load_b128 v[166:169], off, off offset:496
	ds_load_b128 v[186:189], v2 offset:1312
	s_wait_loadcnt_dscnt 0xb01
	v_mul_f64_e32 v[196:197], v[4:5], v[136:137]
	v_mul_f64_e32 v[136:137], v[6:7], v[136:137]
	v_add_f64_e32 v[190:191], 0, v[190:191]
	v_fmac_f64_e32 v[192:193], v[180:181], v[10:11]
	v_fma_f64 v[178:179], v[178:179], v[10:11], -v[12:13]
	v_add_f64_e32 v[180:181], 0, v[194:195]
	scratch_load_b128 v[10:13], off, off offset:512
	v_fmac_f64_e32 v[196:197], v[6:7], v[134:135]
	v_fma_f64 v[198:199], v[4:5], v[134:135], -v[136:137]
	ds_load_b128 v[4:7], v2 offset:1328
	s_wait_loadcnt_dscnt 0xb01
	v_mul_f64_e32 v[194:195], v[186:187], v[140:141]
	v_mul_f64_e32 v[140:141], v[188:189], v[140:141]
	scratch_load_b128 v[134:137], off, off offset:528
	v_add_f64_e32 v[190:191], v[190:191], v[192:193]
	v_add_f64_e32 v[200:201], v[180:181], v[178:179]
	ds_load_b128 v[178:181], v2 offset:1344
	s_wait_loadcnt_dscnt 0xb01
	v_mul_f64_e32 v[192:193], v[4:5], v[144:145]
	v_mul_f64_e32 v[144:145], v[6:7], v[144:145]
	v_fmac_f64_e32 v[194:195], v[188:189], v[138:139]
	v_fma_f64 v[186:187], v[186:187], v[138:139], -v[140:141]
	scratch_load_b128 v[138:141], off, off offset:544
	v_add_f64_e32 v[190:191], v[190:191], v[196:197]
	v_add_f64_e32 v[188:189], v[200:201], v[198:199]
	v_fmac_f64_e32 v[192:193], v[6:7], v[142:143]
	v_fma_f64 v[198:199], v[4:5], v[142:143], -v[144:145]
	ds_load_b128 v[4:7], v2 offset:1360
	s_wait_loadcnt_dscnt 0xb01
	v_mul_f64_e32 v[196:197], v[178:179], v[148:149]
	v_mul_f64_e32 v[148:149], v[180:181], v[148:149]
	scratch_load_b128 v[142:145], off, off offset:560
	v_add_f64_e32 v[190:191], v[190:191], v[194:195]
	s_wait_loadcnt_dscnt 0xb00
	v_mul_f64_e32 v[194:195], v[4:5], v[152:153]
	v_add_f64_e32 v[200:201], v[188:189], v[186:187]
	v_mul_f64_e32 v[152:153], v[6:7], v[152:153]
	ds_load_b128 v[186:189], v2 offset:1376
	v_fmac_f64_e32 v[196:197], v[180:181], v[146:147]
	v_fma_f64 v[178:179], v[178:179], v[146:147], -v[148:149]
	scratch_load_b128 v[146:149], off, off offset:576
	v_add_f64_e32 v[190:191], v[190:191], v[192:193]
	v_fmac_f64_e32 v[194:195], v[6:7], v[150:151]
	v_add_f64_e32 v[180:181], v[200:201], v[198:199]
	v_fma_f64 v[198:199], v[4:5], v[150:151], -v[152:153]
	ds_load_b128 v[4:7], v2 offset:1392
	s_wait_loadcnt_dscnt 0xb01
	v_mul_f64_e32 v[192:193], v[186:187], v[156:157]
	v_mul_f64_e32 v[156:157], v[188:189], v[156:157]
	scratch_load_b128 v[150:153], off, off offset:592
	v_add_f64_e32 v[190:191], v[190:191], v[196:197]
	s_wait_loadcnt_dscnt 0xb00
	v_mul_f64_e32 v[196:197], v[4:5], v[160:161]
	v_add_f64_e32 v[200:201], v[180:181], v[178:179]
	v_mul_f64_e32 v[160:161], v[6:7], v[160:161]
	ds_load_b128 v[178:181], v2 offset:1408
	v_fmac_f64_e32 v[192:193], v[188:189], v[154:155]
	v_fma_f64 v[186:187], v[186:187], v[154:155], -v[156:157]
	scratch_load_b128 v[154:157], off, off offset:608
	v_add_f64_e32 v[190:191], v[190:191], v[194:195]
	v_fmac_f64_e32 v[196:197], v[6:7], v[158:159]
	v_add_f64_e32 v[188:189], v[200:201], v[198:199]
	;; [unrolled: 18-line block ×3, first 2 shown]
	v_fma_f64 v[198:199], v[4:5], v[170:171], -v[172:173]
	ds_load_b128 v[4:7], v2 offset:1456
	s_wait_loadcnt_dscnt 0xa01
	v_mul_f64_e32 v[196:197], v[186:187], v[184:185]
	v_mul_f64_e32 v[184:185], v[188:189], v[184:185]
	scratch_load_b128 v[170:173], off, off offset:656
	v_add_f64_e32 v[190:191], v[190:191], v[194:195]
	v_add_f64_e32 v[200:201], v[180:181], v[178:179]
	s_wait_loadcnt_dscnt 0xa00
	v_mul_f64_e32 v[194:195], v[4:5], v[168:169]
	v_mul_f64_e32 v[168:169], v[6:7], v[168:169]
	v_fmac_f64_e32 v[196:197], v[188:189], v[182:183]
	v_fma_f64 v[186:187], v[186:187], v[182:183], -v[184:185]
	ds_load_b128 v[178:181], v2 offset:1472
	scratch_load_b128 v[182:185], off, off offset:672
	v_add_f64_e32 v[190:191], v[190:191], v[192:193]
	v_add_f64_e32 v[188:189], v[200:201], v[198:199]
	v_fmac_f64_e32 v[194:195], v[6:7], v[166:167]
	v_fma_f64 v[198:199], v[4:5], v[166:167], -v[168:169]
	ds_load_b128 v[4:7], v2 offset:1488
	s_wait_loadcnt_dscnt 0xa01
	v_mul_f64_e32 v[192:193], v[178:179], v[12:13]
	v_mul_f64_e32 v[12:13], v[180:181], v[12:13]
	scratch_load_b128 v[166:169], off, off offset:688
	v_add_f64_e32 v[190:191], v[190:191], v[196:197]
	s_wait_loadcnt_dscnt 0xa00
	v_mul_f64_e32 v[196:197], v[4:5], v[136:137]
	v_add_f64_e32 v[200:201], v[188:189], v[186:187]
	v_mul_f64_e32 v[136:137], v[6:7], v[136:137]
	ds_load_b128 v[186:189], v2 offset:1504
	v_fmac_f64_e32 v[192:193], v[180:181], v[10:11]
	v_fma_f64 v[178:179], v[178:179], v[10:11], -v[12:13]
	scratch_load_b128 v[10:13], off, off offset:704
	v_add_f64_e32 v[190:191], v[190:191], v[194:195]
	v_fmac_f64_e32 v[196:197], v[6:7], v[134:135]
	v_add_f64_e32 v[180:181], v[200:201], v[198:199]
	v_fma_f64 v[198:199], v[4:5], v[134:135], -v[136:137]
	ds_load_b128 v[4:7], v2 offset:1520
	s_wait_loadcnt_dscnt 0xa01
	v_mul_f64_e32 v[194:195], v[186:187], v[140:141]
	v_mul_f64_e32 v[140:141], v[188:189], v[140:141]
	scratch_load_b128 v[134:137], off, off offset:720
	v_add_f64_e32 v[190:191], v[190:191], v[192:193]
	s_wait_loadcnt_dscnt 0xa00
	v_mul_f64_e32 v[192:193], v[4:5], v[144:145]
	v_add_f64_e32 v[200:201], v[180:181], v[178:179]
	v_mul_f64_e32 v[144:145], v[6:7], v[144:145]
	ds_load_b128 v[178:181], v2 offset:1536
	v_fmac_f64_e32 v[194:195], v[188:189], v[138:139]
	v_fma_f64 v[186:187], v[186:187], v[138:139], -v[140:141]
	scratch_load_b128 v[138:141], off, off offset:736
	v_add_f64_e32 v[190:191], v[190:191], v[196:197]
	v_fmac_f64_e32 v[192:193], v[6:7], v[142:143]
	v_add_f64_e32 v[188:189], v[200:201], v[198:199]
	;; [unrolled: 18-line block ×8, first 2 shown]
	v_fma_f64 v[198:199], v[4:5], v[142:143], -v[144:145]
	ds_load_b128 v[4:7], v2 offset:1744
	s_wait_loadcnt_dscnt 0xa01
	v_mul_f64_e32 v[196:197], v[178:179], v[148:149]
	v_mul_f64_e32 v[148:149], v[180:181], v[148:149]
	scratch_load_b128 v[142:145], off, off offset:944
	v_add_f64_e32 v[190:191], v[190:191], v[194:195]
	s_wait_loadcnt_dscnt 0xa00
	v_mul_f64_e32 v[194:195], v[4:5], v[152:153]
	v_add_f64_e32 v[200:201], v[188:189], v[186:187]
	v_mul_f64_e32 v[152:153], v[6:7], v[152:153]
	ds_load_b128 v[186:189], v2 offset:1760
	v_fmac_f64_e32 v[196:197], v[180:181], v[146:147]
	v_fma_f64 v[146:147], v[178:179], v[146:147], -v[148:149]
	s_wait_loadcnt_dscnt 0x900
	v_mul_f64_e32 v[180:181], v[186:187], v[156:157]
	v_mul_f64_e32 v[156:157], v[188:189], v[156:157]
	v_add_f64_e32 v[178:179], v[190:191], v[192:193]
	v_fmac_f64_e32 v[194:195], v[6:7], v[150:151]
	v_add_f64_e32 v[148:149], v[200:201], v[198:199]
	v_fma_f64 v[150:151], v[4:5], v[150:151], -v[152:153]
	v_fmac_f64_e32 v[180:181], v[188:189], v[154:155]
	v_fma_f64 v[154:155], v[186:187], v[154:155], -v[156:157]
	v_add_f64_e32 v[178:179], v[178:179], v[196:197]
	v_add_f64_e32 v[152:153], v[148:149], v[146:147]
	ds_load_b128 v[4:7], v2 offset:1776
	ds_load_b128 v[146:149], v2 offset:1792
	s_wait_loadcnt_dscnt 0x801
	v_mul_f64_e32 v[190:191], v[4:5], v[160:161]
	v_mul_f64_e32 v[160:161], v[6:7], v[160:161]
	s_wait_loadcnt_dscnt 0x700
	v_mul_f64_e32 v[156:157], v[146:147], v[164:165]
	v_mul_f64_e32 v[164:165], v[148:149], v[164:165]
	v_add_f64_e32 v[150:151], v[152:153], v[150:151]
	v_add_f64_e32 v[152:153], v[178:179], v[194:195]
	v_fmac_f64_e32 v[190:191], v[6:7], v[158:159]
	v_fma_f64 v[158:159], v[4:5], v[158:159], -v[160:161]
	v_fmac_f64_e32 v[156:157], v[148:149], v[162:163]
	v_fma_f64 v[146:147], v[146:147], v[162:163], -v[164:165]
	v_add_f64_e32 v[154:155], v[150:151], v[154:155]
	v_add_f64_e32 v[160:161], v[152:153], v[180:181]
	ds_load_b128 v[4:7], v2 offset:1808
	ds_load_b128 v[150:153], v2 offset:1824
	s_wait_loadcnt_dscnt 0x601
	v_mul_f64_e32 v[178:179], v[4:5], v[172:173]
	v_mul_f64_e32 v[172:173], v[6:7], v[172:173]
	v_add_f64_e32 v[148:149], v[154:155], v[158:159]
	v_add_f64_e32 v[154:155], v[160:161], v[190:191]
	s_wait_loadcnt_dscnt 0x500
	v_mul_f64_e32 v[158:159], v[150:151], v[184:185]
	v_mul_f64_e32 v[160:161], v[152:153], v[184:185]
	v_fmac_f64_e32 v[178:179], v[6:7], v[170:171]
	v_fma_f64 v[162:163], v[4:5], v[170:171], -v[172:173]
	v_add_f64_e32 v[164:165], v[148:149], v[146:147]
	v_add_f64_e32 v[154:155], v[154:155], v[156:157]
	ds_load_b128 v[4:7], v2 offset:1840
	ds_load_b128 v[146:149], v2 offset:1856
	v_fmac_f64_e32 v[158:159], v[152:153], v[182:183]
	v_fma_f64 v[150:151], v[150:151], v[182:183], -v[160:161]
	s_wait_loadcnt_dscnt 0x401
	v_mul_f64_e32 v[156:157], v[4:5], v[168:169]
	v_mul_f64_e32 v[168:169], v[6:7], v[168:169]
	s_wait_loadcnt_dscnt 0x300
	v_mul_f64_e32 v[160:161], v[146:147], v[12:13]
	v_mul_f64_e32 v[12:13], v[148:149], v[12:13]
	v_add_f64_e32 v[152:153], v[164:165], v[162:163]
	v_add_f64_e32 v[154:155], v[154:155], v[178:179]
	v_fmac_f64_e32 v[156:157], v[6:7], v[166:167]
	v_fma_f64 v[162:163], v[4:5], v[166:167], -v[168:169]
	v_fmac_f64_e32 v[160:161], v[148:149], v[10:11]
	v_fma_f64 v[10:11], v[146:147], v[10:11], -v[12:13]
	v_add_f64_e32 v[164:165], v[152:153], v[150:151]
	v_add_f64_e32 v[154:155], v[154:155], v[158:159]
	ds_load_b128 v[4:7], v2 offset:1872
	ds_load_b128 v[150:153], v2 offset:1888
	s_wait_loadcnt_dscnt 0x201
	v_mul_f64_e32 v[158:159], v[4:5], v[136:137]
	v_mul_f64_e32 v[136:137], v[6:7], v[136:137]
	s_wait_loadcnt_dscnt 0x100
	v_mul_f64_e32 v[148:149], v[150:151], v[140:141]
	v_mul_f64_e32 v[140:141], v[152:153], v[140:141]
	v_add_f64_e32 v[12:13], v[164:165], v[162:163]
	v_add_f64_e32 v[146:147], v[154:155], v[156:157]
	v_fmac_f64_e32 v[158:159], v[6:7], v[134:135]
	v_fma_f64 v[134:135], v[4:5], v[134:135], -v[136:137]
	ds_load_b128 v[4:7], v2 offset:1904
	v_fmac_f64_e32 v[148:149], v[152:153], v[138:139]
	v_fma_f64 v[138:139], v[150:151], v[138:139], -v[140:141]
	v_add_f64_e32 v[10:11], v[12:13], v[10:11]
	v_add_f64_e32 v[12:13], v[146:147], v[160:161]
	s_wait_loadcnt_dscnt 0x0
	v_mul_f64_e32 v[136:137], v[4:5], v[144:145]
	v_mul_f64_e32 v[144:145], v[6:7], v[144:145]
	s_delay_alu instid0(VALU_DEP_4) | instskip(NEXT) | instid1(VALU_DEP_4)
	v_add_f64_e32 v[10:11], v[10:11], v[134:135]
	v_add_f64_e32 v[12:13], v[12:13], v[158:159]
	s_delay_alu instid0(VALU_DEP_4) | instskip(NEXT) | instid1(VALU_DEP_4)
	v_fmac_f64_e32 v[136:137], v[6:7], v[142:143]
	v_fma_f64 v[4:5], v[4:5], v[142:143], -v[144:145]
	s_delay_alu instid0(VALU_DEP_4) | instskip(NEXT) | instid1(VALU_DEP_4)
	v_add_f64_e32 v[6:7], v[10:11], v[138:139]
	v_add_f64_e32 v[10:11], v[12:13], v[148:149]
	s_delay_alu instid0(VALU_DEP_2) | instskip(NEXT) | instid1(VALU_DEP_2)
	v_add_f64_e32 v[4:5], v[6:7], v[4:5]
	v_add_f64_e32 v[6:7], v[10:11], v[136:137]
	s_delay_alu instid0(VALU_DEP_2) | instskip(NEXT) | instid1(VALU_DEP_2)
	v_add_f64_e64 v[4:5], v[174:175], -v[4:5]
	v_add_f64_e64 v[6:7], v[176:177], -v[6:7]
	scratch_store_b128 off, v[4:7], off offset:288
	s_wait_xcnt 0x0
	v_cmpx_lt_u32_e32 17, v1
	s_cbranch_execz .LBB123_339
; %bb.338:
	scratch_load_b128 v[10:13], off, s59
	v_dual_mov_b32 v3, v2 :: v_dual_mov_b32 v4, v2
	v_mov_b32_e32 v5, v2
	scratch_store_b128 off, v[2:5], off offset:272
	s_wait_loadcnt 0x0
	ds_store_b128 v8, v[10:13]
.LBB123_339:
	s_wait_xcnt 0x0
	s_or_b32 exec_lo, exec_lo, s2
	s_wait_storecnt_dscnt 0x0
	s_barrier_signal -1
	s_barrier_wait -1
	s_clause 0x9
	scratch_load_b128 v[4:7], off, off offset:288
	scratch_load_b128 v[10:13], off, off offset:304
	;; [unrolled: 1-line block ×10, first 2 shown]
	ds_load_b128 v[166:169], v2 offset:1248
	ds_load_b128 v[174:177], v2 offset:1264
	s_clause 0x2
	scratch_load_b128 v[170:173], off, off offset:448
	scratch_load_b128 v[178:181], off, off offset:272
	scratch_load_b128 v[182:185], off, off offset:464
	s_mov_b32 s2, exec_lo
	s_wait_loadcnt_dscnt 0xc01
	v_mul_f64_e32 v[186:187], v[168:169], v[6:7]
	v_mul_f64_e32 v[190:191], v[166:167], v[6:7]
	s_wait_loadcnt_dscnt 0xb00
	v_mul_f64_e32 v[192:193], v[174:175], v[12:13]
	v_mul_f64_e32 v[12:13], v[176:177], v[12:13]
	s_delay_alu instid0(VALU_DEP_4) | instskip(NEXT) | instid1(VALU_DEP_4)
	v_fma_f64 v[194:195], v[166:167], v[4:5], -v[186:187]
	v_fmac_f64_e32 v[190:191], v[168:169], v[4:5]
	ds_load_b128 v[4:7], v2 offset:1280
	ds_load_b128 v[166:169], v2 offset:1296
	scratch_load_b128 v[186:189], off, off offset:480
	v_fmac_f64_e32 v[192:193], v[176:177], v[10:11]
	v_fma_f64 v[174:175], v[174:175], v[10:11], -v[12:13]
	scratch_load_b128 v[10:13], off, off offset:496
	s_wait_loadcnt_dscnt 0xc01
	v_mul_f64_e32 v[196:197], v[4:5], v[136:137]
	v_mul_f64_e32 v[136:137], v[6:7], v[136:137]
	v_add_f64_e32 v[176:177], 0, v[194:195]
	v_add_f64_e32 v[190:191], 0, v[190:191]
	s_wait_loadcnt_dscnt 0xb00
	v_mul_f64_e32 v[194:195], v[166:167], v[140:141]
	v_mul_f64_e32 v[140:141], v[168:169], v[140:141]
	v_fmac_f64_e32 v[196:197], v[6:7], v[134:135]
	v_fma_f64 v[198:199], v[4:5], v[134:135], -v[136:137]
	ds_load_b128 v[4:7], v2 offset:1312
	ds_load_b128 v[134:137], v2 offset:1328
	v_add_f64_e32 v[200:201], v[176:177], v[174:175]
	v_add_f64_e32 v[190:191], v[190:191], v[192:193]
	scratch_load_b128 v[174:177], off, off offset:512
	v_fmac_f64_e32 v[194:195], v[168:169], v[138:139]
	v_fma_f64 v[166:167], v[166:167], v[138:139], -v[140:141]
	scratch_load_b128 v[138:141], off, off offset:528
	s_wait_loadcnt_dscnt 0xc01
	v_mul_f64_e32 v[192:193], v[4:5], v[144:145]
	v_mul_f64_e32 v[144:145], v[6:7], v[144:145]
	v_add_f64_e32 v[168:169], v[200:201], v[198:199]
	v_add_f64_e32 v[190:191], v[190:191], v[196:197]
	s_wait_loadcnt_dscnt 0xb00
	v_mul_f64_e32 v[196:197], v[134:135], v[148:149]
	v_mul_f64_e32 v[148:149], v[136:137], v[148:149]
	v_fmac_f64_e32 v[192:193], v[6:7], v[142:143]
	v_fma_f64 v[198:199], v[4:5], v[142:143], -v[144:145]
	ds_load_b128 v[4:7], v2 offset:1344
	ds_load_b128 v[142:145], v2 offset:1360
	v_add_f64_e32 v[200:201], v[168:169], v[166:167]
	v_add_f64_e32 v[190:191], v[190:191], v[194:195]
	scratch_load_b128 v[166:169], off, off offset:544
	s_wait_loadcnt_dscnt 0xb01
	v_mul_f64_e32 v[194:195], v[4:5], v[152:153]
	v_mul_f64_e32 v[152:153], v[6:7], v[152:153]
	v_fmac_f64_e32 v[196:197], v[136:137], v[146:147]
	v_fma_f64 v[146:147], v[134:135], v[146:147], -v[148:149]
	scratch_load_b128 v[134:137], off, off offset:560
	v_add_f64_e32 v[148:149], v[200:201], v[198:199]
	v_add_f64_e32 v[190:191], v[190:191], v[192:193]
	s_wait_loadcnt_dscnt 0xb00
	v_mul_f64_e32 v[192:193], v[142:143], v[156:157]
	v_mul_f64_e32 v[156:157], v[144:145], v[156:157]
	v_fmac_f64_e32 v[194:195], v[6:7], v[150:151]
	v_fma_f64 v[198:199], v[4:5], v[150:151], -v[152:153]
	v_add_f64_e32 v[200:201], v[148:149], v[146:147]
	v_add_f64_e32 v[190:191], v[190:191], v[196:197]
	ds_load_b128 v[4:7], v2 offset:1376
	ds_load_b128 v[146:149], v2 offset:1392
	scratch_load_b128 v[150:153], off, off offset:576
	v_fmac_f64_e32 v[192:193], v[144:145], v[154:155]
	v_fma_f64 v[154:155], v[142:143], v[154:155], -v[156:157]
	scratch_load_b128 v[142:145], off, off offset:592
	s_wait_loadcnt_dscnt 0xc01
	v_mul_f64_e32 v[196:197], v[4:5], v[160:161]
	v_mul_f64_e32 v[160:161], v[6:7], v[160:161]
	v_add_f64_e32 v[156:157], v[200:201], v[198:199]
	v_add_f64_e32 v[190:191], v[190:191], v[194:195]
	s_wait_loadcnt_dscnt 0xb00
	v_mul_f64_e32 v[194:195], v[146:147], v[164:165]
	v_mul_f64_e32 v[164:165], v[148:149], v[164:165]
	v_fmac_f64_e32 v[196:197], v[6:7], v[158:159]
	v_fma_f64 v[198:199], v[4:5], v[158:159], -v[160:161]
	v_add_f64_e32 v[200:201], v[156:157], v[154:155]
	v_add_f64_e32 v[190:191], v[190:191], v[192:193]
	ds_load_b128 v[4:7], v2 offset:1408
	ds_load_b128 v[154:157], v2 offset:1424
	scratch_load_b128 v[158:161], off, off offset:608
	v_fmac_f64_e32 v[194:195], v[148:149], v[162:163]
	v_fma_f64 v[162:163], v[146:147], v[162:163], -v[164:165]
	scratch_load_b128 v[146:149], off, off offset:624
	s_wait_loadcnt_dscnt 0xc01
	v_mul_f64_e32 v[192:193], v[4:5], v[172:173]
	v_mul_f64_e32 v[172:173], v[6:7], v[172:173]
	;; [unrolled: 18-line block ×5, first 2 shown]
	v_add_f64_e32 v[184:185], v[200:201], v[198:199]
	v_add_f64_e32 v[190:191], v[190:191], v[196:197]
	s_wait_loadcnt_dscnt 0xa00
	v_mul_f64_e32 v[196:197], v[162:163], v[136:137]
	v_mul_f64_e32 v[136:137], v[164:165], v[136:137]
	v_fmac_f64_e32 v[192:193], v[6:7], v[166:167]
	v_fma_f64 v[198:199], v[4:5], v[166:167], -v[168:169]
	ds_load_b128 v[4:7], v2 offset:1536
	ds_load_b128 v[166:169], v2 offset:1552
	v_add_f64_e32 v[200:201], v[184:185], v[182:183]
	v_add_f64_e32 v[190:191], v[190:191], v[194:195]
	scratch_load_b128 v[182:185], off, off offset:736
	v_fmac_f64_e32 v[196:197], v[164:165], v[134:135]
	v_fma_f64 v[162:163], v[162:163], v[134:135], -v[136:137]
	scratch_load_b128 v[134:137], off, off offset:752
	s_wait_loadcnt_dscnt 0xb01
	v_mul_f64_e32 v[194:195], v[4:5], v[152:153]
	v_mul_f64_e32 v[152:153], v[6:7], v[152:153]
	v_add_f64_e32 v[164:165], v[200:201], v[198:199]
	v_add_f64_e32 v[190:191], v[190:191], v[192:193]
	s_wait_loadcnt_dscnt 0xa00
	v_mul_f64_e32 v[192:193], v[166:167], v[144:145]
	v_mul_f64_e32 v[144:145], v[168:169], v[144:145]
	v_fmac_f64_e32 v[194:195], v[6:7], v[150:151]
	v_fma_f64 v[198:199], v[4:5], v[150:151], -v[152:153]
	ds_load_b128 v[4:7], v2 offset:1568
	ds_load_b128 v[150:153], v2 offset:1584
	v_add_f64_e32 v[200:201], v[164:165], v[162:163]
	v_add_f64_e32 v[190:191], v[190:191], v[196:197]
	scratch_load_b128 v[162:165], off, off offset:768
	s_wait_loadcnt_dscnt 0xa01
	v_mul_f64_e32 v[196:197], v[4:5], v[160:161]
	v_mul_f64_e32 v[160:161], v[6:7], v[160:161]
	v_fmac_f64_e32 v[192:193], v[168:169], v[142:143]
	v_fma_f64 v[166:167], v[166:167], v[142:143], -v[144:145]
	scratch_load_b128 v[142:145], off, off offset:784
	v_add_f64_e32 v[168:169], v[200:201], v[198:199]
	v_add_f64_e32 v[190:191], v[190:191], v[194:195]
	s_wait_loadcnt_dscnt 0xa00
	v_mul_f64_e32 v[194:195], v[150:151], v[148:149]
	v_mul_f64_e32 v[148:149], v[152:153], v[148:149]
	v_fmac_f64_e32 v[196:197], v[6:7], v[158:159]
	v_fma_f64 v[198:199], v[4:5], v[158:159], -v[160:161]
	ds_load_b128 v[4:7], v2 offset:1600
	ds_load_b128 v[158:161], v2 offset:1616
	v_add_f64_e32 v[200:201], v[168:169], v[166:167]
	v_add_f64_e32 v[190:191], v[190:191], v[192:193]
	scratch_load_b128 v[166:169], off, off offset:800
	s_wait_loadcnt_dscnt 0xa01
	v_mul_f64_e32 v[192:193], v[4:5], v[172:173]
	v_mul_f64_e32 v[172:173], v[6:7], v[172:173]
	v_fmac_f64_e32 v[194:195], v[152:153], v[146:147]
	v_fma_f64 v[150:151], v[150:151], v[146:147], -v[148:149]
	scratch_load_b128 v[146:149], off, off offset:816
	v_add_f64_e32 v[152:153], v[200:201], v[198:199]
	v_add_f64_e32 v[190:191], v[190:191], v[196:197]
	s_wait_loadcnt_dscnt 0xa00
	v_mul_f64_e32 v[196:197], v[158:159], v[156:157]
	v_mul_f64_e32 v[156:157], v[160:161], v[156:157]
	v_fmac_f64_e32 v[192:193], v[6:7], v[170:171]
	v_fma_f64 v[198:199], v[4:5], v[170:171], -v[172:173]
	v_add_f64_e32 v[200:201], v[152:153], v[150:151]
	v_add_f64_e32 v[190:191], v[190:191], v[194:195]
	ds_load_b128 v[4:7], v2 offset:1632
	ds_load_b128 v[150:153], v2 offset:1648
	scratch_load_b128 v[170:173], off, off offset:832
	v_fmac_f64_e32 v[196:197], v[160:161], v[154:155]
	v_fma_f64 v[158:159], v[158:159], v[154:155], -v[156:157]
	scratch_load_b128 v[154:157], off, off offset:848
	s_wait_loadcnt_dscnt 0xb01
	v_mul_f64_e32 v[194:195], v[4:5], v[188:189]
	v_mul_f64_e32 v[188:189], v[6:7], v[188:189]
	v_add_f64_e32 v[160:161], v[200:201], v[198:199]
	v_add_f64_e32 v[190:191], v[190:191], v[192:193]
	s_wait_loadcnt_dscnt 0xa00
	v_mul_f64_e32 v[192:193], v[150:151], v[12:13]
	v_mul_f64_e32 v[12:13], v[152:153], v[12:13]
	v_fmac_f64_e32 v[194:195], v[6:7], v[186:187]
	v_fma_f64 v[198:199], v[4:5], v[186:187], -v[188:189]
	v_add_f64_e32 v[200:201], v[160:161], v[158:159]
	v_add_f64_e32 v[190:191], v[190:191], v[196:197]
	ds_load_b128 v[4:7], v2 offset:1664
	ds_load_b128 v[158:161], v2 offset:1680
	scratch_load_b128 v[186:189], off, off offset:864
	v_fmac_f64_e32 v[192:193], v[152:153], v[10:11]
	v_fma_f64 v[150:151], v[150:151], v[10:11], -v[12:13]
	scratch_load_b128 v[10:13], off, off offset:880
	s_wait_loadcnt_dscnt 0xb01
	v_mul_f64_e32 v[196:197], v[4:5], v[176:177]
	v_mul_f64_e32 v[176:177], v[6:7], v[176:177]
	;; [unrolled: 18-line block ×4, first 2 shown]
	v_add_f64_e32 v[152:153], v[200:201], v[198:199]
	v_add_f64_e32 v[190:191], v[190:191], v[192:193]
	s_wait_loadcnt_dscnt 0xa00
	v_mul_f64_e32 v[192:193], v[158:159], v[144:145]
	v_mul_f64_e32 v[144:145], v[160:161], v[144:145]
	v_fmac_f64_e32 v[194:195], v[6:7], v[162:163]
	v_fma_f64 v[162:163], v[4:5], v[162:163], -v[164:165]
	v_add_f64_e32 v[164:165], v[152:153], v[150:151]
	v_add_f64_e32 v[190:191], v[190:191], v[196:197]
	ds_load_b128 v[4:7], v2 offset:1760
	ds_load_b128 v[150:153], v2 offset:1776
	v_fmac_f64_e32 v[192:193], v[160:161], v[142:143]
	v_fma_f64 v[142:143], v[158:159], v[142:143], -v[144:145]
	s_wait_loadcnt_dscnt 0x901
	v_mul_f64_e32 v[196:197], v[4:5], v[168:169]
	v_mul_f64_e32 v[168:169], v[6:7], v[168:169]
	s_wait_loadcnt_dscnt 0x800
	v_mul_f64_e32 v[160:161], v[150:151], v[148:149]
	v_mul_f64_e32 v[148:149], v[152:153], v[148:149]
	v_add_f64_e32 v[144:145], v[164:165], v[162:163]
	v_add_f64_e32 v[158:159], v[190:191], v[194:195]
	v_fmac_f64_e32 v[196:197], v[6:7], v[166:167]
	v_fma_f64 v[162:163], v[4:5], v[166:167], -v[168:169]
	v_fmac_f64_e32 v[160:161], v[152:153], v[146:147]
	v_fma_f64 v[146:147], v[150:151], v[146:147], -v[148:149]
	v_add_f64_e32 v[164:165], v[144:145], v[142:143]
	v_add_f64_e32 v[158:159], v[158:159], v[192:193]
	ds_load_b128 v[4:7], v2 offset:1792
	ds_load_b128 v[142:145], v2 offset:1808
	s_wait_loadcnt_dscnt 0x701
	v_mul_f64_e32 v[166:167], v[4:5], v[172:173]
	v_mul_f64_e32 v[168:169], v[6:7], v[172:173]
	s_wait_loadcnt_dscnt 0x600
	v_mul_f64_e32 v[152:153], v[142:143], v[156:157]
	v_mul_f64_e32 v[156:157], v[144:145], v[156:157]
	v_add_f64_e32 v[148:149], v[164:165], v[162:163]
	v_add_f64_e32 v[150:151], v[158:159], v[196:197]
	v_fmac_f64_e32 v[166:167], v[6:7], v[170:171]
	v_fma_f64 v[158:159], v[4:5], v[170:171], -v[168:169]
	v_fmac_f64_e32 v[152:153], v[144:145], v[154:155]
	v_fma_f64 v[142:143], v[142:143], v[154:155], -v[156:157]
	v_add_f64_e32 v[162:163], v[148:149], v[146:147]
	v_add_f64_e32 v[150:151], v[150:151], v[160:161]
	ds_load_b128 v[4:7], v2 offset:1824
	ds_load_b128 v[146:149], v2 offset:1840
	;; [unrolled: 16-line block ×4, first 2 shown]
	s_wait_loadcnt_dscnt 0x101
	v_mul_f64_e32 v[2:3], v[4:5], v[184:185]
	v_mul_f64_e32 v[154:155], v[6:7], v[184:185]
	s_wait_loadcnt_dscnt 0x0
	v_mul_f64_e32 v[144:145], v[10:11], v[136:137]
	v_mul_f64_e32 v[136:137], v[12:13], v[136:137]
	v_add_f64_e32 v[140:141], v[156:157], v[150:151]
	v_add_f64_e32 v[142:143], v[146:147], v[152:153]
	v_fmac_f64_e32 v[2:3], v[6:7], v[182:183]
	v_fma_f64 v[4:5], v[4:5], v[182:183], -v[154:155]
	v_fmac_f64_e32 v[144:145], v[12:13], v[134:135]
	v_fma_f64 v[10:11], v[10:11], v[134:135], -v[136:137]
	v_add_f64_e32 v[6:7], v[140:141], v[138:139]
	v_add_f64_e32 v[138:139], v[142:143], v[148:149]
	s_delay_alu instid0(VALU_DEP_2) | instskip(NEXT) | instid1(VALU_DEP_2)
	v_add_f64_e32 v[4:5], v[6:7], v[4:5]
	v_add_f64_e32 v[2:3], v[138:139], v[2:3]
	s_delay_alu instid0(VALU_DEP_2) | instskip(NEXT) | instid1(VALU_DEP_2)
	;; [unrolled: 3-line block ×3, first 2 shown]
	v_add_f64_e64 v[2:3], v[178:179], -v[4:5]
	v_add_f64_e64 v[4:5], v[180:181], -v[6:7]
	scratch_store_b128 off, v[2:5], off offset:272
	s_wait_xcnt 0x0
	v_cmpx_lt_u32_e32 16, v1
	s_cbranch_execz .LBB123_341
; %bb.340:
	scratch_load_b128 v[2:5], off, s60
	v_mov_b32_e32 v10, 0
	s_delay_alu instid0(VALU_DEP_1)
	v_dual_mov_b32 v11, v10 :: v_dual_mov_b32 v12, v10
	v_mov_b32_e32 v13, v10
	scratch_store_b128 off, v[10:13], off offset:256
	s_wait_loadcnt 0x0
	ds_store_b128 v8, v[2:5]
.LBB123_341:
	s_wait_xcnt 0x0
	s_or_b32 exec_lo, exec_lo, s2
	s_wait_storecnt_dscnt 0x0
	s_barrier_signal -1
	s_barrier_wait -1
	s_clause 0x9
	scratch_load_b128 v[4:7], off, off offset:272
	scratch_load_b128 v[10:13], off, off offset:288
	;; [unrolled: 1-line block ×10, first 2 shown]
	v_mov_b32_e32 v2, 0
	s_mov_b32 s2, exec_lo
	ds_load_b128 v[166:169], v2 offset:1232
	s_clause 0x2
	scratch_load_b128 v[170:173], off, off offset:432
	scratch_load_b128 v[174:177], off, off offset:256
	;; [unrolled: 1-line block ×3, first 2 shown]
	s_wait_loadcnt_dscnt 0xc00
	v_mul_f64_e32 v[186:187], v[168:169], v[6:7]
	v_mul_f64_e32 v[190:191], v[166:167], v[6:7]
	ds_load_b128 v[178:181], v2 offset:1248
	v_fma_f64 v[194:195], v[166:167], v[4:5], -v[186:187]
	v_fmac_f64_e32 v[190:191], v[168:169], v[4:5]
	ds_load_b128 v[4:7], v2 offset:1264
	s_wait_loadcnt_dscnt 0xb01
	v_mul_f64_e32 v[192:193], v[178:179], v[12:13]
	v_mul_f64_e32 v[12:13], v[180:181], v[12:13]
	scratch_load_b128 v[166:169], off, off offset:464
	ds_load_b128 v[186:189], v2 offset:1280
	s_wait_loadcnt_dscnt 0xb01
	v_mul_f64_e32 v[196:197], v[4:5], v[136:137]
	v_mul_f64_e32 v[136:137], v[6:7], v[136:137]
	v_add_f64_e32 v[190:191], 0, v[190:191]
	v_fmac_f64_e32 v[192:193], v[180:181], v[10:11]
	v_fma_f64 v[178:179], v[178:179], v[10:11], -v[12:13]
	v_add_f64_e32 v[180:181], 0, v[194:195]
	scratch_load_b128 v[10:13], off, off offset:480
	v_fmac_f64_e32 v[196:197], v[6:7], v[134:135]
	v_fma_f64 v[198:199], v[4:5], v[134:135], -v[136:137]
	ds_load_b128 v[4:7], v2 offset:1296
	s_wait_loadcnt_dscnt 0xb01
	v_mul_f64_e32 v[194:195], v[186:187], v[140:141]
	v_mul_f64_e32 v[140:141], v[188:189], v[140:141]
	scratch_load_b128 v[134:137], off, off offset:496
	v_add_f64_e32 v[190:191], v[190:191], v[192:193]
	v_add_f64_e32 v[200:201], v[180:181], v[178:179]
	ds_load_b128 v[178:181], v2 offset:1312
	s_wait_loadcnt_dscnt 0xb01
	v_mul_f64_e32 v[192:193], v[4:5], v[144:145]
	v_mul_f64_e32 v[144:145], v[6:7], v[144:145]
	v_fmac_f64_e32 v[194:195], v[188:189], v[138:139]
	v_fma_f64 v[186:187], v[186:187], v[138:139], -v[140:141]
	scratch_load_b128 v[138:141], off, off offset:512
	v_add_f64_e32 v[190:191], v[190:191], v[196:197]
	v_add_f64_e32 v[188:189], v[200:201], v[198:199]
	v_fmac_f64_e32 v[192:193], v[6:7], v[142:143]
	v_fma_f64 v[198:199], v[4:5], v[142:143], -v[144:145]
	ds_load_b128 v[4:7], v2 offset:1328
	s_wait_loadcnt_dscnt 0xb01
	v_mul_f64_e32 v[196:197], v[178:179], v[148:149]
	v_mul_f64_e32 v[148:149], v[180:181], v[148:149]
	scratch_load_b128 v[142:145], off, off offset:528
	v_add_f64_e32 v[190:191], v[190:191], v[194:195]
	s_wait_loadcnt_dscnt 0xb00
	v_mul_f64_e32 v[194:195], v[4:5], v[152:153]
	v_add_f64_e32 v[200:201], v[188:189], v[186:187]
	v_mul_f64_e32 v[152:153], v[6:7], v[152:153]
	ds_load_b128 v[186:189], v2 offset:1344
	v_fmac_f64_e32 v[196:197], v[180:181], v[146:147]
	v_fma_f64 v[178:179], v[178:179], v[146:147], -v[148:149]
	scratch_load_b128 v[146:149], off, off offset:544
	v_add_f64_e32 v[190:191], v[190:191], v[192:193]
	v_fmac_f64_e32 v[194:195], v[6:7], v[150:151]
	v_add_f64_e32 v[180:181], v[200:201], v[198:199]
	v_fma_f64 v[198:199], v[4:5], v[150:151], -v[152:153]
	ds_load_b128 v[4:7], v2 offset:1360
	s_wait_loadcnt_dscnt 0xb01
	v_mul_f64_e32 v[192:193], v[186:187], v[156:157]
	v_mul_f64_e32 v[156:157], v[188:189], v[156:157]
	scratch_load_b128 v[150:153], off, off offset:560
	v_add_f64_e32 v[190:191], v[190:191], v[196:197]
	s_wait_loadcnt_dscnt 0xb00
	v_mul_f64_e32 v[196:197], v[4:5], v[160:161]
	v_add_f64_e32 v[200:201], v[180:181], v[178:179]
	v_mul_f64_e32 v[160:161], v[6:7], v[160:161]
	ds_load_b128 v[178:181], v2 offset:1376
	v_fmac_f64_e32 v[192:193], v[188:189], v[154:155]
	v_fma_f64 v[186:187], v[186:187], v[154:155], -v[156:157]
	scratch_load_b128 v[154:157], off, off offset:576
	v_add_f64_e32 v[190:191], v[190:191], v[194:195]
	v_fmac_f64_e32 v[196:197], v[6:7], v[158:159]
	v_add_f64_e32 v[188:189], v[200:201], v[198:199]
	;; [unrolled: 18-line block ×3, first 2 shown]
	v_fma_f64 v[198:199], v[4:5], v[170:171], -v[172:173]
	ds_load_b128 v[4:7], v2 offset:1424
	s_wait_loadcnt_dscnt 0xa01
	v_mul_f64_e32 v[196:197], v[186:187], v[184:185]
	v_mul_f64_e32 v[184:185], v[188:189], v[184:185]
	scratch_load_b128 v[170:173], off, off offset:624
	v_add_f64_e32 v[190:191], v[190:191], v[194:195]
	v_add_f64_e32 v[200:201], v[180:181], v[178:179]
	s_wait_loadcnt_dscnt 0xa00
	v_mul_f64_e32 v[194:195], v[4:5], v[168:169]
	v_mul_f64_e32 v[168:169], v[6:7], v[168:169]
	v_fmac_f64_e32 v[196:197], v[188:189], v[182:183]
	v_fma_f64 v[186:187], v[186:187], v[182:183], -v[184:185]
	ds_load_b128 v[178:181], v2 offset:1440
	scratch_load_b128 v[182:185], off, off offset:640
	v_add_f64_e32 v[190:191], v[190:191], v[192:193]
	v_add_f64_e32 v[188:189], v[200:201], v[198:199]
	v_fmac_f64_e32 v[194:195], v[6:7], v[166:167]
	v_fma_f64 v[198:199], v[4:5], v[166:167], -v[168:169]
	ds_load_b128 v[4:7], v2 offset:1456
	s_wait_loadcnt_dscnt 0xa01
	v_mul_f64_e32 v[192:193], v[178:179], v[12:13]
	v_mul_f64_e32 v[12:13], v[180:181], v[12:13]
	scratch_load_b128 v[166:169], off, off offset:656
	v_add_f64_e32 v[190:191], v[190:191], v[196:197]
	s_wait_loadcnt_dscnt 0xa00
	v_mul_f64_e32 v[196:197], v[4:5], v[136:137]
	v_add_f64_e32 v[200:201], v[188:189], v[186:187]
	v_mul_f64_e32 v[136:137], v[6:7], v[136:137]
	ds_load_b128 v[186:189], v2 offset:1472
	v_fmac_f64_e32 v[192:193], v[180:181], v[10:11]
	v_fma_f64 v[178:179], v[178:179], v[10:11], -v[12:13]
	scratch_load_b128 v[10:13], off, off offset:672
	v_add_f64_e32 v[190:191], v[190:191], v[194:195]
	v_fmac_f64_e32 v[196:197], v[6:7], v[134:135]
	v_add_f64_e32 v[180:181], v[200:201], v[198:199]
	v_fma_f64 v[198:199], v[4:5], v[134:135], -v[136:137]
	ds_load_b128 v[4:7], v2 offset:1488
	s_wait_loadcnt_dscnt 0xa01
	v_mul_f64_e32 v[194:195], v[186:187], v[140:141]
	v_mul_f64_e32 v[140:141], v[188:189], v[140:141]
	scratch_load_b128 v[134:137], off, off offset:688
	v_add_f64_e32 v[190:191], v[190:191], v[192:193]
	s_wait_loadcnt_dscnt 0xa00
	v_mul_f64_e32 v[192:193], v[4:5], v[144:145]
	v_add_f64_e32 v[200:201], v[180:181], v[178:179]
	v_mul_f64_e32 v[144:145], v[6:7], v[144:145]
	ds_load_b128 v[178:181], v2 offset:1504
	v_fmac_f64_e32 v[194:195], v[188:189], v[138:139]
	v_fma_f64 v[186:187], v[186:187], v[138:139], -v[140:141]
	scratch_load_b128 v[138:141], off, off offset:704
	v_add_f64_e32 v[190:191], v[190:191], v[196:197]
	v_fmac_f64_e32 v[192:193], v[6:7], v[142:143]
	v_add_f64_e32 v[188:189], v[200:201], v[198:199]
	;; [unrolled: 18-line block ×9, first 2 shown]
	v_fma_f64 v[198:199], v[4:5], v[150:151], -v[152:153]
	ds_load_b128 v[4:7], v2 offset:1744
	s_wait_loadcnt_dscnt 0xa01
	v_mul_f64_e32 v[192:193], v[186:187], v[156:157]
	v_mul_f64_e32 v[156:157], v[188:189], v[156:157]
	scratch_load_b128 v[150:153], off, off offset:944
	v_add_f64_e32 v[190:191], v[190:191], v[196:197]
	s_wait_loadcnt_dscnt 0xa00
	v_mul_f64_e32 v[196:197], v[4:5], v[160:161]
	v_add_f64_e32 v[200:201], v[180:181], v[178:179]
	v_mul_f64_e32 v[160:161], v[6:7], v[160:161]
	ds_load_b128 v[178:181], v2 offset:1760
	v_fmac_f64_e32 v[192:193], v[188:189], v[154:155]
	v_fma_f64 v[154:155], v[186:187], v[154:155], -v[156:157]
	s_wait_loadcnt_dscnt 0x900
	v_mul_f64_e32 v[188:189], v[178:179], v[164:165]
	v_mul_f64_e32 v[164:165], v[180:181], v[164:165]
	v_add_f64_e32 v[186:187], v[190:191], v[194:195]
	v_fmac_f64_e32 v[196:197], v[6:7], v[158:159]
	v_add_f64_e32 v[156:157], v[200:201], v[198:199]
	v_fma_f64 v[158:159], v[4:5], v[158:159], -v[160:161]
	v_fmac_f64_e32 v[188:189], v[180:181], v[162:163]
	v_fma_f64 v[162:163], v[178:179], v[162:163], -v[164:165]
	v_add_f64_e32 v[186:187], v[186:187], v[192:193]
	v_add_f64_e32 v[160:161], v[156:157], v[154:155]
	ds_load_b128 v[4:7], v2 offset:1776
	ds_load_b128 v[154:157], v2 offset:1792
	s_wait_loadcnt_dscnt 0x801
	v_mul_f64_e32 v[190:191], v[4:5], v[172:173]
	v_mul_f64_e32 v[172:173], v[6:7], v[172:173]
	s_wait_loadcnt_dscnt 0x700
	v_mul_f64_e32 v[164:165], v[154:155], v[184:185]
	v_mul_f64_e32 v[178:179], v[156:157], v[184:185]
	v_add_f64_e32 v[158:159], v[160:161], v[158:159]
	v_add_f64_e32 v[160:161], v[186:187], v[196:197]
	v_fmac_f64_e32 v[190:191], v[6:7], v[170:171]
	v_fma_f64 v[170:171], v[4:5], v[170:171], -v[172:173]
	v_fmac_f64_e32 v[164:165], v[156:157], v[182:183]
	v_fma_f64 v[154:155], v[154:155], v[182:183], -v[178:179]
	v_add_f64_e32 v[162:163], v[158:159], v[162:163]
	v_add_f64_e32 v[172:173], v[160:161], v[188:189]
	ds_load_b128 v[4:7], v2 offset:1808
	ds_load_b128 v[158:161], v2 offset:1824
	s_wait_loadcnt_dscnt 0x601
	v_mul_f64_e32 v[180:181], v[4:5], v[168:169]
	v_mul_f64_e32 v[168:169], v[6:7], v[168:169]
	v_add_f64_e32 v[156:157], v[162:163], v[170:171]
	v_add_f64_e32 v[162:163], v[172:173], v[190:191]
	s_wait_loadcnt_dscnt 0x500
	v_mul_f64_e32 v[170:171], v[158:159], v[12:13]
	v_mul_f64_e32 v[12:13], v[160:161], v[12:13]
	v_fmac_f64_e32 v[180:181], v[6:7], v[166:167]
	v_fma_f64 v[166:167], v[4:5], v[166:167], -v[168:169]
	v_add_f64_e32 v[168:169], v[156:157], v[154:155]
	v_add_f64_e32 v[162:163], v[162:163], v[164:165]
	ds_load_b128 v[4:7], v2 offset:1840
	ds_load_b128 v[154:157], v2 offset:1856
	v_fmac_f64_e32 v[170:171], v[160:161], v[10:11]
	v_fma_f64 v[10:11], v[158:159], v[10:11], -v[12:13]
	s_wait_loadcnt_dscnt 0x401
	v_mul_f64_e32 v[164:165], v[4:5], v[136:137]
	v_mul_f64_e32 v[136:137], v[6:7], v[136:137]
	s_wait_loadcnt_dscnt 0x300
	v_mul_f64_e32 v[160:161], v[154:155], v[140:141]
	v_mul_f64_e32 v[140:141], v[156:157], v[140:141]
	v_add_f64_e32 v[12:13], v[168:169], v[166:167]
	v_add_f64_e32 v[158:159], v[162:163], v[180:181]
	v_fmac_f64_e32 v[164:165], v[6:7], v[134:135]
	v_fma_f64 v[134:135], v[4:5], v[134:135], -v[136:137]
	v_fmac_f64_e32 v[160:161], v[156:157], v[138:139]
	v_fma_f64 v[138:139], v[154:155], v[138:139], -v[140:141]
	v_add_f64_e32 v[136:137], v[12:13], v[10:11]
	v_add_f64_e32 v[158:159], v[158:159], v[170:171]
	ds_load_b128 v[4:7], v2 offset:1872
	ds_load_b128 v[10:13], v2 offset:1888
	s_wait_loadcnt_dscnt 0x201
	v_mul_f64_e32 v[162:163], v[4:5], v[144:145]
	v_mul_f64_e32 v[144:145], v[6:7], v[144:145]
	s_wait_loadcnt_dscnt 0x100
	v_mul_f64_e32 v[140:141], v[10:11], v[148:149]
	v_mul_f64_e32 v[148:149], v[12:13], v[148:149]
	v_add_f64_e32 v[134:135], v[136:137], v[134:135]
	v_add_f64_e32 v[136:137], v[158:159], v[164:165]
	v_fmac_f64_e32 v[162:163], v[6:7], v[142:143]
	v_fma_f64 v[142:143], v[4:5], v[142:143], -v[144:145]
	ds_load_b128 v[4:7], v2 offset:1904
	v_fmac_f64_e32 v[140:141], v[12:13], v[146:147]
	v_fma_f64 v[10:11], v[10:11], v[146:147], -v[148:149]
	v_add_f64_e32 v[134:135], v[134:135], v[138:139]
	v_add_f64_e32 v[136:137], v[136:137], v[160:161]
	s_wait_loadcnt_dscnt 0x0
	v_mul_f64_e32 v[138:139], v[4:5], v[152:153]
	v_mul_f64_e32 v[144:145], v[6:7], v[152:153]
	s_delay_alu instid0(VALU_DEP_4) | instskip(NEXT) | instid1(VALU_DEP_4)
	v_add_f64_e32 v[12:13], v[134:135], v[142:143]
	v_add_f64_e32 v[134:135], v[136:137], v[162:163]
	s_delay_alu instid0(VALU_DEP_4) | instskip(NEXT) | instid1(VALU_DEP_4)
	v_fmac_f64_e32 v[138:139], v[6:7], v[150:151]
	v_fma_f64 v[4:5], v[4:5], v[150:151], -v[144:145]
	s_delay_alu instid0(VALU_DEP_4) | instskip(NEXT) | instid1(VALU_DEP_4)
	v_add_f64_e32 v[6:7], v[12:13], v[10:11]
	v_add_f64_e32 v[10:11], v[134:135], v[140:141]
	s_delay_alu instid0(VALU_DEP_2) | instskip(NEXT) | instid1(VALU_DEP_2)
	v_add_f64_e32 v[4:5], v[6:7], v[4:5]
	v_add_f64_e32 v[6:7], v[10:11], v[138:139]
	s_delay_alu instid0(VALU_DEP_2) | instskip(NEXT) | instid1(VALU_DEP_2)
	v_add_f64_e64 v[4:5], v[174:175], -v[4:5]
	v_add_f64_e64 v[6:7], v[176:177], -v[6:7]
	scratch_store_b128 off, v[4:7], off offset:256
	s_wait_xcnt 0x0
	v_cmpx_lt_u32_e32 15, v1
	s_cbranch_execz .LBB123_343
; %bb.342:
	scratch_load_b128 v[10:13], off, s61
	v_dual_mov_b32 v3, v2 :: v_dual_mov_b32 v4, v2
	v_mov_b32_e32 v5, v2
	scratch_store_b128 off, v[2:5], off offset:240
	s_wait_loadcnt 0x0
	ds_store_b128 v8, v[10:13]
.LBB123_343:
	s_wait_xcnt 0x0
	s_or_b32 exec_lo, exec_lo, s2
	s_wait_storecnt_dscnt 0x0
	s_barrier_signal -1
	s_barrier_wait -1
	s_clause 0x9
	scratch_load_b128 v[4:7], off, off offset:256
	scratch_load_b128 v[10:13], off, off offset:272
	;; [unrolled: 1-line block ×10, first 2 shown]
	ds_load_b128 v[166:169], v2 offset:1216
	ds_load_b128 v[174:177], v2 offset:1232
	s_clause 0x2
	scratch_load_b128 v[170:173], off, off offset:416
	scratch_load_b128 v[178:181], off, off offset:240
	;; [unrolled: 1-line block ×3, first 2 shown]
	s_mov_b32 s2, exec_lo
	s_wait_loadcnt_dscnt 0xc01
	v_mul_f64_e32 v[186:187], v[168:169], v[6:7]
	v_mul_f64_e32 v[190:191], v[166:167], v[6:7]
	s_wait_loadcnt_dscnt 0xb00
	v_mul_f64_e32 v[192:193], v[174:175], v[12:13]
	v_mul_f64_e32 v[12:13], v[176:177], v[12:13]
	s_delay_alu instid0(VALU_DEP_4) | instskip(NEXT) | instid1(VALU_DEP_4)
	v_fma_f64 v[194:195], v[166:167], v[4:5], -v[186:187]
	v_fmac_f64_e32 v[190:191], v[168:169], v[4:5]
	ds_load_b128 v[4:7], v2 offset:1248
	ds_load_b128 v[166:169], v2 offset:1264
	scratch_load_b128 v[186:189], off, off offset:448
	v_fmac_f64_e32 v[192:193], v[176:177], v[10:11]
	v_fma_f64 v[174:175], v[174:175], v[10:11], -v[12:13]
	scratch_load_b128 v[10:13], off, off offset:464
	s_wait_loadcnt_dscnt 0xc01
	v_mul_f64_e32 v[196:197], v[4:5], v[136:137]
	v_mul_f64_e32 v[136:137], v[6:7], v[136:137]
	v_add_f64_e32 v[176:177], 0, v[194:195]
	v_add_f64_e32 v[190:191], 0, v[190:191]
	s_wait_loadcnt_dscnt 0xb00
	v_mul_f64_e32 v[194:195], v[166:167], v[140:141]
	v_mul_f64_e32 v[140:141], v[168:169], v[140:141]
	v_fmac_f64_e32 v[196:197], v[6:7], v[134:135]
	v_fma_f64 v[198:199], v[4:5], v[134:135], -v[136:137]
	ds_load_b128 v[4:7], v2 offset:1280
	ds_load_b128 v[134:137], v2 offset:1296
	v_add_f64_e32 v[200:201], v[176:177], v[174:175]
	v_add_f64_e32 v[190:191], v[190:191], v[192:193]
	scratch_load_b128 v[174:177], off, off offset:480
	v_fmac_f64_e32 v[194:195], v[168:169], v[138:139]
	v_fma_f64 v[166:167], v[166:167], v[138:139], -v[140:141]
	scratch_load_b128 v[138:141], off, off offset:496
	s_wait_loadcnt_dscnt 0xc01
	v_mul_f64_e32 v[192:193], v[4:5], v[144:145]
	v_mul_f64_e32 v[144:145], v[6:7], v[144:145]
	v_add_f64_e32 v[168:169], v[200:201], v[198:199]
	v_add_f64_e32 v[190:191], v[190:191], v[196:197]
	s_wait_loadcnt_dscnt 0xb00
	v_mul_f64_e32 v[196:197], v[134:135], v[148:149]
	v_mul_f64_e32 v[148:149], v[136:137], v[148:149]
	v_fmac_f64_e32 v[192:193], v[6:7], v[142:143]
	v_fma_f64 v[198:199], v[4:5], v[142:143], -v[144:145]
	ds_load_b128 v[4:7], v2 offset:1312
	ds_load_b128 v[142:145], v2 offset:1328
	v_add_f64_e32 v[200:201], v[168:169], v[166:167]
	v_add_f64_e32 v[190:191], v[190:191], v[194:195]
	scratch_load_b128 v[166:169], off, off offset:512
	s_wait_loadcnt_dscnt 0xb01
	v_mul_f64_e32 v[194:195], v[4:5], v[152:153]
	v_mul_f64_e32 v[152:153], v[6:7], v[152:153]
	v_fmac_f64_e32 v[196:197], v[136:137], v[146:147]
	v_fma_f64 v[146:147], v[134:135], v[146:147], -v[148:149]
	scratch_load_b128 v[134:137], off, off offset:528
	v_add_f64_e32 v[148:149], v[200:201], v[198:199]
	v_add_f64_e32 v[190:191], v[190:191], v[192:193]
	s_wait_loadcnt_dscnt 0xb00
	v_mul_f64_e32 v[192:193], v[142:143], v[156:157]
	v_mul_f64_e32 v[156:157], v[144:145], v[156:157]
	v_fmac_f64_e32 v[194:195], v[6:7], v[150:151]
	v_fma_f64 v[198:199], v[4:5], v[150:151], -v[152:153]
	v_add_f64_e32 v[200:201], v[148:149], v[146:147]
	v_add_f64_e32 v[190:191], v[190:191], v[196:197]
	ds_load_b128 v[4:7], v2 offset:1344
	ds_load_b128 v[146:149], v2 offset:1360
	scratch_load_b128 v[150:153], off, off offset:544
	v_fmac_f64_e32 v[192:193], v[144:145], v[154:155]
	v_fma_f64 v[154:155], v[142:143], v[154:155], -v[156:157]
	scratch_load_b128 v[142:145], off, off offset:560
	s_wait_loadcnt_dscnt 0xc01
	v_mul_f64_e32 v[196:197], v[4:5], v[160:161]
	v_mul_f64_e32 v[160:161], v[6:7], v[160:161]
	v_add_f64_e32 v[156:157], v[200:201], v[198:199]
	v_add_f64_e32 v[190:191], v[190:191], v[194:195]
	s_wait_loadcnt_dscnt 0xb00
	v_mul_f64_e32 v[194:195], v[146:147], v[164:165]
	v_mul_f64_e32 v[164:165], v[148:149], v[164:165]
	v_fmac_f64_e32 v[196:197], v[6:7], v[158:159]
	v_fma_f64 v[198:199], v[4:5], v[158:159], -v[160:161]
	v_add_f64_e32 v[200:201], v[156:157], v[154:155]
	v_add_f64_e32 v[190:191], v[190:191], v[192:193]
	ds_load_b128 v[4:7], v2 offset:1376
	ds_load_b128 v[154:157], v2 offset:1392
	scratch_load_b128 v[158:161], off, off offset:576
	v_fmac_f64_e32 v[194:195], v[148:149], v[162:163]
	v_fma_f64 v[162:163], v[146:147], v[162:163], -v[164:165]
	scratch_load_b128 v[146:149], off, off offset:592
	s_wait_loadcnt_dscnt 0xc01
	v_mul_f64_e32 v[192:193], v[4:5], v[172:173]
	v_mul_f64_e32 v[172:173], v[6:7], v[172:173]
	;; [unrolled: 18-line block ×5, first 2 shown]
	v_add_f64_e32 v[184:185], v[200:201], v[198:199]
	v_add_f64_e32 v[190:191], v[190:191], v[196:197]
	s_wait_loadcnt_dscnt 0xa00
	v_mul_f64_e32 v[196:197], v[162:163], v[136:137]
	v_mul_f64_e32 v[136:137], v[164:165], v[136:137]
	v_fmac_f64_e32 v[192:193], v[6:7], v[166:167]
	v_fma_f64 v[198:199], v[4:5], v[166:167], -v[168:169]
	ds_load_b128 v[4:7], v2 offset:1504
	ds_load_b128 v[166:169], v2 offset:1520
	v_add_f64_e32 v[200:201], v[184:185], v[182:183]
	v_add_f64_e32 v[190:191], v[190:191], v[194:195]
	scratch_load_b128 v[182:185], off, off offset:704
	v_fmac_f64_e32 v[196:197], v[164:165], v[134:135]
	v_fma_f64 v[162:163], v[162:163], v[134:135], -v[136:137]
	scratch_load_b128 v[134:137], off, off offset:720
	s_wait_loadcnt_dscnt 0xb01
	v_mul_f64_e32 v[194:195], v[4:5], v[152:153]
	v_mul_f64_e32 v[152:153], v[6:7], v[152:153]
	v_add_f64_e32 v[164:165], v[200:201], v[198:199]
	v_add_f64_e32 v[190:191], v[190:191], v[192:193]
	s_wait_loadcnt_dscnt 0xa00
	v_mul_f64_e32 v[192:193], v[166:167], v[144:145]
	v_mul_f64_e32 v[144:145], v[168:169], v[144:145]
	v_fmac_f64_e32 v[194:195], v[6:7], v[150:151]
	v_fma_f64 v[198:199], v[4:5], v[150:151], -v[152:153]
	ds_load_b128 v[4:7], v2 offset:1536
	ds_load_b128 v[150:153], v2 offset:1552
	v_add_f64_e32 v[200:201], v[164:165], v[162:163]
	v_add_f64_e32 v[190:191], v[190:191], v[196:197]
	scratch_load_b128 v[162:165], off, off offset:736
	s_wait_loadcnt_dscnt 0xa01
	v_mul_f64_e32 v[196:197], v[4:5], v[160:161]
	v_mul_f64_e32 v[160:161], v[6:7], v[160:161]
	v_fmac_f64_e32 v[192:193], v[168:169], v[142:143]
	v_fma_f64 v[166:167], v[166:167], v[142:143], -v[144:145]
	scratch_load_b128 v[142:145], off, off offset:752
	v_add_f64_e32 v[168:169], v[200:201], v[198:199]
	v_add_f64_e32 v[190:191], v[190:191], v[194:195]
	s_wait_loadcnt_dscnt 0xa00
	v_mul_f64_e32 v[194:195], v[150:151], v[148:149]
	v_mul_f64_e32 v[148:149], v[152:153], v[148:149]
	v_fmac_f64_e32 v[196:197], v[6:7], v[158:159]
	v_fma_f64 v[198:199], v[4:5], v[158:159], -v[160:161]
	ds_load_b128 v[4:7], v2 offset:1568
	ds_load_b128 v[158:161], v2 offset:1584
	v_add_f64_e32 v[200:201], v[168:169], v[166:167]
	v_add_f64_e32 v[190:191], v[190:191], v[192:193]
	scratch_load_b128 v[166:169], off, off offset:768
	s_wait_loadcnt_dscnt 0xa01
	v_mul_f64_e32 v[192:193], v[4:5], v[172:173]
	v_mul_f64_e32 v[172:173], v[6:7], v[172:173]
	v_fmac_f64_e32 v[194:195], v[152:153], v[146:147]
	v_fma_f64 v[150:151], v[150:151], v[146:147], -v[148:149]
	scratch_load_b128 v[146:149], off, off offset:784
	v_add_f64_e32 v[152:153], v[200:201], v[198:199]
	v_add_f64_e32 v[190:191], v[190:191], v[196:197]
	s_wait_loadcnt_dscnt 0xa00
	v_mul_f64_e32 v[196:197], v[158:159], v[156:157]
	v_mul_f64_e32 v[156:157], v[160:161], v[156:157]
	v_fmac_f64_e32 v[192:193], v[6:7], v[170:171]
	v_fma_f64 v[198:199], v[4:5], v[170:171], -v[172:173]
	v_add_f64_e32 v[200:201], v[152:153], v[150:151]
	v_add_f64_e32 v[190:191], v[190:191], v[194:195]
	ds_load_b128 v[4:7], v2 offset:1600
	ds_load_b128 v[150:153], v2 offset:1616
	scratch_load_b128 v[170:173], off, off offset:800
	v_fmac_f64_e32 v[196:197], v[160:161], v[154:155]
	v_fma_f64 v[158:159], v[158:159], v[154:155], -v[156:157]
	scratch_load_b128 v[154:157], off, off offset:816
	s_wait_loadcnt_dscnt 0xb01
	v_mul_f64_e32 v[194:195], v[4:5], v[188:189]
	v_mul_f64_e32 v[188:189], v[6:7], v[188:189]
	v_add_f64_e32 v[160:161], v[200:201], v[198:199]
	v_add_f64_e32 v[190:191], v[190:191], v[192:193]
	s_wait_loadcnt_dscnt 0xa00
	v_mul_f64_e32 v[192:193], v[150:151], v[12:13]
	v_mul_f64_e32 v[12:13], v[152:153], v[12:13]
	v_fmac_f64_e32 v[194:195], v[6:7], v[186:187]
	v_fma_f64 v[198:199], v[4:5], v[186:187], -v[188:189]
	v_add_f64_e32 v[200:201], v[160:161], v[158:159]
	v_add_f64_e32 v[190:191], v[190:191], v[196:197]
	ds_load_b128 v[4:7], v2 offset:1632
	ds_load_b128 v[158:161], v2 offset:1648
	scratch_load_b128 v[186:189], off, off offset:832
	v_fmac_f64_e32 v[192:193], v[152:153], v[10:11]
	v_fma_f64 v[150:151], v[150:151], v[10:11], -v[12:13]
	scratch_load_b128 v[10:13], off, off offset:848
	s_wait_loadcnt_dscnt 0xb01
	v_mul_f64_e32 v[196:197], v[4:5], v[176:177]
	v_mul_f64_e32 v[176:177], v[6:7], v[176:177]
	v_add_f64_e32 v[152:153], v[200:201], v[198:199]
	v_add_f64_e32 v[190:191], v[190:191], v[194:195]
	s_wait_loadcnt_dscnt 0xa00
	v_mul_f64_e32 v[194:195], v[158:159], v[140:141]
	v_mul_f64_e32 v[140:141], v[160:161], v[140:141]
	v_fmac_f64_e32 v[196:197], v[6:7], v[174:175]
	v_fma_f64 v[198:199], v[4:5], v[174:175], -v[176:177]
	v_add_f64_e32 v[200:201], v[152:153], v[150:151]
	v_add_f64_e32 v[190:191], v[190:191], v[192:193]
	ds_load_b128 v[4:7], v2 offset:1664
	ds_load_b128 v[150:153], v2 offset:1680
	scratch_load_b128 v[174:177], off, off offset:864
	v_fmac_f64_e32 v[194:195], v[160:161], v[138:139]
	v_fma_f64 v[158:159], v[158:159], v[138:139], -v[140:141]
	scratch_load_b128 v[138:141], off, off offset:880
	s_wait_loadcnt_dscnt 0xb01
	v_mul_f64_e32 v[192:193], v[4:5], v[184:185]
	v_mul_f64_e32 v[184:185], v[6:7], v[184:185]
	v_add_f64_e32 v[160:161], v[200:201], v[198:199]
	v_add_f64_e32 v[190:191], v[190:191], v[196:197]
	s_wait_loadcnt_dscnt 0xa00
	v_mul_f64_e32 v[196:197], v[150:151], v[136:137]
	v_mul_f64_e32 v[136:137], v[152:153], v[136:137]
	v_fmac_f64_e32 v[192:193], v[6:7], v[182:183]
	v_fma_f64 v[198:199], v[4:5], v[182:183], -v[184:185]
	v_add_f64_e32 v[200:201], v[160:161], v[158:159]
	v_add_f64_e32 v[190:191], v[190:191], v[194:195]
	ds_load_b128 v[4:7], v2 offset:1696
	ds_load_b128 v[158:161], v2 offset:1712
	scratch_load_b128 v[182:185], off, off offset:896
	v_fmac_f64_e32 v[196:197], v[152:153], v[134:135]
	v_fma_f64 v[150:151], v[150:151], v[134:135], -v[136:137]
	scratch_load_b128 v[134:137], off, off offset:912
	s_wait_loadcnt_dscnt 0xb01
	v_mul_f64_e32 v[194:195], v[4:5], v[164:165]
	v_mul_f64_e32 v[164:165], v[6:7], v[164:165]
	v_add_f64_e32 v[152:153], v[200:201], v[198:199]
	v_add_f64_e32 v[190:191], v[190:191], v[192:193]
	s_wait_loadcnt_dscnt 0xa00
	v_mul_f64_e32 v[192:193], v[158:159], v[144:145]
	v_mul_f64_e32 v[144:145], v[160:161], v[144:145]
	v_fmac_f64_e32 v[194:195], v[6:7], v[162:163]
	v_fma_f64 v[198:199], v[4:5], v[162:163], -v[164:165]
	v_add_f64_e32 v[200:201], v[152:153], v[150:151]
	v_add_f64_e32 v[190:191], v[190:191], v[196:197]
	ds_load_b128 v[4:7], v2 offset:1728
	ds_load_b128 v[150:153], v2 offset:1744
	scratch_load_b128 v[162:165], off, off offset:928
	v_fmac_f64_e32 v[192:193], v[160:161], v[142:143]
	v_fma_f64 v[158:159], v[158:159], v[142:143], -v[144:145]
	scratch_load_b128 v[142:145], off, off offset:944
	s_wait_loadcnt_dscnt 0xb01
	v_mul_f64_e32 v[196:197], v[4:5], v[168:169]
	v_mul_f64_e32 v[168:169], v[6:7], v[168:169]
	v_add_f64_e32 v[160:161], v[200:201], v[198:199]
	v_add_f64_e32 v[190:191], v[190:191], v[194:195]
	s_wait_loadcnt_dscnt 0xa00
	v_mul_f64_e32 v[194:195], v[150:151], v[148:149]
	v_mul_f64_e32 v[148:149], v[152:153], v[148:149]
	v_fmac_f64_e32 v[196:197], v[6:7], v[166:167]
	v_fma_f64 v[166:167], v[4:5], v[166:167], -v[168:169]
	v_add_f64_e32 v[168:169], v[160:161], v[158:159]
	v_add_f64_e32 v[190:191], v[190:191], v[192:193]
	ds_load_b128 v[4:7], v2 offset:1760
	ds_load_b128 v[158:161], v2 offset:1776
	v_fmac_f64_e32 v[194:195], v[152:153], v[146:147]
	v_fma_f64 v[146:147], v[150:151], v[146:147], -v[148:149]
	s_wait_loadcnt_dscnt 0x901
	v_mul_f64_e32 v[192:193], v[4:5], v[172:173]
	v_mul_f64_e32 v[172:173], v[6:7], v[172:173]
	s_wait_loadcnt_dscnt 0x800
	v_mul_f64_e32 v[152:153], v[158:159], v[156:157]
	v_mul_f64_e32 v[156:157], v[160:161], v[156:157]
	v_add_f64_e32 v[148:149], v[168:169], v[166:167]
	v_add_f64_e32 v[150:151], v[190:191], v[196:197]
	v_fmac_f64_e32 v[192:193], v[6:7], v[170:171]
	v_fma_f64 v[166:167], v[4:5], v[170:171], -v[172:173]
	v_fmac_f64_e32 v[152:153], v[160:161], v[154:155]
	v_fma_f64 v[154:155], v[158:159], v[154:155], -v[156:157]
	v_add_f64_e32 v[168:169], v[148:149], v[146:147]
	v_add_f64_e32 v[150:151], v[150:151], v[194:195]
	ds_load_b128 v[4:7], v2 offset:1792
	ds_load_b128 v[146:149], v2 offset:1808
	s_wait_loadcnt_dscnt 0x701
	v_mul_f64_e32 v[170:171], v[4:5], v[188:189]
	v_mul_f64_e32 v[172:173], v[6:7], v[188:189]
	s_wait_loadcnt_dscnt 0x600
	v_mul_f64_e32 v[158:159], v[146:147], v[12:13]
	v_mul_f64_e32 v[12:13], v[148:149], v[12:13]
	v_add_f64_e32 v[156:157], v[168:169], v[166:167]
	v_add_f64_e32 v[150:151], v[150:151], v[192:193]
	v_fmac_f64_e32 v[170:171], v[6:7], v[186:187]
	v_fma_f64 v[160:161], v[4:5], v[186:187], -v[172:173]
	v_fmac_f64_e32 v[158:159], v[148:149], v[10:11]
	v_fma_f64 v[10:11], v[146:147], v[10:11], -v[12:13]
	v_add_f64_e32 v[154:155], v[156:157], v[154:155]
	v_add_f64_e32 v[156:157], v[150:151], v[152:153]
	ds_load_b128 v[4:7], v2 offset:1824
	ds_load_b128 v[150:153], v2 offset:1840
	;; [unrolled: 16-line block ×4, first 2 shown]
	s_wait_loadcnt_dscnt 0x101
	v_mul_f64_e32 v[2:3], v[4:5], v[164:165]
	v_mul_f64_e32 v[148:149], v[6:7], v[164:165]
	v_add_f64_e32 v[12:13], v[140:141], v[154:155]
	v_add_f64_e32 v[134:135], v[146:147], v[158:159]
	s_wait_loadcnt_dscnt 0x0
	v_mul_f64_e32 v[140:141], v[136:137], v[144:145]
	v_mul_f64_e32 v[144:145], v[138:139], v[144:145]
	v_fmac_f64_e32 v[2:3], v[6:7], v[162:163]
	v_fma_f64 v[4:5], v[4:5], v[162:163], -v[148:149]
	v_add_f64_e32 v[6:7], v[12:13], v[10:11]
	v_add_f64_e32 v[10:11], v[134:135], v[150:151]
	v_fmac_f64_e32 v[140:141], v[138:139], v[142:143]
	v_fma_f64 v[12:13], v[136:137], v[142:143], -v[144:145]
	s_delay_alu instid0(VALU_DEP_4) | instskip(NEXT) | instid1(VALU_DEP_4)
	v_add_f64_e32 v[4:5], v[6:7], v[4:5]
	v_add_f64_e32 v[2:3], v[10:11], v[2:3]
	s_delay_alu instid0(VALU_DEP_2) | instskip(NEXT) | instid1(VALU_DEP_2)
	v_add_f64_e32 v[4:5], v[4:5], v[12:13]
	v_add_f64_e32 v[6:7], v[2:3], v[140:141]
	s_delay_alu instid0(VALU_DEP_2) | instskip(NEXT) | instid1(VALU_DEP_2)
	v_add_f64_e64 v[2:3], v[178:179], -v[4:5]
	v_add_f64_e64 v[4:5], v[180:181], -v[6:7]
	scratch_store_b128 off, v[2:5], off offset:240
	s_wait_xcnt 0x0
	v_cmpx_lt_u32_e32 14, v1
	s_cbranch_execz .LBB123_345
; %bb.344:
	scratch_load_b128 v[2:5], off, s62
	v_mov_b32_e32 v10, 0
	s_delay_alu instid0(VALU_DEP_1)
	v_dual_mov_b32 v11, v10 :: v_dual_mov_b32 v12, v10
	v_mov_b32_e32 v13, v10
	scratch_store_b128 off, v[10:13], off offset:224
	s_wait_loadcnt 0x0
	ds_store_b128 v8, v[2:5]
.LBB123_345:
	s_wait_xcnt 0x0
	s_or_b32 exec_lo, exec_lo, s2
	s_wait_storecnt_dscnt 0x0
	s_barrier_signal -1
	s_barrier_wait -1
	s_clause 0x9
	scratch_load_b128 v[4:7], off, off offset:240
	scratch_load_b128 v[10:13], off, off offset:256
	;; [unrolled: 1-line block ×10, first 2 shown]
	v_mov_b32_e32 v2, 0
	s_mov_b32 s2, exec_lo
	ds_load_b128 v[166:169], v2 offset:1200
	s_clause 0x2
	scratch_load_b128 v[170:173], off, off offset:400
	scratch_load_b128 v[174:177], off, off offset:224
	;; [unrolled: 1-line block ×3, first 2 shown]
	s_wait_loadcnt_dscnt 0xc00
	v_mul_f64_e32 v[186:187], v[168:169], v[6:7]
	v_mul_f64_e32 v[190:191], v[166:167], v[6:7]
	ds_load_b128 v[178:181], v2 offset:1216
	v_fma_f64 v[194:195], v[166:167], v[4:5], -v[186:187]
	v_fmac_f64_e32 v[190:191], v[168:169], v[4:5]
	ds_load_b128 v[4:7], v2 offset:1232
	s_wait_loadcnt_dscnt 0xb01
	v_mul_f64_e32 v[192:193], v[178:179], v[12:13]
	v_mul_f64_e32 v[12:13], v[180:181], v[12:13]
	scratch_load_b128 v[166:169], off, off offset:432
	ds_load_b128 v[186:189], v2 offset:1248
	s_wait_loadcnt_dscnt 0xb01
	v_mul_f64_e32 v[196:197], v[4:5], v[136:137]
	v_mul_f64_e32 v[136:137], v[6:7], v[136:137]
	v_add_f64_e32 v[190:191], 0, v[190:191]
	v_fmac_f64_e32 v[192:193], v[180:181], v[10:11]
	v_fma_f64 v[178:179], v[178:179], v[10:11], -v[12:13]
	v_add_f64_e32 v[180:181], 0, v[194:195]
	scratch_load_b128 v[10:13], off, off offset:448
	v_fmac_f64_e32 v[196:197], v[6:7], v[134:135]
	v_fma_f64 v[198:199], v[4:5], v[134:135], -v[136:137]
	ds_load_b128 v[4:7], v2 offset:1264
	s_wait_loadcnt_dscnt 0xb01
	v_mul_f64_e32 v[194:195], v[186:187], v[140:141]
	v_mul_f64_e32 v[140:141], v[188:189], v[140:141]
	scratch_load_b128 v[134:137], off, off offset:464
	v_add_f64_e32 v[190:191], v[190:191], v[192:193]
	v_add_f64_e32 v[200:201], v[180:181], v[178:179]
	ds_load_b128 v[178:181], v2 offset:1280
	s_wait_loadcnt_dscnt 0xb01
	v_mul_f64_e32 v[192:193], v[4:5], v[144:145]
	v_mul_f64_e32 v[144:145], v[6:7], v[144:145]
	v_fmac_f64_e32 v[194:195], v[188:189], v[138:139]
	v_fma_f64 v[186:187], v[186:187], v[138:139], -v[140:141]
	scratch_load_b128 v[138:141], off, off offset:480
	v_add_f64_e32 v[190:191], v[190:191], v[196:197]
	v_add_f64_e32 v[188:189], v[200:201], v[198:199]
	v_fmac_f64_e32 v[192:193], v[6:7], v[142:143]
	v_fma_f64 v[198:199], v[4:5], v[142:143], -v[144:145]
	ds_load_b128 v[4:7], v2 offset:1296
	s_wait_loadcnt_dscnt 0xb01
	v_mul_f64_e32 v[196:197], v[178:179], v[148:149]
	v_mul_f64_e32 v[148:149], v[180:181], v[148:149]
	scratch_load_b128 v[142:145], off, off offset:496
	v_add_f64_e32 v[190:191], v[190:191], v[194:195]
	s_wait_loadcnt_dscnt 0xb00
	v_mul_f64_e32 v[194:195], v[4:5], v[152:153]
	v_add_f64_e32 v[200:201], v[188:189], v[186:187]
	v_mul_f64_e32 v[152:153], v[6:7], v[152:153]
	ds_load_b128 v[186:189], v2 offset:1312
	v_fmac_f64_e32 v[196:197], v[180:181], v[146:147]
	v_fma_f64 v[178:179], v[178:179], v[146:147], -v[148:149]
	scratch_load_b128 v[146:149], off, off offset:512
	v_add_f64_e32 v[190:191], v[190:191], v[192:193]
	v_fmac_f64_e32 v[194:195], v[6:7], v[150:151]
	v_add_f64_e32 v[180:181], v[200:201], v[198:199]
	v_fma_f64 v[198:199], v[4:5], v[150:151], -v[152:153]
	ds_load_b128 v[4:7], v2 offset:1328
	s_wait_loadcnt_dscnt 0xb01
	v_mul_f64_e32 v[192:193], v[186:187], v[156:157]
	v_mul_f64_e32 v[156:157], v[188:189], v[156:157]
	scratch_load_b128 v[150:153], off, off offset:528
	v_add_f64_e32 v[190:191], v[190:191], v[196:197]
	s_wait_loadcnt_dscnt 0xb00
	v_mul_f64_e32 v[196:197], v[4:5], v[160:161]
	v_add_f64_e32 v[200:201], v[180:181], v[178:179]
	v_mul_f64_e32 v[160:161], v[6:7], v[160:161]
	ds_load_b128 v[178:181], v2 offset:1344
	v_fmac_f64_e32 v[192:193], v[188:189], v[154:155]
	v_fma_f64 v[186:187], v[186:187], v[154:155], -v[156:157]
	scratch_load_b128 v[154:157], off, off offset:544
	v_add_f64_e32 v[190:191], v[190:191], v[194:195]
	v_fmac_f64_e32 v[196:197], v[6:7], v[158:159]
	v_add_f64_e32 v[188:189], v[200:201], v[198:199]
	;; [unrolled: 18-line block ×3, first 2 shown]
	v_fma_f64 v[198:199], v[4:5], v[170:171], -v[172:173]
	ds_load_b128 v[4:7], v2 offset:1392
	s_wait_loadcnt_dscnt 0xa01
	v_mul_f64_e32 v[196:197], v[186:187], v[184:185]
	v_mul_f64_e32 v[184:185], v[188:189], v[184:185]
	scratch_load_b128 v[170:173], off, off offset:592
	v_add_f64_e32 v[190:191], v[190:191], v[194:195]
	v_add_f64_e32 v[200:201], v[180:181], v[178:179]
	s_wait_loadcnt_dscnt 0xa00
	v_mul_f64_e32 v[194:195], v[4:5], v[168:169]
	v_mul_f64_e32 v[168:169], v[6:7], v[168:169]
	v_fmac_f64_e32 v[196:197], v[188:189], v[182:183]
	v_fma_f64 v[186:187], v[186:187], v[182:183], -v[184:185]
	ds_load_b128 v[178:181], v2 offset:1408
	scratch_load_b128 v[182:185], off, off offset:608
	v_add_f64_e32 v[190:191], v[190:191], v[192:193]
	v_add_f64_e32 v[188:189], v[200:201], v[198:199]
	v_fmac_f64_e32 v[194:195], v[6:7], v[166:167]
	v_fma_f64 v[198:199], v[4:5], v[166:167], -v[168:169]
	ds_load_b128 v[4:7], v2 offset:1424
	s_wait_loadcnt_dscnt 0xa01
	v_mul_f64_e32 v[192:193], v[178:179], v[12:13]
	v_mul_f64_e32 v[12:13], v[180:181], v[12:13]
	scratch_load_b128 v[166:169], off, off offset:624
	v_add_f64_e32 v[190:191], v[190:191], v[196:197]
	s_wait_loadcnt_dscnt 0xa00
	v_mul_f64_e32 v[196:197], v[4:5], v[136:137]
	v_add_f64_e32 v[200:201], v[188:189], v[186:187]
	v_mul_f64_e32 v[136:137], v[6:7], v[136:137]
	ds_load_b128 v[186:189], v2 offset:1440
	v_fmac_f64_e32 v[192:193], v[180:181], v[10:11]
	v_fma_f64 v[178:179], v[178:179], v[10:11], -v[12:13]
	scratch_load_b128 v[10:13], off, off offset:640
	v_add_f64_e32 v[190:191], v[190:191], v[194:195]
	v_fmac_f64_e32 v[196:197], v[6:7], v[134:135]
	v_add_f64_e32 v[180:181], v[200:201], v[198:199]
	v_fma_f64 v[198:199], v[4:5], v[134:135], -v[136:137]
	ds_load_b128 v[4:7], v2 offset:1456
	s_wait_loadcnt_dscnt 0xa01
	v_mul_f64_e32 v[194:195], v[186:187], v[140:141]
	v_mul_f64_e32 v[140:141], v[188:189], v[140:141]
	scratch_load_b128 v[134:137], off, off offset:656
	v_add_f64_e32 v[190:191], v[190:191], v[192:193]
	s_wait_loadcnt_dscnt 0xa00
	v_mul_f64_e32 v[192:193], v[4:5], v[144:145]
	v_add_f64_e32 v[200:201], v[180:181], v[178:179]
	v_mul_f64_e32 v[144:145], v[6:7], v[144:145]
	ds_load_b128 v[178:181], v2 offset:1472
	v_fmac_f64_e32 v[194:195], v[188:189], v[138:139]
	v_fma_f64 v[186:187], v[186:187], v[138:139], -v[140:141]
	scratch_load_b128 v[138:141], off, off offset:672
	v_add_f64_e32 v[190:191], v[190:191], v[196:197]
	v_fmac_f64_e32 v[192:193], v[6:7], v[142:143]
	v_add_f64_e32 v[188:189], v[200:201], v[198:199]
	v_fma_f64 v[198:199], v[4:5], v[142:143], -v[144:145]
	ds_load_b128 v[4:7], v2 offset:1488
	s_wait_loadcnt_dscnt 0xa01
	v_mul_f64_e32 v[196:197], v[178:179], v[148:149]
	v_mul_f64_e32 v[148:149], v[180:181], v[148:149]
	scratch_load_b128 v[142:145], off, off offset:688
	v_add_f64_e32 v[190:191], v[190:191], v[194:195]
	s_wait_loadcnt_dscnt 0xa00
	v_mul_f64_e32 v[194:195], v[4:5], v[152:153]
	v_add_f64_e32 v[200:201], v[188:189], v[186:187]
	v_mul_f64_e32 v[152:153], v[6:7], v[152:153]
	ds_load_b128 v[186:189], v2 offset:1504
	v_fmac_f64_e32 v[196:197], v[180:181], v[146:147]
	v_fma_f64 v[178:179], v[178:179], v[146:147], -v[148:149]
	scratch_load_b128 v[146:149], off, off offset:704
	v_add_f64_e32 v[190:191], v[190:191], v[192:193]
	v_fmac_f64_e32 v[194:195], v[6:7], v[150:151]
	v_add_f64_e32 v[180:181], v[200:201], v[198:199]
	v_fma_f64 v[198:199], v[4:5], v[150:151], -v[152:153]
	ds_load_b128 v[4:7], v2 offset:1520
	s_wait_loadcnt_dscnt 0xa01
	v_mul_f64_e32 v[192:193], v[186:187], v[156:157]
	v_mul_f64_e32 v[156:157], v[188:189], v[156:157]
	scratch_load_b128 v[150:153], off, off offset:720
	v_add_f64_e32 v[190:191], v[190:191], v[196:197]
	s_wait_loadcnt_dscnt 0xa00
	v_mul_f64_e32 v[196:197], v[4:5], v[160:161]
	v_add_f64_e32 v[200:201], v[180:181], v[178:179]
	v_mul_f64_e32 v[160:161], v[6:7], v[160:161]
	ds_load_b128 v[178:181], v2 offset:1536
	v_fmac_f64_e32 v[192:193], v[188:189], v[154:155]
	v_fma_f64 v[186:187], v[186:187], v[154:155], -v[156:157]
	scratch_load_b128 v[154:157], off, off offset:736
	v_add_f64_e32 v[190:191], v[190:191], v[194:195]
	v_fmac_f64_e32 v[196:197], v[6:7], v[158:159]
	v_add_f64_e32 v[188:189], v[200:201], v[198:199]
	v_fma_f64 v[198:199], v[4:5], v[158:159], -v[160:161]
	ds_load_b128 v[4:7], v2 offset:1552
	s_wait_loadcnt_dscnt 0xa01
	v_mul_f64_e32 v[194:195], v[178:179], v[164:165]
	v_mul_f64_e32 v[164:165], v[180:181], v[164:165]
	scratch_load_b128 v[158:161], off, off offset:752
	v_add_f64_e32 v[190:191], v[190:191], v[192:193]
	s_wait_loadcnt_dscnt 0xa00
	v_mul_f64_e32 v[192:193], v[4:5], v[172:173]
	v_add_f64_e32 v[200:201], v[188:189], v[186:187]
	v_mul_f64_e32 v[172:173], v[6:7], v[172:173]
	ds_load_b128 v[186:189], v2 offset:1568
	v_fmac_f64_e32 v[194:195], v[180:181], v[162:163]
	v_fma_f64 v[178:179], v[178:179], v[162:163], -v[164:165]
	scratch_load_b128 v[162:165], off, off offset:768
	v_add_f64_e32 v[190:191], v[190:191], v[196:197]
	v_fmac_f64_e32 v[192:193], v[6:7], v[170:171]
	v_add_f64_e32 v[180:181], v[200:201], v[198:199]
	v_fma_f64 v[198:199], v[4:5], v[170:171], -v[172:173]
	ds_load_b128 v[4:7], v2 offset:1584
	s_wait_loadcnt_dscnt 0xa01
	v_mul_f64_e32 v[196:197], v[186:187], v[184:185]
	v_mul_f64_e32 v[184:185], v[188:189], v[184:185]
	scratch_load_b128 v[170:173], off, off offset:784
	v_add_f64_e32 v[190:191], v[190:191], v[194:195]
	s_wait_loadcnt_dscnt 0xa00
	v_mul_f64_e32 v[194:195], v[4:5], v[168:169]
	v_add_f64_e32 v[200:201], v[180:181], v[178:179]
	v_mul_f64_e32 v[168:169], v[6:7], v[168:169]
	ds_load_b128 v[178:181], v2 offset:1600
	v_fmac_f64_e32 v[196:197], v[188:189], v[182:183]
	v_fma_f64 v[186:187], v[186:187], v[182:183], -v[184:185]
	scratch_load_b128 v[182:185], off, off offset:800
	v_add_f64_e32 v[190:191], v[190:191], v[192:193]
	v_fmac_f64_e32 v[194:195], v[6:7], v[166:167]
	v_add_f64_e32 v[188:189], v[200:201], v[198:199]
	v_fma_f64 v[198:199], v[4:5], v[166:167], -v[168:169]
	ds_load_b128 v[4:7], v2 offset:1616
	s_wait_loadcnt_dscnt 0xa01
	v_mul_f64_e32 v[192:193], v[178:179], v[12:13]
	v_mul_f64_e32 v[12:13], v[180:181], v[12:13]
	scratch_load_b128 v[166:169], off, off offset:816
	v_add_f64_e32 v[190:191], v[190:191], v[196:197]
	s_wait_loadcnt_dscnt 0xa00
	v_mul_f64_e32 v[196:197], v[4:5], v[136:137]
	v_add_f64_e32 v[200:201], v[188:189], v[186:187]
	v_mul_f64_e32 v[136:137], v[6:7], v[136:137]
	ds_load_b128 v[186:189], v2 offset:1632
	v_fmac_f64_e32 v[192:193], v[180:181], v[10:11]
	v_fma_f64 v[178:179], v[178:179], v[10:11], -v[12:13]
	scratch_load_b128 v[10:13], off, off offset:832
	v_add_f64_e32 v[190:191], v[190:191], v[194:195]
	v_fmac_f64_e32 v[196:197], v[6:7], v[134:135]
	v_add_f64_e32 v[180:181], v[200:201], v[198:199]
	v_fma_f64 v[198:199], v[4:5], v[134:135], -v[136:137]
	ds_load_b128 v[4:7], v2 offset:1648
	s_wait_loadcnt_dscnt 0xa01
	v_mul_f64_e32 v[194:195], v[186:187], v[140:141]
	v_mul_f64_e32 v[140:141], v[188:189], v[140:141]
	scratch_load_b128 v[134:137], off, off offset:848
	v_add_f64_e32 v[190:191], v[190:191], v[192:193]
	s_wait_loadcnt_dscnt 0xa00
	v_mul_f64_e32 v[192:193], v[4:5], v[144:145]
	v_add_f64_e32 v[200:201], v[180:181], v[178:179]
	v_mul_f64_e32 v[144:145], v[6:7], v[144:145]
	ds_load_b128 v[178:181], v2 offset:1664
	v_fmac_f64_e32 v[194:195], v[188:189], v[138:139]
	v_fma_f64 v[186:187], v[186:187], v[138:139], -v[140:141]
	scratch_load_b128 v[138:141], off, off offset:864
	v_add_f64_e32 v[190:191], v[190:191], v[196:197]
	v_fmac_f64_e32 v[192:193], v[6:7], v[142:143]
	v_add_f64_e32 v[188:189], v[200:201], v[198:199]
	v_fma_f64 v[198:199], v[4:5], v[142:143], -v[144:145]
	ds_load_b128 v[4:7], v2 offset:1680
	s_wait_loadcnt_dscnt 0xa01
	v_mul_f64_e32 v[196:197], v[178:179], v[148:149]
	v_mul_f64_e32 v[148:149], v[180:181], v[148:149]
	scratch_load_b128 v[142:145], off, off offset:880
	v_add_f64_e32 v[190:191], v[190:191], v[194:195]
	s_wait_loadcnt_dscnt 0xa00
	v_mul_f64_e32 v[194:195], v[4:5], v[152:153]
	v_add_f64_e32 v[200:201], v[188:189], v[186:187]
	v_mul_f64_e32 v[152:153], v[6:7], v[152:153]
	ds_load_b128 v[186:189], v2 offset:1696
	v_fmac_f64_e32 v[196:197], v[180:181], v[146:147]
	v_fma_f64 v[178:179], v[178:179], v[146:147], -v[148:149]
	scratch_load_b128 v[146:149], off, off offset:896
	v_add_f64_e32 v[190:191], v[190:191], v[192:193]
	v_fmac_f64_e32 v[194:195], v[6:7], v[150:151]
	v_add_f64_e32 v[180:181], v[200:201], v[198:199]
	v_fma_f64 v[198:199], v[4:5], v[150:151], -v[152:153]
	ds_load_b128 v[4:7], v2 offset:1712
	s_wait_loadcnt_dscnt 0xa01
	v_mul_f64_e32 v[192:193], v[186:187], v[156:157]
	v_mul_f64_e32 v[156:157], v[188:189], v[156:157]
	scratch_load_b128 v[150:153], off, off offset:912
	v_add_f64_e32 v[190:191], v[190:191], v[196:197]
	s_wait_loadcnt_dscnt 0xa00
	v_mul_f64_e32 v[196:197], v[4:5], v[160:161]
	v_add_f64_e32 v[200:201], v[180:181], v[178:179]
	v_mul_f64_e32 v[160:161], v[6:7], v[160:161]
	ds_load_b128 v[178:181], v2 offset:1728
	v_fmac_f64_e32 v[192:193], v[188:189], v[154:155]
	v_fma_f64 v[186:187], v[186:187], v[154:155], -v[156:157]
	scratch_load_b128 v[154:157], off, off offset:928
	v_add_f64_e32 v[190:191], v[190:191], v[194:195]
	v_fmac_f64_e32 v[196:197], v[6:7], v[158:159]
	v_add_f64_e32 v[188:189], v[200:201], v[198:199]
	v_fma_f64 v[198:199], v[4:5], v[158:159], -v[160:161]
	ds_load_b128 v[4:7], v2 offset:1744
	s_wait_loadcnt_dscnt 0xa01
	v_mul_f64_e32 v[194:195], v[178:179], v[164:165]
	v_mul_f64_e32 v[164:165], v[180:181], v[164:165]
	scratch_load_b128 v[158:161], off, off offset:944
	v_add_f64_e32 v[190:191], v[190:191], v[192:193]
	s_wait_loadcnt_dscnt 0xa00
	v_mul_f64_e32 v[192:193], v[4:5], v[172:173]
	v_add_f64_e32 v[200:201], v[188:189], v[186:187]
	v_mul_f64_e32 v[172:173], v[6:7], v[172:173]
	ds_load_b128 v[186:189], v2 offset:1760
	v_fmac_f64_e32 v[194:195], v[180:181], v[162:163]
	v_fma_f64 v[162:163], v[178:179], v[162:163], -v[164:165]
	s_wait_loadcnt_dscnt 0x900
	v_mul_f64_e32 v[180:181], v[186:187], v[184:185]
	v_mul_f64_e32 v[184:185], v[188:189], v[184:185]
	v_add_f64_e32 v[178:179], v[190:191], v[196:197]
	v_fmac_f64_e32 v[192:193], v[6:7], v[170:171]
	v_add_f64_e32 v[164:165], v[200:201], v[198:199]
	v_fma_f64 v[170:171], v[4:5], v[170:171], -v[172:173]
	v_fmac_f64_e32 v[180:181], v[188:189], v[182:183]
	v_fma_f64 v[182:183], v[186:187], v[182:183], -v[184:185]
	v_add_f64_e32 v[178:179], v[178:179], v[194:195]
	v_add_f64_e32 v[172:173], v[164:165], v[162:163]
	ds_load_b128 v[4:7], v2 offset:1776
	ds_load_b128 v[162:165], v2 offset:1792
	s_wait_loadcnt_dscnt 0x801
	v_mul_f64_e32 v[190:191], v[4:5], v[168:169]
	v_mul_f64_e32 v[168:169], v[6:7], v[168:169]
	v_add_f64_e32 v[170:171], v[172:173], v[170:171]
	v_add_f64_e32 v[172:173], v[178:179], v[192:193]
	s_wait_loadcnt_dscnt 0x700
	v_mul_f64_e32 v[178:179], v[162:163], v[12:13]
	v_mul_f64_e32 v[12:13], v[164:165], v[12:13]
	v_fmac_f64_e32 v[190:191], v[6:7], v[166:167]
	v_fma_f64 v[184:185], v[4:5], v[166:167], -v[168:169]
	ds_load_b128 v[4:7], v2 offset:1808
	ds_load_b128 v[166:169], v2 offset:1824
	v_add_f64_e32 v[170:171], v[170:171], v[182:183]
	v_add_f64_e32 v[172:173], v[172:173], v[180:181]
	v_fmac_f64_e32 v[178:179], v[164:165], v[10:11]
	v_fma_f64 v[10:11], v[162:163], v[10:11], -v[12:13]
	s_wait_loadcnt_dscnt 0x601
	v_mul_f64_e32 v[180:181], v[4:5], v[136:137]
	v_mul_f64_e32 v[136:137], v[6:7], v[136:137]
	s_wait_loadcnt_dscnt 0x500
	v_mul_f64_e32 v[164:165], v[166:167], v[140:141]
	v_mul_f64_e32 v[140:141], v[168:169], v[140:141]
	v_add_f64_e32 v[12:13], v[170:171], v[184:185]
	v_add_f64_e32 v[162:163], v[172:173], v[190:191]
	v_fmac_f64_e32 v[180:181], v[6:7], v[134:135]
	v_fma_f64 v[134:135], v[4:5], v[134:135], -v[136:137]
	v_fmac_f64_e32 v[164:165], v[168:169], v[138:139]
	v_fma_f64 v[138:139], v[166:167], v[138:139], -v[140:141]
	v_add_f64_e32 v[136:137], v[12:13], v[10:11]
	v_add_f64_e32 v[162:163], v[162:163], v[178:179]
	ds_load_b128 v[4:7], v2 offset:1840
	ds_load_b128 v[10:13], v2 offset:1856
	s_wait_loadcnt_dscnt 0x401
	v_mul_f64_e32 v[170:171], v[4:5], v[144:145]
	v_mul_f64_e32 v[144:145], v[6:7], v[144:145]
	s_wait_loadcnt_dscnt 0x300
	v_mul_f64_e32 v[140:141], v[10:11], v[148:149]
	v_mul_f64_e32 v[148:149], v[12:13], v[148:149]
	v_add_f64_e32 v[134:135], v[136:137], v[134:135]
	v_add_f64_e32 v[136:137], v[162:163], v[180:181]
	v_fmac_f64_e32 v[170:171], v[6:7], v[142:143]
	v_fma_f64 v[142:143], v[4:5], v[142:143], -v[144:145]
	v_fmac_f64_e32 v[140:141], v[12:13], v[146:147]
	v_fma_f64 v[10:11], v[10:11], v[146:147], -v[148:149]
	v_add_f64_e32 v[138:139], v[134:135], v[138:139]
	v_add_f64_e32 v[144:145], v[136:137], v[164:165]
	ds_load_b128 v[4:7], v2 offset:1872
	ds_load_b128 v[134:137], v2 offset:1888
	s_wait_loadcnt_dscnt 0x201
	v_mul_f64_e32 v[162:163], v[4:5], v[152:153]
	v_mul_f64_e32 v[152:153], v[6:7], v[152:153]
	v_add_f64_e32 v[12:13], v[138:139], v[142:143]
	v_add_f64_e32 v[138:139], v[144:145], v[170:171]
	s_wait_loadcnt_dscnt 0x100
	v_mul_f64_e32 v[142:143], v[134:135], v[156:157]
	v_mul_f64_e32 v[144:145], v[136:137], v[156:157]
	v_fmac_f64_e32 v[162:163], v[6:7], v[150:151]
	v_fma_f64 v[146:147], v[4:5], v[150:151], -v[152:153]
	ds_load_b128 v[4:7], v2 offset:1904
	v_add_f64_e32 v[10:11], v[12:13], v[10:11]
	v_add_f64_e32 v[12:13], v[138:139], v[140:141]
	v_fmac_f64_e32 v[142:143], v[136:137], v[154:155]
	v_fma_f64 v[134:135], v[134:135], v[154:155], -v[144:145]
	s_wait_loadcnt_dscnt 0x0
	v_mul_f64_e32 v[138:139], v[4:5], v[160:161]
	v_mul_f64_e32 v[140:141], v[6:7], v[160:161]
	v_add_f64_e32 v[10:11], v[10:11], v[146:147]
	v_add_f64_e32 v[12:13], v[12:13], v[162:163]
	s_delay_alu instid0(VALU_DEP_4) | instskip(NEXT) | instid1(VALU_DEP_4)
	v_fmac_f64_e32 v[138:139], v[6:7], v[158:159]
	v_fma_f64 v[4:5], v[4:5], v[158:159], -v[140:141]
	s_delay_alu instid0(VALU_DEP_4) | instskip(NEXT) | instid1(VALU_DEP_4)
	v_add_f64_e32 v[6:7], v[10:11], v[134:135]
	v_add_f64_e32 v[10:11], v[12:13], v[142:143]
	s_delay_alu instid0(VALU_DEP_2) | instskip(NEXT) | instid1(VALU_DEP_2)
	v_add_f64_e32 v[4:5], v[6:7], v[4:5]
	v_add_f64_e32 v[6:7], v[10:11], v[138:139]
	s_delay_alu instid0(VALU_DEP_2) | instskip(NEXT) | instid1(VALU_DEP_2)
	v_add_f64_e64 v[4:5], v[174:175], -v[4:5]
	v_add_f64_e64 v[6:7], v[176:177], -v[6:7]
	scratch_store_b128 off, v[4:7], off offset:224
	s_wait_xcnt 0x0
	v_cmpx_lt_u32_e32 13, v1
	s_cbranch_execz .LBB123_347
; %bb.346:
	scratch_load_b128 v[10:13], off, s63
	v_dual_mov_b32 v3, v2 :: v_dual_mov_b32 v4, v2
	v_mov_b32_e32 v5, v2
	scratch_store_b128 off, v[2:5], off offset:208
	s_wait_loadcnt 0x0
	ds_store_b128 v8, v[10:13]
.LBB123_347:
	s_wait_xcnt 0x0
	s_or_b32 exec_lo, exec_lo, s2
	s_wait_storecnt_dscnt 0x0
	s_barrier_signal -1
	s_barrier_wait -1
	s_clause 0x9
	scratch_load_b128 v[4:7], off, off offset:224
	scratch_load_b128 v[10:13], off, off offset:240
	;; [unrolled: 1-line block ×10, first 2 shown]
	ds_load_b128 v[166:169], v2 offset:1184
	ds_load_b128 v[174:177], v2 offset:1200
	s_clause 0x2
	scratch_load_b128 v[170:173], off, off offset:384
	scratch_load_b128 v[178:181], off, off offset:208
	;; [unrolled: 1-line block ×3, first 2 shown]
	s_mov_b32 s2, exec_lo
	s_wait_loadcnt_dscnt 0xc01
	v_mul_f64_e32 v[186:187], v[168:169], v[6:7]
	v_mul_f64_e32 v[190:191], v[166:167], v[6:7]
	s_wait_loadcnt_dscnt 0xb00
	v_mul_f64_e32 v[192:193], v[174:175], v[12:13]
	v_mul_f64_e32 v[12:13], v[176:177], v[12:13]
	s_delay_alu instid0(VALU_DEP_4) | instskip(NEXT) | instid1(VALU_DEP_4)
	v_fma_f64 v[194:195], v[166:167], v[4:5], -v[186:187]
	v_fmac_f64_e32 v[190:191], v[168:169], v[4:5]
	ds_load_b128 v[4:7], v2 offset:1216
	ds_load_b128 v[166:169], v2 offset:1232
	scratch_load_b128 v[186:189], off, off offset:416
	v_fmac_f64_e32 v[192:193], v[176:177], v[10:11]
	v_fma_f64 v[174:175], v[174:175], v[10:11], -v[12:13]
	scratch_load_b128 v[10:13], off, off offset:432
	s_wait_loadcnt_dscnt 0xc01
	v_mul_f64_e32 v[196:197], v[4:5], v[136:137]
	v_mul_f64_e32 v[136:137], v[6:7], v[136:137]
	v_add_f64_e32 v[176:177], 0, v[194:195]
	v_add_f64_e32 v[190:191], 0, v[190:191]
	s_wait_loadcnt_dscnt 0xb00
	v_mul_f64_e32 v[194:195], v[166:167], v[140:141]
	v_mul_f64_e32 v[140:141], v[168:169], v[140:141]
	v_fmac_f64_e32 v[196:197], v[6:7], v[134:135]
	v_fma_f64 v[198:199], v[4:5], v[134:135], -v[136:137]
	ds_load_b128 v[4:7], v2 offset:1248
	ds_load_b128 v[134:137], v2 offset:1264
	v_add_f64_e32 v[200:201], v[176:177], v[174:175]
	v_add_f64_e32 v[190:191], v[190:191], v[192:193]
	scratch_load_b128 v[174:177], off, off offset:448
	v_fmac_f64_e32 v[194:195], v[168:169], v[138:139]
	v_fma_f64 v[166:167], v[166:167], v[138:139], -v[140:141]
	scratch_load_b128 v[138:141], off, off offset:464
	s_wait_loadcnt_dscnt 0xc01
	v_mul_f64_e32 v[192:193], v[4:5], v[144:145]
	v_mul_f64_e32 v[144:145], v[6:7], v[144:145]
	v_add_f64_e32 v[168:169], v[200:201], v[198:199]
	v_add_f64_e32 v[190:191], v[190:191], v[196:197]
	s_wait_loadcnt_dscnt 0xb00
	v_mul_f64_e32 v[196:197], v[134:135], v[148:149]
	v_mul_f64_e32 v[148:149], v[136:137], v[148:149]
	v_fmac_f64_e32 v[192:193], v[6:7], v[142:143]
	v_fma_f64 v[198:199], v[4:5], v[142:143], -v[144:145]
	ds_load_b128 v[4:7], v2 offset:1280
	ds_load_b128 v[142:145], v2 offset:1296
	v_add_f64_e32 v[200:201], v[168:169], v[166:167]
	v_add_f64_e32 v[190:191], v[190:191], v[194:195]
	scratch_load_b128 v[166:169], off, off offset:480
	s_wait_loadcnt_dscnt 0xb01
	v_mul_f64_e32 v[194:195], v[4:5], v[152:153]
	v_mul_f64_e32 v[152:153], v[6:7], v[152:153]
	v_fmac_f64_e32 v[196:197], v[136:137], v[146:147]
	v_fma_f64 v[146:147], v[134:135], v[146:147], -v[148:149]
	scratch_load_b128 v[134:137], off, off offset:496
	v_add_f64_e32 v[148:149], v[200:201], v[198:199]
	v_add_f64_e32 v[190:191], v[190:191], v[192:193]
	s_wait_loadcnt_dscnt 0xb00
	v_mul_f64_e32 v[192:193], v[142:143], v[156:157]
	v_mul_f64_e32 v[156:157], v[144:145], v[156:157]
	v_fmac_f64_e32 v[194:195], v[6:7], v[150:151]
	v_fma_f64 v[198:199], v[4:5], v[150:151], -v[152:153]
	v_add_f64_e32 v[200:201], v[148:149], v[146:147]
	v_add_f64_e32 v[190:191], v[190:191], v[196:197]
	ds_load_b128 v[4:7], v2 offset:1312
	ds_load_b128 v[146:149], v2 offset:1328
	scratch_load_b128 v[150:153], off, off offset:512
	v_fmac_f64_e32 v[192:193], v[144:145], v[154:155]
	v_fma_f64 v[154:155], v[142:143], v[154:155], -v[156:157]
	scratch_load_b128 v[142:145], off, off offset:528
	s_wait_loadcnt_dscnt 0xc01
	v_mul_f64_e32 v[196:197], v[4:5], v[160:161]
	v_mul_f64_e32 v[160:161], v[6:7], v[160:161]
	v_add_f64_e32 v[156:157], v[200:201], v[198:199]
	v_add_f64_e32 v[190:191], v[190:191], v[194:195]
	s_wait_loadcnt_dscnt 0xb00
	v_mul_f64_e32 v[194:195], v[146:147], v[164:165]
	v_mul_f64_e32 v[164:165], v[148:149], v[164:165]
	v_fmac_f64_e32 v[196:197], v[6:7], v[158:159]
	v_fma_f64 v[198:199], v[4:5], v[158:159], -v[160:161]
	v_add_f64_e32 v[200:201], v[156:157], v[154:155]
	v_add_f64_e32 v[190:191], v[190:191], v[192:193]
	ds_load_b128 v[4:7], v2 offset:1344
	ds_load_b128 v[154:157], v2 offset:1360
	scratch_load_b128 v[158:161], off, off offset:544
	v_fmac_f64_e32 v[194:195], v[148:149], v[162:163]
	v_fma_f64 v[162:163], v[146:147], v[162:163], -v[164:165]
	scratch_load_b128 v[146:149], off, off offset:560
	s_wait_loadcnt_dscnt 0xc01
	v_mul_f64_e32 v[192:193], v[4:5], v[172:173]
	v_mul_f64_e32 v[172:173], v[6:7], v[172:173]
	;; [unrolled: 18-line block ×5, first 2 shown]
	v_add_f64_e32 v[184:185], v[200:201], v[198:199]
	v_add_f64_e32 v[190:191], v[190:191], v[196:197]
	s_wait_loadcnt_dscnt 0xa00
	v_mul_f64_e32 v[196:197], v[162:163], v[136:137]
	v_mul_f64_e32 v[136:137], v[164:165], v[136:137]
	v_fmac_f64_e32 v[192:193], v[6:7], v[166:167]
	v_fma_f64 v[198:199], v[4:5], v[166:167], -v[168:169]
	ds_load_b128 v[4:7], v2 offset:1472
	ds_load_b128 v[166:169], v2 offset:1488
	v_add_f64_e32 v[200:201], v[184:185], v[182:183]
	v_add_f64_e32 v[190:191], v[190:191], v[194:195]
	scratch_load_b128 v[182:185], off, off offset:672
	v_fmac_f64_e32 v[196:197], v[164:165], v[134:135]
	v_fma_f64 v[162:163], v[162:163], v[134:135], -v[136:137]
	scratch_load_b128 v[134:137], off, off offset:688
	s_wait_loadcnt_dscnt 0xb01
	v_mul_f64_e32 v[194:195], v[4:5], v[152:153]
	v_mul_f64_e32 v[152:153], v[6:7], v[152:153]
	v_add_f64_e32 v[164:165], v[200:201], v[198:199]
	v_add_f64_e32 v[190:191], v[190:191], v[192:193]
	s_wait_loadcnt_dscnt 0xa00
	v_mul_f64_e32 v[192:193], v[166:167], v[144:145]
	v_mul_f64_e32 v[144:145], v[168:169], v[144:145]
	v_fmac_f64_e32 v[194:195], v[6:7], v[150:151]
	v_fma_f64 v[198:199], v[4:5], v[150:151], -v[152:153]
	ds_load_b128 v[4:7], v2 offset:1504
	ds_load_b128 v[150:153], v2 offset:1520
	v_add_f64_e32 v[200:201], v[164:165], v[162:163]
	v_add_f64_e32 v[190:191], v[190:191], v[196:197]
	scratch_load_b128 v[162:165], off, off offset:704
	s_wait_loadcnt_dscnt 0xa01
	v_mul_f64_e32 v[196:197], v[4:5], v[160:161]
	v_mul_f64_e32 v[160:161], v[6:7], v[160:161]
	v_fmac_f64_e32 v[192:193], v[168:169], v[142:143]
	v_fma_f64 v[166:167], v[166:167], v[142:143], -v[144:145]
	scratch_load_b128 v[142:145], off, off offset:720
	v_add_f64_e32 v[168:169], v[200:201], v[198:199]
	v_add_f64_e32 v[190:191], v[190:191], v[194:195]
	s_wait_loadcnt_dscnt 0xa00
	v_mul_f64_e32 v[194:195], v[150:151], v[148:149]
	v_mul_f64_e32 v[148:149], v[152:153], v[148:149]
	v_fmac_f64_e32 v[196:197], v[6:7], v[158:159]
	v_fma_f64 v[198:199], v[4:5], v[158:159], -v[160:161]
	ds_load_b128 v[4:7], v2 offset:1536
	ds_load_b128 v[158:161], v2 offset:1552
	v_add_f64_e32 v[200:201], v[168:169], v[166:167]
	v_add_f64_e32 v[190:191], v[190:191], v[192:193]
	scratch_load_b128 v[166:169], off, off offset:736
	s_wait_loadcnt_dscnt 0xa01
	v_mul_f64_e32 v[192:193], v[4:5], v[172:173]
	v_mul_f64_e32 v[172:173], v[6:7], v[172:173]
	v_fmac_f64_e32 v[194:195], v[152:153], v[146:147]
	v_fma_f64 v[150:151], v[150:151], v[146:147], -v[148:149]
	scratch_load_b128 v[146:149], off, off offset:752
	v_add_f64_e32 v[152:153], v[200:201], v[198:199]
	v_add_f64_e32 v[190:191], v[190:191], v[196:197]
	s_wait_loadcnt_dscnt 0xa00
	v_mul_f64_e32 v[196:197], v[158:159], v[156:157]
	v_mul_f64_e32 v[156:157], v[160:161], v[156:157]
	v_fmac_f64_e32 v[192:193], v[6:7], v[170:171]
	v_fma_f64 v[198:199], v[4:5], v[170:171], -v[172:173]
	v_add_f64_e32 v[200:201], v[152:153], v[150:151]
	v_add_f64_e32 v[190:191], v[190:191], v[194:195]
	ds_load_b128 v[4:7], v2 offset:1568
	ds_load_b128 v[150:153], v2 offset:1584
	scratch_load_b128 v[170:173], off, off offset:768
	v_fmac_f64_e32 v[196:197], v[160:161], v[154:155]
	v_fma_f64 v[158:159], v[158:159], v[154:155], -v[156:157]
	scratch_load_b128 v[154:157], off, off offset:784
	s_wait_loadcnt_dscnt 0xb01
	v_mul_f64_e32 v[194:195], v[4:5], v[188:189]
	v_mul_f64_e32 v[188:189], v[6:7], v[188:189]
	v_add_f64_e32 v[160:161], v[200:201], v[198:199]
	v_add_f64_e32 v[190:191], v[190:191], v[192:193]
	s_wait_loadcnt_dscnt 0xa00
	v_mul_f64_e32 v[192:193], v[150:151], v[12:13]
	v_mul_f64_e32 v[12:13], v[152:153], v[12:13]
	v_fmac_f64_e32 v[194:195], v[6:7], v[186:187]
	v_fma_f64 v[198:199], v[4:5], v[186:187], -v[188:189]
	v_add_f64_e32 v[200:201], v[160:161], v[158:159]
	v_add_f64_e32 v[190:191], v[190:191], v[196:197]
	ds_load_b128 v[4:7], v2 offset:1600
	ds_load_b128 v[158:161], v2 offset:1616
	scratch_load_b128 v[186:189], off, off offset:800
	v_fmac_f64_e32 v[192:193], v[152:153], v[10:11]
	v_fma_f64 v[150:151], v[150:151], v[10:11], -v[12:13]
	scratch_load_b128 v[10:13], off, off offset:816
	s_wait_loadcnt_dscnt 0xb01
	v_mul_f64_e32 v[196:197], v[4:5], v[176:177]
	v_mul_f64_e32 v[176:177], v[6:7], v[176:177]
	;; [unrolled: 18-line block ×6, first 2 shown]
	v_add_f64_e32 v[152:153], v[200:201], v[198:199]
	v_add_f64_e32 v[190:191], v[190:191], v[196:197]
	s_wait_loadcnt_dscnt 0xa00
	v_mul_f64_e32 v[196:197], v[158:159], v[156:157]
	v_mul_f64_e32 v[156:157], v[160:161], v[156:157]
	v_fmac_f64_e32 v[192:193], v[6:7], v[170:171]
	v_fma_f64 v[170:171], v[4:5], v[170:171], -v[172:173]
	v_add_f64_e32 v[172:173], v[152:153], v[150:151]
	v_add_f64_e32 v[190:191], v[190:191], v[194:195]
	ds_load_b128 v[4:7], v2 offset:1760
	ds_load_b128 v[150:153], v2 offset:1776
	v_fmac_f64_e32 v[196:197], v[160:161], v[154:155]
	v_fma_f64 v[154:155], v[158:159], v[154:155], -v[156:157]
	s_wait_loadcnt_dscnt 0x901
	v_mul_f64_e32 v[194:195], v[4:5], v[188:189]
	v_mul_f64_e32 v[188:189], v[6:7], v[188:189]
	s_wait_loadcnt_dscnt 0x800
	v_mul_f64_e32 v[160:161], v[150:151], v[12:13]
	v_mul_f64_e32 v[12:13], v[152:153], v[12:13]
	v_add_f64_e32 v[156:157], v[172:173], v[170:171]
	v_add_f64_e32 v[158:159], v[190:191], v[192:193]
	v_fmac_f64_e32 v[194:195], v[6:7], v[186:187]
	v_fma_f64 v[170:171], v[4:5], v[186:187], -v[188:189]
	v_fmac_f64_e32 v[160:161], v[152:153], v[10:11]
	v_fma_f64 v[10:11], v[150:151], v[10:11], -v[12:13]
	v_add_f64_e32 v[172:173], v[156:157], v[154:155]
	v_add_f64_e32 v[158:159], v[158:159], v[196:197]
	ds_load_b128 v[4:7], v2 offset:1792
	ds_load_b128 v[154:157], v2 offset:1808
	s_wait_loadcnt_dscnt 0x701
	v_mul_f64_e32 v[186:187], v[4:5], v[176:177]
	v_mul_f64_e32 v[176:177], v[6:7], v[176:177]
	s_wait_loadcnt_dscnt 0x600
	v_mul_f64_e32 v[152:153], v[154:155], v[140:141]
	v_mul_f64_e32 v[140:141], v[156:157], v[140:141]
	v_add_f64_e32 v[12:13], v[172:173], v[170:171]
	v_add_f64_e32 v[150:151], v[158:159], v[194:195]
	v_fmac_f64_e32 v[186:187], v[6:7], v[174:175]
	v_fma_f64 v[158:159], v[4:5], v[174:175], -v[176:177]
	v_fmac_f64_e32 v[152:153], v[156:157], v[138:139]
	v_fma_f64 v[138:139], v[154:155], v[138:139], -v[140:141]
	v_add_f64_e32 v[170:171], v[12:13], v[10:11]
	v_add_f64_e32 v[150:151], v[150:151], v[160:161]
	ds_load_b128 v[4:7], v2 offset:1824
	ds_load_b128 v[10:13], v2 offset:1840
	;; [unrolled: 16-line block ×3, first 2 shown]
	s_wait_loadcnt_dscnt 0x301
	v_mul_f64_e32 v[152:153], v[4:5], v[164:165]
	v_mul_f64_e32 v[164:165], v[6:7], v[164:165]
	v_add_f64_e32 v[12:13], v[140:141], v[158:159]
	v_add_f64_e32 v[134:135], v[150:151], v[160:161]
	s_wait_loadcnt_dscnt 0x200
	v_mul_f64_e32 v[140:141], v[136:137], v[144:145]
	v_mul_f64_e32 v[144:145], v[138:139], v[144:145]
	v_fmac_f64_e32 v[152:153], v[6:7], v[162:163]
	v_fma_f64 v[150:151], v[4:5], v[162:163], -v[164:165]
	v_add_f64_e32 v[156:157], v[12:13], v[10:11]
	v_add_f64_e32 v[134:135], v[134:135], v[154:155]
	ds_load_b128 v[4:7], v2 offset:1888
	ds_load_b128 v[10:13], v2 offset:1904
	v_fmac_f64_e32 v[140:141], v[138:139], v[142:143]
	v_fma_f64 v[136:137], v[136:137], v[142:143], -v[144:145]
	s_wait_loadcnt_dscnt 0x101
	v_mul_f64_e32 v[2:3], v[4:5], v[168:169]
	v_mul_f64_e32 v[154:155], v[6:7], v[168:169]
	s_wait_loadcnt_dscnt 0x0
	v_mul_f64_e32 v[142:143], v[10:11], v[148:149]
	v_mul_f64_e32 v[144:145], v[12:13], v[148:149]
	v_add_f64_e32 v[138:139], v[156:157], v[150:151]
	v_add_f64_e32 v[134:135], v[134:135], v[152:153]
	v_fmac_f64_e32 v[2:3], v[6:7], v[166:167]
	v_fma_f64 v[4:5], v[4:5], v[166:167], -v[154:155]
	v_fmac_f64_e32 v[142:143], v[12:13], v[146:147]
	v_fma_f64 v[10:11], v[10:11], v[146:147], -v[144:145]
	v_add_f64_e32 v[6:7], v[138:139], v[136:137]
	v_add_f64_e32 v[134:135], v[134:135], v[140:141]
	s_delay_alu instid0(VALU_DEP_2) | instskip(NEXT) | instid1(VALU_DEP_2)
	v_add_f64_e32 v[4:5], v[6:7], v[4:5]
	v_add_f64_e32 v[2:3], v[134:135], v[2:3]
	s_delay_alu instid0(VALU_DEP_2) | instskip(NEXT) | instid1(VALU_DEP_2)
	v_add_f64_e32 v[4:5], v[4:5], v[10:11]
	v_add_f64_e32 v[6:7], v[2:3], v[142:143]
	s_delay_alu instid0(VALU_DEP_2) | instskip(NEXT) | instid1(VALU_DEP_2)
	v_add_f64_e64 v[2:3], v[178:179], -v[4:5]
	v_add_f64_e64 v[4:5], v[180:181], -v[6:7]
	scratch_store_b128 off, v[2:5], off offset:208
	s_wait_xcnt 0x0
	v_cmpx_lt_u32_e32 12, v1
	s_cbranch_execz .LBB123_349
; %bb.348:
	scratch_load_b128 v[2:5], off, s64
	v_mov_b32_e32 v10, 0
	s_delay_alu instid0(VALU_DEP_1)
	v_dual_mov_b32 v11, v10 :: v_dual_mov_b32 v12, v10
	v_mov_b32_e32 v13, v10
	scratch_store_b128 off, v[10:13], off offset:192
	s_wait_loadcnt 0x0
	ds_store_b128 v8, v[2:5]
.LBB123_349:
	s_wait_xcnt 0x0
	s_or_b32 exec_lo, exec_lo, s2
	s_wait_storecnt_dscnt 0x0
	s_barrier_signal -1
	s_barrier_wait -1
	s_clause 0x9
	scratch_load_b128 v[4:7], off, off offset:208
	scratch_load_b128 v[10:13], off, off offset:224
	;; [unrolled: 1-line block ×10, first 2 shown]
	v_mov_b32_e32 v2, 0
	s_mov_b32 s2, exec_lo
	ds_load_b128 v[166:169], v2 offset:1168
	s_clause 0x2
	scratch_load_b128 v[170:173], off, off offset:368
	scratch_load_b128 v[174:177], off, off offset:192
	;; [unrolled: 1-line block ×3, first 2 shown]
	s_wait_loadcnt_dscnt 0xc00
	v_mul_f64_e32 v[186:187], v[168:169], v[6:7]
	v_mul_f64_e32 v[190:191], v[166:167], v[6:7]
	ds_load_b128 v[178:181], v2 offset:1184
	v_fma_f64 v[194:195], v[166:167], v[4:5], -v[186:187]
	v_fmac_f64_e32 v[190:191], v[168:169], v[4:5]
	ds_load_b128 v[4:7], v2 offset:1200
	s_wait_loadcnt_dscnt 0xb01
	v_mul_f64_e32 v[192:193], v[178:179], v[12:13]
	v_mul_f64_e32 v[12:13], v[180:181], v[12:13]
	scratch_load_b128 v[166:169], off, off offset:400
	ds_load_b128 v[186:189], v2 offset:1216
	s_wait_loadcnt_dscnt 0xb01
	v_mul_f64_e32 v[196:197], v[4:5], v[136:137]
	v_mul_f64_e32 v[136:137], v[6:7], v[136:137]
	v_add_f64_e32 v[190:191], 0, v[190:191]
	v_fmac_f64_e32 v[192:193], v[180:181], v[10:11]
	v_fma_f64 v[178:179], v[178:179], v[10:11], -v[12:13]
	v_add_f64_e32 v[180:181], 0, v[194:195]
	scratch_load_b128 v[10:13], off, off offset:416
	v_fmac_f64_e32 v[196:197], v[6:7], v[134:135]
	v_fma_f64 v[198:199], v[4:5], v[134:135], -v[136:137]
	ds_load_b128 v[4:7], v2 offset:1232
	s_wait_loadcnt_dscnt 0xb01
	v_mul_f64_e32 v[194:195], v[186:187], v[140:141]
	v_mul_f64_e32 v[140:141], v[188:189], v[140:141]
	scratch_load_b128 v[134:137], off, off offset:432
	v_add_f64_e32 v[190:191], v[190:191], v[192:193]
	v_add_f64_e32 v[200:201], v[180:181], v[178:179]
	ds_load_b128 v[178:181], v2 offset:1248
	s_wait_loadcnt_dscnt 0xb01
	v_mul_f64_e32 v[192:193], v[4:5], v[144:145]
	v_mul_f64_e32 v[144:145], v[6:7], v[144:145]
	v_fmac_f64_e32 v[194:195], v[188:189], v[138:139]
	v_fma_f64 v[186:187], v[186:187], v[138:139], -v[140:141]
	scratch_load_b128 v[138:141], off, off offset:448
	v_add_f64_e32 v[190:191], v[190:191], v[196:197]
	v_add_f64_e32 v[188:189], v[200:201], v[198:199]
	v_fmac_f64_e32 v[192:193], v[6:7], v[142:143]
	v_fma_f64 v[198:199], v[4:5], v[142:143], -v[144:145]
	ds_load_b128 v[4:7], v2 offset:1264
	s_wait_loadcnt_dscnt 0xb01
	v_mul_f64_e32 v[196:197], v[178:179], v[148:149]
	v_mul_f64_e32 v[148:149], v[180:181], v[148:149]
	scratch_load_b128 v[142:145], off, off offset:464
	v_add_f64_e32 v[190:191], v[190:191], v[194:195]
	s_wait_loadcnt_dscnt 0xb00
	v_mul_f64_e32 v[194:195], v[4:5], v[152:153]
	v_add_f64_e32 v[200:201], v[188:189], v[186:187]
	v_mul_f64_e32 v[152:153], v[6:7], v[152:153]
	ds_load_b128 v[186:189], v2 offset:1280
	v_fmac_f64_e32 v[196:197], v[180:181], v[146:147]
	v_fma_f64 v[178:179], v[178:179], v[146:147], -v[148:149]
	scratch_load_b128 v[146:149], off, off offset:480
	v_add_f64_e32 v[190:191], v[190:191], v[192:193]
	v_fmac_f64_e32 v[194:195], v[6:7], v[150:151]
	v_add_f64_e32 v[180:181], v[200:201], v[198:199]
	v_fma_f64 v[198:199], v[4:5], v[150:151], -v[152:153]
	ds_load_b128 v[4:7], v2 offset:1296
	s_wait_loadcnt_dscnt 0xb01
	v_mul_f64_e32 v[192:193], v[186:187], v[156:157]
	v_mul_f64_e32 v[156:157], v[188:189], v[156:157]
	scratch_load_b128 v[150:153], off, off offset:496
	v_add_f64_e32 v[190:191], v[190:191], v[196:197]
	s_wait_loadcnt_dscnt 0xb00
	v_mul_f64_e32 v[196:197], v[4:5], v[160:161]
	v_add_f64_e32 v[200:201], v[180:181], v[178:179]
	v_mul_f64_e32 v[160:161], v[6:7], v[160:161]
	ds_load_b128 v[178:181], v2 offset:1312
	v_fmac_f64_e32 v[192:193], v[188:189], v[154:155]
	v_fma_f64 v[186:187], v[186:187], v[154:155], -v[156:157]
	scratch_load_b128 v[154:157], off, off offset:512
	v_add_f64_e32 v[190:191], v[190:191], v[194:195]
	v_fmac_f64_e32 v[196:197], v[6:7], v[158:159]
	v_add_f64_e32 v[188:189], v[200:201], v[198:199]
	;; [unrolled: 18-line block ×3, first 2 shown]
	v_fma_f64 v[198:199], v[4:5], v[170:171], -v[172:173]
	ds_load_b128 v[4:7], v2 offset:1360
	s_wait_loadcnt_dscnt 0xa01
	v_mul_f64_e32 v[196:197], v[186:187], v[184:185]
	v_mul_f64_e32 v[184:185], v[188:189], v[184:185]
	scratch_load_b128 v[170:173], off, off offset:560
	v_add_f64_e32 v[190:191], v[190:191], v[194:195]
	v_add_f64_e32 v[200:201], v[180:181], v[178:179]
	s_wait_loadcnt_dscnt 0xa00
	v_mul_f64_e32 v[194:195], v[4:5], v[168:169]
	v_mul_f64_e32 v[168:169], v[6:7], v[168:169]
	v_fmac_f64_e32 v[196:197], v[188:189], v[182:183]
	v_fma_f64 v[186:187], v[186:187], v[182:183], -v[184:185]
	ds_load_b128 v[178:181], v2 offset:1376
	scratch_load_b128 v[182:185], off, off offset:576
	v_add_f64_e32 v[190:191], v[190:191], v[192:193]
	v_add_f64_e32 v[188:189], v[200:201], v[198:199]
	v_fmac_f64_e32 v[194:195], v[6:7], v[166:167]
	v_fma_f64 v[198:199], v[4:5], v[166:167], -v[168:169]
	ds_load_b128 v[4:7], v2 offset:1392
	s_wait_loadcnt_dscnt 0xa01
	v_mul_f64_e32 v[192:193], v[178:179], v[12:13]
	v_mul_f64_e32 v[12:13], v[180:181], v[12:13]
	scratch_load_b128 v[166:169], off, off offset:592
	v_add_f64_e32 v[190:191], v[190:191], v[196:197]
	s_wait_loadcnt_dscnt 0xa00
	v_mul_f64_e32 v[196:197], v[4:5], v[136:137]
	v_add_f64_e32 v[200:201], v[188:189], v[186:187]
	v_mul_f64_e32 v[136:137], v[6:7], v[136:137]
	ds_load_b128 v[186:189], v2 offset:1408
	v_fmac_f64_e32 v[192:193], v[180:181], v[10:11]
	v_fma_f64 v[178:179], v[178:179], v[10:11], -v[12:13]
	scratch_load_b128 v[10:13], off, off offset:608
	v_add_f64_e32 v[190:191], v[190:191], v[194:195]
	v_fmac_f64_e32 v[196:197], v[6:7], v[134:135]
	v_add_f64_e32 v[180:181], v[200:201], v[198:199]
	v_fma_f64 v[198:199], v[4:5], v[134:135], -v[136:137]
	ds_load_b128 v[4:7], v2 offset:1424
	s_wait_loadcnt_dscnt 0xa01
	v_mul_f64_e32 v[194:195], v[186:187], v[140:141]
	v_mul_f64_e32 v[140:141], v[188:189], v[140:141]
	scratch_load_b128 v[134:137], off, off offset:624
	v_add_f64_e32 v[190:191], v[190:191], v[192:193]
	s_wait_loadcnt_dscnt 0xa00
	v_mul_f64_e32 v[192:193], v[4:5], v[144:145]
	v_add_f64_e32 v[200:201], v[180:181], v[178:179]
	v_mul_f64_e32 v[144:145], v[6:7], v[144:145]
	ds_load_b128 v[178:181], v2 offset:1440
	v_fmac_f64_e32 v[194:195], v[188:189], v[138:139]
	v_fma_f64 v[186:187], v[186:187], v[138:139], -v[140:141]
	scratch_load_b128 v[138:141], off, off offset:640
	v_add_f64_e32 v[190:191], v[190:191], v[196:197]
	v_fmac_f64_e32 v[192:193], v[6:7], v[142:143]
	v_add_f64_e32 v[188:189], v[200:201], v[198:199]
	;; [unrolled: 18-line block ×11, first 2 shown]
	v_fma_f64 v[198:199], v[4:5], v[170:171], -v[172:173]
	ds_load_b128 v[4:7], v2 offset:1744
	s_wait_loadcnt_dscnt 0xa01
	v_mul_f64_e32 v[196:197], v[186:187], v[184:185]
	v_mul_f64_e32 v[184:185], v[188:189], v[184:185]
	scratch_load_b128 v[170:173], off, off offset:944
	v_add_f64_e32 v[190:191], v[190:191], v[194:195]
	s_wait_loadcnt_dscnt 0xa00
	v_mul_f64_e32 v[194:195], v[4:5], v[168:169]
	v_add_f64_e32 v[200:201], v[180:181], v[178:179]
	v_mul_f64_e32 v[168:169], v[6:7], v[168:169]
	ds_load_b128 v[178:181], v2 offset:1760
	v_fmac_f64_e32 v[196:197], v[188:189], v[182:183]
	v_fma_f64 v[182:183], v[186:187], v[182:183], -v[184:185]
	s_wait_loadcnt_dscnt 0x900
	v_mul_f64_e32 v[188:189], v[178:179], v[12:13]
	v_mul_f64_e32 v[12:13], v[180:181], v[12:13]
	v_add_f64_e32 v[186:187], v[190:191], v[192:193]
	v_fmac_f64_e32 v[194:195], v[6:7], v[166:167]
	v_add_f64_e32 v[184:185], v[200:201], v[198:199]
	v_fma_f64 v[190:191], v[4:5], v[166:167], -v[168:169]
	ds_load_b128 v[4:7], v2 offset:1776
	ds_load_b128 v[166:169], v2 offset:1792
	v_fmac_f64_e32 v[188:189], v[180:181], v[10:11]
	v_fma_f64 v[10:11], v[178:179], v[10:11], -v[12:13]
	v_add_f64_e32 v[182:183], v[184:185], v[182:183]
	v_add_f64_e32 v[184:185], v[186:187], v[196:197]
	s_wait_loadcnt_dscnt 0x801
	v_mul_f64_e32 v[186:187], v[4:5], v[136:137]
	v_mul_f64_e32 v[136:137], v[6:7], v[136:137]
	s_wait_loadcnt_dscnt 0x700
	v_mul_f64_e32 v[180:181], v[166:167], v[140:141]
	v_mul_f64_e32 v[140:141], v[168:169], v[140:141]
	v_add_f64_e32 v[12:13], v[182:183], v[190:191]
	v_add_f64_e32 v[178:179], v[184:185], v[194:195]
	v_fmac_f64_e32 v[186:187], v[6:7], v[134:135]
	v_fma_f64 v[134:135], v[4:5], v[134:135], -v[136:137]
	v_fmac_f64_e32 v[180:181], v[168:169], v[138:139]
	v_fma_f64 v[138:139], v[166:167], v[138:139], -v[140:141]
	v_add_f64_e32 v[136:137], v[12:13], v[10:11]
	v_add_f64_e32 v[178:179], v[178:179], v[188:189]
	ds_load_b128 v[4:7], v2 offset:1808
	ds_load_b128 v[10:13], v2 offset:1824
	s_wait_loadcnt_dscnt 0x601
	v_mul_f64_e32 v[182:183], v[4:5], v[144:145]
	v_mul_f64_e32 v[144:145], v[6:7], v[144:145]
	s_wait_loadcnt_dscnt 0x500
	v_mul_f64_e32 v[140:141], v[10:11], v[148:149]
	v_mul_f64_e32 v[148:149], v[12:13], v[148:149]
	v_add_f64_e32 v[134:135], v[136:137], v[134:135]
	v_add_f64_e32 v[136:137], v[178:179], v[186:187]
	v_fmac_f64_e32 v[182:183], v[6:7], v[142:143]
	v_fma_f64 v[142:143], v[4:5], v[142:143], -v[144:145]
	v_fmac_f64_e32 v[140:141], v[12:13], v[146:147]
	v_fma_f64 v[10:11], v[10:11], v[146:147], -v[148:149]
	v_add_f64_e32 v[138:139], v[134:135], v[138:139]
	v_add_f64_e32 v[144:145], v[136:137], v[180:181]
	ds_load_b128 v[4:7], v2 offset:1840
	ds_load_b128 v[134:137], v2 offset:1856
	s_wait_loadcnt_dscnt 0x401
	v_mul_f64_e32 v[166:167], v[4:5], v[152:153]
	v_mul_f64_e32 v[152:153], v[6:7], v[152:153]
	v_add_f64_e32 v[12:13], v[138:139], v[142:143]
	v_add_f64_e32 v[138:139], v[144:145], v[182:183]
	s_wait_loadcnt_dscnt 0x300
	v_mul_f64_e32 v[142:143], v[134:135], v[156:157]
	v_mul_f64_e32 v[144:145], v[136:137], v[156:157]
	v_fmac_f64_e32 v[166:167], v[6:7], v[150:151]
	v_fma_f64 v[146:147], v[4:5], v[150:151], -v[152:153]
	v_add_f64_e32 v[148:149], v[12:13], v[10:11]
	v_add_f64_e32 v[138:139], v[138:139], v[140:141]
	ds_load_b128 v[4:7], v2 offset:1872
	ds_load_b128 v[10:13], v2 offset:1888
	v_fmac_f64_e32 v[142:143], v[136:137], v[154:155]
	v_fma_f64 v[134:135], v[134:135], v[154:155], -v[144:145]
	s_wait_loadcnt_dscnt 0x201
	v_mul_f64_e32 v[140:141], v[4:5], v[160:161]
	v_mul_f64_e32 v[150:151], v[6:7], v[160:161]
	s_wait_loadcnt_dscnt 0x100
	v_mul_f64_e32 v[144:145], v[10:11], v[164:165]
	v_add_f64_e32 v[136:137], v[148:149], v[146:147]
	v_add_f64_e32 v[138:139], v[138:139], v[166:167]
	v_mul_f64_e32 v[146:147], v[12:13], v[164:165]
	v_fmac_f64_e32 v[140:141], v[6:7], v[158:159]
	v_fma_f64 v[148:149], v[4:5], v[158:159], -v[150:151]
	ds_load_b128 v[4:7], v2 offset:1904
	v_fmac_f64_e32 v[144:145], v[12:13], v[162:163]
	v_add_f64_e32 v[134:135], v[136:137], v[134:135]
	v_add_f64_e32 v[136:137], v[138:139], v[142:143]
	v_fma_f64 v[10:11], v[10:11], v[162:163], -v[146:147]
	s_wait_loadcnt_dscnt 0x0
	v_mul_f64_e32 v[138:139], v[4:5], v[172:173]
	v_mul_f64_e32 v[142:143], v[6:7], v[172:173]
	v_add_f64_e32 v[12:13], v[134:135], v[148:149]
	v_add_f64_e32 v[134:135], v[136:137], v[140:141]
	s_delay_alu instid0(VALU_DEP_4) | instskip(NEXT) | instid1(VALU_DEP_4)
	v_fmac_f64_e32 v[138:139], v[6:7], v[170:171]
	v_fma_f64 v[4:5], v[4:5], v[170:171], -v[142:143]
	s_delay_alu instid0(VALU_DEP_4) | instskip(NEXT) | instid1(VALU_DEP_4)
	v_add_f64_e32 v[6:7], v[12:13], v[10:11]
	v_add_f64_e32 v[10:11], v[134:135], v[144:145]
	s_delay_alu instid0(VALU_DEP_2) | instskip(NEXT) | instid1(VALU_DEP_2)
	v_add_f64_e32 v[4:5], v[6:7], v[4:5]
	v_add_f64_e32 v[6:7], v[10:11], v[138:139]
	s_delay_alu instid0(VALU_DEP_2) | instskip(NEXT) | instid1(VALU_DEP_2)
	v_add_f64_e64 v[4:5], v[174:175], -v[4:5]
	v_add_f64_e64 v[6:7], v[176:177], -v[6:7]
	scratch_store_b128 off, v[4:7], off offset:192
	s_wait_xcnt 0x0
	v_cmpx_lt_u32_e32 11, v1
	s_cbranch_execz .LBB123_351
; %bb.350:
	scratch_load_b128 v[10:13], off, s65
	v_dual_mov_b32 v3, v2 :: v_dual_mov_b32 v4, v2
	v_mov_b32_e32 v5, v2
	scratch_store_b128 off, v[2:5], off offset:176
	s_wait_loadcnt 0x0
	ds_store_b128 v8, v[10:13]
.LBB123_351:
	s_wait_xcnt 0x0
	s_or_b32 exec_lo, exec_lo, s2
	s_wait_storecnt_dscnt 0x0
	s_barrier_signal -1
	s_barrier_wait -1
	s_clause 0x9
	scratch_load_b128 v[4:7], off, off offset:192
	scratch_load_b128 v[10:13], off, off offset:208
	;; [unrolled: 1-line block ×10, first 2 shown]
	ds_load_b128 v[166:169], v2 offset:1152
	ds_load_b128 v[174:177], v2 offset:1168
	s_clause 0x2
	scratch_load_b128 v[170:173], off, off offset:352
	scratch_load_b128 v[178:181], off, off offset:176
	;; [unrolled: 1-line block ×3, first 2 shown]
	s_mov_b32 s2, exec_lo
	s_wait_loadcnt_dscnt 0xc01
	v_mul_f64_e32 v[186:187], v[168:169], v[6:7]
	v_mul_f64_e32 v[190:191], v[166:167], v[6:7]
	s_wait_loadcnt_dscnt 0xb00
	v_mul_f64_e32 v[192:193], v[174:175], v[12:13]
	v_mul_f64_e32 v[12:13], v[176:177], v[12:13]
	s_delay_alu instid0(VALU_DEP_4) | instskip(NEXT) | instid1(VALU_DEP_4)
	v_fma_f64 v[194:195], v[166:167], v[4:5], -v[186:187]
	v_fmac_f64_e32 v[190:191], v[168:169], v[4:5]
	ds_load_b128 v[4:7], v2 offset:1184
	ds_load_b128 v[166:169], v2 offset:1200
	scratch_load_b128 v[186:189], off, off offset:384
	v_fmac_f64_e32 v[192:193], v[176:177], v[10:11]
	v_fma_f64 v[174:175], v[174:175], v[10:11], -v[12:13]
	scratch_load_b128 v[10:13], off, off offset:400
	s_wait_loadcnt_dscnt 0xc01
	v_mul_f64_e32 v[196:197], v[4:5], v[136:137]
	v_mul_f64_e32 v[136:137], v[6:7], v[136:137]
	v_add_f64_e32 v[176:177], 0, v[194:195]
	v_add_f64_e32 v[190:191], 0, v[190:191]
	s_wait_loadcnt_dscnt 0xb00
	v_mul_f64_e32 v[194:195], v[166:167], v[140:141]
	v_mul_f64_e32 v[140:141], v[168:169], v[140:141]
	v_fmac_f64_e32 v[196:197], v[6:7], v[134:135]
	v_fma_f64 v[198:199], v[4:5], v[134:135], -v[136:137]
	ds_load_b128 v[4:7], v2 offset:1216
	ds_load_b128 v[134:137], v2 offset:1232
	v_add_f64_e32 v[200:201], v[176:177], v[174:175]
	v_add_f64_e32 v[190:191], v[190:191], v[192:193]
	scratch_load_b128 v[174:177], off, off offset:416
	v_fmac_f64_e32 v[194:195], v[168:169], v[138:139]
	v_fma_f64 v[166:167], v[166:167], v[138:139], -v[140:141]
	scratch_load_b128 v[138:141], off, off offset:432
	s_wait_loadcnt_dscnt 0xc01
	v_mul_f64_e32 v[192:193], v[4:5], v[144:145]
	v_mul_f64_e32 v[144:145], v[6:7], v[144:145]
	v_add_f64_e32 v[168:169], v[200:201], v[198:199]
	v_add_f64_e32 v[190:191], v[190:191], v[196:197]
	s_wait_loadcnt_dscnt 0xb00
	v_mul_f64_e32 v[196:197], v[134:135], v[148:149]
	v_mul_f64_e32 v[148:149], v[136:137], v[148:149]
	v_fmac_f64_e32 v[192:193], v[6:7], v[142:143]
	v_fma_f64 v[198:199], v[4:5], v[142:143], -v[144:145]
	ds_load_b128 v[4:7], v2 offset:1248
	ds_load_b128 v[142:145], v2 offset:1264
	v_add_f64_e32 v[200:201], v[168:169], v[166:167]
	v_add_f64_e32 v[190:191], v[190:191], v[194:195]
	scratch_load_b128 v[166:169], off, off offset:448
	s_wait_loadcnt_dscnt 0xb01
	v_mul_f64_e32 v[194:195], v[4:5], v[152:153]
	v_mul_f64_e32 v[152:153], v[6:7], v[152:153]
	v_fmac_f64_e32 v[196:197], v[136:137], v[146:147]
	v_fma_f64 v[146:147], v[134:135], v[146:147], -v[148:149]
	scratch_load_b128 v[134:137], off, off offset:464
	v_add_f64_e32 v[148:149], v[200:201], v[198:199]
	v_add_f64_e32 v[190:191], v[190:191], v[192:193]
	s_wait_loadcnt_dscnt 0xb00
	v_mul_f64_e32 v[192:193], v[142:143], v[156:157]
	v_mul_f64_e32 v[156:157], v[144:145], v[156:157]
	v_fmac_f64_e32 v[194:195], v[6:7], v[150:151]
	v_fma_f64 v[198:199], v[4:5], v[150:151], -v[152:153]
	v_add_f64_e32 v[200:201], v[148:149], v[146:147]
	v_add_f64_e32 v[190:191], v[190:191], v[196:197]
	ds_load_b128 v[4:7], v2 offset:1280
	ds_load_b128 v[146:149], v2 offset:1296
	scratch_load_b128 v[150:153], off, off offset:480
	v_fmac_f64_e32 v[192:193], v[144:145], v[154:155]
	v_fma_f64 v[154:155], v[142:143], v[154:155], -v[156:157]
	scratch_load_b128 v[142:145], off, off offset:496
	s_wait_loadcnt_dscnt 0xc01
	v_mul_f64_e32 v[196:197], v[4:5], v[160:161]
	v_mul_f64_e32 v[160:161], v[6:7], v[160:161]
	v_add_f64_e32 v[156:157], v[200:201], v[198:199]
	v_add_f64_e32 v[190:191], v[190:191], v[194:195]
	s_wait_loadcnt_dscnt 0xb00
	v_mul_f64_e32 v[194:195], v[146:147], v[164:165]
	v_mul_f64_e32 v[164:165], v[148:149], v[164:165]
	v_fmac_f64_e32 v[196:197], v[6:7], v[158:159]
	v_fma_f64 v[198:199], v[4:5], v[158:159], -v[160:161]
	v_add_f64_e32 v[200:201], v[156:157], v[154:155]
	v_add_f64_e32 v[190:191], v[190:191], v[192:193]
	ds_load_b128 v[4:7], v2 offset:1312
	ds_load_b128 v[154:157], v2 offset:1328
	scratch_load_b128 v[158:161], off, off offset:512
	v_fmac_f64_e32 v[194:195], v[148:149], v[162:163]
	v_fma_f64 v[162:163], v[146:147], v[162:163], -v[164:165]
	scratch_load_b128 v[146:149], off, off offset:528
	s_wait_loadcnt_dscnt 0xc01
	v_mul_f64_e32 v[192:193], v[4:5], v[172:173]
	v_mul_f64_e32 v[172:173], v[6:7], v[172:173]
	;; [unrolled: 18-line block ×5, first 2 shown]
	v_add_f64_e32 v[184:185], v[200:201], v[198:199]
	v_add_f64_e32 v[190:191], v[190:191], v[196:197]
	s_wait_loadcnt_dscnt 0xa00
	v_mul_f64_e32 v[196:197], v[162:163], v[136:137]
	v_mul_f64_e32 v[136:137], v[164:165], v[136:137]
	v_fmac_f64_e32 v[192:193], v[6:7], v[166:167]
	v_fma_f64 v[198:199], v[4:5], v[166:167], -v[168:169]
	ds_load_b128 v[4:7], v2 offset:1440
	ds_load_b128 v[166:169], v2 offset:1456
	v_add_f64_e32 v[200:201], v[184:185], v[182:183]
	v_add_f64_e32 v[190:191], v[190:191], v[194:195]
	scratch_load_b128 v[182:185], off, off offset:640
	v_fmac_f64_e32 v[196:197], v[164:165], v[134:135]
	v_fma_f64 v[162:163], v[162:163], v[134:135], -v[136:137]
	scratch_load_b128 v[134:137], off, off offset:656
	s_wait_loadcnt_dscnt 0xb01
	v_mul_f64_e32 v[194:195], v[4:5], v[152:153]
	v_mul_f64_e32 v[152:153], v[6:7], v[152:153]
	v_add_f64_e32 v[164:165], v[200:201], v[198:199]
	v_add_f64_e32 v[190:191], v[190:191], v[192:193]
	s_wait_loadcnt_dscnt 0xa00
	v_mul_f64_e32 v[192:193], v[166:167], v[144:145]
	v_mul_f64_e32 v[144:145], v[168:169], v[144:145]
	v_fmac_f64_e32 v[194:195], v[6:7], v[150:151]
	v_fma_f64 v[198:199], v[4:5], v[150:151], -v[152:153]
	ds_load_b128 v[4:7], v2 offset:1472
	ds_load_b128 v[150:153], v2 offset:1488
	v_add_f64_e32 v[200:201], v[164:165], v[162:163]
	v_add_f64_e32 v[190:191], v[190:191], v[196:197]
	scratch_load_b128 v[162:165], off, off offset:672
	s_wait_loadcnt_dscnt 0xa01
	v_mul_f64_e32 v[196:197], v[4:5], v[160:161]
	v_mul_f64_e32 v[160:161], v[6:7], v[160:161]
	v_fmac_f64_e32 v[192:193], v[168:169], v[142:143]
	v_fma_f64 v[166:167], v[166:167], v[142:143], -v[144:145]
	scratch_load_b128 v[142:145], off, off offset:688
	v_add_f64_e32 v[168:169], v[200:201], v[198:199]
	v_add_f64_e32 v[190:191], v[190:191], v[194:195]
	s_wait_loadcnt_dscnt 0xa00
	v_mul_f64_e32 v[194:195], v[150:151], v[148:149]
	v_mul_f64_e32 v[148:149], v[152:153], v[148:149]
	v_fmac_f64_e32 v[196:197], v[6:7], v[158:159]
	v_fma_f64 v[198:199], v[4:5], v[158:159], -v[160:161]
	ds_load_b128 v[4:7], v2 offset:1504
	ds_load_b128 v[158:161], v2 offset:1520
	v_add_f64_e32 v[200:201], v[168:169], v[166:167]
	v_add_f64_e32 v[190:191], v[190:191], v[192:193]
	scratch_load_b128 v[166:169], off, off offset:704
	s_wait_loadcnt_dscnt 0xa01
	v_mul_f64_e32 v[192:193], v[4:5], v[172:173]
	v_mul_f64_e32 v[172:173], v[6:7], v[172:173]
	v_fmac_f64_e32 v[194:195], v[152:153], v[146:147]
	v_fma_f64 v[150:151], v[150:151], v[146:147], -v[148:149]
	scratch_load_b128 v[146:149], off, off offset:720
	v_add_f64_e32 v[152:153], v[200:201], v[198:199]
	v_add_f64_e32 v[190:191], v[190:191], v[196:197]
	s_wait_loadcnt_dscnt 0xa00
	v_mul_f64_e32 v[196:197], v[158:159], v[156:157]
	v_mul_f64_e32 v[156:157], v[160:161], v[156:157]
	v_fmac_f64_e32 v[192:193], v[6:7], v[170:171]
	v_fma_f64 v[198:199], v[4:5], v[170:171], -v[172:173]
	v_add_f64_e32 v[200:201], v[152:153], v[150:151]
	v_add_f64_e32 v[190:191], v[190:191], v[194:195]
	ds_load_b128 v[4:7], v2 offset:1536
	ds_load_b128 v[150:153], v2 offset:1552
	scratch_load_b128 v[170:173], off, off offset:736
	v_fmac_f64_e32 v[196:197], v[160:161], v[154:155]
	v_fma_f64 v[158:159], v[158:159], v[154:155], -v[156:157]
	scratch_load_b128 v[154:157], off, off offset:752
	s_wait_loadcnt_dscnt 0xb01
	v_mul_f64_e32 v[194:195], v[4:5], v[188:189]
	v_mul_f64_e32 v[188:189], v[6:7], v[188:189]
	v_add_f64_e32 v[160:161], v[200:201], v[198:199]
	v_add_f64_e32 v[190:191], v[190:191], v[192:193]
	s_wait_loadcnt_dscnt 0xa00
	v_mul_f64_e32 v[192:193], v[150:151], v[12:13]
	v_mul_f64_e32 v[12:13], v[152:153], v[12:13]
	v_fmac_f64_e32 v[194:195], v[6:7], v[186:187]
	v_fma_f64 v[198:199], v[4:5], v[186:187], -v[188:189]
	v_add_f64_e32 v[200:201], v[160:161], v[158:159]
	v_add_f64_e32 v[190:191], v[190:191], v[196:197]
	ds_load_b128 v[4:7], v2 offset:1568
	ds_load_b128 v[158:161], v2 offset:1584
	scratch_load_b128 v[186:189], off, off offset:768
	v_fmac_f64_e32 v[192:193], v[152:153], v[10:11]
	v_fma_f64 v[150:151], v[150:151], v[10:11], -v[12:13]
	scratch_load_b128 v[10:13], off, off offset:784
	s_wait_loadcnt_dscnt 0xb01
	v_mul_f64_e32 v[196:197], v[4:5], v[176:177]
	v_mul_f64_e32 v[176:177], v[6:7], v[176:177]
	;; [unrolled: 18-line block ×7, first 2 shown]
	v_add_f64_e32 v[160:161], v[200:201], v[198:199]
	v_add_f64_e32 v[190:191], v[190:191], v[192:193]
	s_wait_loadcnt_dscnt 0xa00
	v_mul_f64_e32 v[192:193], v[150:151], v[12:13]
	v_mul_f64_e32 v[12:13], v[152:153], v[12:13]
	v_fmac_f64_e32 v[194:195], v[6:7], v[186:187]
	v_fma_f64 v[186:187], v[4:5], v[186:187], -v[188:189]
	v_add_f64_e32 v[188:189], v[160:161], v[158:159]
	v_add_f64_e32 v[190:191], v[190:191], v[196:197]
	ds_load_b128 v[4:7], v2 offset:1760
	ds_load_b128 v[158:161], v2 offset:1776
	v_fmac_f64_e32 v[192:193], v[152:153], v[10:11]
	v_fma_f64 v[10:11], v[150:151], v[10:11], -v[12:13]
	s_wait_loadcnt_dscnt 0x901
	v_mul_f64_e32 v[196:197], v[4:5], v[176:177]
	v_mul_f64_e32 v[176:177], v[6:7], v[176:177]
	s_wait_loadcnt_dscnt 0x800
	v_mul_f64_e32 v[152:153], v[158:159], v[140:141]
	v_mul_f64_e32 v[140:141], v[160:161], v[140:141]
	v_add_f64_e32 v[12:13], v[188:189], v[186:187]
	v_add_f64_e32 v[150:151], v[190:191], v[194:195]
	v_fmac_f64_e32 v[196:197], v[6:7], v[174:175]
	v_fma_f64 v[174:175], v[4:5], v[174:175], -v[176:177]
	v_fmac_f64_e32 v[152:153], v[160:161], v[138:139]
	v_fma_f64 v[138:139], v[158:159], v[138:139], -v[140:141]
	v_add_f64_e32 v[176:177], v[12:13], v[10:11]
	v_add_f64_e32 v[150:151], v[150:151], v[192:193]
	ds_load_b128 v[4:7], v2 offset:1792
	ds_load_b128 v[10:13], v2 offset:1808
	s_wait_loadcnt_dscnt 0x701
	v_mul_f64_e32 v[186:187], v[4:5], v[184:185]
	v_mul_f64_e32 v[184:185], v[6:7], v[184:185]
	s_wait_loadcnt_dscnt 0x600
	v_mul_f64_e32 v[158:159], v[10:11], v[136:137]
	v_mul_f64_e32 v[160:161], v[12:13], v[136:137]
	v_add_f64_e32 v[140:141], v[176:177], v[174:175]
	v_add_f64_e32 v[150:151], v[150:151], v[196:197]
	v_fmac_f64_e32 v[186:187], v[6:7], v[182:183]
	v_fma_f64 v[174:175], v[4:5], v[182:183], -v[184:185]
	v_fmac_f64_e32 v[158:159], v[12:13], v[134:135]
	v_fma_f64 v[10:11], v[10:11], v[134:135], -v[160:161]
	v_add_f64_e32 v[140:141], v[140:141], v[138:139]
	v_add_f64_e32 v[150:151], v[150:151], v[152:153]
	ds_load_b128 v[4:7], v2 offset:1824
	ds_load_b128 v[136:139], v2 offset:1840
	s_wait_loadcnt_dscnt 0x501
	v_mul_f64_e32 v[152:153], v[4:5], v[164:165]
	v_mul_f64_e32 v[164:165], v[6:7], v[164:165]
	v_add_f64_e32 v[12:13], v[140:141], v[174:175]
	v_add_f64_e32 v[134:135], v[150:151], v[186:187]
	s_wait_loadcnt_dscnt 0x400
	v_mul_f64_e32 v[140:141], v[136:137], v[144:145]
	v_mul_f64_e32 v[144:145], v[138:139], v[144:145]
	v_fmac_f64_e32 v[152:153], v[6:7], v[162:163]
	v_fma_f64 v[150:151], v[4:5], v[162:163], -v[164:165]
	v_add_f64_e32 v[160:161], v[12:13], v[10:11]
	v_add_f64_e32 v[134:135], v[134:135], v[158:159]
	ds_load_b128 v[4:7], v2 offset:1856
	ds_load_b128 v[10:13], v2 offset:1872
	v_fmac_f64_e32 v[140:141], v[138:139], v[142:143]
	v_fma_f64 v[136:137], v[136:137], v[142:143], -v[144:145]
	s_wait_loadcnt_dscnt 0x301
	v_mul_f64_e32 v[158:159], v[4:5], v[168:169]
	v_mul_f64_e32 v[162:163], v[6:7], v[168:169]
	s_wait_loadcnt_dscnt 0x200
	v_mul_f64_e32 v[142:143], v[10:11], v[148:149]
	v_mul_f64_e32 v[144:145], v[12:13], v[148:149]
	v_add_f64_e32 v[138:139], v[160:161], v[150:151]
	v_add_f64_e32 v[134:135], v[134:135], v[152:153]
	v_fmac_f64_e32 v[158:159], v[6:7], v[166:167]
	v_fma_f64 v[148:149], v[4:5], v[166:167], -v[162:163]
	v_fmac_f64_e32 v[142:143], v[12:13], v[146:147]
	v_fma_f64 v[10:11], v[10:11], v[146:147], -v[144:145]
	v_add_f64_e32 v[138:139], v[138:139], v[136:137]
	v_add_f64_e32 v[140:141], v[134:135], v[140:141]
	ds_load_b128 v[4:7], v2 offset:1888
	ds_load_b128 v[134:137], v2 offset:1904
	s_wait_loadcnt_dscnt 0x101
	v_mul_f64_e32 v[2:3], v[4:5], v[172:173]
	v_mul_f64_e32 v[150:151], v[6:7], v[172:173]
	s_wait_loadcnt_dscnt 0x0
	v_mul_f64_e32 v[144:145], v[136:137], v[156:157]
	v_add_f64_e32 v[12:13], v[138:139], v[148:149]
	v_add_f64_e32 v[138:139], v[140:141], v[158:159]
	v_mul_f64_e32 v[140:141], v[134:135], v[156:157]
	v_fmac_f64_e32 v[2:3], v[6:7], v[170:171]
	v_fma_f64 v[4:5], v[4:5], v[170:171], -v[150:151]
	v_add_f64_e32 v[6:7], v[12:13], v[10:11]
	v_add_f64_e32 v[10:11], v[138:139], v[142:143]
	v_fmac_f64_e32 v[140:141], v[136:137], v[154:155]
	v_fma_f64 v[12:13], v[134:135], v[154:155], -v[144:145]
	s_delay_alu instid0(VALU_DEP_4) | instskip(NEXT) | instid1(VALU_DEP_4)
	v_add_f64_e32 v[4:5], v[6:7], v[4:5]
	v_add_f64_e32 v[2:3], v[10:11], v[2:3]
	s_delay_alu instid0(VALU_DEP_2) | instskip(NEXT) | instid1(VALU_DEP_2)
	v_add_f64_e32 v[4:5], v[4:5], v[12:13]
	v_add_f64_e32 v[6:7], v[2:3], v[140:141]
	s_delay_alu instid0(VALU_DEP_2) | instskip(NEXT) | instid1(VALU_DEP_2)
	v_add_f64_e64 v[2:3], v[178:179], -v[4:5]
	v_add_f64_e64 v[4:5], v[180:181], -v[6:7]
	scratch_store_b128 off, v[2:5], off offset:176
	s_wait_xcnt 0x0
	v_cmpx_lt_u32_e32 10, v1
	s_cbranch_execz .LBB123_353
; %bb.352:
	scratch_load_b128 v[2:5], off, s66
	v_mov_b32_e32 v10, 0
	s_delay_alu instid0(VALU_DEP_1)
	v_dual_mov_b32 v11, v10 :: v_dual_mov_b32 v12, v10
	v_mov_b32_e32 v13, v10
	scratch_store_b128 off, v[10:13], off offset:160
	s_wait_loadcnt 0x0
	ds_store_b128 v8, v[2:5]
.LBB123_353:
	s_wait_xcnt 0x0
	s_or_b32 exec_lo, exec_lo, s2
	s_wait_storecnt_dscnt 0x0
	s_barrier_signal -1
	s_barrier_wait -1
	s_clause 0x9
	scratch_load_b128 v[4:7], off, off offset:176
	scratch_load_b128 v[10:13], off, off offset:192
	;; [unrolled: 1-line block ×10, first 2 shown]
	v_mov_b32_e32 v2, 0
	s_mov_b32 s2, exec_lo
	ds_load_b128 v[166:169], v2 offset:1136
	s_clause 0x2
	scratch_load_b128 v[170:173], off, off offset:336
	scratch_load_b128 v[174:177], off, off offset:160
	;; [unrolled: 1-line block ×3, first 2 shown]
	s_wait_loadcnt_dscnt 0xc00
	v_mul_f64_e32 v[186:187], v[168:169], v[6:7]
	v_mul_f64_e32 v[190:191], v[166:167], v[6:7]
	ds_load_b128 v[178:181], v2 offset:1152
	v_fma_f64 v[194:195], v[166:167], v[4:5], -v[186:187]
	v_fmac_f64_e32 v[190:191], v[168:169], v[4:5]
	ds_load_b128 v[4:7], v2 offset:1168
	s_wait_loadcnt_dscnt 0xb01
	v_mul_f64_e32 v[192:193], v[178:179], v[12:13]
	v_mul_f64_e32 v[12:13], v[180:181], v[12:13]
	scratch_load_b128 v[166:169], off, off offset:368
	ds_load_b128 v[186:189], v2 offset:1184
	s_wait_loadcnt_dscnt 0xb01
	v_mul_f64_e32 v[196:197], v[4:5], v[136:137]
	v_mul_f64_e32 v[136:137], v[6:7], v[136:137]
	v_add_f64_e32 v[190:191], 0, v[190:191]
	v_fmac_f64_e32 v[192:193], v[180:181], v[10:11]
	v_fma_f64 v[178:179], v[178:179], v[10:11], -v[12:13]
	v_add_f64_e32 v[180:181], 0, v[194:195]
	scratch_load_b128 v[10:13], off, off offset:384
	v_fmac_f64_e32 v[196:197], v[6:7], v[134:135]
	v_fma_f64 v[198:199], v[4:5], v[134:135], -v[136:137]
	ds_load_b128 v[4:7], v2 offset:1200
	s_wait_loadcnt_dscnt 0xb01
	v_mul_f64_e32 v[194:195], v[186:187], v[140:141]
	v_mul_f64_e32 v[140:141], v[188:189], v[140:141]
	scratch_load_b128 v[134:137], off, off offset:400
	v_add_f64_e32 v[190:191], v[190:191], v[192:193]
	v_add_f64_e32 v[200:201], v[180:181], v[178:179]
	ds_load_b128 v[178:181], v2 offset:1216
	s_wait_loadcnt_dscnt 0xb01
	v_mul_f64_e32 v[192:193], v[4:5], v[144:145]
	v_mul_f64_e32 v[144:145], v[6:7], v[144:145]
	v_fmac_f64_e32 v[194:195], v[188:189], v[138:139]
	v_fma_f64 v[186:187], v[186:187], v[138:139], -v[140:141]
	scratch_load_b128 v[138:141], off, off offset:416
	v_add_f64_e32 v[190:191], v[190:191], v[196:197]
	v_add_f64_e32 v[188:189], v[200:201], v[198:199]
	v_fmac_f64_e32 v[192:193], v[6:7], v[142:143]
	v_fma_f64 v[198:199], v[4:5], v[142:143], -v[144:145]
	ds_load_b128 v[4:7], v2 offset:1232
	s_wait_loadcnt_dscnt 0xb01
	v_mul_f64_e32 v[196:197], v[178:179], v[148:149]
	v_mul_f64_e32 v[148:149], v[180:181], v[148:149]
	scratch_load_b128 v[142:145], off, off offset:432
	v_add_f64_e32 v[190:191], v[190:191], v[194:195]
	s_wait_loadcnt_dscnt 0xb00
	v_mul_f64_e32 v[194:195], v[4:5], v[152:153]
	v_add_f64_e32 v[200:201], v[188:189], v[186:187]
	v_mul_f64_e32 v[152:153], v[6:7], v[152:153]
	ds_load_b128 v[186:189], v2 offset:1248
	v_fmac_f64_e32 v[196:197], v[180:181], v[146:147]
	v_fma_f64 v[178:179], v[178:179], v[146:147], -v[148:149]
	scratch_load_b128 v[146:149], off, off offset:448
	v_add_f64_e32 v[190:191], v[190:191], v[192:193]
	v_fmac_f64_e32 v[194:195], v[6:7], v[150:151]
	v_add_f64_e32 v[180:181], v[200:201], v[198:199]
	v_fma_f64 v[198:199], v[4:5], v[150:151], -v[152:153]
	ds_load_b128 v[4:7], v2 offset:1264
	s_wait_loadcnt_dscnt 0xb01
	v_mul_f64_e32 v[192:193], v[186:187], v[156:157]
	v_mul_f64_e32 v[156:157], v[188:189], v[156:157]
	scratch_load_b128 v[150:153], off, off offset:464
	v_add_f64_e32 v[190:191], v[190:191], v[196:197]
	s_wait_loadcnt_dscnt 0xb00
	v_mul_f64_e32 v[196:197], v[4:5], v[160:161]
	v_add_f64_e32 v[200:201], v[180:181], v[178:179]
	v_mul_f64_e32 v[160:161], v[6:7], v[160:161]
	ds_load_b128 v[178:181], v2 offset:1280
	v_fmac_f64_e32 v[192:193], v[188:189], v[154:155]
	v_fma_f64 v[186:187], v[186:187], v[154:155], -v[156:157]
	scratch_load_b128 v[154:157], off, off offset:480
	v_add_f64_e32 v[190:191], v[190:191], v[194:195]
	v_fmac_f64_e32 v[196:197], v[6:7], v[158:159]
	v_add_f64_e32 v[188:189], v[200:201], v[198:199]
	;; [unrolled: 18-line block ×3, first 2 shown]
	v_fma_f64 v[198:199], v[4:5], v[170:171], -v[172:173]
	ds_load_b128 v[4:7], v2 offset:1328
	s_wait_loadcnt_dscnt 0xa01
	v_mul_f64_e32 v[196:197], v[186:187], v[184:185]
	v_mul_f64_e32 v[184:185], v[188:189], v[184:185]
	scratch_load_b128 v[170:173], off, off offset:528
	v_add_f64_e32 v[190:191], v[190:191], v[194:195]
	v_add_f64_e32 v[200:201], v[180:181], v[178:179]
	s_wait_loadcnt_dscnt 0xa00
	v_mul_f64_e32 v[194:195], v[4:5], v[168:169]
	v_mul_f64_e32 v[168:169], v[6:7], v[168:169]
	v_fmac_f64_e32 v[196:197], v[188:189], v[182:183]
	v_fma_f64 v[186:187], v[186:187], v[182:183], -v[184:185]
	ds_load_b128 v[178:181], v2 offset:1344
	scratch_load_b128 v[182:185], off, off offset:544
	v_add_f64_e32 v[190:191], v[190:191], v[192:193]
	v_add_f64_e32 v[188:189], v[200:201], v[198:199]
	v_fmac_f64_e32 v[194:195], v[6:7], v[166:167]
	v_fma_f64 v[198:199], v[4:5], v[166:167], -v[168:169]
	ds_load_b128 v[4:7], v2 offset:1360
	s_wait_loadcnt_dscnt 0xa01
	v_mul_f64_e32 v[192:193], v[178:179], v[12:13]
	v_mul_f64_e32 v[12:13], v[180:181], v[12:13]
	scratch_load_b128 v[166:169], off, off offset:560
	v_add_f64_e32 v[190:191], v[190:191], v[196:197]
	s_wait_loadcnt_dscnt 0xa00
	v_mul_f64_e32 v[196:197], v[4:5], v[136:137]
	v_add_f64_e32 v[200:201], v[188:189], v[186:187]
	v_mul_f64_e32 v[136:137], v[6:7], v[136:137]
	ds_load_b128 v[186:189], v2 offset:1376
	v_fmac_f64_e32 v[192:193], v[180:181], v[10:11]
	v_fma_f64 v[178:179], v[178:179], v[10:11], -v[12:13]
	scratch_load_b128 v[10:13], off, off offset:576
	v_add_f64_e32 v[190:191], v[190:191], v[194:195]
	v_fmac_f64_e32 v[196:197], v[6:7], v[134:135]
	v_add_f64_e32 v[180:181], v[200:201], v[198:199]
	v_fma_f64 v[198:199], v[4:5], v[134:135], -v[136:137]
	ds_load_b128 v[4:7], v2 offset:1392
	s_wait_loadcnt_dscnt 0xa01
	v_mul_f64_e32 v[194:195], v[186:187], v[140:141]
	v_mul_f64_e32 v[140:141], v[188:189], v[140:141]
	scratch_load_b128 v[134:137], off, off offset:592
	v_add_f64_e32 v[190:191], v[190:191], v[192:193]
	s_wait_loadcnt_dscnt 0xa00
	v_mul_f64_e32 v[192:193], v[4:5], v[144:145]
	v_add_f64_e32 v[200:201], v[180:181], v[178:179]
	v_mul_f64_e32 v[144:145], v[6:7], v[144:145]
	ds_load_b128 v[178:181], v2 offset:1408
	v_fmac_f64_e32 v[194:195], v[188:189], v[138:139]
	v_fma_f64 v[186:187], v[186:187], v[138:139], -v[140:141]
	scratch_load_b128 v[138:141], off, off offset:608
	v_add_f64_e32 v[190:191], v[190:191], v[196:197]
	v_fmac_f64_e32 v[192:193], v[6:7], v[142:143]
	v_add_f64_e32 v[188:189], v[200:201], v[198:199]
	;; [unrolled: 18-line block ×12, first 2 shown]
	v_fma_f64 v[198:199], v[4:5], v[166:167], -v[168:169]
	ds_load_b128 v[4:7], v2 offset:1744
	s_wait_loadcnt_dscnt 0xa01
	v_mul_f64_e32 v[192:193], v[178:179], v[12:13]
	v_mul_f64_e32 v[12:13], v[180:181], v[12:13]
	scratch_load_b128 v[166:169], off, off offset:944
	v_add_f64_e32 v[190:191], v[190:191], v[196:197]
	s_wait_loadcnt_dscnt 0xa00
	v_mul_f64_e32 v[196:197], v[4:5], v[136:137]
	v_add_f64_e32 v[200:201], v[188:189], v[186:187]
	v_mul_f64_e32 v[136:137], v[6:7], v[136:137]
	ds_load_b128 v[186:189], v2 offset:1760
	v_fmac_f64_e32 v[192:193], v[180:181], v[10:11]
	v_fma_f64 v[10:11], v[178:179], v[10:11], -v[12:13]
	s_wait_loadcnt_dscnt 0x900
	v_mul_f64_e32 v[180:181], v[186:187], v[140:141]
	v_mul_f64_e32 v[140:141], v[188:189], v[140:141]
	v_add_f64_e32 v[178:179], v[190:191], v[194:195]
	v_fmac_f64_e32 v[196:197], v[6:7], v[134:135]
	v_add_f64_e32 v[12:13], v[200:201], v[198:199]
	v_fma_f64 v[134:135], v[4:5], v[134:135], -v[136:137]
	v_fmac_f64_e32 v[180:181], v[188:189], v[138:139]
	v_fma_f64 v[138:139], v[186:187], v[138:139], -v[140:141]
	v_add_f64_e32 v[178:179], v[178:179], v[192:193]
	v_add_f64_e32 v[136:137], v[12:13], v[10:11]
	ds_load_b128 v[4:7], v2 offset:1776
	ds_load_b128 v[10:13], v2 offset:1792
	s_wait_loadcnt_dscnt 0x801
	v_mul_f64_e32 v[190:191], v[4:5], v[144:145]
	v_mul_f64_e32 v[144:145], v[6:7], v[144:145]
	s_wait_loadcnt_dscnt 0x700
	v_mul_f64_e32 v[140:141], v[10:11], v[148:149]
	v_mul_f64_e32 v[148:149], v[12:13], v[148:149]
	v_add_f64_e32 v[134:135], v[136:137], v[134:135]
	v_add_f64_e32 v[136:137], v[178:179], v[196:197]
	v_fmac_f64_e32 v[190:191], v[6:7], v[142:143]
	v_fma_f64 v[142:143], v[4:5], v[142:143], -v[144:145]
	v_fmac_f64_e32 v[140:141], v[12:13], v[146:147]
	v_fma_f64 v[10:11], v[10:11], v[146:147], -v[148:149]
	v_add_f64_e32 v[138:139], v[134:135], v[138:139]
	v_add_f64_e32 v[144:145], v[136:137], v[180:181]
	ds_load_b128 v[4:7], v2 offset:1808
	ds_load_b128 v[134:137], v2 offset:1824
	s_wait_loadcnt_dscnt 0x601
	v_mul_f64_e32 v[178:179], v[4:5], v[152:153]
	v_mul_f64_e32 v[152:153], v[6:7], v[152:153]
	v_add_f64_e32 v[12:13], v[138:139], v[142:143]
	v_add_f64_e32 v[138:139], v[144:145], v[190:191]
	s_wait_loadcnt_dscnt 0x500
	v_mul_f64_e32 v[142:143], v[134:135], v[156:157]
	v_mul_f64_e32 v[144:145], v[136:137], v[156:157]
	v_fmac_f64_e32 v[178:179], v[6:7], v[150:151]
	v_fma_f64 v[146:147], v[4:5], v[150:151], -v[152:153]
	v_add_f64_e32 v[148:149], v[12:13], v[10:11]
	v_add_f64_e32 v[138:139], v[138:139], v[140:141]
	ds_load_b128 v[4:7], v2 offset:1840
	ds_load_b128 v[10:13], v2 offset:1856
	v_fmac_f64_e32 v[142:143], v[136:137], v[154:155]
	v_fma_f64 v[134:135], v[134:135], v[154:155], -v[144:145]
	s_wait_loadcnt_dscnt 0x401
	v_mul_f64_e32 v[140:141], v[4:5], v[160:161]
	v_mul_f64_e32 v[150:151], v[6:7], v[160:161]
	s_wait_loadcnt_dscnt 0x300
	v_mul_f64_e32 v[144:145], v[10:11], v[164:165]
	v_add_f64_e32 v[136:137], v[148:149], v[146:147]
	v_add_f64_e32 v[138:139], v[138:139], v[178:179]
	v_mul_f64_e32 v[146:147], v[12:13], v[164:165]
	v_fmac_f64_e32 v[140:141], v[6:7], v[158:159]
	v_fma_f64 v[148:149], v[4:5], v[158:159], -v[150:151]
	v_fmac_f64_e32 v[144:145], v[12:13], v[162:163]
	v_add_f64_e32 v[150:151], v[136:137], v[134:135]
	v_add_f64_e32 v[138:139], v[138:139], v[142:143]
	ds_load_b128 v[4:7], v2 offset:1872
	ds_load_b128 v[134:137], v2 offset:1888
	v_fma_f64 v[10:11], v[10:11], v[162:163], -v[146:147]
	s_wait_loadcnt_dscnt 0x201
	v_mul_f64_e32 v[142:143], v[4:5], v[172:173]
	v_mul_f64_e32 v[152:153], v[6:7], v[172:173]
	s_wait_loadcnt_dscnt 0x100
	v_mul_f64_e32 v[146:147], v[136:137], v[184:185]
	v_add_f64_e32 v[12:13], v[150:151], v[148:149]
	v_add_f64_e32 v[138:139], v[138:139], v[140:141]
	v_mul_f64_e32 v[140:141], v[134:135], v[184:185]
	v_fmac_f64_e32 v[142:143], v[6:7], v[170:171]
	v_fma_f64 v[148:149], v[4:5], v[170:171], -v[152:153]
	ds_load_b128 v[4:7], v2 offset:1904
	v_fma_f64 v[134:135], v[134:135], v[182:183], -v[146:147]
	v_add_f64_e32 v[10:11], v[12:13], v[10:11]
	v_add_f64_e32 v[12:13], v[138:139], v[144:145]
	v_fmac_f64_e32 v[140:141], v[136:137], v[182:183]
	s_wait_loadcnt_dscnt 0x0
	v_mul_f64_e32 v[138:139], v[4:5], v[168:169]
	v_mul_f64_e32 v[144:145], v[6:7], v[168:169]
	v_add_f64_e32 v[10:11], v[10:11], v[148:149]
	v_add_f64_e32 v[12:13], v[12:13], v[142:143]
	s_delay_alu instid0(VALU_DEP_4) | instskip(NEXT) | instid1(VALU_DEP_4)
	v_fmac_f64_e32 v[138:139], v[6:7], v[166:167]
	v_fma_f64 v[4:5], v[4:5], v[166:167], -v[144:145]
	s_delay_alu instid0(VALU_DEP_4) | instskip(NEXT) | instid1(VALU_DEP_4)
	v_add_f64_e32 v[6:7], v[10:11], v[134:135]
	v_add_f64_e32 v[10:11], v[12:13], v[140:141]
	s_delay_alu instid0(VALU_DEP_2) | instskip(NEXT) | instid1(VALU_DEP_2)
	v_add_f64_e32 v[4:5], v[6:7], v[4:5]
	v_add_f64_e32 v[6:7], v[10:11], v[138:139]
	s_delay_alu instid0(VALU_DEP_2) | instskip(NEXT) | instid1(VALU_DEP_2)
	v_add_f64_e64 v[4:5], v[174:175], -v[4:5]
	v_add_f64_e64 v[6:7], v[176:177], -v[6:7]
	scratch_store_b128 off, v[4:7], off offset:160
	s_wait_xcnt 0x0
	v_cmpx_lt_u32_e32 9, v1
	s_cbranch_execz .LBB123_355
; %bb.354:
	scratch_load_b128 v[10:13], off, s67
	v_dual_mov_b32 v3, v2 :: v_dual_mov_b32 v4, v2
	v_mov_b32_e32 v5, v2
	scratch_store_b128 off, v[2:5], off offset:144
	s_wait_loadcnt 0x0
	ds_store_b128 v8, v[10:13]
.LBB123_355:
	s_wait_xcnt 0x0
	s_or_b32 exec_lo, exec_lo, s2
	s_wait_storecnt_dscnt 0x0
	s_barrier_signal -1
	s_barrier_wait -1
	s_clause 0x9
	scratch_load_b128 v[4:7], off, off offset:160
	scratch_load_b128 v[10:13], off, off offset:176
	;; [unrolled: 1-line block ×10, first 2 shown]
	ds_load_b128 v[166:169], v2 offset:1120
	ds_load_b128 v[174:177], v2 offset:1136
	s_clause 0x2
	scratch_load_b128 v[170:173], off, off offset:320
	scratch_load_b128 v[178:181], off, off offset:144
	;; [unrolled: 1-line block ×3, first 2 shown]
	s_mov_b32 s2, exec_lo
	s_wait_loadcnt_dscnt 0xc01
	v_mul_f64_e32 v[186:187], v[168:169], v[6:7]
	v_mul_f64_e32 v[190:191], v[166:167], v[6:7]
	s_wait_loadcnt_dscnt 0xb00
	v_mul_f64_e32 v[192:193], v[174:175], v[12:13]
	v_mul_f64_e32 v[12:13], v[176:177], v[12:13]
	s_delay_alu instid0(VALU_DEP_4) | instskip(NEXT) | instid1(VALU_DEP_4)
	v_fma_f64 v[194:195], v[166:167], v[4:5], -v[186:187]
	v_fmac_f64_e32 v[190:191], v[168:169], v[4:5]
	ds_load_b128 v[4:7], v2 offset:1152
	ds_load_b128 v[166:169], v2 offset:1168
	scratch_load_b128 v[186:189], off, off offset:352
	v_fmac_f64_e32 v[192:193], v[176:177], v[10:11]
	v_fma_f64 v[174:175], v[174:175], v[10:11], -v[12:13]
	scratch_load_b128 v[10:13], off, off offset:368
	s_wait_loadcnt_dscnt 0xc01
	v_mul_f64_e32 v[196:197], v[4:5], v[136:137]
	v_mul_f64_e32 v[136:137], v[6:7], v[136:137]
	v_add_f64_e32 v[176:177], 0, v[194:195]
	v_add_f64_e32 v[190:191], 0, v[190:191]
	s_wait_loadcnt_dscnt 0xb00
	v_mul_f64_e32 v[194:195], v[166:167], v[140:141]
	v_mul_f64_e32 v[140:141], v[168:169], v[140:141]
	v_fmac_f64_e32 v[196:197], v[6:7], v[134:135]
	v_fma_f64 v[198:199], v[4:5], v[134:135], -v[136:137]
	ds_load_b128 v[4:7], v2 offset:1184
	ds_load_b128 v[134:137], v2 offset:1200
	v_add_f64_e32 v[200:201], v[176:177], v[174:175]
	v_add_f64_e32 v[190:191], v[190:191], v[192:193]
	scratch_load_b128 v[174:177], off, off offset:384
	v_fmac_f64_e32 v[194:195], v[168:169], v[138:139]
	v_fma_f64 v[166:167], v[166:167], v[138:139], -v[140:141]
	scratch_load_b128 v[138:141], off, off offset:400
	s_wait_loadcnt_dscnt 0xc01
	v_mul_f64_e32 v[192:193], v[4:5], v[144:145]
	v_mul_f64_e32 v[144:145], v[6:7], v[144:145]
	v_add_f64_e32 v[168:169], v[200:201], v[198:199]
	v_add_f64_e32 v[190:191], v[190:191], v[196:197]
	s_wait_loadcnt_dscnt 0xb00
	v_mul_f64_e32 v[196:197], v[134:135], v[148:149]
	v_mul_f64_e32 v[148:149], v[136:137], v[148:149]
	v_fmac_f64_e32 v[192:193], v[6:7], v[142:143]
	v_fma_f64 v[198:199], v[4:5], v[142:143], -v[144:145]
	ds_load_b128 v[4:7], v2 offset:1216
	ds_load_b128 v[142:145], v2 offset:1232
	v_add_f64_e32 v[200:201], v[168:169], v[166:167]
	v_add_f64_e32 v[190:191], v[190:191], v[194:195]
	scratch_load_b128 v[166:169], off, off offset:416
	s_wait_loadcnt_dscnt 0xb01
	v_mul_f64_e32 v[194:195], v[4:5], v[152:153]
	v_mul_f64_e32 v[152:153], v[6:7], v[152:153]
	v_fmac_f64_e32 v[196:197], v[136:137], v[146:147]
	v_fma_f64 v[146:147], v[134:135], v[146:147], -v[148:149]
	scratch_load_b128 v[134:137], off, off offset:432
	v_add_f64_e32 v[148:149], v[200:201], v[198:199]
	v_add_f64_e32 v[190:191], v[190:191], v[192:193]
	s_wait_loadcnt_dscnt 0xb00
	v_mul_f64_e32 v[192:193], v[142:143], v[156:157]
	v_mul_f64_e32 v[156:157], v[144:145], v[156:157]
	v_fmac_f64_e32 v[194:195], v[6:7], v[150:151]
	v_fma_f64 v[198:199], v[4:5], v[150:151], -v[152:153]
	v_add_f64_e32 v[200:201], v[148:149], v[146:147]
	v_add_f64_e32 v[190:191], v[190:191], v[196:197]
	ds_load_b128 v[4:7], v2 offset:1248
	ds_load_b128 v[146:149], v2 offset:1264
	scratch_load_b128 v[150:153], off, off offset:448
	v_fmac_f64_e32 v[192:193], v[144:145], v[154:155]
	v_fma_f64 v[154:155], v[142:143], v[154:155], -v[156:157]
	scratch_load_b128 v[142:145], off, off offset:464
	s_wait_loadcnt_dscnt 0xc01
	v_mul_f64_e32 v[196:197], v[4:5], v[160:161]
	v_mul_f64_e32 v[160:161], v[6:7], v[160:161]
	v_add_f64_e32 v[156:157], v[200:201], v[198:199]
	v_add_f64_e32 v[190:191], v[190:191], v[194:195]
	s_wait_loadcnt_dscnt 0xb00
	v_mul_f64_e32 v[194:195], v[146:147], v[164:165]
	v_mul_f64_e32 v[164:165], v[148:149], v[164:165]
	v_fmac_f64_e32 v[196:197], v[6:7], v[158:159]
	v_fma_f64 v[198:199], v[4:5], v[158:159], -v[160:161]
	v_add_f64_e32 v[200:201], v[156:157], v[154:155]
	v_add_f64_e32 v[190:191], v[190:191], v[192:193]
	ds_load_b128 v[4:7], v2 offset:1280
	ds_load_b128 v[154:157], v2 offset:1296
	scratch_load_b128 v[158:161], off, off offset:480
	v_fmac_f64_e32 v[194:195], v[148:149], v[162:163]
	v_fma_f64 v[162:163], v[146:147], v[162:163], -v[164:165]
	scratch_load_b128 v[146:149], off, off offset:496
	s_wait_loadcnt_dscnt 0xc01
	v_mul_f64_e32 v[192:193], v[4:5], v[172:173]
	v_mul_f64_e32 v[172:173], v[6:7], v[172:173]
	;; [unrolled: 18-line block ×5, first 2 shown]
	v_add_f64_e32 v[184:185], v[200:201], v[198:199]
	v_add_f64_e32 v[190:191], v[190:191], v[196:197]
	s_wait_loadcnt_dscnt 0xa00
	v_mul_f64_e32 v[196:197], v[162:163], v[136:137]
	v_mul_f64_e32 v[136:137], v[164:165], v[136:137]
	v_fmac_f64_e32 v[192:193], v[6:7], v[166:167]
	v_fma_f64 v[198:199], v[4:5], v[166:167], -v[168:169]
	ds_load_b128 v[4:7], v2 offset:1408
	ds_load_b128 v[166:169], v2 offset:1424
	v_add_f64_e32 v[200:201], v[184:185], v[182:183]
	v_add_f64_e32 v[190:191], v[190:191], v[194:195]
	scratch_load_b128 v[182:185], off, off offset:608
	v_fmac_f64_e32 v[196:197], v[164:165], v[134:135]
	v_fma_f64 v[162:163], v[162:163], v[134:135], -v[136:137]
	scratch_load_b128 v[134:137], off, off offset:624
	s_wait_loadcnt_dscnt 0xb01
	v_mul_f64_e32 v[194:195], v[4:5], v[152:153]
	v_mul_f64_e32 v[152:153], v[6:7], v[152:153]
	v_add_f64_e32 v[164:165], v[200:201], v[198:199]
	v_add_f64_e32 v[190:191], v[190:191], v[192:193]
	s_wait_loadcnt_dscnt 0xa00
	v_mul_f64_e32 v[192:193], v[166:167], v[144:145]
	v_mul_f64_e32 v[144:145], v[168:169], v[144:145]
	v_fmac_f64_e32 v[194:195], v[6:7], v[150:151]
	v_fma_f64 v[198:199], v[4:5], v[150:151], -v[152:153]
	ds_load_b128 v[4:7], v2 offset:1440
	ds_load_b128 v[150:153], v2 offset:1456
	v_add_f64_e32 v[200:201], v[164:165], v[162:163]
	v_add_f64_e32 v[190:191], v[190:191], v[196:197]
	scratch_load_b128 v[162:165], off, off offset:640
	s_wait_loadcnt_dscnt 0xa01
	v_mul_f64_e32 v[196:197], v[4:5], v[160:161]
	v_mul_f64_e32 v[160:161], v[6:7], v[160:161]
	v_fmac_f64_e32 v[192:193], v[168:169], v[142:143]
	v_fma_f64 v[166:167], v[166:167], v[142:143], -v[144:145]
	scratch_load_b128 v[142:145], off, off offset:656
	v_add_f64_e32 v[168:169], v[200:201], v[198:199]
	v_add_f64_e32 v[190:191], v[190:191], v[194:195]
	s_wait_loadcnt_dscnt 0xa00
	v_mul_f64_e32 v[194:195], v[150:151], v[148:149]
	v_mul_f64_e32 v[148:149], v[152:153], v[148:149]
	v_fmac_f64_e32 v[196:197], v[6:7], v[158:159]
	v_fma_f64 v[198:199], v[4:5], v[158:159], -v[160:161]
	ds_load_b128 v[4:7], v2 offset:1472
	ds_load_b128 v[158:161], v2 offset:1488
	v_add_f64_e32 v[200:201], v[168:169], v[166:167]
	v_add_f64_e32 v[190:191], v[190:191], v[192:193]
	scratch_load_b128 v[166:169], off, off offset:672
	s_wait_loadcnt_dscnt 0xa01
	v_mul_f64_e32 v[192:193], v[4:5], v[172:173]
	v_mul_f64_e32 v[172:173], v[6:7], v[172:173]
	v_fmac_f64_e32 v[194:195], v[152:153], v[146:147]
	v_fma_f64 v[150:151], v[150:151], v[146:147], -v[148:149]
	scratch_load_b128 v[146:149], off, off offset:688
	v_add_f64_e32 v[152:153], v[200:201], v[198:199]
	v_add_f64_e32 v[190:191], v[190:191], v[196:197]
	s_wait_loadcnt_dscnt 0xa00
	v_mul_f64_e32 v[196:197], v[158:159], v[156:157]
	v_mul_f64_e32 v[156:157], v[160:161], v[156:157]
	v_fmac_f64_e32 v[192:193], v[6:7], v[170:171]
	v_fma_f64 v[198:199], v[4:5], v[170:171], -v[172:173]
	v_add_f64_e32 v[200:201], v[152:153], v[150:151]
	v_add_f64_e32 v[190:191], v[190:191], v[194:195]
	ds_load_b128 v[4:7], v2 offset:1504
	ds_load_b128 v[150:153], v2 offset:1520
	scratch_load_b128 v[170:173], off, off offset:704
	v_fmac_f64_e32 v[196:197], v[160:161], v[154:155]
	v_fma_f64 v[158:159], v[158:159], v[154:155], -v[156:157]
	scratch_load_b128 v[154:157], off, off offset:720
	s_wait_loadcnt_dscnt 0xb01
	v_mul_f64_e32 v[194:195], v[4:5], v[188:189]
	v_mul_f64_e32 v[188:189], v[6:7], v[188:189]
	v_add_f64_e32 v[160:161], v[200:201], v[198:199]
	v_add_f64_e32 v[190:191], v[190:191], v[192:193]
	s_wait_loadcnt_dscnt 0xa00
	v_mul_f64_e32 v[192:193], v[150:151], v[12:13]
	v_mul_f64_e32 v[12:13], v[152:153], v[12:13]
	v_fmac_f64_e32 v[194:195], v[6:7], v[186:187]
	v_fma_f64 v[198:199], v[4:5], v[186:187], -v[188:189]
	v_add_f64_e32 v[200:201], v[160:161], v[158:159]
	v_add_f64_e32 v[190:191], v[190:191], v[196:197]
	ds_load_b128 v[4:7], v2 offset:1536
	ds_load_b128 v[158:161], v2 offset:1552
	scratch_load_b128 v[186:189], off, off offset:736
	v_fmac_f64_e32 v[192:193], v[152:153], v[10:11]
	v_fma_f64 v[150:151], v[150:151], v[10:11], -v[12:13]
	scratch_load_b128 v[10:13], off, off offset:752
	s_wait_loadcnt_dscnt 0xb01
	v_mul_f64_e32 v[196:197], v[4:5], v[176:177]
	v_mul_f64_e32 v[176:177], v[6:7], v[176:177]
	;; [unrolled: 18-line block ×8, first 2 shown]
	v_add_f64_e32 v[152:153], v[200:201], v[198:199]
	v_add_f64_e32 v[190:191], v[190:191], v[194:195]
	s_wait_loadcnt_dscnt 0xa00
	v_mul_f64_e32 v[194:195], v[158:159], v[140:141]
	v_mul_f64_e32 v[140:141], v[160:161], v[140:141]
	v_fmac_f64_e32 v[196:197], v[6:7], v[174:175]
	v_fma_f64 v[174:175], v[4:5], v[174:175], -v[176:177]
	v_add_f64_e32 v[176:177], v[152:153], v[150:151]
	v_add_f64_e32 v[190:191], v[190:191], v[192:193]
	ds_load_b128 v[4:7], v2 offset:1760
	ds_load_b128 v[150:153], v2 offset:1776
	v_fmac_f64_e32 v[194:195], v[160:161], v[138:139]
	v_fma_f64 v[138:139], v[158:159], v[138:139], -v[140:141]
	s_wait_loadcnt_dscnt 0x901
	v_mul_f64_e32 v[192:193], v[4:5], v[184:185]
	v_mul_f64_e32 v[184:185], v[6:7], v[184:185]
	s_wait_loadcnt_dscnt 0x800
	v_mul_f64_e32 v[160:161], v[150:151], v[136:137]
	v_add_f64_e32 v[140:141], v[176:177], v[174:175]
	v_add_f64_e32 v[158:159], v[190:191], v[196:197]
	v_mul_f64_e32 v[174:175], v[152:153], v[136:137]
	v_fmac_f64_e32 v[192:193], v[6:7], v[182:183]
	v_fma_f64 v[176:177], v[4:5], v[182:183], -v[184:185]
	v_fmac_f64_e32 v[160:161], v[152:153], v[134:135]
	v_add_f64_e32 v[140:141], v[140:141], v[138:139]
	v_add_f64_e32 v[158:159], v[158:159], v[194:195]
	ds_load_b128 v[4:7], v2 offset:1792
	ds_load_b128 v[136:139], v2 offset:1808
	v_fma_f64 v[134:135], v[150:151], v[134:135], -v[174:175]
	s_wait_loadcnt_dscnt 0x701
	v_mul_f64_e32 v[182:183], v[4:5], v[164:165]
	v_mul_f64_e32 v[164:165], v[6:7], v[164:165]
	v_add_f64_e32 v[140:141], v[140:141], v[176:177]
	v_add_f64_e32 v[150:151], v[158:159], v[192:193]
	s_wait_loadcnt_dscnt 0x600
	v_mul_f64_e32 v[158:159], v[136:137], v[144:145]
	v_mul_f64_e32 v[144:145], v[138:139], v[144:145]
	v_fmac_f64_e32 v[182:183], v[6:7], v[162:163]
	v_fma_f64 v[162:163], v[4:5], v[162:163], -v[164:165]
	v_add_f64_e32 v[134:135], v[140:141], v[134:135]
	v_add_f64_e32 v[140:141], v[150:151], v[160:161]
	ds_load_b128 v[4:7], v2 offset:1824
	ds_load_b128 v[150:153], v2 offset:1840
	v_fmac_f64_e32 v[158:159], v[138:139], v[142:143]
	v_fma_f64 v[136:137], v[136:137], v[142:143], -v[144:145]
	s_wait_loadcnt_dscnt 0x501
	v_mul_f64_e32 v[160:161], v[4:5], v[168:169]
	v_mul_f64_e32 v[164:165], v[6:7], v[168:169]
	s_wait_loadcnt_dscnt 0x400
	v_mul_f64_e32 v[142:143], v[152:153], v[148:149]
	v_add_f64_e32 v[134:135], v[134:135], v[162:163]
	v_add_f64_e32 v[138:139], v[140:141], v[182:183]
	v_mul_f64_e32 v[140:141], v[150:151], v[148:149]
	v_fmac_f64_e32 v[160:161], v[6:7], v[166:167]
	v_fma_f64 v[144:145], v[4:5], v[166:167], -v[164:165]
	v_fma_f64 v[142:143], v[150:151], v[146:147], -v[142:143]
	v_add_f64_e32 v[148:149], v[134:135], v[136:137]
	v_add_f64_e32 v[138:139], v[138:139], v[158:159]
	ds_load_b128 v[4:7], v2 offset:1856
	ds_load_b128 v[134:137], v2 offset:1872
	v_fmac_f64_e32 v[140:141], v[152:153], v[146:147]
	s_wait_loadcnt_dscnt 0x301
	v_mul_f64_e32 v[158:159], v[4:5], v[172:173]
	v_mul_f64_e32 v[162:163], v[6:7], v[172:173]
	s_wait_loadcnt_dscnt 0x200
	v_mul_f64_e32 v[146:147], v[134:135], v[156:157]
	v_add_f64_e32 v[144:145], v[148:149], v[144:145]
	v_add_f64_e32 v[138:139], v[138:139], v[160:161]
	v_mul_f64_e32 v[148:149], v[136:137], v[156:157]
	v_fmac_f64_e32 v[158:159], v[6:7], v[170:171]
	v_fma_f64 v[150:151], v[4:5], v[170:171], -v[162:163]
	v_fmac_f64_e32 v[146:147], v[136:137], v[154:155]
	v_add_f64_e32 v[142:143], v[144:145], v[142:143]
	v_add_f64_e32 v[144:145], v[138:139], v[140:141]
	ds_load_b128 v[4:7], v2 offset:1888
	ds_load_b128 v[138:141], v2 offset:1904
	v_fma_f64 v[134:135], v[134:135], v[154:155], -v[148:149]
	s_wait_loadcnt_dscnt 0x101
	v_mul_f64_e32 v[2:3], v[4:5], v[188:189]
	v_mul_f64_e32 v[152:153], v[6:7], v[188:189]
	v_add_f64_e32 v[136:137], v[142:143], v[150:151]
	v_add_f64_e32 v[142:143], v[144:145], v[158:159]
	s_wait_loadcnt_dscnt 0x0
	v_mul_f64_e32 v[144:145], v[138:139], v[12:13]
	v_mul_f64_e32 v[12:13], v[140:141], v[12:13]
	v_fmac_f64_e32 v[2:3], v[6:7], v[186:187]
	v_fma_f64 v[4:5], v[4:5], v[186:187], -v[152:153]
	v_add_f64_e32 v[6:7], v[136:137], v[134:135]
	v_add_f64_e32 v[134:135], v[142:143], v[146:147]
	v_fmac_f64_e32 v[144:145], v[140:141], v[10:11]
	v_fma_f64 v[10:11], v[138:139], v[10:11], -v[12:13]
	s_delay_alu instid0(VALU_DEP_4) | instskip(NEXT) | instid1(VALU_DEP_4)
	v_add_f64_e32 v[4:5], v[6:7], v[4:5]
	v_add_f64_e32 v[2:3], v[134:135], v[2:3]
	s_delay_alu instid0(VALU_DEP_2) | instskip(NEXT) | instid1(VALU_DEP_2)
	v_add_f64_e32 v[4:5], v[4:5], v[10:11]
	v_add_f64_e32 v[6:7], v[2:3], v[144:145]
	s_delay_alu instid0(VALU_DEP_2) | instskip(NEXT) | instid1(VALU_DEP_2)
	v_add_f64_e64 v[2:3], v[178:179], -v[4:5]
	v_add_f64_e64 v[4:5], v[180:181], -v[6:7]
	scratch_store_b128 off, v[2:5], off offset:144
	s_wait_xcnt 0x0
	v_cmpx_lt_u32_e32 8, v1
	s_cbranch_execz .LBB123_357
; %bb.356:
	scratch_load_b128 v[2:5], off, s68
	v_mov_b32_e32 v10, 0
	s_delay_alu instid0(VALU_DEP_1)
	v_dual_mov_b32 v11, v10 :: v_dual_mov_b32 v12, v10
	v_mov_b32_e32 v13, v10
	scratch_store_b128 off, v[10:13], off offset:128
	s_wait_loadcnt 0x0
	ds_store_b128 v8, v[2:5]
.LBB123_357:
	s_wait_xcnt 0x0
	s_or_b32 exec_lo, exec_lo, s2
	s_wait_storecnt_dscnt 0x0
	s_barrier_signal -1
	s_barrier_wait -1
	s_clause 0x9
	scratch_load_b128 v[4:7], off, off offset:144
	scratch_load_b128 v[10:13], off, off offset:160
	;; [unrolled: 1-line block ×10, first 2 shown]
	v_mov_b32_e32 v2, 0
	s_mov_b32 s2, exec_lo
	ds_load_b128 v[166:169], v2 offset:1104
	s_clause 0x2
	scratch_load_b128 v[170:173], off, off offset:304
	scratch_load_b128 v[174:177], off, off offset:128
	;; [unrolled: 1-line block ×3, first 2 shown]
	s_wait_loadcnt_dscnt 0xc00
	v_mul_f64_e32 v[186:187], v[168:169], v[6:7]
	v_mul_f64_e32 v[190:191], v[166:167], v[6:7]
	ds_load_b128 v[178:181], v2 offset:1120
	v_fma_f64 v[194:195], v[166:167], v[4:5], -v[186:187]
	v_fmac_f64_e32 v[190:191], v[168:169], v[4:5]
	ds_load_b128 v[4:7], v2 offset:1136
	s_wait_loadcnt_dscnt 0xb01
	v_mul_f64_e32 v[192:193], v[178:179], v[12:13]
	v_mul_f64_e32 v[12:13], v[180:181], v[12:13]
	scratch_load_b128 v[166:169], off, off offset:336
	ds_load_b128 v[186:189], v2 offset:1152
	s_wait_loadcnt_dscnt 0xb01
	v_mul_f64_e32 v[196:197], v[4:5], v[136:137]
	v_mul_f64_e32 v[136:137], v[6:7], v[136:137]
	v_add_f64_e32 v[190:191], 0, v[190:191]
	v_fmac_f64_e32 v[192:193], v[180:181], v[10:11]
	v_fma_f64 v[178:179], v[178:179], v[10:11], -v[12:13]
	v_add_f64_e32 v[180:181], 0, v[194:195]
	scratch_load_b128 v[10:13], off, off offset:352
	v_fmac_f64_e32 v[196:197], v[6:7], v[134:135]
	v_fma_f64 v[198:199], v[4:5], v[134:135], -v[136:137]
	ds_load_b128 v[4:7], v2 offset:1168
	s_wait_loadcnt_dscnt 0xb01
	v_mul_f64_e32 v[194:195], v[186:187], v[140:141]
	v_mul_f64_e32 v[140:141], v[188:189], v[140:141]
	scratch_load_b128 v[134:137], off, off offset:368
	v_add_f64_e32 v[190:191], v[190:191], v[192:193]
	v_add_f64_e32 v[200:201], v[180:181], v[178:179]
	ds_load_b128 v[178:181], v2 offset:1184
	s_wait_loadcnt_dscnt 0xb01
	v_mul_f64_e32 v[192:193], v[4:5], v[144:145]
	v_mul_f64_e32 v[144:145], v[6:7], v[144:145]
	v_fmac_f64_e32 v[194:195], v[188:189], v[138:139]
	v_fma_f64 v[186:187], v[186:187], v[138:139], -v[140:141]
	scratch_load_b128 v[138:141], off, off offset:384
	v_add_f64_e32 v[190:191], v[190:191], v[196:197]
	v_add_f64_e32 v[188:189], v[200:201], v[198:199]
	v_fmac_f64_e32 v[192:193], v[6:7], v[142:143]
	v_fma_f64 v[198:199], v[4:5], v[142:143], -v[144:145]
	ds_load_b128 v[4:7], v2 offset:1200
	s_wait_loadcnt_dscnt 0xb01
	v_mul_f64_e32 v[196:197], v[178:179], v[148:149]
	v_mul_f64_e32 v[148:149], v[180:181], v[148:149]
	scratch_load_b128 v[142:145], off, off offset:400
	v_add_f64_e32 v[190:191], v[190:191], v[194:195]
	s_wait_loadcnt_dscnt 0xb00
	v_mul_f64_e32 v[194:195], v[4:5], v[152:153]
	v_add_f64_e32 v[200:201], v[188:189], v[186:187]
	v_mul_f64_e32 v[152:153], v[6:7], v[152:153]
	ds_load_b128 v[186:189], v2 offset:1216
	v_fmac_f64_e32 v[196:197], v[180:181], v[146:147]
	v_fma_f64 v[178:179], v[178:179], v[146:147], -v[148:149]
	scratch_load_b128 v[146:149], off, off offset:416
	v_add_f64_e32 v[190:191], v[190:191], v[192:193]
	v_fmac_f64_e32 v[194:195], v[6:7], v[150:151]
	v_add_f64_e32 v[180:181], v[200:201], v[198:199]
	v_fma_f64 v[198:199], v[4:5], v[150:151], -v[152:153]
	ds_load_b128 v[4:7], v2 offset:1232
	s_wait_loadcnt_dscnt 0xb01
	v_mul_f64_e32 v[192:193], v[186:187], v[156:157]
	v_mul_f64_e32 v[156:157], v[188:189], v[156:157]
	scratch_load_b128 v[150:153], off, off offset:432
	v_add_f64_e32 v[190:191], v[190:191], v[196:197]
	s_wait_loadcnt_dscnt 0xb00
	v_mul_f64_e32 v[196:197], v[4:5], v[160:161]
	v_add_f64_e32 v[200:201], v[180:181], v[178:179]
	v_mul_f64_e32 v[160:161], v[6:7], v[160:161]
	ds_load_b128 v[178:181], v2 offset:1248
	v_fmac_f64_e32 v[192:193], v[188:189], v[154:155]
	v_fma_f64 v[186:187], v[186:187], v[154:155], -v[156:157]
	scratch_load_b128 v[154:157], off, off offset:448
	v_add_f64_e32 v[190:191], v[190:191], v[194:195]
	v_fmac_f64_e32 v[196:197], v[6:7], v[158:159]
	v_add_f64_e32 v[188:189], v[200:201], v[198:199]
	;; [unrolled: 18-line block ×3, first 2 shown]
	v_fma_f64 v[198:199], v[4:5], v[170:171], -v[172:173]
	ds_load_b128 v[4:7], v2 offset:1296
	s_wait_loadcnt_dscnt 0xa01
	v_mul_f64_e32 v[196:197], v[186:187], v[184:185]
	v_mul_f64_e32 v[184:185], v[188:189], v[184:185]
	scratch_load_b128 v[170:173], off, off offset:496
	v_add_f64_e32 v[190:191], v[190:191], v[194:195]
	v_add_f64_e32 v[200:201], v[180:181], v[178:179]
	s_wait_loadcnt_dscnt 0xa00
	v_mul_f64_e32 v[194:195], v[4:5], v[168:169]
	v_mul_f64_e32 v[168:169], v[6:7], v[168:169]
	v_fmac_f64_e32 v[196:197], v[188:189], v[182:183]
	v_fma_f64 v[186:187], v[186:187], v[182:183], -v[184:185]
	ds_load_b128 v[178:181], v2 offset:1312
	scratch_load_b128 v[182:185], off, off offset:512
	v_add_f64_e32 v[190:191], v[190:191], v[192:193]
	v_add_f64_e32 v[188:189], v[200:201], v[198:199]
	v_fmac_f64_e32 v[194:195], v[6:7], v[166:167]
	v_fma_f64 v[198:199], v[4:5], v[166:167], -v[168:169]
	ds_load_b128 v[4:7], v2 offset:1328
	s_wait_loadcnt_dscnt 0xa01
	v_mul_f64_e32 v[192:193], v[178:179], v[12:13]
	v_mul_f64_e32 v[12:13], v[180:181], v[12:13]
	scratch_load_b128 v[166:169], off, off offset:528
	v_add_f64_e32 v[190:191], v[190:191], v[196:197]
	s_wait_loadcnt_dscnt 0xa00
	v_mul_f64_e32 v[196:197], v[4:5], v[136:137]
	v_add_f64_e32 v[200:201], v[188:189], v[186:187]
	v_mul_f64_e32 v[136:137], v[6:7], v[136:137]
	ds_load_b128 v[186:189], v2 offset:1344
	v_fmac_f64_e32 v[192:193], v[180:181], v[10:11]
	v_fma_f64 v[178:179], v[178:179], v[10:11], -v[12:13]
	scratch_load_b128 v[10:13], off, off offset:544
	v_add_f64_e32 v[190:191], v[190:191], v[194:195]
	v_fmac_f64_e32 v[196:197], v[6:7], v[134:135]
	v_add_f64_e32 v[180:181], v[200:201], v[198:199]
	v_fma_f64 v[198:199], v[4:5], v[134:135], -v[136:137]
	ds_load_b128 v[4:7], v2 offset:1360
	s_wait_loadcnt_dscnt 0xa01
	v_mul_f64_e32 v[194:195], v[186:187], v[140:141]
	v_mul_f64_e32 v[140:141], v[188:189], v[140:141]
	scratch_load_b128 v[134:137], off, off offset:560
	v_add_f64_e32 v[190:191], v[190:191], v[192:193]
	s_wait_loadcnt_dscnt 0xa00
	v_mul_f64_e32 v[192:193], v[4:5], v[144:145]
	v_add_f64_e32 v[200:201], v[180:181], v[178:179]
	v_mul_f64_e32 v[144:145], v[6:7], v[144:145]
	ds_load_b128 v[178:181], v2 offset:1376
	v_fmac_f64_e32 v[194:195], v[188:189], v[138:139]
	v_fma_f64 v[186:187], v[186:187], v[138:139], -v[140:141]
	scratch_load_b128 v[138:141], off, off offset:576
	v_add_f64_e32 v[190:191], v[190:191], v[196:197]
	v_fmac_f64_e32 v[192:193], v[6:7], v[142:143]
	v_add_f64_e32 v[188:189], v[200:201], v[198:199]
	;; [unrolled: 18-line block ×13, first 2 shown]
	v_fma_f64 v[198:199], v[4:5], v[134:135], -v[136:137]
	ds_load_b128 v[4:7], v2 offset:1744
	s_wait_loadcnt_dscnt 0xa01
	v_mul_f64_e32 v[194:195], v[186:187], v[140:141]
	v_mul_f64_e32 v[140:141], v[188:189], v[140:141]
	scratch_load_b128 v[134:137], off, off offset:944
	v_add_f64_e32 v[190:191], v[190:191], v[192:193]
	s_wait_loadcnt_dscnt 0xa00
	v_mul_f64_e32 v[192:193], v[4:5], v[144:145]
	v_add_f64_e32 v[200:201], v[180:181], v[178:179]
	v_mul_f64_e32 v[144:145], v[6:7], v[144:145]
	ds_load_b128 v[178:181], v2 offset:1760
	v_fmac_f64_e32 v[194:195], v[188:189], v[138:139]
	v_fma_f64 v[138:139], v[186:187], v[138:139], -v[140:141]
	s_wait_loadcnt_dscnt 0x900
	v_mul_f64_e32 v[188:189], v[178:179], v[148:149]
	v_mul_f64_e32 v[148:149], v[180:181], v[148:149]
	v_add_f64_e32 v[186:187], v[190:191], v[196:197]
	v_fmac_f64_e32 v[192:193], v[6:7], v[142:143]
	v_add_f64_e32 v[140:141], v[200:201], v[198:199]
	v_fma_f64 v[142:143], v[4:5], v[142:143], -v[144:145]
	v_fmac_f64_e32 v[188:189], v[180:181], v[146:147]
	v_fma_f64 v[146:147], v[178:179], v[146:147], -v[148:149]
	v_add_f64_e32 v[186:187], v[186:187], v[194:195]
	v_add_f64_e32 v[144:145], v[140:141], v[138:139]
	ds_load_b128 v[4:7], v2 offset:1776
	ds_load_b128 v[138:141], v2 offset:1792
	s_wait_loadcnt_dscnt 0x801
	v_mul_f64_e32 v[190:191], v[4:5], v[152:153]
	v_mul_f64_e32 v[152:153], v[6:7], v[152:153]
	s_wait_loadcnt_dscnt 0x700
	v_mul_f64_e32 v[148:149], v[138:139], v[156:157]
	v_mul_f64_e32 v[156:157], v[140:141], v[156:157]
	v_add_f64_e32 v[142:143], v[144:145], v[142:143]
	v_add_f64_e32 v[144:145], v[186:187], v[192:193]
	v_fmac_f64_e32 v[190:191], v[6:7], v[150:151]
	v_fma_f64 v[150:151], v[4:5], v[150:151], -v[152:153]
	v_fmac_f64_e32 v[148:149], v[140:141], v[154:155]
	v_fma_f64 v[138:139], v[138:139], v[154:155], -v[156:157]
	v_add_f64_e32 v[146:147], v[142:143], v[146:147]
	v_add_f64_e32 v[152:153], v[144:145], v[188:189]
	ds_load_b128 v[4:7], v2 offset:1808
	ds_load_b128 v[142:145], v2 offset:1824
	s_wait_loadcnt_dscnt 0x601
	v_mul_f64_e32 v[178:179], v[4:5], v[160:161]
	v_mul_f64_e32 v[160:161], v[6:7], v[160:161]
	v_add_f64_e32 v[140:141], v[146:147], v[150:151]
	v_add_f64_e32 v[146:147], v[152:153], v[190:191]
	s_wait_loadcnt_dscnt 0x500
	v_mul_f64_e32 v[150:151], v[142:143], v[164:165]
	v_mul_f64_e32 v[152:153], v[144:145], v[164:165]
	v_fmac_f64_e32 v[178:179], v[6:7], v[158:159]
	v_fma_f64 v[154:155], v[4:5], v[158:159], -v[160:161]
	v_add_f64_e32 v[156:157], v[140:141], v[138:139]
	v_add_f64_e32 v[146:147], v[146:147], v[148:149]
	ds_load_b128 v[4:7], v2 offset:1840
	ds_load_b128 v[138:141], v2 offset:1856
	v_fmac_f64_e32 v[150:151], v[144:145], v[162:163]
	v_fma_f64 v[142:143], v[142:143], v[162:163], -v[152:153]
	s_wait_loadcnt_dscnt 0x401
	v_mul_f64_e32 v[148:149], v[4:5], v[172:173]
	v_mul_f64_e32 v[158:159], v[6:7], v[172:173]
	s_wait_loadcnt_dscnt 0x300
	v_mul_f64_e32 v[152:153], v[138:139], v[184:185]
	v_add_f64_e32 v[144:145], v[156:157], v[154:155]
	v_add_f64_e32 v[146:147], v[146:147], v[178:179]
	v_mul_f64_e32 v[154:155], v[140:141], v[184:185]
	v_fmac_f64_e32 v[148:149], v[6:7], v[170:171]
	v_fma_f64 v[156:157], v[4:5], v[170:171], -v[158:159]
	v_fmac_f64_e32 v[152:153], v[140:141], v[182:183]
	v_add_f64_e32 v[158:159], v[144:145], v[142:143]
	v_add_f64_e32 v[146:147], v[146:147], v[150:151]
	ds_load_b128 v[4:7], v2 offset:1872
	ds_load_b128 v[142:145], v2 offset:1888
	v_fma_f64 v[138:139], v[138:139], v[182:183], -v[154:155]
	s_wait_loadcnt_dscnt 0x201
	v_mul_f64_e32 v[150:151], v[4:5], v[168:169]
	v_mul_f64_e32 v[160:161], v[6:7], v[168:169]
	v_add_f64_e32 v[140:141], v[158:159], v[156:157]
	v_add_f64_e32 v[146:147], v[146:147], v[148:149]
	s_wait_loadcnt_dscnt 0x100
	v_mul_f64_e32 v[148:149], v[142:143], v[12:13]
	v_mul_f64_e32 v[12:13], v[144:145], v[12:13]
	v_fmac_f64_e32 v[150:151], v[6:7], v[166:167]
	v_fma_f64 v[154:155], v[4:5], v[166:167], -v[160:161]
	ds_load_b128 v[4:7], v2 offset:1904
	v_add_f64_e32 v[138:139], v[140:141], v[138:139]
	v_add_f64_e32 v[140:141], v[146:147], v[152:153]
	v_fmac_f64_e32 v[148:149], v[144:145], v[10:11]
	v_fma_f64 v[10:11], v[142:143], v[10:11], -v[12:13]
	s_wait_loadcnt_dscnt 0x0
	v_mul_f64_e32 v[146:147], v[4:5], v[136:137]
	v_mul_f64_e32 v[136:137], v[6:7], v[136:137]
	v_add_f64_e32 v[12:13], v[138:139], v[154:155]
	v_add_f64_e32 v[138:139], v[140:141], v[150:151]
	s_delay_alu instid0(VALU_DEP_4) | instskip(NEXT) | instid1(VALU_DEP_4)
	v_fmac_f64_e32 v[146:147], v[6:7], v[134:135]
	v_fma_f64 v[4:5], v[4:5], v[134:135], -v[136:137]
	s_delay_alu instid0(VALU_DEP_4) | instskip(NEXT) | instid1(VALU_DEP_4)
	v_add_f64_e32 v[6:7], v[12:13], v[10:11]
	v_add_f64_e32 v[10:11], v[138:139], v[148:149]
	s_delay_alu instid0(VALU_DEP_2) | instskip(NEXT) | instid1(VALU_DEP_2)
	v_add_f64_e32 v[4:5], v[6:7], v[4:5]
	v_add_f64_e32 v[6:7], v[10:11], v[146:147]
	s_delay_alu instid0(VALU_DEP_2) | instskip(NEXT) | instid1(VALU_DEP_2)
	v_add_f64_e64 v[4:5], v[174:175], -v[4:5]
	v_add_f64_e64 v[6:7], v[176:177], -v[6:7]
	scratch_store_b128 off, v[4:7], off offset:128
	s_wait_xcnt 0x0
	v_cmpx_lt_u32_e32 7, v1
	s_cbranch_execz .LBB123_359
; %bb.358:
	scratch_load_b128 v[10:13], off, s69
	v_dual_mov_b32 v3, v2 :: v_dual_mov_b32 v4, v2
	v_mov_b32_e32 v5, v2
	scratch_store_b128 off, v[2:5], off offset:112
	s_wait_loadcnt 0x0
	ds_store_b128 v8, v[10:13]
.LBB123_359:
	s_wait_xcnt 0x0
	s_or_b32 exec_lo, exec_lo, s2
	s_wait_storecnt_dscnt 0x0
	s_barrier_signal -1
	s_barrier_wait -1
	s_clause 0x9
	scratch_load_b128 v[4:7], off, off offset:128
	scratch_load_b128 v[10:13], off, off offset:144
	;; [unrolled: 1-line block ×10, first 2 shown]
	ds_load_b128 v[166:169], v2 offset:1088
	ds_load_b128 v[174:177], v2 offset:1104
	s_clause 0x2
	scratch_load_b128 v[170:173], off, off offset:288
	scratch_load_b128 v[178:181], off, off offset:112
	scratch_load_b128 v[182:185], off, off offset:304
	s_mov_b32 s2, exec_lo
	s_wait_loadcnt_dscnt 0xc01
	v_mul_f64_e32 v[186:187], v[168:169], v[6:7]
	v_mul_f64_e32 v[190:191], v[166:167], v[6:7]
	s_wait_loadcnt_dscnt 0xb00
	v_mul_f64_e32 v[192:193], v[174:175], v[12:13]
	v_mul_f64_e32 v[12:13], v[176:177], v[12:13]
	s_delay_alu instid0(VALU_DEP_4) | instskip(NEXT) | instid1(VALU_DEP_4)
	v_fma_f64 v[194:195], v[166:167], v[4:5], -v[186:187]
	v_fmac_f64_e32 v[190:191], v[168:169], v[4:5]
	ds_load_b128 v[4:7], v2 offset:1120
	ds_load_b128 v[166:169], v2 offset:1136
	scratch_load_b128 v[186:189], off, off offset:320
	v_fmac_f64_e32 v[192:193], v[176:177], v[10:11]
	v_fma_f64 v[174:175], v[174:175], v[10:11], -v[12:13]
	scratch_load_b128 v[10:13], off, off offset:336
	s_wait_loadcnt_dscnt 0xc01
	v_mul_f64_e32 v[196:197], v[4:5], v[136:137]
	v_mul_f64_e32 v[136:137], v[6:7], v[136:137]
	v_add_f64_e32 v[176:177], 0, v[194:195]
	v_add_f64_e32 v[190:191], 0, v[190:191]
	s_wait_loadcnt_dscnt 0xb00
	v_mul_f64_e32 v[194:195], v[166:167], v[140:141]
	v_mul_f64_e32 v[140:141], v[168:169], v[140:141]
	v_fmac_f64_e32 v[196:197], v[6:7], v[134:135]
	v_fma_f64 v[198:199], v[4:5], v[134:135], -v[136:137]
	ds_load_b128 v[4:7], v2 offset:1152
	ds_load_b128 v[134:137], v2 offset:1168
	v_add_f64_e32 v[200:201], v[176:177], v[174:175]
	v_add_f64_e32 v[190:191], v[190:191], v[192:193]
	scratch_load_b128 v[174:177], off, off offset:352
	v_fmac_f64_e32 v[194:195], v[168:169], v[138:139]
	v_fma_f64 v[166:167], v[166:167], v[138:139], -v[140:141]
	scratch_load_b128 v[138:141], off, off offset:368
	s_wait_loadcnt_dscnt 0xc01
	v_mul_f64_e32 v[192:193], v[4:5], v[144:145]
	v_mul_f64_e32 v[144:145], v[6:7], v[144:145]
	v_add_f64_e32 v[168:169], v[200:201], v[198:199]
	v_add_f64_e32 v[190:191], v[190:191], v[196:197]
	s_wait_loadcnt_dscnt 0xb00
	v_mul_f64_e32 v[196:197], v[134:135], v[148:149]
	v_mul_f64_e32 v[148:149], v[136:137], v[148:149]
	v_fmac_f64_e32 v[192:193], v[6:7], v[142:143]
	v_fma_f64 v[198:199], v[4:5], v[142:143], -v[144:145]
	ds_load_b128 v[4:7], v2 offset:1184
	ds_load_b128 v[142:145], v2 offset:1200
	v_add_f64_e32 v[200:201], v[168:169], v[166:167]
	v_add_f64_e32 v[190:191], v[190:191], v[194:195]
	scratch_load_b128 v[166:169], off, off offset:384
	s_wait_loadcnt_dscnt 0xb01
	v_mul_f64_e32 v[194:195], v[4:5], v[152:153]
	v_mul_f64_e32 v[152:153], v[6:7], v[152:153]
	v_fmac_f64_e32 v[196:197], v[136:137], v[146:147]
	v_fma_f64 v[146:147], v[134:135], v[146:147], -v[148:149]
	scratch_load_b128 v[134:137], off, off offset:400
	v_add_f64_e32 v[148:149], v[200:201], v[198:199]
	v_add_f64_e32 v[190:191], v[190:191], v[192:193]
	s_wait_loadcnt_dscnt 0xb00
	v_mul_f64_e32 v[192:193], v[142:143], v[156:157]
	v_mul_f64_e32 v[156:157], v[144:145], v[156:157]
	v_fmac_f64_e32 v[194:195], v[6:7], v[150:151]
	v_fma_f64 v[198:199], v[4:5], v[150:151], -v[152:153]
	v_add_f64_e32 v[200:201], v[148:149], v[146:147]
	v_add_f64_e32 v[190:191], v[190:191], v[196:197]
	ds_load_b128 v[4:7], v2 offset:1216
	ds_load_b128 v[146:149], v2 offset:1232
	scratch_load_b128 v[150:153], off, off offset:416
	v_fmac_f64_e32 v[192:193], v[144:145], v[154:155]
	v_fma_f64 v[154:155], v[142:143], v[154:155], -v[156:157]
	scratch_load_b128 v[142:145], off, off offset:432
	s_wait_loadcnt_dscnt 0xc01
	v_mul_f64_e32 v[196:197], v[4:5], v[160:161]
	v_mul_f64_e32 v[160:161], v[6:7], v[160:161]
	v_add_f64_e32 v[156:157], v[200:201], v[198:199]
	v_add_f64_e32 v[190:191], v[190:191], v[194:195]
	s_wait_loadcnt_dscnt 0xb00
	v_mul_f64_e32 v[194:195], v[146:147], v[164:165]
	v_mul_f64_e32 v[164:165], v[148:149], v[164:165]
	v_fmac_f64_e32 v[196:197], v[6:7], v[158:159]
	v_fma_f64 v[198:199], v[4:5], v[158:159], -v[160:161]
	v_add_f64_e32 v[200:201], v[156:157], v[154:155]
	v_add_f64_e32 v[190:191], v[190:191], v[192:193]
	ds_load_b128 v[4:7], v2 offset:1248
	ds_load_b128 v[154:157], v2 offset:1264
	scratch_load_b128 v[158:161], off, off offset:448
	v_fmac_f64_e32 v[194:195], v[148:149], v[162:163]
	v_fma_f64 v[162:163], v[146:147], v[162:163], -v[164:165]
	scratch_load_b128 v[146:149], off, off offset:464
	s_wait_loadcnt_dscnt 0xc01
	v_mul_f64_e32 v[192:193], v[4:5], v[172:173]
	v_mul_f64_e32 v[172:173], v[6:7], v[172:173]
	;; [unrolled: 18-line block ×5, first 2 shown]
	v_add_f64_e32 v[184:185], v[200:201], v[198:199]
	v_add_f64_e32 v[190:191], v[190:191], v[196:197]
	s_wait_loadcnt_dscnt 0xa00
	v_mul_f64_e32 v[196:197], v[162:163], v[136:137]
	v_mul_f64_e32 v[136:137], v[164:165], v[136:137]
	v_fmac_f64_e32 v[192:193], v[6:7], v[166:167]
	v_fma_f64 v[198:199], v[4:5], v[166:167], -v[168:169]
	ds_load_b128 v[4:7], v2 offset:1376
	ds_load_b128 v[166:169], v2 offset:1392
	v_add_f64_e32 v[200:201], v[184:185], v[182:183]
	v_add_f64_e32 v[190:191], v[190:191], v[194:195]
	scratch_load_b128 v[182:185], off, off offset:576
	v_fmac_f64_e32 v[196:197], v[164:165], v[134:135]
	v_fma_f64 v[162:163], v[162:163], v[134:135], -v[136:137]
	scratch_load_b128 v[134:137], off, off offset:592
	s_wait_loadcnt_dscnt 0xb01
	v_mul_f64_e32 v[194:195], v[4:5], v[152:153]
	v_mul_f64_e32 v[152:153], v[6:7], v[152:153]
	v_add_f64_e32 v[164:165], v[200:201], v[198:199]
	v_add_f64_e32 v[190:191], v[190:191], v[192:193]
	s_wait_loadcnt_dscnt 0xa00
	v_mul_f64_e32 v[192:193], v[166:167], v[144:145]
	v_mul_f64_e32 v[144:145], v[168:169], v[144:145]
	v_fmac_f64_e32 v[194:195], v[6:7], v[150:151]
	v_fma_f64 v[198:199], v[4:5], v[150:151], -v[152:153]
	ds_load_b128 v[4:7], v2 offset:1408
	ds_load_b128 v[150:153], v2 offset:1424
	v_add_f64_e32 v[200:201], v[164:165], v[162:163]
	v_add_f64_e32 v[190:191], v[190:191], v[196:197]
	scratch_load_b128 v[162:165], off, off offset:608
	s_wait_loadcnt_dscnt 0xa01
	v_mul_f64_e32 v[196:197], v[4:5], v[160:161]
	v_mul_f64_e32 v[160:161], v[6:7], v[160:161]
	v_fmac_f64_e32 v[192:193], v[168:169], v[142:143]
	v_fma_f64 v[166:167], v[166:167], v[142:143], -v[144:145]
	scratch_load_b128 v[142:145], off, off offset:624
	v_add_f64_e32 v[168:169], v[200:201], v[198:199]
	v_add_f64_e32 v[190:191], v[190:191], v[194:195]
	s_wait_loadcnt_dscnt 0xa00
	v_mul_f64_e32 v[194:195], v[150:151], v[148:149]
	v_mul_f64_e32 v[148:149], v[152:153], v[148:149]
	v_fmac_f64_e32 v[196:197], v[6:7], v[158:159]
	v_fma_f64 v[198:199], v[4:5], v[158:159], -v[160:161]
	ds_load_b128 v[4:7], v2 offset:1440
	ds_load_b128 v[158:161], v2 offset:1456
	v_add_f64_e32 v[200:201], v[168:169], v[166:167]
	v_add_f64_e32 v[190:191], v[190:191], v[192:193]
	scratch_load_b128 v[166:169], off, off offset:640
	s_wait_loadcnt_dscnt 0xa01
	v_mul_f64_e32 v[192:193], v[4:5], v[172:173]
	v_mul_f64_e32 v[172:173], v[6:7], v[172:173]
	v_fmac_f64_e32 v[194:195], v[152:153], v[146:147]
	v_fma_f64 v[150:151], v[150:151], v[146:147], -v[148:149]
	scratch_load_b128 v[146:149], off, off offset:656
	v_add_f64_e32 v[152:153], v[200:201], v[198:199]
	v_add_f64_e32 v[190:191], v[190:191], v[196:197]
	s_wait_loadcnt_dscnt 0xa00
	v_mul_f64_e32 v[196:197], v[158:159], v[156:157]
	v_mul_f64_e32 v[156:157], v[160:161], v[156:157]
	v_fmac_f64_e32 v[192:193], v[6:7], v[170:171]
	v_fma_f64 v[198:199], v[4:5], v[170:171], -v[172:173]
	v_add_f64_e32 v[200:201], v[152:153], v[150:151]
	v_add_f64_e32 v[190:191], v[190:191], v[194:195]
	ds_load_b128 v[4:7], v2 offset:1472
	ds_load_b128 v[150:153], v2 offset:1488
	scratch_load_b128 v[170:173], off, off offset:672
	v_fmac_f64_e32 v[196:197], v[160:161], v[154:155]
	v_fma_f64 v[158:159], v[158:159], v[154:155], -v[156:157]
	scratch_load_b128 v[154:157], off, off offset:688
	s_wait_loadcnt_dscnt 0xb01
	v_mul_f64_e32 v[194:195], v[4:5], v[188:189]
	v_mul_f64_e32 v[188:189], v[6:7], v[188:189]
	v_add_f64_e32 v[160:161], v[200:201], v[198:199]
	v_add_f64_e32 v[190:191], v[190:191], v[192:193]
	s_wait_loadcnt_dscnt 0xa00
	v_mul_f64_e32 v[192:193], v[150:151], v[12:13]
	v_mul_f64_e32 v[12:13], v[152:153], v[12:13]
	v_fmac_f64_e32 v[194:195], v[6:7], v[186:187]
	v_fma_f64 v[198:199], v[4:5], v[186:187], -v[188:189]
	v_add_f64_e32 v[200:201], v[160:161], v[158:159]
	v_add_f64_e32 v[190:191], v[190:191], v[196:197]
	ds_load_b128 v[4:7], v2 offset:1504
	ds_load_b128 v[158:161], v2 offset:1520
	scratch_load_b128 v[186:189], off, off offset:704
	v_fmac_f64_e32 v[192:193], v[152:153], v[10:11]
	v_fma_f64 v[150:151], v[150:151], v[10:11], -v[12:13]
	scratch_load_b128 v[10:13], off, off offset:720
	s_wait_loadcnt_dscnt 0xb01
	v_mul_f64_e32 v[196:197], v[4:5], v[176:177]
	v_mul_f64_e32 v[176:177], v[6:7], v[176:177]
	;; [unrolled: 18-line block ×9, first 2 shown]
	v_add_f64_e32 v[160:161], v[200:201], v[198:199]
	v_add_f64_e32 v[190:191], v[190:191], v[196:197]
	s_wait_loadcnt_dscnt 0xa00
	v_mul_f64_e32 v[196:197], v[150:151], v[136:137]
	v_mul_f64_e32 v[136:137], v[152:153], v[136:137]
	v_fmac_f64_e32 v[192:193], v[6:7], v[182:183]
	v_fma_f64 v[182:183], v[4:5], v[182:183], -v[184:185]
	v_add_f64_e32 v[184:185], v[160:161], v[158:159]
	v_add_f64_e32 v[190:191], v[190:191], v[194:195]
	ds_load_b128 v[4:7], v2 offset:1760
	ds_load_b128 v[158:161], v2 offset:1776
	v_fmac_f64_e32 v[196:197], v[152:153], v[134:135]
	v_fma_f64 v[134:135], v[150:151], v[134:135], -v[136:137]
	s_wait_loadcnt_dscnt 0x901
	v_mul_f64_e32 v[194:195], v[4:5], v[164:165]
	v_mul_f64_e32 v[164:165], v[6:7], v[164:165]
	s_wait_loadcnt_dscnt 0x800
	v_mul_f64_e32 v[152:153], v[158:159], v[144:145]
	v_mul_f64_e32 v[144:145], v[160:161], v[144:145]
	v_add_f64_e32 v[136:137], v[184:185], v[182:183]
	v_add_f64_e32 v[150:151], v[190:191], v[192:193]
	v_fmac_f64_e32 v[194:195], v[6:7], v[162:163]
	v_fma_f64 v[162:163], v[4:5], v[162:163], -v[164:165]
	v_fmac_f64_e32 v[152:153], v[160:161], v[142:143]
	v_fma_f64 v[142:143], v[158:159], v[142:143], -v[144:145]
	v_add_f64_e32 v[164:165], v[136:137], v[134:135]
	v_add_f64_e32 v[150:151], v[150:151], v[196:197]
	ds_load_b128 v[4:7], v2 offset:1792
	ds_load_b128 v[134:137], v2 offset:1808
	s_wait_loadcnt_dscnt 0x701
	v_mul_f64_e32 v[182:183], v[4:5], v[168:169]
	v_mul_f64_e32 v[168:169], v[6:7], v[168:169]
	s_wait_loadcnt_dscnt 0x600
	v_mul_f64_e32 v[158:159], v[134:135], v[148:149]
	v_mul_f64_e32 v[148:149], v[136:137], v[148:149]
	v_add_f64_e32 v[144:145], v[164:165], v[162:163]
	v_add_f64_e32 v[150:151], v[150:151], v[194:195]
	v_fmac_f64_e32 v[182:183], v[6:7], v[166:167]
	v_fma_f64 v[160:161], v[4:5], v[166:167], -v[168:169]
	v_fmac_f64_e32 v[158:159], v[136:137], v[146:147]
	v_fma_f64 v[134:135], v[134:135], v[146:147], -v[148:149]
	v_add_f64_e32 v[162:163], v[144:145], v[142:143]
	v_add_f64_e32 v[150:151], v[150:151], v[152:153]
	ds_load_b128 v[4:7], v2 offset:1824
	ds_load_b128 v[142:145], v2 offset:1840
	s_wait_loadcnt_dscnt 0x501
	v_mul_f64_e32 v[152:153], v[4:5], v[172:173]
	v_mul_f64_e32 v[164:165], v[6:7], v[172:173]
	s_wait_loadcnt_dscnt 0x400
	v_mul_f64_e32 v[148:149], v[142:143], v[156:157]
	v_add_f64_e32 v[136:137], v[162:163], v[160:161]
	v_add_f64_e32 v[146:147], v[150:151], v[182:183]
	v_mul_f64_e32 v[150:151], v[144:145], v[156:157]
	v_fmac_f64_e32 v[152:153], v[6:7], v[170:171]
	v_fma_f64 v[156:157], v[4:5], v[170:171], -v[164:165]
	v_fmac_f64_e32 v[148:149], v[144:145], v[154:155]
	v_add_f64_e32 v[160:161], v[136:137], v[134:135]
	v_add_f64_e32 v[146:147], v[146:147], v[158:159]
	ds_load_b128 v[4:7], v2 offset:1856
	ds_load_b128 v[134:137], v2 offset:1872
	v_fma_f64 v[142:143], v[142:143], v[154:155], -v[150:151]
	s_wait_loadcnt_dscnt 0x301
	v_mul_f64_e32 v[158:159], v[4:5], v[188:189]
	v_mul_f64_e32 v[162:163], v[6:7], v[188:189]
	s_wait_loadcnt_dscnt 0x200
	v_mul_f64_e32 v[150:151], v[134:135], v[12:13]
	v_mul_f64_e32 v[12:13], v[136:137], v[12:13]
	v_add_f64_e32 v[144:145], v[160:161], v[156:157]
	v_add_f64_e32 v[146:147], v[146:147], v[152:153]
	v_fmac_f64_e32 v[158:159], v[6:7], v[186:187]
	v_fma_f64 v[152:153], v[4:5], v[186:187], -v[162:163]
	v_fmac_f64_e32 v[150:151], v[136:137], v[10:11]
	v_fma_f64 v[10:11], v[134:135], v[10:11], -v[12:13]
	v_add_f64_e32 v[154:155], v[144:145], v[142:143]
	v_add_f64_e32 v[146:147], v[146:147], v[148:149]
	ds_load_b128 v[4:7], v2 offset:1888
	ds_load_b128 v[142:145], v2 offset:1904
	s_wait_loadcnt_dscnt 0x101
	v_mul_f64_e32 v[2:3], v[4:5], v[176:177]
	v_mul_f64_e32 v[148:149], v[6:7], v[176:177]
	s_wait_loadcnt_dscnt 0x0
	v_mul_f64_e32 v[136:137], v[142:143], v[140:141]
	v_mul_f64_e32 v[140:141], v[144:145], v[140:141]
	v_add_f64_e32 v[12:13], v[154:155], v[152:153]
	v_add_f64_e32 v[134:135], v[146:147], v[158:159]
	v_fmac_f64_e32 v[2:3], v[6:7], v[174:175]
	v_fma_f64 v[4:5], v[4:5], v[174:175], -v[148:149]
	v_fmac_f64_e32 v[136:137], v[144:145], v[138:139]
	v_add_f64_e32 v[6:7], v[12:13], v[10:11]
	v_add_f64_e32 v[10:11], v[134:135], v[150:151]
	v_fma_f64 v[12:13], v[142:143], v[138:139], -v[140:141]
	s_delay_alu instid0(VALU_DEP_3) | instskip(NEXT) | instid1(VALU_DEP_3)
	v_add_f64_e32 v[4:5], v[6:7], v[4:5]
	v_add_f64_e32 v[2:3], v[10:11], v[2:3]
	s_delay_alu instid0(VALU_DEP_2) | instskip(NEXT) | instid1(VALU_DEP_2)
	v_add_f64_e32 v[4:5], v[4:5], v[12:13]
	v_add_f64_e32 v[6:7], v[2:3], v[136:137]
	s_delay_alu instid0(VALU_DEP_2) | instskip(NEXT) | instid1(VALU_DEP_2)
	v_add_f64_e64 v[2:3], v[178:179], -v[4:5]
	v_add_f64_e64 v[4:5], v[180:181], -v[6:7]
	scratch_store_b128 off, v[2:5], off offset:112
	s_wait_xcnt 0x0
	v_cmpx_lt_u32_e32 6, v1
	s_cbranch_execz .LBB123_361
; %bb.360:
	scratch_load_b128 v[2:5], off, s70
	v_mov_b32_e32 v10, 0
	s_delay_alu instid0(VALU_DEP_1)
	v_dual_mov_b32 v11, v10 :: v_dual_mov_b32 v12, v10
	v_mov_b32_e32 v13, v10
	scratch_store_b128 off, v[10:13], off offset:96
	s_wait_loadcnt 0x0
	ds_store_b128 v8, v[2:5]
.LBB123_361:
	s_wait_xcnt 0x0
	s_or_b32 exec_lo, exec_lo, s2
	s_wait_storecnt_dscnt 0x0
	s_barrier_signal -1
	s_barrier_wait -1
	s_clause 0x9
	scratch_load_b128 v[4:7], off, off offset:112
	scratch_load_b128 v[10:13], off, off offset:128
	;; [unrolled: 1-line block ×10, first 2 shown]
	v_mov_b32_e32 v2, 0
	s_mov_b32 s2, exec_lo
	ds_load_b128 v[166:169], v2 offset:1072
	s_clause 0x2
	scratch_load_b128 v[170:173], off, off offset:272
	scratch_load_b128 v[174:177], off, off offset:96
	;; [unrolled: 1-line block ×3, first 2 shown]
	s_wait_loadcnt_dscnt 0xc00
	v_mul_f64_e32 v[186:187], v[168:169], v[6:7]
	v_mul_f64_e32 v[190:191], v[166:167], v[6:7]
	ds_load_b128 v[178:181], v2 offset:1088
	v_fma_f64 v[194:195], v[166:167], v[4:5], -v[186:187]
	v_fmac_f64_e32 v[190:191], v[168:169], v[4:5]
	ds_load_b128 v[4:7], v2 offset:1104
	s_wait_loadcnt_dscnt 0xb01
	v_mul_f64_e32 v[192:193], v[178:179], v[12:13]
	v_mul_f64_e32 v[12:13], v[180:181], v[12:13]
	scratch_load_b128 v[166:169], off, off offset:304
	ds_load_b128 v[186:189], v2 offset:1120
	s_wait_loadcnt_dscnt 0xb01
	v_mul_f64_e32 v[196:197], v[4:5], v[136:137]
	v_mul_f64_e32 v[136:137], v[6:7], v[136:137]
	v_add_f64_e32 v[190:191], 0, v[190:191]
	v_fmac_f64_e32 v[192:193], v[180:181], v[10:11]
	v_fma_f64 v[178:179], v[178:179], v[10:11], -v[12:13]
	v_add_f64_e32 v[180:181], 0, v[194:195]
	scratch_load_b128 v[10:13], off, off offset:320
	v_fmac_f64_e32 v[196:197], v[6:7], v[134:135]
	v_fma_f64 v[198:199], v[4:5], v[134:135], -v[136:137]
	ds_load_b128 v[4:7], v2 offset:1136
	s_wait_loadcnt_dscnt 0xb01
	v_mul_f64_e32 v[194:195], v[186:187], v[140:141]
	v_mul_f64_e32 v[140:141], v[188:189], v[140:141]
	scratch_load_b128 v[134:137], off, off offset:336
	v_add_f64_e32 v[190:191], v[190:191], v[192:193]
	v_add_f64_e32 v[200:201], v[180:181], v[178:179]
	ds_load_b128 v[178:181], v2 offset:1152
	s_wait_loadcnt_dscnt 0xb01
	v_mul_f64_e32 v[192:193], v[4:5], v[144:145]
	v_mul_f64_e32 v[144:145], v[6:7], v[144:145]
	v_fmac_f64_e32 v[194:195], v[188:189], v[138:139]
	v_fma_f64 v[186:187], v[186:187], v[138:139], -v[140:141]
	scratch_load_b128 v[138:141], off, off offset:352
	v_add_f64_e32 v[190:191], v[190:191], v[196:197]
	v_add_f64_e32 v[188:189], v[200:201], v[198:199]
	v_fmac_f64_e32 v[192:193], v[6:7], v[142:143]
	v_fma_f64 v[198:199], v[4:5], v[142:143], -v[144:145]
	ds_load_b128 v[4:7], v2 offset:1168
	s_wait_loadcnt_dscnt 0xb01
	v_mul_f64_e32 v[196:197], v[178:179], v[148:149]
	v_mul_f64_e32 v[148:149], v[180:181], v[148:149]
	scratch_load_b128 v[142:145], off, off offset:368
	v_add_f64_e32 v[190:191], v[190:191], v[194:195]
	s_wait_loadcnt_dscnt 0xb00
	v_mul_f64_e32 v[194:195], v[4:5], v[152:153]
	v_add_f64_e32 v[200:201], v[188:189], v[186:187]
	v_mul_f64_e32 v[152:153], v[6:7], v[152:153]
	ds_load_b128 v[186:189], v2 offset:1184
	v_fmac_f64_e32 v[196:197], v[180:181], v[146:147]
	v_fma_f64 v[178:179], v[178:179], v[146:147], -v[148:149]
	scratch_load_b128 v[146:149], off, off offset:384
	v_add_f64_e32 v[190:191], v[190:191], v[192:193]
	v_fmac_f64_e32 v[194:195], v[6:7], v[150:151]
	v_add_f64_e32 v[180:181], v[200:201], v[198:199]
	v_fma_f64 v[198:199], v[4:5], v[150:151], -v[152:153]
	ds_load_b128 v[4:7], v2 offset:1200
	s_wait_loadcnt_dscnt 0xb01
	v_mul_f64_e32 v[192:193], v[186:187], v[156:157]
	v_mul_f64_e32 v[156:157], v[188:189], v[156:157]
	scratch_load_b128 v[150:153], off, off offset:400
	v_add_f64_e32 v[190:191], v[190:191], v[196:197]
	s_wait_loadcnt_dscnt 0xb00
	v_mul_f64_e32 v[196:197], v[4:5], v[160:161]
	v_add_f64_e32 v[200:201], v[180:181], v[178:179]
	v_mul_f64_e32 v[160:161], v[6:7], v[160:161]
	ds_load_b128 v[178:181], v2 offset:1216
	v_fmac_f64_e32 v[192:193], v[188:189], v[154:155]
	v_fma_f64 v[186:187], v[186:187], v[154:155], -v[156:157]
	scratch_load_b128 v[154:157], off, off offset:416
	v_add_f64_e32 v[190:191], v[190:191], v[194:195]
	v_fmac_f64_e32 v[196:197], v[6:7], v[158:159]
	v_add_f64_e32 v[188:189], v[200:201], v[198:199]
	;; [unrolled: 18-line block ×3, first 2 shown]
	v_fma_f64 v[198:199], v[4:5], v[170:171], -v[172:173]
	ds_load_b128 v[4:7], v2 offset:1264
	s_wait_loadcnt_dscnt 0xa01
	v_mul_f64_e32 v[196:197], v[186:187], v[184:185]
	v_mul_f64_e32 v[184:185], v[188:189], v[184:185]
	scratch_load_b128 v[170:173], off, off offset:464
	v_add_f64_e32 v[190:191], v[190:191], v[194:195]
	v_add_f64_e32 v[200:201], v[180:181], v[178:179]
	s_wait_loadcnt_dscnt 0xa00
	v_mul_f64_e32 v[194:195], v[4:5], v[168:169]
	v_mul_f64_e32 v[168:169], v[6:7], v[168:169]
	v_fmac_f64_e32 v[196:197], v[188:189], v[182:183]
	v_fma_f64 v[186:187], v[186:187], v[182:183], -v[184:185]
	ds_load_b128 v[178:181], v2 offset:1280
	scratch_load_b128 v[182:185], off, off offset:480
	v_add_f64_e32 v[190:191], v[190:191], v[192:193]
	v_add_f64_e32 v[188:189], v[200:201], v[198:199]
	v_fmac_f64_e32 v[194:195], v[6:7], v[166:167]
	v_fma_f64 v[198:199], v[4:5], v[166:167], -v[168:169]
	ds_load_b128 v[4:7], v2 offset:1296
	s_wait_loadcnt_dscnt 0xa01
	v_mul_f64_e32 v[192:193], v[178:179], v[12:13]
	v_mul_f64_e32 v[12:13], v[180:181], v[12:13]
	scratch_load_b128 v[166:169], off, off offset:496
	v_add_f64_e32 v[190:191], v[190:191], v[196:197]
	s_wait_loadcnt_dscnt 0xa00
	v_mul_f64_e32 v[196:197], v[4:5], v[136:137]
	v_add_f64_e32 v[200:201], v[188:189], v[186:187]
	v_mul_f64_e32 v[136:137], v[6:7], v[136:137]
	ds_load_b128 v[186:189], v2 offset:1312
	v_fmac_f64_e32 v[192:193], v[180:181], v[10:11]
	v_fma_f64 v[178:179], v[178:179], v[10:11], -v[12:13]
	scratch_load_b128 v[10:13], off, off offset:512
	v_add_f64_e32 v[190:191], v[190:191], v[194:195]
	v_fmac_f64_e32 v[196:197], v[6:7], v[134:135]
	v_add_f64_e32 v[180:181], v[200:201], v[198:199]
	v_fma_f64 v[198:199], v[4:5], v[134:135], -v[136:137]
	ds_load_b128 v[4:7], v2 offset:1328
	s_wait_loadcnt_dscnt 0xa01
	v_mul_f64_e32 v[194:195], v[186:187], v[140:141]
	v_mul_f64_e32 v[140:141], v[188:189], v[140:141]
	scratch_load_b128 v[134:137], off, off offset:528
	v_add_f64_e32 v[190:191], v[190:191], v[192:193]
	s_wait_loadcnt_dscnt 0xa00
	v_mul_f64_e32 v[192:193], v[4:5], v[144:145]
	v_add_f64_e32 v[200:201], v[180:181], v[178:179]
	v_mul_f64_e32 v[144:145], v[6:7], v[144:145]
	ds_load_b128 v[178:181], v2 offset:1344
	v_fmac_f64_e32 v[194:195], v[188:189], v[138:139]
	v_fma_f64 v[186:187], v[186:187], v[138:139], -v[140:141]
	scratch_load_b128 v[138:141], off, off offset:544
	v_add_f64_e32 v[190:191], v[190:191], v[196:197]
	v_fmac_f64_e32 v[192:193], v[6:7], v[142:143]
	v_add_f64_e32 v[188:189], v[200:201], v[198:199]
	;; [unrolled: 18-line block ×14, first 2 shown]
	v_fma_f64 v[198:199], v[4:5], v[142:143], -v[144:145]
	ds_load_b128 v[4:7], v2 offset:1744
	s_wait_loadcnt_dscnt 0xa01
	v_mul_f64_e32 v[196:197], v[178:179], v[148:149]
	v_mul_f64_e32 v[148:149], v[180:181], v[148:149]
	scratch_load_b128 v[142:145], off, off offset:944
	v_add_f64_e32 v[190:191], v[190:191], v[194:195]
	s_wait_loadcnt_dscnt 0xa00
	v_mul_f64_e32 v[194:195], v[4:5], v[152:153]
	v_add_f64_e32 v[200:201], v[188:189], v[186:187]
	v_mul_f64_e32 v[152:153], v[6:7], v[152:153]
	ds_load_b128 v[186:189], v2 offset:1760
	v_fmac_f64_e32 v[196:197], v[180:181], v[146:147]
	v_fma_f64 v[146:147], v[178:179], v[146:147], -v[148:149]
	s_wait_loadcnt_dscnt 0x900
	v_mul_f64_e32 v[180:181], v[186:187], v[156:157]
	v_mul_f64_e32 v[156:157], v[188:189], v[156:157]
	v_add_f64_e32 v[178:179], v[190:191], v[192:193]
	v_fmac_f64_e32 v[194:195], v[6:7], v[150:151]
	v_add_f64_e32 v[148:149], v[200:201], v[198:199]
	v_fma_f64 v[150:151], v[4:5], v[150:151], -v[152:153]
	v_fmac_f64_e32 v[180:181], v[188:189], v[154:155]
	v_fma_f64 v[154:155], v[186:187], v[154:155], -v[156:157]
	v_add_f64_e32 v[178:179], v[178:179], v[196:197]
	v_add_f64_e32 v[152:153], v[148:149], v[146:147]
	ds_load_b128 v[4:7], v2 offset:1776
	ds_load_b128 v[146:149], v2 offset:1792
	s_wait_loadcnt_dscnt 0x801
	v_mul_f64_e32 v[190:191], v[4:5], v[160:161]
	v_mul_f64_e32 v[160:161], v[6:7], v[160:161]
	s_wait_loadcnt_dscnt 0x700
	v_mul_f64_e32 v[156:157], v[146:147], v[164:165]
	v_mul_f64_e32 v[164:165], v[148:149], v[164:165]
	v_add_f64_e32 v[150:151], v[152:153], v[150:151]
	v_add_f64_e32 v[152:153], v[178:179], v[194:195]
	v_fmac_f64_e32 v[190:191], v[6:7], v[158:159]
	v_fma_f64 v[158:159], v[4:5], v[158:159], -v[160:161]
	v_fmac_f64_e32 v[156:157], v[148:149], v[162:163]
	v_fma_f64 v[146:147], v[146:147], v[162:163], -v[164:165]
	v_add_f64_e32 v[154:155], v[150:151], v[154:155]
	v_add_f64_e32 v[160:161], v[152:153], v[180:181]
	ds_load_b128 v[4:7], v2 offset:1808
	ds_load_b128 v[150:153], v2 offset:1824
	s_wait_loadcnt_dscnt 0x601
	v_mul_f64_e32 v[178:179], v[4:5], v[172:173]
	v_mul_f64_e32 v[172:173], v[6:7], v[172:173]
	v_add_f64_e32 v[148:149], v[154:155], v[158:159]
	v_add_f64_e32 v[154:155], v[160:161], v[190:191]
	s_wait_loadcnt_dscnt 0x500
	v_mul_f64_e32 v[158:159], v[150:151], v[184:185]
	v_mul_f64_e32 v[160:161], v[152:153], v[184:185]
	v_fmac_f64_e32 v[178:179], v[6:7], v[170:171]
	v_fma_f64 v[162:163], v[4:5], v[170:171], -v[172:173]
	v_add_f64_e32 v[164:165], v[148:149], v[146:147]
	v_add_f64_e32 v[154:155], v[154:155], v[156:157]
	ds_load_b128 v[4:7], v2 offset:1840
	ds_load_b128 v[146:149], v2 offset:1856
	v_fmac_f64_e32 v[158:159], v[152:153], v[182:183]
	v_fma_f64 v[150:151], v[150:151], v[182:183], -v[160:161]
	s_wait_loadcnt_dscnt 0x401
	v_mul_f64_e32 v[156:157], v[4:5], v[168:169]
	v_mul_f64_e32 v[168:169], v[6:7], v[168:169]
	s_wait_loadcnt_dscnt 0x300
	v_mul_f64_e32 v[160:161], v[146:147], v[12:13]
	v_mul_f64_e32 v[12:13], v[148:149], v[12:13]
	v_add_f64_e32 v[152:153], v[164:165], v[162:163]
	v_add_f64_e32 v[154:155], v[154:155], v[178:179]
	v_fmac_f64_e32 v[156:157], v[6:7], v[166:167]
	v_fma_f64 v[162:163], v[4:5], v[166:167], -v[168:169]
	v_fmac_f64_e32 v[160:161], v[148:149], v[10:11]
	v_fma_f64 v[10:11], v[146:147], v[10:11], -v[12:13]
	v_add_f64_e32 v[164:165], v[152:153], v[150:151]
	v_add_f64_e32 v[154:155], v[154:155], v[158:159]
	ds_load_b128 v[4:7], v2 offset:1872
	ds_load_b128 v[150:153], v2 offset:1888
	s_wait_loadcnt_dscnt 0x201
	v_mul_f64_e32 v[158:159], v[4:5], v[136:137]
	v_mul_f64_e32 v[136:137], v[6:7], v[136:137]
	s_wait_loadcnt_dscnt 0x100
	v_mul_f64_e32 v[148:149], v[150:151], v[140:141]
	v_mul_f64_e32 v[140:141], v[152:153], v[140:141]
	v_add_f64_e32 v[12:13], v[164:165], v[162:163]
	v_add_f64_e32 v[146:147], v[154:155], v[156:157]
	v_fmac_f64_e32 v[158:159], v[6:7], v[134:135]
	v_fma_f64 v[134:135], v[4:5], v[134:135], -v[136:137]
	ds_load_b128 v[4:7], v2 offset:1904
	v_fmac_f64_e32 v[148:149], v[152:153], v[138:139]
	v_fma_f64 v[138:139], v[150:151], v[138:139], -v[140:141]
	v_add_f64_e32 v[10:11], v[12:13], v[10:11]
	v_add_f64_e32 v[12:13], v[146:147], v[160:161]
	s_wait_loadcnt_dscnt 0x0
	v_mul_f64_e32 v[136:137], v[4:5], v[144:145]
	v_mul_f64_e32 v[144:145], v[6:7], v[144:145]
	s_delay_alu instid0(VALU_DEP_4) | instskip(NEXT) | instid1(VALU_DEP_4)
	v_add_f64_e32 v[10:11], v[10:11], v[134:135]
	v_add_f64_e32 v[12:13], v[12:13], v[158:159]
	s_delay_alu instid0(VALU_DEP_4) | instskip(NEXT) | instid1(VALU_DEP_4)
	v_fmac_f64_e32 v[136:137], v[6:7], v[142:143]
	v_fma_f64 v[4:5], v[4:5], v[142:143], -v[144:145]
	s_delay_alu instid0(VALU_DEP_4) | instskip(NEXT) | instid1(VALU_DEP_4)
	v_add_f64_e32 v[6:7], v[10:11], v[138:139]
	v_add_f64_e32 v[10:11], v[12:13], v[148:149]
	s_delay_alu instid0(VALU_DEP_2) | instskip(NEXT) | instid1(VALU_DEP_2)
	v_add_f64_e32 v[4:5], v[6:7], v[4:5]
	v_add_f64_e32 v[6:7], v[10:11], v[136:137]
	s_delay_alu instid0(VALU_DEP_2) | instskip(NEXT) | instid1(VALU_DEP_2)
	v_add_f64_e64 v[4:5], v[174:175], -v[4:5]
	v_add_f64_e64 v[6:7], v[176:177], -v[6:7]
	scratch_store_b128 off, v[4:7], off offset:96
	s_wait_xcnt 0x0
	v_cmpx_lt_u32_e32 5, v1
	s_cbranch_execz .LBB123_363
; %bb.362:
	scratch_load_b128 v[10:13], off, s71
	v_dual_mov_b32 v3, v2 :: v_dual_mov_b32 v4, v2
	v_mov_b32_e32 v5, v2
	scratch_store_b128 off, v[2:5], off offset:80
	s_wait_loadcnt 0x0
	ds_store_b128 v8, v[10:13]
.LBB123_363:
	s_wait_xcnt 0x0
	s_or_b32 exec_lo, exec_lo, s2
	s_wait_storecnt_dscnt 0x0
	s_barrier_signal -1
	s_barrier_wait -1
	s_clause 0x9
	scratch_load_b128 v[4:7], off, off offset:96
	scratch_load_b128 v[10:13], off, off offset:112
	;; [unrolled: 1-line block ×10, first 2 shown]
	ds_load_b128 v[166:169], v2 offset:1056
	ds_load_b128 v[174:177], v2 offset:1072
	s_clause 0x2
	scratch_load_b128 v[170:173], off, off offset:256
	scratch_load_b128 v[178:181], off, off offset:80
	;; [unrolled: 1-line block ×3, first 2 shown]
	s_mov_b32 s2, exec_lo
	s_wait_loadcnt_dscnt 0xc01
	v_mul_f64_e32 v[186:187], v[168:169], v[6:7]
	v_mul_f64_e32 v[190:191], v[166:167], v[6:7]
	s_wait_loadcnt_dscnt 0xb00
	v_mul_f64_e32 v[192:193], v[174:175], v[12:13]
	v_mul_f64_e32 v[12:13], v[176:177], v[12:13]
	s_delay_alu instid0(VALU_DEP_4) | instskip(NEXT) | instid1(VALU_DEP_4)
	v_fma_f64 v[194:195], v[166:167], v[4:5], -v[186:187]
	v_fmac_f64_e32 v[190:191], v[168:169], v[4:5]
	ds_load_b128 v[4:7], v2 offset:1088
	ds_load_b128 v[166:169], v2 offset:1104
	scratch_load_b128 v[186:189], off, off offset:288
	v_fmac_f64_e32 v[192:193], v[176:177], v[10:11]
	v_fma_f64 v[174:175], v[174:175], v[10:11], -v[12:13]
	scratch_load_b128 v[10:13], off, off offset:304
	s_wait_loadcnt_dscnt 0xc01
	v_mul_f64_e32 v[196:197], v[4:5], v[136:137]
	v_mul_f64_e32 v[136:137], v[6:7], v[136:137]
	v_add_f64_e32 v[176:177], 0, v[194:195]
	v_add_f64_e32 v[190:191], 0, v[190:191]
	s_wait_loadcnt_dscnt 0xb00
	v_mul_f64_e32 v[194:195], v[166:167], v[140:141]
	v_mul_f64_e32 v[140:141], v[168:169], v[140:141]
	v_fmac_f64_e32 v[196:197], v[6:7], v[134:135]
	v_fma_f64 v[198:199], v[4:5], v[134:135], -v[136:137]
	ds_load_b128 v[4:7], v2 offset:1120
	ds_load_b128 v[134:137], v2 offset:1136
	v_add_f64_e32 v[200:201], v[176:177], v[174:175]
	v_add_f64_e32 v[190:191], v[190:191], v[192:193]
	scratch_load_b128 v[174:177], off, off offset:320
	v_fmac_f64_e32 v[194:195], v[168:169], v[138:139]
	v_fma_f64 v[166:167], v[166:167], v[138:139], -v[140:141]
	scratch_load_b128 v[138:141], off, off offset:336
	s_wait_loadcnt_dscnt 0xc01
	v_mul_f64_e32 v[192:193], v[4:5], v[144:145]
	v_mul_f64_e32 v[144:145], v[6:7], v[144:145]
	v_add_f64_e32 v[168:169], v[200:201], v[198:199]
	v_add_f64_e32 v[190:191], v[190:191], v[196:197]
	s_wait_loadcnt_dscnt 0xb00
	v_mul_f64_e32 v[196:197], v[134:135], v[148:149]
	v_mul_f64_e32 v[148:149], v[136:137], v[148:149]
	v_fmac_f64_e32 v[192:193], v[6:7], v[142:143]
	v_fma_f64 v[198:199], v[4:5], v[142:143], -v[144:145]
	ds_load_b128 v[4:7], v2 offset:1152
	ds_load_b128 v[142:145], v2 offset:1168
	v_add_f64_e32 v[200:201], v[168:169], v[166:167]
	v_add_f64_e32 v[190:191], v[190:191], v[194:195]
	scratch_load_b128 v[166:169], off, off offset:352
	s_wait_loadcnt_dscnt 0xb01
	v_mul_f64_e32 v[194:195], v[4:5], v[152:153]
	v_mul_f64_e32 v[152:153], v[6:7], v[152:153]
	v_fmac_f64_e32 v[196:197], v[136:137], v[146:147]
	v_fma_f64 v[146:147], v[134:135], v[146:147], -v[148:149]
	scratch_load_b128 v[134:137], off, off offset:368
	v_add_f64_e32 v[148:149], v[200:201], v[198:199]
	v_add_f64_e32 v[190:191], v[190:191], v[192:193]
	s_wait_loadcnt_dscnt 0xb00
	v_mul_f64_e32 v[192:193], v[142:143], v[156:157]
	v_mul_f64_e32 v[156:157], v[144:145], v[156:157]
	v_fmac_f64_e32 v[194:195], v[6:7], v[150:151]
	v_fma_f64 v[198:199], v[4:5], v[150:151], -v[152:153]
	v_add_f64_e32 v[200:201], v[148:149], v[146:147]
	v_add_f64_e32 v[190:191], v[190:191], v[196:197]
	ds_load_b128 v[4:7], v2 offset:1184
	ds_load_b128 v[146:149], v2 offset:1200
	scratch_load_b128 v[150:153], off, off offset:384
	v_fmac_f64_e32 v[192:193], v[144:145], v[154:155]
	v_fma_f64 v[154:155], v[142:143], v[154:155], -v[156:157]
	scratch_load_b128 v[142:145], off, off offset:400
	s_wait_loadcnt_dscnt 0xc01
	v_mul_f64_e32 v[196:197], v[4:5], v[160:161]
	v_mul_f64_e32 v[160:161], v[6:7], v[160:161]
	v_add_f64_e32 v[156:157], v[200:201], v[198:199]
	v_add_f64_e32 v[190:191], v[190:191], v[194:195]
	s_wait_loadcnt_dscnt 0xb00
	v_mul_f64_e32 v[194:195], v[146:147], v[164:165]
	v_mul_f64_e32 v[164:165], v[148:149], v[164:165]
	v_fmac_f64_e32 v[196:197], v[6:7], v[158:159]
	v_fma_f64 v[198:199], v[4:5], v[158:159], -v[160:161]
	v_add_f64_e32 v[200:201], v[156:157], v[154:155]
	v_add_f64_e32 v[190:191], v[190:191], v[192:193]
	ds_load_b128 v[4:7], v2 offset:1216
	ds_load_b128 v[154:157], v2 offset:1232
	scratch_load_b128 v[158:161], off, off offset:416
	v_fmac_f64_e32 v[194:195], v[148:149], v[162:163]
	v_fma_f64 v[162:163], v[146:147], v[162:163], -v[164:165]
	scratch_load_b128 v[146:149], off, off offset:432
	s_wait_loadcnt_dscnt 0xc01
	v_mul_f64_e32 v[192:193], v[4:5], v[172:173]
	v_mul_f64_e32 v[172:173], v[6:7], v[172:173]
	;; [unrolled: 18-line block ×5, first 2 shown]
	v_add_f64_e32 v[184:185], v[200:201], v[198:199]
	v_add_f64_e32 v[190:191], v[190:191], v[196:197]
	s_wait_loadcnt_dscnt 0xa00
	v_mul_f64_e32 v[196:197], v[162:163], v[136:137]
	v_mul_f64_e32 v[136:137], v[164:165], v[136:137]
	v_fmac_f64_e32 v[192:193], v[6:7], v[166:167]
	v_fma_f64 v[198:199], v[4:5], v[166:167], -v[168:169]
	ds_load_b128 v[4:7], v2 offset:1344
	ds_load_b128 v[166:169], v2 offset:1360
	v_add_f64_e32 v[200:201], v[184:185], v[182:183]
	v_add_f64_e32 v[190:191], v[190:191], v[194:195]
	scratch_load_b128 v[182:185], off, off offset:544
	v_fmac_f64_e32 v[196:197], v[164:165], v[134:135]
	v_fma_f64 v[162:163], v[162:163], v[134:135], -v[136:137]
	scratch_load_b128 v[134:137], off, off offset:560
	s_wait_loadcnt_dscnt 0xb01
	v_mul_f64_e32 v[194:195], v[4:5], v[152:153]
	v_mul_f64_e32 v[152:153], v[6:7], v[152:153]
	v_add_f64_e32 v[164:165], v[200:201], v[198:199]
	v_add_f64_e32 v[190:191], v[190:191], v[192:193]
	s_wait_loadcnt_dscnt 0xa00
	v_mul_f64_e32 v[192:193], v[166:167], v[144:145]
	v_mul_f64_e32 v[144:145], v[168:169], v[144:145]
	v_fmac_f64_e32 v[194:195], v[6:7], v[150:151]
	v_fma_f64 v[198:199], v[4:5], v[150:151], -v[152:153]
	ds_load_b128 v[4:7], v2 offset:1376
	ds_load_b128 v[150:153], v2 offset:1392
	v_add_f64_e32 v[200:201], v[164:165], v[162:163]
	v_add_f64_e32 v[190:191], v[190:191], v[196:197]
	scratch_load_b128 v[162:165], off, off offset:576
	s_wait_loadcnt_dscnt 0xa01
	v_mul_f64_e32 v[196:197], v[4:5], v[160:161]
	v_mul_f64_e32 v[160:161], v[6:7], v[160:161]
	v_fmac_f64_e32 v[192:193], v[168:169], v[142:143]
	v_fma_f64 v[166:167], v[166:167], v[142:143], -v[144:145]
	scratch_load_b128 v[142:145], off, off offset:592
	v_add_f64_e32 v[168:169], v[200:201], v[198:199]
	v_add_f64_e32 v[190:191], v[190:191], v[194:195]
	s_wait_loadcnt_dscnt 0xa00
	v_mul_f64_e32 v[194:195], v[150:151], v[148:149]
	v_mul_f64_e32 v[148:149], v[152:153], v[148:149]
	v_fmac_f64_e32 v[196:197], v[6:7], v[158:159]
	v_fma_f64 v[198:199], v[4:5], v[158:159], -v[160:161]
	ds_load_b128 v[4:7], v2 offset:1408
	ds_load_b128 v[158:161], v2 offset:1424
	v_add_f64_e32 v[200:201], v[168:169], v[166:167]
	v_add_f64_e32 v[190:191], v[190:191], v[192:193]
	scratch_load_b128 v[166:169], off, off offset:608
	s_wait_loadcnt_dscnt 0xa01
	v_mul_f64_e32 v[192:193], v[4:5], v[172:173]
	v_mul_f64_e32 v[172:173], v[6:7], v[172:173]
	v_fmac_f64_e32 v[194:195], v[152:153], v[146:147]
	v_fma_f64 v[150:151], v[150:151], v[146:147], -v[148:149]
	scratch_load_b128 v[146:149], off, off offset:624
	v_add_f64_e32 v[152:153], v[200:201], v[198:199]
	v_add_f64_e32 v[190:191], v[190:191], v[196:197]
	s_wait_loadcnt_dscnt 0xa00
	v_mul_f64_e32 v[196:197], v[158:159], v[156:157]
	v_mul_f64_e32 v[156:157], v[160:161], v[156:157]
	v_fmac_f64_e32 v[192:193], v[6:7], v[170:171]
	v_fma_f64 v[198:199], v[4:5], v[170:171], -v[172:173]
	v_add_f64_e32 v[200:201], v[152:153], v[150:151]
	v_add_f64_e32 v[190:191], v[190:191], v[194:195]
	ds_load_b128 v[4:7], v2 offset:1440
	ds_load_b128 v[150:153], v2 offset:1456
	scratch_load_b128 v[170:173], off, off offset:640
	v_fmac_f64_e32 v[196:197], v[160:161], v[154:155]
	v_fma_f64 v[158:159], v[158:159], v[154:155], -v[156:157]
	scratch_load_b128 v[154:157], off, off offset:656
	s_wait_loadcnt_dscnt 0xb01
	v_mul_f64_e32 v[194:195], v[4:5], v[188:189]
	v_mul_f64_e32 v[188:189], v[6:7], v[188:189]
	v_add_f64_e32 v[160:161], v[200:201], v[198:199]
	v_add_f64_e32 v[190:191], v[190:191], v[192:193]
	s_wait_loadcnt_dscnt 0xa00
	v_mul_f64_e32 v[192:193], v[150:151], v[12:13]
	v_mul_f64_e32 v[12:13], v[152:153], v[12:13]
	v_fmac_f64_e32 v[194:195], v[6:7], v[186:187]
	v_fma_f64 v[198:199], v[4:5], v[186:187], -v[188:189]
	v_add_f64_e32 v[200:201], v[160:161], v[158:159]
	v_add_f64_e32 v[190:191], v[190:191], v[196:197]
	ds_load_b128 v[4:7], v2 offset:1472
	ds_load_b128 v[158:161], v2 offset:1488
	scratch_load_b128 v[186:189], off, off offset:672
	v_fmac_f64_e32 v[192:193], v[152:153], v[10:11]
	v_fma_f64 v[150:151], v[150:151], v[10:11], -v[12:13]
	scratch_load_b128 v[10:13], off, off offset:688
	s_wait_loadcnt_dscnt 0xb01
	v_mul_f64_e32 v[196:197], v[4:5], v[176:177]
	v_mul_f64_e32 v[176:177], v[6:7], v[176:177]
	;; [unrolled: 18-line block ×10, first 2 shown]
	v_add_f64_e32 v[152:153], v[200:201], v[198:199]
	v_add_f64_e32 v[190:191], v[190:191], v[192:193]
	s_wait_loadcnt_dscnt 0xa00
	v_mul_f64_e32 v[192:193], v[158:159], v[144:145]
	v_mul_f64_e32 v[144:145], v[160:161], v[144:145]
	v_fmac_f64_e32 v[194:195], v[6:7], v[162:163]
	v_fma_f64 v[162:163], v[4:5], v[162:163], -v[164:165]
	v_add_f64_e32 v[164:165], v[152:153], v[150:151]
	v_add_f64_e32 v[190:191], v[190:191], v[196:197]
	ds_load_b128 v[4:7], v2 offset:1760
	ds_load_b128 v[150:153], v2 offset:1776
	v_fmac_f64_e32 v[192:193], v[160:161], v[142:143]
	v_fma_f64 v[142:143], v[158:159], v[142:143], -v[144:145]
	s_wait_loadcnt_dscnt 0x901
	v_mul_f64_e32 v[196:197], v[4:5], v[168:169]
	v_mul_f64_e32 v[168:169], v[6:7], v[168:169]
	s_wait_loadcnt_dscnt 0x800
	v_mul_f64_e32 v[160:161], v[150:151], v[148:149]
	v_mul_f64_e32 v[148:149], v[152:153], v[148:149]
	v_add_f64_e32 v[144:145], v[164:165], v[162:163]
	v_add_f64_e32 v[158:159], v[190:191], v[194:195]
	v_fmac_f64_e32 v[196:197], v[6:7], v[166:167]
	v_fma_f64 v[162:163], v[4:5], v[166:167], -v[168:169]
	v_fmac_f64_e32 v[160:161], v[152:153], v[146:147]
	v_fma_f64 v[146:147], v[150:151], v[146:147], -v[148:149]
	v_add_f64_e32 v[164:165], v[144:145], v[142:143]
	v_add_f64_e32 v[158:159], v[158:159], v[192:193]
	ds_load_b128 v[4:7], v2 offset:1792
	ds_load_b128 v[142:145], v2 offset:1808
	s_wait_loadcnt_dscnt 0x701
	v_mul_f64_e32 v[166:167], v[4:5], v[172:173]
	v_mul_f64_e32 v[168:169], v[6:7], v[172:173]
	s_wait_loadcnt_dscnt 0x600
	v_mul_f64_e32 v[152:153], v[142:143], v[156:157]
	v_mul_f64_e32 v[156:157], v[144:145], v[156:157]
	v_add_f64_e32 v[148:149], v[164:165], v[162:163]
	v_add_f64_e32 v[150:151], v[158:159], v[196:197]
	v_fmac_f64_e32 v[166:167], v[6:7], v[170:171]
	v_fma_f64 v[158:159], v[4:5], v[170:171], -v[168:169]
	v_fmac_f64_e32 v[152:153], v[144:145], v[154:155]
	v_fma_f64 v[142:143], v[142:143], v[154:155], -v[156:157]
	v_add_f64_e32 v[162:163], v[148:149], v[146:147]
	v_add_f64_e32 v[150:151], v[150:151], v[160:161]
	ds_load_b128 v[4:7], v2 offset:1824
	ds_load_b128 v[146:149], v2 offset:1840
	;; [unrolled: 16-line block ×4, first 2 shown]
	s_wait_loadcnt_dscnt 0x101
	v_mul_f64_e32 v[2:3], v[4:5], v[184:185]
	v_mul_f64_e32 v[154:155], v[6:7], v[184:185]
	s_wait_loadcnt_dscnt 0x0
	v_mul_f64_e32 v[144:145], v[10:11], v[136:137]
	v_mul_f64_e32 v[136:137], v[12:13], v[136:137]
	v_add_f64_e32 v[140:141], v[156:157], v[150:151]
	v_add_f64_e32 v[142:143], v[146:147], v[152:153]
	v_fmac_f64_e32 v[2:3], v[6:7], v[182:183]
	v_fma_f64 v[4:5], v[4:5], v[182:183], -v[154:155]
	v_fmac_f64_e32 v[144:145], v[12:13], v[134:135]
	v_fma_f64 v[10:11], v[10:11], v[134:135], -v[136:137]
	v_add_f64_e32 v[6:7], v[140:141], v[138:139]
	v_add_f64_e32 v[138:139], v[142:143], v[148:149]
	s_delay_alu instid0(VALU_DEP_2) | instskip(NEXT) | instid1(VALU_DEP_2)
	v_add_f64_e32 v[4:5], v[6:7], v[4:5]
	v_add_f64_e32 v[2:3], v[138:139], v[2:3]
	s_delay_alu instid0(VALU_DEP_2) | instskip(NEXT) | instid1(VALU_DEP_2)
	;; [unrolled: 3-line block ×3, first 2 shown]
	v_add_f64_e64 v[2:3], v[178:179], -v[4:5]
	v_add_f64_e64 v[4:5], v[180:181], -v[6:7]
	scratch_store_b128 off, v[2:5], off offset:80
	s_wait_xcnt 0x0
	v_cmpx_lt_u32_e32 4, v1
	s_cbranch_execz .LBB123_365
; %bb.364:
	scratch_load_b128 v[2:5], off, s12
	v_mov_b32_e32 v10, 0
	s_delay_alu instid0(VALU_DEP_1)
	v_dual_mov_b32 v11, v10 :: v_dual_mov_b32 v12, v10
	v_mov_b32_e32 v13, v10
	scratch_store_b128 off, v[10:13], off offset:64
	s_wait_loadcnt 0x0
	ds_store_b128 v8, v[2:5]
.LBB123_365:
	s_wait_xcnt 0x0
	s_or_b32 exec_lo, exec_lo, s2
	s_wait_storecnt_dscnt 0x0
	s_barrier_signal -1
	s_barrier_wait -1
	s_clause 0x9
	scratch_load_b128 v[4:7], off, off offset:80
	scratch_load_b128 v[10:13], off, off offset:96
	;; [unrolled: 1-line block ×10, first 2 shown]
	v_mov_b32_e32 v2, 0
	s_mov_b32 s2, exec_lo
	ds_load_b128 v[166:169], v2 offset:1040
	s_clause 0x2
	scratch_load_b128 v[170:173], off, off offset:240
	scratch_load_b128 v[174:177], off, off offset:64
	;; [unrolled: 1-line block ×3, first 2 shown]
	s_wait_loadcnt_dscnt 0xc00
	v_mul_f64_e32 v[186:187], v[168:169], v[6:7]
	v_mul_f64_e32 v[190:191], v[166:167], v[6:7]
	ds_load_b128 v[178:181], v2 offset:1056
	v_fma_f64 v[194:195], v[166:167], v[4:5], -v[186:187]
	v_fmac_f64_e32 v[190:191], v[168:169], v[4:5]
	ds_load_b128 v[4:7], v2 offset:1072
	s_wait_loadcnt_dscnt 0xb01
	v_mul_f64_e32 v[192:193], v[178:179], v[12:13]
	v_mul_f64_e32 v[12:13], v[180:181], v[12:13]
	scratch_load_b128 v[166:169], off, off offset:272
	ds_load_b128 v[186:189], v2 offset:1088
	s_wait_loadcnt_dscnt 0xb01
	v_mul_f64_e32 v[196:197], v[4:5], v[136:137]
	v_mul_f64_e32 v[136:137], v[6:7], v[136:137]
	v_add_f64_e32 v[190:191], 0, v[190:191]
	v_fmac_f64_e32 v[192:193], v[180:181], v[10:11]
	v_fma_f64 v[178:179], v[178:179], v[10:11], -v[12:13]
	v_add_f64_e32 v[180:181], 0, v[194:195]
	scratch_load_b128 v[10:13], off, off offset:288
	v_fmac_f64_e32 v[196:197], v[6:7], v[134:135]
	v_fma_f64 v[198:199], v[4:5], v[134:135], -v[136:137]
	ds_load_b128 v[4:7], v2 offset:1104
	s_wait_loadcnt_dscnt 0xb01
	v_mul_f64_e32 v[194:195], v[186:187], v[140:141]
	v_mul_f64_e32 v[140:141], v[188:189], v[140:141]
	scratch_load_b128 v[134:137], off, off offset:304
	v_add_f64_e32 v[190:191], v[190:191], v[192:193]
	v_add_f64_e32 v[200:201], v[180:181], v[178:179]
	ds_load_b128 v[178:181], v2 offset:1120
	s_wait_loadcnt_dscnt 0xb01
	v_mul_f64_e32 v[192:193], v[4:5], v[144:145]
	v_mul_f64_e32 v[144:145], v[6:7], v[144:145]
	v_fmac_f64_e32 v[194:195], v[188:189], v[138:139]
	v_fma_f64 v[186:187], v[186:187], v[138:139], -v[140:141]
	scratch_load_b128 v[138:141], off, off offset:320
	v_add_f64_e32 v[190:191], v[190:191], v[196:197]
	v_add_f64_e32 v[188:189], v[200:201], v[198:199]
	v_fmac_f64_e32 v[192:193], v[6:7], v[142:143]
	v_fma_f64 v[198:199], v[4:5], v[142:143], -v[144:145]
	ds_load_b128 v[4:7], v2 offset:1136
	s_wait_loadcnt_dscnt 0xb01
	v_mul_f64_e32 v[196:197], v[178:179], v[148:149]
	v_mul_f64_e32 v[148:149], v[180:181], v[148:149]
	scratch_load_b128 v[142:145], off, off offset:336
	v_add_f64_e32 v[190:191], v[190:191], v[194:195]
	s_wait_loadcnt_dscnt 0xb00
	v_mul_f64_e32 v[194:195], v[4:5], v[152:153]
	v_add_f64_e32 v[200:201], v[188:189], v[186:187]
	v_mul_f64_e32 v[152:153], v[6:7], v[152:153]
	ds_load_b128 v[186:189], v2 offset:1152
	v_fmac_f64_e32 v[196:197], v[180:181], v[146:147]
	v_fma_f64 v[178:179], v[178:179], v[146:147], -v[148:149]
	scratch_load_b128 v[146:149], off, off offset:352
	v_add_f64_e32 v[190:191], v[190:191], v[192:193]
	v_fmac_f64_e32 v[194:195], v[6:7], v[150:151]
	v_add_f64_e32 v[180:181], v[200:201], v[198:199]
	v_fma_f64 v[198:199], v[4:5], v[150:151], -v[152:153]
	ds_load_b128 v[4:7], v2 offset:1168
	s_wait_loadcnt_dscnt 0xb01
	v_mul_f64_e32 v[192:193], v[186:187], v[156:157]
	v_mul_f64_e32 v[156:157], v[188:189], v[156:157]
	scratch_load_b128 v[150:153], off, off offset:368
	v_add_f64_e32 v[190:191], v[190:191], v[196:197]
	s_wait_loadcnt_dscnt 0xb00
	v_mul_f64_e32 v[196:197], v[4:5], v[160:161]
	v_add_f64_e32 v[200:201], v[180:181], v[178:179]
	v_mul_f64_e32 v[160:161], v[6:7], v[160:161]
	ds_load_b128 v[178:181], v2 offset:1184
	v_fmac_f64_e32 v[192:193], v[188:189], v[154:155]
	v_fma_f64 v[186:187], v[186:187], v[154:155], -v[156:157]
	scratch_load_b128 v[154:157], off, off offset:384
	v_add_f64_e32 v[190:191], v[190:191], v[194:195]
	v_fmac_f64_e32 v[196:197], v[6:7], v[158:159]
	v_add_f64_e32 v[188:189], v[200:201], v[198:199]
	v_fma_f64 v[198:199], v[4:5], v[158:159], -v[160:161]
	ds_load_b128 v[4:7], v2 offset:1200
	s_wait_loadcnt_dscnt 0xb01
	v_mul_f64_e32 v[194:195], v[178:179], v[164:165]
	v_mul_f64_e32 v[164:165], v[180:181], v[164:165]
	scratch_load_b128 v[158:161], off, off offset:400
	v_add_f64_e32 v[190:191], v[190:191], v[192:193]
	s_wait_loadcnt_dscnt 0xb00
	v_mul_f64_e32 v[192:193], v[4:5], v[172:173]
	v_add_f64_e32 v[200:201], v[188:189], v[186:187]
	v_mul_f64_e32 v[172:173], v[6:7], v[172:173]
	ds_load_b128 v[186:189], v2 offset:1216
	v_fmac_f64_e32 v[194:195], v[180:181], v[162:163]
	v_fma_f64 v[178:179], v[178:179], v[162:163], -v[164:165]
	scratch_load_b128 v[162:165], off, off offset:416
	v_add_f64_e32 v[190:191], v[190:191], v[196:197]
	v_fmac_f64_e32 v[192:193], v[6:7], v[170:171]
	v_add_f64_e32 v[180:181], v[200:201], v[198:199]
	v_fma_f64 v[198:199], v[4:5], v[170:171], -v[172:173]
	ds_load_b128 v[4:7], v2 offset:1232
	s_wait_loadcnt_dscnt 0xa01
	v_mul_f64_e32 v[196:197], v[186:187], v[184:185]
	v_mul_f64_e32 v[184:185], v[188:189], v[184:185]
	scratch_load_b128 v[170:173], off, off offset:432
	v_add_f64_e32 v[190:191], v[190:191], v[194:195]
	v_add_f64_e32 v[200:201], v[180:181], v[178:179]
	s_wait_loadcnt_dscnt 0xa00
	v_mul_f64_e32 v[194:195], v[4:5], v[168:169]
	v_mul_f64_e32 v[168:169], v[6:7], v[168:169]
	v_fmac_f64_e32 v[196:197], v[188:189], v[182:183]
	v_fma_f64 v[186:187], v[186:187], v[182:183], -v[184:185]
	ds_load_b128 v[178:181], v2 offset:1248
	scratch_load_b128 v[182:185], off, off offset:448
	v_add_f64_e32 v[190:191], v[190:191], v[192:193]
	v_add_f64_e32 v[188:189], v[200:201], v[198:199]
	v_fmac_f64_e32 v[194:195], v[6:7], v[166:167]
	v_fma_f64 v[198:199], v[4:5], v[166:167], -v[168:169]
	ds_load_b128 v[4:7], v2 offset:1264
	s_wait_loadcnt_dscnt 0xa01
	v_mul_f64_e32 v[192:193], v[178:179], v[12:13]
	v_mul_f64_e32 v[12:13], v[180:181], v[12:13]
	scratch_load_b128 v[166:169], off, off offset:464
	v_add_f64_e32 v[190:191], v[190:191], v[196:197]
	s_wait_loadcnt_dscnt 0xa00
	v_mul_f64_e32 v[196:197], v[4:5], v[136:137]
	v_add_f64_e32 v[200:201], v[188:189], v[186:187]
	v_mul_f64_e32 v[136:137], v[6:7], v[136:137]
	ds_load_b128 v[186:189], v2 offset:1280
	v_fmac_f64_e32 v[192:193], v[180:181], v[10:11]
	v_fma_f64 v[178:179], v[178:179], v[10:11], -v[12:13]
	scratch_load_b128 v[10:13], off, off offset:480
	v_add_f64_e32 v[190:191], v[190:191], v[194:195]
	v_fmac_f64_e32 v[196:197], v[6:7], v[134:135]
	v_add_f64_e32 v[180:181], v[200:201], v[198:199]
	v_fma_f64 v[198:199], v[4:5], v[134:135], -v[136:137]
	ds_load_b128 v[4:7], v2 offset:1296
	s_wait_loadcnt_dscnt 0xa01
	v_mul_f64_e32 v[194:195], v[186:187], v[140:141]
	v_mul_f64_e32 v[140:141], v[188:189], v[140:141]
	scratch_load_b128 v[134:137], off, off offset:496
	v_add_f64_e32 v[190:191], v[190:191], v[192:193]
	s_wait_loadcnt_dscnt 0xa00
	v_mul_f64_e32 v[192:193], v[4:5], v[144:145]
	v_add_f64_e32 v[200:201], v[180:181], v[178:179]
	v_mul_f64_e32 v[144:145], v[6:7], v[144:145]
	ds_load_b128 v[178:181], v2 offset:1312
	v_fmac_f64_e32 v[194:195], v[188:189], v[138:139]
	v_fma_f64 v[186:187], v[186:187], v[138:139], -v[140:141]
	scratch_load_b128 v[138:141], off, off offset:512
	v_add_f64_e32 v[190:191], v[190:191], v[196:197]
	v_fmac_f64_e32 v[192:193], v[6:7], v[142:143]
	v_add_f64_e32 v[188:189], v[200:201], v[198:199]
	;; [unrolled: 18-line block ×15, first 2 shown]
	v_fma_f64 v[198:199], v[4:5], v[150:151], -v[152:153]
	ds_load_b128 v[4:7], v2 offset:1744
	s_wait_loadcnt_dscnt 0xa01
	v_mul_f64_e32 v[192:193], v[186:187], v[156:157]
	v_mul_f64_e32 v[156:157], v[188:189], v[156:157]
	scratch_load_b128 v[150:153], off, off offset:944
	v_add_f64_e32 v[190:191], v[190:191], v[196:197]
	s_wait_loadcnt_dscnt 0xa00
	v_mul_f64_e32 v[196:197], v[4:5], v[160:161]
	v_add_f64_e32 v[200:201], v[180:181], v[178:179]
	v_mul_f64_e32 v[160:161], v[6:7], v[160:161]
	ds_load_b128 v[178:181], v2 offset:1760
	v_fmac_f64_e32 v[192:193], v[188:189], v[154:155]
	v_fma_f64 v[154:155], v[186:187], v[154:155], -v[156:157]
	s_wait_loadcnt_dscnt 0x900
	v_mul_f64_e32 v[188:189], v[178:179], v[164:165]
	v_mul_f64_e32 v[164:165], v[180:181], v[164:165]
	v_add_f64_e32 v[186:187], v[190:191], v[194:195]
	v_fmac_f64_e32 v[196:197], v[6:7], v[158:159]
	v_add_f64_e32 v[156:157], v[200:201], v[198:199]
	v_fma_f64 v[158:159], v[4:5], v[158:159], -v[160:161]
	v_fmac_f64_e32 v[188:189], v[180:181], v[162:163]
	v_fma_f64 v[162:163], v[178:179], v[162:163], -v[164:165]
	v_add_f64_e32 v[186:187], v[186:187], v[192:193]
	v_add_f64_e32 v[160:161], v[156:157], v[154:155]
	ds_load_b128 v[4:7], v2 offset:1776
	ds_load_b128 v[154:157], v2 offset:1792
	s_wait_loadcnt_dscnt 0x801
	v_mul_f64_e32 v[190:191], v[4:5], v[172:173]
	v_mul_f64_e32 v[172:173], v[6:7], v[172:173]
	s_wait_loadcnt_dscnt 0x700
	v_mul_f64_e32 v[164:165], v[154:155], v[184:185]
	v_mul_f64_e32 v[178:179], v[156:157], v[184:185]
	v_add_f64_e32 v[158:159], v[160:161], v[158:159]
	v_add_f64_e32 v[160:161], v[186:187], v[196:197]
	v_fmac_f64_e32 v[190:191], v[6:7], v[170:171]
	v_fma_f64 v[170:171], v[4:5], v[170:171], -v[172:173]
	v_fmac_f64_e32 v[164:165], v[156:157], v[182:183]
	v_fma_f64 v[154:155], v[154:155], v[182:183], -v[178:179]
	v_add_f64_e32 v[162:163], v[158:159], v[162:163]
	v_add_f64_e32 v[172:173], v[160:161], v[188:189]
	ds_load_b128 v[4:7], v2 offset:1808
	ds_load_b128 v[158:161], v2 offset:1824
	s_wait_loadcnt_dscnt 0x601
	v_mul_f64_e32 v[180:181], v[4:5], v[168:169]
	v_mul_f64_e32 v[168:169], v[6:7], v[168:169]
	v_add_f64_e32 v[156:157], v[162:163], v[170:171]
	v_add_f64_e32 v[162:163], v[172:173], v[190:191]
	s_wait_loadcnt_dscnt 0x500
	v_mul_f64_e32 v[170:171], v[158:159], v[12:13]
	v_mul_f64_e32 v[12:13], v[160:161], v[12:13]
	v_fmac_f64_e32 v[180:181], v[6:7], v[166:167]
	v_fma_f64 v[166:167], v[4:5], v[166:167], -v[168:169]
	v_add_f64_e32 v[168:169], v[156:157], v[154:155]
	v_add_f64_e32 v[162:163], v[162:163], v[164:165]
	ds_load_b128 v[4:7], v2 offset:1840
	ds_load_b128 v[154:157], v2 offset:1856
	v_fmac_f64_e32 v[170:171], v[160:161], v[10:11]
	v_fma_f64 v[10:11], v[158:159], v[10:11], -v[12:13]
	s_wait_loadcnt_dscnt 0x401
	v_mul_f64_e32 v[164:165], v[4:5], v[136:137]
	v_mul_f64_e32 v[136:137], v[6:7], v[136:137]
	s_wait_loadcnt_dscnt 0x300
	v_mul_f64_e32 v[160:161], v[154:155], v[140:141]
	v_mul_f64_e32 v[140:141], v[156:157], v[140:141]
	v_add_f64_e32 v[12:13], v[168:169], v[166:167]
	v_add_f64_e32 v[158:159], v[162:163], v[180:181]
	v_fmac_f64_e32 v[164:165], v[6:7], v[134:135]
	v_fma_f64 v[134:135], v[4:5], v[134:135], -v[136:137]
	v_fmac_f64_e32 v[160:161], v[156:157], v[138:139]
	v_fma_f64 v[138:139], v[154:155], v[138:139], -v[140:141]
	v_add_f64_e32 v[136:137], v[12:13], v[10:11]
	v_add_f64_e32 v[158:159], v[158:159], v[170:171]
	ds_load_b128 v[4:7], v2 offset:1872
	ds_load_b128 v[10:13], v2 offset:1888
	s_wait_loadcnt_dscnt 0x201
	v_mul_f64_e32 v[162:163], v[4:5], v[144:145]
	v_mul_f64_e32 v[144:145], v[6:7], v[144:145]
	s_wait_loadcnt_dscnt 0x100
	v_mul_f64_e32 v[140:141], v[10:11], v[148:149]
	v_mul_f64_e32 v[148:149], v[12:13], v[148:149]
	v_add_f64_e32 v[134:135], v[136:137], v[134:135]
	v_add_f64_e32 v[136:137], v[158:159], v[164:165]
	v_fmac_f64_e32 v[162:163], v[6:7], v[142:143]
	v_fma_f64 v[142:143], v[4:5], v[142:143], -v[144:145]
	ds_load_b128 v[4:7], v2 offset:1904
	v_fmac_f64_e32 v[140:141], v[12:13], v[146:147]
	v_fma_f64 v[10:11], v[10:11], v[146:147], -v[148:149]
	v_add_f64_e32 v[134:135], v[134:135], v[138:139]
	v_add_f64_e32 v[136:137], v[136:137], v[160:161]
	s_wait_loadcnt_dscnt 0x0
	v_mul_f64_e32 v[138:139], v[4:5], v[152:153]
	v_mul_f64_e32 v[144:145], v[6:7], v[152:153]
	s_delay_alu instid0(VALU_DEP_4) | instskip(NEXT) | instid1(VALU_DEP_4)
	v_add_f64_e32 v[12:13], v[134:135], v[142:143]
	v_add_f64_e32 v[134:135], v[136:137], v[162:163]
	s_delay_alu instid0(VALU_DEP_4) | instskip(NEXT) | instid1(VALU_DEP_4)
	v_fmac_f64_e32 v[138:139], v[6:7], v[150:151]
	v_fma_f64 v[4:5], v[4:5], v[150:151], -v[144:145]
	s_delay_alu instid0(VALU_DEP_4) | instskip(NEXT) | instid1(VALU_DEP_4)
	v_add_f64_e32 v[6:7], v[12:13], v[10:11]
	v_add_f64_e32 v[10:11], v[134:135], v[140:141]
	s_delay_alu instid0(VALU_DEP_2) | instskip(NEXT) | instid1(VALU_DEP_2)
	v_add_f64_e32 v[4:5], v[6:7], v[4:5]
	v_add_f64_e32 v[6:7], v[10:11], v[138:139]
	s_delay_alu instid0(VALU_DEP_2) | instskip(NEXT) | instid1(VALU_DEP_2)
	v_add_f64_e64 v[4:5], v[174:175], -v[4:5]
	v_add_f64_e64 v[6:7], v[176:177], -v[6:7]
	scratch_store_b128 off, v[4:7], off offset:64
	s_wait_xcnt 0x0
	v_cmpx_lt_u32_e32 3, v1
	s_cbranch_execz .LBB123_367
; %bb.366:
	scratch_load_b128 v[10:13], off, s14
	v_dual_mov_b32 v3, v2 :: v_dual_mov_b32 v4, v2
	v_mov_b32_e32 v5, v2
	scratch_store_b128 off, v[2:5], off offset:48
	s_wait_loadcnt 0x0
	ds_store_b128 v8, v[10:13]
.LBB123_367:
	s_wait_xcnt 0x0
	s_or_b32 exec_lo, exec_lo, s2
	s_wait_storecnt_dscnt 0x0
	s_barrier_signal -1
	s_barrier_wait -1
	s_clause 0x9
	scratch_load_b128 v[4:7], off, off offset:64
	scratch_load_b128 v[10:13], off, off offset:80
	;; [unrolled: 1-line block ×10, first 2 shown]
	ds_load_b128 v[166:169], v2 offset:1024
	ds_load_b128 v[174:177], v2 offset:1040
	s_clause 0x2
	scratch_load_b128 v[170:173], off, off offset:224
	scratch_load_b128 v[178:181], off, off offset:48
	;; [unrolled: 1-line block ×3, first 2 shown]
	s_mov_b32 s2, exec_lo
	s_wait_loadcnt_dscnt 0xc01
	v_mul_f64_e32 v[186:187], v[168:169], v[6:7]
	v_mul_f64_e32 v[190:191], v[166:167], v[6:7]
	s_wait_loadcnt_dscnt 0xb00
	v_mul_f64_e32 v[192:193], v[174:175], v[12:13]
	v_mul_f64_e32 v[12:13], v[176:177], v[12:13]
	s_delay_alu instid0(VALU_DEP_4) | instskip(NEXT) | instid1(VALU_DEP_4)
	v_fma_f64 v[194:195], v[166:167], v[4:5], -v[186:187]
	v_fmac_f64_e32 v[190:191], v[168:169], v[4:5]
	ds_load_b128 v[4:7], v2 offset:1056
	ds_load_b128 v[166:169], v2 offset:1072
	scratch_load_b128 v[186:189], off, off offset:256
	v_fmac_f64_e32 v[192:193], v[176:177], v[10:11]
	v_fma_f64 v[174:175], v[174:175], v[10:11], -v[12:13]
	scratch_load_b128 v[10:13], off, off offset:272
	s_wait_loadcnt_dscnt 0xc01
	v_mul_f64_e32 v[196:197], v[4:5], v[136:137]
	v_mul_f64_e32 v[136:137], v[6:7], v[136:137]
	v_add_f64_e32 v[176:177], 0, v[194:195]
	v_add_f64_e32 v[190:191], 0, v[190:191]
	s_wait_loadcnt_dscnt 0xb00
	v_mul_f64_e32 v[194:195], v[166:167], v[140:141]
	v_mul_f64_e32 v[140:141], v[168:169], v[140:141]
	v_fmac_f64_e32 v[196:197], v[6:7], v[134:135]
	v_fma_f64 v[198:199], v[4:5], v[134:135], -v[136:137]
	ds_load_b128 v[4:7], v2 offset:1088
	ds_load_b128 v[134:137], v2 offset:1104
	v_add_f64_e32 v[200:201], v[176:177], v[174:175]
	v_add_f64_e32 v[190:191], v[190:191], v[192:193]
	scratch_load_b128 v[174:177], off, off offset:288
	v_fmac_f64_e32 v[194:195], v[168:169], v[138:139]
	v_fma_f64 v[166:167], v[166:167], v[138:139], -v[140:141]
	scratch_load_b128 v[138:141], off, off offset:304
	s_wait_loadcnt_dscnt 0xc01
	v_mul_f64_e32 v[192:193], v[4:5], v[144:145]
	v_mul_f64_e32 v[144:145], v[6:7], v[144:145]
	v_add_f64_e32 v[168:169], v[200:201], v[198:199]
	v_add_f64_e32 v[190:191], v[190:191], v[196:197]
	s_wait_loadcnt_dscnt 0xb00
	v_mul_f64_e32 v[196:197], v[134:135], v[148:149]
	v_mul_f64_e32 v[148:149], v[136:137], v[148:149]
	v_fmac_f64_e32 v[192:193], v[6:7], v[142:143]
	v_fma_f64 v[198:199], v[4:5], v[142:143], -v[144:145]
	ds_load_b128 v[4:7], v2 offset:1120
	ds_load_b128 v[142:145], v2 offset:1136
	v_add_f64_e32 v[200:201], v[168:169], v[166:167]
	v_add_f64_e32 v[190:191], v[190:191], v[194:195]
	scratch_load_b128 v[166:169], off, off offset:320
	s_wait_loadcnt_dscnt 0xb01
	v_mul_f64_e32 v[194:195], v[4:5], v[152:153]
	v_mul_f64_e32 v[152:153], v[6:7], v[152:153]
	v_fmac_f64_e32 v[196:197], v[136:137], v[146:147]
	v_fma_f64 v[146:147], v[134:135], v[146:147], -v[148:149]
	scratch_load_b128 v[134:137], off, off offset:336
	v_add_f64_e32 v[148:149], v[200:201], v[198:199]
	v_add_f64_e32 v[190:191], v[190:191], v[192:193]
	s_wait_loadcnt_dscnt 0xb00
	v_mul_f64_e32 v[192:193], v[142:143], v[156:157]
	v_mul_f64_e32 v[156:157], v[144:145], v[156:157]
	v_fmac_f64_e32 v[194:195], v[6:7], v[150:151]
	v_fma_f64 v[198:199], v[4:5], v[150:151], -v[152:153]
	v_add_f64_e32 v[200:201], v[148:149], v[146:147]
	v_add_f64_e32 v[190:191], v[190:191], v[196:197]
	ds_load_b128 v[4:7], v2 offset:1152
	ds_load_b128 v[146:149], v2 offset:1168
	scratch_load_b128 v[150:153], off, off offset:352
	v_fmac_f64_e32 v[192:193], v[144:145], v[154:155]
	v_fma_f64 v[154:155], v[142:143], v[154:155], -v[156:157]
	scratch_load_b128 v[142:145], off, off offset:368
	s_wait_loadcnt_dscnt 0xc01
	v_mul_f64_e32 v[196:197], v[4:5], v[160:161]
	v_mul_f64_e32 v[160:161], v[6:7], v[160:161]
	v_add_f64_e32 v[156:157], v[200:201], v[198:199]
	v_add_f64_e32 v[190:191], v[190:191], v[194:195]
	s_wait_loadcnt_dscnt 0xb00
	v_mul_f64_e32 v[194:195], v[146:147], v[164:165]
	v_mul_f64_e32 v[164:165], v[148:149], v[164:165]
	v_fmac_f64_e32 v[196:197], v[6:7], v[158:159]
	v_fma_f64 v[198:199], v[4:5], v[158:159], -v[160:161]
	v_add_f64_e32 v[200:201], v[156:157], v[154:155]
	v_add_f64_e32 v[190:191], v[190:191], v[192:193]
	ds_load_b128 v[4:7], v2 offset:1184
	ds_load_b128 v[154:157], v2 offset:1200
	scratch_load_b128 v[158:161], off, off offset:384
	v_fmac_f64_e32 v[194:195], v[148:149], v[162:163]
	v_fma_f64 v[162:163], v[146:147], v[162:163], -v[164:165]
	scratch_load_b128 v[146:149], off, off offset:400
	s_wait_loadcnt_dscnt 0xc01
	v_mul_f64_e32 v[192:193], v[4:5], v[172:173]
	v_mul_f64_e32 v[172:173], v[6:7], v[172:173]
	;; [unrolled: 18-line block ×5, first 2 shown]
	v_add_f64_e32 v[184:185], v[200:201], v[198:199]
	v_add_f64_e32 v[190:191], v[190:191], v[196:197]
	s_wait_loadcnt_dscnt 0xa00
	v_mul_f64_e32 v[196:197], v[162:163], v[136:137]
	v_mul_f64_e32 v[136:137], v[164:165], v[136:137]
	v_fmac_f64_e32 v[192:193], v[6:7], v[166:167]
	v_fma_f64 v[198:199], v[4:5], v[166:167], -v[168:169]
	ds_load_b128 v[4:7], v2 offset:1312
	ds_load_b128 v[166:169], v2 offset:1328
	v_add_f64_e32 v[200:201], v[184:185], v[182:183]
	v_add_f64_e32 v[190:191], v[190:191], v[194:195]
	scratch_load_b128 v[182:185], off, off offset:512
	v_fmac_f64_e32 v[196:197], v[164:165], v[134:135]
	v_fma_f64 v[162:163], v[162:163], v[134:135], -v[136:137]
	scratch_load_b128 v[134:137], off, off offset:528
	s_wait_loadcnt_dscnt 0xb01
	v_mul_f64_e32 v[194:195], v[4:5], v[152:153]
	v_mul_f64_e32 v[152:153], v[6:7], v[152:153]
	v_add_f64_e32 v[164:165], v[200:201], v[198:199]
	v_add_f64_e32 v[190:191], v[190:191], v[192:193]
	s_wait_loadcnt_dscnt 0xa00
	v_mul_f64_e32 v[192:193], v[166:167], v[144:145]
	v_mul_f64_e32 v[144:145], v[168:169], v[144:145]
	v_fmac_f64_e32 v[194:195], v[6:7], v[150:151]
	v_fma_f64 v[198:199], v[4:5], v[150:151], -v[152:153]
	ds_load_b128 v[4:7], v2 offset:1344
	ds_load_b128 v[150:153], v2 offset:1360
	v_add_f64_e32 v[200:201], v[164:165], v[162:163]
	v_add_f64_e32 v[190:191], v[190:191], v[196:197]
	scratch_load_b128 v[162:165], off, off offset:544
	s_wait_loadcnt_dscnt 0xa01
	v_mul_f64_e32 v[196:197], v[4:5], v[160:161]
	v_mul_f64_e32 v[160:161], v[6:7], v[160:161]
	v_fmac_f64_e32 v[192:193], v[168:169], v[142:143]
	v_fma_f64 v[166:167], v[166:167], v[142:143], -v[144:145]
	scratch_load_b128 v[142:145], off, off offset:560
	v_add_f64_e32 v[168:169], v[200:201], v[198:199]
	v_add_f64_e32 v[190:191], v[190:191], v[194:195]
	s_wait_loadcnt_dscnt 0xa00
	v_mul_f64_e32 v[194:195], v[150:151], v[148:149]
	v_mul_f64_e32 v[148:149], v[152:153], v[148:149]
	v_fmac_f64_e32 v[196:197], v[6:7], v[158:159]
	v_fma_f64 v[198:199], v[4:5], v[158:159], -v[160:161]
	ds_load_b128 v[4:7], v2 offset:1376
	ds_load_b128 v[158:161], v2 offset:1392
	v_add_f64_e32 v[200:201], v[168:169], v[166:167]
	v_add_f64_e32 v[190:191], v[190:191], v[192:193]
	scratch_load_b128 v[166:169], off, off offset:576
	s_wait_loadcnt_dscnt 0xa01
	v_mul_f64_e32 v[192:193], v[4:5], v[172:173]
	v_mul_f64_e32 v[172:173], v[6:7], v[172:173]
	v_fmac_f64_e32 v[194:195], v[152:153], v[146:147]
	v_fma_f64 v[150:151], v[150:151], v[146:147], -v[148:149]
	scratch_load_b128 v[146:149], off, off offset:592
	v_add_f64_e32 v[152:153], v[200:201], v[198:199]
	v_add_f64_e32 v[190:191], v[190:191], v[196:197]
	s_wait_loadcnt_dscnt 0xa00
	v_mul_f64_e32 v[196:197], v[158:159], v[156:157]
	v_mul_f64_e32 v[156:157], v[160:161], v[156:157]
	v_fmac_f64_e32 v[192:193], v[6:7], v[170:171]
	v_fma_f64 v[198:199], v[4:5], v[170:171], -v[172:173]
	v_add_f64_e32 v[200:201], v[152:153], v[150:151]
	v_add_f64_e32 v[190:191], v[190:191], v[194:195]
	ds_load_b128 v[4:7], v2 offset:1408
	ds_load_b128 v[150:153], v2 offset:1424
	scratch_load_b128 v[170:173], off, off offset:608
	v_fmac_f64_e32 v[196:197], v[160:161], v[154:155]
	v_fma_f64 v[158:159], v[158:159], v[154:155], -v[156:157]
	scratch_load_b128 v[154:157], off, off offset:624
	s_wait_loadcnt_dscnt 0xb01
	v_mul_f64_e32 v[194:195], v[4:5], v[188:189]
	v_mul_f64_e32 v[188:189], v[6:7], v[188:189]
	v_add_f64_e32 v[160:161], v[200:201], v[198:199]
	v_add_f64_e32 v[190:191], v[190:191], v[192:193]
	s_wait_loadcnt_dscnt 0xa00
	v_mul_f64_e32 v[192:193], v[150:151], v[12:13]
	v_mul_f64_e32 v[12:13], v[152:153], v[12:13]
	v_fmac_f64_e32 v[194:195], v[6:7], v[186:187]
	v_fma_f64 v[198:199], v[4:5], v[186:187], -v[188:189]
	v_add_f64_e32 v[200:201], v[160:161], v[158:159]
	v_add_f64_e32 v[190:191], v[190:191], v[196:197]
	ds_load_b128 v[4:7], v2 offset:1440
	ds_load_b128 v[158:161], v2 offset:1456
	scratch_load_b128 v[186:189], off, off offset:640
	v_fmac_f64_e32 v[192:193], v[152:153], v[10:11]
	v_fma_f64 v[150:151], v[150:151], v[10:11], -v[12:13]
	scratch_load_b128 v[10:13], off, off offset:656
	s_wait_loadcnt_dscnt 0xb01
	v_mul_f64_e32 v[196:197], v[4:5], v[176:177]
	v_mul_f64_e32 v[176:177], v[6:7], v[176:177]
	;; [unrolled: 18-line block ×11, first 2 shown]
	v_add_f64_e32 v[160:161], v[200:201], v[198:199]
	v_add_f64_e32 v[190:191], v[190:191], v[194:195]
	s_wait_loadcnt_dscnt 0xa00
	v_mul_f64_e32 v[194:195], v[150:151], v[148:149]
	v_mul_f64_e32 v[148:149], v[152:153], v[148:149]
	v_fmac_f64_e32 v[196:197], v[6:7], v[166:167]
	v_fma_f64 v[166:167], v[4:5], v[166:167], -v[168:169]
	v_add_f64_e32 v[168:169], v[160:161], v[158:159]
	v_add_f64_e32 v[190:191], v[190:191], v[192:193]
	ds_load_b128 v[4:7], v2 offset:1760
	ds_load_b128 v[158:161], v2 offset:1776
	v_fmac_f64_e32 v[194:195], v[152:153], v[146:147]
	v_fma_f64 v[146:147], v[150:151], v[146:147], -v[148:149]
	s_wait_loadcnt_dscnt 0x901
	v_mul_f64_e32 v[192:193], v[4:5], v[172:173]
	v_mul_f64_e32 v[172:173], v[6:7], v[172:173]
	s_wait_loadcnt_dscnt 0x800
	v_mul_f64_e32 v[152:153], v[158:159], v[156:157]
	v_mul_f64_e32 v[156:157], v[160:161], v[156:157]
	v_add_f64_e32 v[148:149], v[168:169], v[166:167]
	v_add_f64_e32 v[150:151], v[190:191], v[196:197]
	v_fmac_f64_e32 v[192:193], v[6:7], v[170:171]
	v_fma_f64 v[166:167], v[4:5], v[170:171], -v[172:173]
	v_fmac_f64_e32 v[152:153], v[160:161], v[154:155]
	v_fma_f64 v[154:155], v[158:159], v[154:155], -v[156:157]
	v_add_f64_e32 v[168:169], v[148:149], v[146:147]
	v_add_f64_e32 v[150:151], v[150:151], v[194:195]
	ds_load_b128 v[4:7], v2 offset:1792
	ds_load_b128 v[146:149], v2 offset:1808
	s_wait_loadcnt_dscnt 0x701
	v_mul_f64_e32 v[170:171], v[4:5], v[188:189]
	v_mul_f64_e32 v[172:173], v[6:7], v[188:189]
	s_wait_loadcnt_dscnt 0x600
	v_mul_f64_e32 v[158:159], v[146:147], v[12:13]
	v_mul_f64_e32 v[12:13], v[148:149], v[12:13]
	v_add_f64_e32 v[156:157], v[168:169], v[166:167]
	v_add_f64_e32 v[150:151], v[150:151], v[192:193]
	v_fmac_f64_e32 v[170:171], v[6:7], v[186:187]
	v_fma_f64 v[160:161], v[4:5], v[186:187], -v[172:173]
	v_fmac_f64_e32 v[158:159], v[148:149], v[10:11]
	v_fma_f64 v[10:11], v[146:147], v[10:11], -v[12:13]
	v_add_f64_e32 v[154:155], v[156:157], v[154:155]
	v_add_f64_e32 v[156:157], v[150:151], v[152:153]
	ds_load_b128 v[4:7], v2 offset:1824
	ds_load_b128 v[150:153], v2 offset:1840
	;; [unrolled: 16-line block ×4, first 2 shown]
	s_wait_loadcnt_dscnt 0x101
	v_mul_f64_e32 v[2:3], v[4:5], v[164:165]
	v_mul_f64_e32 v[148:149], v[6:7], v[164:165]
	v_add_f64_e32 v[12:13], v[140:141], v[154:155]
	v_add_f64_e32 v[134:135], v[146:147], v[158:159]
	s_wait_loadcnt_dscnt 0x0
	v_mul_f64_e32 v[140:141], v[136:137], v[144:145]
	v_mul_f64_e32 v[144:145], v[138:139], v[144:145]
	v_fmac_f64_e32 v[2:3], v[6:7], v[162:163]
	v_fma_f64 v[4:5], v[4:5], v[162:163], -v[148:149]
	v_add_f64_e32 v[6:7], v[12:13], v[10:11]
	v_add_f64_e32 v[10:11], v[134:135], v[150:151]
	v_fmac_f64_e32 v[140:141], v[138:139], v[142:143]
	v_fma_f64 v[12:13], v[136:137], v[142:143], -v[144:145]
	s_delay_alu instid0(VALU_DEP_4) | instskip(NEXT) | instid1(VALU_DEP_4)
	v_add_f64_e32 v[4:5], v[6:7], v[4:5]
	v_add_f64_e32 v[2:3], v[10:11], v[2:3]
	s_delay_alu instid0(VALU_DEP_2) | instskip(NEXT) | instid1(VALU_DEP_2)
	v_add_f64_e32 v[4:5], v[4:5], v[12:13]
	v_add_f64_e32 v[6:7], v[2:3], v[140:141]
	s_delay_alu instid0(VALU_DEP_2) | instskip(NEXT) | instid1(VALU_DEP_2)
	v_add_f64_e64 v[2:3], v[178:179], -v[4:5]
	v_add_f64_e64 v[4:5], v[180:181], -v[6:7]
	scratch_store_b128 off, v[2:5], off offset:48
	s_wait_xcnt 0x0
	v_cmpx_lt_u32_e32 2, v1
	s_cbranch_execz .LBB123_369
; %bb.368:
	scratch_load_b128 v[2:5], off, s16
	v_mov_b32_e32 v10, 0
	s_delay_alu instid0(VALU_DEP_1)
	v_dual_mov_b32 v11, v10 :: v_dual_mov_b32 v12, v10
	v_mov_b32_e32 v13, v10
	scratch_store_b128 off, v[10:13], off offset:32
	s_wait_loadcnt 0x0
	ds_store_b128 v8, v[2:5]
.LBB123_369:
	s_wait_xcnt 0x0
	s_or_b32 exec_lo, exec_lo, s2
	s_wait_storecnt_dscnt 0x0
	s_barrier_signal -1
	s_barrier_wait -1
	s_clause 0x9
	scratch_load_b128 v[4:7], off, off offset:48
	scratch_load_b128 v[10:13], off, off offset:64
	;; [unrolled: 1-line block ×10, first 2 shown]
	v_mov_b32_e32 v2, 0
	s_mov_b32 s2, exec_lo
	v_dual_ashrrev_i32 v21, 31, v20 :: v_dual_ashrrev_i32 v19, 31, v18
	v_ashrrev_i32_e32 v23, 31, v22
	ds_load_b128 v[166:169], v2 offset:1008
	s_clause 0x2
	scratch_load_b128 v[170:173], off, off offset:208
	scratch_load_b128 v[174:177], off, off offset:32
	;; [unrolled: 1-line block ×3, first 2 shown]
	v_ashrrev_i32_e32 v27, 31, v26
	v_ashrrev_i32_e32 v31, 31, v30
	v_dual_ashrrev_i32 v35, 31, v34 :: v_dual_ashrrev_i32 v25, 31, v24
	v_ashrrev_i32_e32 v29, 31, v28
	v_ashrrev_i32_e32 v33, 31, v32
	v_dual_ashrrev_i32 v37, 31, v36 :: v_dual_ashrrev_i32 v39, 31, v38
	v_dual_ashrrev_i32 v43, 31, v42 :: v_dual_ashrrev_i32 v41, 31, v40
	v_ashrrev_i32_e32 v47, 31, v46
	v_ashrrev_i32_e32 v51, 31, v50
	v_dual_ashrrev_i32 v55, 31, v54 :: v_dual_ashrrev_i32 v45, 31, v44
	v_dual_ashrrev_i32 v49, 31, v48 :: v_dual_ashrrev_i32 v59, 31, v58
	;; [unrolled: 1-line block ×10, first 2 shown]
	v_ashrrev_i32_e32 v95, 31, v94
	v_dual_ashrrev_i32 v99, 31, v98 :: v_dual_ashrrev_i32 v85, 31, v84
	v_ashrrev_i32_e32 v89, 31, v88
	v_dual_ashrrev_i32 v93, 31, v92 :: v_dual_ashrrev_i32 v103, 31, v102
	v_dual_ashrrev_i32 v107, 31, v106 :: v_dual_ashrrev_i32 v97, 31, v96
	;; [unrolled: 1-line block ×3, first 2 shown]
	v_ashrrev_i32_e32 v115, 31, v114
	v_dual_ashrrev_i32 v119, 31, v118 :: v_dual_ashrrev_i32 v105, 31, v104
	v_dual_ashrrev_i32 v123, 31, v122 :: v_dual_ashrrev_i32 v109, 31, v108
	v_ashrrev_i32_e32 v127, 31, v126
	v_dual_ashrrev_i32 v131, 31, v130 :: v_dual_ashrrev_i32 v113, 31, v112
	v_ashrrev_i32_e32 v117, 31, v116
	v_ashrrev_i32_e32 v121, 31, v120
	;; [unrolled: 1-line block ×4, first 2 shown]
	s_wait_loadcnt_dscnt 0xc00
	v_dual_mul_f64 v[186:187], v[168:169], v[6:7] :: v_dual_ashrrev_i32 v133, 31, v132
	v_mul_f64_e32 v[190:191], v[166:167], v[6:7]
	ds_load_b128 v[178:181], v2 offset:1024
	v_fma_f64 v[194:195], v[166:167], v[4:5], -v[186:187]
	v_fmac_f64_e32 v[190:191], v[168:169], v[4:5]
	ds_load_b128 v[4:7], v2 offset:1040
	s_wait_loadcnt_dscnt 0xb01
	v_mul_f64_e32 v[192:193], v[178:179], v[12:13]
	v_mul_f64_e32 v[12:13], v[180:181], v[12:13]
	scratch_load_b128 v[166:169], off, off offset:240
	ds_load_b128 v[186:189], v2 offset:1056
	s_wait_loadcnt_dscnt 0xb01
	v_mul_f64_e32 v[196:197], v[4:5], v[136:137]
	v_mul_f64_e32 v[136:137], v[6:7], v[136:137]
	v_add_f64_e32 v[190:191], 0, v[190:191]
	v_fmac_f64_e32 v[192:193], v[180:181], v[10:11]
	v_fma_f64 v[178:179], v[178:179], v[10:11], -v[12:13]
	v_add_f64_e32 v[180:181], 0, v[194:195]
	scratch_load_b128 v[10:13], off, off offset:256
	v_fmac_f64_e32 v[196:197], v[6:7], v[134:135]
	v_fma_f64 v[198:199], v[4:5], v[134:135], -v[136:137]
	ds_load_b128 v[4:7], v2 offset:1072
	s_wait_loadcnt_dscnt 0xb01
	v_mul_f64_e32 v[194:195], v[186:187], v[140:141]
	v_mul_f64_e32 v[140:141], v[188:189], v[140:141]
	scratch_load_b128 v[134:137], off, off offset:272
	v_add_f64_e32 v[190:191], v[190:191], v[192:193]
	v_add_f64_e32 v[200:201], v[180:181], v[178:179]
	ds_load_b128 v[178:181], v2 offset:1088
	s_wait_loadcnt_dscnt 0xb01
	v_mul_f64_e32 v[192:193], v[4:5], v[144:145]
	v_mul_f64_e32 v[144:145], v[6:7], v[144:145]
	v_fmac_f64_e32 v[194:195], v[188:189], v[138:139]
	v_fma_f64 v[186:187], v[186:187], v[138:139], -v[140:141]
	scratch_load_b128 v[138:141], off, off offset:288
	v_add_f64_e32 v[190:191], v[190:191], v[196:197]
	v_add_f64_e32 v[188:189], v[200:201], v[198:199]
	v_fmac_f64_e32 v[192:193], v[6:7], v[142:143]
	v_fma_f64 v[198:199], v[4:5], v[142:143], -v[144:145]
	ds_load_b128 v[4:7], v2 offset:1104
	s_wait_loadcnt_dscnt 0xb01
	v_mul_f64_e32 v[196:197], v[178:179], v[148:149]
	v_mul_f64_e32 v[148:149], v[180:181], v[148:149]
	scratch_load_b128 v[142:145], off, off offset:304
	v_add_f64_e32 v[190:191], v[190:191], v[194:195]
	s_wait_loadcnt_dscnt 0xb00
	v_mul_f64_e32 v[194:195], v[4:5], v[152:153]
	v_add_f64_e32 v[200:201], v[188:189], v[186:187]
	v_mul_f64_e32 v[152:153], v[6:7], v[152:153]
	ds_load_b128 v[186:189], v2 offset:1120
	v_fmac_f64_e32 v[196:197], v[180:181], v[146:147]
	v_fma_f64 v[178:179], v[178:179], v[146:147], -v[148:149]
	scratch_load_b128 v[146:149], off, off offset:320
	v_add_f64_e32 v[190:191], v[190:191], v[192:193]
	v_fmac_f64_e32 v[194:195], v[6:7], v[150:151]
	v_add_f64_e32 v[180:181], v[200:201], v[198:199]
	v_fma_f64 v[198:199], v[4:5], v[150:151], -v[152:153]
	ds_load_b128 v[4:7], v2 offset:1136
	s_wait_loadcnt_dscnt 0xb01
	v_mul_f64_e32 v[192:193], v[186:187], v[156:157]
	v_mul_f64_e32 v[156:157], v[188:189], v[156:157]
	scratch_load_b128 v[150:153], off, off offset:336
	v_add_f64_e32 v[190:191], v[190:191], v[196:197]
	s_wait_loadcnt_dscnt 0xb00
	v_mul_f64_e32 v[196:197], v[4:5], v[160:161]
	v_add_f64_e32 v[200:201], v[180:181], v[178:179]
	v_mul_f64_e32 v[160:161], v[6:7], v[160:161]
	ds_load_b128 v[178:181], v2 offset:1152
	v_fmac_f64_e32 v[192:193], v[188:189], v[154:155]
	v_fma_f64 v[186:187], v[186:187], v[154:155], -v[156:157]
	scratch_load_b128 v[154:157], off, off offset:352
	v_add_f64_e32 v[190:191], v[190:191], v[194:195]
	v_fmac_f64_e32 v[196:197], v[6:7], v[158:159]
	v_add_f64_e32 v[188:189], v[200:201], v[198:199]
	;; [unrolled: 18-line block ×3, first 2 shown]
	v_fma_f64 v[198:199], v[4:5], v[170:171], -v[172:173]
	ds_load_b128 v[4:7], v2 offset:1200
	s_wait_loadcnt_dscnt 0xa01
	v_mul_f64_e32 v[196:197], v[186:187], v[184:185]
	v_mul_f64_e32 v[184:185], v[188:189], v[184:185]
	scratch_load_b128 v[170:173], off, off offset:400
	v_add_f64_e32 v[190:191], v[190:191], v[194:195]
	v_add_f64_e32 v[200:201], v[180:181], v[178:179]
	s_wait_loadcnt_dscnt 0xa00
	v_mul_f64_e32 v[194:195], v[4:5], v[168:169]
	v_mul_f64_e32 v[168:169], v[6:7], v[168:169]
	v_fmac_f64_e32 v[196:197], v[188:189], v[182:183]
	v_fma_f64 v[186:187], v[186:187], v[182:183], -v[184:185]
	ds_load_b128 v[178:181], v2 offset:1216
	scratch_load_b128 v[182:185], off, off offset:416
	v_add_f64_e32 v[190:191], v[190:191], v[192:193]
	v_add_f64_e32 v[188:189], v[200:201], v[198:199]
	v_fmac_f64_e32 v[194:195], v[6:7], v[166:167]
	v_fma_f64 v[198:199], v[4:5], v[166:167], -v[168:169]
	ds_load_b128 v[4:7], v2 offset:1232
	s_wait_loadcnt_dscnt 0xa01
	v_mul_f64_e32 v[192:193], v[178:179], v[12:13]
	v_mul_f64_e32 v[12:13], v[180:181], v[12:13]
	scratch_load_b128 v[166:169], off, off offset:432
	v_add_f64_e32 v[190:191], v[190:191], v[196:197]
	s_wait_loadcnt_dscnt 0xa00
	v_mul_f64_e32 v[196:197], v[4:5], v[136:137]
	v_add_f64_e32 v[200:201], v[188:189], v[186:187]
	v_mul_f64_e32 v[136:137], v[6:7], v[136:137]
	ds_load_b128 v[186:189], v2 offset:1248
	v_fmac_f64_e32 v[192:193], v[180:181], v[10:11]
	v_fma_f64 v[178:179], v[178:179], v[10:11], -v[12:13]
	scratch_load_b128 v[10:13], off, off offset:448
	v_add_f64_e32 v[190:191], v[190:191], v[194:195]
	v_fmac_f64_e32 v[196:197], v[6:7], v[134:135]
	v_add_f64_e32 v[180:181], v[200:201], v[198:199]
	v_fma_f64 v[198:199], v[4:5], v[134:135], -v[136:137]
	ds_load_b128 v[4:7], v2 offset:1264
	s_wait_loadcnt_dscnt 0xa01
	v_mul_f64_e32 v[194:195], v[186:187], v[140:141]
	v_mul_f64_e32 v[140:141], v[188:189], v[140:141]
	scratch_load_b128 v[134:137], off, off offset:464
	v_add_f64_e32 v[190:191], v[190:191], v[192:193]
	s_wait_loadcnt_dscnt 0xa00
	v_mul_f64_e32 v[192:193], v[4:5], v[144:145]
	v_add_f64_e32 v[200:201], v[180:181], v[178:179]
	v_mul_f64_e32 v[144:145], v[6:7], v[144:145]
	ds_load_b128 v[178:181], v2 offset:1280
	v_fmac_f64_e32 v[194:195], v[188:189], v[138:139]
	v_fma_f64 v[186:187], v[186:187], v[138:139], -v[140:141]
	scratch_load_b128 v[138:141], off, off offset:480
	v_add_f64_e32 v[190:191], v[190:191], v[196:197]
	v_fmac_f64_e32 v[192:193], v[6:7], v[142:143]
	v_add_f64_e32 v[188:189], v[200:201], v[198:199]
	;; [unrolled: 18-line block ×16, first 2 shown]
	v_fma_f64 v[198:199], v[4:5], v[158:159], -v[160:161]
	ds_load_b128 v[4:7], v2 offset:1744
	s_wait_loadcnt_dscnt 0xa01
	v_mul_f64_e32 v[194:195], v[178:179], v[164:165]
	v_mul_f64_e32 v[164:165], v[180:181], v[164:165]
	scratch_load_b128 v[158:161], off, off offset:944
	v_add_f64_e32 v[190:191], v[190:191], v[192:193]
	s_wait_loadcnt_dscnt 0xa00
	v_mul_f64_e32 v[192:193], v[4:5], v[172:173]
	v_add_f64_e32 v[200:201], v[188:189], v[186:187]
	v_mul_f64_e32 v[172:173], v[6:7], v[172:173]
	ds_load_b128 v[186:189], v2 offset:1760
	v_fmac_f64_e32 v[194:195], v[180:181], v[162:163]
	v_fma_f64 v[162:163], v[178:179], v[162:163], -v[164:165]
	s_wait_loadcnt_dscnt 0x900
	v_mul_f64_e32 v[180:181], v[186:187], v[184:185]
	v_mul_f64_e32 v[184:185], v[188:189], v[184:185]
	v_add_f64_e32 v[178:179], v[190:191], v[196:197]
	v_fmac_f64_e32 v[192:193], v[6:7], v[170:171]
	v_add_f64_e32 v[164:165], v[200:201], v[198:199]
	v_fma_f64 v[170:171], v[4:5], v[170:171], -v[172:173]
	v_fmac_f64_e32 v[180:181], v[188:189], v[182:183]
	v_fma_f64 v[182:183], v[186:187], v[182:183], -v[184:185]
	v_add_f64_e32 v[178:179], v[178:179], v[194:195]
	v_add_f64_e32 v[172:173], v[164:165], v[162:163]
	ds_load_b128 v[4:7], v2 offset:1776
	ds_load_b128 v[162:165], v2 offset:1792
	s_wait_loadcnt_dscnt 0x801
	v_mul_f64_e32 v[190:191], v[4:5], v[168:169]
	v_mul_f64_e32 v[168:169], v[6:7], v[168:169]
	v_add_f64_e32 v[170:171], v[172:173], v[170:171]
	v_add_f64_e32 v[172:173], v[178:179], v[192:193]
	s_wait_loadcnt_dscnt 0x700
	v_mul_f64_e32 v[178:179], v[162:163], v[12:13]
	v_mul_f64_e32 v[12:13], v[164:165], v[12:13]
	v_fmac_f64_e32 v[190:191], v[6:7], v[166:167]
	v_fma_f64 v[184:185], v[4:5], v[166:167], -v[168:169]
	ds_load_b128 v[4:7], v2 offset:1808
	ds_load_b128 v[166:169], v2 offset:1824
	v_add_f64_e32 v[170:171], v[170:171], v[182:183]
	v_add_f64_e32 v[172:173], v[172:173], v[180:181]
	v_fmac_f64_e32 v[178:179], v[164:165], v[10:11]
	v_fma_f64 v[10:11], v[162:163], v[10:11], -v[12:13]
	s_wait_loadcnt_dscnt 0x601
	v_mul_f64_e32 v[180:181], v[4:5], v[136:137]
	v_mul_f64_e32 v[136:137], v[6:7], v[136:137]
	s_wait_loadcnt_dscnt 0x500
	v_mul_f64_e32 v[164:165], v[166:167], v[140:141]
	v_mul_f64_e32 v[140:141], v[168:169], v[140:141]
	v_add_f64_e32 v[12:13], v[170:171], v[184:185]
	v_add_f64_e32 v[162:163], v[172:173], v[190:191]
	v_fmac_f64_e32 v[180:181], v[6:7], v[134:135]
	v_fma_f64 v[134:135], v[4:5], v[134:135], -v[136:137]
	v_fmac_f64_e32 v[164:165], v[168:169], v[138:139]
	v_fma_f64 v[138:139], v[166:167], v[138:139], -v[140:141]
	v_add_f64_e32 v[136:137], v[12:13], v[10:11]
	v_add_f64_e32 v[162:163], v[162:163], v[178:179]
	ds_load_b128 v[4:7], v2 offset:1840
	ds_load_b128 v[10:13], v2 offset:1856
	s_wait_loadcnt_dscnt 0x401
	v_mul_f64_e32 v[170:171], v[4:5], v[144:145]
	v_mul_f64_e32 v[144:145], v[6:7], v[144:145]
	s_wait_loadcnt_dscnt 0x300
	v_mul_f64_e32 v[140:141], v[10:11], v[148:149]
	v_mul_f64_e32 v[148:149], v[12:13], v[148:149]
	v_add_f64_e32 v[134:135], v[136:137], v[134:135]
	v_add_f64_e32 v[136:137], v[162:163], v[180:181]
	v_fmac_f64_e32 v[170:171], v[6:7], v[142:143]
	v_fma_f64 v[142:143], v[4:5], v[142:143], -v[144:145]
	v_fmac_f64_e32 v[140:141], v[12:13], v[146:147]
	v_fma_f64 v[10:11], v[10:11], v[146:147], -v[148:149]
	v_add_f64_e32 v[138:139], v[134:135], v[138:139]
	v_add_f64_e32 v[144:145], v[136:137], v[164:165]
	ds_load_b128 v[4:7], v2 offset:1872
	ds_load_b128 v[134:137], v2 offset:1888
	s_wait_loadcnt_dscnt 0x201
	v_mul_f64_e32 v[162:163], v[4:5], v[152:153]
	v_mul_f64_e32 v[152:153], v[6:7], v[152:153]
	v_add_f64_e32 v[12:13], v[138:139], v[142:143]
	v_add_f64_e32 v[138:139], v[144:145], v[170:171]
	s_wait_loadcnt_dscnt 0x100
	v_mul_f64_e32 v[142:143], v[134:135], v[156:157]
	v_mul_f64_e32 v[144:145], v[136:137], v[156:157]
	v_fmac_f64_e32 v[162:163], v[6:7], v[150:151]
	v_fma_f64 v[146:147], v[4:5], v[150:151], -v[152:153]
	ds_load_b128 v[4:7], v2 offset:1904
	v_add_f64_e32 v[10:11], v[12:13], v[10:11]
	v_add_f64_e32 v[12:13], v[138:139], v[140:141]
	v_fmac_f64_e32 v[142:143], v[136:137], v[154:155]
	v_fma_f64 v[134:135], v[134:135], v[154:155], -v[144:145]
	s_wait_loadcnt_dscnt 0x0
	v_mul_f64_e32 v[138:139], v[4:5], v[160:161]
	v_mul_f64_e32 v[140:141], v[6:7], v[160:161]
	v_add_f64_e32 v[10:11], v[10:11], v[146:147]
	v_add_f64_e32 v[12:13], v[12:13], v[162:163]
	s_delay_alu instid0(VALU_DEP_4) | instskip(NEXT) | instid1(VALU_DEP_4)
	v_fmac_f64_e32 v[138:139], v[6:7], v[158:159]
	v_fma_f64 v[4:5], v[4:5], v[158:159], -v[140:141]
	s_delay_alu instid0(VALU_DEP_4) | instskip(NEXT) | instid1(VALU_DEP_4)
	v_add_f64_e32 v[6:7], v[10:11], v[134:135]
	v_add_f64_e32 v[10:11], v[12:13], v[142:143]
	s_delay_alu instid0(VALU_DEP_2) | instskip(NEXT) | instid1(VALU_DEP_2)
	v_add_f64_e32 v[4:5], v[6:7], v[4:5]
	v_add_f64_e32 v[6:7], v[10:11], v[138:139]
	s_delay_alu instid0(VALU_DEP_2) | instskip(NEXT) | instid1(VALU_DEP_2)
	v_add_f64_e64 v[4:5], v[174:175], -v[4:5]
	v_add_f64_e64 v[6:7], v[176:177], -v[6:7]
	scratch_store_b128 off, v[4:7], off offset:32
	s_wait_xcnt 0x0
	v_cmpx_lt_u32_e32 1, v1
	s_cbranch_execz .LBB123_371
; %bb.370:
	scratch_load_b128 v[10:13], off, s18
	v_dual_mov_b32 v3, v2 :: v_dual_mov_b32 v4, v2
	v_mov_b32_e32 v5, v2
	scratch_store_b128 off, v[2:5], off offset:16
	s_wait_loadcnt 0x0
	ds_store_b128 v8, v[10:13]
.LBB123_371:
	s_wait_xcnt 0x0
	s_or_b32 exec_lo, exec_lo, s2
	s_wait_storecnt_dscnt 0x0
	s_barrier_signal -1
	s_barrier_wait -1
	s_clause 0x9
	scratch_load_b128 v[4:7], off, off offset:32
	scratch_load_b128 v[10:13], off, off offset:48
	;; [unrolled: 1-line block ×10, first 2 shown]
	ds_load_b128 v[166:169], v2 offset:992
	ds_load_b128 v[174:177], v2 offset:1008
	s_clause 0x2
	scratch_load_b128 v[170:173], off, off offset:192
	scratch_load_b128 v[178:181], off, off offset:16
	;; [unrolled: 1-line block ×3, first 2 shown]
	s_mov_b32 s2, exec_lo
	s_wait_loadcnt_dscnt 0xc01
	v_mul_f64_e32 v[186:187], v[168:169], v[6:7]
	v_mul_f64_e32 v[190:191], v[166:167], v[6:7]
	s_wait_loadcnt_dscnt 0xb00
	v_mul_f64_e32 v[192:193], v[174:175], v[12:13]
	v_mul_f64_e32 v[12:13], v[176:177], v[12:13]
	s_delay_alu instid0(VALU_DEP_4) | instskip(NEXT) | instid1(VALU_DEP_4)
	v_fma_f64 v[194:195], v[166:167], v[4:5], -v[186:187]
	v_fmac_f64_e32 v[190:191], v[168:169], v[4:5]
	ds_load_b128 v[4:7], v2 offset:1024
	ds_load_b128 v[166:169], v2 offset:1040
	scratch_load_b128 v[186:189], off, off offset:224
	v_fmac_f64_e32 v[192:193], v[176:177], v[10:11]
	v_fma_f64 v[174:175], v[174:175], v[10:11], -v[12:13]
	scratch_load_b128 v[10:13], off, off offset:240
	s_wait_loadcnt_dscnt 0xc01
	v_mul_f64_e32 v[196:197], v[4:5], v[136:137]
	v_mul_f64_e32 v[136:137], v[6:7], v[136:137]
	v_add_f64_e32 v[176:177], 0, v[194:195]
	v_add_f64_e32 v[190:191], 0, v[190:191]
	s_wait_loadcnt_dscnt 0xb00
	v_mul_f64_e32 v[194:195], v[166:167], v[140:141]
	v_mul_f64_e32 v[140:141], v[168:169], v[140:141]
	v_fmac_f64_e32 v[196:197], v[6:7], v[134:135]
	v_fma_f64 v[198:199], v[4:5], v[134:135], -v[136:137]
	ds_load_b128 v[4:7], v2 offset:1056
	ds_load_b128 v[134:137], v2 offset:1072
	v_add_f64_e32 v[200:201], v[176:177], v[174:175]
	v_add_f64_e32 v[190:191], v[190:191], v[192:193]
	scratch_load_b128 v[174:177], off, off offset:256
	v_fmac_f64_e32 v[194:195], v[168:169], v[138:139]
	v_fma_f64 v[166:167], v[166:167], v[138:139], -v[140:141]
	scratch_load_b128 v[138:141], off, off offset:272
	s_wait_loadcnt_dscnt 0xc01
	v_mul_f64_e32 v[192:193], v[4:5], v[144:145]
	v_mul_f64_e32 v[144:145], v[6:7], v[144:145]
	v_add_f64_e32 v[168:169], v[200:201], v[198:199]
	v_add_f64_e32 v[190:191], v[190:191], v[196:197]
	s_wait_loadcnt_dscnt 0xb00
	v_mul_f64_e32 v[196:197], v[134:135], v[148:149]
	v_mul_f64_e32 v[148:149], v[136:137], v[148:149]
	v_fmac_f64_e32 v[192:193], v[6:7], v[142:143]
	v_fma_f64 v[198:199], v[4:5], v[142:143], -v[144:145]
	ds_load_b128 v[4:7], v2 offset:1088
	ds_load_b128 v[142:145], v2 offset:1104
	v_add_f64_e32 v[200:201], v[168:169], v[166:167]
	v_add_f64_e32 v[190:191], v[190:191], v[194:195]
	scratch_load_b128 v[166:169], off, off offset:288
	s_wait_loadcnt_dscnt 0xb01
	v_mul_f64_e32 v[194:195], v[4:5], v[152:153]
	v_mul_f64_e32 v[152:153], v[6:7], v[152:153]
	v_fmac_f64_e32 v[196:197], v[136:137], v[146:147]
	v_fma_f64 v[146:147], v[134:135], v[146:147], -v[148:149]
	scratch_load_b128 v[134:137], off, off offset:304
	v_add_f64_e32 v[148:149], v[200:201], v[198:199]
	v_add_f64_e32 v[190:191], v[190:191], v[192:193]
	s_wait_loadcnt_dscnt 0xb00
	v_mul_f64_e32 v[192:193], v[142:143], v[156:157]
	v_mul_f64_e32 v[156:157], v[144:145], v[156:157]
	v_fmac_f64_e32 v[194:195], v[6:7], v[150:151]
	v_fma_f64 v[198:199], v[4:5], v[150:151], -v[152:153]
	v_add_f64_e32 v[200:201], v[148:149], v[146:147]
	v_add_f64_e32 v[190:191], v[190:191], v[196:197]
	ds_load_b128 v[4:7], v2 offset:1120
	ds_load_b128 v[146:149], v2 offset:1136
	scratch_load_b128 v[150:153], off, off offset:320
	v_fmac_f64_e32 v[192:193], v[144:145], v[154:155]
	v_fma_f64 v[154:155], v[142:143], v[154:155], -v[156:157]
	scratch_load_b128 v[142:145], off, off offset:336
	s_wait_loadcnt_dscnt 0xc01
	v_mul_f64_e32 v[196:197], v[4:5], v[160:161]
	v_mul_f64_e32 v[160:161], v[6:7], v[160:161]
	v_add_f64_e32 v[156:157], v[200:201], v[198:199]
	v_add_f64_e32 v[190:191], v[190:191], v[194:195]
	s_wait_loadcnt_dscnt 0xb00
	v_mul_f64_e32 v[194:195], v[146:147], v[164:165]
	v_mul_f64_e32 v[164:165], v[148:149], v[164:165]
	v_fmac_f64_e32 v[196:197], v[6:7], v[158:159]
	v_fma_f64 v[198:199], v[4:5], v[158:159], -v[160:161]
	v_add_f64_e32 v[200:201], v[156:157], v[154:155]
	v_add_f64_e32 v[190:191], v[190:191], v[192:193]
	ds_load_b128 v[4:7], v2 offset:1152
	ds_load_b128 v[154:157], v2 offset:1168
	scratch_load_b128 v[158:161], off, off offset:352
	v_fmac_f64_e32 v[194:195], v[148:149], v[162:163]
	v_fma_f64 v[162:163], v[146:147], v[162:163], -v[164:165]
	scratch_load_b128 v[146:149], off, off offset:368
	s_wait_loadcnt_dscnt 0xc01
	v_mul_f64_e32 v[192:193], v[4:5], v[172:173]
	v_mul_f64_e32 v[172:173], v[6:7], v[172:173]
	;; [unrolled: 18-line block ×5, first 2 shown]
	v_add_f64_e32 v[184:185], v[200:201], v[198:199]
	v_add_f64_e32 v[190:191], v[190:191], v[196:197]
	s_wait_loadcnt_dscnt 0xa00
	v_mul_f64_e32 v[196:197], v[162:163], v[136:137]
	v_mul_f64_e32 v[136:137], v[164:165], v[136:137]
	v_fmac_f64_e32 v[192:193], v[6:7], v[166:167]
	v_fma_f64 v[198:199], v[4:5], v[166:167], -v[168:169]
	ds_load_b128 v[4:7], v2 offset:1280
	ds_load_b128 v[166:169], v2 offset:1296
	v_add_f64_e32 v[200:201], v[184:185], v[182:183]
	v_add_f64_e32 v[190:191], v[190:191], v[194:195]
	scratch_load_b128 v[182:185], off, off offset:480
	v_fmac_f64_e32 v[196:197], v[164:165], v[134:135]
	v_fma_f64 v[162:163], v[162:163], v[134:135], -v[136:137]
	scratch_load_b128 v[134:137], off, off offset:496
	s_wait_loadcnt_dscnt 0xb01
	v_mul_f64_e32 v[194:195], v[4:5], v[152:153]
	v_mul_f64_e32 v[152:153], v[6:7], v[152:153]
	v_add_f64_e32 v[164:165], v[200:201], v[198:199]
	v_add_f64_e32 v[190:191], v[190:191], v[192:193]
	s_wait_loadcnt_dscnt 0xa00
	v_mul_f64_e32 v[192:193], v[166:167], v[144:145]
	v_mul_f64_e32 v[144:145], v[168:169], v[144:145]
	v_fmac_f64_e32 v[194:195], v[6:7], v[150:151]
	v_fma_f64 v[198:199], v[4:5], v[150:151], -v[152:153]
	ds_load_b128 v[4:7], v2 offset:1312
	ds_load_b128 v[150:153], v2 offset:1328
	v_add_f64_e32 v[200:201], v[164:165], v[162:163]
	v_add_f64_e32 v[190:191], v[190:191], v[196:197]
	scratch_load_b128 v[162:165], off, off offset:512
	s_wait_loadcnt_dscnt 0xa01
	v_mul_f64_e32 v[196:197], v[4:5], v[160:161]
	v_mul_f64_e32 v[160:161], v[6:7], v[160:161]
	v_fmac_f64_e32 v[192:193], v[168:169], v[142:143]
	v_fma_f64 v[166:167], v[166:167], v[142:143], -v[144:145]
	scratch_load_b128 v[142:145], off, off offset:528
	v_add_f64_e32 v[168:169], v[200:201], v[198:199]
	v_add_f64_e32 v[190:191], v[190:191], v[194:195]
	s_wait_loadcnt_dscnt 0xa00
	v_mul_f64_e32 v[194:195], v[150:151], v[148:149]
	v_mul_f64_e32 v[148:149], v[152:153], v[148:149]
	v_fmac_f64_e32 v[196:197], v[6:7], v[158:159]
	v_fma_f64 v[198:199], v[4:5], v[158:159], -v[160:161]
	ds_load_b128 v[4:7], v2 offset:1344
	ds_load_b128 v[158:161], v2 offset:1360
	v_add_f64_e32 v[200:201], v[168:169], v[166:167]
	v_add_f64_e32 v[190:191], v[190:191], v[192:193]
	scratch_load_b128 v[166:169], off, off offset:544
	s_wait_loadcnt_dscnt 0xa01
	v_mul_f64_e32 v[192:193], v[4:5], v[172:173]
	v_mul_f64_e32 v[172:173], v[6:7], v[172:173]
	v_fmac_f64_e32 v[194:195], v[152:153], v[146:147]
	v_fma_f64 v[150:151], v[150:151], v[146:147], -v[148:149]
	scratch_load_b128 v[146:149], off, off offset:560
	v_add_f64_e32 v[152:153], v[200:201], v[198:199]
	v_add_f64_e32 v[190:191], v[190:191], v[196:197]
	s_wait_loadcnt_dscnt 0xa00
	v_mul_f64_e32 v[196:197], v[158:159], v[156:157]
	v_mul_f64_e32 v[156:157], v[160:161], v[156:157]
	v_fmac_f64_e32 v[192:193], v[6:7], v[170:171]
	v_fma_f64 v[198:199], v[4:5], v[170:171], -v[172:173]
	v_add_f64_e32 v[200:201], v[152:153], v[150:151]
	v_add_f64_e32 v[190:191], v[190:191], v[194:195]
	ds_load_b128 v[4:7], v2 offset:1376
	ds_load_b128 v[150:153], v2 offset:1392
	scratch_load_b128 v[170:173], off, off offset:576
	v_fmac_f64_e32 v[196:197], v[160:161], v[154:155]
	v_fma_f64 v[158:159], v[158:159], v[154:155], -v[156:157]
	scratch_load_b128 v[154:157], off, off offset:592
	s_wait_loadcnt_dscnt 0xb01
	v_mul_f64_e32 v[194:195], v[4:5], v[188:189]
	v_mul_f64_e32 v[188:189], v[6:7], v[188:189]
	v_add_f64_e32 v[160:161], v[200:201], v[198:199]
	v_add_f64_e32 v[190:191], v[190:191], v[192:193]
	s_wait_loadcnt_dscnt 0xa00
	v_mul_f64_e32 v[192:193], v[150:151], v[12:13]
	v_mul_f64_e32 v[12:13], v[152:153], v[12:13]
	v_fmac_f64_e32 v[194:195], v[6:7], v[186:187]
	v_fma_f64 v[198:199], v[4:5], v[186:187], -v[188:189]
	v_add_f64_e32 v[200:201], v[160:161], v[158:159]
	v_add_f64_e32 v[190:191], v[190:191], v[196:197]
	ds_load_b128 v[4:7], v2 offset:1408
	ds_load_b128 v[158:161], v2 offset:1424
	scratch_load_b128 v[186:189], off, off offset:608
	v_fmac_f64_e32 v[192:193], v[152:153], v[10:11]
	v_fma_f64 v[150:151], v[150:151], v[10:11], -v[12:13]
	scratch_load_b128 v[10:13], off, off offset:624
	s_wait_loadcnt_dscnt 0xb01
	v_mul_f64_e32 v[196:197], v[4:5], v[176:177]
	v_mul_f64_e32 v[176:177], v[6:7], v[176:177]
	;; [unrolled: 18-line block ×12, first 2 shown]
	v_add_f64_e32 v[152:153], v[200:201], v[198:199]
	v_add_f64_e32 v[190:191], v[190:191], v[196:197]
	s_wait_loadcnt_dscnt 0xa00
	v_mul_f64_e32 v[196:197], v[158:159], v[156:157]
	v_mul_f64_e32 v[156:157], v[160:161], v[156:157]
	v_fmac_f64_e32 v[192:193], v[6:7], v[170:171]
	v_fma_f64 v[170:171], v[4:5], v[170:171], -v[172:173]
	v_add_f64_e32 v[172:173], v[152:153], v[150:151]
	v_add_f64_e32 v[190:191], v[190:191], v[194:195]
	ds_load_b128 v[4:7], v2 offset:1760
	ds_load_b128 v[150:153], v2 offset:1776
	v_fmac_f64_e32 v[196:197], v[160:161], v[154:155]
	v_fma_f64 v[154:155], v[158:159], v[154:155], -v[156:157]
	s_wait_loadcnt_dscnt 0x901
	v_mul_f64_e32 v[194:195], v[4:5], v[188:189]
	v_mul_f64_e32 v[188:189], v[6:7], v[188:189]
	s_wait_loadcnt_dscnt 0x800
	v_mul_f64_e32 v[160:161], v[150:151], v[12:13]
	v_mul_f64_e32 v[12:13], v[152:153], v[12:13]
	v_add_f64_e32 v[156:157], v[172:173], v[170:171]
	v_add_f64_e32 v[158:159], v[190:191], v[192:193]
	v_fmac_f64_e32 v[194:195], v[6:7], v[186:187]
	v_fma_f64 v[170:171], v[4:5], v[186:187], -v[188:189]
	v_fmac_f64_e32 v[160:161], v[152:153], v[10:11]
	v_fma_f64 v[10:11], v[150:151], v[10:11], -v[12:13]
	v_add_f64_e32 v[172:173], v[156:157], v[154:155]
	v_add_f64_e32 v[158:159], v[158:159], v[196:197]
	ds_load_b128 v[4:7], v2 offset:1792
	ds_load_b128 v[154:157], v2 offset:1808
	s_wait_loadcnt_dscnt 0x701
	v_mul_f64_e32 v[186:187], v[4:5], v[176:177]
	v_mul_f64_e32 v[176:177], v[6:7], v[176:177]
	s_wait_loadcnt_dscnt 0x600
	v_mul_f64_e32 v[152:153], v[154:155], v[140:141]
	v_mul_f64_e32 v[140:141], v[156:157], v[140:141]
	v_add_f64_e32 v[12:13], v[172:173], v[170:171]
	v_add_f64_e32 v[150:151], v[158:159], v[194:195]
	v_fmac_f64_e32 v[186:187], v[6:7], v[174:175]
	v_fma_f64 v[158:159], v[4:5], v[174:175], -v[176:177]
	v_fmac_f64_e32 v[152:153], v[156:157], v[138:139]
	v_fma_f64 v[138:139], v[154:155], v[138:139], -v[140:141]
	v_add_f64_e32 v[170:171], v[12:13], v[10:11]
	v_add_f64_e32 v[150:151], v[150:151], v[160:161]
	ds_load_b128 v[4:7], v2 offset:1824
	ds_load_b128 v[10:13], v2 offset:1840
	;; [unrolled: 16-line block ×3, first 2 shown]
	s_wait_loadcnt_dscnt 0x301
	v_mul_f64_e32 v[152:153], v[4:5], v[164:165]
	v_mul_f64_e32 v[164:165], v[6:7], v[164:165]
	v_add_f64_e32 v[12:13], v[140:141], v[158:159]
	v_add_f64_e32 v[134:135], v[150:151], v[160:161]
	s_wait_loadcnt_dscnt 0x200
	v_mul_f64_e32 v[140:141], v[136:137], v[144:145]
	v_mul_f64_e32 v[144:145], v[138:139], v[144:145]
	v_fmac_f64_e32 v[152:153], v[6:7], v[162:163]
	v_fma_f64 v[150:151], v[4:5], v[162:163], -v[164:165]
	v_add_f64_e32 v[156:157], v[12:13], v[10:11]
	v_add_f64_e32 v[134:135], v[134:135], v[154:155]
	ds_load_b128 v[4:7], v2 offset:1888
	ds_load_b128 v[10:13], v2 offset:1904
	v_fmac_f64_e32 v[140:141], v[138:139], v[142:143]
	v_fma_f64 v[136:137], v[136:137], v[142:143], -v[144:145]
	s_wait_loadcnt_dscnt 0x101
	v_mul_f64_e32 v[2:3], v[4:5], v[168:169]
	v_mul_f64_e32 v[154:155], v[6:7], v[168:169]
	s_wait_loadcnt_dscnt 0x0
	v_mul_f64_e32 v[142:143], v[10:11], v[148:149]
	v_mul_f64_e32 v[144:145], v[12:13], v[148:149]
	v_add_f64_e32 v[138:139], v[156:157], v[150:151]
	v_add_f64_e32 v[134:135], v[134:135], v[152:153]
	v_fmac_f64_e32 v[2:3], v[6:7], v[166:167]
	v_fma_f64 v[4:5], v[4:5], v[166:167], -v[154:155]
	v_fmac_f64_e32 v[142:143], v[12:13], v[146:147]
	v_fma_f64 v[10:11], v[10:11], v[146:147], -v[144:145]
	v_add_f64_e32 v[6:7], v[138:139], v[136:137]
	v_add_f64_e32 v[134:135], v[134:135], v[140:141]
	s_delay_alu instid0(VALU_DEP_2) | instskip(NEXT) | instid1(VALU_DEP_2)
	v_add_f64_e32 v[4:5], v[6:7], v[4:5]
	v_add_f64_e32 v[2:3], v[134:135], v[2:3]
	s_delay_alu instid0(VALU_DEP_2) | instskip(NEXT) | instid1(VALU_DEP_2)
	;; [unrolled: 3-line block ×3, first 2 shown]
	v_add_f64_e64 v[2:3], v[178:179], -v[4:5]
	v_add_f64_e64 v[4:5], v[180:181], -v[6:7]
	scratch_store_b128 off, v[2:5], off offset:16
	s_wait_xcnt 0x0
	v_cmpx_ne_u32_e32 0, v1
	s_cbranch_execz .LBB123_373
; %bb.372:
	scratch_load_b128 v[2:5], off, off
	v_mov_b32_e32 v10, 0
	s_delay_alu instid0(VALU_DEP_1)
	v_dual_mov_b32 v11, v10 :: v_dual_mov_b32 v12, v10
	v_mov_b32_e32 v13, v10
	scratch_store_b128 off, v[10:13], off
	s_wait_loadcnt 0x0
	ds_store_b128 v8, v[2:5]
.LBB123_373:
	s_wait_xcnt 0x0
	s_or_b32 exec_lo, exec_lo, s2
	s_wait_storecnt_dscnt 0x0
	s_barrier_signal -1
	s_barrier_wait -1
	s_clause 0x9
	scratch_load_b128 v[2:5], off, off offset:16
	scratch_load_b128 v[6:9], off, off offset:32
	;; [unrolled: 1-line block ×10, first 2 shown]
	v_mov_b32_e32 v182, 0
	v_lshl_add_u64 v[66:67], v[66:67], 4, s[4:5]
	v_lshl_add_u64 v[72:73], v[72:73], 4, s[4:5]
	s_and_b32 vcc_lo, exec_lo, s72
	ds_load_b128 v[162:165], v182 offset:976
	s_clause 0x2
	scratch_load_b128 v[166:169], off, off offset:176
	scratch_load_b128 v[184:187], off, off
	scratch_load_b128 v[174:177], off, off offset:192
	s_wait_loadcnt_dscnt 0xc00
	v_mul_f64_e32 v[178:179], v[164:165], v[4:5]
	v_mul_f64_e32 v[188:189], v[162:163], v[4:5]
	ds_load_b128 v[170:173], v182 offset:992
	v_fma_f64 v[192:193], v[162:163], v[2:3], -v[178:179]
	v_fmac_f64_e32 v[188:189], v[164:165], v[2:3]
	ds_load_b128 v[2:5], v182 offset:1008
	s_wait_loadcnt_dscnt 0xb01
	v_mul_f64_e32 v[190:191], v[170:171], v[8:9]
	v_mul_f64_e32 v[8:9], v[172:173], v[8:9]
	scratch_load_b128 v[162:165], off, off offset:208
	ds_load_b128 v[178:181], v182 offset:1024
	s_wait_loadcnt_dscnt 0xb01
	v_mul_f64_e32 v[194:195], v[2:3], v[12:13]
	v_mul_f64_e32 v[12:13], v[4:5], v[12:13]
	v_add_f64_e32 v[188:189], 0, v[188:189]
	v_fmac_f64_e32 v[190:191], v[172:173], v[6:7]
	v_fma_f64 v[170:171], v[170:171], v[6:7], -v[8:9]
	v_add_f64_e32 v[172:173], 0, v[192:193]
	scratch_load_b128 v[6:9], off, off offset:224
	v_fmac_f64_e32 v[194:195], v[4:5], v[10:11]
	v_fma_f64 v[196:197], v[2:3], v[10:11], -v[12:13]
	ds_load_b128 v[2:5], v182 offset:1040
	s_wait_loadcnt_dscnt 0xb01
	v_mul_f64_e32 v[192:193], v[178:179], v[136:137]
	v_mul_f64_e32 v[136:137], v[180:181], v[136:137]
	scratch_load_b128 v[10:13], off, off offset:240
	v_add_f64_e32 v[188:189], v[188:189], v[190:191]
	v_add_f64_e32 v[198:199], v[172:173], v[170:171]
	ds_load_b128 v[170:173], v182 offset:1056
	s_wait_loadcnt_dscnt 0xb01
	v_mul_f64_e32 v[190:191], v[2:3], v[140:141]
	v_mul_f64_e32 v[140:141], v[4:5], v[140:141]
	v_fmac_f64_e32 v[192:193], v[180:181], v[134:135]
	v_fma_f64 v[178:179], v[178:179], v[134:135], -v[136:137]
	scratch_load_b128 v[134:137], off, off offset:256
	v_add_f64_e32 v[188:189], v[188:189], v[194:195]
	v_add_f64_e32 v[180:181], v[198:199], v[196:197]
	v_fmac_f64_e32 v[190:191], v[4:5], v[138:139]
	v_fma_f64 v[196:197], v[2:3], v[138:139], -v[140:141]
	ds_load_b128 v[2:5], v182 offset:1072
	s_wait_loadcnt_dscnt 0xb01
	v_mul_f64_e32 v[194:195], v[170:171], v[144:145]
	v_mul_f64_e32 v[144:145], v[172:173], v[144:145]
	scratch_load_b128 v[138:141], off, off offset:272
	v_add_f64_e32 v[188:189], v[188:189], v[192:193]
	s_wait_loadcnt_dscnt 0xb00
	v_mul_f64_e32 v[192:193], v[2:3], v[148:149]
	v_add_f64_e32 v[198:199], v[180:181], v[178:179]
	v_mul_f64_e32 v[148:149], v[4:5], v[148:149]
	ds_load_b128 v[178:181], v182 offset:1088
	v_fmac_f64_e32 v[194:195], v[172:173], v[142:143]
	v_fma_f64 v[170:171], v[170:171], v[142:143], -v[144:145]
	scratch_load_b128 v[142:145], off, off offset:288
	v_add_f64_e32 v[188:189], v[188:189], v[190:191]
	v_fmac_f64_e32 v[192:193], v[4:5], v[146:147]
	v_add_f64_e32 v[172:173], v[198:199], v[196:197]
	v_fma_f64 v[196:197], v[2:3], v[146:147], -v[148:149]
	ds_load_b128 v[2:5], v182 offset:1104
	s_wait_loadcnt_dscnt 0xb01
	v_mul_f64_e32 v[190:191], v[178:179], v[152:153]
	v_mul_f64_e32 v[152:153], v[180:181], v[152:153]
	scratch_load_b128 v[146:149], off, off offset:304
	v_add_f64_e32 v[188:189], v[188:189], v[194:195]
	s_wait_loadcnt_dscnt 0xb00
	v_mul_f64_e32 v[194:195], v[2:3], v[156:157]
	v_add_f64_e32 v[198:199], v[172:173], v[170:171]
	v_mul_f64_e32 v[156:157], v[4:5], v[156:157]
	ds_load_b128 v[170:173], v182 offset:1120
	v_fmac_f64_e32 v[190:191], v[180:181], v[150:151]
	v_fma_f64 v[178:179], v[178:179], v[150:151], -v[152:153]
	scratch_load_b128 v[150:153], off, off offset:320
	v_add_f64_e32 v[188:189], v[188:189], v[192:193]
	v_fmac_f64_e32 v[194:195], v[4:5], v[154:155]
	v_add_f64_e32 v[180:181], v[198:199], v[196:197]
	;; [unrolled: 18-line block ×3, first 2 shown]
	v_fma_f64 v[196:197], v[2:3], v[166:167], -v[168:169]
	ds_load_b128 v[2:5], v182 offset:1168
	s_wait_loadcnt_dscnt 0xa01
	v_mul_f64_e32 v[194:195], v[178:179], v[176:177]
	v_mul_f64_e32 v[176:177], v[180:181], v[176:177]
	scratch_load_b128 v[166:169], off, off offset:368
	v_add_f64_e32 v[188:189], v[188:189], v[192:193]
	v_add_f64_e32 v[198:199], v[172:173], v[170:171]
	s_wait_loadcnt_dscnt 0xa00
	v_mul_f64_e32 v[192:193], v[2:3], v[164:165]
	v_mul_f64_e32 v[164:165], v[4:5], v[164:165]
	v_fmac_f64_e32 v[194:195], v[180:181], v[174:175]
	v_fma_f64 v[178:179], v[178:179], v[174:175], -v[176:177]
	ds_load_b128 v[170:173], v182 offset:1184
	scratch_load_b128 v[174:177], off, off offset:384
	v_add_f64_e32 v[188:189], v[188:189], v[190:191]
	v_add_f64_e32 v[180:181], v[198:199], v[196:197]
	v_fmac_f64_e32 v[192:193], v[4:5], v[162:163]
	v_fma_f64 v[196:197], v[2:3], v[162:163], -v[164:165]
	ds_load_b128 v[2:5], v182 offset:1200
	s_wait_loadcnt_dscnt 0xa01
	v_mul_f64_e32 v[190:191], v[170:171], v[8:9]
	v_mul_f64_e32 v[8:9], v[172:173], v[8:9]
	scratch_load_b128 v[162:165], off, off offset:400
	v_add_f64_e32 v[188:189], v[188:189], v[194:195]
	s_wait_loadcnt_dscnt 0xa00
	v_mul_f64_e32 v[194:195], v[2:3], v[12:13]
	v_add_f64_e32 v[198:199], v[180:181], v[178:179]
	v_mul_f64_e32 v[12:13], v[4:5], v[12:13]
	ds_load_b128 v[178:181], v182 offset:1216
	v_fmac_f64_e32 v[190:191], v[172:173], v[6:7]
	v_fma_f64 v[170:171], v[170:171], v[6:7], -v[8:9]
	scratch_load_b128 v[6:9], off, off offset:416
	v_add_f64_e32 v[188:189], v[188:189], v[192:193]
	v_fmac_f64_e32 v[194:195], v[4:5], v[10:11]
	v_add_f64_e32 v[172:173], v[198:199], v[196:197]
	v_fma_f64 v[196:197], v[2:3], v[10:11], -v[12:13]
	ds_load_b128 v[2:5], v182 offset:1232
	s_wait_loadcnt_dscnt 0xa01
	v_mul_f64_e32 v[192:193], v[178:179], v[136:137]
	v_mul_f64_e32 v[136:137], v[180:181], v[136:137]
	scratch_load_b128 v[10:13], off, off offset:432
	v_add_f64_e32 v[188:189], v[188:189], v[190:191]
	s_wait_loadcnt_dscnt 0xa00
	v_mul_f64_e32 v[190:191], v[2:3], v[140:141]
	v_add_f64_e32 v[198:199], v[172:173], v[170:171]
	v_mul_f64_e32 v[140:141], v[4:5], v[140:141]
	ds_load_b128 v[170:173], v182 offset:1248
	v_fmac_f64_e32 v[192:193], v[180:181], v[134:135]
	v_fma_f64 v[178:179], v[178:179], v[134:135], -v[136:137]
	scratch_load_b128 v[134:137], off, off offset:448
	v_add_f64_e32 v[188:189], v[188:189], v[194:195]
	v_fmac_f64_e32 v[190:191], v[4:5], v[138:139]
	v_add_f64_e32 v[180:181], v[198:199], v[196:197]
	;; [unrolled: 18-line block ×17, first 2 shown]
	v_fma_f64 v[196:197], v[2:3], v[166:167], -v[168:169]
	ds_load_b128 v[2:5], v182 offset:1744
	s_wait_loadcnt_dscnt 0xa01
	v_mul_f64_e32 v[194:195], v[178:179], v[176:177]
	v_mul_f64_e32 v[176:177], v[180:181], v[176:177]
	scratch_load_b128 v[166:169], off, off offset:944
	v_add_f64_e32 v[188:189], v[188:189], v[192:193]
	s_wait_loadcnt_dscnt 0xa00
	v_mul_f64_e32 v[192:193], v[2:3], v[164:165]
	v_add_f64_e32 v[198:199], v[172:173], v[170:171]
	v_mul_f64_e32 v[164:165], v[4:5], v[164:165]
	ds_load_b128 v[170:173], v182 offset:1760
	v_fmac_f64_e32 v[194:195], v[180:181], v[174:175]
	v_fma_f64 v[174:175], v[178:179], v[174:175], -v[176:177]
	s_wait_loadcnt_dscnt 0x900
	v_mul_f64_e32 v[180:181], v[170:171], v[8:9]
	v_mul_f64_e32 v[8:9], v[172:173], v[8:9]
	v_add_f64_e32 v[178:179], v[188:189], v[190:191]
	v_fmac_f64_e32 v[192:193], v[4:5], v[162:163]
	v_add_f64_e32 v[176:177], v[198:199], v[196:197]
	v_fma_f64 v[188:189], v[2:3], v[162:163], -v[164:165]
	ds_load_b128 v[2:5], v182 offset:1776
	ds_load_b128 v[162:165], v182 offset:1792
	v_fmac_f64_e32 v[180:181], v[172:173], v[6:7]
	v_fma_f64 v[6:7], v[170:171], v[6:7], -v[8:9]
	v_add_f64_e32 v[174:175], v[176:177], v[174:175]
	v_add_f64_e32 v[176:177], v[178:179], v[194:195]
	s_wait_loadcnt_dscnt 0x801
	v_mul_f64_e32 v[178:179], v[2:3], v[12:13]
	v_mul_f64_e32 v[12:13], v[4:5], v[12:13]
	s_wait_loadcnt_dscnt 0x700
	v_mul_f64_e32 v[172:173], v[162:163], v[136:137]
	v_mul_f64_e32 v[136:137], v[164:165], v[136:137]
	v_add_f64_e32 v[8:9], v[174:175], v[188:189]
	v_add_f64_e32 v[170:171], v[176:177], v[192:193]
	v_fmac_f64_e32 v[178:179], v[4:5], v[10:11]
	v_fma_f64 v[10:11], v[2:3], v[10:11], -v[12:13]
	v_lshl_add_u64 v[176:177], v[22:23], 4, s[4:5]
	v_fmac_f64_e32 v[172:173], v[164:165], v[134:135]
	v_fma_f64 v[134:135], v[162:163], v[134:135], -v[136:137]
	v_lshl_add_u64 v[164:165], v[34:35], 4, s[4:5]
	v_lshl_add_u64 v[34:35], v[104:105], 4, s[4:5]
	;; [unrolled: 1-line block ×3, first 2 shown]
	v_add_f64_e32 v[12:13], v[8:9], v[6:7]
	v_add_f64_e32 v[170:171], v[170:171], v[180:181]
	ds_load_b128 v[2:5], v182 offset:1808
	ds_load_b128 v[6:9], v182 offset:1824
	v_lshl_add_u64 v[180:181], v[18:19], 4, s[4:5]
	v_lshl_add_u64 v[18:19], v[120:121], 4, s[4:5]
	s_wait_loadcnt_dscnt 0x601
	v_mul_f64_e32 v[174:175], v[2:3], v[140:141]
	v_mul_f64_e32 v[140:141], v[4:5], v[140:141]
	s_wait_loadcnt_dscnt 0x500
	v_mul_f64_e32 v[136:137], v[6:7], v[144:145]
	v_mul_f64_e32 v[144:145], v[8:9], v[144:145]
	v_add_f64_e32 v[10:11], v[12:13], v[10:11]
	v_add_f64_e32 v[12:13], v[170:171], v[178:179]
	v_lshl_add_u64 v[178:179], v[20:21], 4, s[4:5]
	v_lshl_add_u64 v[170:171], v[28:29], 4, s[4:5]
	;; [unrolled: 1-line block ×4, first 2 shown]
	v_fmac_f64_e32 v[174:175], v[4:5], v[138:139]
	v_fma_f64 v[138:139], v[2:3], v[138:139], -v[140:141]
	v_fmac_f64_e32 v[136:137], v[8:9], v[142:143]
	v_fma_f64 v[6:7], v[6:7], v[142:143], -v[144:145]
	v_add_f64_e32 v[134:135], v[10:11], v[134:135]
	v_add_f64_e32 v[140:141], v[12:13], v[172:173]
	ds_load_b128 v[2:5], v182 offset:1840
	ds_load_b128 v[10:13], v182 offset:1856
	v_lshl_add_u64 v[172:173], v[26:27], 4, s[4:5]
	v_lshl_add_u64 v[26:27], v[112:113], 4, s[4:5]
	s_wait_loadcnt_dscnt 0x401
	v_mul_f64_e32 v[162:163], v[2:3], v[148:149]
	v_mul_f64_e32 v[148:149], v[4:5], v[148:149]
	v_add_f64_e32 v[8:9], v[134:135], v[138:139]
	v_add_f64_e32 v[134:135], v[140:141], v[174:175]
	s_wait_loadcnt_dscnt 0x300
	v_mul_f64_e32 v[138:139], v[10:11], v[152:153]
	v_mul_f64_e32 v[140:141], v[12:13], v[152:153]
	v_lshl_add_u64 v[174:175], v[24:25], 4, s[4:5]
	v_lshl_add_u64 v[152:153], v[46:47], 4, s[4:5]
	;; [unrolled: 1-line block ×4, first 2 shown]
	v_fmac_f64_e32 v[162:163], v[4:5], v[146:147]
	v_fma_f64 v[142:143], v[2:3], v[146:147], -v[148:149]
	v_lshl_add_u64 v[148:149], v[50:51], 4, s[4:5]
	v_lshl_add_u64 v[50:51], v[88:89], 4, s[4:5]
	v_add_f64_e32 v[144:145], v[8:9], v[6:7]
	v_add_f64_e32 v[134:135], v[134:135], v[136:137]
	ds_load_b128 v[2:5], v182 offset:1872
	ds_load_b128 v[6:9], v182 offset:1888
	v_fmac_f64_e32 v[138:139], v[12:13], v[150:151]
	v_fma_f64 v[10:11], v[10:11], v[150:151], -v[140:141]
	v_lshl_add_u64 v[150:151], v[48:49], 4, s[4:5]
	v_lshl_add_u64 v[48:49], v[90:91], 4, s[4:5]
	s_wait_loadcnt_dscnt 0x201
	v_mul_f64_e32 v[136:137], v[2:3], v[156:157]
	v_mul_f64_e32 v[146:147], v[4:5], v[156:157]
	s_wait_loadcnt_dscnt 0x100
	v_mul_f64_e32 v[140:141], v[6:7], v[160:161]
	v_lshl_add_u64 v[156:157], v[42:43], 4, s[4:5]
	v_lshl_add_u64 v[42:43], v[96:97], 4, s[4:5]
	v_add_f64_e32 v[12:13], v[144:145], v[142:143]
	v_add_f64_e32 v[134:135], v[134:135], v[162:163]
	v_mul_f64_e32 v[142:143], v[8:9], v[160:161]
	v_lshl_add_u64 v[162:163], v[36:37], 4, s[4:5]
	v_lshl_add_u64 v[160:161], v[38:39], 4, s[4:5]
	;; [unrolled: 1-line block ×4, first 2 shown]
	v_fmac_f64_e32 v[136:137], v[4:5], v[154:155]
	v_fma_f64 v[144:145], v[2:3], v[154:155], -v[146:147]
	ds_load_b128 v[2:5], v182 offset:1904
	v_fmac_f64_e32 v[140:141], v[8:9], v[158:159]
	v_lshl_add_u64 v[154:155], v[44:45], 4, s[4:5]
	v_lshl_add_u64 v[146:147], v[52:53], 4, s[4:5]
	v_lshl_add_u64 v[52:53], v[86:87], 4, s[4:5]
	v_lshl_add_u64 v[44:45], v[94:95], 4, s[4:5]
	v_add_f64_e32 v[10:11], v[12:13], v[10:11]
	v_add_f64_e32 v[12:13], v[134:135], v[138:139]
	v_fma_f64 v[6:7], v[6:7], v[158:159], -v[142:143]
	v_lshl_add_u64 v[158:159], v[40:41], 4, s[4:5]
	v_lshl_add_u64 v[142:143], v[56:57], 4, s[4:5]
	;; [unrolled: 1-line block ×4, first 2 shown]
	s_wait_loadcnt_dscnt 0x0
	v_mul_f64_e32 v[134:135], v[2:3], v[168:169]
	v_mul_f64_e32 v[138:139], v[4:5], v[168:169]
	v_lshl_add_u64 v[168:169], v[30:31], 4, s[4:5]
	v_lshl_add_u64 v[30:31], v[108:109], 4, s[4:5]
	v_add_f64_e32 v[8:9], v[10:11], v[144:145]
	v_add_f64_e32 v[10:11], v[12:13], v[136:137]
	v_lshl_add_u64 v[144:145], v[54:55], 4, s[4:5]
	v_lshl_add_u64 v[136:137], v[62:63], 4, s[4:5]
	;; [unrolled: 1-line block ×6, first 2 shown]
	v_fmac_f64_e32 v[134:135], v[4:5], v[166:167]
	v_fma_f64 v[2:3], v[2:3], v[166:167], -v[138:139]
	v_lshl_add_u64 v[166:167], v[32:33], 4, s[4:5]
	v_lshl_add_u64 v[138:139], v[60:61], 4, s[4:5]
	;; [unrolled: 1-line block ×4, first 2 shown]
	v_add_f64_e32 v[4:5], v[8:9], v[6:7]
	v_add_f64_e32 v[6:7], v[10:11], v[140:141]
	v_lshl_add_u64 v[140:141], v[58:59], 4, s[4:5]
	v_lshl_add_u64 v[58:59], v[70:71], 4, s[4:5]
	;; [unrolled: 1-line block ×5, first 2 shown]
	v_add_f64_e32 v[2:3], v[4:5], v[2:3]
	v_add_f64_e32 v[4:5], v[6:7], v[134:135]
	v_lshl_add_u64 v[134:135], v[64:65], 4, s[4:5]
	v_lshl_add_u64 v[64:65], v[80:81], 4, s[4:5]
	;; [unrolled: 1-line block ×3, first 2 shown]
	v_add_f64_e64 v[184:185], v[184:185], -v[2:3]
	v_add_f64_e64 v[186:187], v[186:187], -v[4:5]
	v_lshl_add_u64 v[4:5], v[130:131], 4, s[4:5]
	v_lshl_add_u64 v[2:3], v[132:133], 4, s[4:5]
	scratch_store_b128 off, v[184:187], off
	s_cbranch_vccz .LBB123_492
; %bb.374:
	global_load_b32 v74, v182, s[8:9] offset:232
	s_load_b64 s[2:3], s[0:1], 0x4
	v_bfe_u32 v75, v0, 10, 10
	v_bfe_u32 v0, v0, 20, 10
	s_wait_kmcnt 0x0
	s_lshr_b32 s0, s2, 16
	s_delay_alu instid0(VALU_DEP_2) | instskip(SKIP_1) | instid1(SALU_CYCLE_1)
	v_mul_u32_u24_e32 v75, s3, v75
	s_mul_i32 s0, s0, s3
	v_mul_u32_u24_e32 v1, s0, v1
	s_delay_alu instid0(VALU_DEP_1) | instskip(NEXT) | instid1(VALU_DEP_1)
	v_add3_u32 v0, v1, v75, v0
	v_lshl_add_u32 v0, v0, 4, 0x788
	s_wait_loadcnt 0x0
	v_cmp_ne_u32_e32 vcc_lo, 59, v74
	s_cbranch_vccz .LBB123_376
; %bb.375:
	v_lshlrev_b32_e32 v1, 4, v74
	s_clause 0x1
	scratch_load_b128 v[74:77], off, s15
	scratch_load_b128 v[78:81], v1, off offset:-16
	s_wait_loadcnt 0x1
	ds_store_2addr_b64 v0, v[74:75], v[76:77] offset1:1
	s_wait_loadcnt 0x0
	s_clause 0x1
	scratch_store_b128 off, v[78:81], s15
	scratch_store_b128 v1, v[74:77], off offset:-16
.LBB123_376:
	s_wait_xcnt 0x0
	v_mov_b32_e32 v1, 0
	global_load_b32 v74, v1, s[8:9] offset:228
	s_wait_loadcnt 0x0
	v_cmp_eq_u32_e32 vcc_lo, 58, v74
	s_cbranch_vccnz .LBB123_378
; %bb.377:
	v_lshlrev_b32_e32 v74, 4, v74
	s_delay_alu instid0(VALU_DEP_1)
	v_mov_b32_e32 v82, v74
	s_clause 0x1
	scratch_load_b128 v[74:77], off, s17
	scratch_load_b128 v[78:81], v82, off offset:-16
	s_wait_loadcnt 0x1
	ds_store_2addr_b64 v0, v[74:75], v[76:77] offset1:1
	s_wait_loadcnt 0x0
	s_clause 0x1
	scratch_store_b128 off, v[78:81], s17
	scratch_store_b128 v82, v[74:77], off offset:-16
.LBB123_378:
	global_load_b32 v1, v1, s[8:9] offset:224
	s_wait_loadcnt 0x0
	v_cmp_eq_u32_e32 vcc_lo, 57, v1
	s_cbranch_vccnz .LBB123_380
; %bb.379:
	s_wait_xcnt 0x0
	v_lshlrev_b32_e32 v1, 4, v1
	s_clause 0x1
	scratch_load_b128 v[74:77], off, s19
	scratch_load_b128 v[78:81], v1, off offset:-16
	s_wait_loadcnt 0x1
	ds_store_2addr_b64 v0, v[74:75], v[76:77] offset1:1
	s_wait_loadcnt 0x0
	s_clause 0x1
	scratch_store_b128 off, v[78:81], s19
	scratch_store_b128 v1, v[74:77], off offset:-16
.LBB123_380:
	s_wait_xcnt 0x0
	v_mov_b32_e32 v1, 0
	global_load_b32 v74, v1, s[8:9] offset:220
	s_wait_loadcnt 0x0
	v_cmp_eq_u32_e32 vcc_lo, 56, v74
	s_cbranch_vccnz .LBB123_382
; %bb.381:
	v_lshlrev_b32_e32 v74, 4, v74
	s_delay_alu instid0(VALU_DEP_1)
	v_mov_b32_e32 v82, v74
	s_clause 0x1
	scratch_load_b128 v[74:77], off, s20
	scratch_load_b128 v[78:81], v82, off offset:-16
	s_wait_loadcnt 0x1
	ds_store_2addr_b64 v0, v[74:75], v[76:77] offset1:1
	s_wait_loadcnt 0x0
	s_clause 0x1
	scratch_store_b128 off, v[78:81], s20
	scratch_store_b128 v82, v[74:77], off offset:-16
.LBB123_382:
	global_load_b32 v1, v1, s[8:9] offset:216
	s_wait_loadcnt 0x0
	v_cmp_eq_u32_e32 vcc_lo, 55, v1
	s_cbranch_vccnz .LBB123_384
; %bb.383:
	s_wait_xcnt 0x0
	v_lshlrev_b32_e32 v1, 4, v1
	s_clause 0x1
	scratch_load_b128 v[74:77], off, s21
	scratch_load_b128 v[78:81], v1, off offset:-16
	s_wait_loadcnt 0x1
	ds_store_2addr_b64 v0, v[74:75], v[76:77] offset1:1
	s_wait_loadcnt 0x0
	s_clause 0x1
	scratch_store_b128 off, v[78:81], s21
	scratch_store_b128 v1, v[74:77], off offset:-16
.LBB123_384:
	;; [unrolled: 37-line block ×28, first 2 shown]
	s_wait_xcnt 0x0
	v_mov_b32_e32 v1, 0
	global_load_b32 v74, v1, s[8:9] offset:4
	s_wait_loadcnt 0x0
	v_cmp_eq_u32_e32 vcc_lo, 2, v74
	s_cbranch_vccnz .LBB123_490
; %bb.489:
	v_lshlrev_b32_e32 v74, 4, v74
	s_delay_alu instid0(VALU_DEP_1)
	v_mov_b32_e32 v82, v74
	s_clause 0x1
	scratch_load_b128 v[74:77], off, s18
	scratch_load_b128 v[78:81], v82, off offset:-16
	s_wait_loadcnt 0x1
	ds_store_2addr_b64 v0, v[74:75], v[76:77] offset1:1
	s_wait_loadcnt 0x0
	s_clause 0x1
	scratch_store_b128 off, v[78:81], s18
	scratch_store_b128 v82, v[74:77], off offset:-16
.LBB123_490:
	global_load_b32 v1, v1, s[8:9]
	s_wait_loadcnt 0x0
	v_cmp_eq_u32_e32 vcc_lo, 1, v1
	s_cbranch_vccnz .LBB123_492
; %bb.491:
	s_wait_xcnt 0x0
	v_lshlrev_b32_e32 v1, 4, v1
	scratch_load_b128 v[74:77], off, off
	scratch_load_b128 v[78:81], v1, off offset:-16
	s_wait_loadcnt 0x1
	ds_store_2addr_b64 v0, v[74:75], v[76:77] offset1:1
	s_wait_loadcnt 0x0
	scratch_store_b128 off, v[78:81], off
	scratch_store_b128 v1, v[74:77], off offset:-16
.LBB123_492:
	scratch_load_b128 v[74:77], off, off
	s_wait_loadcnt 0x0
	flat_store_b128 v[14:15], v[74:77]
	scratch_load_b128 v[74:77], off, s18
	s_wait_loadcnt 0x0
	flat_store_b128 v[16:17], v[74:77]
	scratch_load_b128 v[14:17], off, s16
	;; [unrolled: 3-line block ×59, first 2 shown]
	s_wait_loadcnt 0x0
	flat_store_b128 v[2:3], v[4:7]
	s_sendmsg sendmsg(MSG_DEALLOC_VGPRS)
	s_endpgm
	.section	.rodata,"a",@progbits
	.p2align	6, 0x0
	.amdhsa_kernel _ZN9rocsolver6v33100L18getri_kernel_smallILi60E19rocblas_complex_numIdEPKPS3_EEvT1_iilPiilS8_bb
		.amdhsa_group_segment_fixed_size 2952
		.amdhsa_private_segment_fixed_size 976
		.amdhsa_kernarg_size 60
		.amdhsa_user_sgpr_count 4
		.amdhsa_user_sgpr_dispatch_ptr 1
		.amdhsa_user_sgpr_queue_ptr 0
		.amdhsa_user_sgpr_kernarg_segment_ptr 1
		.amdhsa_user_sgpr_dispatch_id 0
		.amdhsa_user_sgpr_kernarg_preload_length 0
		.amdhsa_user_sgpr_kernarg_preload_offset 0
		.amdhsa_user_sgpr_private_segment_size 0
		.amdhsa_wavefront_size32 1
		.amdhsa_uses_dynamic_stack 0
		.amdhsa_enable_private_segment 1
		.amdhsa_system_sgpr_workgroup_id_x 1
		.amdhsa_system_sgpr_workgroup_id_y 0
		.amdhsa_system_sgpr_workgroup_id_z 0
		.amdhsa_system_sgpr_workgroup_info 0
		.amdhsa_system_vgpr_workitem_id 2
		.amdhsa_next_free_vgpr 202
		.amdhsa_next_free_sgpr 100
		.amdhsa_named_barrier_count 0
		.amdhsa_reserve_vcc 1
		.amdhsa_float_round_mode_32 0
		.amdhsa_float_round_mode_16_64 0
		.amdhsa_float_denorm_mode_32 3
		.amdhsa_float_denorm_mode_16_64 3
		.amdhsa_fp16_overflow 0
		.amdhsa_memory_ordered 1
		.amdhsa_forward_progress 1
		.amdhsa_inst_pref_size 255
		.amdhsa_round_robin_scheduling 0
		.amdhsa_exception_fp_ieee_invalid_op 0
		.amdhsa_exception_fp_denorm_src 0
		.amdhsa_exception_fp_ieee_div_zero 0
		.amdhsa_exception_fp_ieee_overflow 0
		.amdhsa_exception_fp_ieee_underflow 0
		.amdhsa_exception_fp_ieee_inexact 0
		.amdhsa_exception_int_div_zero 0
	.end_amdhsa_kernel
	.section	.text._ZN9rocsolver6v33100L18getri_kernel_smallILi60E19rocblas_complex_numIdEPKPS3_EEvT1_iilPiilS8_bb,"axG",@progbits,_ZN9rocsolver6v33100L18getri_kernel_smallILi60E19rocblas_complex_numIdEPKPS3_EEvT1_iilPiilS8_bb,comdat
.Lfunc_end123:
	.size	_ZN9rocsolver6v33100L18getri_kernel_smallILi60E19rocblas_complex_numIdEPKPS3_EEvT1_iilPiilS8_bb, .Lfunc_end123-_ZN9rocsolver6v33100L18getri_kernel_smallILi60E19rocblas_complex_numIdEPKPS3_EEvT1_iilPiilS8_bb
                                        ; -- End function
	.set _ZN9rocsolver6v33100L18getri_kernel_smallILi60E19rocblas_complex_numIdEPKPS3_EEvT1_iilPiilS8_bb.num_vgpr, 202
	.set _ZN9rocsolver6v33100L18getri_kernel_smallILi60E19rocblas_complex_numIdEPKPS3_EEvT1_iilPiilS8_bb.num_agpr, 0
	.set _ZN9rocsolver6v33100L18getri_kernel_smallILi60E19rocblas_complex_numIdEPKPS3_EEvT1_iilPiilS8_bb.numbered_sgpr, 100
	.set _ZN9rocsolver6v33100L18getri_kernel_smallILi60E19rocblas_complex_numIdEPKPS3_EEvT1_iilPiilS8_bb.num_named_barrier, 0
	.set _ZN9rocsolver6v33100L18getri_kernel_smallILi60E19rocblas_complex_numIdEPKPS3_EEvT1_iilPiilS8_bb.private_seg_size, 976
	.set _ZN9rocsolver6v33100L18getri_kernel_smallILi60E19rocblas_complex_numIdEPKPS3_EEvT1_iilPiilS8_bb.uses_vcc, 1
	.set _ZN9rocsolver6v33100L18getri_kernel_smallILi60E19rocblas_complex_numIdEPKPS3_EEvT1_iilPiilS8_bb.uses_flat_scratch, 1
	.set _ZN9rocsolver6v33100L18getri_kernel_smallILi60E19rocblas_complex_numIdEPKPS3_EEvT1_iilPiilS8_bb.has_dyn_sized_stack, 0
	.set _ZN9rocsolver6v33100L18getri_kernel_smallILi60E19rocblas_complex_numIdEPKPS3_EEvT1_iilPiilS8_bb.has_recursion, 0
	.set _ZN9rocsolver6v33100L18getri_kernel_smallILi60E19rocblas_complex_numIdEPKPS3_EEvT1_iilPiilS8_bb.has_indirect_call, 0
	.section	.AMDGPU.csdata,"",@progbits
; Kernel info:
; codeLenInByte = 129212
; TotalNumSgprs: 102
; NumVgprs: 202
; ScratchSize: 976
; MemoryBound: 0
; FloatMode: 240
; IeeeMode: 1
; LDSByteSize: 2952 bytes/workgroup (compile time only)
; SGPRBlocks: 0
; VGPRBlocks: 12
; NumSGPRsForWavesPerEU: 102
; NumVGPRsForWavesPerEU: 202
; NamedBarCnt: 0
; Occupancy: 4
; WaveLimiterHint : 1
; COMPUTE_PGM_RSRC2:SCRATCH_EN: 1
; COMPUTE_PGM_RSRC2:USER_SGPR: 4
; COMPUTE_PGM_RSRC2:TRAP_HANDLER: 0
; COMPUTE_PGM_RSRC2:TGID_X_EN: 1
; COMPUTE_PGM_RSRC2:TGID_Y_EN: 0
; COMPUTE_PGM_RSRC2:TGID_Z_EN: 0
; COMPUTE_PGM_RSRC2:TIDIG_COMP_CNT: 2
	.section	.text._ZN9rocsolver6v33100L18getri_kernel_smallILi61E19rocblas_complex_numIdEPKPS3_EEvT1_iilPiilS8_bb,"axG",@progbits,_ZN9rocsolver6v33100L18getri_kernel_smallILi61E19rocblas_complex_numIdEPKPS3_EEvT1_iilPiilS8_bb,comdat
	.globl	_ZN9rocsolver6v33100L18getri_kernel_smallILi61E19rocblas_complex_numIdEPKPS3_EEvT1_iilPiilS8_bb ; -- Begin function _ZN9rocsolver6v33100L18getri_kernel_smallILi61E19rocblas_complex_numIdEPKPS3_EEvT1_iilPiilS8_bb
	.p2align	8
	.type	_ZN9rocsolver6v33100L18getri_kernel_smallILi61E19rocblas_complex_numIdEPKPS3_EEvT1_iilPiilS8_bb,@function
_ZN9rocsolver6v33100L18getri_kernel_smallILi61E19rocblas_complex_numIdEPKPS3_EEvT1_iilPiilS8_bb: ; @_ZN9rocsolver6v33100L18getri_kernel_smallILi61E19rocblas_complex_numIdEPKPS3_EEvT1_iilPiilS8_bb
; %bb.0:
	v_and_b32_e32 v1, 0x3ff, v0
	s_mov_b32 s4, exec_lo
	s_delay_alu instid0(VALU_DEP_1)
	v_cmpx_gt_u32_e32 61, v1
	s_cbranch_execz .LBB124_270
; %bb.1:
	s_clause 0x1
	s_load_b32 s14, s[2:3], 0x38
	s_load_b64 s[8:9], s[2:3], 0x0
	s_getreg_b32 s6, hwreg(HW_REG_IB_STS2, 6, 4)
	s_wait_kmcnt 0x0
	s_bitcmp1_b32 s14, 8
	s_cselect_b32 s75, -1, 0
	s_bfe_u32 s4, ttmp6, 0x4000c
	s_and_b32 s5, ttmp6, 15
	s_add_co_i32 s4, s4, 1
	s_delay_alu instid0(SALU_CYCLE_1) | instskip(NEXT) | instid1(SALU_CYCLE_1)
	s_mul_i32 s4, ttmp9, s4
	s_add_co_i32 s5, s5, s4
	s_cmp_eq_u32 s6, 0
	s_cselect_b32 s12, ttmp9, s5
	s_load_b128 s[4:7], s[2:3], 0x28
	s_ashr_i32 s13, s12, 31
	s_delay_alu instid0(SALU_CYCLE_1) | instskip(NEXT) | instid1(SALU_CYCLE_1)
	s_lshl_b64 s[10:11], s[12:13], 3
	s_add_nc_u64 s[8:9], s[8:9], s[10:11]
	s_load_b64 s[10:11], s[8:9], 0x0
	s_wait_xcnt 0x0
	s_bfe_u32 s8, s14, 0x10008
	s_delay_alu instid0(SALU_CYCLE_1)
	s_cmp_eq_u32 s8, 0
                                        ; implicit-def: $sgpr8_sgpr9
	s_cbranch_scc1 .LBB124_3
; %bb.2:
	s_load_b96 s[16:18], s[2:3], 0x18
	s_wait_kmcnt 0x0
	s_mul_u64 s[4:5], s[4:5], s[12:13]
	s_delay_alu instid0(SALU_CYCLE_1) | instskip(SKIP_4) | instid1(SALU_CYCLE_1)
	s_lshl_b64 s[4:5], s[4:5], 2
	s_ashr_i32 s9, s18, 31
	s_mov_b32 s8, s18
	s_add_nc_u64 s[4:5], s[16:17], s[4:5]
	s_lshl_b64 s[8:9], s[8:9], 2
	s_add_nc_u64 s[8:9], s[4:5], s[8:9]
.LBB124_3:
	s_wait_kmcnt 0x0
	s_clause 0x1
	s_load_b64 s[4:5], s[2:3], 0x8
	s_load_b32 s76, s[2:3], 0x38
	v_dual_mov_b32 v15, 0 :: v_dual_lshlrev_b32 v14, 4, v1
	s_movk_i32 s77, 0x230
	s_movk_i32 s78, 0x240
	;; [unrolled: 1-line block ×16, first 2 shown]
	s_wait_kmcnt 0x0
	s_ashr_i32 s3, s4, 31
	s_mov_b32 s2, s4
	v_add3_u32 v20, s5, s5, v1
	s_lshl_b64 s[2:3], s[2:3], 4
	s_movk_i32 s93, 0x330
	s_add_nc_u64 s[10:11], s[10:11], s[2:3]
	s_ashr_i32 s3, s5, 31
	flat_load_b128 v[2:5], v1, s[10:11] scale_offset
	v_add_nc_u64_e32 v[16:17], s[10:11], v[14:15]
	s_mov_b32 s2, s5
	v_add_nc_u32_e32 v22, s5, v20
	s_movk_i32 s94, 0x340
	s_movk_i32 s95, 0x350
	;; [unrolled: 1-line block ×4, first 2 shown]
	v_lshl_add_u64 v[18:19], s[2:3], 4, v[16:17]
	v_add_nc_u32_e32 v24, s5, v22
	s_movk_i32 s98, 0x380
	s_movk_i32 s99, 0x390
	;; [unrolled: 1-line block ×4, first 2 shown]
	v_add_nc_u32_e32 v26, s5, v24
	s_movk_i32 s104, 0x3c0
	s_mov_b32 s20, 16
	s_mov_b32 s18, 32
	;; [unrolled: 1-line block ×3, first 2 shown]
	v_add_nc_u32_e32 v28, s5, v26
	s_mov_b32 s14, 64
	s_movk_i32 s74, 0x50
	s_movk_i32 s73, 0x60
	s_movk_i32 s72, 0x70
	v_add_nc_u32_e32 v30, s5, v28
	s_movk_i32 s71, 0x80
	s_movk_i32 s70, 0x90
	s_movk_i32 s69, 0xa0
	s_movk_i32 s68, 0xb0
	v_add_nc_u32_e32 v32, s5, v30
	s_movk_i32 s67, 0xc0
	;; [unrolled: 5-line block ×7, first 2 shown]
	s_movk_i32 s46, 0x210
	s_movk_i32 s45, 0x220
	s_mov_b32 s44, s77
	v_add_nc_u32_e32 v44, s5, v42
	s_mov_b32 s43, s78
	s_mov_b32 s42, s79
	s_mov_b32 s41, s80
	s_mov_b32 s40, s81
	v_add_nc_u32_e32 v46, s5, v44
	s_mov_b32 s39, s82
	s_mov_b32 s38, s83
	s_mov_b32 s37, s84
	;; [unrolled: 5-line block ×6, first 2 shown]
	s_mov_b32 s17, s101
	v_add_nc_u32_e32 v56, s5, v54
	s_mov_b32 s15, s104
	s_bitcmp0_b32 s76, 0
	s_mov_b32 s3, -1
	s_delay_alu instid0(VALU_DEP_1) | instskip(NEXT) | instid1(VALU_DEP_1)
	v_add_nc_u32_e32 v58, s5, v56
	v_add_nc_u32_e32 v60, s5, v58
	s_delay_alu instid0(VALU_DEP_1) | instskip(NEXT) | instid1(VALU_DEP_1)
	v_add_nc_u32_e32 v62, s5, v60
	v_add_nc_u32_e32 v64, s5, v62
	;; [unrolled: 3-line block ×20, first 2 shown]
	s_wait_loadcnt_dscnt 0x0
	scratch_store_b128 off, v[2:5], off
	flat_load_b128 v[2:5], v[18:19]
	s_wait_loadcnt_dscnt 0x0
	scratch_store_b128 off, v[2:5], off offset:16
	flat_load_b128 v[2:5], v20, s[10:11] scale_offset
	s_wait_loadcnt_dscnt 0x0
	scratch_store_b128 off, v[2:5], off offset:32
	flat_load_b128 v[2:5], v22, s[10:11] scale_offset
	;; [unrolled: 3-line block ×59, first 2 shown]
	s_wait_loadcnt_dscnt 0x0
	scratch_store_b128 off, v[2:5], off offset:960
	s_cbranch_scc1 .LBB124_268
; %bb.4:
	v_cmp_eq_u32_e64 s2, 0, v1
	s_wait_xcnt 0x0
	s_and_saveexec_b32 s3, s2
; %bb.5:
	v_mov_b32_e32 v2, 0
	ds_store_b32 v2, v2 offset:1952
; %bb.6:
	s_or_b32 exec_lo, exec_lo, s3
	s_wait_storecnt_dscnt 0x0
	s_barrier_signal -1
	s_barrier_wait -1
	scratch_load_b128 v[2:5], v1, off scale_offset
	s_wait_loadcnt 0x0
	v_cmp_eq_f64_e32 vcc_lo, 0, v[2:3]
	v_cmp_eq_f64_e64 s3, 0, v[4:5]
	s_and_b32 s3, vcc_lo, s3
	s_delay_alu instid0(SALU_CYCLE_1)
	s_and_saveexec_b32 s4, s3
	s_cbranch_execz .LBB124_10
; %bb.7:
	v_mov_b32_e32 v2, 0
	s_mov_b32 s5, 0
	ds_load_b32 v3, v2 offset:1952
	s_wait_dscnt 0x0
	v_readfirstlane_b32 s3, v3
	v_add_nc_u32_e32 v3, 1, v1
	s_cmp_eq_u32 s3, 0
	s_delay_alu instid0(VALU_DEP_1) | instskip(SKIP_1) | instid1(SALU_CYCLE_1)
	v_cmp_gt_i32_e32 vcc_lo, s3, v3
	s_cselect_b32 s76, -1, 0
	s_or_b32 s76, s76, vcc_lo
	s_delay_alu instid0(SALU_CYCLE_1)
	s_and_b32 exec_lo, exec_lo, s76
	s_cbranch_execz .LBB124_10
; %bb.8:
	v_mov_b32_e32 v4, s3
.LBB124_9:                              ; =>This Inner Loop Header: Depth=1
	ds_cmpstore_rtn_b32 v4, v2, v3, v4 offset:1952
	s_wait_dscnt 0x0
	v_cmp_ne_u32_e32 vcc_lo, 0, v4
	v_cmp_le_i32_e64 s3, v4, v3
	s_and_b32 s3, vcc_lo, s3
	s_delay_alu instid0(SALU_CYCLE_1) | instskip(NEXT) | instid1(SALU_CYCLE_1)
	s_and_b32 s3, exec_lo, s3
	s_or_b32 s5, s3, s5
	s_delay_alu instid0(SALU_CYCLE_1)
	s_and_not1_b32 exec_lo, exec_lo, s5
	s_cbranch_execnz .LBB124_9
.LBB124_10:
	s_or_b32 exec_lo, exec_lo, s4
	v_mov_b32_e32 v2, 0
	s_barrier_signal -1
	s_barrier_wait -1
	ds_load_b32 v3, v2 offset:1952
	s_and_saveexec_b32 s3, s2
	s_cbranch_execz .LBB124_12
; %bb.11:
	s_lshl_b64 s[4:5], s[12:13], 2
	s_delay_alu instid0(SALU_CYCLE_1)
	s_add_nc_u64 s[4:5], s[6:7], s[4:5]
	s_wait_dscnt 0x0
	global_store_b32 v2, v3, s[4:5]
.LBB124_12:
	s_wait_xcnt 0x0
	s_or_b32 exec_lo, exec_lo, s3
	s_wait_dscnt 0x0
	v_cmp_ne_u32_e32 vcc_lo, 0, v3
	s_mov_b32 s3, 0
	s_cbranch_vccnz .LBB124_268
; %bb.13:
	v_lshl_add_u32 v15, v1, 4, 0
                                        ; implicit-def: $vgpr6_vgpr7
                                        ; implicit-def: $vgpr10_vgpr11
	scratch_load_b128 v[2:5], v15, off
	s_wait_loadcnt 0x0
	v_cmp_ngt_f64_e64 s3, |v[2:3]|, |v[4:5]|
	s_wait_xcnt 0x0
	s_and_saveexec_b32 s4, s3
	s_delay_alu instid0(SALU_CYCLE_1)
	s_xor_b32 s3, exec_lo, s4
	s_cbranch_execz .LBB124_15
; %bb.14:
	v_div_scale_f64 v[6:7], null, v[4:5], v[4:5], v[2:3]
	v_div_scale_f64 v[12:13], vcc_lo, v[2:3], v[4:5], v[2:3]
	s_delay_alu instid0(VALU_DEP_2) | instskip(SKIP_1) | instid1(TRANS32_DEP_1)
	v_rcp_f64_e32 v[8:9], v[6:7]
	v_nop
	v_fma_f64 v[10:11], -v[6:7], v[8:9], 1.0
	s_delay_alu instid0(VALU_DEP_1) | instskip(NEXT) | instid1(VALU_DEP_1)
	v_fmac_f64_e32 v[8:9], v[8:9], v[10:11]
	v_fma_f64 v[10:11], -v[6:7], v[8:9], 1.0
	s_delay_alu instid0(VALU_DEP_1) | instskip(NEXT) | instid1(VALU_DEP_1)
	v_fmac_f64_e32 v[8:9], v[8:9], v[10:11]
	v_mul_f64_e32 v[10:11], v[12:13], v[8:9]
	s_delay_alu instid0(VALU_DEP_1) | instskip(NEXT) | instid1(VALU_DEP_1)
	v_fma_f64 v[6:7], -v[6:7], v[10:11], v[12:13]
	v_div_fmas_f64 v[6:7], v[6:7], v[8:9], v[10:11]
	s_delay_alu instid0(VALU_DEP_1) | instskip(NEXT) | instid1(VALU_DEP_1)
	v_div_fixup_f64 v[6:7], v[6:7], v[4:5], v[2:3]
	v_fmac_f64_e32 v[4:5], v[2:3], v[6:7]
	s_delay_alu instid0(VALU_DEP_1) | instskip(SKIP_1) | instid1(VALU_DEP_2)
	v_div_scale_f64 v[2:3], null, v[4:5], v[4:5], 1.0
	v_div_scale_f64 v[12:13], vcc_lo, 1.0, v[4:5], 1.0
	v_rcp_f64_e32 v[8:9], v[2:3]
	v_nop
	s_delay_alu instid0(TRANS32_DEP_1) | instskip(NEXT) | instid1(VALU_DEP_1)
	v_fma_f64 v[10:11], -v[2:3], v[8:9], 1.0
	v_fmac_f64_e32 v[8:9], v[8:9], v[10:11]
	s_delay_alu instid0(VALU_DEP_1) | instskip(NEXT) | instid1(VALU_DEP_1)
	v_fma_f64 v[10:11], -v[2:3], v[8:9], 1.0
	v_fmac_f64_e32 v[8:9], v[8:9], v[10:11]
	s_delay_alu instid0(VALU_DEP_1) | instskip(NEXT) | instid1(VALU_DEP_1)
	v_mul_f64_e32 v[10:11], v[12:13], v[8:9]
	v_fma_f64 v[2:3], -v[2:3], v[10:11], v[12:13]
	s_delay_alu instid0(VALU_DEP_1) | instskip(NEXT) | instid1(VALU_DEP_1)
	v_div_fmas_f64 v[2:3], v[2:3], v[8:9], v[10:11]
	v_div_fixup_f64 v[8:9], v[2:3], v[4:5], 1.0
                                        ; implicit-def: $vgpr2_vgpr3
	s_delay_alu instid0(VALU_DEP_1) | instskip(SKIP_1) | instid1(VALU_DEP_2)
	v_mul_f64_e32 v[6:7], v[6:7], v[8:9]
	v_xor_b32_e32 v9, 0x80000000, v9
	v_xor_b32_e32 v11, 0x80000000, v7
	s_delay_alu instid0(VALU_DEP_3)
	v_mov_b32_e32 v10, v6
.LBB124_15:
	s_and_not1_saveexec_b32 s3, s3
	s_cbranch_execz .LBB124_17
; %bb.16:
	v_div_scale_f64 v[6:7], null, v[2:3], v[2:3], v[4:5]
	v_div_scale_f64 v[12:13], vcc_lo, v[4:5], v[2:3], v[4:5]
	s_delay_alu instid0(VALU_DEP_2) | instskip(SKIP_1) | instid1(TRANS32_DEP_1)
	v_rcp_f64_e32 v[8:9], v[6:7]
	v_nop
	v_fma_f64 v[10:11], -v[6:7], v[8:9], 1.0
	s_delay_alu instid0(VALU_DEP_1) | instskip(NEXT) | instid1(VALU_DEP_1)
	v_fmac_f64_e32 v[8:9], v[8:9], v[10:11]
	v_fma_f64 v[10:11], -v[6:7], v[8:9], 1.0
	s_delay_alu instid0(VALU_DEP_1) | instskip(NEXT) | instid1(VALU_DEP_1)
	v_fmac_f64_e32 v[8:9], v[8:9], v[10:11]
	v_mul_f64_e32 v[10:11], v[12:13], v[8:9]
	s_delay_alu instid0(VALU_DEP_1) | instskip(NEXT) | instid1(VALU_DEP_1)
	v_fma_f64 v[6:7], -v[6:7], v[10:11], v[12:13]
	v_div_fmas_f64 v[6:7], v[6:7], v[8:9], v[10:11]
	s_delay_alu instid0(VALU_DEP_1) | instskip(NEXT) | instid1(VALU_DEP_1)
	v_div_fixup_f64 v[8:9], v[6:7], v[2:3], v[4:5]
	v_fmac_f64_e32 v[2:3], v[4:5], v[8:9]
	s_delay_alu instid0(VALU_DEP_1) | instskip(NEXT) | instid1(VALU_DEP_1)
	v_div_scale_f64 v[4:5], null, v[2:3], v[2:3], 1.0
	v_rcp_f64_e32 v[6:7], v[4:5]
	v_nop
	s_delay_alu instid0(TRANS32_DEP_1) | instskip(NEXT) | instid1(VALU_DEP_1)
	v_fma_f64 v[10:11], -v[4:5], v[6:7], 1.0
	v_fmac_f64_e32 v[6:7], v[6:7], v[10:11]
	s_delay_alu instid0(VALU_DEP_1) | instskip(NEXT) | instid1(VALU_DEP_1)
	v_fma_f64 v[10:11], -v[4:5], v[6:7], 1.0
	v_fmac_f64_e32 v[6:7], v[6:7], v[10:11]
	v_div_scale_f64 v[10:11], vcc_lo, 1.0, v[2:3], 1.0
	s_delay_alu instid0(VALU_DEP_1) | instskip(NEXT) | instid1(VALU_DEP_1)
	v_mul_f64_e32 v[12:13], v[10:11], v[6:7]
	v_fma_f64 v[4:5], -v[4:5], v[12:13], v[10:11]
	s_delay_alu instid0(VALU_DEP_1) | instskip(NEXT) | instid1(VALU_DEP_1)
	v_div_fmas_f64 v[4:5], v[4:5], v[6:7], v[12:13]
	v_div_fixup_f64 v[6:7], v[4:5], v[2:3], 1.0
	s_delay_alu instid0(VALU_DEP_1)
	v_mul_f64_e64 v[8:9], v[8:9], -v[6:7]
	v_xor_b32_e32 v11, 0x80000000, v7
	v_mov_b32_e32 v10, v6
.LBB124_17:
	s_or_b32 exec_lo, exec_lo, s3
	s_clause 0x1
	scratch_store_b128 v15, v[6:9], off
	scratch_load_b128 v[2:5], off, s20
	v_xor_b32_e32 v13, 0x80000000, v9
	v_mov_b32_e32 v12, v8
	s_wait_xcnt 0x1
	v_add_nc_u32_e32 v6, 0x3d0, v14
	ds_store_b128 v14, v[10:13]
	s_wait_loadcnt 0x0
	ds_store_b128 v14, v[2:5] offset:976
	s_wait_storecnt_dscnt 0x0
	s_barrier_signal -1
	s_barrier_wait -1
	s_wait_xcnt 0x0
	s_and_saveexec_b32 s3, s2
	s_cbranch_execz .LBB124_19
; %bb.18:
	scratch_load_b128 v[2:5], v15, off
	ds_load_b128 v[8:11], v6
	v_mov_b32_e32 v7, 0
	ds_load_b128 v[138:141], v7 offset:16
	s_wait_loadcnt_dscnt 0x1
	v_mul_f64_e32 v[12:13], v[8:9], v[4:5]
	v_mul_f64_e32 v[4:5], v[10:11], v[4:5]
	s_delay_alu instid0(VALU_DEP_2) | instskip(NEXT) | instid1(VALU_DEP_2)
	v_fmac_f64_e32 v[12:13], v[10:11], v[2:3]
	v_fma_f64 v[2:3], v[8:9], v[2:3], -v[4:5]
	s_delay_alu instid0(VALU_DEP_2) | instskip(NEXT) | instid1(VALU_DEP_2)
	v_add_f64_e32 v[8:9], 0, v[12:13]
	v_add_f64_e32 v[2:3], 0, v[2:3]
	s_wait_dscnt 0x0
	s_delay_alu instid0(VALU_DEP_2) | instskip(NEXT) | instid1(VALU_DEP_2)
	v_mul_f64_e32 v[10:11], v[8:9], v[140:141]
	v_mul_f64_e32 v[4:5], v[2:3], v[140:141]
	s_delay_alu instid0(VALU_DEP_2) | instskip(NEXT) | instid1(VALU_DEP_2)
	v_fma_f64 v[2:3], v[2:3], v[138:139], -v[10:11]
	v_fmac_f64_e32 v[4:5], v[8:9], v[138:139]
	scratch_store_b128 off, v[2:5], off offset:16
.LBB124_19:
	s_wait_xcnt 0x0
	s_or_b32 exec_lo, exec_lo, s3
	s_wait_storecnt 0x0
	s_barrier_signal -1
	s_barrier_wait -1
	scratch_load_b128 v[2:5], off, s18
	v_cmp_gt_u32_e32 vcc_lo, 2, v1
	s_wait_loadcnt 0x0
	ds_store_b128 v6, v[2:5]
	s_wait_dscnt 0x0
	s_barrier_signal -1
	s_barrier_wait -1
	s_and_saveexec_b32 s3, vcc_lo
	s_cbranch_execz .LBB124_23
; %bb.20:
	scratch_load_b128 v[2:5], v15, off
	ds_load_b128 v[8:11], v6
	s_wait_loadcnt_dscnt 0x0
	v_mul_f64_e32 v[12:13], v[10:11], v[4:5]
	v_mul_f64_e32 v[138:139], v[8:9], v[4:5]
	s_delay_alu instid0(VALU_DEP_2) | instskip(NEXT) | instid1(VALU_DEP_2)
	v_fma_f64 v[4:5], v[8:9], v[2:3], -v[12:13]
	v_fmac_f64_e32 v[138:139], v[10:11], v[2:3]
	s_delay_alu instid0(VALU_DEP_2) | instskip(NEXT) | instid1(VALU_DEP_2)
	v_add_f64_e32 v[4:5], 0, v[4:5]
	v_add_f64_e32 v[2:3], 0, v[138:139]
	s_and_saveexec_b32 s4, s2
	s_cbranch_execz .LBB124_22
; %bb.21:
	scratch_load_b128 v[8:11], off, off offset:16
	v_mov_b32_e32 v7, 0
	ds_load_b128 v[138:141], v7 offset:992
	s_wait_loadcnt_dscnt 0x0
	v_mul_f64_e32 v[12:13], v[138:139], v[10:11]
	v_mul_f64_e32 v[10:11], v[140:141], v[10:11]
	s_delay_alu instid0(VALU_DEP_2) | instskip(NEXT) | instid1(VALU_DEP_2)
	v_fmac_f64_e32 v[12:13], v[140:141], v[8:9]
	v_fma_f64 v[8:9], v[138:139], v[8:9], -v[10:11]
	s_delay_alu instid0(VALU_DEP_2) | instskip(NEXT) | instid1(VALU_DEP_2)
	v_add_f64_e32 v[2:3], v[2:3], v[12:13]
	v_add_f64_e32 v[4:5], v[4:5], v[8:9]
.LBB124_22:
	s_or_b32 exec_lo, exec_lo, s4
	v_mov_b32_e32 v7, 0
	ds_load_b128 v[8:11], v7 offset:32
	s_wait_dscnt 0x0
	v_mul_f64_e32 v[138:139], v[2:3], v[10:11]
	v_mul_f64_e32 v[12:13], v[4:5], v[10:11]
	s_delay_alu instid0(VALU_DEP_2) | instskip(NEXT) | instid1(VALU_DEP_2)
	v_fma_f64 v[10:11], v[4:5], v[8:9], -v[138:139]
	v_fmac_f64_e32 v[12:13], v[2:3], v[8:9]
	scratch_store_b128 off, v[10:13], off offset:32
.LBB124_23:
	s_wait_xcnt 0x0
	s_or_b32 exec_lo, exec_lo, s3
	s_wait_storecnt 0x0
	s_barrier_signal -1
	s_barrier_wait -1
	scratch_load_b128 v[2:5], off, s16
	v_add_nc_u32_e32 v7, -1, v1
	s_mov_b32 s4, exec_lo
	s_wait_loadcnt 0x0
	ds_store_b128 v6, v[2:5]
	s_wait_dscnt 0x0
	s_barrier_signal -1
	s_barrier_wait -1
	v_cmpx_gt_u32_e32 3, v1
	s_cbranch_execz .LBB124_27
; %bb.24:
	v_dual_mov_b32 v10, v14 :: v_dual_add_nc_u32 v8, -1, v1
	v_mov_b64_e32 v[2:3], 0
	v_mov_b64_e32 v[4:5], 0
	v_add_nc_u32_e32 v9, 0x3d0, v14
	s_delay_alu instid0(VALU_DEP_4)
	v_or_b32_e32 v10, 8, v10
	s_mov_b32 s5, 0
.LBB124_25:                             ; =>This Inner Loop Header: Depth=1
	scratch_load_b128 v[138:141], v10, off offset:-8
	ds_load_b128 v[142:145], v9
	s_wait_xcnt 0x0
	v_dual_add_nc_u32 v9, 16, v9 :: v_dual_add_nc_u32 v10, 16, v10
	v_add_nc_u32_e32 v8, 1, v8
	s_delay_alu instid0(VALU_DEP_1) | instskip(SKIP_4) | instid1(VALU_DEP_2)
	v_cmp_lt_u32_e64 s3, 1, v8
	s_or_b32 s5, s3, s5
	s_wait_loadcnt_dscnt 0x0
	v_mul_f64_e32 v[12:13], v[144:145], v[140:141]
	v_mul_f64_e32 v[140:141], v[142:143], v[140:141]
	v_fma_f64 v[12:13], v[142:143], v[138:139], -v[12:13]
	s_delay_alu instid0(VALU_DEP_2) | instskip(NEXT) | instid1(VALU_DEP_2)
	v_fmac_f64_e32 v[140:141], v[144:145], v[138:139]
	v_add_f64_e32 v[4:5], v[4:5], v[12:13]
	s_delay_alu instid0(VALU_DEP_2)
	v_add_f64_e32 v[2:3], v[2:3], v[140:141]
	s_and_not1_b32 exec_lo, exec_lo, s5
	s_cbranch_execnz .LBB124_25
; %bb.26:
	s_or_b32 exec_lo, exec_lo, s5
	v_mov_b32_e32 v8, 0
	ds_load_b128 v[8:11], v8 offset:48
	s_wait_dscnt 0x0
	v_mul_f64_e32 v[138:139], v[2:3], v[10:11]
	v_mul_f64_e32 v[12:13], v[4:5], v[10:11]
	s_delay_alu instid0(VALU_DEP_2) | instskip(NEXT) | instid1(VALU_DEP_2)
	v_fma_f64 v[10:11], v[4:5], v[8:9], -v[138:139]
	v_fmac_f64_e32 v[12:13], v[2:3], v[8:9]
	scratch_store_b128 off, v[10:13], off offset:48
.LBB124_27:
	s_wait_xcnt 0x0
	s_or_b32 exec_lo, exec_lo, s4
	s_wait_storecnt 0x0
	s_barrier_signal -1
	s_barrier_wait -1
	scratch_load_b128 v[2:5], off, s14
	v_cmp_gt_u32_e64 s3, 4, v1
	s_wait_loadcnt 0x0
	ds_store_b128 v6, v[2:5]
	s_wait_dscnt 0x0
	s_barrier_signal -1
	s_barrier_wait -1
	s_and_saveexec_b32 s5, s3
	s_cbranch_execz .LBB124_31
; %bb.28:
	v_dual_mov_b32 v10, v14 :: v_dual_add_nc_u32 v8, -1, v1
	v_mov_b64_e32 v[2:3], 0
	v_mov_b64_e32 v[4:5], 0
	v_add_nc_u32_e32 v9, 0x3d0, v14
	s_delay_alu instid0(VALU_DEP_4)
	v_or_b32_e32 v10, 8, v10
	s_mov_b32 s76, 0
.LBB124_29:                             ; =>This Inner Loop Header: Depth=1
	scratch_load_b128 v[138:141], v10, off offset:-8
	ds_load_b128 v[142:145], v9
	s_wait_xcnt 0x0
	v_dual_add_nc_u32 v9, 16, v9 :: v_dual_add_nc_u32 v10, 16, v10
	v_add_nc_u32_e32 v8, 1, v8
	s_delay_alu instid0(VALU_DEP_1) | instskip(SKIP_4) | instid1(VALU_DEP_2)
	v_cmp_lt_u32_e64 s4, 2, v8
	s_or_b32 s76, s4, s76
	s_wait_loadcnt_dscnt 0x0
	v_mul_f64_e32 v[12:13], v[144:145], v[140:141]
	v_mul_f64_e32 v[140:141], v[142:143], v[140:141]
	v_fma_f64 v[12:13], v[142:143], v[138:139], -v[12:13]
	s_delay_alu instid0(VALU_DEP_2) | instskip(NEXT) | instid1(VALU_DEP_2)
	v_fmac_f64_e32 v[140:141], v[144:145], v[138:139]
	v_add_f64_e32 v[4:5], v[4:5], v[12:13]
	s_delay_alu instid0(VALU_DEP_2)
	v_add_f64_e32 v[2:3], v[2:3], v[140:141]
	s_and_not1_b32 exec_lo, exec_lo, s76
	s_cbranch_execnz .LBB124_29
; %bb.30:
	s_or_b32 exec_lo, exec_lo, s76
	v_mov_b32_e32 v8, 0
	ds_load_b128 v[8:11], v8 offset:64
	s_wait_dscnt 0x0
	v_mul_f64_e32 v[138:139], v[2:3], v[10:11]
	v_mul_f64_e32 v[12:13], v[4:5], v[10:11]
	s_delay_alu instid0(VALU_DEP_2) | instskip(NEXT) | instid1(VALU_DEP_2)
	v_fma_f64 v[10:11], v[4:5], v[8:9], -v[138:139]
	v_fmac_f64_e32 v[12:13], v[2:3], v[8:9]
	scratch_store_b128 off, v[10:13], off offset:64
.LBB124_31:
	s_wait_xcnt 0x0
	s_or_b32 exec_lo, exec_lo, s5
	s_wait_storecnt 0x0
	s_barrier_signal -1
	s_barrier_wait -1
	scratch_load_b128 v[2:5], off, s74
	s_mov_b32 s5, exec_lo
	s_wait_loadcnt 0x0
	ds_store_b128 v6, v[2:5]
	s_wait_dscnt 0x0
	s_barrier_signal -1
	s_barrier_wait -1
	v_cmpx_gt_u32_e32 5, v1
	s_cbranch_execz .LBB124_35
; %bb.32:
	v_dual_mov_b32 v10, v14 :: v_dual_add_nc_u32 v8, -1, v1
	v_mov_b64_e32 v[2:3], 0
	v_mov_b64_e32 v[4:5], 0
	v_add_nc_u32_e32 v9, 0x3d0, v14
	s_delay_alu instid0(VALU_DEP_4)
	v_or_b32_e32 v10, 8, v10
	s_mov_b32 s76, 0
.LBB124_33:                             ; =>This Inner Loop Header: Depth=1
	scratch_load_b128 v[138:141], v10, off offset:-8
	ds_load_b128 v[142:145], v9
	s_wait_xcnt 0x0
	v_dual_add_nc_u32 v9, 16, v9 :: v_dual_add_nc_u32 v10, 16, v10
	v_add_nc_u32_e32 v8, 1, v8
	s_delay_alu instid0(VALU_DEP_1) | instskip(SKIP_4) | instid1(VALU_DEP_2)
	v_cmp_lt_u32_e64 s4, 3, v8
	s_or_b32 s76, s4, s76
	s_wait_loadcnt_dscnt 0x0
	v_mul_f64_e32 v[12:13], v[144:145], v[140:141]
	v_mul_f64_e32 v[140:141], v[142:143], v[140:141]
	v_fma_f64 v[12:13], v[142:143], v[138:139], -v[12:13]
	s_delay_alu instid0(VALU_DEP_2) | instskip(NEXT) | instid1(VALU_DEP_2)
	v_fmac_f64_e32 v[140:141], v[144:145], v[138:139]
	v_add_f64_e32 v[4:5], v[4:5], v[12:13]
	s_delay_alu instid0(VALU_DEP_2)
	v_add_f64_e32 v[2:3], v[2:3], v[140:141]
	s_and_not1_b32 exec_lo, exec_lo, s76
	s_cbranch_execnz .LBB124_33
; %bb.34:
	s_or_b32 exec_lo, exec_lo, s76
	v_mov_b32_e32 v8, 0
	ds_load_b128 v[8:11], v8 offset:80
	s_wait_dscnt 0x0
	v_mul_f64_e32 v[138:139], v[2:3], v[10:11]
	v_mul_f64_e32 v[12:13], v[4:5], v[10:11]
	s_delay_alu instid0(VALU_DEP_2) | instskip(NEXT) | instid1(VALU_DEP_2)
	v_fma_f64 v[10:11], v[4:5], v[8:9], -v[138:139]
	v_fmac_f64_e32 v[12:13], v[2:3], v[8:9]
	scratch_store_b128 off, v[10:13], off offset:80
.LBB124_35:
	s_wait_xcnt 0x0
	s_or_b32 exec_lo, exec_lo, s5
	s_wait_storecnt 0x0
	s_barrier_signal -1
	s_barrier_wait -1
	scratch_load_b128 v[2:5], off, s73
	v_cmp_gt_u32_e64 s4, 6, v1
	s_wait_loadcnt 0x0
	ds_store_b128 v6, v[2:5]
	s_wait_dscnt 0x0
	s_barrier_signal -1
	s_barrier_wait -1
	s_and_saveexec_b32 s76, s4
	s_cbranch_execz .LBB124_39
; %bb.36:
	v_dual_mov_b32 v10, v14 :: v_dual_add_nc_u32 v8, -1, v1
	v_mov_b64_e32 v[2:3], 0
	v_mov_b64_e32 v[4:5], 0
	v_add_nc_u32_e32 v9, 0x3d0, v14
	s_delay_alu instid0(VALU_DEP_4)
	v_or_b32_e32 v10, 8, v10
	s_mov_b32 s77, 0
.LBB124_37:                             ; =>This Inner Loop Header: Depth=1
	scratch_load_b128 v[138:141], v10, off offset:-8
	ds_load_b128 v[142:145], v9
	s_wait_xcnt 0x0
	v_dual_add_nc_u32 v9, 16, v9 :: v_dual_add_nc_u32 v10, 16, v10
	v_add_nc_u32_e32 v8, 1, v8
	s_delay_alu instid0(VALU_DEP_1) | instskip(SKIP_4) | instid1(VALU_DEP_2)
	v_cmp_lt_u32_e64 s5, 4, v8
	s_or_b32 s77, s5, s77
	s_wait_loadcnt_dscnt 0x0
	v_mul_f64_e32 v[12:13], v[144:145], v[140:141]
	v_mul_f64_e32 v[140:141], v[142:143], v[140:141]
	v_fma_f64 v[12:13], v[142:143], v[138:139], -v[12:13]
	s_delay_alu instid0(VALU_DEP_2) | instskip(NEXT) | instid1(VALU_DEP_2)
	v_fmac_f64_e32 v[140:141], v[144:145], v[138:139]
	v_add_f64_e32 v[4:5], v[4:5], v[12:13]
	s_delay_alu instid0(VALU_DEP_2)
	v_add_f64_e32 v[2:3], v[2:3], v[140:141]
	s_and_not1_b32 exec_lo, exec_lo, s77
	s_cbranch_execnz .LBB124_37
; %bb.38:
	s_or_b32 exec_lo, exec_lo, s77
	v_mov_b32_e32 v8, 0
	ds_load_b128 v[8:11], v8 offset:96
	s_wait_dscnt 0x0
	v_mul_f64_e32 v[138:139], v[2:3], v[10:11]
	v_mul_f64_e32 v[12:13], v[4:5], v[10:11]
	s_delay_alu instid0(VALU_DEP_2) | instskip(NEXT) | instid1(VALU_DEP_2)
	v_fma_f64 v[10:11], v[4:5], v[8:9], -v[138:139]
	v_fmac_f64_e32 v[12:13], v[2:3], v[8:9]
	scratch_store_b128 off, v[10:13], off offset:96
.LBB124_39:
	s_wait_xcnt 0x0
	s_or_b32 exec_lo, exec_lo, s76
	s_wait_storecnt 0x0
	s_barrier_signal -1
	s_barrier_wait -1
	scratch_load_b128 v[2:5], off, s72
	s_mov_b32 s76, exec_lo
	s_wait_loadcnt 0x0
	ds_store_b128 v6, v[2:5]
	s_wait_dscnt 0x0
	s_barrier_signal -1
	s_barrier_wait -1
	v_cmpx_gt_u32_e32 7, v1
	s_cbranch_execz .LBB124_43
; %bb.40:
	v_dual_mov_b32 v10, v14 :: v_dual_add_nc_u32 v8, -1, v1
	v_mov_b64_e32 v[2:3], 0
	v_mov_b64_e32 v[4:5], 0
	v_add_nc_u32_e32 v9, 0x3d0, v14
	s_delay_alu instid0(VALU_DEP_4)
	v_or_b32_e32 v10, 8, v10
	s_mov_b32 s77, 0
.LBB124_41:                             ; =>This Inner Loop Header: Depth=1
	scratch_load_b128 v[138:141], v10, off offset:-8
	ds_load_b128 v[142:145], v9
	s_wait_xcnt 0x0
	v_dual_add_nc_u32 v9, 16, v9 :: v_dual_add_nc_u32 v10, 16, v10
	v_add_nc_u32_e32 v8, 1, v8
	s_delay_alu instid0(VALU_DEP_1) | instskip(SKIP_4) | instid1(VALU_DEP_2)
	v_cmp_lt_u32_e64 s5, 5, v8
	s_or_b32 s77, s5, s77
	s_wait_loadcnt_dscnt 0x0
	v_mul_f64_e32 v[12:13], v[144:145], v[140:141]
	v_mul_f64_e32 v[140:141], v[142:143], v[140:141]
	v_fma_f64 v[12:13], v[142:143], v[138:139], -v[12:13]
	s_delay_alu instid0(VALU_DEP_2) | instskip(NEXT) | instid1(VALU_DEP_2)
	v_fmac_f64_e32 v[140:141], v[144:145], v[138:139]
	v_add_f64_e32 v[4:5], v[4:5], v[12:13]
	s_delay_alu instid0(VALU_DEP_2)
	v_add_f64_e32 v[2:3], v[2:3], v[140:141]
	s_and_not1_b32 exec_lo, exec_lo, s77
	s_cbranch_execnz .LBB124_41
; %bb.42:
	s_or_b32 exec_lo, exec_lo, s77
	v_mov_b32_e32 v8, 0
	ds_load_b128 v[8:11], v8 offset:112
	s_wait_dscnt 0x0
	v_mul_f64_e32 v[138:139], v[2:3], v[10:11]
	v_mul_f64_e32 v[12:13], v[4:5], v[10:11]
	s_delay_alu instid0(VALU_DEP_2) | instskip(NEXT) | instid1(VALU_DEP_2)
	v_fma_f64 v[10:11], v[4:5], v[8:9], -v[138:139]
	v_fmac_f64_e32 v[12:13], v[2:3], v[8:9]
	scratch_store_b128 off, v[10:13], off offset:112
.LBB124_43:
	s_wait_xcnt 0x0
	s_or_b32 exec_lo, exec_lo, s76
	s_wait_storecnt 0x0
	s_barrier_signal -1
	s_barrier_wait -1
	scratch_load_b128 v[2:5], off, s71
	s_mov_b32 s76, exec_lo
	s_wait_loadcnt 0x0
	ds_store_b128 v6, v[2:5]
	s_wait_dscnt 0x0
	s_barrier_signal -1
	s_barrier_wait -1
	v_cmpx_gt_u32_e32 8, v1
	s_cbranch_execz .LBB124_59
; %bb.44:
	scratch_load_b128 v[2:5], v15, off
	ds_load_b128 v[8:11], v6
	s_mov_b32 s77, exec_lo
	s_wait_loadcnt_dscnt 0x0
	v_mul_f64_e32 v[12:13], v[10:11], v[4:5]
	v_mul_f64_e32 v[138:139], v[8:9], v[4:5]
	s_delay_alu instid0(VALU_DEP_2) | instskip(NEXT) | instid1(VALU_DEP_2)
	v_fma_f64 v[4:5], v[8:9], v[2:3], -v[12:13]
	v_fmac_f64_e32 v[138:139], v[10:11], v[2:3]
	s_delay_alu instid0(VALU_DEP_2) | instskip(NEXT) | instid1(VALU_DEP_2)
	v_add_f64_e32 v[4:5], 0, v[4:5]
	v_add_f64_e32 v[2:3], 0, v[138:139]
	v_cmpx_ne_u32_e32 7, v1
	s_cbranch_execz .LBB124_58
; %bb.45:
	scratch_load_b128 v[8:11], v15, off offset:16
	ds_load_b128 v[138:141], v6 offset:16
	s_wait_loadcnt_dscnt 0x0
	v_mul_f64_e32 v[12:13], v[140:141], v[10:11]
	v_mul_f64_e32 v[10:11], v[138:139], v[10:11]
	s_delay_alu instid0(VALU_DEP_2) | instskip(NEXT) | instid1(VALU_DEP_2)
	v_fma_f64 v[12:13], v[138:139], v[8:9], -v[12:13]
	v_fmac_f64_e32 v[10:11], v[140:141], v[8:9]
	s_delay_alu instid0(VALU_DEP_2) | instskip(NEXT) | instid1(VALU_DEP_2)
	v_add_f64_e32 v[4:5], v[4:5], v[12:13]
	v_add_f64_e32 v[2:3], v[2:3], v[10:11]
	s_and_saveexec_b32 s5, s4
	s_cbranch_execz .LBB124_57
; %bb.46:
	scratch_load_b128 v[8:11], v15, off offset:32
	ds_load_b128 v[138:141], v6 offset:32
	s_mov_b32 s78, exec_lo
	s_wait_loadcnt_dscnt 0x0
	v_mul_f64_e32 v[12:13], v[140:141], v[10:11]
	v_mul_f64_e32 v[10:11], v[138:139], v[10:11]
	s_delay_alu instid0(VALU_DEP_2) | instskip(NEXT) | instid1(VALU_DEP_2)
	v_fma_f64 v[12:13], v[138:139], v[8:9], -v[12:13]
	v_fmac_f64_e32 v[10:11], v[140:141], v[8:9]
	s_delay_alu instid0(VALU_DEP_2) | instskip(NEXT) | instid1(VALU_DEP_2)
	v_add_f64_e32 v[4:5], v[4:5], v[12:13]
	v_add_f64_e32 v[2:3], v[2:3], v[10:11]
	v_cmpx_ne_u32_e32 5, v1
	s_cbranch_execz .LBB124_56
; %bb.47:
	scratch_load_b128 v[8:11], v15, off offset:48
	ds_load_b128 v[138:141], v6 offset:48
	s_wait_loadcnt_dscnt 0x0
	v_mul_f64_e32 v[12:13], v[140:141], v[10:11]
	v_mul_f64_e32 v[10:11], v[138:139], v[10:11]
	s_delay_alu instid0(VALU_DEP_2) | instskip(NEXT) | instid1(VALU_DEP_2)
	v_fma_f64 v[12:13], v[138:139], v[8:9], -v[12:13]
	v_fmac_f64_e32 v[10:11], v[140:141], v[8:9]
	s_delay_alu instid0(VALU_DEP_2) | instskip(NEXT) | instid1(VALU_DEP_2)
	v_add_f64_e32 v[4:5], v[4:5], v[12:13]
	v_add_f64_e32 v[2:3], v[2:3], v[10:11]
	s_and_saveexec_b32 s4, s3
	s_cbranch_execz .LBB124_55
; %bb.48:
	scratch_load_b128 v[8:11], v15, off offset:64
	ds_load_b128 v[138:141], v6 offset:64
	s_mov_b32 s79, exec_lo
	s_wait_loadcnt_dscnt 0x0
	v_mul_f64_e32 v[12:13], v[140:141], v[10:11]
	v_mul_f64_e32 v[10:11], v[138:139], v[10:11]
	s_delay_alu instid0(VALU_DEP_2) | instskip(NEXT) | instid1(VALU_DEP_2)
	v_fma_f64 v[12:13], v[138:139], v[8:9], -v[12:13]
	v_fmac_f64_e32 v[10:11], v[140:141], v[8:9]
	s_delay_alu instid0(VALU_DEP_2) | instskip(NEXT) | instid1(VALU_DEP_2)
	v_add_f64_e32 v[4:5], v[4:5], v[12:13]
	v_add_f64_e32 v[2:3], v[2:3], v[10:11]
	v_cmpx_ne_u32_e32 3, v1
	s_cbranch_execz .LBB124_54
; %bb.49:
	scratch_load_b128 v[8:11], v15, off offset:80
	ds_load_b128 v[138:141], v6 offset:80
	s_wait_loadcnt_dscnt 0x0
	v_mul_f64_e32 v[12:13], v[140:141], v[10:11]
	v_mul_f64_e32 v[10:11], v[138:139], v[10:11]
	s_delay_alu instid0(VALU_DEP_2) | instskip(NEXT) | instid1(VALU_DEP_2)
	v_fma_f64 v[12:13], v[138:139], v[8:9], -v[12:13]
	v_fmac_f64_e32 v[10:11], v[140:141], v[8:9]
	s_delay_alu instid0(VALU_DEP_2) | instskip(NEXT) | instid1(VALU_DEP_2)
	v_add_f64_e32 v[4:5], v[4:5], v[12:13]
	v_add_f64_e32 v[2:3], v[2:3], v[10:11]
	s_and_saveexec_b32 s3, vcc_lo
	s_cbranch_execz .LBB124_53
; %bb.50:
	scratch_load_b128 v[8:11], v15, off offset:96
	ds_load_b128 v[138:141], v6 offset:96
	s_wait_loadcnt_dscnt 0x0
	v_mul_f64_e32 v[12:13], v[140:141], v[10:11]
	v_mul_f64_e32 v[10:11], v[138:139], v[10:11]
	s_delay_alu instid0(VALU_DEP_2) | instskip(NEXT) | instid1(VALU_DEP_2)
	v_fma_f64 v[12:13], v[138:139], v[8:9], -v[12:13]
	v_fmac_f64_e32 v[10:11], v[140:141], v[8:9]
	s_delay_alu instid0(VALU_DEP_2) | instskip(NEXT) | instid1(VALU_DEP_2)
	v_add_f64_e32 v[4:5], v[4:5], v[12:13]
	v_add_f64_e32 v[2:3], v[2:3], v[10:11]
	s_and_saveexec_b32 s80, s2
	s_cbranch_execz .LBB124_52
; %bb.51:
	scratch_load_b128 v[8:11], v15, off offset:112
	ds_load_b128 v[138:141], v6 offset:112
	s_wait_loadcnt_dscnt 0x0
	v_mul_f64_e32 v[12:13], v[140:141], v[10:11]
	v_mul_f64_e32 v[10:11], v[138:139], v[10:11]
	s_delay_alu instid0(VALU_DEP_2) | instskip(NEXT) | instid1(VALU_DEP_2)
	v_fma_f64 v[12:13], v[138:139], v[8:9], -v[12:13]
	v_fmac_f64_e32 v[10:11], v[140:141], v[8:9]
	s_delay_alu instid0(VALU_DEP_2) | instskip(NEXT) | instid1(VALU_DEP_2)
	v_add_f64_e32 v[4:5], v[4:5], v[12:13]
	v_add_f64_e32 v[2:3], v[2:3], v[10:11]
.LBB124_52:
	s_or_b32 exec_lo, exec_lo, s80
.LBB124_53:
	s_delay_alu instid0(SALU_CYCLE_1)
	s_or_b32 exec_lo, exec_lo, s3
.LBB124_54:
	s_delay_alu instid0(SALU_CYCLE_1)
	s_or_b32 exec_lo, exec_lo, s79
.LBB124_55:
	s_delay_alu instid0(SALU_CYCLE_1)
	s_or_b32 exec_lo, exec_lo, s4
.LBB124_56:
	s_delay_alu instid0(SALU_CYCLE_1)
	s_or_b32 exec_lo, exec_lo, s78
.LBB124_57:
	s_delay_alu instid0(SALU_CYCLE_1)
	s_or_b32 exec_lo, exec_lo, s5
.LBB124_58:
	s_delay_alu instid0(SALU_CYCLE_1)
	s_or_b32 exec_lo, exec_lo, s77
	v_mov_b32_e32 v8, 0
	ds_load_b128 v[8:11], v8 offset:128
	s_wait_dscnt 0x0
	v_mul_f64_e32 v[138:139], v[2:3], v[10:11]
	v_mul_f64_e32 v[12:13], v[4:5], v[10:11]
	s_delay_alu instid0(VALU_DEP_2) | instskip(NEXT) | instid1(VALU_DEP_2)
	v_fma_f64 v[10:11], v[4:5], v[8:9], -v[138:139]
	v_fmac_f64_e32 v[12:13], v[2:3], v[8:9]
	scratch_store_b128 off, v[10:13], off offset:128
.LBB124_59:
	s_wait_xcnt 0x0
	s_or_b32 exec_lo, exec_lo, s76
	s_wait_storecnt 0x0
	s_barrier_signal -1
	s_barrier_wait -1
	scratch_load_b128 v[2:5], off, s70
	s_mov_b32 s2, exec_lo
	s_wait_loadcnt 0x0
	ds_store_b128 v6, v[2:5]
	s_wait_dscnt 0x0
	s_barrier_signal -1
	s_barrier_wait -1
	v_cmpx_gt_u32_e32 9, v1
	s_cbranch_execz .LBB124_63
; %bb.60:
	v_dual_mov_b32 v10, v14 :: v_dual_add_nc_u32 v8, -1, v1
	v_mov_b64_e32 v[2:3], 0
	v_mov_b64_e32 v[4:5], 0
	v_add_nc_u32_e32 v9, 0x3d0, v14
	s_delay_alu instid0(VALU_DEP_4)
	v_or_b32_e32 v10, 8, v10
	s_mov_b32 s3, 0
.LBB124_61:                             ; =>This Inner Loop Header: Depth=1
	scratch_load_b128 v[138:141], v10, off offset:-8
	ds_load_b128 v[142:145], v9
	s_wait_xcnt 0x0
	v_dual_add_nc_u32 v9, 16, v9 :: v_dual_add_nc_u32 v10, 16, v10
	v_add_nc_u32_e32 v8, 1, v8
	s_delay_alu instid0(VALU_DEP_1) | instskip(SKIP_4) | instid1(VALU_DEP_2)
	v_cmp_lt_u32_e32 vcc_lo, 7, v8
	s_or_b32 s3, vcc_lo, s3
	s_wait_loadcnt_dscnt 0x0
	v_mul_f64_e32 v[12:13], v[144:145], v[140:141]
	v_mul_f64_e32 v[140:141], v[142:143], v[140:141]
	v_fma_f64 v[12:13], v[142:143], v[138:139], -v[12:13]
	s_delay_alu instid0(VALU_DEP_2) | instskip(NEXT) | instid1(VALU_DEP_2)
	v_fmac_f64_e32 v[140:141], v[144:145], v[138:139]
	v_add_f64_e32 v[4:5], v[4:5], v[12:13]
	s_delay_alu instid0(VALU_DEP_2)
	v_add_f64_e32 v[2:3], v[2:3], v[140:141]
	s_and_not1_b32 exec_lo, exec_lo, s3
	s_cbranch_execnz .LBB124_61
; %bb.62:
	s_or_b32 exec_lo, exec_lo, s3
	v_mov_b32_e32 v8, 0
	ds_load_b128 v[8:11], v8 offset:144
	s_wait_dscnt 0x0
	v_mul_f64_e32 v[138:139], v[2:3], v[10:11]
	v_mul_f64_e32 v[12:13], v[4:5], v[10:11]
	s_delay_alu instid0(VALU_DEP_2) | instskip(NEXT) | instid1(VALU_DEP_2)
	v_fma_f64 v[10:11], v[4:5], v[8:9], -v[138:139]
	v_fmac_f64_e32 v[12:13], v[2:3], v[8:9]
	scratch_store_b128 off, v[10:13], off offset:144
.LBB124_63:
	s_wait_xcnt 0x0
	s_or_b32 exec_lo, exec_lo, s2
	s_wait_storecnt 0x0
	s_barrier_signal -1
	s_barrier_wait -1
	scratch_load_b128 v[2:5], off, s69
	s_mov_b32 s2, exec_lo
	s_wait_loadcnt 0x0
	ds_store_b128 v6, v[2:5]
	s_wait_dscnt 0x0
	s_barrier_signal -1
	s_barrier_wait -1
	v_cmpx_gt_u32_e32 10, v1
	s_cbranch_execz .LBB124_67
; %bb.64:
	v_dual_mov_b32 v10, v14 :: v_dual_add_nc_u32 v8, -1, v1
	v_mov_b64_e32 v[2:3], 0
	v_mov_b64_e32 v[4:5], 0
	v_add_nc_u32_e32 v9, 0x3d0, v14
	s_delay_alu instid0(VALU_DEP_4)
	v_or_b32_e32 v10, 8, v10
	s_mov_b32 s3, 0
.LBB124_65:                             ; =>This Inner Loop Header: Depth=1
	scratch_load_b128 v[138:141], v10, off offset:-8
	ds_load_b128 v[142:145], v9
	s_wait_xcnt 0x0
	v_dual_add_nc_u32 v9, 16, v9 :: v_dual_add_nc_u32 v10, 16, v10
	v_add_nc_u32_e32 v8, 1, v8
	s_delay_alu instid0(VALU_DEP_1) | instskip(SKIP_4) | instid1(VALU_DEP_2)
	v_cmp_lt_u32_e32 vcc_lo, 8, v8
	s_or_b32 s3, vcc_lo, s3
	s_wait_loadcnt_dscnt 0x0
	v_mul_f64_e32 v[12:13], v[144:145], v[140:141]
	v_mul_f64_e32 v[140:141], v[142:143], v[140:141]
	v_fma_f64 v[12:13], v[142:143], v[138:139], -v[12:13]
	s_delay_alu instid0(VALU_DEP_2) | instskip(NEXT) | instid1(VALU_DEP_2)
	v_fmac_f64_e32 v[140:141], v[144:145], v[138:139]
	v_add_f64_e32 v[4:5], v[4:5], v[12:13]
	s_delay_alu instid0(VALU_DEP_2)
	v_add_f64_e32 v[2:3], v[2:3], v[140:141]
	s_and_not1_b32 exec_lo, exec_lo, s3
	s_cbranch_execnz .LBB124_65
; %bb.66:
	s_or_b32 exec_lo, exec_lo, s3
	v_mov_b32_e32 v8, 0
	ds_load_b128 v[8:11], v8 offset:160
	s_wait_dscnt 0x0
	v_mul_f64_e32 v[138:139], v[2:3], v[10:11]
	v_mul_f64_e32 v[12:13], v[4:5], v[10:11]
	s_delay_alu instid0(VALU_DEP_2) | instskip(NEXT) | instid1(VALU_DEP_2)
	v_fma_f64 v[10:11], v[4:5], v[8:9], -v[138:139]
	v_fmac_f64_e32 v[12:13], v[2:3], v[8:9]
	scratch_store_b128 off, v[10:13], off offset:160
.LBB124_67:
	;; [unrolled: 54-line block ×10, first 2 shown]
	s_wait_xcnt 0x0
	s_or_b32 exec_lo, exec_lo, s2
	s_wait_storecnt 0x0
	s_barrier_signal -1
	s_barrier_wait -1
	scratch_load_b128 v[2:5], off, s60
	s_mov_b32 s2, exec_lo
	s_wait_loadcnt 0x0
	ds_store_b128 v6, v[2:5]
	s_wait_dscnt 0x0
	s_barrier_signal -1
	s_barrier_wait -1
	v_cmpx_gt_u32_e32 19, v1
	s_cbranch_execz .LBB124_103
; %bb.100:
	v_dual_mov_b32 v10, v14 :: v_dual_add_nc_u32 v8, -1, v1
	v_mov_b64_e32 v[2:3], 0
	v_mov_b64_e32 v[4:5], 0
	v_add_nc_u32_e32 v9, 0x3d0, v14
	s_delay_alu instid0(VALU_DEP_4)
	v_or_b32_e32 v10, 8, v10
	s_mov_b32 s3, 0
.LBB124_101:                            ; =>This Inner Loop Header: Depth=1
	scratch_load_b128 v[138:141], v10, off offset:-8
	ds_load_b128 v[142:145], v9
	s_wait_xcnt 0x0
	v_dual_add_nc_u32 v9, 16, v9 :: v_dual_add_nc_u32 v10, 16, v10
	v_add_nc_u32_e32 v8, 1, v8
	s_delay_alu instid0(VALU_DEP_1) | instskip(SKIP_4) | instid1(VALU_DEP_2)
	v_cmp_lt_u32_e32 vcc_lo, 17, v8
	s_or_b32 s3, vcc_lo, s3
	s_wait_loadcnt_dscnt 0x0
	v_mul_f64_e32 v[12:13], v[144:145], v[140:141]
	v_mul_f64_e32 v[140:141], v[142:143], v[140:141]
	v_fma_f64 v[12:13], v[142:143], v[138:139], -v[12:13]
	s_delay_alu instid0(VALU_DEP_2) | instskip(NEXT) | instid1(VALU_DEP_2)
	v_fmac_f64_e32 v[140:141], v[144:145], v[138:139]
	v_add_f64_e32 v[4:5], v[4:5], v[12:13]
	s_delay_alu instid0(VALU_DEP_2)
	v_add_f64_e32 v[2:3], v[2:3], v[140:141]
	s_and_not1_b32 exec_lo, exec_lo, s3
	s_cbranch_execnz .LBB124_101
; %bb.102:
	s_or_b32 exec_lo, exec_lo, s3
	v_mov_b32_e32 v8, 0
	ds_load_b128 v[8:11], v8 offset:304
	s_wait_dscnt 0x0
	v_mul_f64_e32 v[138:139], v[2:3], v[10:11]
	v_mul_f64_e32 v[12:13], v[4:5], v[10:11]
	s_delay_alu instid0(VALU_DEP_2) | instskip(NEXT) | instid1(VALU_DEP_2)
	v_fma_f64 v[10:11], v[4:5], v[8:9], -v[138:139]
	v_fmac_f64_e32 v[12:13], v[2:3], v[8:9]
	scratch_store_b128 off, v[10:13], off offset:304
.LBB124_103:
	s_wait_xcnt 0x0
	s_or_b32 exec_lo, exec_lo, s2
	s_wait_storecnt 0x0
	s_barrier_signal -1
	s_barrier_wait -1
	scratch_load_b128 v[2:5], off, s59
	s_mov_b32 s2, exec_lo
	s_wait_loadcnt 0x0
	ds_store_b128 v6, v[2:5]
	s_wait_dscnt 0x0
	s_barrier_signal -1
	s_barrier_wait -1
	v_cmpx_gt_u32_e32 20, v1
	s_cbranch_execz .LBB124_107
; %bb.104:
	v_dual_mov_b32 v10, v14 :: v_dual_add_nc_u32 v8, -1, v1
	v_mov_b64_e32 v[2:3], 0
	v_mov_b64_e32 v[4:5], 0
	v_add_nc_u32_e32 v9, 0x3d0, v14
	s_delay_alu instid0(VALU_DEP_4)
	v_or_b32_e32 v10, 8, v10
	s_mov_b32 s3, 0
.LBB124_105:                            ; =>This Inner Loop Header: Depth=1
	scratch_load_b128 v[138:141], v10, off offset:-8
	ds_load_b128 v[142:145], v9
	s_wait_xcnt 0x0
	v_dual_add_nc_u32 v9, 16, v9 :: v_dual_add_nc_u32 v10, 16, v10
	v_add_nc_u32_e32 v8, 1, v8
	s_delay_alu instid0(VALU_DEP_1) | instskip(SKIP_4) | instid1(VALU_DEP_2)
	v_cmp_lt_u32_e32 vcc_lo, 18, v8
	s_or_b32 s3, vcc_lo, s3
	s_wait_loadcnt_dscnt 0x0
	v_mul_f64_e32 v[12:13], v[144:145], v[140:141]
	v_mul_f64_e32 v[140:141], v[142:143], v[140:141]
	v_fma_f64 v[12:13], v[142:143], v[138:139], -v[12:13]
	s_delay_alu instid0(VALU_DEP_2) | instskip(NEXT) | instid1(VALU_DEP_2)
	v_fmac_f64_e32 v[140:141], v[144:145], v[138:139]
	v_add_f64_e32 v[4:5], v[4:5], v[12:13]
	s_delay_alu instid0(VALU_DEP_2)
	v_add_f64_e32 v[2:3], v[2:3], v[140:141]
	s_and_not1_b32 exec_lo, exec_lo, s3
	s_cbranch_execnz .LBB124_105
; %bb.106:
	s_or_b32 exec_lo, exec_lo, s3
	v_mov_b32_e32 v8, 0
	ds_load_b128 v[8:11], v8 offset:320
	s_wait_dscnt 0x0
	v_mul_f64_e32 v[138:139], v[2:3], v[10:11]
	v_mul_f64_e32 v[12:13], v[4:5], v[10:11]
	s_delay_alu instid0(VALU_DEP_2) | instskip(NEXT) | instid1(VALU_DEP_2)
	v_fma_f64 v[10:11], v[4:5], v[8:9], -v[138:139]
	v_fmac_f64_e32 v[12:13], v[2:3], v[8:9]
	scratch_store_b128 off, v[10:13], off offset:320
.LBB124_107:
	;; [unrolled: 54-line block ×41, first 2 shown]
	s_wait_xcnt 0x0
	s_or_b32 exec_lo, exec_lo, s2
	s_wait_storecnt 0x0
	s_barrier_signal -1
	s_barrier_wait -1
	scratch_load_b128 v[2:5], off, s15
	s_mov_b32 s2, exec_lo
	s_wait_loadcnt 0x0
	ds_store_b128 v6, v[2:5]
	s_wait_dscnt 0x0
	s_barrier_signal -1
	s_barrier_wait -1
	v_cmpx_ne_u32_e32 60, v1
	s_cbranch_execz .LBB124_267
; %bb.264:
	v_mov_b32_e32 v8, v14
	v_mov_b64_e32 v[2:3], 0
	v_mov_b64_e32 v[4:5], 0
	s_mov_b32 s3, 0
	s_delay_alu instid0(VALU_DEP_3)
	v_or_b32_e32 v8, 8, v8
.LBB124_265:                            ; =>This Inner Loop Header: Depth=1
	scratch_load_b128 v[10:13], v8, off offset:-8
	ds_load_b128 v[138:141], v6
	v_dual_add_nc_u32 v7, 1, v7 :: v_dual_add_nc_u32 v6, 16, v6
	s_wait_xcnt 0x0
	v_add_nc_u32_e32 v8, 16, v8
	s_delay_alu instid0(VALU_DEP_2) | instskip(SKIP_4) | instid1(VALU_DEP_2)
	v_cmp_lt_u32_e32 vcc_lo, 58, v7
	s_or_b32 s3, vcc_lo, s3
	s_wait_loadcnt_dscnt 0x0
	v_mul_f64_e32 v[14:15], v[140:141], v[12:13]
	v_mul_f64_e32 v[12:13], v[138:139], v[12:13]
	v_fma_f64 v[14:15], v[138:139], v[10:11], -v[14:15]
	s_delay_alu instid0(VALU_DEP_2) | instskip(NEXT) | instid1(VALU_DEP_2)
	v_fmac_f64_e32 v[12:13], v[140:141], v[10:11]
	v_add_f64_e32 v[4:5], v[4:5], v[14:15]
	s_delay_alu instid0(VALU_DEP_2)
	v_add_f64_e32 v[2:3], v[2:3], v[12:13]
	s_and_not1_b32 exec_lo, exec_lo, s3
	s_cbranch_execnz .LBB124_265
; %bb.266:
	s_or_b32 exec_lo, exec_lo, s3
	v_mov_b32_e32 v6, 0
	ds_load_b128 v[6:9], v6 offset:960
	s_wait_dscnt 0x0
	v_mul_f64_e32 v[12:13], v[2:3], v[8:9]
	v_mul_f64_e32 v[10:11], v[4:5], v[8:9]
	s_delay_alu instid0(VALU_DEP_2) | instskip(NEXT) | instid1(VALU_DEP_2)
	v_fma_f64 v[8:9], v[4:5], v[6:7], -v[12:13]
	v_fmac_f64_e32 v[10:11], v[2:3], v[6:7]
	scratch_store_b128 off, v[8:11], off offset:960
.LBB124_267:
	s_wait_xcnt 0x0
	s_or_b32 exec_lo, exec_lo, s2
	s_mov_b32 s3, -1
	s_wait_storecnt 0x0
	s_barrier_signal -1
	s_barrier_wait -1
.LBB124_268:
	s_and_b32 vcc_lo, exec_lo, s3
	s_cbranch_vccz .LBB124_270
; %bb.269:
	s_wait_xcnt 0x0
	v_mov_b32_e32 v2, 0
	s_lshl_b64 s[2:3], s[12:13], 2
	s_delay_alu instid0(SALU_CYCLE_1)
	s_add_nc_u64 s[2:3], s[6:7], s[2:3]
	global_load_b32 v2, v2, s[2:3]
	s_wait_loadcnt 0x0
	v_cmp_ne_u32_e32 vcc_lo, 0, v2
	s_cbranch_vccz .LBB124_271
.LBB124_270:
	s_sendmsg sendmsg(MSG_DEALLOC_VGPRS)
	s_endpgm
.LBB124_271:
	v_lshl_add_u32 v138, v1, 4, 0x3d0
	s_wait_xcnt 0x0
	s_mov_b32 s2, exec_lo
	v_cmpx_eq_u32_e32 60, v1
	s_cbranch_execz .LBB124_273
; %bb.272:
	scratch_load_b128 v[2:5], off, s17
	v_mov_b32_e32 v6, 0
	s_delay_alu instid0(VALU_DEP_1)
	v_dual_mov_b32 v7, v6 :: v_dual_mov_b32 v8, v6
	v_mov_b32_e32 v9, v6
	scratch_store_b128 off, v[6:9], off offset:944
	s_wait_loadcnt 0x0
	ds_store_b128 v138, v[2:5]
.LBB124_273:
	s_wait_xcnt 0x0
	s_or_b32 exec_lo, exec_lo, s2
	s_wait_storecnt_dscnt 0x0
	s_barrier_signal -1
	s_barrier_wait -1
	s_clause 0x1
	scratch_load_b128 v[4:7], off, off offset:960
	scratch_load_b128 v[8:11], off, off offset:944
	v_mov_b32_e32 v2, 0
	s_mov_b32 s2, exec_lo
	ds_load_b128 v[12:15], v2 offset:1936
	s_wait_loadcnt_dscnt 0x100
	v_mul_f64_e32 v[140:141], v[14:15], v[6:7]
	v_mul_f64_e32 v[6:7], v[12:13], v[6:7]
	s_delay_alu instid0(VALU_DEP_2) | instskip(NEXT) | instid1(VALU_DEP_2)
	v_fma_f64 v[12:13], v[12:13], v[4:5], -v[140:141]
	v_fmac_f64_e32 v[6:7], v[14:15], v[4:5]
	s_delay_alu instid0(VALU_DEP_2) | instskip(NEXT) | instid1(VALU_DEP_2)
	v_add_f64_e32 v[4:5], 0, v[12:13]
	v_add_f64_e32 v[6:7], 0, v[6:7]
	s_wait_loadcnt 0x0
	s_delay_alu instid0(VALU_DEP_2) | instskip(NEXT) | instid1(VALU_DEP_2)
	v_add_f64_e64 v[4:5], v[8:9], -v[4:5]
	v_add_f64_e64 v[6:7], v[10:11], -v[6:7]
	scratch_store_b128 off, v[4:7], off offset:944
	s_wait_xcnt 0x0
	v_cmpx_lt_u32_e32 58, v1
	s_cbranch_execz .LBB124_275
; %bb.274:
	scratch_load_b128 v[6:9], off, s19
	v_dual_mov_b32 v3, v2 :: v_dual_mov_b32 v4, v2
	v_mov_b32_e32 v5, v2
	scratch_store_b128 off, v[2:5], off offset:928
	s_wait_loadcnt 0x0
	ds_store_b128 v138, v[6:9]
.LBB124_275:
	s_wait_xcnt 0x0
	s_or_b32 exec_lo, exec_lo, s2
	s_wait_storecnt_dscnt 0x0
	s_barrier_signal -1
	s_barrier_wait -1
	s_clause 0x2
	scratch_load_b128 v[4:7], off, off offset:944
	scratch_load_b128 v[8:11], off, off offset:960
	;; [unrolled: 1-line block ×3, first 2 shown]
	ds_load_b128 v[140:143], v2 offset:1920
	ds_load_b128 v[144:147], v2 offset:1936
	s_mov_b32 s2, exec_lo
	s_wait_loadcnt_dscnt 0x201
	v_mul_f64_e32 v[2:3], v[142:143], v[6:7]
	v_mul_f64_e32 v[6:7], v[140:141], v[6:7]
	s_wait_loadcnt_dscnt 0x100
	v_mul_f64_e32 v[148:149], v[144:145], v[10:11]
	v_mul_f64_e32 v[10:11], v[146:147], v[10:11]
	s_delay_alu instid0(VALU_DEP_4) | instskip(NEXT) | instid1(VALU_DEP_4)
	v_fma_f64 v[2:3], v[140:141], v[4:5], -v[2:3]
	v_fmac_f64_e32 v[6:7], v[142:143], v[4:5]
	s_delay_alu instid0(VALU_DEP_4) | instskip(NEXT) | instid1(VALU_DEP_4)
	v_fmac_f64_e32 v[148:149], v[146:147], v[8:9]
	v_fma_f64 v[4:5], v[144:145], v[8:9], -v[10:11]
	s_delay_alu instid0(VALU_DEP_4) | instskip(NEXT) | instid1(VALU_DEP_4)
	v_add_f64_e32 v[2:3], 0, v[2:3]
	v_add_f64_e32 v[6:7], 0, v[6:7]
	s_delay_alu instid0(VALU_DEP_2) | instskip(NEXT) | instid1(VALU_DEP_2)
	v_add_f64_e32 v[2:3], v[2:3], v[4:5]
	v_add_f64_e32 v[4:5], v[6:7], v[148:149]
	s_wait_loadcnt 0x0
	s_delay_alu instid0(VALU_DEP_2) | instskip(NEXT) | instid1(VALU_DEP_2)
	v_add_f64_e64 v[2:3], v[12:13], -v[2:3]
	v_add_f64_e64 v[4:5], v[14:15], -v[4:5]
	scratch_store_b128 off, v[2:5], off offset:928
	s_wait_xcnt 0x0
	v_cmpx_lt_u32_e32 57, v1
	s_cbranch_execz .LBB124_277
; %bb.276:
	scratch_load_b128 v[2:5], off, s21
	v_mov_b32_e32 v6, 0
	s_delay_alu instid0(VALU_DEP_1)
	v_dual_mov_b32 v7, v6 :: v_dual_mov_b32 v8, v6
	v_mov_b32_e32 v9, v6
	scratch_store_b128 off, v[6:9], off offset:912
	s_wait_loadcnt 0x0
	ds_store_b128 v138, v[2:5]
.LBB124_277:
	s_wait_xcnt 0x0
	s_or_b32 exec_lo, exec_lo, s2
	s_wait_storecnt_dscnt 0x0
	s_barrier_signal -1
	s_barrier_wait -1
	s_clause 0x3
	scratch_load_b128 v[4:7], off, off offset:928
	scratch_load_b128 v[8:11], off, off offset:944
	;; [unrolled: 1-line block ×4, first 2 shown]
	v_mov_b32_e32 v2, 0
	ds_load_b128 v[144:147], v2 offset:1904
	ds_load_b128 v[148:151], v2 offset:1920
	s_mov_b32 s2, exec_lo
	s_wait_loadcnt_dscnt 0x301
	v_mul_f64_e32 v[152:153], v[146:147], v[6:7]
	v_mul_f64_e32 v[154:155], v[144:145], v[6:7]
	s_wait_loadcnt_dscnt 0x200
	v_mul_f64_e32 v[156:157], v[148:149], v[10:11]
	v_mul_f64_e32 v[10:11], v[150:151], v[10:11]
	s_delay_alu instid0(VALU_DEP_4) | instskip(NEXT) | instid1(VALU_DEP_4)
	v_fma_f64 v[144:145], v[144:145], v[4:5], -v[152:153]
	v_fmac_f64_e32 v[154:155], v[146:147], v[4:5]
	ds_load_b128 v[4:7], v2 offset:1936
	v_fmac_f64_e32 v[156:157], v[150:151], v[8:9]
	v_fma_f64 v[8:9], v[148:149], v[8:9], -v[10:11]
	s_wait_loadcnt_dscnt 0x100
	v_mul_f64_e32 v[146:147], v[4:5], v[14:15]
	v_mul_f64_e32 v[14:15], v[6:7], v[14:15]
	v_add_f64_e32 v[10:11], 0, v[144:145]
	v_add_f64_e32 v[144:145], 0, v[154:155]
	s_delay_alu instid0(VALU_DEP_4) | instskip(NEXT) | instid1(VALU_DEP_4)
	v_fmac_f64_e32 v[146:147], v[6:7], v[12:13]
	v_fma_f64 v[4:5], v[4:5], v[12:13], -v[14:15]
	s_delay_alu instid0(VALU_DEP_4) | instskip(NEXT) | instid1(VALU_DEP_4)
	v_add_f64_e32 v[6:7], v[10:11], v[8:9]
	v_add_f64_e32 v[8:9], v[144:145], v[156:157]
	s_delay_alu instid0(VALU_DEP_2) | instskip(NEXT) | instid1(VALU_DEP_2)
	v_add_f64_e32 v[4:5], v[6:7], v[4:5]
	v_add_f64_e32 v[6:7], v[8:9], v[146:147]
	s_wait_loadcnt 0x0
	s_delay_alu instid0(VALU_DEP_2) | instskip(NEXT) | instid1(VALU_DEP_2)
	v_add_f64_e64 v[4:5], v[140:141], -v[4:5]
	v_add_f64_e64 v[6:7], v[142:143], -v[6:7]
	scratch_store_b128 off, v[4:7], off offset:912
	s_wait_xcnt 0x0
	v_cmpx_lt_u32_e32 56, v1
	s_cbranch_execz .LBB124_279
; %bb.278:
	scratch_load_b128 v[6:9], off, s22
	v_dual_mov_b32 v3, v2 :: v_dual_mov_b32 v4, v2
	v_mov_b32_e32 v5, v2
	scratch_store_b128 off, v[2:5], off offset:896
	s_wait_loadcnt 0x0
	ds_store_b128 v138, v[6:9]
.LBB124_279:
	s_wait_xcnt 0x0
	s_or_b32 exec_lo, exec_lo, s2
	s_wait_storecnt_dscnt 0x0
	s_barrier_signal -1
	s_barrier_wait -1
	s_clause 0x4
	scratch_load_b128 v[4:7], off, off offset:912
	scratch_load_b128 v[8:11], off, off offset:928
	;; [unrolled: 1-line block ×5, first 2 shown]
	ds_load_b128 v[148:151], v2 offset:1888
	ds_load_b128 v[152:155], v2 offset:1904
	s_mov_b32 s2, exec_lo
	s_wait_loadcnt_dscnt 0x401
	v_mul_f64_e32 v[156:157], v[150:151], v[6:7]
	v_mul_f64_e32 v[158:159], v[148:149], v[6:7]
	s_wait_loadcnt_dscnt 0x300
	v_mul_f64_e32 v[160:161], v[152:153], v[10:11]
	v_mul_f64_e32 v[10:11], v[154:155], v[10:11]
	s_delay_alu instid0(VALU_DEP_4) | instskip(NEXT) | instid1(VALU_DEP_4)
	v_fma_f64 v[156:157], v[148:149], v[4:5], -v[156:157]
	v_fmac_f64_e32 v[158:159], v[150:151], v[4:5]
	ds_load_b128 v[4:7], v2 offset:1920
	ds_load_b128 v[148:151], v2 offset:1936
	v_fmac_f64_e32 v[160:161], v[154:155], v[8:9]
	v_fma_f64 v[8:9], v[152:153], v[8:9], -v[10:11]
	s_wait_loadcnt_dscnt 0x201
	v_mul_f64_e32 v[2:3], v[4:5], v[14:15]
	v_mul_f64_e32 v[14:15], v[6:7], v[14:15]
	s_wait_loadcnt_dscnt 0x100
	v_mul_f64_e32 v[154:155], v[148:149], v[142:143]
	v_mul_f64_e32 v[142:143], v[150:151], v[142:143]
	v_add_f64_e32 v[10:11], 0, v[156:157]
	v_add_f64_e32 v[152:153], 0, v[158:159]
	v_fmac_f64_e32 v[2:3], v[6:7], v[12:13]
	v_fma_f64 v[4:5], v[4:5], v[12:13], -v[14:15]
	v_fmac_f64_e32 v[154:155], v[150:151], v[140:141]
	v_add_f64_e32 v[6:7], v[10:11], v[8:9]
	v_add_f64_e32 v[8:9], v[152:153], v[160:161]
	v_fma_f64 v[10:11], v[148:149], v[140:141], -v[142:143]
	s_delay_alu instid0(VALU_DEP_3) | instskip(NEXT) | instid1(VALU_DEP_3)
	v_add_f64_e32 v[4:5], v[6:7], v[4:5]
	v_add_f64_e32 v[2:3], v[8:9], v[2:3]
	s_delay_alu instid0(VALU_DEP_2) | instskip(NEXT) | instid1(VALU_DEP_2)
	v_add_f64_e32 v[4:5], v[4:5], v[10:11]
	v_add_f64_e32 v[6:7], v[2:3], v[154:155]
	s_wait_loadcnt 0x0
	s_delay_alu instid0(VALU_DEP_2) | instskip(NEXT) | instid1(VALU_DEP_2)
	v_add_f64_e64 v[2:3], v[144:145], -v[4:5]
	v_add_f64_e64 v[4:5], v[146:147], -v[6:7]
	scratch_store_b128 off, v[2:5], off offset:896
	s_wait_xcnt 0x0
	v_cmpx_lt_u32_e32 55, v1
	s_cbranch_execz .LBB124_281
; %bb.280:
	scratch_load_b128 v[2:5], off, s23
	v_mov_b32_e32 v6, 0
	s_delay_alu instid0(VALU_DEP_1)
	v_dual_mov_b32 v7, v6 :: v_dual_mov_b32 v8, v6
	v_mov_b32_e32 v9, v6
	scratch_store_b128 off, v[6:9], off offset:880
	s_wait_loadcnt 0x0
	ds_store_b128 v138, v[2:5]
.LBB124_281:
	s_wait_xcnt 0x0
	s_or_b32 exec_lo, exec_lo, s2
	s_wait_storecnt_dscnt 0x0
	s_barrier_signal -1
	s_barrier_wait -1
	s_clause 0x5
	scratch_load_b128 v[4:7], off, off offset:896
	scratch_load_b128 v[8:11], off, off offset:912
	scratch_load_b128 v[12:15], off, off offset:928
	scratch_load_b128 v[140:143], off, off offset:944
	scratch_load_b128 v[144:147], off, off offset:960
	scratch_load_b128 v[148:151], off, off offset:880
	v_mov_b32_e32 v2, 0
	ds_load_b128 v[152:155], v2 offset:1872
	ds_load_b128 v[156:159], v2 offset:1888
	s_mov_b32 s2, exec_lo
	s_wait_loadcnt_dscnt 0x501
	v_mul_f64_e32 v[160:161], v[154:155], v[6:7]
	v_mul_f64_e32 v[162:163], v[152:153], v[6:7]
	s_wait_loadcnt_dscnt 0x400
	v_mul_f64_e32 v[164:165], v[156:157], v[10:11]
	v_mul_f64_e32 v[10:11], v[158:159], v[10:11]
	s_delay_alu instid0(VALU_DEP_4) | instskip(NEXT) | instid1(VALU_DEP_4)
	v_fma_f64 v[160:161], v[152:153], v[4:5], -v[160:161]
	v_fmac_f64_e32 v[162:163], v[154:155], v[4:5]
	ds_load_b128 v[4:7], v2 offset:1904
	ds_load_b128 v[152:155], v2 offset:1920
	v_fmac_f64_e32 v[164:165], v[158:159], v[8:9]
	v_fma_f64 v[8:9], v[156:157], v[8:9], -v[10:11]
	s_wait_loadcnt_dscnt 0x301
	v_mul_f64_e32 v[166:167], v[4:5], v[14:15]
	v_mul_f64_e32 v[14:15], v[6:7], v[14:15]
	s_wait_loadcnt_dscnt 0x200
	v_mul_f64_e32 v[158:159], v[152:153], v[142:143]
	v_mul_f64_e32 v[142:143], v[154:155], v[142:143]
	v_add_f64_e32 v[10:11], 0, v[160:161]
	v_add_f64_e32 v[156:157], 0, v[162:163]
	v_fmac_f64_e32 v[166:167], v[6:7], v[12:13]
	v_fma_f64 v[12:13], v[4:5], v[12:13], -v[14:15]
	ds_load_b128 v[4:7], v2 offset:1936
	v_fmac_f64_e32 v[158:159], v[154:155], v[140:141]
	v_fma_f64 v[140:141], v[152:153], v[140:141], -v[142:143]
	v_add_f64_e32 v[8:9], v[10:11], v[8:9]
	v_add_f64_e32 v[10:11], v[156:157], v[164:165]
	s_wait_loadcnt_dscnt 0x100
	v_mul_f64_e32 v[14:15], v[4:5], v[146:147]
	v_mul_f64_e32 v[146:147], v[6:7], v[146:147]
	s_delay_alu instid0(VALU_DEP_4) | instskip(NEXT) | instid1(VALU_DEP_4)
	v_add_f64_e32 v[8:9], v[8:9], v[12:13]
	v_add_f64_e32 v[10:11], v[10:11], v[166:167]
	s_delay_alu instid0(VALU_DEP_4) | instskip(NEXT) | instid1(VALU_DEP_4)
	v_fmac_f64_e32 v[14:15], v[6:7], v[144:145]
	v_fma_f64 v[4:5], v[4:5], v[144:145], -v[146:147]
	s_delay_alu instid0(VALU_DEP_4) | instskip(NEXT) | instid1(VALU_DEP_4)
	v_add_f64_e32 v[6:7], v[8:9], v[140:141]
	v_add_f64_e32 v[8:9], v[10:11], v[158:159]
	s_delay_alu instid0(VALU_DEP_2) | instskip(NEXT) | instid1(VALU_DEP_2)
	v_add_f64_e32 v[4:5], v[6:7], v[4:5]
	v_add_f64_e32 v[6:7], v[8:9], v[14:15]
	s_wait_loadcnt 0x0
	s_delay_alu instid0(VALU_DEP_2) | instskip(NEXT) | instid1(VALU_DEP_2)
	v_add_f64_e64 v[4:5], v[148:149], -v[4:5]
	v_add_f64_e64 v[6:7], v[150:151], -v[6:7]
	scratch_store_b128 off, v[4:7], off offset:880
	s_wait_xcnt 0x0
	v_cmpx_lt_u32_e32 54, v1
	s_cbranch_execz .LBB124_283
; %bb.282:
	scratch_load_b128 v[6:9], off, s24
	v_dual_mov_b32 v3, v2 :: v_dual_mov_b32 v4, v2
	v_mov_b32_e32 v5, v2
	scratch_store_b128 off, v[2:5], off offset:864
	s_wait_loadcnt 0x0
	ds_store_b128 v138, v[6:9]
.LBB124_283:
	s_wait_xcnt 0x0
	s_or_b32 exec_lo, exec_lo, s2
	s_wait_storecnt_dscnt 0x0
	s_barrier_signal -1
	s_barrier_wait -1
	s_clause 0x6
	scratch_load_b128 v[4:7], off, off offset:880
	scratch_load_b128 v[8:11], off, off offset:896
	;; [unrolled: 1-line block ×7, first 2 shown]
	ds_load_b128 v[156:159], v2 offset:1856
	ds_load_b128 v[160:163], v2 offset:1872
	s_mov_b32 s2, exec_lo
	s_wait_loadcnt_dscnt 0x601
	v_mul_f64_e32 v[164:165], v[158:159], v[6:7]
	v_mul_f64_e32 v[166:167], v[156:157], v[6:7]
	s_wait_loadcnt_dscnt 0x500
	v_mul_f64_e32 v[168:169], v[160:161], v[10:11]
	v_mul_f64_e32 v[10:11], v[162:163], v[10:11]
	s_delay_alu instid0(VALU_DEP_4) | instskip(NEXT) | instid1(VALU_DEP_4)
	v_fma_f64 v[164:165], v[156:157], v[4:5], -v[164:165]
	v_fmac_f64_e32 v[166:167], v[158:159], v[4:5]
	ds_load_b128 v[4:7], v2 offset:1888
	ds_load_b128 v[156:159], v2 offset:1904
	v_fmac_f64_e32 v[168:169], v[162:163], v[8:9]
	v_fma_f64 v[8:9], v[160:161], v[8:9], -v[10:11]
	s_wait_loadcnt_dscnt 0x401
	v_mul_f64_e32 v[170:171], v[4:5], v[14:15]
	v_mul_f64_e32 v[14:15], v[6:7], v[14:15]
	s_wait_loadcnt_dscnt 0x300
	v_mul_f64_e32 v[162:163], v[156:157], v[142:143]
	v_mul_f64_e32 v[142:143], v[158:159], v[142:143]
	v_add_f64_e32 v[10:11], 0, v[164:165]
	v_add_f64_e32 v[160:161], 0, v[166:167]
	v_fmac_f64_e32 v[170:171], v[6:7], v[12:13]
	v_fma_f64 v[12:13], v[4:5], v[12:13], -v[14:15]
	v_fmac_f64_e32 v[162:163], v[158:159], v[140:141]
	v_fma_f64 v[140:141], v[156:157], v[140:141], -v[142:143]
	v_add_f64_e32 v[14:15], v[10:11], v[8:9]
	v_add_f64_e32 v[160:161], v[160:161], v[168:169]
	ds_load_b128 v[4:7], v2 offset:1920
	ds_load_b128 v[8:11], v2 offset:1936
	s_wait_loadcnt_dscnt 0x201
	v_mul_f64_e32 v[2:3], v[4:5], v[146:147]
	v_mul_f64_e32 v[146:147], v[6:7], v[146:147]
	s_wait_loadcnt_dscnt 0x100
	v_mul_f64_e32 v[142:143], v[8:9], v[150:151]
	v_mul_f64_e32 v[150:151], v[10:11], v[150:151]
	v_add_f64_e32 v[12:13], v[14:15], v[12:13]
	v_add_f64_e32 v[14:15], v[160:161], v[170:171]
	v_fmac_f64_e32 v[2:3], v[6:7], v[144:145]
	v_fma_f64 v[4:5], v[4:5], v[144:145], -v[146:147]
	v_fmac_f64_e32 v[142:143], v[10:11], v[148:149]
	v_fma_f64 v[8:9], v[8:9], v[148:149], -v[150:151]
	v_add_f64_e32 v[6:7], v[12:13], v[140:141]
	v_add_f64_e32 v[12:13], v[14:15], v[162:163]
	s_delay_alu instid0(VALU_DEP_2) | instskip(NEXT) | instid1(VALU_DEP_2)
	v_add_f64_e32 v[4:5], v[6:7], v[4:5]
	v_add_f64_e32 v[2:3], v[12:13], v[2:3]
	s_delay_alu instid0(VALU_DEP_2) | instskip(NEXT) | instid1(VALU_DEP_2)
	v_add_f64_e32 v[4:5], v[4:5], v[8:9]
	v_add_f64_e32 v[6:7], v[2:3], v[142:143]
	s_wait_loadcnt 0x0
	s_delay_alu instid0(VALU_DEP_2) | instskip(NEXT) | instid1(VALU_DEP_2)
	v_add_f64_e64 v[2:3], v[152:153], -v[4:5]
	v_add_f64_e64 v[4:5], v[154:155], -v[6:7]
	scratch_store_b128 off, v[2:5], off offset:864
	s_wait_xcnt 0x0
	v_cmpx_lt_u32_e32 53, v1
	s_cbranch_execz .LBB124_285
; %bb.284:
	scratch_load_b128 v[2:5], off, s25
	v_mov_b32_e32 v6, 0
	s_delay_alu instid0(VALU_DEP_1)
	v_dual_mov_b32 v7, v6 :: v_dual_mov_b32 v8, v6
	v_mov_b32_e32 v9, v6
	scratch_store_b128 off, v[6:9], off offset:848
	s_wait_loadcnt 0x0
	ds_store_b128 v138, v[2:5]
.LBB124_285:
	s_wait_xcnt 0x0
	s_or_b32 exec_lo, exec_lo, s2
	s_wait_storecnt_dscnt 0x0
	s_barrier_signal -1
	s_barrier_wait -1
	s_clause 0x7
	scratch_load_b128 v[4:7], off, off offset:864
	scratch_load_b128 v[8:11], off, off offset:880
	;; [unrolled: 1-line block ×8, first 2 shown]
	v_mov_b32_e32 v2, 0
	ds_load_b128 v[160:163], v2 offset:1840
	ds_load_b128 v[164:167], v2 offset:1856
	s_mov_b32 s2, exec_lo
	s_wait_loadcnt_dscnt 0x701
	v_mul_f64_e32 v[168:169], v[162:163], v[6:7]
	v_mul_f64_e32 v[170:171], v[160:161], v[6:7]
	s_wait_loadcnt_dscnt 0x600
	v_mul_f64_e32 v[172:173], v[164:165], v[10:11]
	v_mul_f64_e32 v[10:11], v[166:167], v[10:11]
	s_delay_alu instid0(VALU_DEP_4) | instskip(NEXT) | instid1(VALU_DEP_4)
	v_fma_f64 v[168:169], v[160:161], v[4:5], -v[168:169]
	v_fmac_f64_e32 v[170:171], v[162:163], v[4:5]
	ds_load_b128 v[4:7], v2 offset:1872
	ds_load_b128 v[160:163], v2 offset:1888
	v_fmac_f64_e32 v[172:173], v[166:167], v[8:9]
	v_fma_f64 v[8:9], v[164:165], v[8:9], -v[10:11]
	s_wait_loadcnt_dscnt 0x501
	v_mul_f64_e32 v[174:175], v[4:5], v[14:15]
	v_mul_f64_e32 v[14:15], v[6:7], v[14:15]
	s_wait_loadcnt_dscnt 0x400
	v_mul_f64_e32 v[166:167], v[160:161], v[142:143]
	v_mul_f64_e32 v[142:143], v[162:163], v[142:143]
	v_add_f64_e32 v[10:11], 0, v[168:169]
	v_add_f64_e32 v[164:165], 0, v[170:171]
	v_fmac_f64_e32 v[174:175], v[6:7], v[12:13]
	v_fma_f64 v[12:13], v[4:5], v[12:13], -v[14:15]
	v_fmac_f64_e32 v[166:167], v[162:163], v[140:141]
	v_fma_f64 v[140:141], v[160:161], v[140:141], -v[142:143]
	v_add_f64_e32 v[14:15], v[10:11], v[8:9]
	v_add_f64_e32 v[164:165], v[164:165], v[172:173]
	ds_load_b128 v[4:7], v2 offset:1904
	ds_load_b128 v[8:11], v2 offset:1920
	s_wait_loadcnt_dscnt 0x301
	v_mul_f64_e32 v[168:169], v[4:5], v[146:147]
	v_mul_f64_e32 v[146:147], v[6:7], v[146:147]
	s_wait_loadcnt_dscnt 0x200
	v_mul_f64_e32 v[142:143], v[8:9], v[150:151]
	v_mul_f64_e32 v[150:151], v[10:11], v[150:151]
	v_add_f64_e32 v[12:13], v[14:15], v[12:13]
	v_add_f64_e32 v[14:15], v[164:165], v[174:175]
	v_fmac_f64_e32 v[168:169], v[6:7], v[144:145]
	v_fma_f64 v[144:145], v[4:5], v[144:145], -v[146:147]
	ds_load_b128 v[4:7], v2 offset:1936
	v_fmac_f64_e32 v[142:143], v[10:11], v[148:149]
	v_fma_f64 v[8:9], v[8:9], v[148:149], -v[150:151]
	v_add_f64_e32 v[12:13], v[12:13], v[140:141]
	v_add_f64_e32 v[14:15], v[14:15], v[166:167]
	s_wait_loadcnt_dscnt 0x100
	v_mul_f64_e32 v[140:141], v[4:5], v[154:155]
	v_mul_f64_e32 v[146:147], v[6:7], v[154:155]
	s_delay_alu instid0(VALU_DEP_4) | instskip(NEXT) | instid1(VALU_DEP_4)
	v_add_f64_e32 v[10:11], v[12:13], v[144:145]
	v_add_f64_e32 v[12:13], v[14:15], v[168:169]
	s_delay_alu instid0(VALU_DEP_4) | instskip(NEXT) | instid1(VALU_DEP_4)
	v_fmac_f64_e32 v[140:141], v[6:7], v[152:153]
	v_fma_f64 v[4:5], v[4:5], v[152:153], -v[146:147]
	s_delay_alu instid0(VALU_DEP_4) | instskip(NEXT) | instid1(VALU_DEP_4)
	v_add_f64_e32 v[6:7], v[10:11], v[8:9]
	v_add_f64_e32 v[8:9], v[12:13], v[142:143]
	s_delay_alu instid0(VALU_DEP_2) | instskip(NEXT) | instid1(VALU_DEP_2)
	v_add_f64_e32 v[4:5], v[6:7], v[4:5]
	v_add_f64_e32 v[6:7], v[8:9], v[140:141]
	s_wait_loadcnt 0x0
	s_delay_alu instid0(VALU_DEP_2) | instskip(NEXT) | instid1(VALU_DEP_2)
	v_add_f64_e64 v[4:5], v[156:157], -v[4:5]
	v_add_f64_e64 v[6:7], v[158:159], -v[6:7]
	scratch_store_b128 off, v[4:7], off offset:848
	s_wait_xcnt 0x0
	v_cmpx_lt_u32_e32 52, v1
	s_cbranch_execz .LBB124_287
; %bb.286:
	scratch_load_b128 v[6:9], off, s26
	v_dual_mov_b32 v3, v2 :: v_dual_mov_b32 v4, v2
	v_mov_b32_e32 v5, v2
	scratch_store_b128 off, v[2:5], off offset:832
	s_wait_loadcnt 0x0
	ds_store_b128 v138, v[6:9]
.LBB124_287:
	s_wait_xcnt 0x0
	s_or_b32 exec_lo, exec_lo, s2
	s_wait_storecnt_dscnt 0x0
	s_barrier_signal -1
	s_barrier_wait -1
	s_clause 0x7
	scratch_load_b128 v[4:7], off, off offset:848
	scratch_load_b128 v[8:11], off, off offset:864
	;; [unrolled: 1-line block ×8, first 2 shown]
	ds_load_b128 v[160:163], v2 offset:1824
	ds_load_b128 v[164:167], v2 offset:1840
	scratch_load_b128 v[168:171], off, off offset:832
	s_mov_b32 s2, exec_lo
	s_wait_loadcnt_dscnt 0x801
	v_mul_f64_e32 v[172:173], v[162:163], v[6:7]
	v_mul_f64_e32 v[174:175], v[160:161], v[6:7]
	s_wait_loadcnt_dscnt 0x700
	v_mul_f64_e32 v[176:177], v[164:165], v[10:11]
	v_mul_f64_e32 v[10:11], v[166:167], v[10:11]
	s_delay_alu instid0(VALU_DEP_4) | instskip(NEXT) | instid1(VALU_DEP_4)
	v_fma_f64 v[172:173], v[160:161], v[4:5], -v[172:173]
	v_fmac_f64_e32 v[174:175], v[162:163], v[4:5]
	ds_load_b128 v[4:7], v2 offset:1856
	ds_load_b128 v[160:163], v2 offset:1872
	v_fmac_f64_e32 v[176:177], v[166:167], v[8:9]
	v_fma_f64 v[8:9], v[164:165], v[8:9], -v[10:11]
	s_wait_loadcnt_dscnt 0x601
	v_mul_f64_e32 v[178:179], v[4:5], v[14:15]
	v_mul_f64_e32 v[14:15], v[6:7], v[14:15]
	s_wait_loadcnt_dscnt 0x500
	v_mul_f64_e32 v[166:167], v[160:161], v[142:143]
	v_mul_f64_e32 v[142:143], v[162:163], v[142:143]
	v_add_f64_e32 v[10:11], 0, v[172:173]
	v_add_f64_e32 v[164:165], 0, v[174:175]
	v_fmac_f64_e32 v[178:179], v[6:7], v[12:13]
	v_fma_f64 v[12:13], v[4:5], v[12:13], -v[14:15]
	v_fmac_f64_e32 v[166:167], v[162:163], v[140:141]
	v_fma_f64 v[140:141], v[160:161], v[140:141], -v[142:143]
	v_add_f64_e32 v[14:15], v[10:11], v[8:9]
	v_add_f64_e32 v[164:165], v[164:165], v[176:177]
	ds_load_b128 v[4:7], v2 offset:1888
	ds_load_b128 v[8:11], v2 offset:1904
	s_wait_loadcnt_dscnt 0x401
	v_mul_f64_e32 v[172:173], v[4:5], v[146:147]
	v_mul_f64_e32 v[146:147], v[6:7], v[146:147]
	s_wait_loadcnt_dscnt 0x300
	v_mul_f64_e32 v[142:143], v[8:9], v[150:151]
	v_mul_f64_e32 v[150:151], v[10:11], v[150:151]
	v_add_f64_e32 v[12:13], v[14:15], v[12:13]
	v_add_f64_e32 v[14:15], v[164:165], v[178:179]
	v_fmac_f64_e32 v[172:173], v[6:7], v[144:145]
	v_fma_f64 v[144:145], v[4:5], v[144:145], -v[146:147]
	v_fmac_f64_e32 v[142:143], v[10:11], v[148:149]
	v_fma_f64 v[8:9], v[8:9], v[148:149], -v[150:151]
	v_add_f64_e32 v[140:141], v[12:13], v[140:141]
	v_add_f64_e32 v[146:147], v[14:15], v[166:167]
	ds_load_b128 v[4:7], v2 offset:1920
	ds_load_b128 v[12:15], v2 offset:1936
	s_wait_loadcnt_dscnt 0x201
	v_mul_f64_e32 v[2:3], v[4:5], v[154:155]
	v_mul_f64_e32 v[154:155], v[6:7], v[154:155]
	v_add_f64_e32 v[10:11], v[140:141], v[144:145]
	v_add_f64_e32 v[140:141], v[146:147], v[172:173]
	s_wait_loadcnt_dscnt 0x100
	v_mul_f64_e32 v[144:145], v[12:13], v[158:159]
	v_mul_f64_e32 v[146:147], v[14:15], v[158:159]
	v_fmac_f64_e32 v[2:3], v[6:7], v[152:153]
	v_fma_f64 v[4:5], v[4:5], v[152:153], -v[154:155]
	v_add_f64_e32 v[6:7], v[10:11], v[8:9]
	v_add_f64_e32 v[8:9], v[140:141], v[142:143]
	v_fmac_f64_e32 v[144:145], v[14:15], v[156:157]
	v_fma_f64 v[10:11], v[12:13], v[156:157], -v[146:147]
	s_delay_alu instid0(VALU_DEP_4) | instskip(NEXT) | instid1(VALU_DEP_4)
	v_add_f64_e32 v[4:5], v[6:7], v[4:5]
	v_add_f64_e32 v[2:3], v[8:9], v[2:3]
	s_delay_alu instid0(VALU_DEP_2) | instskip(NEXT) | instid1(VALU_DEP_2)
	v_add_f64_e32 v[4:5], v[4:5], v[10:11]
	v_add_f64_e32 v[6:7], v[2:3], v[144:145]
	s_wait_loadcnt 0x0
	s_delay_alu instid0(VALU_DEP_2) | instskip(NEXT) | instid1(VALU_DEP_2)
	v_add_f64_e64 v[2:3], v[168:169], -v[4:5]
	v_add_f64_e64 v[4:5], v[170:171], -v[6:7]
	scratch_store_b128 off, v[2:5], off offset:832
	s_wait_xcnt 0x0
	v_cmpx_lt_u32_e32 51, v1
	s_cbranch_execz .LBB124_289
; %bb.288:
	scratch_load_b128 v[2:5], off, s27
	v_mov_b32_e32 v6, 0
	s_delay_alu instid0(VALU_DEP_1)
	v_dual_mov_b32 v7, v6 :: v_dual_mov_b32 v8, v6
	v_mov_b32_e32 v9, v6
	scratch_store_b128 off, v[6:9], off offset:816
	s_wait_loadcnt 0x0
	ds_store_b128 v138, v[2:5]
.LBB124_289:
	s_wait_xcnt 0x0
	s_or_b32 exec_lo, exec_lo, s2
	s_wait_storecnt_dscnt 0x0
	s_barrier_signal -1
	s_barrier_wait -1
	s_clause 0x8
	scratch_load_b128 v[4:7], off, off offset:832
	scratch_load_b128 v[8:11], off, off offset:848
	;; [unrolled: 1-line block ×9, first 2 shown]
	v_mov_b32_e32 v2, 0
	scratch_load_b128 v[168:171], off, off offset:816
	s_mov_b32 s2, exec_lo
	ds_load_b128 v[164:167], v2 offset:1808
	ds_load_b128 v[172:175], v2 offset:1824
	s_wait_loadcnt_dscnt 0x901
	v_mul_f64_e32 v[176:177], v[166:167], v[6:7]
	v_mul_f64_e32 v[178:179], v[164:165], v[6:7]
	s_wait_loadcnt_dscnt 0x800
	v_mul_f64_e32 v[180:181], v[172:173], v[10:11]
	v_mul_f64_e32 v[10:11], v[174:175], v[10:11]
	s_delay_alu instid0(VALU_DEP_4) | instskip(NEXT) | instid1(VALU_DEP_4)
	v_fma_f64 v[176:177], v[164:165], v[4:5], -v[176:177]
	v_fmac_f64_e32 v[178:179], v[166:167], v[4:5]
	ds_load_b128 v[4:7], v2 offset:1840
	ds_load_b128 v[164:167], v2 offset:1856
	v_fmac_f64_e32 v[180:181], v[174:175], v[8:9]
	v_fma_f64 v[8:9], v[172:173], v[8:9], -v[10:11]
	s_wait_loadcnt_dscnt 0x701
	v_mul_f64_e32 v[182:183], v[4:5], v[14:15]
	v_mul_f64_e32 v[14:15], v[6:7], v[14:15]
	s_wait_loadcnt_dscnt 0x600
	v_mul_f64_e32 v[174:175], v[164:165], v[142:143]
	v_mul_f64_e32 v[142:143], v[166:167], v[142:143]
	v_add_f64_e32 v[10:11], 0, v[176:177]
	v_add_f64_e32 v[172:173], 0, v[178:179]
	v_fmac_f64_e32 v[182:183], v[6:7], v[12:13]
	v_fma_f64 v[12:13], v[4:5], v[12:13], -v[14:15]
	v_fmac_f64_e32 v[174:175], v[166:167], v[140:141]
	v_fma_f64 v[140:141], v[164:165], v[140:141], -v[142:143]
	v_add_f64_e32 v[14:15], v[10:11], v[8:9]
	v_add_f64_e32 v[172:173], v[172:173], v[180:181]
	ds_load_b128 v[4:7], v2 offset:1872
	ds_load_b128 v[8:11], v2 offset:1888
	s_wait_loadcnt_dscnt 0x501
	v_mul_f64_e32 v[176:177], v[4:5], v[146:147]
	v_mul_f64_e32 v[146:147], v[6:7], v[146:147]
	s_wait_loadcnt_dscnt 0x400
	v_mul_f64_e32 v[142:143], v[8:9], v[150:151]
	v_mul_f64_e32 v[150:151], v[10:11], v[150:151]
	v_add_f64_e32 v[12:13], v[14:15], v[12:13]
	v_add_f64_e32 v[14:15], v[172:173], v[182:183]
	v_fmac_f64_e32 v[176:177], v[6:7], v[144:145]
	v_fma_f64 v[144:145], v[4:5], v[144:145], -v[146:147]
	v_fmac_f64_e32 v[142:143], v[10:11], v[148:149]
	v_fma_f64 v[8:9], v[8:9], v[148:149], -v[150:151]
	v_add_f64_e32 v[140:141], v[12:13], v[140:141]
	v_add_f64_e32 v[146:147], v[14:15], v[174:175]
	ds_load_b128 v[4:7], v2 offset:1904
	ds_load_b128 v[12:15], v2 offset:1920
	s_wait_loadcnt_dscnt 0x301
	v_mul_f64_e32 v[164:165], v[4:5], v[154:155]
	v_mul_f64_e32 v[154:155], v[6:7], v[154:155]
	v_add_f64_e32 v[10:11], v[140:141], v[144:145]
	v_add_f64_e32 v[140:141], v[146:147], v[176:177]
	s_wait_loadcnt_dscnt 0x200
	v_mul_f64_e32 v[144:145], v[12:13], v[158:159]
	v_mul_f64_e32 v[146:147], v[14:15], v[158:159]
	v_fmac_f64_e32 v[164:165], v[6:7], v[152:153]
	v_fma_f64 v[148:149], v[4:5], v[152:153], -v[154:155]
	ds_load_b128 v[4:7], v2 offset:1936
	v_add_f64_e32 v[8:9], v[10:11], v[8:9]
	v_add_f64_e32 v[10:11], v[140:141], v[142:143]
	v_fmac_f64_e32 v[144:145], v[14:15], v[156:157]
	v_fma_f64 v[12:13], v[12:13], v[156:157], -v[146:147]
	s_wait_loadcnt_dscnt 0x100
	v_mul_f64_e32 v[140:141], v[4:5], v[162:163]
	v_mul_f64_e32 v[142:143], v[6:7], v[162:163]
	v_add_f64_e32 v[8:9], v[8:9], v[148:149]
	v_add_f64_e32 v[10:11], v[10:11], v[164:165]
	s_delay_alu instid0(VALU_DEP_4) | instskip(NEXT) | instid1(VALU_DEP_4)
	v_fmac_f64_e32 v[140:141], v[6:7], v[160:161]
	v_fma_f64 v[4:5], v[4:5], v[160:161], -v[142:143]
	s_delay_alu instid0(VALU_DEP_4) | instskip(NEXT) | instid1(VALU_DEP_4)
	v_add_f64_e32 v[6:7], v[8:9], v[12:13]
	v_add_f64_e32 v[8:9], v[10:11], v[144:145]
	s_delay_alu instid0(VALU_DEP_2) | instskip(NEXT) | instid1(VALU_DEP_2)
	v_add_f64_e32 v[4:5], v[6:7], v[4:5]
	v_add_f64_e32 v[6:7], v[8:9], v[140:141]
	s_wait_loadcnt 0x0
	s_delay_alu instid0(VALU_DEP_2) | instskip(NEXT) | instid1(VALU_DEP_2)
	v_add_f64_e64 v[4:5], v[168:169], -v[4:5]
	v_add_f64_e64 v[6:7], v[170:171], -v[6:7]
	scratch_store_b128 off, v[4:7], off offset:816
	s_wait_xcnt 0x0
	v_cmpx_lt_u32_e32 50, v1
	s_cbranch_execz .LBB124_291
; %bb.290:
	scratch_load_b128 v[6:9], off, s28
	v_dual_mov_b32 v3, v2 :: v_dual_mov_b32 v4, v2
	v_mov_b32_e32 v5, v2
	scratch_store_b128 off, v[2:5], off offset:800
	s_wait_loadcnt 0x0
	ds_store_b128 v138, v[6:9]
.LBB124_291:
	s_wait_xcnt 0x0
	s_or_b32 exec_lo, exec_lo, s2
	s_wait_storecnt_dscnt 0x0
	s_barrier_signal -1
	s_barrier_wait -1
	s_clause 0x9
	scratch_load_b128 v[4:7], off, off offset:816
	scratch_load_b128 v[8:11], off, off offset:832
	;; [unrolled: 1-line block ×10, first 2 shown]
	ds_load_b128 v[168:171], v2 offset:1792
	ds_load_b128 v[172:175], v2 offset:1808
	scratch_load_b128 v[176:179], off, off offset:800
	s_mov_b32 s2, exec_lo
	s_wait_loadcnt_dscnt 0xa01
	v_mul_f64_e32 v[180:181], v[170:171], v[6:7]
	v_mul_f64_e32 v[182:183], v[168:169], v[6:7]
	s_wait_loadcnt_dscnt 0x900
	v_mul_f64_e32 v[184:185], v[172:173], v[10:11]
	v_mul_f64_e32 v[10:11], v[174:175], v[10:11]
	s_delay_alu instid0(VALU_DEP_4) | instskip(NEXT) | instid1(VALU_DEP_4)
	v_fma_f64 v[180:181], v[168:169], v[4:5], -v[180:181]
	v_fmac_f64_e32 v[182:183], v[170:171], v[4:5]
	ds_load_b128 v[4:7], v2 offset:1824
	ds_load_b128 v[168:171], v2 offset:1840
	v_fmac_f64_e32 v[184:185], v[174:175], v[8:9]
	v_fma_f64 v[8:9], v[172:173], v[8:9], -v[10:11]
	s_wait_loadcnt_dscnt 0x801
	v_mul_f64_e32 v[186:187], v[4:5], v[14:15]
	v_mul_f64_e32 v[14:15], v[6:7], v[14:15]
	s_wait_loadcnt_dscnt 0x700
	v_mul_f64_e32 v[174:175], v[168:169], v[142:143]
	v_mul_f64_e32 v[142:143], v[170:171], v[142:143]
	v_add_f64_e32 v[10:11], 0, v[180:181]
	v_add_f64_e32 v[172:173], 0, v[182:183]
	v_fmac_f64_e32 v[186:187], v[6:7], v[12:13]
	v_fma_f64 v[12:13], v[4:5], v[12:13], -v[14:15]
	v_fmac_f64_e32 v[174:175], v[170:171], v[140:141]
	v_fma_f64 v[140:141], v[168:169], v[140:141], -v[142:143]
	v_add_f64_e32 v[14:15], v[10:11], v[8:9]
	v_add_f64_e32 v[172:173], v[172:173], v[184:185]
	ds_load_b128 v[4:7], v2 offset:1856
	ds_load_b128 v[8:11], v2 offset:1872
	s_wait_loadcnt_dscnt 0x601
	v_mul_f64_e32 v[180:181], v[4:5], v[146:147]
	v_mul_f64_e32 v[146:147], v[6:7], v[146:147]
	s_wait_loadcnt_dscnt 0x500
	v_mul_f64_e32 v[142:143], v[8:9], v[150:151]
	v_mul_f64_e32 v[150:151], v[10:11], v[150:151]
	v_add_f64_e32 v[12:13], v[14:15], v[12:13]
	v_add_f64_e32 v[14:15], v[172:173], v[186:187]
	v_fmac_f64_e32 v[180:181], v[6:7], v[144:145]
	v_fma_f64 v[144:145], v[4:5], v[144:145], -v[146:147]
	v_fmac_f64_e32 v[142:143], v[10:11], v[148:149]
	v_fma_f64 v[8:9], v[8:9], v[148:149], -v[150:151]
	v_add_f64_e32 v[140:141], v[12:13], v[140:141]
	v_add_f64_e32 v[146:147], v[14:15], v[174:175]
	ds_load_b128 v[4:7], v2 offset:1888
	ds_load_b128 v[12:15], v2 offset:1904
	s_wait_loadcnt_dscnt 0x401
	v_mul_f64_e32 v[168:169], v[4:5], v[154:155]
	v_mul_f64_e32 v[154:155], v[6:7], v[154:155]
	v_add_f64_e32 v[10:11], v[140:141], v[144:145]
	v_add_f64_e32 v[140:141], v[146:147], v[180:181]
	s_wait_loadcnt_dscnt 0x300
	v_mul_f64_e32 v[144:145], v[12:13], v[158:159]
	v_mul_f64_e32 v[146:147], v[14:15], v[158:159]
	v_fmac_f64_e32 v[168:169], v[6:7], v[152:153]
	v_fma_f64 v[148:149], v[4:5], v[152:153], -v[154:155]
	v_add_f64_e32 v[150:151], v[10:11], v[8:9]
	v_add_f64_e32 v[140:141], v[140:141], v[142:143]
	ds_load_b128 v[4:7], v2 offset:1920
	ds_load_b128 v[8:11], v2 offset:1936
	v_fmac_f64_e32 v[144:145], v[14:15], v[156:157]
	v_fma_f64 v[12:13], v[12:13], v[156:157], -v[146:147]
	s_wait_loadcnt_dscnt 0x201
	v_mul_f64_e32 v[2:3], v[4:5], v[162:163]
	v_mul_f64_e32 v[142:143], v[6:7], v[162:163]
	s_wait_loadcnt_dscnt 0x100
	v_mul_f64_e32 v[146:147], v[8:9], v[166:167]
	v_add_f64_e32 v[14:15], v[150:151], v[148:149]
	v_add_f64_e32 v[140:141], v[140:141], v[168:169]
	v_mul_f64_e32 v[148:149], v[10:11], v[166:167]
	v_fmac_f64_e32 v[2:3], v[6:7], v[160:161]
	v_fma_f64 v[4:5], v[4:5], v[160:161], -v[142:143]
	v_fmac_f64_e32 v[146:147], v[10:11], v[164:165]
	v_add_f64_e32 v[6:7], v[14:15], v[12:13]
	v_add_f64_e32 v[12:13], v[140:141], v[144:145]
	v_fma_f64 v[8:9], v[8:9], v[164:165], -v[148:149]
	s_delay_alu instid0(VALU_DEP_3) | instskip(NEXT) | instid1(VALU_DEP_3)
	v_add_f64_e32 v[4:5], v[6:7], v[4:5]
	v_add_f64_e32 v[2:3], v[12:13], v[2:3]
	s_delay_alu instid0(VALU_DEP_2) | instskip(NEXT) | instid1(VALU_DEP_2)
	v_add_f64_e32 v[4:5], v[4:5], v[8:9]
	v_add_f64_e32 v[6:7], v[2:3], v[146:147]
	s_wait_loadcnt 0x0
	s_delay_alu instid0(VALU_DEP_2) | instskip(NEXT) | instid1(VALU_DEP_2)
	v_add_f64_e64 v[2:3], v[176:177], -v[4:5]
	v_add_f64_e64 v[4:5], v[178:179], -v[6:7]
	scratch_store_b128 off, v[2:5], off offset:800
	s_wait_xcnt 0x0
	v_cmpx_lt_u32_e32 49, v1
	s_cbranch_execz .LBB124_293
; %bb.292:
	scratch_load_b128 v[2:5], off, s29
	v_mov_b32_e32 v6, 0
	s_delay_alu instid0(VALU_DEP_1)
	v_dual_mov_b32 v7, v6 :: v_dual_mov_b32 v8, v6
	v_mov_b32_e32 v9, v6
	scratch_store_b128 off, v[6:9], off offset:784
	s_wait_loadcnt 0x0
	ds_store_b128 v138, v[2:5]
.LBB124_293:
	s_wait_xcnt 0x0
	s_or_b32 exec_lo, exec_lo, s2
	s_wait_storecnt_dscnt 0x0
	s_barrier_signal -1
	s_barrier_wait -1
	s_clause 0x9
	scratch_load_b128 v[4:7], off, off offset:800
	scratch_load_b128 v[8:11], off, off offset:816
	;; [unrolled: 1-line block ×10, first 2 shown]
	v_mov_b32_e32 v2, 0
	s_mov_b32 s2, exec_lo
	ds_load_b128 v[168:171], v2 offset:1776
	s_clause 0x1
	scratch_load_b128 v[172:175], off, off offset:960
	scratch_load_b128 v[176:179], off, off offset:784
	s_wait_loadcnt_dscnt 0xb00
	v_mul_f64_e32 v[184:185], v[170:171], v[6:7]
	v_mul_f64_e32 v[186:187], v[168:169], v[6:7]
	ds_load_b128 v[180:183], v2 offset:1792
	s_wait_loadcnt_dscnt 0xa00
	v_mul_f64_e32 v[188:189], v[180:181], v[10:11]
	v_mul_f64_e32 v[10:11], v[182:183], v[10:11]
	v_fma_f64 v[184:185], v[168:169], v[4:5], -v[184:185]
	v_fmac_f64_e32 v[186:187], v[170:171], v[4:5]
	ds_load_b128 v[4:7], v2 offset:1808
	ds_load_b128 v[168:171], v2 offset:1824
	s_wait_loadcnt_dscnt 0x901
	v_mul_f64_e32 v[190:191], v[4:5], v[14:15]
	v_mul_f64_e32 v[14:15], v[6:7], v[14:15]
	v_fmac_f64_e32 v[188:189], v[182:183], v[8:9]
	v_fma_f64 v[8:9], v[180:181], v[8:9], -v[10:11]
	s_wait_loadcnt_dscnt 0x800
	v_mul_f64_e32 v[182:183], v[168:169], v[142:143]
	v_mul_f64_e32 v[142:143], v[170:171], v[142:143]
	v_add_f64_e32 v[10:11], 0, v[184:185]
	v_add_f64_e32 v[180:181], 0, v[186:187]
	v_fmac_f64_e32 v[190:191], v[6:7], v[12:13]
	v_fma_f64 v[12:13], v[4:5], v[12:13], -v[14:15]
	v_fmac_f64_e32 v[182:183], v[170:171], v[140:141]
	v_fma_f64 v[140:141], v[168:169], v[140:141], -v[142:143]
	v_add_f64_e32 v[14:15], v[10:11], v[8:9]
	v_add_f64_e32 v[180:181], v[180:181], v[188:189]
	ds_load_b128 v[4:7], v2 offset:1840
	ds_load_b128 v[8:11], v2 offset:1856
	s_wait_loadcnt_dscnt 0x701
	v_mul_f64_e32 v[184:185], v[4:5], v[146:147]
	v_mul_f64_e32 v[146:147], v[6:7], v[146:147]
	s_wait_loadcnt_dscnt 0x600
	v_mul_f64_e32 v[142:143], v[8:9], v[150:151]
	v_mul_f64_e32 v[150:151], v[10:11], v[150:151]
	v_add_f64_e32 v[12:13], v[14:15], v[12:13]
	v_add_f64_e32 v[14:15], v[180:181], v[190:191]
	v_fmac_f64_e32 v[184:185], v[6:7], v[144:145]
	v_fma_f64 v[144:145], v[4:5], v[144:145], -v[146:147]
	v_fmac_f64_e32 v[142:143], v[10:11], v[148:149]
	v_fma_f64 v[8:9], v[8:9], v[148:149], -v[150:151]
	v_add_f64_e32 v[140:141], v[12:13], v[140:141]
	v_add_f64_e32 v[146:147], v[14:15], v[182:183]
	ds_load_b128 v[4:7], v2 offset:1872
	ds_load_b128 v[12:15], v2 offset:1888
	s_wait_loadcnt_dscnt 0x501
	v_mul_f64_e32 v[168:169], v[4:5], v[154:155]
	v_mul_f64_e32 v[154:155], v[6:7], v[154:155]
	v_add_f64_e32 v[10:11], v[140:141], v[144:145]
	v_add_f64_e32 v[140:141], v[146:147], v[184:185]
	s_wait_loadcnt_dscnt 0x400
	v_mul_f64_e32 v[144:145], v[12:13], v[158:159]
	v_mul_f64_e32 v[146:147], v[14:15], v[158:159]
	v_fmac_f64_e32 v[168:169], v[6:7], v[152:153]
	v_fma_f64 v[148:149], v[4:5], v[152:153], -v[154:155]
	v_add_f64_e32 v[150:151], v[10:11], v[8:9]
	v_add_f64_e32 v[140:141], v[140:141], v[142:143]
	ds_load_b128 v[4:7], v2 offset:1904
	ds_load_b128 v[8:11], v2 offset:1920
	v_fmac_f64_e32 v[144:145], v[14:15], v[156:157]
	v_fma_f64 v[12:13], v[12:13], v[156:157], -v[146:147]
	s_wait_loadcnt_dscnt 0x301
	v_mul_f64_e32 v[142:143], v[4:5], v[162:163]
	v_mul_f64_e32 v[152:153], v[6:7], v[162:163]
	s_wait_loadcnt_dscnt 0x200
	v_mul_f64_e32 v[146:147], v[8:9], v[166:167]
	v_add_f64_e32 v[14:15], v[150:151], v[148:149]
	v_add_f64_e32 v[140:141], v[140:141], v[168:169]
	v_mul_f64_e32 v[148:149], v[10:11], v[166:167]
	v_fmac_f64_e32 v[142:143], v[6:7], v[160:161]
	v_fma_f64 v[150:151], v[4:5], v[160:161], -v[152:153]
	ds_load_b128 v[4:7], v2 offset:1936
	v_fmac_f64_e32 v[146:147], v[10:11], v[164:165]
	v_add_f64_e32 v[12:13], v[14:15], v[12:13]
	v_add_f64_e32 v[14:15], v[140:141], v[144:145]
	v_fma_f64 v[8:9], v[8:9], v[164:165], -v[148:149]
	s_wait_loadcnt_dscnt 0x100
	v_mul_f64_e32 v[140:141], v[4:5], v[174:175]
	v_mul_f64_e32 v[144:145], v[6:7], v[174:175]
	v_add_f64_e32 v[10:11], v[12:13], v[150:151]
	v_add_f64_e32 v[12:13], v[14:15], v[142:143]
	s_delay_alu instid0(VALU_DEP_4) | instskip(NEXT) | instid1(VALU_DEP_4)
	v_fmac_f64_e32 v[140:141], v[6:7], v[172:173]
	v_fma_f64 v[4:5], v[4:5], v[172:173], -v[144:145]
	s_delay_alu instid0(VALU_DEP_4) | instskip(NEXT) | instid1(VALU_DEP_4)
	v_add_f64_e32 v[6:7], v[10:11], v[8:9]
	v_add_f64_e32 v[8:9], v[12:13], v[146:147]
	s_delay_alu instid0(VALU_DEP_2) | instskip(NEXT) | instid1(VALU_DEP_2)
	v_add_f64_e32 v[4:5], v[6:7], v[4:5]
	v_add_f64_e32 v[6:7], v[8:9], v[140:141]
	s_wait_loadcnt 0x0
	s_delay_alu instid0(VALU_DEP_2) | instskip(NEXT) | instid1(VALU_DEP_2)
	v_add_f64_e64 v[4:5], v[176:177], -v[4:5]
	v_add_f64_e64 v[6:7], v[178:179], -v[6:7]
	scratch_store_b128 off, v[4:7], off offset:784
	s_wait_xcnt 0x0
	v_cmpx_lt_u32_e32 48, v1
	s_cbranch_execz .LBB124_295
; %bb.294:
	scratch_load_b128 v[6:9], off, s30
	v_dual_mov_b32 v3, v2 :: v_dual_mov_b32 v4, v2
	v_mov_b32_e32 v5, v2
	scratch_store_b128 off, v[2:5], off offset:768
	s_wait_loadcnt 0x0
	ds_store_b128 v138, v[6:9]
.LBB124_295:
	s_wait_xcnt 0x0
	s_or_b32 exec_lo, exec_lo, s2
	s_wait_storecnt_dscnt 0x0
	s_barrier_signal -1
	s_barrier_wait -1
	s_clause 0x9
	scratch_load_b128 v[4:7], off, off offset:784
	scratch_load_b128 v[8:11], off, off offset:800
	;; [unrolled: 1-line block ×10, first 2 shown]
	ds_load_b128 v[168:171], v2 offset:1760
	ds_load_b128 v[176:179], v2 offset:1776
	s_clause 0x2
	scratch_load_b128 v[172:175], off, off offset:944
	scratch_load_b128 v[180:183], off, off offset:768
	;; [unrolled: 1-line block ×3, first 2 shown]
	s_mov_b32 s2, exec_lo
	s_wait_loadcnt_dscnt 0xc01
	v_mul_f64_e32 v[188:189], v[170:171], v[6:7]
	v_mul_f64_e32 v[190:191], v[168:169], v[6:7]
	s_wait_loadcnt_dscnt 0xb00
	v_mul_f64_e32 v[192:193], v[176:177], v[10:11]
	v_mul_f64_e32 v[10:11], v[178:179], v[10:11]
	s_delay_alu instid0(VALU_DEP_4) | instskip(NEXT) | instid1(VALU_DEP_4)
	v_fma_f64 v[188:189], v[168:169], v[4:5], -v[188:189]
	v_fmac_f64_e32 v[190:191], v[170:171], v[4:5]
	ds_load_b128 v[4:7], v2 offset:1792
	ds_load_b128 v[168:171], v2 offset:1808
	v_fmac_f64_e32 v[192:193], v[178:179], v[8:9]
	v_fma_f64 v[8:9], v[176:177], v[8:9], -v[10:11]
	s_wait_loadcnt_dscnt 0xa01
	v_mul_f64_e32 v[194:195], v[4:5], v[14:15]
	v_mul_f64_e32 v[14:15], v[6:7], v[14:15]
	s_wait_loadcnt_dscnt 0x900
	v_mul_f64_e32 v[178:179], v[168:169], v[142:143]
	v_mul_f64_e32 v[142:143], v[170:171], v[142:143]
	v_add_f64_e32 v[10:11], 0, v[188:189]
	v_add_f64_e32 v[176:177], 0, v[190:191]
	v_fmac_f64_e32 v[194:195], v[6:7], v[12:13]
	v_fma_f64 v[12:13], v[4:5], v[12:13], -v[14:15]
	v_fmac_f64_e32 v[178:179], v[170:171], v[140:141]
	v_fma_f64 v[140:141], v[168:169], v[140:141], -v[142:143]
	v_add_f64_e32 v[14:15], v[10:11], v[8:9]
	v_add_f64_e32 v[176:177], v[176:177], v[192:193]
	ds_load_b128 v[4:7], v2 offset:1824
	ds_load_b128 v[8:11], v2 offset:1840
	s_wait_loadcnt_dscnt 0x801
	v_mul_f64_e32 v[188:189], v[4:5], v[146:147]
	v_mul_f64_e32 v[146:147], v[6:7], v[146:147]
	s_wait_loadcnt_dscnt 0x700
	v_mul_f64_e32 v[142:143], v[8:9], v[150:151]
	v_mul_f64_e32 v[150:151], v[10:11], v[150:151]
	v_add_f64_e32 v[12:13], v[14:15], v[12:13]
	v_add_f64_e32 v[14:15], v[176:177], v[194:195]
	v_fmac_f64_e32 v[188:189], v[6:7], v[144:145]
	v_fma_f64 v[144:145], v[4:5], v[144:145], -v[146:147]
	v_fmac_f64_e32 v[142:143], v[10:11], v[148:149]
	v_fma_f64 v[8:9], v[8:9], v[148:149], -v[150:151]
	v_add_f64_e32 v[140:141], v[12:13], v[140:141]
	v_add_f64_e32 v[146:147], v[14:15], v[178:179]
	ds_load_b128 v[4:7], v2 offset:1856
	ds_load_b128 v[12:15], v2 offset:1872
	s_wait_loadcnt_dscnt 0x601
	v_mul_f64_e32 v[168:169], v[4:5], v[154:155]
	v_mul_f64_e32 v[154:155], v[6:7], v[154:155]
	v_add_f64_e32 v[10:11], v[140:141], v[144:145]
	v_add_f64_e32 v[140:141], v[146:147], v[188:189]
	s_wait_loadcnt_dscnt 0x500
	v_mul_f64_e32 v[144:145], v[12:13], v[158:159]
	v_mul_f64_e32 v[146:147], v[14:15], v[158:159]
	v_fmac_f64_e32 v[168:169], v[6:7], v[152:153]
	v_fma_f64 v[148:149], v[4:5], v[152:153], -v[154:155]
	v_add_f64_e32 v[150:151], v[10:11], v[8:9]
	v_add_f64_e32 v[140:141], v[140:141], v[142:143]
	ds_load_b128 v[4:7], v2 offset:1888
	ds_load_b128 v[8:11], v2 offset:1904
	v_fmac_f64_e32 v[144:145], v[14:15], v[156:157]
	v_fma_f64 v[12:13], v[12:13], v[156:157], -v[146:147]
	s_wait_loadcnt_dscnt 0x401
	v_mul_f64_e32 v[142:143], v[4:5], v[162:163]
	v_mul_f64_e32 v[152:153], v[6:7], v[162:163]
	s_wait_loadcnt_dscnt 0x300
	v_mul_f64_e32 v[146:147], v[8:9], v[166:167]
	v_add_f64_e32 v[14:15], v[150:151], v[148:149]
	v_add_f64_e32 v[140:141], v[140:141], v[168:169]
	v_mul_f64_e32 v[148:149], v[10:11], v[166:167]
	v_fmac_f64_e32 v[142:143], v[6:7], v[160:161]
	v_fma_f64 v[150:151], v[4:5], v[160:161], -v[152:153]
	v_fmac_f64_e32 v[146:147], v[10:11], v[164:165]
	v_add_f64_e32 v[152:153], v[14:15], v[12:13]
	v_add_f64_e32 v[140:141], v[140:141], v[144:145]
	ds_load_b128 v[4:7], v2 offset:1920
	ds_load_b128 v[12:15], v2 offset:1936
	v_fma_f64 v[8:9], v[8:9], v[164:165], -v[148:149]
	s_wait_loadcnt_dscnt 0x201
	v_mul_f64_e32 v[2:3], v[4:5], v[174:175]
	v_mul_f64_e32 v[144:145], v[6:7], v[174:175]
	s_wait_loadcnt_dscnt 0x0
	v_mul_f64_e32 v[148:149], v[14:15], v[186:187]
	v_add_f64_e32 v[10:11], v[152:153], v[150:151]
	v_add_f64_e32 v[140:141], v[140:141], v[142:143]
	v_mul_f64_e32 v[142:143], v[12:13], v[186:187]
	v_fmac_f64_e32 v[2:3], v[6:7], v[172:173]
	v_fma_f64 v[4:5], v[4:5], v[172:173], -v[144:145]
	v_add_f64_e32 v[6:7], v[10:11], v[8:9]
	v_add_f64_e32 v[8:9], v[140:141], v[146:147]
	v_fmac_f64_e32 v[142:143], v[14:15], v[184:185]
	v_fma_f64 v[10:11], v[12:13], v[184:185], -v[148:149]
	s_delay_alu instid0(VALU_DEP_4) | instskip(NEXT) | instid1(VALU_DEP_4)
	v_add_f64_e32 v[4:5], v[6:7], v[4:5]
	v_add_f64_e32 v[2:3], v[8:9], v[2:3]
	s_delay_alu instid0(VALU_DEP_2) | instskip(NEXT) | instid1(VALU_DEP_2)
	v_add_f64_e32 v[4:5], v[4:5], v[10:11]
	v_add_f64_e32 v[6:7], v[2:3], v[142:143]
	s_delay_alu instid0(VALU_DEP_2) | instskip(NEXT) | instid1(VALU_DEP_2)
	v_add_f64_e64 v[2:3], v[180:181], -v[4:5]
	v_add_f64_e64 v[4:5], v[182:183], -v[6:7]
	scratch_store_b128 off, v[2:5], off offset:768
	s_wait_xcnt 0x0
	v_cmpx_lt_u32_e32 47, v1
	s_cbranch_execz .LBB124_297
; %bb.296:
	scratch_load_b128 v[2:5], off, s31
	v_mov_b32_e32 v6, 0
	s_delay_alu instid0(VALU_DEP_1)
	v_dual_mov_b32 v7, v6 :: v_dual_mov_b32 v8, v6
	v_mov_b32_e32 v9, v6
	scratch_store_b128 off, v[6:9], off offset:752
	s_wait_loadcnt 0x0
	ds_store_b128 v138, v[2:5]
.LBB124_297:
	s_wait_xcnt 0x0
	s_or_b32 exec_lo, exec_lo, s2
	s_wait_storecnt_dscnt 0x0
	s_barrier_signal -1
	s_barrier_wait -1
	s_clause 0x9
	scratch_load_b128 v[4:7], off, off offset:768
	scratch_load_b128 v[8:11], off, off offset:784
	;; [unrolled: 1-line block ×10, first 2 shown]
	v_mov_b32_e32 v2, 0
	s_mov_b32 s2, exec_lo
	ds_load_b128 v[168:171], v2 offset:1744
	s_clause 0x2
	scratch_load_b128 v[172:175], off, off offset:928
	scratch_load_b128 v[176:179], off, off offset:752
	;; [unrolled: 1-line block ×3, first 2 shown]
	s_wait_loadcnt_dscnt 0xc00
	v_mul_f64_e32 v[188:189], v[170:171], v[6:7]
	v_mul_f64_e32 v[192:193], v[168:169], v[6:7]
	ds_load_b128 v[180:183], v2 offset:1760
	v_fma_f64 v[196:197], v[168:169], v[4:5], -v[188:189]
	v_fmac_f64_e32 v[192:193], v[170:171], v[4:5]
	ds_load_b128 v[4:7], v2 offset:1776
	s_wait_loadcnt_dscnt 0xb01
	v_mul_f64_e32 v[194:195], v[180:181], v[10:11]
	v_mul_f64_e32 v[10:11], v[182:183], v[10:11]
	scratch_load_b128 v[168:171], off, off offset:960
	ds_load_b128 v[188:191], v2 offset:1792
	s_wait_loadcnt_dscnt 0xb01
	v_mul_f64_e32 v[198:199], v[4:5], v[14:15]
	v_mul_f64_e32 v[14:15], v[6:7], v[14:15]
	v_fmac_f64_e32 v[194:195], v[182:183], v[8:9]
	v_fma_f64 v[8:9], v[180:181], v[8:9], -v[10:11]
	v_add_f64_e32 v[10:11], 0, v[196:197]
	v_add_f64_e32 v[180:181], 0, v[192:193]
	s_wait_loadcnt_dscnt 0xa00
	v_mul_f64_e32 v[182:183], v[188:189], v[142:143]
	v_mul_f64_e32 v[142:143], v[190:191], v[142:143]
	v_fmac_f64_e32 v[198:199], v[6:7], v[12:13]
	v_fma_f64 v[12:13], v[4:5], v[12:13], -v[14:15]
	v_add_f64_e32 v[14:15], v[10:11], v[8:9]
	v_add_f64_e32 v[180:181], v[180:181], v[194:195]
	ds_load_b128 v[4:7], v2 offset:1808
	ds_load_b128 v[8:11], v2 offset:1824
	v_fmac_f64_e32 v[182:183], v[190:191], v[140:141]
	v_fma_f64 v[140:141], v[188:189], v[140:141], -v[142:143]
	s_wait_loadcnt_dscnt 0x901
	v_mul_f64_e32 v[192:193], v[4:5], v[146:147]
	v_mul_f64_e32 v[146:147], v[6:7], v[146:147]
	s_wait_loadcnt_dscnt 0x800
	v_mul_f64_e32 v[142:143], v[8:9], v[150:151]
	v_mul_f64_e32 v[150:151], v[10:11], v[150:151]
	v_add_f64_e32 v[12:13], v[14:15], v[12:13]
	v_add_f64_e32 v[14:15], v[180:181], v[198:199]
	v_fmac_f64_e32 v[192:193], v[6:7], v[144:145]
	v_fma_f64 v[144:145], v[4:5], v[144:145], -v[146:147]
	v_fmac_f64_e32 v[142:143], v[10:11], v[148:149]
	v_fma_f64 v[8:9], v[8:9], v[148:149], -v[150:151]
	v_add_f64_e32 v[140:141], v[12:13], v[140:141]
	v_add_f64_e32 v[146:147], v[14:15], v[182:183]
	ds_load_b128 v[4:7], v2 offset:1840
	ds_load_b128 v[12:15], v2 offset:1856
	s_wait_loadcnt_dscnt 0x701
	v_mul_f64_e32 v[180:181], v[4:5], v[154:155]
	v_mul_f64_e32 v[154:155], v[6:7], v[154:155]
	v_add_f64_e32 v[10:11], v[140:141], v[144:145]
	v_add_f64_e32 v[140:141], v[146:147], v[192:193]
	s_wait_loadcnt_dscnt 0x600
	v_mul_f64_e32 v[144:145], v[12:13], v[158:159]
	v_mul_f64_e32 v[146:147], v[14:15], v[158:159]
	v_fmac_f64_e32 v[180:181], v[6:7], v[152:153]
	v_fma_f64 v[148:149], v[4:5], v[152:153], -v[154:155]
	v_add_f64_e32 v[150:151], v[10:11], v[8:9]
	v_add_f64_e32 v[140:141], v[140:141], v[142:143]
	ds_load_b128 v[4:7], v2 offset:1872
	ds_load_b128 v[8:11], v2 offset:1888
	v_fmac_f64_e32 v[144:145], v[14:15], v[156:157]
	v_fma_f64 v[12:13], v[12:13], v[156:157], -v[146:147]
	s_wait_loadcnt_dscnt 0x501
	v_mul_f64_e32 v[142:143], v[4:5], v[162:163]
	v_mul_f64_e32 v[152:153], v[6:7], v[162:163]
	s_wait_loadcnt_dscnt 0x400
	v_mul_f64_e32 v[146:147], v[8:9], v[166:167]
	v_add_f64_e32 v[14:15], v[150:151], v[148:149]
	v_add_f64_e32 v[140:141], v[140:141], v[180:181]
	v_mul_f64_e32 v[148:149], v[10:11], v[166:167]
	v_fmac_f64_e32 v[142:143], v[6:7], v[160:161]
	v_fma_f64 v[150:151], v[4:5], v[160:161], -v[152:153]
	v_fmac_f64_e32 v[146:147], v[10:11], v[164:165]
	v_add_f64_e32 v[152:153], v[14:15], v[12:13]
	v_add_f64_e32 v[140:141], v[140:141], v[144:145]
	ds_load_b128 v[4:7], v2 offset:1904
	ds_load_b128 v[12:15], v2 offset:1920
	v_fma_f64 v[8:9], v[8:9], v[164:165], -v[148:149]
	s_wait_loadcnt_dscnt 0x301
	v_mul_f64_e32 v[144:145], v[4:5], v[174:175]
	v_mul_f64_e32 v[154:155], v[6:7], v[174:175]
	s_wait_loadcnt_dscnt 0x100
	v_mul_f64_e32 v[148:149], v[14:15], v[186:187]
	v_add_f64_e32 v[10:11], v[152:153], v[150:151]
	v_add_f64_e32 v[140:141], v[140:141], v[142:143]
	v_mul_f64_e32 v[142:143], v[12:13], v[186:187]
	v_fmac_f64_e32 v[144:145], v[6:7], v[172:173]
	v_fma_f64 v[150:151], v[4:5], v[172:173], -v[154:155]
	ds_load_b128 v[4:7], v2 offset:1936
	v_fma_f64 v[12:13], v[12:13], v[184:185], -v[148:149]
	v_add_f64_e32 v[8:9], v[10:11], v[8:9]
	v_add_f64_e32 v[10:11], v[140:141], v[146:147]
	v_fmac_f64_e32 v[142:143], v[14:15], v[184:185]
	s_wait_loadcnt_dscnt 0x0
	v_mul_f64_e32 v[140:141], v[4:5], v[170:171]
	v_mul_f64_e32 v[146:147], v[6:7], v[170:171]
	v_add_f64_e32 v[8:9], v[8:9], v[150:151]
	v_add_f64_e32 v[10:11], v[10:11], v[144:145]
	s_delay_alu instid0(VALU_DEP_4) | instskip(NEXT) | instid1(VALU_DEP_4)
	v_fmac_f64_e32 v[140:141], v[6:7], v[168:169]
	v_fma_f64 v[4:5], v[4:5], v[168:169], -v[146:147]
	s_delay_alu instid0(VALU_DEP_4) | instskip(NEXT) | instid1(VALU_DEP_4)
	v_add_f64_e32 v[6:7], v[8:9], v[12:13]
	v_add_f64_e32 v[8:9], v[10:11], v[142:143]
	s_delay_alu instid0(VALU_DEP_2) | instskip(NEXT) | instid1(VALU_DEP_2)
	v_add_f64_e32 v[4:5], v[6:7], v[4:5]
	v_add_f64_e32 v[6:7], v[8:9], v[140:141]
	s_delay_alu instid0(VALU_DEP_2) | instskip(NEXT) | instid1(VALU_DEP_2)
	v_add_f64_e64 v[4:5], v[176:177], -v[4:5]
	v_add_f64_e64 v[6:7], v[178:179], -v[6:7]
	scratch_store_b128 off, v[4:7], off offset:752
	s_wait_xcnt 0x0
	v_cmpx_lt_u32_e32 46, v1
	s_cbranch_execz .LBB124_299
; %bb.298:
	scratch_load_b128 v[6:9], off, s33
	v_dual_mov_b32 v3, v2 :: v_dual_mov_b32 v4, v2
	v_mov_b32_e32 v5, v2
	scratch_store_b128 off, v[2:5], off offset:736
	s_wait_loadcnt 0x0
	ds_store_b128 v138, v[6:9]
.LBB124_299:
	s_wait_xcnt 0x0
	s_or_b32 exec_lo, exec_lo, s2
	s_wait_storecnt_dscnt 0x0
	s_barrier_signal -1
	s_barrier_wait -1
	s_clause 0x9
	scratch_load_b128 v[4:7], off, off offset:752
	scratch_load_b128 v[8:11], off, off offset:768
	;; [unrolled: 1-line block ×10, first 2 shown]
	ds_load_b128 v[168:171], v2 offset:1728
	ds_load_b128 v[176:179], v2 offset:1744
	s_clause 0x2
	scratch_load_b128 v[172:175], off, off offset:912
	scratch_load_b128 v[180:183], off, off offset:736
	scratch_load_b128 v[184:187], off, off offset:928
	s_mov_b32 s2, exec_lo
	s_wait_loadcnt_dscnt 0xc01
	v_mul_f64_e32 v[188:189], v[170:171], v[6:7]
	v_mul_f64_e32 v[192:193], v[168:169], v[6:7]
	s_wait_loadcnt_dscnt 0xb00
	v_mul_f64_e32 v[194:195], v[176:177], v[10:11]
	v_mul_f64_e32 v[10:11], v[178:179], v[10:11]
	s_delay_alu instid0(VALU_DEP_4) | instskip(NEXT) | instid1(VALU_DEP_4)
	v_fma_f64 v[196:197], v[168:169], v[4:5], -v[188:189]
	v_fmac_f64_e32 v[192:193], v[170:171], v[4:5]
	ds_load_b128 v[4:7], v2 offset:1760
	ds_load_b128 v[168:171], v2 offset:1776
	scratch_load_b128 v[188:191], off, off offset:944
	v_fmac_f64_e32 v[194:195], v[178:179], v[8:9]
	v_fma_f64 v[176:177], v[176:177], v[8:9], -v[10:11]
	scratch_load_b128 v[8:11], off, off offset:960
	s_wait_loadcnt_dscnt 0xc01
	v_mul_f64_e32 v[198:199], v[4:5], v[14:15]
	v_mul_f64_e32 v[14:15], v[6:7], v[14:15]
	v_add_f64_e32 v[178:179], 0, v[196:197]
	v_add_f64_e32 v[192:193], 0, v[192:193]
	s_wait_loadcnt_dscnt 0xb00
	v_mul_f64_e32 v[196:197], v[168:169], v[142:143]
	v_mul_f64_e32 v[142:143], v[170:171], v[142:143]
	v_fmac_f64_e32 v[198:199], v[6:7], v[12:13]
	v_fma_f64 v[200:201], v[4:5], v[12:13], -v[14:15]
	ds_load_b128 v[4:7], v2 offset:1792
	ds_load_b128 v[12:15], v2 offset:1808
	v_add_f64_e32 v[176:177], v[178:179], v[176:177]
	v_add_f64_e32 v[178:179], v[192:193], v[194:195]
	v_fmac_f64_e32 v[196:197], v[170:171], v[140:141]
	v_fma_f64 v[140:141], v[168:169], v[140:141], -v[142:143]
	s_wait_loadcnt_dscnt 0xa01
	v_mul_f64_e32 v[192:193], v[4:5], v[146:147]
	v_mul_f64_e32 v[146:147], v[6:7], v[146:147]
	s_wait_loadcnt_dscnt 0x900
	v_mul_f64_e32 v[170:171], v[12:13], v[150:151]
	v_mul_f64_e32 v[150:151], v[14:15], v[150:151]
	v_add_f64_e32 v[142:143], v[176:177], v[200:201]
	v_add_f64_e32 v[168:169], v[178:179], v[198:199]
	v_fmac_f64_e32 v[192:193], v[6:7], v[144:145]
	v_fma_f64 v[144:145], v[4:5], v[144:145], -v[146:147]
	v_fmac_f64_e32 v[170:171], v[14:15], v[148:149]
	v_fma_f64 v[12:13], v[12:13], v[148:149], -v[150:151]
	v_add_f64_e32 v[146:147], v[142:143], v[140:141]
	v_add_f64_e32 v[168:169], v[168:169], v[196:197]
	ds_load_b128 v[4:7], v2 offset:1824
	ds_load_b128 v[140:143], v2 offset:1840
	s_wait_loadcnt_dscnt 0x801
	v_mul_f64_e32 v[176:177], v[4:5], v[154:155]
	v_mul_f64_e32 v[154:155], v[6:7], v[154:155]
	s_wait_loadcnt_dscnt 0x700
	v_mul_f64_e32 v[148:149], v[142:143], v[158:159]
	v_add_f64_e32 v[14:15], v[146:147], v[144:145]
	v_add_f64_e32 v[144:145], v[168:169], v[192:193]
	v_mul_f64_e32 v[146:147], v[140:141], v[158:159]
	v_fmac_f64_e32 v[176:177], v[6:7], v[152:153]
	v_fma_f64 v[150:151], v[4:5], v[152:153], -v[154:155]
	v_fma_f64 v[140:141], v[140:141], v[156:157], -v[148:149]
	v_add_f64_e32 v[152:153], v[14:15], v[12:13]
	v_add_f64_e32 v[144:145], v[144:145], v[170:171]
	ds_load_b128 v[4:7], v2 offset:1856
	ds_load_b128 v[12:15], v2 offset:1872
	v_fmac_f64_e32 v[146:147], v[142:143], v[156:157]
	s_wait_loadcnt_dscnt 0x601
	v_mul_f64_e32 v[154:155], v[4:5], v[162:163]
	v_mul_f64_e32 v[158:159], v[6:7], v[162:163]
	s_wait_loadcnt_dscnt 0x500
	v_mul_f64_e32 v[148:149], v[12:13], v[166:167]
	v_add_f64_e32 v[142:143], v[152:153], v[150:151]
	v_add_f64_e32 v[144:145], v[144:145], v[176:177]
	v_mul_f64_e32 v[150:151], v[14:15], v[166:167]
	v_fmac_f64_e32 v[154:155], v[6:7], v[160:161]
	v_fma_f64 v[152:153], v[4:5], v[160:161], -v[158:159]
	v_fmac_f64_e32 v[148:149], v[14:15], v[164:165]
	v_add_f64_e32 v[156:157], v[142:143], v[140:141]
	v_add_f64_e32 v[144:145], v[144:145], v[146:147]
	ds_load_b128 v[4:7], v2 offset:1888
	ds_load_b128 v[140:143], v2 offset:1904
	v_fma_f64 v[12:13], v[12:13], v[164:165], -v[150:151]
	s_wait_loadcnt_dscnt 0x401
	v_mul_f64_e32 v[146:147], v[4:5], v[174:175]
	v_mul_f64_e32 v[158:159], v[6:7], v[174:175]
	s_wait_loadcnt_dscnt 0x200
	v_mul_f64_e32 v[150:151], v[140:141], v[186:187]
	v_add_f64_e32 v[14:15], v[156:157], v[152:153]
	v_add_f64_e32 v[144:145], v[144:145], v[154:155]
	v_mul_f64_e32 v[152:153], v[142:143], v[186:187]
	v_fmac_f64_e32 v[146:147], v[6:7], v[172:173]
	v_fma_f64 v[154:155], v[4:5], v[172:173], -v[158:159]
	v_fmac_f64_e32 v[150:151], v[142:143], v[184:185]
	v_add_f64_e32 v[156:157], v[14:15], v[12:13]
	v_add_f64_e32 v[144:145], v[144:145], v[148:149]
	ds_load_b128 v[4:7], v2 offset:1920
	ds_load_b128 v[12:15], v2 offset:1936
	v_fma_f64 v[140:141], v[140:141], v[184:185], -v[152:153]
	s_wait_loadcnt_dscnt 0x101
	v_mul_f64_e32 v[2:3], v[4:5], v[190:191]
	v_mul_f64_e32 v[148:149], v[6:7], v[190:191]
	v_add_f64_e32 v[142:143], v[156:157], v[154:155]
	v_add_f64_e32 v[144:145], v[144:145], v[146:147]
	s_wait_loadcnt_dscnt 0x0
	v_mul_f64_e32 v[146:147], v[12:13], v[10:11]
	v_mul_f64_e32 v[10:11], v[14:15], v[10:11]
	v_fmac_f64_e32 v[2:3], v[6:7], v[188:189]
	v_fma_f64 v[4:5], v[4:5], v[188:189], -v[148:149]
	v_add_f64_e32 v[6:7], v[142:143], v[140:141]
	v_add_f64_e32 v[140:141], v[144:145], v[150:151]
	v_fmac_f64_e32 v[146:147], v[14:15], v[8:9]
	v_fma_f64 v[8:9], v[12:13], v[8:9], -v[10:11]
	s_delay_alu instid0(VALU_DEP_4) | instskip(NEXT) | instid1(VALU_DEP_4)
	v_add_f64_e32 v[4:5], v[6:7], v[4:5]
	v_add_f64_e32 v[2:3], v[140:141], v[2:3]
	s_delay_alu instid0(VALU_DEP_2) | instskip(NEXT) | instid1(VALU_DEP_2)
	v_add_f64_e32 v[4:5], v[4:5], v[8:9]
	v_add_f64_e32 v[6:7], v[2:3], v[146:147]
	s_delay_alu instid0(VALU_DEP_2) | instskip(NEXT) | instid1(VALU_DEP_2)
	v_add_f64_e64 v[2:3], v[180:181], -v[4:5]
	v_add_f64_e64 v[4:5], v[182:183], -v[6:7]
	scratch_store_b128 off, v[2:5], off offset:736
	s_wait_xcnt 0x0
	v_cmpx_lt_u32_e32 45, v1
	s_cbranch_execz .LBB124_301
; %bb.300:
	scratch_load_b128 v[2:5], off, s34
	v_mov_b32_e32 v6, 0
	s_delay_alu instid0(VALU_DEP_1)
	v_dual_mov_b32 v7, v6 :: v_dual_mov_b32 v8, v6
	v_mov_b32_e32 v9, v6
	scratch_store_b128 off, v[6:9], off offset:720
	s_wait_loadcnt 0x0
	ds_store_b128 v138, v[2:5]
.LBB124_301:
	s_wait_xcnt 0x0
	s_or_b32 exec_lo, exec_lo, s2
	s_wait_storecnt_dscnt 0x0
	s_barrier_signal -1
	s_barrier_wait -1
	s_clause 0x9
	scratch_load_b128 v[4:7], off, off offset:736
	scratch_load_b128 v[8:11], off, off offset:752
	;; [unrolled: 1-line block ×10, first 2 shown]
	v_mov_b32_e32 v2, 0
	s_mov_b32 s2, exec_lo
	ds_load_b128 v[168:171], v2 offset:1712
	s_clause 0x2
	scratch_load_b128 v[172:175], off, off offset:896
	scratch_load_b128 v[176:179], off, off offset:720
	;; [unrolled: 1-line block ×3, first 2 shown]
	s_wait_loadcnt_dscnt 0xc00
	v_mul_f64_e32 v[188:189], v[170:171], v[6:7]
	v_mul_f64_e32 v[192:193], v[168:169], v[6:7]
	ds_load_b128 v[180:183], v2 offset:1728
	v_fma_f64 v[196:197], v[168:169], v[4:5], -v[188:189]
	v_fmac_f64_e32 v[192:193], v[170:171], v[4:5]
	ds_load_b128 v[4:7], v2 offset:1744
	s_wait_loadcnt_dscnt 0xb01
	v_mul_f64_e32 v[194:195], v[180:181], v[10:11]
	v_mul_f64_e32 v[10:11], v[182:183], v[10:11]
	scratch_load_b128 v[168:171], off, off offset:928
	ds_load_b128 v[188:191], v2 offset:1760
	s_wait_loadcnt_dscnt 0xb01
	v_mul_f64_e32 v[198:199], v[4:5], v[14:15]
	v_mul_f64_e32 v[14:15], v[6:7], v[14:15]
	v_add_f64_e32 v[192:193], 0, v[192:193]
	v_fmac_f64_e32 v[194:195], v[182:183], v[8:9]
	v_fma_f64 v[180:181], v[180:181], v[8:9], -v[10:11]
	v_add_f64_e32 v[182:183], 0, v[196:197]
	scratch_load_b128 v[8:11], off, off offset:944
	v_fmac_f64_e32 v[198:199], v[6:7], v[12:13]
	v_fma_f64 v[200:201], v[4:5], v[12:13], -v[14:15]
	ds_load_b128 v[4:7], v2 offset:1776
	s_wait_loadcnt_dscnt 0xb01
	v_mul_f64_e32 v[196:197], v[188:189], v[142:143]
	v_mul_f64_e32 v[142:143], v[190:191], v[142:143]
	scratch_load_b128 v[12:15], off, off offset:960
	v_add_f64_e32 v[192:193], v[192:193], v[194:195]
	v_add_f64_e32 v[202:203], v[182:183], v[180:181]
	ds_load_b128 v[180:183], v2 offset:1792
	s_wait_loadcnt_dscnt 0xb01
	v_mul_f64_e32 v[194:195], v[4:5], v[146:147]
	v_mul_f64_e32 v[146:147], v[6:7], v[146:147]
	v_fmac_f64_e32 v[196:197], v[190:191], v[140:141]
	v_fma_f64 v[140:141], v[188:189], v[140:141], -v[142:143]
	s_wait_loadcnt_dscnt 0xa00
	v_mul_f64_e32 v[190:191], v[180:181], v[150:151]
	v_mul_f64_e32 v[150:151], v[182:183], v[150:151]
	v_add_f64_e32 v[188:189], v[192:193], v[198:199]
	v_add_f64_e32 v[142:143], v[202:203], v[200:201]
	v_fmac_f64_e32 v[194:195], v[6:7], v[144:145]
	v_fma_f64 v[144:145], v[4:5], v[144:145], -v[146:147]
	v_fmac_f64_e32 v[190:191], v[182:183], v[148:149]
	v_fma_f64 v[148:149], v[180:181], v[148:149], -v[150:151]
	v_add_f64_e32 v[188:189], v[188:189], v[196:197]
	v_add_f64_e32 v[146:147], v[142:143], v[140:141]
	ds_load_b128 v[4:7], v2 offset:1808
	ds_load_b128 v[140:143], v2 offset:1824
	s_wait_loadcnt_dscnt 0x901
	v_mul_f64_e32 v[192:193], v[4:5], v[154:155]
	v_mul_f64_e32 v[154:155], v[6:7], v[154:155]
	s_wait_loadcnt_dscnt 0x800
	v_mul_f64_e32 v[150:151], v[140:141], v[158:159]
	v_mul_f64_e32 v[158:159], v[142:143], v[158:159]
	v_add_f64_e32 v[144:145], v[146:147], v[144:145]
	v_add_f64_e32 v[146:147], v[188:189], v[194:195]
	v_fmac_f64_e32 v[192:193], v[6:7], v[152:153]
	v_fma_f64 v[152:153], v[4:5], v[152:153], -v[154:155]
	v_fmac_f64_e32 v[150:151], v[142:143], v[156:157]
	v_fma_f64 v[140:141], v[140:141], v[156:157], -v[158:159]
	v_add_f64_e32 v[148:149], v[144:145], v[148:149]
	v_add_f64_e32 v[154:155], v[146:147], v[190:191]
	ds_load_b128 v[4:7], v2 offset:1840
	ds_load_b128 v[144:147], v2 offset:1856
	s_wait_loadcnt_dscnt 0x701
	v_mul_f64_e32 v[180:181], v[4:5], v[162:163]
	v_mul_f64_e32 v[162:163], v[6:7], v[162:163]
	v_add_f64_e32 v[142:143], v[148:149], v[152:153]
	v_add_f64_e32 v[148:149], v[154:155], v[192:193]
	s_wait_loadcnt_dscnt 0x600
	v_mul_f64_e32 v[152:153], v[144:145], v[166:167]
	v_mul_f64_e32 v[154:155], v[146:147], v[166:167]
	v_fmac_f64_e32 v[180:181], v[6:7], v[160:161]
	v_fma_f64 v[156:157], v[4:5], v[160:161], -v[162:163]
	v_add_f64_e32 v[158:159], v[142:143], v[140:141]
	v_add_f64_e32 v[148:149], v[148:149], v[150:151]
	ds_load_b128 v[4:7], v2 offset:1872
	ds_load_b128 v[140:143], v2 offset:1888
	v_fmac_f64_e32 v[152:153], v[146:147], v[164:165]
	v_fma_f64 v[144:145], v[144:145], v[164:165], -v[154:155]
	s_wait_loadcnt_dscnt 0x501
	v_mul_f64_e32 v[150:151], v[4:5], v[174:175]
	v_mul_f64_e32 v[160:161], v[6:7], v[174:175]
	s_wait_loadcnt_dscnt 0x300
	v_mul_f64_e32 v[154:155], v[140:141], v[186:187]
	v_add_f64_e32 v[146:147], v[158:159], v[156:157]
	v_add_f64_e32 v[148:149], v[148:149], v[180:181]
	v_mul_f64_e32 v[156:157], v[142:143], v[186:187]
	v_fmac_f64_e32 v[150:151], v[6:7], v[172:173]
	v_fma_f64 v[158:159], v[4:5], v[172:173], -v[160:161]
	v_fmac_f64_e32 v[154:155], v[142:143], v[184:185]
	v_add_f64_e32 v[160:161], v[146:147], v[144:145]
	v_add_f64_e32 v[148:149], v[148:149], v[152:153]
	ds_load_b128 v[4:7], v2 offset:1904
	ds_load_b128 v[144:147], v2 offset:1920
	v_fma_f64 v[140:141], v[140:141], v[184:185], -v[156:157]
	s_wait_loadcnt_dscnt 0x201
	v_mul_f64_e32 v[152:153], v[4:5], v[170:171]
	v_mul_f64_e32 v[162:163], v[6:7], v[170:171]
	v_add_f64_e32 v[142:143], v[160:161], v[158:159]
	v_add_f64_e32 v[148:149], v[148:149], v[150:151]
	s_wait_loadcnt_dscnt 0x100
	v_mul_f64_e32 v[150:151], v[144:145], v[10:11]
	v_mul_f64_e32 v[10:11], v[146:147], v[10:11]
	v_fmac_f64_e32 v[152:153], v[6:7], v[168:169]
	v_fma_f64 v[156:157], v[4:5], v[168:169], -v[162:163]
	ds_load_b128 v[4:7], v2 offset:1936
	v_add_f64_e32 v[140:141], v[142:143], v[140:141]
	v_add_f64_e32 v[142:143], v[148:149], v[154:155]
	v_fmac_f64_e32 v[150:151], v[146:147], v[8:9]
	v_fma_f64 v[8:9], v[144:145], v[8:9], -v[10:11]
	s_wait_loadcnt_dscnt 0x0
	v_mul_f64_e32 v[148:149], v[4:5], v[14:15]
	v_mul_f64_e32 v[14:15], v[6:7], v[14:15]
	v_add_f64_e32 v[10:11], v[140:141], v[156:157]
	v_add_f64_e32 v[140:141], v[142:143], v[152:153]
	s_delay_alu instid0(VALU_DEP_4) | instskip(NEXT) | instid1(VALU_DEP_4)
	v_fmac_f64_e32 v[148:149], v[6:7], v[12:13]
	v_fma_f64 v[4:5], v[4:5], v[12:13], -v[14:15]
	s_delay_alu instid0(VALU_DEP_4) | instskip(NEXT) | instid1(VALU_DEP_4)
	v_add_f64_e32 v[6:7], v[10:11], v[8:9]
	v_add_f64_e32 v[8:9], v[140:141], v[150:151]
	s_delay_alu instid0(VALU_DEP_2) | instskip(NEXT) | instid1(VALU_DEP_2)
	v_add_f64_e32 v[4:5], v[6:7], v[4:5]
	v_add_f64_e32 v[6:7], v[8:9], v[148:149]
	s_delay_alu instid0(VALU_DEP_2) | instskip(NEXT) | instid1(VALU_DEP_2)
	v_add_f64_e64 v[4:5], v[176:177], -v[4:5]
	v_add_f64_e64 v[6:7], v[178:179], -v[6:7]
	scratch_store_b128 off, v[4:7], off offset:720
	s_wait_xcnt 0x0
	v_cmpx_lt_u32_e32 44, v1
	s_cbranch_execz .LBB124_303
; %bb.302:
	scratch_load_b128 v[6:9], off, s35
	v_dual_mov_b32 v3, v2 :: v_dual_mov_b32 v4, v2
	v_mov_b32_e32 v5, v2
	scratch_store_b128 off, v[2:5], off offset:704
	s_wait_loadcnt 0x0
	ds_store_b128 v138, v[6:9]
.LBB124_303:
	s_wait_xcnt 0x0
	s_or_b32 exec_lo, exec_lo, s2
	s_wait_storecnt_dscnt 0x0
	s_barrier_signal -1
	s_barrier_wait -1
	s_clause 0x9
	scratch_load_b128 v[4:7], off, off offset:720
	scratch_load_b128 v[8:11], off, off offset:736
	;; [unrolled: 1-line block ×10, first 2 shown]
	ds_load_b128 v[168:171], v2 offset:1696
	ds_load_b128 v[176:179], v2 offset:1712
	s_clause 0x2
	scratch_load_b128 v[172:175], off, off offset:880
	scratch_load_b128 v[180:183], off, off offset:704
	;; [unrolled: 1-line block ×3, first 2 shown]
	s_mov_b32 s2, exec_lo
	s_wait_loadcnt_dscnt 0xc01
	v_mul_f64_e32 v[188:189], v[170:171], v[6:7]
	v_mul_f64_e32 v[192:193], v[168:169], v[6:7]
	s_wait_loadcnt_dscnt 0xb00
	v_mul_f64_e32 v[194:195], v[176:177], v[10:11]
	v_mul_f64_e32 v[10:11], v[178:179], v[10:11]
	s_delay_alu instid0(VALU_DEP_4) | instskip(NEXT) | instid1(VALU_DEP_4)
	v_fma_f64 v[196:197], v[168:169], v[4:5], -v[188:189]
	v_fmac_f64_e32 v[192:193], v[170:171], v[4:5]
	ds_load_b128 v[4:7], v2 offset:1728
	ds_load_b128 v[168:171], v2 offset:1744
	scratch_load_b128 v[188:191], off, off offset:912
	v_fmac_f64_e32 v[194:195], v[178:179], v[8:9]
	v_fma_f64 v[176:177], v[176:177], v[8:9], -v[10:11]
	scratch_load_b128 v[8:11], off, off offset:928
	s_wait_loadcnt_dscnt 0xc01
	v_mul_f64_e32 v[198:199], v[4:5], v[14:15]
	v_mul_f64_e32 v[14:15], v[6:7], v[14:15]
	v_add_f64_e32 v[178:179], 0, v[196:197]
	v_add_f64_e32 v[192:193], 0, v[192:193]
	s_wait_loadcnt_dscnt 0xb00
	v_mul_f64_e32 v[196:197], v[168:169], v[142:143]
	v_mul_f64_e32 v[142:143], v[170:171], v[142:143]
	v_fmac_f64_e32 v[198:199], v[6:7], v[12:13]
	v_fma_f64 v[200:201], v[4:5], v[12:13], -v[14:15]
	ds_load_b128 v[4:7], v2 offset:1760
	ds_load_b128 v[12:15], v2 offset:1776
	v_add_f64_e32 v[202:203], v[178:179], v[176:177]
	v_add_f64_e32 v[192:193], v[192:193], v[194:195]
	scratch_load_b128 v[176:179], off, off offset:944
	v_fmac_f64_e32 v[196:197], v[170:171], v[140:141]
	v_fma_f64 v[168:169], v[168:169], v[140:141], -v[142:143]
	scratch_load_b128 v[140:143], off, off offset:960
	s_wait_loadcnt_dscnt 0xc01
	v_mul_f64_e32 v[194:195], v[4:5], v[146:147]
	v_mul_f64_e32 v[146:147], v[6:7], v[146:147]
	v_add_f64_e32 v[170:171], v[202:203], v[200:201]
	v_add_f64_e32 v[192:193], v[192:193], v[198:199]
	s_wait_loadcnt_dscnt 0xb00
	v_mul_f64_e32 v[198:199], v[12:13], v[150:151]
	v_mul_f64_e32 v[150:151], v[14:15], v[150:151]
	v_fmac_f64_e32 v[194:195], v[6:7], v[144:145]
	v_fma_f64 v[200:201], v[4:5], v[144:145], -v[146:147]
	ds_load_b128 v[4:7], v2 offset:1792
	ds_load_b128 v[144:147], v2 offset:1808
	v_add_f64_e32 v[168:169], v[170:171], v[168:169]
	v_add_f64_e32 v[170:171], v[192:193], v[196:197]
	s_wait_loadcnt_dscnt 0xa01
	v_mul_f64_e32 v[192:193], v[4:5], v[154:155]
	v_mul_f64_e32 v[154:155], v[6:7], v[154:155]
	v_fmac_f64_e32 v[198:199], v[14:15], v[148:149]
	v_fma_f64 v[12:13], v[12:13], v[148:149], -v[150:151]
	s_wait_loadcnt_dscnt 0x900
	v_mul_f64_e32 v[150:151], v[144:145], v[158:159]
	v_mul_f64_e32 v[158:159], v[146:147], v[158:159]
	v_add_f64_e32 v[14:15], v[168:169], v[200:201]
	v_add_f64_e32 v[148:149], v[170:171], v[194:195]
	v_fmac_f64_e32 v[192:193], v[6:7], v[152:153]
	v_fma_f64 v[152:153], v[4:5], v[152:153], -v[154:155]
	v_fmac_f64_e32 v[150:151], v[146:147], v[156:157]
	v_fma_f64 v[144:145], v[144:145], v[156:157], -v[158:159]
	v_add_f64_e32 v[154:155], v[14:15], v[12:13]
	v_add_f64_e32 v[148:149], v[148:149], v[198:199]
	ds_load_b128 v[4:7], v2 offset:1824
	ds_load_b128 v[12:15], v2 offset:1840
	s_wait_loadcnt_dscnt 0x801
	v_mul_f64_e32 v[168:169], v[4:5], v[162:163]
	v_mul_f64_e32 v[162:163], v[6:7], v[162:163]
	v_add_f64_e32 v[146:147], v[154:155], v[152:153]
	v_add_f64_e32 v[148:149], v[148:149], v[192:193]
	s_wait_loadcnt_dscnt 0x700
	v_mul_f64_e32 v[152:153], v[12:13], v[166:167]
	v_mul_f64_e32 v[154:155], v[14:15], v[166:167]
	v_fmac_f64_e32 v[168:169], v[6:7], v[160:161]
	v_fma_f64 v[156:157], v[4:5], v[160:161], -v[162:163]
	v_add_f64_e32 v[158:159], v[146:147], v[144:145]
	v_add_f64_e32 v[148:149], v[148:149], v[150:151]
	ds_load_b128 v[4:7], v2 offset:1856
	ds_load_b128 v[144:147], v2 offset:1872
	v_fmac_f64_e32 v[152:153], v[14:15], v[164:165]
	v_fma_f64 v[12:13], v[12:13], v[164:165], -v[154:155]
	s_wait_loadcnt_dscnt 0x601
	v_mul_f64_e32 v[150:151], v[4:5], v[174:175]
	v_mul_f64_e32 v[160:161], v[6:7], v[174:175]
	s_wait_loadcnt_dscnt 0x400
	v_mul_f64_e32 v[154:155], v[144:145], v[186:187]
	v_add_f64_e32 v[14:15], v[158:159], v[156:157]
	v_add_f64_e32 v[148:149], v[148:149], v[168:169]
	v_mul_f64_e32 v[156:157], v[146:147], v[186:187]
	v_fmac_f64_e32 v[150:151], v[6:7], v[172:173]
	v_fma_f64 v[158:159], v[4:5], v[172:173], -v[160:161]
	v_fmac_f64_e32 v[154:155], v[146:147], v[184:185]
	v_add_f64_e32 v[160:161], v[14:15], v[12:13]
	v_add_f64_e32 v[148:149], v[148:149], v[152:153]
	ds_load_b128 v[4:7], v2 offset:1888
	ds_load_b128 v[12:15], v2 offset:1904
	v_fma_f64 v[144:145], v[144:145], v[184:185], -v[156:157]
	s_wait_loadcnt_dscnt 0x301
	v_mul_f64_e32 v[152:153], v[4:5], v[190:191]
	v_mul_f64_e32 v[162:163], v[6:7], v[190:191]
	v_add_f64_e32 v[146:147], v[160:161], v[158:159]
	v_add_f64_e32 v[148:149], v[148:149], v[150:151]
	s_wait_loadcnt_dscnt 0x200
	v_mul_f64_e32 v[150:151], v[12:13], v[10:11]
	v_mul_f64_e32 v[10:11], v[14:15], v[10:11]
	v_fmac_f64_e32 v[152:153], v[6:7], v[188:189]
	v_fma_f64 v[156:157], v[4:5], v[188:189], -v[162:163]
	v_add_f64_e32 v[158:159], v[146:147], v[144:145]
	v_add_f64_e32 v[148:149], v[148:149], v[154:155]
	ds_load_b128 v[4:7], v2 offset:1920
	ds_load_b128 v[144:147], v2 offset:1936
	v_fmac_f64_e32 v[150:151], v[14:15], v[8:9]
	v_fma_f64 v[8:9], v[12:13], v[8:9], -v[10:11]
	s_wait_loadcnt_dscnt 0x101
	v_mul_f64_e32 v[2:3], v[4:5], v[178:179]
	v_mul_f64_e32 v[154:155], v[6:7], v[178:179]
	s_wait_loadcnt_dscnt 0x0
	v_mul_f64_e32 v[14:15], v[144:145], v[142:143]
	v_mul_f64_e32 v[142:143], v[146:147], v[142:143]
	v_add_f64_e32 v[10:11], v[158:159], v[156:157]
	v_add_f64_e32 v[12:13], v[148:149], v[152:153]
	v_fmac_f64_e32 v[2:3], v[6:7], v[176:177]
	v_fma_f64 v[4:5], v[4:5], v[176:177], -v[154:155]
	v_fmac_f64_e32 v[14:15], v[146:147], v[140:141]
	v_add_f64_e32 v[6:7], v[10:11], v[8:9]
	v_add_f64_e32 v[8:9], v[12:13], v[150:151]
	v_fma_f64 v[10:11], v[144:145], v[140:141], -v[142:143]
	s_delay_alu instid0(VALU_DEP_3) | instskip(NEXT) | instid1(VALU_DEP_3)
	v_add_f64_e32 v[4:5], v[6:7], v[4:5]
	v_add_f64_e32 v[2:3], v[8:9], v[2:3]
	s_delay_alu instid0(VALU_DEP_2) | instskip(NEXT) | instid1(VALU_DEP_2)
	v_add_f64_e32 v[4:5], v[4:5], v[10:11]
	v_add_f64_e32 v[6:7], v[2:3], v[14:15]
	s_delay_alu instid0(VALU_DEP_2) | instskip(NEXT) | instid1(VALU_DEP_2)
	v_add_f64_e64 v[2:3], v[180:181], -v[4:5]
	v_add_f64_e64 v[4:5], v[182:183], -v[6:7]
	scratch_store_b128 off, v[2:5], off offset:704
	s_wait_xcnt 0x0
	v_cmpx_lt_u32_e32 43, v1
	s_cbranch_execz .LBB124_305
; %bb.304:
	scratch_load_b128 v[2:5], off, s36
	v_mov_b32_e32 v6, 0
	s_delay_alu instid0(VALU_DEP_1)
	v_dual_mov_b32 v7, v6 :: v_dual_mov_b32 v8, v6
	v_mov_b32_e32 v9, v6
	scratch_store_b128 off, v[6:9], off offset:688
	s_wait_loadcnt 0x0
	ds_store_b128 v138, v[2:5]
.LBB124_305:
	s_wait_xcnt 0x0
	s_or_b32 exec_lo, exec_lo, s2
	s_wait_storecnt_dscnt 0x0
	s_barrier_signal -1
	s_barrier_wait -1
	s_clause 0x9
	scratch_load_b128 v[4:7], off, off offset:704
	scratch_load_b128 v[8:11], off, off offset:720
	;; [unrolled: 1-line block ×10, first 2 shown]
	v_mov_b32_e32 v2, 0
	s_mov_b32 s2, exec_lo
	ds_load_b128 v[168:171], v2 offset:1680
	s_clause 0x2
	scratch_load_b128 v[172:175], off, off offset:864
	scratch_load_b128 v[176:179], off, off offset:688
	;; [unrolled: 1-line block ×3, first 2 shown]
	s_wait_loadcnt_dscnt 0xc00
	v_mul_f64_e32 v[188:189], v[170:171], v[6:7]
	v_mul_f64_e32 v[192:193], v[168:169], v[6:7]
	ds_load_b128 v[180:183], v2 offset:1696
	v_fma_f64 v[196:197], v[168:169], v[4:5], -v[188:189]
	v_fmac_f64_e32 v[192:193], v[170:171], v[4:5]
	ds_load_b128 v[4:7], v2 offset:1712
	s_wait_loadcnt_dscnt 0xb01
	v_mul_f64_e32 v[194:195], v[180:181], v[10:11]
	v_mul_f64_e32 v[10:11], v[182:183], v[10:11]
	scratch_load_b128 v[168:171], off, off offset:896
	ds_load_b128 v[188:191], v2 offset:1728
	s_wait_loadcnt_dscnt 0xb01
	v_mul_f64_e32 v[198:199], v[4:5], v[14:15]
	v_mul_f64_e32 v[14:15], v[6:7], v[14:15]
	v_add_f64_e32 v[192:193], 0, v[192:193]
	v_fmac_f64_e32 v[194:195], v[182:183], v[8:9]
	v_fma_f64 v[180:181], v[180:181], v[8:9], -v[10:11]
	v_add_f64_e32 v[182:183], 0, v[196:197]
	scratch_load_b128 v[8:11], off, off offset:912
	v_fmac_f64_e32 v[198:199], v[6:7], v[12:13]
	v_fma_f64 v[200:201], v[4:5], v[12:13], -v[14:15]
	ds_load_b128 v[4:7], v2 offset:1744
	s_wait_loadcnt_dscnt 0xb01
	v_mul_f64_e32 v[196:197], v[188:189], v[142:143]
	v_mul_f64_e32 v[142:143], v[190:191], v[142:143]
	scratch_load_b128 v[12:15], off, off offset:928
	v_add_f64_e32 v[192:193], v[192:193], v[194:195]
	v_add_f64_e32 v[202:203], v[182:183], v[180:181]
	ds_load_b128 v[180:183], v2 offset:1760
	s_wait_loadcnt_dscnt 0xb01
	v_mul_f64_e32 v[194:195], v[4:5], v[146:147]
	v_mul_f64_e32 v[146:147], v[6:7], v[146:147]
	v_fmac_f64_e32 v[196:197], v[190:191], v[140:141]
	v_fma_f64 v[188:189], v[188:189], v[140:141], -v[142:143]
	scratch_load_b128 v[140:143], off, off offset:944
	v_add_f64_e32 v[192:193], v[192:193], v[198:199]
	v_add_f64_e32 v[190:191], v[202:203], v[200:201]
	v_fmac_f64_e32 v[194:195], v[6:7], v[144:145]
	v_fma_f64 v[200:201], v[4:5], v[144:145], -v[146:147]
	ds_load_b128 v[4:7], v2 offset:1776
	s_wait_loadcnt_dscnt 0xb01
	v_mul_f64_e32 v[198:199], v[180:181], v[150:151]
	v_mul_f64_e32 v[150:151], v[182:183], v[150:151]
	scratch_load_b128 v[144:147], off, off offset:960
	v_add_f64_e32 v[192:193], v[192:193], v[196:197]
	s_wait_loadcnt_dscnt 0xb00
	v_mul_f64_e32 v[196:197], v[4:5], v[154:155]
	v_add_f64_e32 v[202:203], v[190:191], v[188:189]
	v_mul_f64_e32 v[154:155], v[6:7], v[154:155]
	ds_load_b128 v[188:191], v2 offset:1792
	v_fmac_f64_e32 v[198:199], v[182:183], v[148:149]
	v_fma_f64 v[148:149], v[180:181], v[148:149], -v[150:151]
	s_wait_loadcnt_dscnt 0xa00
	v_mul_f64_e32 v[182:183], v[188:189], v[158:159]
	v_mul_f64_e32 v[158:159], v[190:191], v[158:159]
	v_add_f64_e32 v[180:181], v[192:193], v[194:195]
	v_fmac_f64_e32 v[196:197], v[6:7], v[152:153]
	v_add_f64_e32 v[150:151], v[202:203], v[200:201]
	v_fma_f64 v[152:153], v[4:5], v[152:153], -v[154:155]
	v_fmac_f64_e32 v[182:183], v[190:191], v[156:157]
	v_fma_f64 v[156:157], v[188:189], v[156:157], -v[158:159]
	v_add_f64_e32 v[180:181], v[180:181], v[198:199]
	v_add_f64_e32 v[154:155], v[150:151], v[148:149]
	ds_load_b128 v[4:7], v2 offset:1808
	ds_load_b128 v[148:151], v2 offset:1824
	s_wait_loadcnt_dscnt 0x901
	v_mul_f64_e32 v[192:193], v[4:5], v[162:163]
	v_mul_f64_e32 v[162:163], v[6:7], v[162:163]
	s_wait_loadcnt_dscnt 0x800
	v_mul_f64_e32 v[158:159], v[148:149], v[166:167]
	v_mul_f64_e32 v[166:167], v[150:151], v[166:167]
	v_add_f64_e32 v[152:153], v[154:155], v[152:153]
	v_add_f64_e32 v[154:155], v[180:181], v[196:197]
	v_fmac_f64_e32 v[192:193], v[6:7], v[160:161]
	v_fma_f64 v[160:161], v[4:5], v[160:161], -v[162:163]
	v_fmac_f64_e32 v[158:159], v[150:151], v[164:165]
	v_fma_f64 v[148:149], v[148:149], v[164:165], -v[166:167]
	v_add_f64_e32 v[156:157], v[152:153], v[156:157]
	v_add_f64_e32 v[162:163], v[154:155], v[182:183]
	ds_load_b128 v[4:7], v2 offset:1840
	ds_load_b128 v[152:155], v2 offset:1856
	s_wait_loadcnt_dscnt 0x701
	v_mul_f64_e32 v[180:181], v[4:5], v[174:175]
	v_mul_f64_e32 v[174:175], v[6:7], v[174:175]
	v_add_f64_e32 v[150:151], v[156:157], v[160:161]
	v_add_f64_e32 v[156:157], v[162:163], v[192:193]
	s_wait_loadcnt_dscnt 0x500
	v_mul_f64_e32 v[160:161], v[152:153], v[186:187]
	v_mul_f64_e32 v[162:163], v[154:155], v[186:187]
	v_fmac_f64_e32 v[180:181], v[6:7], v[172:173]
	v_fma_f64 v[164:165], v[4:5], v[172:173], -v[174:175]
	v_add_f64_e32 v[166:167], v[150:151], v[148:149]
	v_add_f64_e32 v[156:157], v[156:157], v[158:159]
	ds_load_b128 v[4:7], v2 offset:1872
	ds_load_b128 v[148:151], v2 offset:1888
	v_fmac_f64_e32 v[160:161], v[154:155], v[184:185]
	v_fma_f64 v[152:153], v[152:153], v[184:185], -v[162:163]
	s_wait_loadcnt_dscnt 0x401
	v_mul_f64_e32 v[158:159], v[4:5], v[170:171]
	v_mul_f64_e32 v[170:171], v[6:7], v[170:171]
	v_add_f64_e32 v[154:155], v[166:167], v[164:165]
	v_add_f64_e32 v[156:157], v[156:157], v[180:181]
	s_wait_loadcnt_dscnt 0x300
	v_mul_f64_e32 v[162:163], v[148:149], v[10:11]
	v_mul_f64_e32 v[10:11], v[150:151], v[10:11]
	v_fmac_f64_e32 v[158:159], v[6:7], v[168:169]
	v_fma_f64 v[164:165], v[4:5], v[168:169], -v[170:171]
	v_add_f64_e32 v[166:167], v[154:155], v[152:153]
	v_add_f64_e32 v[156:157], v[156:157], v[160:161]
	ds_load_b128 v[4:7], v2 offset:1904
	ds_load_b128 v[152:155], v2 offset:1920
	v_fmac_f64_e32 v[162:163], v[150:151], v[8:9]
	v_fma_f64 v[8:9], v[148:149], v[8:9], -v[10:11]
	s_wait_loadcnt_dscnt 0x201
	v_mul_f64_e32 v[160:161], v[4:5], v[14:15]
	v_mul_f64_e32 v[14:15], v[6:7], v[14:15]
	s_wait_loadcnt_dscnt 0x100
	v_mul_f64_e32 v[150:151], v[152:153], v[142:143]
	v_mul_f64_e32 v[142:143], v[154:155], v[142:143]
	v_add_f64_e32 v[10:11], v[166:167], v[164:165]
	v_add_f64_e32 v[148:149], v[156:157], v[158:159]
	v_fmac_f64_e32 v[160:161], v[6:7], v[12:13]
	v_fma_f64 v[12:13], v[4:5], v[12:13], -v[14:15]
	ds_load_b128 v[4:7], v2 offset:1936
	v_fmac_f64_e32 v[150:151], v[154:155], v[140:141]
	v_fma_f64 v[140:141], v[152:153], v[140:141], -v[142:143]
	v_add_f64_e32 v[8:9], v[10:11], v[8:9]
	v_add_f64_e32 v[10:11], v[148:149], v[162:163]
	s_wait_loadcnt_dscnt 0x0
	v_mul_f64_e32 v[14:15], v[4:5], v[146:147]
	v_mul_f64_e32 v[146:147], v[6:7], v[146:147]
	s_delay_alu instid0(VALU_DEP_4) | instskip(NEXT) | instid1(VALU_DEP_4)
	v_add_f64_e32 v[8:9], v[8:9], v[12:13]
	v_add_f64_e32 v[10:11], v[10:11], v[160:161]
	s_delay_alu instid0(VALU_DEP_4) | instskip(NEXT) | instid1(VALU_DEP_4)
	v_fmac_f64_e32 v[14:15], v[6:7], v[144:145]
	v_fma_f64 v[4:5], v[4:5], v[144:145], -v[146:147]
	s_delay_alu instid0(VALU_DEP_4) | instskip(NEXT) | instid1(VALU_DEP_4)
	v_add_f64_e32 v[6:7], v[8:9], v[140:141]
	v_add_f64_e32 v[8:9], v[10:11], v[150:151]
	s_delay_alu instid0(VALU_DEP_2) | instskip(NEXT) | instid1(VALU_DEP_2)
	v_add_f64_e32 v[4:5], v[6:7], v[4:5]
	v_add_f64_e32 v[6:7], v[8:9], v[14:15]
	s_delay_alu instid0(VALU_DEP_2) | instskip(NEXT) | instid1(VALU_DEP_2)
	v_add_f64_e64 v[4:5], v[176:177], -v[4:5]
	v_add_f64_e64 v[6:7], v[178:179], -v[6:7]
	scratch_store_b128 off, v[4:7], off offset:688
	s_wait_xcnt 0x0
	v_cmpx_lt_u32_e32 42, v1
	s_cbranch_execz .LBB124_307
; %bb.306:
	scratch_load_b128 v[6:9], off, s37
	v_dual_mov_b32 v3, v2 :: v_dual_mov_b32 v4, v2
	v_mov_b32_e32 v5, v2
	scratch_store_b128 off, v[2:5], off offset:672
	s_wait_loadcnt 0x0
	ds_store_b128 v138, v[6:9]
.LBB124_307:
	s_wait_xcnt 0x0
	s_or_b32 exec_lo, exec_lo, s2
	s_wait_storecnt_dscnt 0x0
	s_barrier_signal -1
	s_barrier_wait -1
	s_clause 0x9
	scratch_load_b128 v[4:7], off, off offset:688
	scratch_load_b128 v[8:11], off, off offset:704
	;; [unrolled: 1-line block ×10, first 2 shown]
	ds_load_b128 v[168:171], v2 offset:1664
	ds_load_b128 v[176:179], v2 offset:1680
	s_clause 0x2
	scratch_load_b128 v[172:175], off, off offset:848
	scratch_load_b128 v[180:183], off, off offset:672
	;; [unrolled: 1-line block ×3, first 2 shown]
	s_mov_b32 s2, exec_lo
	s_wait_loadcnt_dscnt 0xc01
	v_mul_f64_e32 v[188:189], v[170:171], v[6:7]
	v_mul_f64_e32 v[192:193], v[168:169], v[6:7]
	s_wait_loadcnt_dscnt 0xb00
	v_mul_f64_e32 v[194:195], v[176:177], v[10:11]
	v_mul_f64_e32 v[10:11], v[178:179], v[10:11]
	s_delay_alu instid0(VALU_DEP_4) | instskip(NEXT) | instid1(VALU_DEP_4)
	v_fma_f64 v[196:197], v[168:169], v[4:5], -v[188:189]
	v_fmac_f64_e32 v[192:193], v[170:171], v[4:5]
	ds_load_b128 v[4:7], v2 offset:1696
	ds_load_b128 v[168:171], v2 offset:1712
	scratch_load_b128 v[188:191], off, off offset:880
	v_fmac_f64_e32 v[194:195], v[178:179], v[8:9]
	v_fma_f64 v[176:177], v[176:177], v[8:9], -v[10:11]
	scratch_load_b128 v[8:11], off, off offset:896
	s_wait_loadcnt_dscnt 0xc01
	v_mul_f64_e32 v[198:199], v[4:5], v[14:15]
	v_mul_f64_e32 v[14:15], v[6:7], v[14:15]
	v_add_f64_e32 v[178:179], 0, v[196:197]
	v_add_f64_e32 v[192:193], 0, v[192:193]
	s_wait_loadcnt_dscnt 0xb00
	v_mul_f64_e32 v[196:197], v[168:169], v[142:143]
	v_mul_f64_e32 v[142:143], v[170:171], v[142:143]
	v_fmac_f64_e32 v[198:199], v[6:7], v[12:13]
	v_fma_f64 v[200:201], v[4:5], v[12:13], -v[14:15]
	ds_load_b128 v[4:7], v2 offset:1728
	ds_load_b128 v[12:15], v2 offset:1744
	v_add_f64_e32 v[202:203], v[178:179], v[176:177]
	v_add_f64_e32 v[192:193], v[192:193], v[194:195]
	scratch_load_b128 v[176:179], off, off offset:912
	v_fmac_f64_e32 v[196:197], v[170:171], v[140:141]
	v_fma_f64 v[168:169], v[168:169], v[140:141], -v[142:143]
	scratch_load_b128 v[140:143], off, off offset:928
	s_wait_loadcnt_dscnt 0xc01
	v_mul_f64_e32 v[194:195], v[4:5], v[146:147]
	v_mul_f64_e32 v[146:147], v[6:7], v[146:147]
	v_add_f64_e32 v[170:171], v[202:203], v[200:201]
	v_add_f64_e32 v[192:193], v[192:193], v[198:199]
	s_wait_loadcnt_dscnt 0xb00
	v_mul_f64_e32 v[198:199], v[12:13], v[150:151]
	v_mul_f64_e32 v[150:151], v[14:15], v[150:151]
	v_fmac_f64_e32 v[194:195], v[6:7], v[144:145]
	v_fma_f64 v[200:201], v[4:5], v[144:145], -v[146:147]
	ds_load_b128 v[4:7], v2 offset:1760
	ds_load_b128 v[144:147], v2 offset:1776
	v_add_f64_e32 v[202:203], v[170:171], v[168:169]
	v_add_f64_e32 v[192:193], v[192:193], v[196:197]
	scratch_load_b128 v[168:171], off, off offset:944
	s_wait_loadcnt_dscnt 0xb01
	v_mul_f64_e32 v[196:197], v[4:5], v[154:155]
	v_mul_f64_e32 v[154:155], v[6:7], v[154:155]
	v_fmac_f64_e32 v[198:199], v[14:15], v[148:149]
	v_fma_f64 v[148:149], v[12:13], v[148:149], -v[150:151]
	scratch_load_b128 v[12:15], off, off offset:960
	v_add_f64_e32 v[150:151], v[202:203], v[200:201]
	v_add_f64_e32 v[192:193], v[192:193], v[194:195]
	s_wait_loadcnt_dscnt 0xb00
	v_mul_f64_e32 v[194:195], v[144:145], v[158:159]
	v_mul_f64_e32 v[158:159], v[146:147], v[158:159]
	v_fmac_f64_e32 v[196:197], v[6:7], v[152:153]
	v_fma_f64 v[152:153], v[4:5], v[152:153], -v[154:155]
	v_add_f64_e32 v[154:155], v[150:151], v[148:149]
	v_add_f64_e32 v[192:193], v[192:193], v[198:199]
	ds_load_b128 v[4:7], v2 offset:1792
	ds_load_b128 v[148:151], v2 offset:1808
	v_fmac_f64_e32 v[194:195], v[146:147], v[156:157]
	v_fma_f64 v[144:145], v[144:145], v[156:157], -v[158:159]
	s_wait_loadcnt_dscnt 0xa01
	v_mul_f64_e32 v[198:199], v[4:5], v[162:163]
	v_mul_f64_e32 v[162:163], v[6:7], v[162:163]
	s_wait_loadcnt_dscnt 0x900
	v_mul_f64_e32 v[156:157], v[150:151], v[166:167]
	v_add_f64_e32 v[146:147], v[154:155], v[152:153]
	v_add_f64_e32 v[152:153], v[192:193], v[196:197]
	v_mul_f64_e32 v[154:155], v[148:149], v[166:167]
	v_fmac_f64_e32 v[198:199], v[6:7], v[160:161]
	v_fma_f64 v[158:159], v[4:5], v[160:161], -v[162:163]
	v_fma_f64 v[148:149], v[148:149], v[164:165], -v[156:157]
	v_add_f64_e32 v[160:161], v[146:147], v[144:145]
	v_add_f64_e32 v[152:153], v[152:153], v[194:195]
	ds_load_b128 v[4:7], v2 offset:1824
	ds_load_b128 v[144:147], v2 offset:1840
	v_fmac_f64_e32 v[154:155], v[150:151], v[164:165]
	s_wait_loadcnt_dscnt 0x801
	v_mul_f64_e32 v[162:163], v[4:5], v[174:175]
	v_mul_f64_e32 v[166:167], v[6:7], v[174:175]
	s_wait_loadcnt_dscnt 0x600
	v_mul_f64_e32 v[156:157], v[144:145], v[186:187]
	v_add_f64_e32 v[150:151], v[160:161], v[158:159]
	v_add_f64_e32 v[152:153], v[152:153], v[198:199]
	v_mul_f64_e32 v[158:159], v[146:147], v[186:187]
	v_fmac_f64_e32 v[162:163], v[6:7], v[172:173]
	v_fma_f64 v[160:161], v[4:5], v[172:173], -v[166:167]
	v_fmac_f64_e32 v[156:157], v[146:147], v[184:185]
	v_add_f64_e32 v[164:165], v[150:151], v[148:149]
	v_add_f64_e32 v[152:153], v[152:153], v[154:155]
	ds_load_b128 v[4:7], v2 offset:1856
	ds_load_b128 v[148:151], v2 offset:1872
	v_fma_f64 v[144:145], v[144:145], v[184:185], -v[158:159]
	s_wait_loadcnt_dscnt 0x501
	v_mul_f64_e32 v[154:155], v[4:5], v[190:191]
	v_mul_f64_e32 v[166:167], v[6:7], v[190:191]
	s_wait_loadcnt_dscnt 0x400
	v_mul_f64_e32 v[158:159], v[148:149], v[10:11]
	v_mul_f64_e32 v[10:11], v[150:151], v[10:11]
	v_add_f64_e32 v[146:147], v[164:165], v[160:161]
	v_add_f64_e32 v[152:153], v[152:153], v[162:163]
	v_fmac_f64_e32 v[154:155], v[6:7], v[188:189]
	v_fma_f64 v[160:161], v[4:5], v[188:189], -v[166:167]
	v_fmac_f64_e32 v[158:159], v[150:151], v[8:9]
	v_fma_f64 v[8:9], v[148:149], v[8:9], -v[10:11]
	v_add_f64_e32 v[162:163], v[146:147], v[144:145]
	v_add_f64_e32 v[152:153], v[152:153], v[156:157]
	ds_load_b128 v[4:7], v2 offset:1888
	ds_load_b128 v[144:147], v2 offset:1904
	s_wait_loadcnt_dscnt 0x301
	v_mul_f64_e32 v[156:157], v[4:5], v[178:179]
	v_mul_f64_e32 v[164:165], v[6:7], v[178:179]
	s_wait_loadcnt_dscnt 0x200
	v_mul_f64_e32 v[150:151], v[144:145], v[142:143]
	v_mul_f64_e32 v[142:143], v[146:147], v[142:143]
	v_add_f64_e32 v[10:11], v[162:163], v[160:161]
	v_add_f64_e32 v[148:149], v[152:153], v[154:155]
	v_fmac_f64_e32 v[156:157], v[6:7], v[176:177]
	v_fma_f64 v[152:153], v[4:5], v[176:177], -v[164:165]
	v_fmac_f64_e32 v[150:151], v[146:147], v[140:141]
	v_fma_f64 v[140:141], v[144:145], v[140:141], -v[142:143]
	v_add_f64_e32 v[154:155], v[10:11], v[8:9]
	v_add_f64_e32 v[148:149], v[148:149], v[158:159]
	ds_load_b128 v[4:7], v2 offset:1920
	ds_load_b128 v[8:11], v2 offset:1936
	s_wait_loadcnt_dscnt 0x101
	v_mul_f64_e32 v[2:3], v[4:5], v[170:171]
	v_mul_f64_e32 v[158:159], v[6:7], v[170:171]
	s_wait_loadcnt_dscnt 0x0
	v_mul_f64_e32 v[146:147], v[8:9], v[14:15]
	v_mul_f64_e32 v[14:15], v[10:11], v[14:15]
	v_add_f64_e32 v[142:143], v[154:155], v[152:153]
	v_add_f64_e32 v[144:145], v[148:149], v[156:157]
	v_fmac_f64_e32 v[2:3], v[6:7], v[168:169]
	v_fma_f64 v[4:5], v[4:5], v[168:169], -v[158:159]
	v_fmac_f64_e32 v[146:147], v[10:11], v[12:13]
	v_fma_f64 v[8:9], v[8:9], v[12:13], -v[14:15]
	v_add_f64_e32 v[6:7], v[142:143], v[140:141]
	v_add_f64_e32 v[140:141], v[144:145], v[150:151]
	s_delay_alu instid0(VALU_DEP_2) | instskip(NEXT) | instid1(VALU_DEP_2)
	v_add_f64_e32 v[4:5], v[6:7], v[4:5]
	v_add_f64_e32 v[2:3], v[140:141], v[2:3]
	s_delay_alu instid0(VALU_DEP_2) | instskip(NEXT) | instid1(VALU_DEP_2)
	;; [unrolled: 3-line block ×3, first 2 shown]
	v_add_f64_e64 v[2:3], v[180:181], -v[4:5]
	v_add_f64_e64 v[4:5], v[182:183], -v[6:7]
	scratch_store_b128 off, v[2:5], off offset:672
	s_wait_xcnt 0x0
	v_cmpx_lt_u32_e32 41, v1
	s_cbranch_execz .LBB124_309
; %bb.308:
	scratch_load_b128 v[2:5], off, s38
	v_mov_b32_e32 v6, 0
	s_delay_alu instid0(VALU_DEP_1)
	v_dual_mov_b32 v7, v6 :: v_dual_mov_b32 v8, v6
	v_mov_b32_e32 v9, v6
	scratch_store_b128 off, v[6:9], off offset:656
	s_wait_loadcnt 0x0
	ds_store_b128 v138, v[2:5]
.LBB124_309:
	s_wait_xcnt 0x0
	s_or_b32 exec_lo, exec_lo, s2
	s_wait_storecnt_dscnt 0x0
	s_barrier_signal -1
	s_barrier_wait -1
	s_clause 0x9
	scratch_load_b128 v[4:7], off, off offset:672
	scratch_load_b128 v[8:11], off, off offset:688
	;; [unrolled: 1-line block ×10, first 2 shown]
	v_mov_b32_e32 v2, 0
	s_mov_b32 s2, exec_lo
	ds_load_b128 v[168:171], v2 offset:1648
	s_clause 0x2
	scratch_load_b128 v[172:175], off, off offset:832
	scratch_load_b128 v[176:179], off, off offset:656
	;; [unrolled: 1-line block ×3, first 2 shown]
	s_wait_loadcnt_dscnt 0xc00
	v_mul_f64_e32 v[188:189], v[170:171], v[6:7]
	v_mul_f64_e32 v[192:193], v[168:169], v[6:7]
	ds_load_b128 v[180:183], v2 offset:1664
	v_fma_f64 v[196:197], v[168:169], v[4:5], -v[188:189]
	v_fmac_f64_e32 v[192:193], v[170:171], v[4:5]
	ds_load_b128 v[4:7], v2 offset:1680
	s_wait_loadcnt_dscnt 0xb01
	v_mul_f64_e32 v[194:195], v[180:181], v[10:11]
	v_mul_f64_e32 v[10:11], v[182:183], v[10:11]
	scratch_load_b128 v[168:171], off, off offset:864
	ds_load_b128 v[188:191], v2 offset:1696
	s_wait_loadcnt_dscnt 0xb01
	v_mul_f64_e32 v[198:199], v[4:5], v[14:15]
	v_mul_f64_e32 v[14:15], v[6:7], v[14:15]
	v_add_f64_e32 v[192:193], 0, v[192:193]
	v_fmac_f64_e32 v[194:195], v[182:183], v[8:9]
	v_fma_f64 v[180:181], v[180:181], v[8:9], -v[10:11]
	v_add_f64_e32 v[182:183], 0, v[196:197]
	scratch_load_b128 v[8:11], off, off offset:880
	v_fmac_f64_e32 v[198:199], v[6:7], v[12:13]
	v_fma_f64 v[200:201], v[4:5], v[12:13], -v[14:15]
	ds_load_b128 v[4:7], v2 offset:1712
	s_wait_loadcnt_dscnt 0xb01
	v_mul_f64_e32 v[196:197], v[188:189], v[142:143]
	v_mul_f64_e32 v[142:143], v[190:191], v[142:143]
	scratch_load_b128 v[12:15], off, off offset:896
	v_add_f64_e32 v[192:193], v[192:193], v[194:195]
	v_add_f64_e32 v[202:203], v[182:183], v[180:181]
	ds_load_b128 v[180:183], v2 offset:1728
	s_wait_loadcnt_dscnt 0xb01
	v_mul_f64_e32 v[194:195], v[4:5], v[146:147]
	v_mul_f64_e32 v[146:147], v[6:7], v[146:147]
	v_fmac_f64_e32 v[196:197], v[190:191], v[140:141]
	v_fma_f64 v[188:189], v[188:189], v[140:141], -v[142:143]
	scratch_load_b128 v[140:143], off, off offset:912
	v_add_f64_e32 v[192:193], v[192:193], v[198:199]
	v_add_f64_e32 v[190:191], v[202:203], v[200:201]
	v_fmac_f64_e32 v[194:195], v[6:7], v[144:145]
	v_fma_f64 v[200:201], v[4:5], v[144:145], -v[146:147]
	ds_load_b128 v[4:7], v2 offset:1744
	s_wait_loadcnt_dscnt 0xb01
	v_mul_f64_e32 v[198:199], v[180:181], v[150:151]
	v_mul_f64_e32 v[150:151], v[182:183], v[150:151]
	scratch_load_b128 v[144:147], off, off offset:928
	v_add_f64_e32 v[192:193], v[192:193], v[196:197]
	s_wait_loadcnt_dscnt 0xb00
	v_mul_f64_e32 v[196:197], v[4:5], v[154:155]
	v_add_f64_e32 v[202:203], v[190:191], v[188:189]
	v_mul_f64_e32 v[154:155], v[6:7], v[154:155]
	ds_load_b128 v[188:191], v2 offset:1760
	v_fmac_f64_e32 v[198:199], v[182:183], v[148:149]
	v_fma_f64 v[180:181], v[180:181], v[148:149], -v[150:151]
	scratch_load_b128 v[148:151], off, off offset:944
	v_add_f64_e32 v[192:193], v[192:193], v[194:195]
	v_fmac_f64_e32 v[196:197], v[6:7], v[152:153]
	v_add_f64_e32 v[182:183], v[202:203], v[200:201]
	v_fma_f64 v[200:201], v[4:5], v[152:153], -v[154:155]
	ds_load_b128 v[4:7], v2 offset:1776
	s_wait_loadcnt_dscnt 0xb01
	v_mul_f64_e32 v[194:195], v[188:189], v[158:159]
	v_mul_f64_e32 v[158:159], v[190:191], v[158:159]
	scratch_load_b128 v[152:155], off, off offset:960
	v_add_f64_e32 v[192:193], v[192:193], v[198:199]
	s_wait_loadcnt_dscnt 0xb00
	v_mul_f64_e32 v[198:199], v[4:5], v[162:163]
	v_add_f64_e32 v[202:203], v[182:183], v[180:181]
	v_mul_f64_e32 v[162:163], v[6:7], v[162:163]
	ds_load_b128 v[180:183], v2 offset:1792
	v_fmac_f64_e32 v[194:195], v[190:191], v[156:157]
	v_fma_f64 v[156:157], v[188:189], v[156:157], -v[158:159]
	s_wait_loadcnt_dscnt 0xa00
	v_mul_f64_e32 v[190:191], v[180:181], v[166:167]
	v_mul_f64_e32 v[166:167], v[182:183], v[166:167]
	v_add_f64_e32 v[188:189], v[192:193], v[196:197]
	v_fmac_f64_e32 v[198:199], v[6:7], v[160:161]
	v_add_f64_e32 v[158:159], v[202:203], v[200:201]
	v_fma_f64 v[160:161], v[4:5], v[160:161], -v[162:163]
	v_fmac_f64_e32 v[190:191], v[182:183], v[164:165]
	v_fma_f64 v[164:165], v[180:181], v[164:165], -v[166:167]
	v_add_f64_e32 v[188:189], v[188:189], v[194:195]
	v_add_f64_e32 v[162:163], v[158:159], v[156:157]
	ds_load_b128 v[4:7], v2 offset:1808
	ds_load_b128 v[156:159], v2 offset:1824
	s_wait_loadcnt_dscnt 0x901
	v_mul_f64_e32 v[192:193], v[4:5], v[174:175]
	v_mul_f64_e32 v[174:175], v[6:7], v[174:175]
	s_wait_loadcnt_dscnt 0x700
	v_mul_f64_e32 v[166:167], v[156:157], v[186:187]
	v_mul_f64_e32 v[180:181], v[158:159], v[186:187]
	v_add_f64_e32 v[160:161], v[162:163], v[160:161]
	v_add_f64_e32 v[162:163], v[188:189], v[198:199]
	v_fmac_f64_e32 v[192:193], v[6:7], v[172:173]
	v_fma_f64 v[172:173], v[4:5], v[172:173], -v[174:175]
	v_fmac_f64_e32 v[166:167], v[158:159], v[184:185]
	v_fma_f64 v[156:157], v[156:157], v[184:185], -v[180:181]
	v_add_f64_e32 v[164:165], v[160:161], v[164:165]
	v_add_f64_e32 v[174:175], v[162:163], v[190:191]
	ds_load_b128 v[4:7], v2 offset:1840
	ds_load_b128 v[160:163], v2 offset:1856
	s_wait_loadcnt_dscnt 0x601
	v_mul_f64_e32 v[182:183], v[4:5], v[170:171]
	v_mul_f64_e32 v[170:171], v[6:7], v[170:171]
	v_add_f64_e32 v[158:159], v[164:165], v[172:173]
	v_add_f64_e32 v[164:165], v[174:175], v[192:193]
	s_wait_loadcnt_dscnt 0x500
	v_mul_f64_e32 v[172:173], v[160:161], v[10:11]
	v_mul_f64_e32 v[10:11], v[162:163], v[10:11]
	v_fmac_f64_e32 v[182:183], v[6:7], v[168:169]
	v_fma_f64 v[168:169], v[4:5], v[168:169], -v[170:171]
	v_add_f64_e32 v[170:171], v[158:159], v[156:157]
	v_add_f64_e32 v[164:165], v[164:165], v[166:167]
	ds_load_b128 v[4:7], v2 offset:1872
	ds_load_b128 v[156:159], v2 offset:1888
	v_fmac_f64_e32 v[172:173], v[162:163], v[8:9]
	v_fma_f64 v[8:9], v[160:161], v[8:9], -v[10:11]
	s_wait_loadcnt_dscnt 0x401
	v_mul_f64_e32 v[166:167], v[4:5], v[14:15]
	v_mul_f64_e32 v[14:15], v[6:7], v[14:15]
	s_wait_loadcnt_dscnt 0x300
	v_mul_f64_e32 v[162:163], v[156:157], v[142:143]
	v_mul_f64_e32 v[142:143], v[158:159], v[142:143]
	v_add_f64_e32 v[10:11], v[170:171], v[168:169]
	v_add_f64_e32 v[160:161], v[164:165], v[182:183]
	v_fmac_f64_e32 v[166:167], v[6:7], v[12:13]
	v_fma_f64 v[12:13], v[4:5], v[12:13], -v[14:15]
	v_fmac_f64_e32 v[162:163], v[158:159], v[140:141]
	v_fma_f64 v[140:141], v[156:157], v[140:141], -v[142:143]
	v_add_f64_e32 v[14:15], v[10:11], v[8:9]
	v_add_f64_e32 v[160:161], v[160:161], v[172:173]
	ds_load_b128 v[4:7], v2 offset:1904
	ds_load_b128 v[8:11], v2 offset:1920
	s_wait_loadcnt_dscnt 0x201
	v_mul_f64_e32 v[164:165], v[4:5], v[146:147]
	v_mul_f64_e32 v[146:147], v[6:7], v[146:147]
	s_wait_loadcnt_dscnt 0x100
	v_mul_f64_e32 v[142:143], v[8:9], v[150:151]
	v_mul_f64_e32 v[150:151], v[10:11], v[150:151]
	v_add_f64_e32 v[12:13], v[14:15], v[12:13]
	v_add_f64_e32 v[14:15], v[160:161], v[166:167]
	v_fmac_f64_e32 v[164:165], v[6:7], v[144:145]
	v_fma_f64 v[144:145], v[4:5], v[144:145], -v[146:147]
	ds_load_b128 v[4:7], v2 offset:1936
	v_fmac_f64_e32 v[142:143], v[10:11], v[148:149]
	v_fma_f64 v[8:9], v[8:9], v[148:149], -v[150:151]
	v_add_f64_e32 v[12:13], v[12:13], v[140:141]
	v_add_f64_e32 v[14:15], v[14:15], v[162:163]
	s_wait_loadcnt_dscnt 0x0
	v_mul_f64_e32 v[140:141], v[4:5], v[154:155]
	v_mul_f64_e32 v[146:147], v[6:7], v[154:155]
	s_delay_alu instid0(VALU_DEP_4) | instskip(NEXT) | instid1(VALU_DEP_4)
	v_add_f64_e32 v[10:11], v[12:13], v[144:145]
	v_add_f64_e32 v[12:13], v[14:15], v[164:165]
	s_delay_alu instid0(VALU_DEP_4) | instskip(NEXT) | instid1(VALU_DEP_4)
	v_fmac_f64_e32 v[140:141], v[6:7], v[152:153]
	v_fma_f64 v[4:5], v[4:5], v[152:153], -v[146:147]
	s_delay_alu instid0(VALU_DEP_4) | instskip(NEXT) | instid1(VALU_DEP_4)
	v_add_f64_e32 v[6:7], v[10:11], v[8:9]
	v_add_f64_e32 v[8:9], v[12:13], v[142:143]
	s_delay_alu instid0(VALU_DEP_2) | instskip(NEXT) | instid1(VALU_DEP_2)
	v_add_f64_e32 v[4:5], v[6:7], v[4:5]
	v_add_f64_e32 v[6:7], v[8:9], v[140:141]
	s_delay_alu instid0(VALU_DEP_2) | instskip(NEXT) | instid1(VALU_DEP_2)
	v_add_f64_e64 v[4:5], v[176:177], -v[4:5]
	v_add_f64_e64 v[6:7], v[178:179], -v[6:7]
	scratch_store_b128 off, v[4:7], off offset:656
	s_wait_xcnt 0x0
	v_cmpx_lt_u32_e32 40, v1
	s_cbranch_execz .LBB124_311
; %bb.310:
	scratch_load_b128 v[6:9], off, s39
	v_dual_mov_b32 v3, v2 :: v_dual_mov_b32 v4, v2
	v_mov_b32_e32 v5, v2
	scratch_store_b128 off, v[2:5], off offset:640
	s_wait_loadcnt 0x0
	ds_store_b128 v138, v[6:9]
.LBB124_311:
	s_wait_xcnt 0x0
	s_or_b32 exec_lo, exec_lo, s2
	s_wait_storecnt_dscnt 0x0
	s_barrier_signal -1
	s_barrier_wait -1
	s_clause 0x9
	scratch_load_b128 v[4:7], off, off offset:656
	scratch_load_b128 v[8:11], off, off offset:672
	scratch_load_b128 v[12:15], off, off offset:688
	scratch_load_b128 v[140:143], off, off offset:704
	scratch_load_b128 v[144:147], off, off offset:720
	scratch_load_b128 v[148:151], off, off offset:736
	scratch_load_b128 v[152:155], off, off offset:752
	scratch_load_b128 v[156:159], off, off offset:768
	scratch_load_b128 v[160:163], off, off offset:784
	scratch_load_b128 v[164:167], off, off offset:800
	ds_load_b128 v[168:171], v2 offset:1632
	ds_load_b128 v[176:179], v2 offset:1648
	s_clause 0x2
	scratch_load_b128 v[172:175], off, off offset:816
	scratch_load_b128 v[180:183], off, off offset:640
	scratch_load_b128 v[184:187], off, off offset:832
	s_mov_b32 s2, exec_lo
	s_wait_loadcnt_dscnt 0xc01
	v_mul_f64_e32 v[188:189], v[170:171], v[6:7]
	v_mul_f64_e32 v[192:193], v[168:169], v[6:7]
	s_wait_loadcnt_dscnt 0xb00
	v_mul_f64_e32 v[194:195], v[176:177], v[10:11]
	v_mul_f64_e32 v[10:11], v[178:179], v[10:11]
	s_delay_alu instid0(VALU_DEP_4) | instskip(NEXT) | instid1(VALU_DEP_4)
	v_fma_f64 v[196:197], v[168:169], v[4:5], -v[188:189]
	v_fmac_f64_e32 v[192:193], v[170:171], v[4:5]
	ds_load_b128 v[4:7], v2 offset:1664
	ds_load_b128 v[168:171], v2 offset:1680
	scratch_load_b128 v[188:191], off, off offset:848
	v_fmac_f64_e32 v[194:195], v[178:179], v[8:9]
	v_fma_f64 v[176:177], v[176:177], v[8:9], -v[10:11]
	scratch_load_b128 v[8:11], off, off offset:864
	s_wait_loadcnt_dscnt 0xc01
	v_mul_f64_e32 v[198:199], v[4:5], v[14:15]
	v_mul_f64_e32 v[14:15], v[6:7], v[14:15]
	v_add_f64_e32 v[178:179], 0, v[196:197]
	v_add_f64_e32 v[192:193], 0, v[192:193]
	s_wait_loadcnt_dscnt 0xb00
	v_mul_f64_e32 v[196:197], v[168:169], v[142:143]
	v_mul_f64_e32 v[142:143], v[170:171], v[142:143]
	v_fmac_f64_e32 v[198:199], v[6:7], v[12:13]
	v_fma_f64 v[200:201], v[4:5], v[12:13], -v[14:15]
	ds_load_b128 v[4:7], v2 offset:1696
	ds_load_b128 v[12:15], v2 offset:1712
	v_add_f64_e32 v[202:203], v[178:179], v[176:177]
	v_add_f64_e32 v[192:193], v[192:193], v[194:195]
	scratch_load_b128 v[176:179], off, off offset:880
	v_fmac_f64_e32 v[196:197], v[170:171], v[140:141]
	v_fma_f64 v[168:169], v[168:169], v[140:141], -v[142:143]
	scratch_load_b128 v[140:143], off, off offset:896
	s_wait_loadcnt_dscnt 0xc01
	v_mul_f64_e32 v[194:195], v[4:5], v[146:147]
	v_mul_f64_e32 v[146:147], v[6:7], v[146:147]
	v_add_f64_e32 v[170:171], v[202:203], v[200:201]
	v_add_f64_e32 v[192:193], v[192:193], v[198:199]
	s_wait_loadcnt_dscnt 0xb00
	v_mul_f64_e32 v[198:199], v[12:13], v[150:151]
	v_mul_f64_e32 v[150:151], v[14:15], v[150:151]
	v_fmac_f64_e32 v[194:195], v[6:7], v[144:145]
	v_fma_f64 v[200:201], v[4:5], v[144:145], -v[146:147]
	ds_load_b128 v[4:7], v2 offset:1728
	ds_load_b128 v[144:147], v2 offset:1744
	v_add_f64_e32 v[202:203], v[170:171], v[168:169]
	v_add_f64_e32 v[192:193], v[192:193], v[196:197]
	scratch_load_b128 v[168:171], off, off offset:912
	s_wait_loadcnt_dscnt 0xb01
	v_mul_f64_e32 v[196:197], v[4:5], v[154:155]
	v_mul_f64_e32 v[154:155], v[6:7], v[154:155]
	v_fmac_f64_e32 v[198:199], v[14:15], v[148:149]
	v_fma_f64 v[148:149], v[12:13], v[148:149], -v[150:151]
	scratch_load_b128 v[12:15], off, off offset:928
	v_add_f64_e32 v[150:151], v[202:203], v[200:201]
	v_add_f64_e32 v[192:193], v[192:193], v[194:195]
	s_wait_loadcnt_dscnt 0xb00
	v_mul_f64_e32 v[194:195], v[144:145], v[158:159]
	v_mul_f64_e32 v[158:159], v[146:147], v[158:159]
	v_fmac_f64_e32 v[196:197], v[6:7], v[152:153]
	v_fma_f64 v[200:201], v[4:5], v[152:153], -v[154:155]
	v_add_f64_e32 v[202:203], v[150:151], v[148:149]
	v_add_f64_e32 v[192:193], v[192:193], v[198:199]
	ds_load_b128 v[4:7], v2 offset:1760
	ds_load_b128 v[148:151], v2 offset:1776
	scratch_load_b128 v[152:155], off, off offset:944
	v_fmac_f64_e32 v[194:195], v[146:147], v[156:157]
	v_fma_f64 v[156:157], v[144:145], v[156:157], -v[158:159]
	scratch_load_b128 v[144:147], off, off offset:960
	s_wait_loadcnt_dscnt 0xc01
	v_mul_f64_e32 v[198:199], v[4:5], v[162:163]
	v_mul_f64_e32 v[162:163], v[6:7], v[162:163]
	v_add_f64_e32 v[158:159], v[202:203], v[200:201]
	v_add_f64_e32 v[192:193], v[192:193], v[196:197]
	s_wait_loadcnt_dscnt 0xb00
	v_mul_f64_e32 v[196:197], v[148:149], v[166:167]
	v_mul_f64_e32 v[166:167], v[150:151], v[166:167]
	v_fmac_f64_e32 v[198:199], v[6:7], v[160:161]
	v_fma_f64 v[160:161], v[4:5], v[160:161], -v[162:163]
	v_add_f64_e32 v[162:163], v[158:159], v[156:157]
	v_add_f64_e32 v[192:193], v[192:193], v[194:195]
	ds_load_b128 v[4:7], v2 offset:1792
	ds_load_b128 v[156:159], v2 offset:1808
	v_fmac_f64_e32 v[196:197], v[150:151], v[164:165]
	v_fma_f64 v[148:149], v[148:149], v[164:165], -v[166:167]
	s_wait_loadcnt_dscnt 0xa01
	v_mul_f64_e32 v[194:195], v[4:5], v[174:175]
	v_mul_f64_e32 v[174:175], v[6:7], v[174:175]
	s_wait_loadcnt_dscnt 0x800
	v_mul_f64_e32 v[164:165], v[158:159], v[186:187]
	v_add_f64_e32 v[150:151], v[162:163], v[160:161]
	v_add_f64_e32 v[160:161], v[192:193], v[198:199]
	v_mul_f64_e32 v[162:163], v[156:157], v[186:187]
	v_fmac_f64_e32 v[194:195], v[6:7], v[172:173]
	v_fma_f64 v[166:167], v[4:5], v[172:173], -v[174:175]
	v_fma_f64 v[156:157], v[156:157], v[184:185], -v[164:165]
	v_add_f64_e32 v[172:173], v[150:151], v[148:149]
	v_add_f64_e32 v[160:161], v[160:161], v[196:197]
	ds_load_b128 v[4:7], v2 offset:1824
	ds_load_b128 v[148:151], v2 offset:1840
	v_fmac_f64_e32 v[162:163], v[158:159], v[184:185]
	s_wait_loadcnt_dscnt 0x701
	v_mul_f64_e32 v[174:175], v[4:5], v[190:191]
	v_mul_f64_e32 v[186:187], v[6:7], v[190:191]
	s_wait_loadcnt_dscnt 0x600
	v_mul_f64_e32 v[164:165], v[148:149], v[10:11]
	v_mul_f64_e32 v[10:11], v[150:151], v[10:11]
	v_add_f64_e32 v[158:159], v[172:173], v[166:167]
	v_add_f64_e32 v[160:161], v[160:161], v[194:195]
	v_fmac_f64_e32 v[174:175], v[6:7], v[188:189]
	v_fma_f64 v[166:167], v[4:5], v[188:189], -v[186:187]
	v_fmac_f64_e32 v[164:165], v[150:151], v[8:9]
	v_fma_f64 v[8:9], v[148:149], v[8:9], -v[10:11]
	v_add_f64_e32 v[172:173], v[158:159], v[156:157]
	v_add_f64_e32 v[160:161], v[160:161], v[162:163]
	ds_load_b128 v[4:7], v2 offset:1856
	ds_load_b128 v[156:159], v2 offset:1872
	s_wait_loadcnt_dscnt 0x501
	v_mul_f64_e32 v[162:163], v[4:5], v[178:179]
	v_mul_f64_e32 v[178:179], v[6:7], v[178:179]
	s_wait_loadcnt_dscnt 0x400
	v_mul_f64_e32 v[150:151], v[156:157], v[142:143]
	v_mul_f64_e32 v[142:143], v[158:159], v[142:143]
	v_add_f64_e32 v[10:11], v[172:173], v[166:167]
	v_add_f64_e32 v[148:149], v[160:161], v[174:175]
	v_fmac_f64_e32 v[162:163], v[6:7], v[176:177]
	v_fma_f64 v[160:161], v[4:5], v[176:177], -v[178:179]
	v_fmac_f64_e32 v[150:151], v[158:159], v[140:141]
	v_fma_f64 v[140:141], v[156:157], v[140:141], -v[142:143]
	v_add_f64_e32 v[166:167], v[10:11], v[8:9]
	v_add_f64_e32 v[148:149], v[148:149], v[164:165]
	ds_load_b128 v[4:7], v2 offset:1888
	ds_load_b128 v[8:11], v2 offset:1904
	;; [unrolled: 16-line block ×3, first 2 shown]
	s_wait_loadcnt_dscnt 0x101
	v_mul_f64_e32 v[2:3], v[4:5], v[154:155]
	v_mul_f64_e32 v[150:151], v[6:7], v[154:155]
	s_wait_loadcnt_dscnt 0x0
	v_mul_f64_e32 v[14:15], v[140:141], v[146:147]
	v_mul_f64_e32 v[146:147], v[142:143], v[146:147]
	v_add_f64_e32 v[10:11], v[160:161], v[158:159]
	v_add_f64_e32 v[12:13], v[148:149], v[164:165]
	v_fmac_f64_e32 v[2:3], v[6:7], v[152:153]
	v_fma_f64 v[4:5], v[4:5], v[152:153], -v[150:151]
	v_fmac_f64_e32 v[14:15], v[142:143], v[144:145]
	v_add_f64_e32 v[6:7], v[10:11], v[8:9]
	v_add_f64_e32 v[8:9], v[12:13], v[156:157]
	v_fma_f64 v[10:11], v[140:141], v[144:145], -v[146:147]
	s_delay_alu instid0(VALU_DEP_3) | instskip(NEXT) | instid1(VALU_DEP_3)
	v_add_f64_e32 v[4:5], v[6:7], v[4:5]
	v_add_f64_e32 v[2:3], v[8:9], v[2:3]
	s_delay_alu instid0(VALU_DEP_2) | instskip(NEXT) | instid1(VALU_DEP_2)
	v_add_f64_e32 v[4:5], v[4:5], v[10:11]
	v_add_f64_e32 v[6:7], v[2:3], v[14:15]
	s_delay_alu instid0(VALU_DEP_2) | instskip(NEXT) | instid1(VALU_DEP_2)
	v_add_f64_e64 v[2:3], v[180:181], -v[4:5]
	v_add_f64_e64 v[4:5], v[182:183], -v[6:7]
	scratch_store_b128 off, v[2:5], off offset:640
	s_wait_xcnt 0x0
	v_cmpx_lt_u32_e32 39, v1
	s_cbranch_execz .LBB124_313
; %bb.312:
	scratch_load_b128 v[2:5], off, s40
	v_mov_b32_e32 v6, 0
	s_delay_alu instid0(VALU_DEP_1)
	v_dual_mov_b32 v7, v6 :: v_dual_mov_b32 v8, v6
	v_mov_b32_e32 v9, v6
	scratch_store_b128 off, v[6:9], off offset:624
	s_wait_loadcnt 0x0
	ds_store_b128 v138, v[2:5]
.LBB124_313:
	s_wait_xcnt 0x0
	s_or_b32 exec_lo, exec_lo, s2
	s_wait_storecnt_dscnt 0x0
	s_barrier_signal -1
	s_barrier_wait -1
	s_clause 0x9
	scratch_load_b128 v[4:7], off, off offset:640
	scratch_load_b128 v[8:11], off, off offset:656
	;; [unrolled: 1-line block ×10, first 2 shown]
	v_mov_b32_e32 v2, 0
	s_mov_b32 s2, exec_lo
	ds_load_b128 v[168:171], v2 offset:1616
	s_clause 0x2
	scratch_load_b128 v[172:175], off, off offset:800
	scratch_load_b128 v[176:179], off, off offset:624
	;; [unrolled: 1-line block ×3, first 2 shown]
	s_wait_loadcnt_dscnt 0xc00
	v_mul_f64_e32 v[188:189], v[170:171], v[6:7]
	v_mul_f64_e32 v[192:193], v[168:169], v[6:7]
	ds_load_b128 v[180:183], v2 offset:1632
	v_fma_f64 v[196:197], v[168:169], v[4:5], -v[188:189]
	v_fmac_f64_e32 v[192:193], v[170:171], v[4:5]
	ds_load_b128 v[4:7], v2 offset:1648
	s_wait_loadcnt_dscnt 0xb01
	v_mul_f64_e32 v[194:195], v[180:181], v[10:11]
	v_mul_f64_e32 v[10:11], v[182:183], v[10:11]
	scratch_load_b128 v[168:171], off, off offset:832
	ds_load_b128 v[188:191], v2 offset:1664
	s_wait_loadcnt_dscnt 0xb01
	v_mul_f64_e32 v[198:199], v[4:5], v[14:15]
	v_mul_f64_e32 v[14:15], v[6:7], v[14:15]
	v_add_f64_e32 v[192:193], 0, v[192:193]
	v_fmac_f64_e32 v[194:195], v[182:183], v[8:9]
	v_fma_f64 v[180:181], v[180:181], v[8:9], -v[10:11]
	v_add_f64_e32 v[182:183], 0, v[196:197]
	scratch_load_b128 v[8:11], off, off offset:848
	v_fmac_f64_e32 v[198:199], v[6:7], v[12:13]
	v_fma_f64 v[200:201], v[4:5], v[12:13], -v[14:15]
	ds_load_b128 v[4:7], v2 offset:1680
	s_wait_loadcnt_dscnt 0xb01
	v_mul_f64_e32 v[196:197], v[188:189], v[142:143]
	v_mul_f64_e32 v[142:143], v[190:191], v[142:143]
	scratch_load_b128 v[12:15], off, off offset:864
	v_add_f64_e32 v[192:193], v[192:193], v[194:195]
	v_add_f64_e32 v[202:203], v[182:183], v[180:181]
	ds_load_b128 v[180:183], v2 offset:1696
	s_wait_loadcnt_dscnt 0xb01
	v_mul_f64_e32 v[194:195], v[4:5], v[146:147]
	v_mul_f64_e32 v[146:147], v[6:7], v[146:147]
	v_fmac_f64_e32 v[196:197], v[190:191], v[140:141]
	v_fma_f64 v[188:189], v[188:189], v[140:141], -v[142:143]
	scratch_load_b128 v[140:143], off, off offset:880
	v_add_f64_e32 v[192:193], v[192:193], v[198:199]
	v_add_f64_e32 v[190:191], v[202:203], v[200:201]
	v_fmac_f64_e32 v[194:195], v[6:7], v[144:145]
	v_fma_f64 v[200:201], v[4:5], v[144:145], -v[146:147]
	ds_load_b128 v[4:7], v2 offset:1712
	s_wait_loadcnt_dscnt 0xb01
	v_mul_f64_e32 v[198:199], v[180:181], v[150:151]
	v_mul_f64_e32 v[150:151], v[182:183], v[150:151]
	scratch_load_b128 v[144:147], off, off offset:896
	v_add_f64_e32 v[192:193], v[192:193], v[196:197]
	s_wait_loadcnt_dscnt 0xb00
	v_mul_f64_e32 v[196:197], v[4:5], v[154:155]
	v_add_f64_e32 v[202:203], v[190:191], v[188:189]
	v_mul_f64_e32 v[154:155], v[6:7], v[154:155]
	ds_load_b128 v[188:191], v2 offset:1728
	v_fmac_f64_e32 v[198:199], v[182:183], v[148:149]
	v_fma_f64 v[180:181], v[180:181], v[148:149], -v[150:151]
	scratch_load_b128 v[148:151], off, off offset:912
	v_add_f64_e32 v[192:193], v[192:193], v[194:195]
	v_fmac_f64_e32 v[196:197], v[6:7], v[152:153]
	v_add_f64_e32 v[182:183], v[202:203], v[200:201]
	v_fma_f64 v[200:201], v[4:5], v[152:153], -v[154:155]
	ds_load_b128 v[4:7], v2 offset:1744
	s_wait_loadcnt_dscnt 0xb01
	v_mul_f64_e32 v[194:195], v[188:189], v[158:159]
	v_mul_f64_e32 v[158:159], v[190:191], v[158:159]
	scratch_load_b128 v[152:155], off, off offset:928
	v_add_f64_e32 v[192:193], v[192:193], v[198:199]
	s_wait_loadcnt_dscnt 0xb00
	v_mul_f64_e32 v[198:199], v[4:5], v[162:163]
	v_add_f64_e32 v[202:203], v[182:183], v[180:181]
	v_mul_f64_e32 v[162:163], v[6:7], v[162:163]
	ds_load_b128 v[180:183], v2 offset:1760
	v_fmac_f64_e32 v[194:195], v[190:191], v[156:157]
	v_fma_f64 v[188:189], v[188:189], v[156:157], -v[158:159]
	scratch_load_b128 v[156:159], off, off offset:944
	v_add_f64_e32 v[192:193], v[192:193], v[196:197]
	v_fmac_f64_e32 v[198:199], v[6:7], v[160:161]
	v_add_f64_e32 v[190:191], v[202:203], v[200:201]
	v_fma_f64 v[200:201], v[4:5], v[160:161], -v[162:163]
	ds_load_b128 v[4:7], v2 offset:1776
	s_wait_loadcnt_dscnt 0xb01
	v_mul_f64_e32 v[196:197], v[180:181], v[166:167]
	v_mul_f64_e32 v[166:167], v[182:183], v[166:167]
	scratch_load_b128 v[160:163], off, off offset:960
	v_add_f64_e32 v[192:193], v[192:193], v[194:195]
	s_wait_loadcnt_dscnt 0xb00
	v_mul_f64_e32 v[194:195], v[4:5], v[174:175]
	v_add_f64_e32 v[202:203], v[190:191], v[188:189]
	v_mul_f64_e32 v[174:175], v[6:7], v[174:175]
	ds_load_b128 v[188:191], v2 offset:1792
	v_fmac_f64_e32 v[196:197], v[182:183], v[164:165]
	v_fma_f64 v[164:165], v[180:181], v[164:165], -v[166:167]
	s_wait_loadcnt_dscnt 0x900
	v_mul_f64_e32 v[182:183], v[188:189], v[186:187]
	v_mul_f64_e32 v[186:187], v[190:191], v[186:187]
	v_add_f64_e32 v[180:181], v[192:193], v[198:199]
	v_fmac_f64_e32 v[194:195], v[6:7], v[172:173]
	v_add_f64_e32 v[166:167], v[202:203], v[200:201]
	v_fma_f64 v[172:173], v[4:5], v[172:173], -v[174:175]
	v_fmac_f64_e32 v[182:183], v[190:191], v[184:185]
	v_fma_f64 v[184:185], v[188:189], v[184:185], -v[186:187]
	v_add_f64_e32 v[180:181], v[180:181], v[196:197]
	v_add_f64_e32 v[174:175], v[166:167], v[164:165]
	ds_load_b128 v[4:7], v2 offset:1808
	ds_load_b128 v[164:167], v2 offset:1824
	s_wait_loadcnt_dscnt 0x801
	v_mul_f64_e32 v[192:193], v[4:5], v[170:171]
	v_mul_f64_e32 v[170:171], v[6:7], v[170:171]
	v_add_f64_e32 v[172:173], v[174:175], v[172:173]
	v_add_f64_e32 v[174:175], v[180:181], v[194:195]
	s_wait_loadcnt_dscnt 0x700
	v_mul_f64_e32 v[180:181], v[164:165], v[10:11]
	v_mul_f64_e32 v[10:11], v[166:167], v[10:11]
	v_fmac_f64_e32 v[192:193], v[6:7], v[168:169]
	v_fma_f64 v[186:187], v[4:5], v[168:169], -v[170:171]
	ds_load_b128 v[4:7], v2 offset:1840
	ds_load_b128 v[168:171], v2 offset:1856
	v_add_f64_e32 v[172:173], v[172:173], v[184:185]
	v_add_f64_e32 v[174:175], v[174:175], v[182:183]
	v_fmac_f64_e32 v[180:181], v[166:167], v[8:9]
	v_fma_f64 v[8:9], v[164:165], v[8:9], -v[10:11]
	s_wait_loadcnt_dscnt 0x601
	v_mul_f64_e32 v[182:183], v[4:5], v[14:15]
	v_mul_f64_e32 v[14:15], v[6:7], v[14:15]
	s_wait_loadcnt_dscnt 0x500
	v_mul_f64_e32 v[166:167], v[168:169], v[142:143]
	v_mul_f64_e32 v[142:143], v[170:171], v[142:143]
	v_add_f64_e32 v[10:11], v[172:173], v[186:187]
	v_add_f64_e32 v[164:165], v[174:175], v[192:193]
	v_fmac_f64_e32 v[182:183], v[6:7], v[12:13]
	v_fma_f64 v[12:13], v[4:5], v[12:13], -v[14:15]
	v_fmac_f64_e32 v[166:167], v[170:171], v[140:141]
	v_fma_f64 v[140:141], v[168:169], v[140:141], -v[142:143]
	v_add_f64_e32 v[14:15], v[10:11], v[8:9]
	v_add_f64_e32 v[164:165], v[164:165], v[180:181]
	ds_load_b128 v[4:7], v2 offset:1872
	ds_load_b128 v[8:11], v2 offset:1888
	s_wait_loadcnt_dscnt 0x401
	v_mul_f64_e32 v[172:173], v[4:5], v[146:147]
	v_mul_f64_e32 v[146:147], v[6:7], v[146:147]
	s_wait_loadcnt_dscnt 0x300
	v_mul_f64_e32 v[142:143], v[8:9], v[150:151]
	v_mul_f64_e32 v[150:151], v[10:11], v[150:151]
	v_add_f64_e32 v[12:13], v[14:15], v[12:13]
	v_add_f64_e32 v[14:15], v[164:165], v[182:183]
	v_fmac_f64_e32 v[172:173], v[6:7], v[144:145]
	v_fma_f64 v[144:145], v[4:5], v[144:145], -v[146:147]
	v_fmac_f64_e32 v[142:143], v[10:11], v[148:149]
	v_fma_f64 v[8:9], v[8:9], v[148:149], -v[150:151]
	v_add_f64_e32 v[140:141], v[12:13], v[140:141]
	v_add_f64_e32 v[146:147], v[14:15], v[166:167]
	ds_load_b128 v[4:7], v2 offset:1904
	ds_load_b128 v[12:15], v2 offset:1920
	s_wait_loadcnt_dscnt 0x201
	v_mul_f64_e32 v[164:165], v[4:5], v[154:155]
	v_mul_f64_e32 v[154:155], v[6:7], v[154:155]
	v_add_f64_e32 v[10:11], v[140:141], v[144:145]
	v_add_f64_e32 v[140:141], v[146:147], v[172:173]
	s_wait_loadcnt_dscnt 0x100
	v_mul_f64_e32 v[144:145], v[12:13], v[158:159]
	v_mul_f64_e32 v[146:147], v[14:15], v[158:159]
	v_fmac_f64_e32 v[164:165], v[6:7], v[152:153]
	v_fma_f64 v[148:149], v[4:5], v[152:153], -v[154:155]
	ds_load_b128 v[4:7], v2 offset:1936
	v_add_f64_e32 v[8:9], v[10:11], v[8:9]
	v_add_f64_e32 v[10:11], v[140:141], v[142:143]
	v_fmac_f64_e32 v[144:145], v[14:15], v[156:157]
	v_fma_f64 v[12:13], v[12:13], v[156:157], -v[146:147]
	s_wait_loadcnt_dscnt 0x0
	v_mul_f64_e32 v[140:141], v[4:5], v[162:163]
	v_mul_f64_e32 v[142:143], v[6:7], v[162:163]
	v_add_f64_e32 v[8:9], v[8:9], v[148:149]
	v_add_f64_e32 v[10:11], v[10:11], v[164:165]
	s_delay_alu instid0(VALU_DEP_4) | instskip(NEXT) | instid1(VALU_DEP_4)
	v_fmac_f64_e32 v[140:141], v[6:7], v[160:161]
	v_fma_f64 v[4:5], v[4:5], v[160:161], -v[142:143]
	s_delay_alu instid0(VALU_DEP_4) | instskip(NEXT) | instid1(VALU_DEP_4)
	v_add_f64_e32 v[6:7], v[8:9], v[12:13]
	v_add_f64_e32 v[8:9], v[10:11], v[144:145]
	s_delay_alu instid0(VALU_DEP_2) | instskip(NEXT) | instid1(VALU_DEP_2)
	v_add_f64_e32 v[4:5], v[6:7], v[4:5]
	v_add_f64_e32 v[6:7], v[8:9], v[140:141]
	s_delay_alu instid0(VALU_DEP_2) | instskip(NEXT) | instid1(VALU_DEP_2)
	v_add_f64_e64 v[4:5], v[176:177], -v[4:5]
	v_add_f64_e64 v[6:7], v[178:179], -v[6:7]
	scratch_store_b128 off, v[4:7], off offset:624
	s_wait_xcnt 0x0
	v_cmpx_lt_u32_e32 38, v1
	s_cbranch_execz .LBB124_315
; %bb.314:
	scratch_load_b128 v[6:9], off, s41
	v_dual_mov_b32 v3, v2 :: v_dual_mov_b32 v4, v2
	v_mov_b32_e32 v5, v2
	scratch_store_b128 off, v[2:5], off offset:608
	s_wait_loadcnt 0x0
	ds_store_b128 v138, v[6:9]
.LBB124_315:
	s_wait_xcnt 0x0
	s_or_b32 exec_lo, exec_lo, s2
	s_wait_storecnt_dscnt 0x0
	s_barrier_signal -1
	s_barrier_wait -1
	s_clause 0x9
	scratch_load_b128 v[4:7], off, off offset:624
	scratch_load_b128 v[8:11], off, off offset:640
	;; [unrolled: 1-line block ×10, first 2 shown]
	ds_load_b128 v[168:171], v2 offset:1600
	ds_load_b128 v[176:179], v2 offset:1616
	s_clause 0x2
	scratch_load_b128 v[172:175], off, off offset:784
	scratch_load_b128 v[180:183], off, off offset:608
	;; [unrolled: 1-line block ×3, first 2 shown]
	s_mov_b32 s2, exec_lo
	s_wait_loadcnt_dscnt 0xc01
	v_mul_f64_e32 v[188:189], v[170:171], v[6:7]
	v_mul_f64_e32 v[192:193], v[168:169], v[6:7]
	s_wait_loadcnt_dscnt 0xb00
	v_mul_f64_e32 v[194:195], v[176:177], v[10:11]
	v_mul_f64_e32 v[10:11], v[178:179], v[10:11]
	s_delay_alu instid0(VALU_DEP_4) | instskip(NEXT) | instid1(VALU_DEP_4)
	v_fma_f64 v[196:197], v[168:169], v[4:5], -v[188:189]
	v_fmac_f64_e32 v[192:193], v[170:171], v[4:5]
	ds_load_b128 v[4:7], v2 offset:1632
	ds_load_b128 v[168:171], v2 offset:1648
	scratch_load_b128 v[188:191], off, off offset:816
	v_fmac_f64_e32 v[194:195], v[178:179], v[8:9]
	v_fma_f64 v[176:177], v[176:177], v[8:9], -v[10:11]
	scratch_load_b128 v[8:11], off, off offset:832
	s_wait_loadcnt_dscnt 0xc01
	v_mul_f64_e32 v[198:199], v[4:5], v[14:15]
	v_mul_f64_e32 v[14:15], v[6:7], v[14:15]
	v_add_f64_e32 v[178:179], 0, v[196:197]
	v_add_f64_e32 v[192:193], 0, v[192:193]
	s_wait_loadcnt_dscnt 0xb00
	v_mul_f64_e32 v[196:197], v[168:169], v[142:143]
	v_mul_f64_e32 v[142:143], v[170:171], v[142:143]
	v_fmac_f64_e32 v[198:199], v[6:7], v[12:13]
	v_fma_f64 v[200:201], v[4:5], v[12:13], -v[14:15]
	ds_load_b128 v[4:7], v2 offset:1664
	ds_load_b128 v[12:15], v2 offset:1680
	v_add_f64_e32 v[202:203], v[178:179], v[176:177]
	v_add_f64_e32 v[192:193], v[192:193], v[194:195]
	scratch_load_b128 v[176:179], off, off offset:848
	v_fmac_f64_e32 v[196:197], v[170:171], v[140:141]
	v_fma_f64 v[168:169], v[168:169], v[140:141], -v[142:143]
	scratch_load_b128 v[140:143], off, off offset:864
	s_wait_loadcnt_dscnt 0xc01
	v_mul_f64_e32 v[194:195], v[4:5], v[146:147]
	v_mul_f64_e32 v[146:147], v[6:7], v[146:147]
	v_add_f64_e32 v[170:171], v[202:203], v[200:201]
	v_add_f64_e32 v[192:193], v[192:193], v[198:199]
	s_wait_loadcnt_dscnt 0xb00
	v_mul_f64_e32 v[198:199], v[12:13], v[150:151]
	v_mul_f64_e32 v[150:151], v[14:15], v[150:151]
	v_fmac_f64_e32 v[194:195], v[6:7], v[144:145]
	v_fma_f64 v[200:201], v[4:5], v[144:145], -v[146:147]
	ds_load_b128 v[4:7], v2 offset:1696
	ds_load_b128 v[144:147], v2 offset:1712
	v_add_f64_e32 v[202:203], v[170:171], v[168:169]
	v_add_f64_e32 v[192:193], v[192:193], v[196:197]
	scratch_load_b128 v[168:171], off, off offset:880
	s_wait_loadcnt_dscnt 0xb01
	v_mul_f64_e32 v[196:197], v[4:5], v[154:155]
	v_mul_f64_e32 v[154:155], v[6:7], v[154:155]
	v_fmac_f64_e32 v[198:199], v[14:15], v[148:149]
	v_fma_f64 v[148:149], v[12:13], v[148:149], -v[150:151]
	scratch_load_b128 v[12:15], off, off offset:896
	v_add_f64_e32 v[150:151], v[202:203], v[200:201]
	v_add_f64_e32 v[192:193], v[192:193], v[194:195]
	s_wait_loadcnt_dscnt 0xb00
	v_mul_f64_e32 v[194:195], v[144:145], v[158:159]
	v_mul_f64_e32 v[158:159], v[146:147], v[158:159]
	v_fmac_f64_e32 v[196:197], v[6:7], v[152:153]
	v_fma_f64 v[200:201], v[4:5], v[152:153], -v[154:155]
	v_add_f64_e32 v[202:203], v[150:151], v[148:149]
	v_add_f64_e32 v[192:193], v[192:193], v[198:199]
	ds_load_b128 v[4:7], v2 offset:1728
	ds_load_b128 v[148:151], v2 offset:1744
	scratch_load_b128 v[152:155], off, off offset:912
	v_fmac_f64_e32 v[194:195], v[146:147], v[156:157]
	v_fma_f64 v[156:157], v[144:145], v[156:157], -v[158:159]
	scratch_load_b128 v[144:147], off, off offset:928
	s_wait_loadcnt_dscnt 0xc01
	v_mul_f64_e32 v[198:199], v[4:5], v[162:163]
	v_mul_f64_e32 v[162:163], v[6:7], v[162:163]
	v_add_f64_e32 v[158:159], v[202:203], v[200:201]
	v_add_f64_e32 v[192:193], v[192:193], v[196:197]
	s_wait_loadcnt_dscnt 0xb00
	v_mul_f64_e32 v[196:197], v[148:149], v[166:167]
	v_mul_f64_e32 v[166:167], v[150:151], v[166:167]
	v_fmac_f64_e32 v[198:199], v[6:7], v[160:161]
	v_fma_f64 v[200:201], v[4:5], v[160:161], -v[162:163]
	v_add_f64_e32 v[202:203], v[158:159], v[156:157]
	v_add_f64_e32 v[192:193], v[192:193], v[194:195]
	ds_load_b128 v[4:7], v2 offset:1760
	ds_load_b128 v[156:159], v2 offset:1776
	scratch_load_b128 v[160:163], off, off offset:944
	v_fmac_f64_e32 v[196:197], v[150:151], v[164:165]
	v_fma_f64 v[164:165], v[148:149], v[164:165], -v[166:167]
	scratch_load_b128 v[148:151], off, off offset:960
	s_wait_loadcnt_dscnt 0xc01
	v_mul_f64_e32 v[194:195], v[4:5], v[174:175]
	v_mul_f64_e32 v[174:175], v[6:7], v[174:175]
	v_add_f64_e32 v[166:167], v[202:203], v[200:201]
	v_add_f64_e32 v[192:193], v[192:193], v[198:199]
	s_wait_loadcnt_dscnt 0xa00
	v_mul_f64_e32 v[198:199], v[156:157], v[186:187]
	v_mul_f64_e32 v[186:187], v[158:159], v[186:187]
	v_fmac_f64_e32 v[194:195], v[6:7], v[172:173]
	v_fma_f64 v[172:173], v[4:5], v[172:173], -v[174:175]
	v_add_f64_e32 v[174:175], v[166:167], v[164:165]
	v_add_f64_e32 v[192:193], v[192:193], v[196:197]
	ds_load_b128 v[4:7], v2 offset:1792
	ds_load_b128 v[164:167], v2 offset:1808
	v_fmac_f64_e32 v[198:199], v[158:159], v[184:185]
	v_fma_f64 v[156:157], v[156:157], v[184:185], -v[186:187]
	s_wait_loadcnt_dscnt 0x901
	v_mul_f64_e32 v[196:197], v[4:5], v[190:191]
	v_mul_f64_e32 v[190:191], v[6:7], v[190:191]
	v_add_f64_e32 v[158:159], v[174:175], v[172:173]
	v_add_f64_e32 v[172:173], v[192:193], v[194:195]
	s_wait_loadcnt_dscnt 0x800
	v_mul_f64_e32 v[174:175], v[164:165], v[10:11]
	v_mul_f64_e32 v[10:11], v[166:167], v[10:11]
	v_fmac_f64_e32 v[196:197], v[6:7], v[188:189]
	v_fma_f64 v[184:185], v[4:5], v[188:189], -v[190:191]
	v_add_f64_e32 v[186:187], v[158:159], v[156:157]
	v_add_f64_e32 v[172:173], v[172:173], v[198:199]
	ds_load_b128 v[4:7], v2 offset:1824
	ds_load_b128 v[156:159], v2 offset:1840
	v_fmac_f64_e32 v[174:175], v[166:167], v[8:9]
	v_fma_f64 v[8:9], v[164:165], v[8:9], -v[10:11]
	s_wait_loadcnt_dscnt 0x701
	v_mul_f64_e32 v[188:189], v[4:5], v[178:179]
	v_mul_f64_e32 v[178:179], v[6:7], v[178:179]
	s_wait_loadcnt_dscnt 0x600
	v_mul_f64_e32 v[166:167], v[156:157], v[142:143]
	v_mul_f64_e32 v[142:143], v[158:159], v[142:143]
	v_add_f64_e32 v[10:11], v[186:187], v[184:185]
	v_add_f64_e32 v[164:165], v[172:173], v[196:197]
	v_fmac_f64_e32 v[188:189], v[6:7], v[176:177]
	v_fma_f64 v[172:173], v[4:5], v[176:177], -v[178:179]
	v_fmac_f64_e32 v[166:167], v[158:159], v[140:141]
	v_fma_f64 v[140:141], v[156:157], v[140:141], -v[142:143]
	v_add_f64_e32 v[176:177], v[10:11], v[8:9]
	v_add_f64_e32 v[164:165], v[164:165], v[174:175]
	ds_load_b128 v[4:7], v2 offset:1856
	ds_load_b128 v[8:11], v2 offset:1872
	s_wait_loadcnt_dscnt 0x501
	v_mul_f64_e32 v[174:175], v[4:5], v[170:171]
	v_mul_f64_e32 v[170:171], v[6:7], v[170:171]
	s_wait_loadcnt_dscnt 0x400
	v_mul_f64_e32 v[158:159], v[8:9], v[14:15]
	v_mul_f64_e32 v[14:15], v[10:11], v[14:15]
	v_add_f64_e32 v[142:143], v[176:177], v[172:173]
	v_add_f64_e32 v[156:157], v[164:165], v[188:189]
	v_fmac_f64_e32 v[174:175], v[6:7], v[168:169]
	v_fma_f64 v[164:165], v[4:5], v[168:169], -v[170:171]
	v_fmac_f64_e32 v[158:159], v[10:11], v[12:13]
	v_fma_f64 v[8:9], v[8:9], v[12:13], -v[14:15]
	v_add_f64_e32 v[168:169], v[142:143], v[140:141]
	v_add_f64_e32 v[156:157], v[156:157], v[166:167]
	ds_load_b128 v[4:7], v2 offset:1888
	ds_load_b128 v[140:143], v2 offset:1904
	;; [unrolled: 16-line block ×3, first 2 shown]
	s_wait_loadcnt_dscnt 0x101
	v_mul_f64_e32 v[2:3], v[4:5], v[162:163]
	v_mul_f64_e32 v[156:157], v[6:7], v[162:163]
	s_wait_loadcnt_dscnt 0x0
	v_mul_f64_e32 v[144:145], v[8:9], v[150:151]
	v_mul_f64_e32 v[146:147], v[10:11], v[150:151]
	v_add_f64_e32 v[142:143], v[154:155], v[152:153]
	v_add_f64_e32 v[12:13], v[12:13], v[166:167]
	v_fmac_f64_e32 v[2:3], v[6:7], v[160:161]
	v_fma_f64 v[4:5], v[4:5], v[160:161], -v[156:157]
	v_fmac_f64_e32 v[144:145], v[10:11], v[148:149]
	v_fma_f64 v[8:9], v[8:9], v[148:149], -v[146:147]
	v_add_f64_e32 v[6:7], v[142:143], v[140:141]
	v_add_f64_e32 v[12:13], v[12:13], v[14:15]
	s_delay_alu instid0(VALU_DEP_2) | instskip(NEXT) | instid1(VALU_DEP_2)
	v_add_f64_e32 v[4:5], v[6:7], v[4:5]
	v_add_f64_e32 v[2:3], v[12:13], v[2:3]
	s_delay_alu instid0(VALU_DEP_2) | instskip(NEXT) | instid1(VALU_DEP_2)
	;; [unrolled: 3-line block ×3, first 2 shown]
	v_add_f64_e64 v[2:3], v[180:181], -v[4:5]
	v_add_f64_e64 v[4:5], v[182:183], -v[6:7]
	scratch_store_b128 off, v[2:5], off offset:608
	s_wait_xcnt 0x0
	v_cmpx_lt_u32_e32 37, v1
	s_cbranch_execz .LBB124_317
; %bb.316:
	scratch_load_b128 v[2:5], off, s42
	v_mov_b32_e32 v6, 0
	s_delay_alu instid0(VALU_DEP_1)
	v_dual_mov_b32 v7, v6 :: v_dual_mov_b32 v8, v6
	v_mov_b32_e32 v9, v6
	scratch_store_b128 off, v[6:9], off offset:592
	s_wait_loadcnt 0x0
	ds_store_b128 v138, v[2:5]
.LBB124_317:
	s_wait_xcnt 0x0
	s_or_b32 exec_lo, exec_lo, s2
	s_wait_storecnt_dscnt 0x0
	s_barrier_signal -1
	s_barrier_wait -1
	s_clause 0x9
	scratch_load_b128 v[4:7], off, off offset:608
	scratch_load_b128 v[8:11], off, off offset:624
	;; [unrolled: 1-line block ×10, first 2 shown]
	v_mov_b32_e32 v2, 0
	s_mov_b32 s2, exec_lo
	ds_load_b128 v[168:171], v2 offset:1584
	s_clause 0x2
	scratch_load_b128 v[172:175], off, off offset:768
	scratch_load_b128 v[176:179], off, off offset:592
	;; [unrolled: 1-line block ×3, first 2 shown]
	s_wait_loadcnt_dscnt 0xc00
	v_mul_f64_e32 v[188:189], v[170:171], v[6:7]
	v_mul_f64_e32 v[192:193], v[168:169], v[6:7]
	ds_load_b128 v[180:183], v2 offset:1600
	v_fma_f64 v[196:197], v[168:169], v[4:5], -v[188:189]
	v_fmac_f64_e32 v[192:193], v[170:171], v[4:5]
	ds_load_b128 v[4:7], v2 offset:1616
	s_wait_loadcnt_dscnt 0xb01
	v_mul_f64_e32 v[194:195], v[180:181], v[10:11]
	v_mul_f64_e32 v[10:11], v[182:183], v[10:11]
	scratch_load_b128 v[168:171], off, off offset:800
	ds_load_b128 v[188:191], v2 offset:1632
	s_wait_loadcnt_dscnt 0xb01
	v_mul_f64_e32 v[198:199], v[4:5], v[14:15]
	v_mul_f64_e32 v[14:15], v[6:7], v[14:15]
	v_add_f64_e32 v[192:193], 0, v[192:193]
	v_fmac_f64_e32 v[194:195], v[182:183], v[8:9]
	v_fma_f64 v[180:181], v[180:181], v[8:9], -v[10:11]
	v_add_f64_e32 v[182:183], 0, v[196:197]
	scratch_load_b128 v[8:11], off, off offset:816
	v_fmac_f64_e32 v[198:199], v[6:7], v[12:13]
	v_fma_f64 v[200:201], v[4:5], v[12:13], -v[14:15]
	ds_load_b128 v[4:7], v2 offset:1648
	s_wait_loadcnt_dscnt 0xb01
	v_mul_f64_e32 v[196:197], v[188:189], v[142:143]
	v_mul_f64_e32 v[142:143], v[190:191], v[142:143]
	scratch_load_b128 v[12:15], off, off offset:832
	v_add_f64_e32 v[192:193], v[192:193], v[194:195]
	v_add_f64_e32 v[202:203], v[182:183], v[180:181]
	ds_load_b128 v[180:183], v2 offset:1664
	s_wait_loadcnt_dscnt 0xb01
	v_mul_f64_e32 v[194:195], v[4:5], v[146:147]
	v_mul_f64_e32 v[146:147], v[6:7], v[146:147]
	v_fmac_f64_e32 v[196:197], v[190:191], v[140:141]
	v_fma_f64 v[188:189], v[188:189], v[140:141], -v[142:143]
	scratch_load_b128 v[140:143], off, off offset:848
	v_add_f64_e32 v[192:193], v[192:193], v[198:199]
	v_add_f64_e32 v[190:191], v[202:203], v[200:201]
	v_fmac_f64_e32 v[194:195], v[6:7], v[144:145]
	v_fma_f64 v[200:201], v[4:5], v[144:145], -v[146:147]
	ds_load_b128 v[4:7], v2 offset:1680
	s_wait_loadcnt_dscnt 0xb01
	v_mul_f64_e32 v[198:199], v[180:181], v[150:151]
	v_mul_f64_e32 v[150:151], v[182:183], v[150:151]
	scratch_load_b128 v[144:147], off, off offset:864
	v_add_f64_e32 v[192:193], v[192:193], v[196:197]
	s_wait_loadcnt_dscnt 0xb00
	v_mul_f64_e32 v[196:197], v[4:5], v[154:155]
	v_add_f64_e32 v[202:203], v[190:191], v[188:189]
	v_mul_f64_e32 v[154:155], v[6:7], v[154:155]
	ds_load_b128 v[188:191], v2 offset:1696
	v_fmac_f64_e32 v[198:199], v[182:183], v[148:149]
	v_fma_f64 v[180:181], v[180:181], v[148:149], -v[150:151]
	scratch_load_b128 v[148:151], off, off offset:880
	v_add_f64_e32 v[192:193], v[192:193], v[194:195]
	v_fmac_f64_e32 v[196:197], v[6:7], v[152:153]
	v_add_f64_e32 v[182:183], v[202:203], v[200:201]
	v_fma_f64 v[200:201], v[4:5], v[152:153], -v[154:155]
	ds_load_b128 v[4:7], v2 offset:1712
	s_wait_loadcnt_dscnt 0xb01
	v_mul_f64_e32 v[194:195], v[188:189], v[158:159]
	v_mul_f64_e32 v[158:159], v[190:191], v[158:159]
	scratch_load_b128 v[152:155], off, off offset:896
	v_add_f64_e32 v[192:193], v[192:193], v[198:199]
	s_wait_loadcnt_dscnt 0xb00
	v_mul_f64_e32 v[198:199], v[4:5], v[162:163]
	v_add_f64_e32 v[202:203], v[182:183], v[180:181]
	v_mul_f64_e32 v[162:163], v[6:7], v[162:163]
	ds_load_b128 v[180:183], v2 offset:1728
	v_fmac_f64_e32 v[194:195], v[190:191], v[156:157]
	v_fma_f64 v[188:189], v[188:189], v[156:157], -v[158:159]
	scratch_load_b128 v[156:159], off, off offset:912
	v_add_f64_e32 v[192:193], v[192:193], v[196:197]
	v_fmac_f64_e32 v[198:199], v[6:7], v[160:161]
	v_add_f64_e32 v[190:191], v[202:203], v[200:201]
	;; [unrolled: 18-line block ×3, first 2 shown]
	v_fma_f64 v[200:201], v[4:5], v[172:173], -v[174:175]
	ds_load_b128 v[4:7], v2 offset:1776
	s_wait_loadcnt_dscnt 0xa01
	v_mul_f64_e32 v[198:199], v[188:189], v[186:187]
	v_mul_f64_e32 v[186:187], v[190:191], v[186:187]
	scratch_load_b128 v[172:175], off, off offset:960
	v_add_f64_e32 v[192:193], v[192:193], v[196:197]
	v_add_f64_e32 v[202:203], v[182:183], v[180:181]
	s_wait_loadcnt_dscnt 0xa00
	v_mul_f64_e32 v[196:197], v[4:5], v[170:171]
	v_mul_f64_e32 v[170:171], v[6:7], v[170:171]
	v_fmac_f64_e32 v[198:199], v[190:191], v[184:185]
	v_fma_f64 v[184:185], v[188:189], v[184:185], -v[186:187]
	ds_load_b128 v[180:183], v2 offset:1792
	v_add_f64_e32 v[188:189], v[192:193], v[194:195]
	v_add_f64_e32 v[186:187], v[202:203], v[200:201]
	s_wait_loadcnt_dscnt 0x900
	v_mul_f64_e32 v[190:191], v[180:181], v[10:11]
	v_mul_f64_e32 v[10:11], v[182:183], v[10:11]
	v_fmac_f64_e32 v[196:197], v[6:7], v[168:169]
	v_fma_f64 v[192:193], v[4:5], v[168:169], -v[170:171]
	ds_load_b128 v[4:7], v2 offset:1808
	ds_load_b128 v[168:171], v2 offset:1824
	v_add_f64_e32 v[184:185], v[186:187], v[184:185]
	v_add_f64_e32 v[186:187], v[188:189], v[198:199]
	s_wait_loadcnt_dscnt 0x801
	v_mul_f64_e32 v[188:189], v[4:5], v[14:15]
	v_mul_f64_e32 v[14:15], v[6:7], v[14:15]
	v_fmac_f64_e32 v[190:191], v[182:183], v[8:9]
	v_fma_f64 v[8:9], v[180:181], v[8:9], -v[10:11]
	s_wait_loadcnt_dscnt 0x700
	v_mul_f64_e32 v[182:183], v[168:169], v[142:143]
	v_mul_f64_e32 v[142:143], v[170:171], v[142:143]
	v_add_f64_e32 v[10:11], v[184:185], v[192:193]
	v_add_f64_e32 v[180:181], v[186:187], v[196:197]
	v_fmac_f64_e32 v[188:189], v[6:7], v[12:13]
	v_fma_f64 v[12:13], v[4:5], v[12:13], -v[14:15]
	v_fmac_f64_e32 v[182:183], v[170:171], v[140:141]
	v_fma_f64 v[140:141], v[168:169], v[140:141], -v[142:143]
	v_add_f64_e32 v[14:15], v[10:11], v[8:9]
	v_add_f64_e32 v[180:181], v[180:181], v[190:191]
	ds_load_b128 v[4:7], v2 offset:1840
	ds_load_b128 v[8:11], v2 offset:1856
	s_wait_loadcnt_dscnt 0x601
	v_mul_f64_e32 v[184:185], v[4:5], v[146:147]
	v_mul_f64_e32 v[146:147], v[6:7], v[146:147]
	s_wait_loadcnt_dscnt 0x500
	v_mul_f64_e32 v[142:143], v[8:9], v[150:151]
	v_mul_f64_e32 v[150:151], v[10:11], v[150:151]
	v_add_f64_e32 v[12:13], v[14:15], v[12:13]
	v_add_f64_e32 v[14:15], v[180:181], v[188:189]
	v_fmac_f64_e32 v[184:185], v[6:7], v[144:145]
	v_fma_f64 v[144:145], v[4:5], v[144:145], -v[146:147]
	v_fmac_f64_e32 v[142:143], v[10:11], v[148:149]
	v_fma_f64 v[8:9], v[8:9], v[148:149], -v[150:151]
	v_add_f64_e32 v[140:141], v[12:13], v[140:141]
	v_add_f64_e32 v[146:147], v[14:15], v[182:183]
	ds_load_b128 v[4:7], v2 offset:1872
	ds_load_b128 v[12:15], v2 offset:1888
	s_wait_loadcnt_dscnt 0x401
	v_mul_f64_e32 v[168:169], v[4:5], v[154:155]
	v_mul_f64_e32 v[154:155], v[6:7], v[154:155]
	v_add_f64_e32 v[10:11], v[140:141], v[144:145]
	v_add_f64_e32 v[140:141], v[146:147], v[184:185]
	s_wait_loadcnt_dscnt 0x300
	v_mul_f64_e32 v[144:145], v[12:13], v[158:159]
	v_mul_f64_e32 v[146:147], v[14:15], v[158:159]
	v_fmac_f64_e32 v[168:169], v[6:7], v[152:153]
	v_fma_f64 v[148:149], v[4:5], v[152:153], -v[154:155]
	v_add_f64_e32 v[150:151], v[10:11], v[8:9]
	v_add_f64_e32 v[140:141], v[140:141], v[142:143]
	ds_load_b128 v[4:7], v2 offset:1904
	ds_load_b128 v[8:11], v2 offset:1920
	v_fmac_f64_e32 v[144:145], v[14:15], v[156:157]
	v_fma_f64 v[12:13], v[12:13], v[156:157], -v[146:147]
	s_wait_loadcnt_dscnt 0x201
	v_mul_f64_e32 v[142:143], v[4:5], v[162:163]
	v_mul_f64_e32 v[152:153], v[6:7], v[162:163]
	s_wait_loadcnt_dscnt 0x100
	v_mul_f64_e32 v[146:147], v[8:9], v[166:167]
	v_add_f64_e32 v[14:15], v[150:151], v[148:149]
	v_add_f64_e32 v[140:141], v[140:141], v[168:169]
	v_mul_f64_e32 v[148:149], v[10:11], v[166:167]
	v_fmac_f64_e32 v[142:143], v[6:7], v[160:161]
	v_fma_f64 v[150:151], v[4:5], v[160:161], -v[152:153]
	ds_load_b128 v[4:7], v2 offset:1936
	v_fmac_f64_e32 v[146:147], v[10:11], v[164:165]
	v_add_f64_e32 v[12:13], v[14:15], v[12:13]
	v_add_f64_e32 v[14:15], v[140:141], v[144:145]
	v_fma_f64 v[8:9], v[8:9], v[164:165], -v[148:149]
	s_wait_loadcnt_dscnt 0x0
	v_mul_f64_e32 v[140:141], v[4:5], v[174:175]
	v_mul_f64_e32 v[144:145], v[6:7], v[174:175]
	v_add_f64_e32 v[10:11], v[12:13], v[150:151]
	v_add_f64_e32 v[12:13], v[14:15], v[142:143]
	s_delay_alu instid0(VALU_DEP_4) | instskip(NEXT) | instid1(VALU_DEP_4)
	v_fmac_f64_e32 v[140:141], v[6:7], v[172:173]
	v_fma_f64 v[4:5], v[4:5], v[172:173], -v[144:145]
	s_delay_alu instid0(VALU_DEP_4) | instskip(NEXT) | instid1(VALU_DEP_4)
	v_add_f64_e32 v[6:7], v[10:11], v[8:9]
	v_add_f64_e32 v[8:9], v[12:13], v[146:147]
	s_delay_alu instid0(VALU_DEP_2) | instskip(NEXT) | instid1(VALU_DEP_2)
	v_add_f64_e32 v[4:5], v[6:7], v[4:5]
	v_add_f64_e32 v[6:7], v[8:9], v[140:141]
	s_delay_alu instid0(VALU_DEP_2) | instskip(NEXT) | instid1(VALU_DEP_2)
	v_add_f64_e64 v[4:5], v[176:177], -v[4:5]
	v_add_f64_e64 v[6:7], v[178:179], -v[6:7]
	scratch_store_b128 off, v[4:7], off offset:592
	s_wait_xcnt 0x0
	v_cmpx_lt_u32_e32 36, v1
	s_cbranch_execz .LBB124_319
; %bb.318:
	scratch_load_b128 v[6:9], off, s43
	v_dual_mov_b32 v3, v2 :: v_dual_mov_b32 v4, v2
	v_mov_b32_e32 v5, v2
	scratch_store_b128 off, v[2:5], off offset:576
	s_wait_loadcnt 0x0
	ds_store_b128 v138, v[6:9]
.LBB124_319:
	s_wait_xcnt 0x0
	s_or_b32 exec_lo, exec_lo, s2
	s_wait_storecnt_dscnt 0x0
	s_barrier_signal -1
	s_barrier_wait -1
	s_clause 0x9
	scratch_load_b128 v[4:7], off, off offset:592
	scratch_load_b128 v[8:11], off, off offset:608
	;; [unrolled: 1-line block ×10, first 2 shown]
	ds_load_b128 v[168:171], v2 offset:1568
	ds_load_b128 v[176:179], v2 offset:1584
	s_clause 0x2
	scratch_load_b128 v[172:175], off, off offset:752
	scratch_load_b128 v[180:183], off, off offset:576
	;; [unrolled: 1-line block ×3, first 2 shown]
	s_mov_b32 s2, exec_lo
	s_wait_loadcnt_dscnt 0xc01
	v_mul_f64_e32 v[188:189], v[170:171], v[6:7]
	v_mul_f64_e32 v[192:193], v[168:169], v[6:7]
	s_wait_loadcnt_dscnt 0xb00
	v_mul_f64_e32 v[194:195], v[176:177], v[10:11]
	v_mul_f64_e32 v[10:11], v[178:179], v[10:11]
	s_delay_alu instid0(VALU_DEP_4) | instskip(NEXT) | instid1(VALU_DEP_4)
	v_fma_f64 v[196:197], v[168:169], v[4:5], -v[188:189]
	v_fmac_f64_e32 v[192:193], v[170:171], v[4:5]
	ds_load_b128 v[4:7], v2 offset:1600
	ds_load_b128 v[168:171], v2 offset:1616
	scratch_load_b128 v[188:191], off, off offset:784
	v_fmac_f64_e32 v[194:195], v[178:179], v[8:9]
	v_fma_f64 v[176:177], v[176:177], v[8:9], -v[10:11]
	scratch_load_b128 v[8:11], off, off offset:800
	s_wait_loadcnt_dscnt 0xc01
	v_mul_f64_e32 v[198:199], v[4:5], v[14:15]
	v_mul_f64_e32 v[14:15], v[6:7], v[14:15]
	v_add_f64_e32 v[178:179], 0, v[196:197]
	v_add_f64_e32 v[192:193], 0, v[192:193]
	s_wait_loadcnt_dscnt 0xb00
	v_mul_f64_e32 v[196:197], v[168:169], v[142:143]
	v_mul_f64_e32 v[142:143], v[170:171], v[142:143]
	v_fmac_f64_e32 v[198:199], v[6:7], v[12:13]
	v_fma_f64 v[200:201], v[4:5], v[12:13], -v[14:15]
	ds_load_b128 v[4:7], v2 offset:1632
	ds_load_b128 v[12:15], v2 offset:1648
	v_add_f64_e32 v[202:203], v[178:179], v[176:177]
	v_add_f64_e32 v[192:193], v[192:193], v[194:195]
	scratch_load_b128 v[176:179], off, off offset:816
	v_fmac_f64_e32 v[196:197], v[170:171], v[140:141]
	v_fma_f64 v[168:169], v[168:169], v[140:141], -v[142:143]
	scratch_load_b128 v[140:143], off, off offset:832
	s_wait_loadcnt_dscnt 0xc01
	v_mul_f64_e32 v[194:195], v[4:5], v[146:147]
	v_mul_f64_e32 v[146:147], v[6:7], v[146:147]
	v_add_f64_e32 v[170:171], v[202:203], v[200:201]
	v_add_f64_e32 v[192:193], v[192:193], v[198:199]
	s_wait_loadcnt_dscnt 0xb00
	v_mul_f64_e32 v[198:199], v[12:13], v[150:151]
	v_mul_f64_e32 v[150:151], v[14:15], v[150:151]
	v_fmac_f64_e32 v[194:195], v[6:7], v[144:145]
	v_fma_f64 v[200:201], v[4:5], v[144:145], -v[146:147]
	ds_load_b128 v[4:7], v2 offset:1664
	ds_load_b128 v[144:147], v2 offset:1680
	v_add_f64_e32 v[202:203], v[170:171], v[168:169]
	v_add_f64_e32 v[192:193], v[192:193], v[196:197]
	scratch_load_b128 v[168:171], off, off offset:848
	s_wait_loadcnt_dscnt 0xb01
	v_mul_f64_e32 v[196:197], v[4:5], v[154:155]
	v_mul_f64_e32 v[154:155], v[6:7], v[154:155]
	v_fmac_f64_e32 v[198:199], v[14:15], v[148:149]
	v_fma_f64 v[148:149], v[12:13], v[148:149], -v[150:151]
	scratch_load_b128 v[12:15], off, off offset:864
	v_add_f64_e32 v[150:151], v[202:203], v[200:201]
	v_add_f64_e32 v[192:193], v[192:193], v[194:195]
	s_wait_loadcnt_dscnt 0xb00
	v_mul_f64_e32 v[194:195], v[144:145], v[158:159]
	v_mul_f64_e32 v[158:159], v[146:147], v[158:159]
	v_fmac_f64_e32 v[196:197], v[6:7], v[152:153]
	v_fma_f64 v[200:201], v[4:5], v[152:153], -v[154:155]
	v_add_f64_e32 v[202:203], v[150:151], v[148:149]
	v_add_f64_e32 v[192:193], v[192:193], v[198:199]
	ds_load_b128 v[4:7], v2 offset:1696
	ds_load_b128 v[148:151], v2 offset:1712
	scratch_load_b128 v[152:155], off, off offset:880
	v_fmac_f64_e32 v[194:195], v[146:147], v[156:157]
	v_fma_f64 v[156:157], v[144:145], v[156:157], -v[158:159]
	scratch_load_b128 v[144:147], off, off offset:896
	s_wait_loadcnt_dscnt 0xc01
	v_mul_f64_e32 v[198:199], v[4:5], v[162:163]
	v_mul_f64_e32 v[162:163], v[6:7], v[162:163]
	v_add_f64_e32 v[158:159], v[202:203], v[200:201]
	v_add_f64_e32 v[192:193], v[192:193], v[196:197]
	s_wait_loadcnt_dscnt 0xb00
	v_mul_f64_e32 v[196:197], v[148:149], v[166:167]
	v_mul_f64_e32 v[166:167], v[150:151], v[166:167]
	v_fmac_f64_e32 v[198:199], v[6:7], v[160:161]
	v_fma_f64 v[200:201], v[4:5], v[160:161], -v[162:163]
	v_add_f64_e32 v[202:203], v[158:159], v[156:157]
	v_add_f64_e32 v[192:193], v[192:193], v[194:195]
	ds_load_b128 v[4:7], v2 offset:1728
	ds_load_b128 v[156:159], v2 offset:1744
	scratch_load_b128 v[160:163], off, off offset:912
	v_fmac_f64_e32 v[196:197], v[150:151], v[164:165]
	v_fma_f64 v[164:165], v[148:149], v[164:165], -v[166:167]
	scratch_load_b128 v[148:151], off, off offset:928
	s_wait_loadcnt_dscnt 0xc01
	v_mul_f64_e32 v[194:195], v[4:5], v[174:175]
	v_mul_f64_e32 v[174:175], v[6:7], v[174:175]
	v_add_f64_e32 v[166:167], v[202:203], v[200:201]
	v_add_f64_e32 v[192:193], v[192:193], v[198:199]
	s_wait_loadcnt_dscnt 0xa00
	v_mul_f64_e32 v[198:199], v[156:157], v[186:187]
	v_mul_f64_e32 v[186:187], v[158:159], v[186:187]
	v_fmac_f64_e32 v[194:195], v[6:7], v[172:173]
	v_fma_f64 v[200:201], v[4:5], v[172:173], -v[174:175]
	v_add_f64_e32 v[202:203], v[166:167], v[164:165]
	v_add_f64_e32 v[192:193], v[192:193], v[196:197]
	ds_load_b128 v[4:7], v2 offset:1760
	ds_load_b128 v[164:167], v2 offset:1776
	scratch_load_b128 v[172:175], off, off offset:944
	v_fmac_f64_e32 v[198:199], v[158:159], v[184:185]
	v_fma_f64 v[184:185], v[156:157], v[184:185], -v[186:187]
	scratch_load_b128 v[156:159], off, off offset:960
	s_wait_loadcnt_dscnt 0xb01
	v_mul_f64_e32 v[196:197], v[4:5], v[190:191]
	v_mul_f64_e32 v[190:191], v[6:7], v[190:191]
	v_add_f64_e32 v[186:187], v[202:203], v[200:201]
	v_add_f64_e32 v[192:193], v[192:193], v[194:195]
	s_wait_loadcnt_dscnt 0xa00
	v_mul_f64_e32 v[194:195], v[164:165], v[10:11]
	v_mul_f64_e32 v[10:11], v[166:167], v[10:11]
	v_fmac_f64_e32 v[196:197], v[6:7], v[188:189]
	v_fma_f64 v[188:189], v[4:5], v[188:189], -v[190:191]
	v_add_f64_e32 v[190:191], v[186:187], v[184:185]
	v_add_f64_e32 v[192:193], v[192:193], v[198:199]
	ds_load_b128 v[4:7], v2 offset:1792
	ds_load_b128 v[184:187], v2 offset:1808
	v_fmac_f64_e32 v[194:195], v[166:167], v[8:9]
	v_fma_f64 v[8:9], v[164:165], v[8:9], -v[10:11]
	s_wait_loadcnt_dscnt 0x901
	v_mul_f64_e32 v[198:199], v[4:5], v[178:179]
	v_mul_f64_e32 v[178:179], v[6:7], v[178:179]
	s_wait_loadcnt_dscnt 0x800
	v_mul_f64_e32 v[166:167], v[184:185], v[142:143]
	v_mul_f64_e32 v[142:143], v[186:187], v[142:143]
	v_add_f64_e32 v[10:11], v[190:191], v[188:189]
	v_add_f64_e32 v[164:165], v[192:193], v[196:197]
	v_fmac_f64_e32 v[198:199], v[6:7], v[176:177]
	v_fma_f64 v[176:177], v[4:5], v[176:177], -v[178:179]
	v_fmac_f64_e32 v[166:167], v[186:187], v[140:141]
	v_fma_f64 v[140:141], v[184:185], v[140:141], -v[142:143]
	v_add_f64_e32 v[178:179], v[10:11], v[8:9]
	v_add_f64_e32 v[164:165], v[164:165], v[194:195]
	ds_load_b128 v[4:7], v2 offset:1824
	ds_load_b128 v[8:11], v2 offset:1840
	s_wait_loadcnt_dscnt 0x701
	v_mul_f64_e32 v[188:189], v[4:5], v[170:171]
	v_mul_f64_e32 v[170:171], v[6:7], v[170:171]
	v_add_f64_e32 v[142:143], v[178:179], v[176:177]
	v_add_f64_e32 v[164:165], v[164:165], v[198:199]
	s_wait_loadcnt_dscnt 0x600
	v_mul_f64_e32 v[176:177], v[8:9], v[14:15]
	v_mul_f64_e32 v[14:15], v[10:11], v[14:15]
	v_fmac_f64_e32 v[188:189], v[6:7], v[168:169]
	v_fma_f64 v[168:169], v[4:5], v[168:169], -v[170:171]
	v_add_f64_e32 v[170:171], v[142:143], v[140:141]
	v_add_f64_e32 v[164:165], v[164:165], v[166:167]
	ds_load_b128 v[4:7], v2 offset:1856
	ds_load_b128 v[140:143], v2 offset:1872
	v_fmac_f64_e32 v[176:177], v[10:11], v[12:13]
	v_fma_f64 v[8:9], v[8:9], v[12:13], -v[14:15]
	s_wait_loadcnt_dscnt 0x501
	v_mul_f64_e32 v[166:167], v[4:5], v[154:155]
	v_mul_f64_e32 v[154:155], v[6:7], v[154:155]
	s_wait_loadcnt_dscnt 0x400
	v_mul_f64_e32 v[14:15], v[140:141], v[146:147]
	v_mul_f64_e32 v[146:147], v[142:143], v[146:147]
	v_add_f64_e32 v[10:11], v[170:171], v[168:169]
	v_add_f64_e32 v[12:13], v[164:165], v[188:189]
	v_fmac_f64_e32 v[166:167], v[6:7], v[152:153]
	v_fma_f64 v[152:153], v[4:5], v[152:153], -v[154:155]
	v_fmac_f64_e32 v[14:15], v[142:143], v[144:145]
	v_fma_f64 v[140:141], v[140:141], v[144:145], -v[146:147]
	v_add_f64_e32 v[154:155], v[10:11], v[8:9]
	v_add_f64_e32 v[12:13], v[12:13], v[176:177]
	ds_load_b128 v[4:7], v2 offset:1888
	ds_load_b128 v[8:11], v2 offset:1904
	s_wait_loadcnt_dscnt 0x301
	v_mul_f64_e32 v[164:165], v[4:5], v[162:163]
	v_mul_f64_e32 v[162:163], v[6:7], v[162:163]
	s_wait_loadcnt_dscnt 0x200
	v_mul_f64_e32 v[144:145], v[8:9], v[150:151]
	v_mul_f64_e32 v[146:147], v[10:11], v[150:151]
	v_add_f64_e32 v[142:143], v[154:155], v[152:153]
	v_add_f64_e32 v[12:13], v[12:13], v[166:167]
	v_fmac_f64_e32 v[164:165], v[6:7], v[160:161]
	v_fma_f64 v[150:151], v[4:5], v[160:161], -v[162:163]
	v_fmac_f64_e32 v[144:145], v[10:11], v[148:149]
	v_fma_f64 v[8:9], v[8:9], v[148:149], -v[146:147]
	v_add_f64_e32 v[140:141], v[142:143], v[140:141]
	v_add_f64_e32 v[142:143], v[12:13], v[14:15]
	ds_load_b128 v[4:7], v2 offset:1920
	ds_load_b128 v[12:15], v2 offset:1936
	s_wait_loadcnt_dscnt 0x101
	v_mul_f64_e32 v[2:3], v[4:5], v[174:175]
	v_mul_f64_e32 v[152:153], v[6:7], v[174:175]
	s_wait_loadcnt_dscnt 0x0
	v_mul_f64_e32 v[146:147], v[14:15], v[158:159]
	v_add_f64_e32 v[10:11], v[140:141], v[150:151]
	v_add_f64_e32 v[140:141], v[142:143], v[164:165]
	v_mul_f64_e32 v[142:143], v[12:13], v[158:159]
	v_fmac_f64_e32 v[2:3], v[6:7], v[172:173]
	v_fma_f64 v[4:5], v[4:5], v[172:173], -v[152:153]
	v_add_f64_e32 v[6:7], v[10:11], v[8:9]
	v_add_f64_e32 v[8:9], v[140:141], v[144:145]
	v_fmac_f64_e32 v[142:143], v[14:15], v[156:157]
	v_fma_f64 v[10:11], v[12:13], v[156:157], -v[146:147]
	s_delay_alu instid0(VALU_DEP_4) | instskip(NEXT) | instid1(VALU_DEP_4)
	v_add_f64_e32 v[4:5], v[6:7], v[4:5]
	v_add_f64_e32 v[2:3], v[8:9], v[2:3]
	s_delay_alu instid0(VALU_DEP_2) | instskip(NEXT) | instid1(VALU_DEP_2)
	v_add_f64_e32 v[4:5], v[4:5], v[10:11]
	v_add_f64_e32 v[6:7], v[2:3], v[142:143]
	s_delay_alu instid0(VALU_DEP_2) | instskip(NEXT) | instid1(VALU_DEP_2)
	v_add_f64_e64 v[2:3], v[180:181], -v[4:5]
	v_add_f64_e64 v[4:5], v[182:183], -v[6:7]
	scratch_store_b128 off, v[2:5], off offset:576
	s_wait_xcnt 0x0
	v_cmpx_lt_u32_e32 35, v1
	s_cbranch_execz .LBB124_321
; %bb.320:
	scratch_load_b128 v[2:5], off, s44
	v_mov_b32_e32 v6, 0
	s_delay_alu instid0(VALU_DEP_1)
	v_dual_mov_b32 v7, v6 :: v_dual_mov_b32 v8, v6
	v_mov_b32_e32 v9, v6
	scratch_store_b128 off, v[6:9], off offset:560
	s_wait_loadcnt 0x0
	ds_store_b128 v138, v[2:5]
.LBB124_321:
	s_wait_xcnt 0x0
	s_or_b32 exec_lo, exec_lo, s2
	s_wait_storecnt_dscnt 0x0
	s_barrier_signal -1
	s_barrier_wait -1
	s_clause 0x9
	scratch_load_b128 v[4:7], off, off offset:576
	scratch_load_b128 v[8:11], off, off offset:592
	;; [unrolled: 1-line block ×10, first 2 shown]
	v_mov_b32_e32 v2, 0
	s_mov_b32 s2, exec_lo
	ds_load_b128 v[168:171], v2 offset:1552
	s_clause 0x2
	scratch_load_b128 v[172:175], off, off offset:736
	scratch_load_b128 v[176:179], off, off offset:560
	;; [unrolled: 1-line block ×3, first 2 shown]
	s_wait_loadcnt_dscnt 0xc00
	v_mul_f64_e32 v[188:189], v[170:171], v[6:7]
	v_mul_f64_e32 v[192:193], v[168:169], v[6:7]
	ds_load_b128 v[180:183], v2 offset:1568
	v_fma_f64 v[196:197], v[168:169], v[4:5], -v[188:189]
	v_fmac_f64_e32 v[192:193], v[170:171], v[4:5]
	ds_load_b128 v[4:7], v2 offset:1584
	s_wait_loadcnt_dscnt 0xb01
	v_mul_f64_e32 v[194:195], v[180:181], v[10:11]
	v_mul_f64_e32 v[10:11], v[182:183], v[10:11]
	scratch_load_b128 v[168:171], off, off offset:768
	ds_load_b128 v[188:191], v2 offset:1600
	s_wait_loadcnt_dscnt 0xb01
	v_mul_f64_e32 v[198:199], v[4:5], v[14:15]
	v_mul_f64_e32 v[14:15], v[6:7], v[14:15]
	v_add_f64_e32 v[192:193], 0, v[192:193]
	v_fmac_f64_e32 v[194:195], v[182:183], v[8:9]
	v_fma_f64 v[180:181], v[180:181], v[8:9], -v[10:11]
	v_add_f64_e32 v[182:183], 0, v[196:197]
	scratch_load_b128 v[8:11], off, off offset:784
	v_fmac_f64_e32 v[198:199], v[6:7], v[12:13]
	v_fma_f64 v[200:201], v[4:5], v[12:13], -v[14:15]
	ds_load_b128 v[4:7], v2 offset:1616
	s_wait_loadcnt_dscnt 0xb01
	v_mul_f64_e32 v[196:197], v[188:189], v[142:143]
	v_mul_f64_e32 v[142:143], v[190:191], v[142:143]
	scratch_load_b128 v[12:15], off, off offset:800
	v_add_f64_e32 v[192:193], v[192:193], v[194:195]
	v_add_f64_e32 v[202:203], v[182:183], v[180:181]
	ds_load_b128 v[180:183], v2 offset:1632
	s_wait_loadcnt_dscnt 0xb01
	v_mul_f64_e32 v[194:195], v[4:5], v[146:147]
	v_mul_f64_e32 v[146:147], v[6:7], v[146:147]
	v_fmac_f64_e32 v[196:197], v[190:191], v[140:141]
	v_fma_f64 v[188:189], v[188:189], v[140:141], -v[142:143]
	scratch_load_b128 v[140:143], off, off offset:816
	v_add_f64_e32 v[192:193], v[192:193], v[198:199]
	v_add_f64_e32 v[190:191], v[202:203], v[200:201]
	v_fmac_f64_e32 v[194:195], v[6:7], v[144:145]
	v_fma_f64 v[200:201], v[4:5], v[144:145], -v[146:147]
	ds_load_b128 v[4:7], v2 offset:1648
	s_wait_loadcnt_dscnt 0xb01
	v_mul_f64_e32 v[198:199], v[180:181], v[150:151]
	v_mul_f64_e32 v[150:151], v[182:183], v[150:151]
	scratch_load_b128 v[144:147], off, off offset:832
	v_add_f64_e32 v[192:193], v[192:193], v[196:197]
	s_wait_loadcnt_dscnt 0xb00
	v_mul_f64_e32 v[196:197], v[4:5], v[154:155]
	v_add_f64_e32 v[202:203], v[190:191], v[188:189]
	v_mul_f64_e32 v[154:155], v[6:7], v[154:155]
	ds_load_b128 v[188:191], v2 offset:1664
	v_fmac_f64_e32 v[198:199], v[182:183], v[148:149]
	v_fma_f64 v[180:181], v[180:181], v[148:149], -v[150:151]
	scratch_load_b128 v[148:151], off, off offset:848
	v_add_f64_e32 v[192:193], v[192:193], v[194:195]
	v_fmac_f64_e32 v[196:197], v[6:7], v[152:153]
	v_add_f64_e32 v[182:183], v[202:203], v[200:201]
	v_fma_f64 v[200:201], v[4:5], v[152:153], -v[154:155]
	ds_load_b128 v[4:7], v2 offset:1680
	s_wait_loadcnt_dscnt 0xb01
	v_mul_f64_e32 v[194:195], v[188:189], v[158:159]
	v_mul_f64_e32 v[158:159], v[190:191], v[158:159]
	scratch_load_b128 v[152:155], off, off offset:864
	v_add_f64_e32 v[192:193], v[192:193], v[198:199]
	s_wait_loadcnt_dscnt 0xb00
	v_mul_f64_e32 v[198:199], v[4:5], v[162:163]
	v_add_f64_e32 v[202:203], v[182:183], v[180:181]
	v_mul_f64_e32 v[162:163], v[6:7], v[162:163]
	ds_load_b128 v[180:183], v2 offset:1696
	v_fmac_f64_e32 v[194:195], v[190:191], v[156:157]
	v_fma_f64 v[188:189], v[188:189], v[156:157], -v[158:159]
	scratch_load_b128 v[156:159], off, off offset:880
	v_add_f64_e32 v[192:193], v[192:193], v[196:197]
	v_fmac_f64_e32 v[198:199], v[6:7], v[160:161]
	v_add_f64_e32 v[190:191], v[202:203], v[200:201]
	;; [unrolled: 18-line block ×3, first 2 shown]
	v_fma_f64 v[200:201], v[4:5], v[172:173], -v[174:175]
	ds_load_b128 v[4:7], v2 offset:1744
	s_wait_loadcnt_dscnt 0xa01
	v_mul_f64_e32 v[198:199], v[188:189], v[186:187]
	v_mul_f64_e32 v[186:187], v[190:191], v[186:187]
	scratch_load_b128 v[172:175], off, off offset:928
	v_add_f64_e32 v[192:193], v[192:193], v[196:197]
	v_add_f64_e32 v[202:203], v[182:183], v[180:181]
	s_wait_loadcnt_dscnt 0xa00
	v_mul_f64_e32 v[196:197], v[4:5], v[170:171]
	v_mul_f64_e32 v[170:171], v[6:7], v[170:171]
	v_fmac_f64_e32 v[198:199], v[190:191], v[184:185]
	v_fma_f64 v[188:189], v[188:189], v[184:185], -v[186:187]
	ds_load_b128 v[180:183], v2 offset:1760
	scratch_load_b128 v[184:187], off, off offset:944
	v_add_f64_e32 v[192:193], v[192:193], v[194:195]
	v_add_f64_e32 v[190:191], v[202:203], v[200:201]
	v_fmac_f64_e32 v[196:197], v[6:7], v[168:169]
	v_fma_f64 v[200:201], v[4:5], v[168:169], -v[170:171]
	ds_load_b128 v[4:7], v2 offset:1776
	s_wait_loadcnt_dscnt 0xa01
	v_mul_f64_e32 v[194:195], v[180:181], v[10:11]
	v_mul_f64_e32 v[10:11], v[182:183], v[10:11]
	scratch_load_b128 v[168:171], off, off offset:960
	v_add_f64_e32 v[192:193], v[192:193], v[198:199]
	s_wait_loadcnt_dscnt 0xa00
	v_mul_f64_e32 v[198:199], v[4:5], v[14:15]
	v_add_f64_e32 v[202:203], v[190:191], v[188:189]
	v_mul_f64_e32 v[14:15], v[6:7], v[14:15]
	ds_load_b128 v[188:191], v2 offset:1792
	v_fmac_f64_e32 v[194:195], v[182:183], v[8:9]
	v_fma_f64 v[8:9], v[180:181], v[8:9], -v[10:11]
	s_wait_loadcnt_dscnt 0x900
	v_mul_f64_e32 v[182:183], v[188:189], v[142:143]
	v_mul_f64_e32 v[142:143], v[190:191], v[142:143]
	v_add_f64_e32 v[180:181], v[192:193], v[196:197]
	v_fmac_f64_e32 v[198:199], v[6:7], v[12:13]
	v_add_f64_e32 v[10:11], v[202:203], v[200:201]
	v_fma_f64 v[12:13], v[4:5], v[12:13], -v[14:15]
	v_fmac_f64_e32 v[182:183], v[190:191], v[140:141]
	v_fma_f64 v[140:141], v[188:189], v[140:141], -v[142:143]
	v_add_f64_e32 v[180:181], v[180:181], v[194:195]
	v_add_f64_e32 v[14:15], v[10:11], v[8:9]
	ds_load_b128 v[4:7], v2 offset:1808
	ds_load_b128 v[8:11], v2 offset:1824
	s_wait_loadcnt_dscnt 0x801
	v_mul_f64_e32 v[192:193], v[4:5], v[146:147]
	v_mul_f64_e32 v[146:147], v[6:7], v[146:147]
	s_wait_loadcnt_dscnt 0x700
	v_mul_f64_e32 v[142:143], v[8:9], v[150:151]
	v_mul_f64_e32 v[150:151], v[10:11], v[150:151]
	v_add_f64_e32 v[12:13], v[14:15], v[12:13]
	v_add_f64_e32 v[14:15], v[180:181], v[198:199]
	v_fmac_f64_e32 v[192:193], v[6:7], v[144:145]
	v_fma_f64 v[144:145], v[4:5], v[144:145], -v[146:147]
	v_fmac_f64_e32 v[142:143], v[10:11], v[148:149]
	v_fma_f64 v[8:9], v[8:9], v[148:149], -v[150:151]
	v_add_f64_e32 v[140:141], v[12:13], v[140:141]
	v_add_f64_e32 v[146:147], v[14:15], v[182:183]
	ds_load_b128 v[4:7], v2 offset:1840
	ds_load_b128 v[12:15], v2 offset:1856
	s_wait_loadcnt_dscnt 0x601
	v_mul_f64_e32 v[180:181], v[4:5], v[154:155]
	v_mul_f64_e32 v[154:155], v[6:7], v[154:155]
	v_add_f64_e32 v[10:11], v[140:141], v[144:145]
	v_add_f64_e32 v[140:141], v[146:147], v[192:193]
	s_wait_loadcnt_dscnt 0x500
	v_mul_f64_e32 v[144:145], v[12:13], v[158:159]
	v_mul_f64_e32 v[146:147], v[14:15], v[158:159]
	v_fmac_f64_e32 v[180:181], v[6:7], v[152:153]
	v_fma_f64 v[148:149], v[4:5], v[152:153], -v[154:155]
	v_add_f64_e32 v[150:151], v[10:11], v[8:9]
	v_add_f64_e32 v[140:141], v[140:141], v[142:143]
	ds_load_b128 v[4:7], v2 offset:1872
	ds_load_b128 v[8:11], v2 offset:1888
	v_fmac_f64_e32 v[144:145], v[14:15], v[156:157]
	v_fma_f64 v[12:13], v[12:13], v[156:157], -v[146:147]
	s_wait_loadcnt_dscnt 0x401
	v_mul_f64_e32 v[142:143], v[4:5], v[162:163]
	v_mul_f64_e32 v[152:153], v[6:7], v[162:163]
	s_wait_loadcnt_dscnt 0x300
	v_mul_f64_e32 v[146:147], v[8:9], v[166:167]
	v_add_f64_e32 v[14:15], v[150:151], v[148:149]
	v_add_f64_e32 v[140:141], v[140:141], v[180:181]
	v_mul_f64_e32 v[148:149], v[10:11], v[166:167]
	v_fmac_f64_e32 v[142:143], v[6:7], v[160:161]
	v_fma_f64 v[150:151], v[4:5], v[160:161], -v[152:153]
	v_fmac_f64_e32 v[146:147], v[10:11], v[164:165]
	v_add_f64_e32 v[152:153], v[14:15], v[12:13]
	v_add_f64_e32 v[140:141], v[140:141], v[144:145]
	ds_load_b128 v[4:7], v2 offset:1904
	ds_load_b128 v[12:15], v2 offset:1920
	v_fma_f64 v[8:9], v[8:9], v[164:165], -v[148:149]
	s_wait_loadcnt_dscnt 0x201
	v_mul_f64_e32 v[144:145], v[4:5], v[174:175]
	v_mul_f64_e32 v[154:155], v[6:7], v[174:175]
	s_wait_loadcnt_dscnt 0x100
	v_mul_f64_e32 v[148:149], v[14:15], v[186:187]
	v_add_f64_e32 v[10:11], v[152:153], v[150:151]
	v_add_f64_e32 v[140:141], v[140:141], v[142:143]
	v_mul_f64_e32 v[142:143], v[12:13], v[186:187]
	v_fmac_f64_e32 v[144:145], v[6:7], v[172:173]
	v_fma_f64 v[150:151], v[4:5], v[172:173], -v[154:155]
	ds_load_b128 v[4:7], v2 offset:1936
	v_fma_f64 v[12:13], v[12:13], v[184:185], -v[148:149]
	v_add_f64_e32 v[8:9], v[10:11], v[8:9]
	v_add_f64_e32 v[10:11], v[140:141], v[146:147]
	v_fmac_f64_e32 v[142:143], v[14:15], v[184:185]
	s_wait_loadcnt_dscnt 0x0
	v_mul_f64_e32 v[140:141], v[4:5], v[170:171]
	v_mul_f64_e32 v[146:147], v[6:7], v[170:171]
	v_add_f64_e32 v[8:9], v[8:9], v[150:151]
	v_add_f64_e32 v[10:11], v[10:11], v[144:145]
	s_delay_alu instid0(VALU_DEP_4) | instskip(NEXT) | instid1(VALU_DEP_4)
	v_fmac_f64_e32 v[140:141], v[6:7], v[168:169]
	v_fma_f64 v[4:5], v[4:5], v[168:169], -v[146:147]
	s_delay_alu instid0(VALU_DEP_4) | instskip(NEXT) | instid1(VALU_DEP_4)
	v_add_f64_e32 v[6:7], v[8:9], v[12:13]
	v_add_f64_e32 v[8:9], v[10:11], v[142:143]
	s_delay_alu instid0(VALU_DEP_2) | instskip(NEXT) | instid1(VALU_DEP_2)
	v_add_f64_e32 v[4:5], v[6:7], v[4:5]
	v_add_f64_e32 v[6:7], v[8:9], v[140:141]
	s_delay_alu instid0(VALU_DEP_2) | instskip(NEXT) | instid1(VALU_DEP_2)
	v_add_f64_e64 v[4:5], v[176:177], -v[4:5]
	v_add_f64_e64 v[6:7], v[178:179], -v[6:7]
	scratch_store_b128 off, v[4:7], off offset:560
	s_wait_xcnt 0x0
	v_cmpx_lt_u32_e32 34, v1
	s_cbranch_execz .LBB124_323
; %bb.322:
	scratch_load_b128 v[6:9], off, s45
	v_dual_mov_b32 v3, v2 :: v_dual_mov_b32 v4, v2
	v_mov_b32_e32 v5, v2
	scratch_store_b128 off, v[2:5], off offset:544
	s_wait_loadcnt 0x0
	ds_store_b128 v138, v[6:9]
.LBB124_323:
	s_wait_xcnt 0x0
	s_or_b32 exec_lo, exec_lo, s2
	s_wait_storecnt_dscnt 0x0
	s_barrier_signal -1
	s_barrier_wait -1
	s_clause 0x9
	scratch_load_b128 v[4:7], off, off offset:560
	scratch_load_b128 v[8:11], off, off offset:576
	;; [unrolled: 1-line block ×10, first 2 shown]
	ds_load_b128 v[168:171], v2 offset:1536
	ds_load_b128 v[176:179], v2 offset:1552
	s_clause 0x2
	scratch_load_b128 v[172:175], off, off offset:720
	scratch_load_b128 v[180:183], off, off offset:544
	scratch_load_b128 v[184:187], off, off offset:736
	s_mov_b32 s2, exec_lo
	s_wait_loadcnt_dscnt 0xc01
	v_mul_f64_e32 v[188:189], v[170:171], v[6:7]
	v_mul_f64_e32 v[192:193], v[168:169], v[6:7]
	s_wait_loadcnt_dscnt 0xb00
	v_mul_f64_e32 v[194:195], v[176:177], v[10:11]
	v_mul_f64_e32 v[10:11], v[178:179], v[10:11]
	s_delay_alu instid0(VALU_DEP_4) | instskip(NEXT) | instid1(VALU_DEP_4)
	v_fma_f64 v[196:197], v[168:169], v[4:5], -v[188:189]
	v_fmac_f64_e32 v[192:193], v[170:171], v[4:5]
	ds_load_b128 v[4:7], v2 offset:1568
	ds_load_b128 v[168:171], v2 offset:1584
	scratch_load_b128 v[188:191], off, off offset:752
	v_fmac_f64_e32 v[194:195], v[178:179], v[8:9]
	v_fma_f64 v[176:177], v[176:177], v[8:9], -v[10:11]
	scratch_load_b128 v[8:11], off, off offset:768
	s_wait_loadcnt_dscnt 0xc01
	v_mul_f64_e32 v[198:199], v[4:5], v[14:15]
	v_mul_f64_e32 v[14:15], v[6:7], v[14:15]
	v_add_f64_e32 v[178:179], 0, v[196:197]
	v_add_f64_e32 v[192:193], 0, v[192:193]
	s_wait_loadcnt_dscnt 0xb00
	v_mul_f64_e32 v[196:197], v[168:169], v[142:143]
	v_mul_f64_e32 v[142:143], v[170:171], v[142:143]
	v_fmac_f64_e32 v[198:199], v[6:7], v[12:13]
	v_fma_f64 v[200:201], v[4:5], v[12:13], -v[14:15]
	ds_load_b128 v[4:7], v2 offset:1600
	ds_load_b128 v[12:15], v2 offset:1616
	v_add_f64_e32 v[202:203], v[178:179], v[176:177]
	v_add_f64_e32 v[192:193], v[192:193], v[194:195]
	scratch_load_b128 v[176:179], off, off offset:784
	v_fmac_f64_e32 v[196:197], v[170:171], v[140:141]
	v_fma_f64 v[168:169], v[168:169], v[140:141], -v[142:143]
	scratch_load_b128 v[140:143], off, off offset:800
	s_wait_loadcnt_dscnt 0xc01
	v_mul_f64_e32 v[194:195], v[4:5], v[146:147]
	v_mul_f64_e32 v[146:147], v[6:7], v[146:147]
	v_add_f64_e32 v[170:171], v[202:203], v[200:201]
	v_add_f64_e32 v[192:193], v[192:193], v[198:199]
	s_wait_loadcnt_dscnt 0xb00
	v_mul_f64_e32 v[198:199], v[12:13], v[150:151]
	v_mul_f64_e32 v[150:151], v[14:15], v[150:151]
	v_fmac_f64_e32 v[194:195], v[6:7], v[144:145]
	v_fma_f64 v[200:201], v[4:5], v[144:145], -v[146:147]
	ds_load_b128 v[4:7], v2 offset:1632
	ds_load_b128 v[144:147], v2 offset:1648
	v_add_f64_e32 v[202:203], v[170:171], v[168:169]
	v_add_f64_e32 v[192:193], v[192:193], v[196:197]
	scratch_load_b128 v[168:171], off, off offset:816
	s_wait_loadcnt_dscnt 0xb01
	v_mul_f64_e32 v[196:197], v[4:5], v[154:155]
	v_mul_f64_e32 v[154:155], v[6:7], v[154:155]
	v_fmac_f64_e32 v[198:199], v[14:15], v[148:149]
	v_fma_f64 v[148:149], v[12:13], v[148:149], -v[150:151]
	scratch_load_b128 v[12:15], off, off offset:832
	v_add_f64_e32 v[150:151], v[202:203], v[200:201]
	v_add_f64_e32 v[192:193], v[192:193], v[194:195]
	s_wait_loadcnt_dscnt 0xb00
	v_mul_f64_e32 v[194:195], v[144:145], v[158:159]
	v_mul_f64_e32 v[158:159], v[146:147], v[158:159]
	v_fmac_f64_e32 v[196:197], v[6:7], v[152:153]
	v_fma_f64 v[200:201], v[4:5], v[152:153], -v[154:155]
	v_add_f64_e32 v[202:203], v[150:151], v[148:149]
	v_add_f64_e32 v[192:193], v[192:193], v[198:199]
	ds_load_b128 v[4:7], v2 offset:1664
	ds_load_b128 v[148:151], v2 offset:1680
	scratch_load_b128 v[152:155], off, off offset:848
	v_fmac_f64_e32 v[194:195], v[146:147], v[156:157]
	v_fma_f64 v[156:157], v[144:145], v[156:157], -v[158:159]
	scratch_load_b128 v[144:147], off, off offset:864
	s_wait_loadcnt_dscnt 0xc01
	v_mul_f64_e32 v[198:199], v[4:5], v[162:163]
	v_mul_f64_e32 v[162:163], v[6:7], v[162:163]
	v_add_f64_e32 v[158:159], v[202:203], v[200:201]
	v_add_f64_e32 v[192:193], v[192:193], v[196:197]
	s_wait_loadcnt_dscnt 0xb00
	v_mul_f64_e32 v[196:197], v[148:149], v[166:167]
	v_mul_f64_e32 v[166:167], v[150:151], v[166:167]
	v_fmac_f64_e32 v[198:199], v[6:7], v[160:161]
	v_fma_f64 v[200:201], v[4:5], v[160:161], -v[162:163]
	v_add_f64_e32 v[202:203], v[158:159], v[156:157]
	v_add_f64_e32 v[192:193], v[192:193], v[194:195]
	ds_load_b128 v[4:7], v2 offset:1696
	ds_load_b128 v[156:159], v2 offset:1712
	scratch_load_b128 v[160:163], off, off offset:880
	v_fmac_f64_e32 v[196:197], v[150:151], v[164:165]
	v_fma_f64 v[164:165], v[148:149], v[164:165], -v[166:167]
	scratch_load_b128 v[148:151], off, off offset:896
	s_wait_loadcnt_dscnt 0xc01
	v_mul_f64_e32 v[194:195], v[4:5], v[174:175]
	v_mul_f64_e32 v[174:175], v[6:7], v[174:175]
	;; [unrolled: 18-line block ×4, first 2 shown]
	v_add_f64_e32 v[166:167], v[202:203], v[200:201]
	v_add_f64_e32 v[192:193], v[192:193], v[196:197]
	s_wait_loadcnt_dscnt 0xa00
	v_mul_f64_e32 v[196:197], v[184:185], v[142:143]
	v_mul_f64_e32 v[142:143], v[186:187], v[142:143]
	v_fmac_f64_e32 v[198:199], v[6:7], v[176:177]
	v_fma_f64 v[176:177], v[4:5], v[176:177], -v[178:179]
	v_add_f64_e32 v[178:179], v[166:167], v[164:165]
	v_add_f64_e32 v[192:193], v[192:193], v[194:195]
	ds_load_b128 v[4:7], v2 offset:1792
	ds_load_b128 v[164:167], v2 offset:1808
	v_fmac_f64_e32 v[196:197], v[186:187], v[140:141]
	v_fma_f64 v[140:141], v[184:185], v[140:141], -v[142:143]
	s_wait_loadcnt_dscnt 0x901
	v_mul_f64_e32 v[194:195], v[4:5], v[170:171]
	v_mul_f64_e32 v[170:171], v[6:7], v[170:171]
	v_add_f64_e32 v[142:143], v[178:179], v[176:177]
	v_add_f64_e32 v[176:177], v[192:193], v[198:199]
	s_wait_loadcnt_dscnt 0x800
	v_mul_f64_e32 v[178:179], v[164:165], v[14:15]
	v_mul_f64_e32 v[14:15], v[166:167], v[14:15]
	v_fmac_f64_e32 v[194:195], v[6:7], v[168:169]
	v_fma_f64 v[168:169], v[4:5], v[168:169], -v[170:171]
	v_add_f64_e32 v[170:171], v[142:143], v[140:141]
	v_add_f64_e32 v[176:177], v[176:177], v[196:197]
	ds_load_b128 v[4:7], v2 offset:1824
	ds_load_b128 v[140:143], v2 offset:1840
	v_fmac_f64_e32 v[178:179], v[166:167], v[12:13]
	v_fma_f64 v[12:13], v[164:165], v[12:13], -v[14:15]
	s_wait_loadcnt_dscnt 0x701
	v_mul_f64_e32 v[184:185], v[4:5], v[154:155]
	v_mul_f64_e32 v[154:155], v[6:7], v[154:155]
	s_wait_loadcnt_dscnt 0x600
	v_mul_f64_e32 v[166:167], v[140:141], v[146:147]
	v_mul_f64_e32 v[146:147], v[142:143], v[146:147]
	v_add_f64_e32 v[14:15], v[170:171], v[168:169]
	v_add_f64_e32 v[164:165], v[176:177], v[194:195]
	v_fmac_f64_e32 v[184:185], v[6:7], v[152:153]
	v_fma_f64 v[152:153], v[4:5], v[152:153], -v[154:155]
	v_fmac_f64_e32 v[166:167], v[142:143], v[144:145]
	v_fma_f64 v[140:141], v[140:141], v[144:145], -v[146:147]
	v_add_f64_e32 v[154:155], v[14:15], v[12:13]
	v_add_f64_e32 v[164:165], v[164:165], v[178:179]
	ds_load_b128 v[4:7], v2 offset:1856
	ds_load_b128 v[12:15], v2 offset:1872
	s_wait_loadcnt_dscnt 0x501
	v_mul_f64_e32 v[168:169], v[4:5], v[162:163]
	v_mul_f64_e32 v[162:163], v[6:7], v[162:163]
	s_wait_loadcnt_dscnt 0x400
	v_mul_f64_e32 v[146:147], v[12:13], v[150:151]
	v_mul_f64_e32 v[150:151], v[14:15], v[150:151]
	v_add_f64_e32 v[142:143], v[154:155], v[152:153]
	v_add_f64_e32 v[144:145], v[164:165], v[184:185]
	v_fmac_f64_e32 v[168:169], v[6:7], v[160:161]
	v_fma_f64 v[152:153], v[4:5], v[160:161], -v[162:163]
	v_fmac_f64_e32 v[146:147], v[14:15], v[148:149]
	v_fma_f64 v[12:13], v[12:13], v[148:149], -v[150:151]
	v_add_f64_e32 v[154:155], v[142:143], v[140:141]
	v_add_f64_e32 v[144:145], v[144:145], v[166:167]
	ds_load_b128 v[4:7], v2 offset:1888
	ds_load_b128 v[140:143], v2 offset:1904
	;; [unrolled: 16-line block ×3, first 2 shown]
	s_wait_loadcnt_dscnt 0x101
	v_mul_f64_e32 v[2:3], v[4:5], v[190:191]
	v_mul_f64_e32 v[146:147], v[6:7], v[190:191]
	s_wait_loadcnt_dscnt 0x0
	v_mul_f64_e32 v[150:151], v[12:13], v[10:11]
	v_mul_f64_e32 v[10:11], v[14:15], v[10:11]
	v_add_f64_e32 v[142:143], v[154:155], v[152:153]
	v_add_f64_e32 v[144:145], v[144:145], v[160:161]
	v_fmac_f64_e32 v[2:3], v[6:7], v[188:189]
	v_fma_f64 v[4:5], v[4:5], v[188:189], -v[146:147]
	v_fmac_f64_e32 v[150:151], v[14:15], v[8:9]
	v_fma_f64 v[8:9], v[12:13], v[8:9], -v[10:11]
	v_add_f64_e32 v[6:7], v[142:143], v[140:141]
	v_add_f64_e32 v[140:141], v[144:145], v[148:149]
	s_delay_alu instid0(VALU_DEP_2) | instskip(NEXT) | instid1(VALU_DEP_2)
	v_add_f64_e32 v[4:5], v[6:7], v[4:5]
	v_add_f64_e32 v[2:3], v[140:141], v[2:3]
	s_delay_alu instid0(VALU_DEP_2) | instskip(NEXT) | instid1(VALU_DEP_2)
	;; [unrolled: 3-line block ×3, first 2 shown]
	v_add_f64_e64 v[2:3], v[180:181], -v[4:5]
	v_add_f64_e64 v[4:5], v[182:183], -v[6:7]
	scratch_store_b128 off, v[2:5], off offset:544
	s_wait_xcnt 0x0
	v_cmpx_lt_u32_e32 33, v1
	s_cbranch_execz .LBB124_325
; %bb.324:
	scratch_load_b128 v[2:5], off, s46
	v_mov_b32_e32 v6, 0
	s_delay_alu instid0(VALU_DEP_1)
	v_dual_mov_b32 v7, v6 :: v_dual_mov_b32 v8, v6
	v_mov_b32_e32 v9, v6
	scratch_store_b128 off, v[6:9], off offset:528
	s_wait_loadcnt 0x0
	ds_store_b128 v138, v[2:5]
.LBB124_325:
	s_wait_xcnt 0x0
	s_or_b32 exec_lo, exec_lo, s2
	s_wait_storecnt_dscnt 0x0
	s_barrier_signal -1
	s_barrier_wait -1
	s_clause 0x9
	scratch_load_b128 v[4:7], off, off offset:544
	scratch_load_b128 v[8:11], off, off offset:560
	;; [unrolled: 1-line block ×10, first 2 shown]
	v_mov_b32_e32 v2, 0
	s_mov_b32 s2, exec_lo
	ds_load_b128 v[168:171], v2 offset:1520
	s_clause 0x2
	scratch_load_b128 v[172:175], off, off offset:704
	scratch_load_b128 v[176:179], off, off offset:528
	;; [unrolled: 1-line block ×3, first 2 shown]
	s_wait_loadcnt_dscnt 0xc00
	v_mul_f64_e32 v[188:189], v[170:171], v[6:7]
	v_mul_f64_e32 v[192:193], v[168:169], v[6:7]
	ds_load_b128 v[180:183], v2 offset:1536
	v_fma_f64 v[196:197], v[168:169], v[4:5], -v[188:189]
	v_fmac_f64_e32 v[192:193], v[170:171], v[4:5]
	ds_load_b128 v[4:7], v2 offset:1552
	s_wait_loadcnt_dscnt 0xb01
	v_mul_f64_e32 v[194:195], v[180:181], v[10:11]
	v_mul_f64_e32 v[10:11], v[182:183], v[10:11]
	scratch_load_b128 v[168:171], off, off offset:736
	ds_load_b128 v[188:191], v2 offset:1568
	s_wait_loadcnt_dscnt 0xb01
	v_mul_f64_e32 v[198:199], v[4:5], v[14:15]
	v_mul_f64_e32 v[14:15], v[6:7], v[14:15]
	v_add_f64_e32 v[192:193], 0, v[192:193]
	v_fmac_f64_e32 v[194:195], v[182:183], v[8:9]
	v_fma_f64 v[180:181], v[180:181], v[8:9], -v[10:11]
	v_add_f64_e32 v[182:183], 0, v[196:197]
	scratch_load_b128 v[8:11], off, off offset:752
	v_fmac_f64_e32 v[198:199], v[6:7], v[12:13]
	v_fma_f64 v[200:201], v[4:5], v[12:13], -v[14:15]
	ds_load_b128 v[4:7], v2 offset:1584
	s_wait_loadcnt_dscnt 0xb01
	v_mul_f64_e32 v[196:197], v[188:189], v[142:143]
	v_mul_f64_e32 v[142:143], v[190:191], v[142:143]
	scratch_load_b128 v[12:15], off, off offset:768
	v_add_f64_e32 v[192:193], v[192:193], v[194:195]
	v_add_f64_e32 v[202:203], v[182:183], v[180:181]
	ds_load_b128 v[180:183], v2 offset:1600
	s_wait_loadcnt_dscnt 0xb01
	v_mul_f64_e32 v[194:195], v[4:5], v[146:147]
	v_mul_f64_e32 v[146:147], v[6:7], v[146:147]
	v_fmac_f64_e32 v[196:197], v[190:191], v[140:141]
	v_fma_f64 v[188:189], v[188:189], v[140:141], -v[142:143]
	scratch_load_b128 v[140:143], off, off offset:784
	v_add_f64_e32 v[192:193], v[192:193], v[198:199]
	v_add_f64_e32 v[190:191], v[202:203], v[200:201]
	v_fmac_f64_e32 v[194:195], v[6:7], v[144:145]
	v_fma_f64 v[200:201], v[4:5], v[144:145], -v[146:147]
	ds_load_b128 v[4:7], v2 offset:1616
	s_wait_loadcnt_dscnt 0xb01
	v_mul_f64_e32 v[198:199], v[180:181], v[150:151]
	v_mul_f64_e32 v[150:151], v[182:183], v[150:151]
	scratch_load_b128 v[144:147], off, off offset:800
	v_add_f64_e32 v[192:193], v[192:193], v[196:197]
	s_wait_loadcnt_dscnt 0xb00
	v_mul_f64_e32 v[196:197], v[4:5], v[154:155]
	v_add_f64_e32 v[202:203], v[190:191], v[188:189]
	v_mul_f64_e32 v[154:155], v[6:7], v[154:155]
	ds_load_b128 v[188:191], v2 offset:1632
	v_fmac_f64_e32 v[198:199], v[182:183], v[148:149]
	v_fma_f64 v[180:181], v[180:181], v[148:149], -v[150:151]
	scratch_load_b128 v[148:151], off, off offset:816
	v_add_f64_e32 v[192:193], v[192:193], v[194:195]
	v_fmac_f64_e32 v[196:197], v[6:7], v[152:153]
	v_add_f64_e32 v[182:183], v[202:203], v[200:201]
	v_fma_f64 v[200:201], v[4:5], v[152:153], -v[154:155]
	ds_load_b128 v[4:7], v2 offset:1648
	s_wait_loadcnt_dscnt 0xb01
	v_mul_f64_e32 v[194:195], v[188:189], v[158:159]
	v_mul_f64_e32 v[158:159], v[190:191], v[158:159]
	scratch_load_b128 v[152:155], off, off offset:832
	v_add_f64_e32 v[192:193], v[192:193], v[198:199]
	s_wait_loadcnt_dscnt 0xb00
	v_mul_f64_e32 v[198:199], v[4:5], v[162:163]
	v_add_f64_e32 v[202:203], v[182:183], v[180:181]
	v_mul_f64_e32 v[162:163], v[6:7], v[162:163]
	ds_load_b128 v[180:183], v2 offset:1664
	v_fmac_f64_e32 v[194:195], v[190:191], v[156:157]
	v_fma_f64 v[188:189], v[188:189], v[156:157], -v[158:159]
	scratch_load_b128 v[156:159], off, off offset:848
	v_add_f64_e32 v[192:193], v[192:193], v[196:197]
	v_fmac_f64_e32 v[198:199], v[6:7], v[160:161]
	v_add_f64_e32 v[190:191], v[202:203], v[200:201]
	v_fma_f64 v[200:201], v[4:5], v[160:161], -v[162:163]
	ds_load_b128 v[4:7], v2 offset:1680
	s_wait_loadcnt_dscnt 0xb01
	v_mul_f64_e32 v[196:197], v[180:181], v[166:167]
	v_mul_f64_e32 v[166:167], v[182:183], v[166:167]
	scratch_load_b128 v[160:163], off, off offset:864
	v_add_f64_e32 v[192:193], v[192:193], v[194:195]
	s_wait_loadcnt_dscnt 0xb00
	v_mul_f64_e32 v[194:195], v[4:5], v[174:175]
	v_add_f64_e32 v[202:203], v[190:191], v[188:189]
	v_mul_f64_e32 v[174:175], v[6:7], v[174:175]
	ds_load_b128 v[188:191], v2 offset:1696
	v_fmac_f64_e32 v[196:197], v[182:183], v[164:165]
	v_fma_f64 v[180:181], v[180:181], v[164:165], -v[166:167]
	scratch_load_b128 v[164:167], off, off offset:880
	v_add_f64_e32 v[192:193], v[192:193], v[198:199]
	v_fmac_f64_e32 v[194:195], v[6:7], v[172:173]
	v_add_f64_e32 v[182:183], v[202:203], v[200:201]
	v_fma_f64 v[200:201], v[4:5], v[172:173], -v[174:175]
	ds_load_b128 v[4:7], v2 offset:1712
	s_wait_loadcnt_dscnt 0xa01
	v_mul_f64_e32 v[198:199], v[188:189], v[186:187]
	v_mul_f64_e32 v[186:187], v[190:191], v[186:187]
	scratch_load_b128 v[172:175], off, off offset:896
	v_add_f64_e32 v[192:193], v[192:193], v[196:197]
	v_add_f64_e32 v[202:203], v[182:183], v[180:181]
	s_wait_loadcnt_dscnt 0xa00
	v_mul_f64_e32 v[196:197], v[4:5], v[170:171]
	v_mul_f64_e32 v[170:171], v[6:7], v[170:171]
	v_fmac_f64_e32 v[198:199], v[190:191], v[184:185]
	v_fma_f64 v[188:189], v[188:189], v[184:185], -v[186:187]
	ds_load_b128 v[180:183], v2 offset:1728
	scratch_load_b128 v[184:187], off, off offset:912
	v_add_f64_e32 v[192:193], v[192:193], v[194:195]
	v_add_f64_e32 v[190:191], v[202:203], v[200:201]
	v_fmac_f64_e32 v[196:197], v[6:7], v[168:169]
	v_fma_f64 v[200:201], v[4:5], v[168:169], -v[170:171]
	ds_load_b128 v[4:7], v2 offset:1744
	s_wait_loadcnt_dscnt 0xa01
	v_mul_f64_e32 v[194:195], v[180:181], v[10:11]
	v_mul_f64_e32 v[10:11], v[182:183], v[10:11]
	scratch_load_b128 v[168:171], off, off offset:928
	v_add_f64_e32 v[192:193], v[192:193], v[198:199]
	s_wait_loadcnt_dscnt 0xa00
	v_mul_f64_e32 v[198:199], v[4:5], v[14:15]
	v_add_f64_e32 v[202:203], v[190:191], v[188:189]
	v_mul_f64_e32 v[14:15], v[6:7], v[14:15]
	ds_load_b128 v[188:191], v2 offset:1760
	v_fmac_f64_e32 v[194:195], v[182:183], v[8:9]
	v_fma_f64 v[180:181], v[180:181], v[8:9], -v[10:11]
	scratch_load_b128 v[8:11], off, off offset:944
	v_add_f64_e32 v[192:193], v[192:193], v[196:197]
	v_fmac_f64_e32 v[198:199], v[6:7], v[12:13]
	v_add_f64_e32 v[182:183], v[202:203], v[200:201]
	v_fma_f64 v[200:201], v[4:5], v[12:13], -v[14:15]
	ds_load_b128 v[4:7], v2 offset:1776
	s_wait_loadcnt_dscnt 0xa01
	v_mul_f64_e32 v[196:197], v[188:189], v[142:143]
	v_mul_f64_e32 v[142:143], v[190:191], v[142:143]
	scratch_load_b128 v[12:15], off, off offset:960
	v_add_f64_e32 v[192:193], v[192:193], v[194:195]
	s_wait_loadcnt_dscnt 0xa00
	v_mul_f64_e32 v[194:195], v[4:5], v[146:147]
	v_add_f64_e32 v[202:203], v[182:183], v[180:181]
	v_mul_f64_e32 v[146:147], v[6:7], v[146:147]
	ds_load_b128 v[180:183], v2 offset:1792
	v_fmac_f64_e32 v[196:197], v[190:191], v[140:141]
	v_fma_f64 v[140:141], v[188:189], v[140:141], -v[142:143]
	s_wait_loadcnt_dscnt 0x900
	v_mul_f64_e32 v[190:191], v[180:181], v[150:151]
	v_mul_f64_e32 v[150:151], v[182:183], v[150:151]
	v_add_f64_e32 v[188:189], v[192:193], v[198:199]
	v_fmac_f64_e32 v[194:195], v[6:7], v[144:145]
	v_add_f64_e32 v[142:143], v[202:203], v[200:201]
	v_fma_f64 v[144:145], v[4:5], v[144:145], -v[146:147]
	v_fmac_f64_e32 v[190:191], v[182:183], v[148:149]
	v_fma_f64 v[148:149], v[180:181], v[148:149], -v[150:151]
	v_add_f64_e32 v[188:189], v[188:189], v[196:197]
	v_add_f64_e32 v[146:147], v[142:143], v[140:141]
	ds_load_b128 v[4:7], v2 offset:1808
	ds_load_b128 v[140:143], v2 offset:1824
	s_wait_loadcnt_dscnt 0x801
	v_mul_f64_e32 v[192:193], v[4:5], v[154:155]
	v_mul_f64_e32 v[154:155], v[6:7], v[154:155]
	s_wait_loadcnt_dscnt 0x700
	v_mul_f64_e32 v[150:151], v[140:141], v[158:159]
	v_mul_f64_e32 v[158:159], v[142:143], v[158:159]
	v_add_f64_e32 v[144:145], v[146:147], v[144:145]
	v_add_f64_e32 v[146:147], v[188:189], v[194:195]
	v_fmac_f64_e32 v[192:193], v[6:7], v[152:153]
	v_fma_f64 v[152:153], v[4:5], v[152:153], -v[154:155]
	v_fmac_f64_e32 v[150:151], v[142:143], v[156:157]
	v_fma_f64 v[140:141], v[140:141], v[156:157], -v[158:159]
	v_add_f64_e32 v[148:149], v[144:145], v[148:149]
	v_add_f64_e32 v[154:155], v[146:147], v[190:191]
	ds_load_b128 v[4:7], v2 offset:1840
	ds_load_b128 v[144:147], v2 offset:1856
	s_wait_loadcnt_dscnt 0x601
	v_mul_f64_e32 v[180:181], v[4:5], v[162:163]
	v_mul_f64_e32 v[162:163], v[6:7], v[162:163]
	v_add_f64_e32 v[142:143], v[148:149], v[152:153]
	v_add_f64_e32 v[148:149], v[154:155], v[192:193]
	s_wait_loadcnt_dscnt 0x500
	v_mul_f64_e32 v[152:153], v[144:145], v[166:167]
	v_mul_f64_e32 v[154:155], v[146:147], v[166:167]
	v_fmac_f64_e32 v[180:181], v[6:7], v[160:161]
	v_fma_f64 v[156:157], v[4:5], v[160:161], -v[162:163]
	v_add_f64_e32 v[158:159], v[142:143], v[140:141]
	v_add_f64_e32 v[148:149], v[148:149], v[150:151]
	ds_load_b128 v[4:7], v2 offset:1872
	ds_load_b128 v[140:143], v2 offset:1888
	v_fmac_f64_e32 v[152:153], v[146:147], v[164:165]
	v_fma_f64 v[144:145], v[144:145], v[164:165], -v[154:155]
	s_wait_loadcnt_dscnt 0x401
	v_mul_f64_e32 v[150:151], v[4:5], v[174:175]
	v_mul_f64_e32 v[160:161], v[6:7], v[174:175]
	s_wait_loadcnt_dscnt 0x300
	v_mul_f64_e32 v[154:155], v[140:141], v[186:187]
	v_add_f64_e32 v[146:147], v[158:159], v[156:157]
	v_add_f64_e32 v[148:149], v[148:149], v[180:181]
	v_mul_f64_e32 v[156:157], v[142:143], v[186:187]
	v_fmac_f64_e32 v[150:151], v[6:7], v[172:173]
	v_fma_f64 v[158:159], v[4:5], v[172:173], -v[160:161]
	v_fmac_f64_e32 v[154:155], v[142:143], v[184:185]
	v_add_f64_e32 v[160:161], v[146:147], v[144:145]
	v_add_f64_e32 v[148:149], v[148:149], v[152:153]
	ds_load_b128 v[4:7], v2 offset:1904
	ds_load_b128 v[144:147], v2 offset:1920
	v_fma_f64 v[140:141], v[140:141], v[184:185], -v[156:157]
	s_wait_loadcnt_dscnt 0x201
	v_mul_f64_e32 v[152:153], v[4:5], v[170:171]
	v_mul_f64_e32 v[162:163], v[6:7], v[170:171]
	v_add_f64_e32 v[142:143], v[160:161], v[158:159]
	v_add_f64_e32 v[148:149], v[148:149], v[150:151]
	s_wait_loadcnt_dscnt 0x100
	v_mul_f64_e32 v[150:151], v[144:145], v[10:11]
	v_mul_f64_e32 v[10:11], v[146:147], v[10:11]
	v_fmac_f64_e32 v[152:153], v[6:7], v[168:169]
	v_fma_f64 v[156:157], v[4:5], v[168:169], -v[162:163]
	ds_load_b128 v[4:7], v2 offset:1936
	v_add_f64_e32 v[140:141], v[142:143], v[140:141]
	v_add_f64_e32 v[142:143], v[148:149], v[154:155]
	v_fmac_f64_e32 v[150:151], v[146:147], v[8:9]
	v_fma_f64 v[8:9], v[144:145], v[8:9], -v[10:11]
	s_wait_loadcnt_dscnt 0x0
	v_mul_f64_e32 v[148:149], v[4:5], v[14:15]
	v_mul_f64_e32 v[14:15], v[6:7], v[14:15]
	v_add_f64_e32 v[10:11], v[140:141], v[156:157]
	v_add_f64_e32 v[140:141], v[142:143], v[152:153]
	s_delay_alu instid0(VALU_DEP_4) | instskip(NEXT) | instid1(VALU_DEP_4)
	v_fmac_f64_e32 v[148:149], v[6:7], v[12:13]
	v_fma_f64 v[4:5], v[4:5], v[12:13], -v[14:15]
	s_delay_alu instid0(VALU_DEP_4) | instskip(NEXT) | instid1(VALU_DEP_4)
	v_add_f64_e32 v[6:7], v[10:11], v[8:9]
	v_add_f64_e32 v[8:9], v[140:141], v[150:151]
	s_delay_alu instid0(VALU_DEP_2) | instskip(NEXT) | instid1(VALU_DEP_2)
	v_add_f64_e32 v[4:5], v[6:7], v[4:5]
	v_add_f64_e32 v[6:7], v[8:9], v[148:149]
	s_delay_alu instid0(VALU_DEP_2) | instskip(NEXT) | instid1(VALU_DEP_2)
	v_add_f64_e64 v[4:5], v[176:177], -v[4:5]
	v_add_f64_e64 v[6:7], v[178:179], -v[6:7]
	scratch_store_b128 off, v[4:7], off offset:528
	s_wait_xcnt 0x0
	v_cmpx_lt_u32_e32 32, v1
	s_cbranch_execz .LBB124_327
; %bb.326:
	scratch_load_b128 v[6:9], off, s47
	v_dual_mov_b32 v3, v2 :: v_dual_mov_b32 v4, v2
	v_mov_b32_e32 v5, v2
	scratch_store_b128 off, v[2:5], off offset:512
	s_wait_loadcnt 0x0
	ds_store_b128 v138, v[6:9]
.LBB124_327:
	s_wait_xcnt 0x0
	s_or_b32 exec_lo, exec_lo, s2
	s_wait_storecnt_dscnt 0x0
	s_barrier_signal -1
	s_barrier_wait -1
	s_clause 0x9
	scratch_load_b128 v[4:7], off, off offset:528
	scratch_load_b128 v[8:11], off, off offset:544
	;; [unrolled: 1-line block ×10, first 2 shown]
	ds_load_b128 v[168:171], v2 offset:1504
	ds_load_b128 v[176:179], v2 offset:1520
	s_clause 0x2
	scratch_load_b128 v[172:175], off, off offset:688
	scratch_load_b128 v[180:183], off, off offset:512
	;; [unrolled: 1-line block ×3, first 2 shown]
	s_mov_b32 s2, exec_lo
	s_wait_loadcnt_dscnt 0xc01
	v_mul_f64_e32 v[188:189], v[170:171], v[6:7]
	v_mul_f64_e32 v[192:193], v[168:169], v[6:7]
	s_wait_loadcnt_dscnt 0xb00
	v_mul_f64_e32 v[194:195], v[176:177], v[10:11]
	v_mul_f64_e32 v[10:11], v[178:179], v[10:11]
	s_delay_alu instid0(VALU_DEP_4) | instskip(NEXT) | instid1(VALU_DEP_4)
	v_fma_f64 v[196:197], v[168:169], v[4:5], -v[188:189]
	v_fmac_f64_e32 v[192:193], v[170:171], v[4:5]
	ds_load_b128 v[4:7], v2 offset:1536
	ds_load_b128 v[168:171], v2 offset:1552
	scratch_load_b128 v[188:191], off, off offset:720
	v_fmac_f64_e32 v[194:195], v[178:179], v[8:9]
	v_fma_f64 v[176:177], v[176:177], v[8:9], -v[10:11]
	scratch_load_b128 v[8:11], off, off offset:736
	s_wait_loadcnt_dscnt 0xc01
	v_mul_f64_e32 v[198:199], v[4:5], v[14:15]
	v_mul_f64_e32 v[14:15], v[6:7], v[14:15]
	v_add_f64_e32 v[178:179], 0, v[196:197]
	v_add_f64_e32 v[192:193], 0, v[192:193]
	s_wait_loadcnt_dscnt 0xb00
	v_mul_f64_e32 v[196:197], v[168:169], v[142:143]
	v_mul_f64_e32 v[142:143], v[170:171], v[142:143]
	v_fmac_f64_e32 v[198:199], v[6:7], v[12:13]
	v_fma_f64 v[200:201], v[4:5], v[12:13], -v[14:15]
	ds_load_b128 v[4:7], v2 offset:1568
	ds_load_b128 v[12:15], v2 offset:1584
	v_add_f64_e32 v[202:203], v[178:179], v[176:177]
	v_add_f64_e32 v[192:193], v[192:193], v[194:195]
	scratch_load_b128 v[176:179], off, off offset:752
	v_fmac_f64_e32 v[196:197], v[170:171], v[140:141]
	v_fma_f64 v[168:169], v[168:169], v[140:141], -v[142:143]
	scratch_load_b128 v[140:143], off, off offset:768
	s_wait_loadcnt_dscnt 0xc01
	v_mul_f64_e32 v[194:195], v[4:5], v[146:147]
	v_mul_f64_e32 v[146:147], v[6:7], v[146:147]
	v_add_f64_e32 v[170:171], v[202:203], v[200:201]
	v_add_f64_e32 v[192:193], v[192:193], v[198:199]
	s_wait_loadcnt_dscnt 0xb00
	v_mul_f64_e32 v[198:199], v[12:13], v[150:151]
	v_mul_f64_e32 v[150:151], v[14:15], v[150:151]
	v_fmac_f64_e32 v[194:195], v[6:7], v[144:145]
	v_fma_f64 v[200:201], v[4:5], v[144:145], -v[146:147]
	ds_load_b128 v[4:7], v2 offset:1600
	ds_load_b128 v[144:147], v2 offset:1616
	v_add_f64_e32 v[202:203], v[170:171], v[168:169]
	v_add_f64_e32 v[192:193], v[192:193], v[196:197]
	scratch_load_b128 v[168:171], off, off offset:784
	s_wait_loadcnt_dscnt 0xb01
	v_mul_f64_e32 v[196:197], v[4:5], v[154:155]
	v_mul_f64_e32 v[154:155], v[6:7], v[154:155]
	v_fmac_f64_e32 v[198:199], v[14:15], v[148:149]
	v_fma_f64 v[148:149], v[12:13], v[148:149], -v[150:151]
	scratch_load_b128 v[12:15], off, off offset:800
	v_add_f64_e32 v[150:151], v[202:203], v[200:201]
	v_add_f64_e32 v[192:193], v[192:193], v[194:195]
	s_wait_loadcnt_dscnt 0xb00
	v_mul_f64_e32 v[194:195], v[144:145], v[158:159]
	v_mul_f64_e32 v[158:159], v[146:147], v[158:159]
	v_fmac_f64_e32 v[196:197], v[6:7], v[152:153]
	v_fma_f64 v[200:201], v[4:5], v[152:153], -v[154:155]
	v_add_f64_e32 v[202:203], v[150:151], v[148:149]
	v_add_f64_e32 v[192:193], v[192:193], v[198:199]
	ds_load_b128 v[4:7], v2 offset:1632
	ds_load_b128 v[148:151], v2 offset:1648
	scratch_load_b128 v[152:155], off, off offset:816
	v_fmac_f64_e32 v[194:195], v[146:147], v[156:157]
	v_fma_f64 v[156:157], v[144:145], v[156:157], -v[158:159]
	scratch_load_b128 v[144:147], off, off offset:832
	s_wait_loadcnt_dscnt 0xc01
	v_mul_f64_e32 v[198:199], v[4:5], v[162:163]
	v_mul_f64_e32 v[162:163], v[6:7], v[162:163]
	v_add_f64_e32 v[158:159], v[202:203], v[200:201]
	v_add_f64_e32 v[192:193], v[192:193], v[196:197]
	s_wait_loadcnt_dscnt 0xb00
	v_mul_f64_e32 v[196:197], v[148:149], v[166:167]
	v_mul_f64_e32 v[166:167], v[150:151], v[166:167]
	v_fmac_f64_e32 v[198:199], v[6:7], v[160:161]
	v_fma_f64 v[200:201], v[4:5], v[160:161], -v[162:163]
	v_add_f64_e32 v[202:203], v[158:159], v[156:157]
	v_add_f64_e32 v[192:193], v[192:193], v[194:195]
	ds_load_b128 v[4:7], v2 offset:1664
	ds_load_b128 v[156:159], v2 offset:1680
	scratch_load_b128 v[160:163], off, off offset:848
	v_fmac_f64_e32 v[196:197], v[150:151], v[164:165]
	v_fma_f64 v[164:165], v[148:149], v[164:165], -v[166:167]
	scratch_load_b128 v[148:151], off, off offset:864
	s_wait_loadcnt_dscnt 0xc01
	v_mul_f64_e32 v[194:195], v[4:5], v[174:175]
	v_mul_f64_e32 v[174:175], v[6:7], v[174:175]
	;; [unrolled: 18-line block ×5, first 2 shown]
	v_add_f64_e32 v[186:187], v[202:203], v[200:201]
	v_add_f64_e32 v[192:193], v[192:193], v[198:199]
	s_wait_loadcnt_dscnt 0xa00
	v_mul_f64_e32 v[198:199], v[164:165], v[14:15]
	v_mul_f64_e32 v[14:15], v[166:167], v[14:15]
	v_fmac_f64_e32 v[194:195], v[6:7], v[168:169]
	v_fma_f64 v[200:201], v[4:5], v[168:169], -v[170:171]
	ds_load_b128 v[4:7], v2 offset:1792
	ds_load_b128 v[168:171], v2 offset:1808
	v_add_f64_e32 v[184:185], v[186:187], v[184:185]
	v_add_f64_e32 v[186:187], v[192:193], v[196:197]
	v_fmac_f64_e32 v[198:199], v[166:167], v[12:13]
	v_fma_f64 v[12:13], v[164:165], v[12:13], -v[14:15]
	s_wait_loadcnt_dscnt 0x901
	v_mul_f64_e32 v[192:193], v[4:5], v[154:155]
	v_mul_f64_e32 v[154:155], v[6:7], v[154:155]
	s_wait_loadcnt_dscnt 0x800
	v_mul_f64_e32 v[166:167], v[168:169], v[146:147]
	v_mul_f64_e32 v[146:147], v[170:171], v[146:147]
	v_add_f64_e32 v[14:15], v[184:185], v[200:201]
	v_add_f64_e32 v[164:165], v[186:187], v[194:195]
	v_fmac_f64_e32 v[192:193], v[6:7], v[152:153]
	v_fma_f64 v[152:153], v[4:5], v[152:153], -v[154:155]
	v_fmac_f64_e32 v[166:167], v[170:171], v[144:145]
	v_fma_f64 v[144:145], v[168:169], v[144:145], -v[146:147]
	v_add_f64_e32 v[154:155], v[14:15], v[12:13]
	v_add_f64_e32 v[164:165], v[164:165], v[198:199]
	ds_load_b128 v[4:7], v2 offset:1824
	ds_load_b128 v[12:15], v2 offset:1840
	s_wait_loadcnt_dscnt 0x701
	v_mul_f64_e32 v[184:185], v[4:5], v[162:163]
	v_mul_f64_e32 v[162:163], v[6:7], v[162:163]
	v_add_f64_e32 v[146:147], v[154:155], v[152:153]
	v_add_f64_e32 v[152:153], v[164:165], v[192:193]
	s_wait_loadcnt_dscnt 0x600
	v_mul_f64_e32 v[154:155], v[12:13], v[150:151]
	v_mul_f64_e32 v[150:151], v[14:15], v[150:151]
	v_fmac_f64_e32 v[184:185], v[6:7], v[160:161]
	v_fma_f64 v[160:161], v[4:5], v[160:161], -v[162:163]
	v_add_f64_e32 v[162:163], v[146:147], v[144:145]
	v_add_f64_e32 v[152:153], v[152:153], v[166:167]
	ds_load_b128 v[4:7], v2 offset:1856
	ds_load_b128 v[144:147], v2 offset:1872
	v_fmac_f64_e32 v[154:155], v[14:15], v[148:149]
	v_fma_f64 v[12:13], v[12:13], v[148:149], -v[150:151]
	s_wait_loadcnt_dscnt 0x501
	v_mul_f64_e32 v[164:165], v[4:5], v[174:175]
	v_mul_f64_e32 v[166:167], v[6:7], v[174:175]
	s_wait_loadcnt_dscnt 0x400
	v_mul_f64_e32 v[150:151], v[144:145], v[158:159]
	v_add_f64_e32 v[14:15], v[162:163], v[160:161]
	v_add_f64_e32 v[148:149], v[152:153], v[184:185]
	v_mul_f64_e32 v[152:153], v[146:147], v[158:159]
	v_fmac_f64_e32 v[164:165], v[6:7], v[172:173]
	v_fma_f64 v[158:159], v[4:5], v[172:173], -v[166:167]
	v_fmac_f64_e32 v[150:151], v[146:147], v[156:157]
	v_add_f64_e32 v[160:161], v[14:15], v[12:13]
	v_add_f64_e32 v[148:149], v[148:149], v[154:155]
	ds_load_b128 v[4:7], v2 offset:1888
	ds_load_b128 v[12:15], v2 offset:1904
	v_fma_f64 v[144:145], v[144:145], v[156:157], -v[152:153]
	s_wait_loadcnt_dscnt 0x301
	v_mul_f64_e32 v[154:155], v[4:5], v[190:191]
	v_mul_f64_e32 v[162:163], v[6:7], v[190:191]
	s_wait_loadcnt_dscnt 0x200
	v_mul_f64_e32 v[152:153], v[12:13], v[10:11]
	v_mul_f64_e32 v[10:11], v[14:15], v[10:11]
	v_add_f64_e32 v[146:147], v[160:161], v[158:159]
	v_add_f64_e32 v[148:149], v[148:149], v[164:165]
	v_fmac_f64_e32 v[154:155], v[6:7], v[188:189]
	v_fma_f64 v[156:157], v[4:5], v[188:189], -v[162:163]
	v_fmac_f64_e32 v[152:153], v[14:15], v[8:9]
	v_fma_f64 v[8:9], v[12:13], v[8:9], -v[10:11]
	v_add_f64_e32 v[158:159], v[146:147], v[144:145]
	v_add_f64_e32 v[148:149], v[148:149], v[150:151]
	ds_load_b128 v[4:7], v2 offset:1920
	ds_load_b128 v[144:147], v2 offset:1936
	s_wait_loadcnt_dscnt 0x101
	v_mul_f64_e32 v[2:3], v[4:5], v[178:179]
	v_mul_f64_e32 v[150:151], v[6:7], v[178:179]
	s_wait_loadcnt_dscnt 0x0
	v_mul_f64_e32 v[14:15], v[144:145], v[142:143]
	v_mul_f64_e32 v[142:143], v[146:147], v[142:143]
	v_add_f64_e32 v[10:11], v[158:159], v[156:157]
	v_add_f64_e32 v[12:13], v[148:149], v[154:155]
	v_fmac_f64_e32 v[2:3], v[6:7], v[176:177]
	v_fma_f64 v[4:5], v[4:5], v[176:177], -v[150:151]
	v_fmac_f64_e32 v[14:15], v[146:147], v[140:141]
	v_add_f64_e32 v[6:7], v[10:11], v[8:9]
	v_add_f64_e32 v[8:9], v[12:13], v[152:153]
	v_fma_f64 v[10:11], v[144:145], v[140:141], -v[142:143]
	s_delay_alu instid0(VALU_DEP_3) | instskip(NEXT) | instid1(VALU_DEP_3)
	v_add_f64_e32 v[4:5], v[6:7], v[4:5]
	v_add_f64_e32 v[2:3], v[8:9], v[2:3]
	s_delay_alu instid0(VALU_DEP_2) | instskip(NEXT) | instid1(VALU_DEP_2)
	v_add_f64_e32 v[4:5], v[4:5], v[10:11]
	v_add_f64_e32 v[6:7], v[2:3], v[14:15]
	s_delay_alu instid0(VALU_DEP_2) | instskip(NEXT) | instid1(VALU_DEP_2)
	v_add_f64_e64 v[2:3], v[180:181], -v[4:5]
	v_add_f64_e64 v[4:5], v[182:183], -v[6:7]
	scratch_store_b128 off, v[2:5], off offset:512
	s_wait_xcnt 0x0
	v_cmpx_lt_u32_e32 31, v1
	s_cbranch_execz .LBB124_329
; %bb.328:
	scratch_load_b128 v[2:5], off, s48
	v_mov_b32_e32 v6, 0
	s_delay_alu instid0(VALU_DEP_1)
	v_dual_mov_b32 v7, v6 :: v_dual_mov_b32 v8, v6
	v_mov_b32_e32 v9, v6
	scratch_store_b128 off, v[6:9], off offset:496
	s_wait_loadcnt 0x0
	ds_store_b128 v138, v[2:5]
.LBB124_329:
	s_wait_xcnt 0x0
	s_or_b32 exec_lo, exec_lo, s2
	s_wait_storecnt_dscnt 0x0
	s_barrier_signal -1
	s_barrier_wait -1
	s_clause 0x9
	scratch_load_b128 v[4:7], off, off offset:512
	scratch_load_b128 v[8:11], off, off offset:528
	;; [unrolled: 1-line block ×10, first 2 shown]
	v_mov_b32_e32 v2, 0
	s_mov_b32 s2, exec_lo
	ds_load_b128 v[168:171], v2 offset:1488
	s_clause 0x2
	scratch_load_b128 v[172:175], off, off offset:672
	scratch_load_b128 v[176:179], off, off offset:496
	;; [unrolled: 1-line block ×3, first 2 shown]
	s_wait_loadcnt_dscnt 0xc00
	v_mul_f64_e32 v[188:189], v[170:171], v[6:7]
	v_mul_f64_e32 v[192:193], v[168:169], v[6:7]
	ds_load_b128 v[180:183], v2 offset:1504
	v_fma_f64 v[196:197], v[168:169], v[4:5], -v[188:189]
	v_fmac_f64_e32 v[192:193], v[170:171], v[4:5]
	ds_load_b128 v[4:7], v2 offset:1520
	s_wait_loadcnt_dscnt 0xb01
	v_mul_f64_e32 v[194:195], v[180:181], v[10:11]
	v_mul_f64_e32 v[10:11], v[182:183], v[10:11]
	scratch_load_b128 v[168:171], off, off offset:704
	ds_load_b128 v[188:191], v2 offset:1536
	s_wait_loadcnt_dscnt 0xb01
	v_mul_f64_e32 v[198:199], v[4:5], v[14:15]
	v_mul_f64_e32 v[14:15], v[6:7], v[14:15]
	v_add_f64_e32 v[192:193], 0, v[192:193]
	v_fmac_f64_e32 v[194:195], v[182:183], v[8:9]
	v_fma_f64 v[180:181], v[180:181], v[8:9], -v[10:11]
	v_add_f64_e32 v[182:183], 0, v[196:197]
	scratch_load_b128 v[8:11], off, off offset:720
	v_fmac_f64_e32 v[198:199], v[6:7], v[12:13]
	v_fma_f64 v[200:201], v[4:5], v[12:13], -v[14:15]
	ds_load_b128 v[4:7], v2 offset:1552
	s_wait_loadcnt_dscnt 0xb01
	v_mul_f64_e32 v[196:197], v[188:189], v[142:143]
	v_mul_f64_e32 v[142:143], v[190:191], v[142:143]
	scratch_load_b128 v[12:15], off, off offset:736
	v_add_f64_e32 v[192:193], v[192:193], v[194:195]
	v_add_f64_e32 v[202:203], v[182:183], v[180:181]
	ds_load_b128 v[180:183], v2 offset:1568
	s_wait_loadcnt_dscnt 0xb01
	v_mul_f64_e32 v[194:195], v[4:5], v[146:147]
	v_mul_f64_e32 v[146:147], v[6:7], v[146:147]
	v_fmac_f64_e32 v[196:197], v[190:191], v[140:141]
	v_fma_f64 v[188:189], v[188:189], v[140:141], -v[142:143]
	scratch_load_b128 v[140:143], off, off offset:752
	v_add_f64_e32 v[192:193], v[192:193], v[198:199]
	v_add_f64_e32 v[190:191], v[202:203], v[200:201]
	v_fmac_f64_e32 v[194:195], v[6:7], v[144:145]
	v_fma_f64 v[200:201], v[4:5], v[144:145], -v[146:147]
	ds_load_b128 v[4:7], v2 offset:1584
	s_wait_loadcnt_dscnt 0xb01
	v_mul_f64_e32 v[198:199], v[180:181], v[150:151]
	v_mul_f64_e32 v[150:151], v[182:183], v[150:151]
	scratch_load_b128 v[144:147], off, off offset:768
	v_add_f64_e32 v[192:193], v[192:193], v[196:197]
	s_wait_loadcnt_dscnt 0xb00
	v_mul_f64_e32 v[196:197], v[4:5], v[154:155]
	v_add_f64_e32 v[202:203], v[190:191], v[188:189]
	v_mul_f64_e32 v[154:155], v[6:7], v[154:155]
	ds_load_b128 v[188:191], v2 offset:1600
	v_fmac_f64_e32 v[198:199], v[182:183], v[148:149]
	v_fma_f64 v[180:181], v[180:181], v[148:149], -v[150:151]
	scratch_load_b128 v[148:151], off, off offset:784
	v_add_f64_e32 v[192:193], v[192:193], v[194:195]
	v_fmac_f64_e32 v[196:197], v[6:7], v[152:153]
	v_add_f64_e32 v[182:183], v[202:203], v[200:201]
	v_fma_f64 v[200:201], v[4:5], v[152:153], -v[154:155]
	ds_load_b128 v[4:7], v2 offset:1616
	s_wait_loadcnt_dscnt 0xb01
	v_mul_f64_e32 v[194:195], v[188:189], v[158:159]
	v_mul_f64_e32 v[158:159], v[190:191], v[158:159]
	scratch_load_b128 v[152:155], off, off offset:800
	v_add_f64_e32 v[192:193], v[192:193], v[198:199]
	s_wait_loadcnt_dscnt 0xb00
	v_mul_f64_e32 v[198:199], v[4:5], v[162:163]
	v_add_f64_e32 v[202:203], v[182:183], v[180:181]
	v_mul_f64_e32 v[162:163], v[6:7], v[162:163]
	ds_load_b128 v[180:183], v2 offset:1632
	v_fmac_f64_e32 v[194:195], v[190:191], v[156:157]
	v_fma_f64 v[188:189], v[188:189], v[156:157], -v[158:159]
	scratch_load_b128 v[156:159], off, off offset:816
	v_add_f64_e32 v[192:193], v[192:193], v[196:197]
	v_fmac_f64_e32 v[198:199], v[6:7], v[160:161]
	v_add_f64_e32 v[190:191], v[202:203], v[200:201]
	;; [unrolled: 18-line block ×3, first 2 shown]
	v_fma_f64 v[200:201], v[4:5], v[172:173], -v[174:175]
	ds_load_b128 v[4:7], v2 offset:1680
	s_wait_loadcnt_dscnt 0xa01
	v_mul_f64_e32 v[198:199], v[188:189], v[186:187]
	v_mul_f64_e32 v[186:187], v[190:191], v[186:187]
	scratch_load_b128 v[172:175], off, off offset:864
	v_add_f64_e32 v[192:193], v[192:193], v[196:197]
	v_add_f64_e32 v[202:203], v[182:183], v[180:181]
	s_wait_loadcnt_dscnt 0xa00
	v_mul_f64_e32 v[196:197], v[4:5], v[170:171]
	v_mul_f64_e32 v[170:171], v[6:7], v[170:171]
	v_fmac_f64_e32 v[198:199], v[190:191], v[184:185]
	v_fma_f64 v[188:189], v[188:189], v[184:185], -v[186:187]
	ds_load_b128 v[180:183], v2 offset:1696
	scratch_load_b128 v[184:187], off, off offset:880
	v_add_f64_e32 v[192:193], v[192:193], v[194:195]
	v_add_f64_e32 v[190:191], v[202:203], v[200:201]
	v_fmac_f64_e32 v[196:197], v[6:7], v[168:169]
	v_fma_f64 v[200:201], v[4:5], v[168:169], -v[170:171]
	ds_load_b128 v[4:7], v2 offset:1712
	s_wait_loadcnt_dscnt 0xa01
	v_mul_f64_e32 v[194:195], v[180:181], v[10:11]
	v_mul_f64_e32 v[10:11], v[182:183], v[10:11]
	scratch_load_b128 v[168:171], off, off offset:896
	v_add_f64_e32 v[192:193], v[192:193], v[198:199]
	s_wait_loadcnt_dscnt 0xa00
	v_mul_f64_e32 v[198:199], v[4:5], v[14:15]
	v_add_f64_e32 v[202:203], v[190:191], v[188:189]
	v_mul_f64_e32 v[14:15], v[6:7], v[14:15]
	ds_load_b128 v[188:191], v2 offset:1728
	v_fmac_f64_e32 v[194:195], v[182:183], v[8:9]
	v_fma_f64 v[180:181], v[180:181], v[8:9], -v[10:11]
	scratch_load_b128 v[8:11], off, off offset:912
	v_add_f64_e32 v[192:193], v[192:193], v[196:197]
	v_fmac_f64_e32 v[198:199], v[6:7], v[12:13]
	v_add_f64_e32 v[182:183], v[202:203], v[200:201]
	v_fma_f64 v[200:201], v[4:5], v[12:13], -v[14:15]
	ds_load_b128 v[4:7], v2 offset:1744
	s_wait_loadcnt_dscnt 0xa01
	v_mul_f64_e32 v[196:197], v[188:189], v[142:143]
	v_mul_f64_e32 v[142:143], v[190:191], v[142:143]
	scratch_load_b128 v[12:15], off, off offset:928
	v_add_f64_e32 v[192:193], v[192:193], v[194:195]
	s_wait_loadcnt_dscnt 0xa00
	v_mul_f64_e32 v[194:195], v[4:5], v[146:147]
	v_add_f64_e32 v[202:203], v[182:183], v[180:181]
	v_mul_f64_e32 v[146:147], v[6:7], v[146:147]
	ds_load_b128 v[180:183], v2 offset:1760
	v_fmac_f64_e32 v[196:197], v[190:191], v[140:141]
	v_fma_f64 v[188:189], v[188:189], v[140:141], -v[142:143]
	scratch_load_b128 v[140:143], off, off offset:944
	v_add_f64_e32 v[192:193], v[192:193], v[198:199]
	v_fmac_f64_e32 v[194:195], v[6:7], v[144:145]
	v_add_f64_e32 v[190:191], v[202:203], v[200:201]
	v_fma_f64 v[200:201], v[4:5], v[144:145], -v[146:147]
	ds_load_b128 v[4:7], v2 offset:1776
	s_wait_loadcnt_dscnt 0xa01
	v_mul_f64_e32 v[198:199], v[180:181], v[150:151]
	v_mul_f64_e32 v[150:151], v[182:183], v[150:151]
	scratch_load_b128 v[144:147], off, off offset:960
	v_add_f64_e32 v[192:193], v[192:193], v[196:197]
	s_wait_loadcnt_dscnt 0xa00
	v_mul_f64_e32 v[196:197], v[4:5], v[154:155]
	v_add_f64_e32 v[202:203], v[190:191], v[188:189]
	v_mul_f64_e32 v[154:155], v[6:7], v[154:155]
	ds_load_b128 v[188:191], v2 offset:1792
	v_fmac_f64_e32 v[198:199], v[182:183], v[148:149]
	v_fma_f64 v[148:149], v[180:181], v[148:149], -v[150:151]
	s_wait_loadcnt_dscnt 0x900
	v_mul_f64_e32 v[182:183], v[188:189], v[158:159]
	v_mul_f64_e32 v[158:159], v[190:191], v[158:159]
	v_add_f64_e32 v[180:181], v[192:193], v[194:195]
	v_fmac_f64_e32 v[196:197], v[6:7], v[152:153]
	v_add_f64_e32 v[150:151], v[202:203], v[200:201]
	v_fma_f64 v[152:153], v[4:5], v[152:153], -v[154:155]
	v_fmac_f64_e32 v[182:183], v[190:191], v[156:157]
	v_fma_f64 v[156:157], v[188:189], v[156:157], -v[158:159]
	v_add_f64_e32 v[180:181], v[180:181], v[198:199]
	v_add_f64_e32 v[154:155], v[150:151], v[148:149]
	ds_load_b128 v[4:7], v2 offset:1808
	ds_load_b128 v[148:151], v2 offset:1824
	s_wait_loadcnt_dscnt 0x801
	v_mul_f64_e32 v[192:193], v[4:5], v[162:163]
	v_mul_f64_e32 v[162:163], v[6:7], v[162:163]
	s_wait_loadcnt_dscnt 0x700
	v_mul_f64_e32 v[158:159], v[148:149], v[166:167]
	v_mul_f64_e32 v[166:167], v[150:151], v[166:167]
	v_add_f64_e32 v[152:153], v[154:155], v[152:153]
	v_add_f64_e32 v[154:155], v[180:181], v[196:197]
	v_fmac_f64_e32 v[192:193], v[6:7], v[160:161]
	v_fma_f64 v[160:161], v[4:5], v[160:161], -v[162:163]
	v_fmac_f64_e32 v[158:159], v[150:151], v[164:165]
	v_fma_f64 v[148:149], v[148:149], v[164:165], -v[166:167]
	v_add_f64_e32 v[156:157], v[152:153], v[156:157]
	v_add_f64_e32 v[162:163], v[154:155], v[182:183]
	ds_load_b128 v[4:7], v2 offset:1840
	ds_load_b128 v[152:155], v2 offset:1856
	s_wait_loadcnt_dscnt 0x601
	v_mul_f64_e32 v[180:181], v[4:5], v[174:175]
	v_mul_f64_e32 v[174:175], v[6:7], v[174:175]
	v_add_f64_e32 v[150:151], v[156:157], v[160:161]
	v_add_f64_e32 v[156:157], v[162:163], v[192:193]
	s_wait_loadcnt_dscnt 0x500
	v_mul_f64_e32 v[160:161], v[152:153], v[186:187]
	v_mul_f64_e32 v[162:163], v[154:155], v[186:187]
	v_fmac_f64_e32 v[180:181], v[6:7], v[172:173]
	v_fma_f64 v[164:165], v[4:5], v[172:173], -v[174:175]
	v_add_f64_e32 v[166:167], v[150:151], v[148:149]
	v_add_f64_e32 v[156:157], v[156:157], v[158:159]
	ds_load_b128 v[4:7], v2 offset:1872
	ds_load_b128 v[148:151], v2 offset:1888
	v_fmac_f64_e32 v[160:161], v[154:155], v[184:185]
	v_fma_f64 v[152:153], v[152:153], v[184:185], -v[162:163]
	s_wait_loadcnt_dscnt 0x401
	v_mul_f64_e32 v[158:159], v[4:5], v[170:171]
	v_mul_f64_e32 v[170:171], v[6:7], v[170:171]
	s_wait_loadcnt_dscnt 0x300
	v_mul_f64_e32 v[162:163], v[148:149], v[10:11]
	v_mul_f64_e32 v[10:11], v[150:151], v[10:11]
	v_add_f64_e32 v[154:155], v[166:167], v[164:165]
	v_add_f64_e32 v[156:157], v[156:157], v[180:181]
	v_fmac_f64_e32 v[158:159], v[6:7], v[168:169]
	v_fma_f64 v[164:165], v[4:5], v[168:169], -v[170:171]
	v_fmac_f64_e32 v[162:163], v[150:151], v[8:9]
	v_fma_f64 v[8:9], v[148:149], v[8:9], -v[10:11]
	v_add_f64_e32 v[166:167], v[154:155], v[152:153]
	v_add_f64_e32 v[156:157], v[156:157], v[160:161]
	ds_load_b128 v[4:7], v2 offset:1904
	ds_load_b128 v[152:155], v2 offset:1920
	s_wait_loadcnt_dscnt 0x201
	v_mul_f64_e32 v[160:161], v[4:5], v[14:15]
	v_mul_f64_e32 v[14:15], v[6:7], v[14:15]
	s_wait_loadcnt_dscnt 0x100
	v_mul_f64_e32 v[150:151], v[152:153], v[142:143]
	v_mul_f64_e32 v[142:143], v[154:155], v[142:143]
	v_add_f64_e32 v[10:11], v[166:167], v[164:165]
	v_add_f64_e32 v[148:149], v[156:157], v[158:159]
	v_fmac_f64_e32 v[160:161], v[6:7], v[12:13]
	v_fma_f64 v[12:13], v[4:5], v[12:13], -v[14:15]
	ds_load_b128 v[4:7], v2 offset:1936
	v_fmac_f64_e32 v[150:151], v[154:155], v[140:141]
	v_fma_f64 v[140:141], v[152:153], v[140:141], -v[142:143]
	v_add_f64_e32 v[8:9], v[10:11], v[8:9]
	v_add_f64_e32 v[10:11], v[148:149], v[162:163]
	s_wait_loadcnt_dscnt 0x0
	v_mul_f64_e32 v[14:15], v[4:5], v[146:147]
	v_mul_f64_e32 v[146:147], v[6:7], v[146:147]
	s_delay_alu instid0(VALU_DEP_4) | instskip(NEXT) | instid1(VALU_DEP_4)
	v_add_f64_e32 v[8:9], v[8:9], v[12:13]
	v_add_f64_e32 v[10:11], v[10:11], v[160:161]
	s_delay_alu instid0(VALU_DEP_4) | instskip(NEXT) | instid1(VALU_DEP_4)
	v_fmac_f64_e32 v[14:15], v[6:7], v[144:145]
	v_fma_f64 v[4:5], v[4:5], v[144:145], -v[146:147]
	s_delay_alu instid0(VALU_DEP_4) | instskip(NEXT) | instid1(VALU_DEP_4)
	v_add_f64_e32 v[6:7], v[8:9], v[140:141]
	v_add_f64_e32 v[8:9], v[10:11], v[150:151]
	s_delay_alu instid0(VALU_DEP_2) | instskip(NEXT) | instid1(VALU_DEP_2)
	v_add_f64_e32 v[4:5], v[6:7], v[4:5]
	v_add_f64_e32 v[6:7], v[8:9], v[14:15]
	s_delay_alu instid0(VALU_DEP_2) | instskip(NEXT) | instid1(VALU_DEP_2)
	v_add_f64_e64 v[4:5], v[176:177], -v[4:5]
	v_add_f64_e64 v[6:7], v[178:179], -v[6:7]
	scratch_store_b128 off, v[4:7], off offset:496
	s_wait_xcnt 0x0
	v_cmpx_lt_u32_e32 30, v1
	s_cbranch_execz .LBB124_331
; %bb.330:
	scratch_load_b128 v[6:9], off, s49
	v_dual_mov_b32 v3, v2 :: v_dual_mov_b32 v4, v2
	v_mov_b32_e32 v5, v2
	scratch_store_b128 off, v[2:5], off offset:480
	s_wait_loadcnt 0x0
	ds_store_b128 v138, v[6:9]
.LBB124_331:
	s_wait_xcnt 0x0
	s_or_b32 exec_lo, exec_lo, s2
	s_wait_storecnt_dscnt 0x0
	s_barrier_signal -1
	s_barrier_wait -1
	s_clause 0x9
	scratch_load_b128 v[4:7], off, off offset:496
	scratch_load_b128 v[8:11], off, off offset:512
	;; [unrolled: 1-line block ×10, first 2 shown]
	ds_load_b128 v[168:171], v2 offset:1472
	ds_load_b128 v[176:179], v2 offset:1488
	s_clause 0x2
	scratch_load_b128 v[172:175], off, off offset:656
	scratch_load_b128 v[180:183], off, off offset:480
	;; [unrolled: 1-line block ×3, first 2 shown]
	s_mov_b32 s2, exec_lo
	s_wait_loadcnt_dscnt 0xc01
	v_mul_f64_e32 v[188:189], v[170:171], v[6:7]
	v_mul_f64_e32 v[192:193], v[168:169], v[6:7]
	s_wait_loadcnt_dscnt 0xb00
	v_mul_f64_e32 v[194:195], v[176:177], v[10:11]
	v_mul_f64_e32 v[10:11], v[178:179], v[10:11]
	s_delay_alu instid0(VALU_DEP_4) | instskip(NEXT) | instid1(VALU_DEP_4)
	v_fma_f64 v[196:197], v[168:169], v[4:5], -v[188:189]
	v_fmac_f64_e32 v[192:193], v[170:171], v[4:5]
	ds_load_b128 v[4:7], v2 offset:1504
	ds_load_b128 v[168:171], v2 offset:1520
	scratch_load_b128 v[188:191], off, off offset:688
	v_fmac_f64_e32 v[194:195], v[178:179], v[8:9]
	v_fma_f64 v[176:177], v[176:177], v[8:9], -v[10:11]
	scratch_load_b128 v[8:11], off, off offset:704
	s_wait_loadcnt_dscnt 0xc01
	v_mul_f64_e32 v[198:199], v[4:5], v[14:15]
	v_mul_f64_e32 v[14:15], v[6:7], v[14:15]
	v_add_f64_e32 v[178:179], 0, v[196:197]
	v_add_f64_e32 v[192:193], 0, v[192:193]
	s_wait_loadcnt_dscnt 0xb00
	v_mul_f64_e32 v[196:197], v[168:169], v[142:143]
	v_mul_f64_e32 v[142:143], v[170:171], v[142:143]
	v_fmac_f64_e32 v[198:199], v[6:7], v[12:13]
	v_fma_f64 v[200:201], v[4:5], v[12:13], -v[14:15]
	ds_load_b128 v[4:7], v2 offset:1536
	ds_load_b128 v[12:15], v2 offset:1552
	v_add_f64_e32 v[202:203], v[178:179], v[176:177]
	v_add_f64_e32 v[192:193], v[192:193], v[194:195]
	scratch_load_b128 v[176:179], off, off offset:720
	v_fmac_f64_e32 v[196:197], v[170:171], v[140:141]
	v_fma_f64 v[168:169], v[168:169], v[140:141], -v[142:143]
	scratch_load_b128 v[140:143], off, off offset:736
	s_wait_loadcnt_dscnt 0xc01
	v_mul_f64_e32 v[194:195], v[4:5], v[146:147]
	v_mul_f64_e32 v[146:147], v[6:7], v[146:147]
	v_add_f64_e32 v[170:171], v[202:203], v[200:201]
	v_add_f64_e32 v[192:193], v[192:193], v[198:199]
	s_wait_loadcnt_dscnt 0xb00
	v_mul_f64_e32 v[198:199], v[12:13], v[150:151]
	v_mul_f64_e32 v[150:151], v[14:15], v[150:151]
	v_fmac_f64_e32 v[194:195], v[6:7], v[144:145]
	v_fma_f64 v[200:201], v[4:5], v[144:145], -v[146:147]
	ds_load_b128 v[4:7], v2 offset:1568
	ds_load_b128 v[144:147], v2 offset:1584
	v_add_f64_e32 v[202:203], v[170:171], v[168:169]
	v_add_f64_e32 v[192:193], v[192:193], v[196:197]
	scratch_load_b128 v[168:171], off, off offset:752
	s_wait_loadcnt_dscnt 0xb01
	v_mul_f64_e32 v[196:197], v[4:5], v[154:155]
	v_mul_f64_e32 v[154:155], v[6:7], v[154:155]
	v_fmac_f64_e32 v[198:199], v[14:15], v[148:149]
	v_fma_f64 v[148:149], v[12:13], v[148:149], -v[150:151]
	scratch_load_b128 v[12:15], off, off offset:768
	v_add_f64_e32 v[150:151], v[202:203], v[200:201]
	v_add_f64_e32 v[192:193], v[192:193], v[194:195]
	s_wait_loadcnt_dscnt 0xb00
	v_mul_f64_e32 v[194:195], v[144:145], v[158:159]
	v_mul_f64_e32 v[158:159], v[146:147], v[158:159]
	v_fmac_f64_e32 v[196:197], v[6:7], v[152:153]
	v_fma_f64 v[200:201], v[4:5], v[152:153], -v[154:155]
	v_add_f64_e32 v[202:203], v[150:151], v[148:149]
	v_add_f64_e32 v[192:193], v[192:193], v[198:199]
	ds_load_b128 v[4:7], v2 offset:1600
	ds_load_b128 v[148:151], v2 offset:1616
	scratch_load_b128 v[152:155], off, off offset:784
	v_fmac_f64_e32 v[194:195], v[146:147], v[156:157]
	v_fma_f64 v[156:157], v[144:145], v[156:157], -v[158:159]
	scratch_load_b128 v[144:147], off, off offset:800
	s_wait_loadcnt_dscnt 0xc01
	v_mul_f64_e32 v[198:199], v[4:5], v[162:163]
	v_mul_f64_e32 v[162:163], v[6:7], v[162:163]
	v_add_f64_e32 v[158:159], v[202:203], v[200:201]
	v_add_f64_e32 v[192:193], v[192:193], v[196:197]
	s_wait_loadcnt_dscnt 0xb00
	v_mul_f64_e32 v[196:197], v[148:149], v[166:167]
	v_mul_f64_e32 v[166:167], v[150:151], v[166:167]
	v_fmac_f64_e32 v[198:199], v[6:7], v[160:161]
	v_fma_f64 v[200:201], v[4:5], v[160:161], -v[162:163]
	v_add_f64_e32 v[202:203], v[158:159], v[156:157]
	v_add_f64_e32 v[192:193], v[192:193], v[194:195]
	ds_load_b128 v[4:7], v2 offset:1632
	ds_load_b128 v[156:159], v2 offset:1648
	scratch_load_b128 v[160:163], off, off offset:816
	v_fmac_f64_e32 v[196:197], v[150:151], v[164:165]
	v_fma_f64 v[164:165], v[148:149], v[164:165], -v[166:167]
	scratch_load_b128 v[148:151], off, off offset:832
	s_wait_loadcnt_dscnt 0xc01
	v_mul_f64_e32 v[194:195], v[4:5], v[174:175]
	v_mul_f64_e32 v[174:175], v[6:7], v[174:175]
	;; [unrolled: 18-line block ×5, first 2 shown]
	v_add_f64_e32 v[186:187], v[202:203], v[200:201]
	v_add_f64_e32 v[192:193], v[192:193], v[198:199]
	s_wait_loadcnt_dscnt 0xa00
	v_mul_f64_e32 v[198:199], v[164:165], v[14:15]
	v_mul_f64_e32 v[14:15], v[166:167], v[14:15]
	v_fmac_f64_e32 v[194:195], v[6:7], v[168:169]
	v_fma_f64 v[200:201], v[4:5], v[168:169], -v[170:171]
	ds_load_b128 v[4:7], v2 offset:1760
	ds_load_b128 v[168:171], v2 offset:1776
	v_add_f64_e32 v[202:203], v[186:187], v[184:185]
	v_add_f64_e32 v[192:193], v[192:193], v[196:197]
	scratch_load_b128 v[184:187], off, off offset:944
	v_fmac_f64_e32 v[198:199], v[166:167], v[12:13]
	v_fma_f64 v[164:165], v[164:165], v[12:13], -v[14:15]
	scratch_load_b128 v[12:15], off, off offset:960
	s_wait_loadcnt_dscnt 0xb01
	v_mul_f64_e32 v[196:197], v[4:5], v[154:155]
	v_mul_f64_e32 v[154:155], v[6:7], v[154:155]
	v_add_f64_e32 v[166:167], v[202:203], v[200:201]
	v_add_f64_e32 v[192:193], v[192:193], v[194:195]
	s_wait_loadcnt_dscnt 0xa00
	v_mul_f64_e32 v[194:195], v[168:169], v[146:147]
	v_mul_f64_e32 v[146:147], v[170:171], v[146:147]
	v_fmac_f64_e32 v[196:197], v[6:7], v[152:153]
	v_fma_f64 v[200:201], v[4:5], v[152:153], -v[154:155]
	ds_load_b128 v[4:7], v2 offset:1792
	ds_load_b128 v[152:155], v2 offset:1808
	v_add_f64_e32 v[164:165], v[166:167], v[164:165]
	v_add_f64_e32 v[166:167], v[192:193], v[198:199]
	v_fmac_f64_e32 v[194:195], v[170:171], v[144:145]
	s_wait_loadcnt_dscnt 0x901
	v_mul_f64_e32 v[192:193], v[4:5], v[162:163]
	v_mul_f64_e32 v[162:163], v[6:7], v[162:163]
	v_fma_f64 v[144:145], v[168:169], v[144:145], -v[146:147]
	v_add_f64_e32 v[146:147], v[164:165], v[200:201]
	v_add_f64_e32 v[164:165], v[166:167], v[196:197]
	s_wait_loadcnt_dscnt 0x800
	v_mul_f64_e32 v[166:167], v[152:153], v[150:151]
	v_mul_f64_e32 v[150:151], v[154:155], v[150:151]
	v_fmac_f64_e32 v[192:193], v[6:7], v[160:161]
	v_fma_f64 v[160:161], v[4:5], v[160:161], -v[162:163]
	v_add_f64_e32 v[162:163], v[146:147], v[144:145]
	v_add_f64_e32 v[164:165], v[164:165], v[194:195]
	ds_load_b128 v[4:7], v2 offset:1824
	ds_load_b128 v[144:147], v2 offset:1840
	v_fmac_f64_e32 v[166:167], v[154:155], v[148:149]
	v_fma_f64 v[148:149], v[152:153], v[148:149], -v[150:151]
	s_wait_loadcnt_dscnt 0x701
	v_mul_f64_e32 v[168:169], v[4:5], v[174:175]
	v_mul_f64_e32 v[170:171], v[6:7], v[174:175]
	s_wait_loadcnt_dscnt 0x600
	v_mul_f64_e32 v[154:155], v[144:145], v[158:159]
	v_mul_f64_e32 v[158:159], v[146:147], v[158:159]
	v_add_f64_e32 v[150:151], v[162:163], v[160:161]
	v_add_f64_e32 v[152:153], v[164:165], v[192:193]
	v_fmac_f64_e32 v[168:169], v[6:7], v[172:173]
	v_fma_f64 v[160:161], v[4:5], v[172:173], -v[170:171]
	v_fmac_f64_e32 v[154:155], v[146:147], v[156:157]
	v_fma_f64 v[144:145], v[144:145], v[156:157], -v[158:159]
	v_add_f64_e32 v[162:163], v[150:151], v[148:149]
	v_add_f64_e32 v[152:153], v[152:153], v[166:167]
	ds_load_b128 v[4:7], v2 offset:1856
	ds_load_b128 v[148:151], v2 offset:1872
	s_wait_loadcnt_dscnt 0x501
	v_mul_f64_e32 v[164:165], v[4:5], v[190:191]
	v_mul_f64_e32 v[166:167], v[6:7], v[190:191]
	s_wait_loadcnt_dscnt 0x400
	v_mul_f64_e32 v[156:157], v[148:149], v[10:11]
	v_mul_f64_e32 v[10:11], v[150:151], v[10:11]
	v_add_f64_e32 v[146:147], v[162:163], v[160:161]
	v_add_f64_e32 v[152:153], v[152:153], v[168:169]
	v_fmac_f64_e32 v[164:165], v[6:7], v[188:189]
	v_fma_f64 v[158:159], v[4:5], v[188:189], -v[166:167]
	v_fmac_f64_e32 v[156:157], v[150:151], v[8:9]
	v_fma_f64 v[8:9], v[148:149], v[8:9], -v[10:11]
	v_add_f64_e32 v[160:161], v[146:147], v[144:145]
	v_add_f64_e32 v[152:153], v[152:153], v[154:155]
	ds_load_b128 v[4:7], v2 offset:1888
	ds_load_b128 v[144:147], v2 offset:1904
	s_wait_loadcnt_dscnt 0x301
	v_mul_f64_e32 v[154:155], v[4:5], v[178:179]
	v_mul_f64_e32 v[162:163], v[6:7], v[178:179]
	s_wait_loadcnt_dscnt 0x200
	v_mul_f64_e32 v[150:151], v[144:145], v[142:143]
	v_mul_f64_e32 v[142:143], v[146:147], v[142:143]
	v_add_f64_e32 v[10:11], v[160:161], v[158:159]
	v_add_f64_e32 v[148:149], v[152:153], v[164:165]
	v_fmac_f64_e32 v[154:155], v[6:7], v[176:177]
	v_fma_f64 v[152:153], v[4:5], v[176:177], -v[162:163]
	v_fmac_f64_e32 v[150:151], v[146:147], v[140:141]
	v_fma_f64 v[140:141], v[144:145], v[140:141], -v[142:143]
	v_add_f64_e32 v[158:159], v[10:11], v[8:9]
	v_add_f64_e32 v[148:149], v[148:149], v[156:157]
	ds_load_b128 v[4:7], v2 offset:1920
	ds_load_b128 v[8:11], v2 offset:1936
	s_wait_loadcnt_dscnt 0x101
	v_mul_f64_e32 v[2:3], v[4:5], v[186:187]
	v_mul_f64_e32 v[156:157], v[6:7], v[186:187]
	s_wait_loadcnt_dscnt 0x0
	v_mul_f64_e32 v[146:147], v[8:9], v[14:15]
	v_mul_f64_e32 v[14:15], v[10:11], v[14:15]
	v_add_f64_e32 v[142:143], v[158:159], v[152:153]
	v_add_f64_e32 v[144:145], v[148:149], v[154:155]
	v_fmac_f64_e32 v[2:3], v[6:7], v[184:185]
	v_fma_f64 v[4:5], v[4:5], v[184:185], -v[156:157]
	v_fmac_f64_e32 v[146:147], v[10:11], v[12:13]
	v_fma_f64 v[8:9], v[8:9], v[12:13], -v[14:15]
	v_add_f64_e32 v[6:7], v[142:143], v[140:141]
	v_add_f64_e32 v[140:141], v[144:145], v[150:151]
	s_delay_alu instid0(VALU_DEP_2) | instskip(NEXT) | instid1(VALU_DEP_2)
	v_add_f64_e32 v[4:5], v[6:7], v[4:5]
	v_add_f64_e32 v[2:3], v[140:141], v[2:3]
	s_delay_alu instid0(VALU_DEP_2) | instskip(NEXT) | instid1(VALU_DEP_2)
	;; [unrolled: 3-line block ×3, first 2 shown]
	v_add_f64_e64 v[2:3], v[180:181], -v[4:5]
	v_add_f64_e64 v[4:5], v[182:183], -v[6:7]
	scratch_store_b128 off, v[2:5], off offset:480
	s_wait_xcnt 0x0
	v_cmpx_lt_u32_e32 29, v1
	s_cbranch_execz .LBB124_333
; %bb.332:
	scratch_load_b128 v[2:5], off, s50
	v_mov_b32_e32 v6, 0
	s_delay_alu instid0(VALU_DEP_1)
	v_dual_mov_b32 v7, v6 :: v_dual_mov_b32 v8, v6
	v_mov_b32_e32 v9, v6
	scratch_store_b128 off, v[6:9], off offset:464
	s_wait_loadcnt 0x0
	ds_store_b128 v138, v[2:5]
.LBB124_333:
	s_wait_xcnt 0x0
	s_or_b32 exec_lo, exec_lo, s2
	s_wait_storecnt_dscnt 0x0
	s_barrier_signal -1
	s_barrier_wait -1
	s_clause 0x9
	scratch_load_b128 v[4:7], off, off offset:480
	scratch_load_b128 v[8:11], off, off offset:496
	;; [unrolled: 1-line block ×10, first 2 shown]
	v_mov_b32_e32 v2, 0
	s_mov_b32 s2, exec_lo
	ds_load_b128 v[168:171], v2 offset:1456
	s_clause 0x2
	scratch_load_b128 v[172:175], off, off offset:640
	scratch_load_b128 v[176:179], off, off offset:464
	;; [unrolled: 1-line block ×3, first 2 shown]
	s_wait_loadcnt_dscnt 0xc00
	v_mul_f64_e32 v[188:189], v[170:171], v[6:7]
	v_mul_f64_e32 v[192:193], v[168:169], v[6:7]
	ds_load_b128 v[180:183], v2 offset:1472
	v_fma_f64 v[196:197], v[168:169], v[4:5], -v[188:189]
	v_fmac_f64_e32 v[192:193], v[170:171], v[4:5]
	ds_load_b128 v[4:7], v2 offset:1488
	s_wait_loadcnt_dscnt 0xb01
	v_mul_f64_e32 v[194:195], v[180:181], v[10:11]
	v_mul_f64_e32 v[10:11], v[182:183], v[10:11]
	scratch_load_b128 v[168:171], off, off offset:672
	ds_load_b128 v[188:191], v2 offset:1504
	s_wait_loadcnt_dscnt 0xb01
	v_mul_f64_e32 v[198:199], v[4:5], v[14:15]
	v_mul_f64_e32 v[14:15], v[6:7], v[14:15]
	v_add_f64_e32 v[192:193], 0, v[192:193]
	v_fmac_f64_e32 v[194:195], v[182:183], v[8:9]
	v_fma_f64 v[180:181], v[180:181], v[8:9], -v[10:11]
	v_add_f64_e32 v[182:183], 0, v[196:197]
	scratch_load_b128 v[8:11], off, off offset:688
	v_fmac_f64_e32 v[198:199], v[6:7], v[12:13]
	v_fma_f64 v[200:201], v[4:5], v[12:13], -v[14:15]
	ds_load_b128 v[4:7], v2 offset:1520
	s_wait_loadcnt_dscnt 0xb01
	v_mul_f64_e32 v[196:197], v[188:189], v[142:143]
	v_mul_f64_e32 v[142:143], v[190:191], v[142:143]
	scratch_load_b128 v[12:15], off, off offset:704
	v_add_f64_e32 v[192:193], v[192:193], v[194:195]
	v_add_f64_e32 v[202:203], v[182:183], v[180:181]
	ds_load_b128 v[180:183], v2 offset:1536
	s_wait_loadcnt_dscnt 0xb01
	v_mul_f64_e32 v[194:195], v[4:5], v[146:147]
	v_mul_f64_e32 v[146:147], v[6:7], v[146:147]
	v_fmac_f64_e32 v[196:197], v[190:191], v[140:141]
	v_fma_f64 v[188:189], v[188:189], v[140:141], -v[142:143]
	scratch_load_b128 v[140:143], off, off offset:720
	v_add_f64_e32 v[192:193], v[192:193], v[198:199]
	v_add_f64_e32 v[190:191], v[202:203], v[200:201]
	v_fmac_f64_e32 v[194:195], v[6:7], v[144:145]
	v_fma_f64 v[200:201], v[4:5], v[144:145], -v[146:147]
	ds_load_b128 v[4:7], v2 offset:1552
	s_wait_loadcnt_dscnt 0xb01
	v_mul_f64_e32 v[198:199], v[180:181], v[150:151]
	v_mul_f64_e32 v[150:151], v[182:183], v[150:151]
	scratch_load_b128 v[144:147], off, off offset:736
	v_add_f64_e32 v[192:193], v[192:193], v[196:197]
	s_wait_loadcnt_dscnt 0xb00
	v_mul_f64_e32 v[196:197], v[4:5], v[154:155]
	v_add_f64_e32 v[202:203], v[190:191], v[188:189]
	v_mul_f64_e32 v[154:155], v[6:7], v[154:155]
	ds_load_b128 v[188:191], v2 offset:1568
	v_fmac_f64_e32 v[198:199], v[182:183], v[148:149]
	v_fma_f64 v[180:181], v[180:181], v[148:149], -v[150:151]
	scratch_load_b128 v[148:151], off, off offset:752
	v_add_f64_e32 v[192:193], v[192:193], v[194:195]
	v_fmac_f64_e32 v[196:197], v[6:7], v[152:153]
	v_add_f64_e32 v[182:183], v[202:203], v[200:201]
	v_fma_f64 v[200:201], v[4:5], v[152:153], -v[154:155]
	ds_load_b128 v[4:7], v2 offset:1584
	s_wait_loadcnt_dscnt 0xb01
	v_mul_f64_e32 v[194:195], v[188:189], v[158:159]
	v_mul_f64_e32 v[158:159], v[190:191], v[158:159]
	scratch_load_b128 v[152:155], off, off offset:768
	v_add_f64_e32 v[192:193], v[192:193], v[198:199]
	s_wait_loadcnt_dscnt 0xb00
	v_mul_f64_e32 v[198:199], v[4:5], v[162:163]
	v_add_f64_e32 v[202:203], v[182:183], v[180:181]
	v_mul_f64_e32 v[162:163], v[6:7], v[162:163]
	ds_load_b128 v[180:183], v2 offset:1600
	v_fmac_f64_e32 v[194:195], v[190:191], v[156:157]
	v_fma_f64 v[188:189], v[188:189], v[156:157], -v[158:159]
	scratch_load_b128 v[156:159], off, off offset:784
	v_add_f64_e32 v[192:193], v[192:193], v[196:197]
	v_fmac_f64_e32 v[198:199], v[6:7], v[160:161]
	v_add_f64_e32 v[190:191], v[202:203], v[200:201]
	;; [unrolled: 18-line block ×3, first 2 shown]
	v_fma_f64 v[200:201], v[4:5], v[172:173], -v[174:175]
	ds_load_b128 v[4:7], v2 offset:1648
	s_wait_loadcnt_dscnt 0xa01
	v_mul_f64_e32 v[198:199], v[188:189], v[186:187]
	v_mul_f64_e32 v[186:187], v[190:191], v[186:187]
	scratch_load_b128 v[172:175], off, off offset:832
	v_add_f64_e32 v[192:193], v[192:193], v[196:197]
	v_add_f64_e32 v[202:203], v[182:183], v[180:181]
	s_wait_loadcnt_dscnt 0xa00
	v_mul_f64_e32 v[196:197], v[4:5], v[170:171]
	v_mul_f64_e32 v[170:171], v[6:7], v[170:171]
	v_fmac_f64_e32 v[198:199], v[190:191], v[184:185]
	v_fma_f64 v[188:189], v[188:189], v[184:185], -v[186:187]
	ds_load_b128 v[180:183], v2 offset:1664
	scratch_load_b128 v[184:187], off, off offset:848
	v_add_f64_e32 v[192:193], v[192:193], v[194:195]
	v_add_f64_e32 v[190:191], v[202:203], v[200:201]
	v_fmac_f64_e32 v[196:197], v[6:7], v[168:169]
	v_fma_f64 v[200:201], v[4:5], v[168:169], -v[170:171]
	ds_load_b128 v[4:7], v2 offset:1680
	s_wait_loadcnt_dscnt 0xa01
	v_mul_f64_e32 v[194:195], v[180:181], v[10:11]
	v_mul_f64_e32 v[10:11], v[182:183], v[10:11]
	scratch_load_b128 v[168:171], off, off offset:864
	v_add_f64_e32 v[192:193], v[192:193], v[198:199]
	s_wait_loadcnt_dscnt 0xa00
	v_mul_f64_e32 v[198:199], v[4:5], v[14:15]
	v_add_f64_e32 v[202:203], v[190:191], v[188:189]
	v_mul_f64_e32 v[14:15], v[6:7], v[14:15]
	ds_load_b128 v[188:191], v2 offset:1696
	v_fmac_f64_e32 v[194:195], v[182:183], v[8:9]
	v_fma_f64 v[180:181], v[180:181], v[8:9], -v[10:11]
	scratch_load_b128 v[8:11], off, off offset:880
	v_add_f64_e32 v[192:193], v[192:193], v[196:197]
	v_fmac_f64_e32 v[198:199], v[6:7], v[12:13]
	v_add_f64_e32 v[182:183], v[202:203], v[200:201]
	v_fma_f64 v[200:201], v[4:5], v[12:13], -v[14:15]
	ds_load_b128 v[4:7], v2 offset:1712
	s_wait_loadcnt_dscnt 0xa01
	v_mul_f64_e32 v[196:197], v[188:189], v[142:143]
	v_mul_f64_e32 v[142:143], v[190:191], v[142:143]
	scratch_load_b128 v[12:15], off, off offset:896
	v_add_f64_e32 v[192:193], v[192:193], v[194:195]
	s_wait_loadcnt_dscnt 0xa00
	v_mul_f64_e32 v[194:195], v[4:5], v[146:147]
	v_add_f64_e32 v[202:203], v[182:183], v[180:181]
	v_mul_f64_e32 v[146:147], v[6:7], v[146:147]
	ds_load_b128 v[180:183], v2 offset:1728
	v_fmac_f64_e32 v[196:197], v[190:191], v[140:141]
	v_fma_f64 v[188:189], v[188:189], v[140:141], -v[142:143]
	scratch_load_b128 v[140:143], off, off offset:912
	v_add_f64_e32 v[192:193], v[192:193], v[198:199]
	v_fmac_f64_e32 v[194:195], v[6:7], v[144:145]
	v_add_f64_e32 v[190:191], v[202:203], v[200:201]
	;; [unrolled: 18-line block ×3, first 2 shown]
	v_fma_f64 v[200:201], v[4:5], v[152:153], -v[154:155]
	ds_load_b128 v[4:7], v2 offset:1776
	s_wait_loadcnt_dscnt 0xa01
	v_mul_f64_e32 v[194:195], v[188:189], v[158:159]
	v_mul_f64_e32 v[158:159], v[190:191], v[158:159]
	scratch_load_b128 v[152:155], off, off offset:960
	v_add_f64_e32 v[192:193], v[192:193], v[198:199]
	s_wait_loadcnt_dscnt 0xa00
	v_mul_f64_e32 v[198:199], v[4:5], v[162:163]
	v_add_f64_e32 v[202:203], v[182:183], v[180:181]
	v_mul_f64_e32 v[162:163], v[6:7], v[162:163]
	ds_load_b128 v[180:183], v2 offset:1792
	v_fmac_f64_e32 v[194:195], v[190:191], v[156:157]
	v_fma_f64 v[156:157], v[188:189], v[156:157], -v[158:159]
	s_wait_loadcnt_dscnt 0x900
	v_mul_f64_e32 v[190:191], v[180:181], v[166:167]
	v_mul_f64_e32 v[166:167], v[182:183], v[166:167]
	v_add_f64_e32 v[188:189], v[192:193], v[196:197]
	v_fmac_f64_e32 v[198:199], v[6:7], v[160:161]
	v_add_f64_e32 v[158:159], v[202:203], v[200:201]
	v_fma_f64 v[160:161], v[4:5], v[160:161], -v[162:163]
	v_fmac_f64_e32 v[190:191], v[182:183], v[164:165]
	v_fma_f64 v[164:165], v[180:181], v[164:165], -v[166:167]
	v_add_f64_e32 v[188:189], v[188:189], v[194:195]
	v_add_f64_e32 v[162:163], v[158:159], v[156:157]
	ds_load_b128 v[4:7], v2 offset:1808
	ds_load_b128 v[156:159], v2 offset:1824
	s_wait_loadcnt_dscnt 0x801
	v_mul_f64_e32 v[192:193], v[4:5], v[174:175]
	v_mul_f64_e32 v[174:175], v[6:7], v[174:175]
	s_wait_loadcnt_dscnt 0x700
	v_mul_f64_e32 v[166:167], v[156:157], v[186:187]
	v_mul_f64_e32 v[180:181], v[158:159], v[186:187]
	v_add_f64_e32 v[160:161], v[162:163], v[160:161]
	v_add_f64_e32 v[162:163], v[188:189], v[198:199]
	v_fmac_f64_e32 v[192:193], v[6:7], v[172:173]
	v_fma_f64 v[172:173], v[4:5], v[172:173], -v[174:175]
	v_fmac_f64_e32 v[166:167], v[158:159], v[184:185]
	v_fma_f64 v[156:157], v[156:157], v[184:185], -v[180:181]
	v_add_f64_e32 v[164:165], v[160:161], v[164:165]
	v_add_f64_e32 v[174:175], v[162:163], v[190:191]
	ds_load_b128 v[4:7], v2 offset:1840
	ds_load_b128 v[160:163], v2 offset:1856
	s_wait_loadcnt_dscnt 0x601
	v_mul_f64_e32 v[182:183], v[4:5], v[170:171]
	v_mul_f64_e32 v[170:171], v[6:7], v[170:171]
	v_add_f64_e32 v[158:159], v[164:165], v[172:173]
	v_add_f64_e32 v[164:165], v[174:175], v[192:193]
	s_wait_loadcnt_dscnt 0x500
	v_mul_f64_e32 v[172:173], v[160:161], v[10:11]
	v_mul_f64_e32 v[10:11], v[162:163], v[10:11]
	v_fmac_f64_e32 v[182:183], v[6:7], v[168:169]
	v_fma_f64 v[168:169], v[4:5], v[168:169], -v[170:171]
	v_add_f64_e32 v[170:171], v[158:159], v[156:157]
	v_add_f64_e32 v[164:165], v[164:165], v[166:167]
	ds_load_b128 v[4:7], v2 offset:1872
	ds_load_b128 v[156:159], v2 offset:1888
	v_fmac_f64_e32 v[172:173], v[162:163], v[8:9]
	v_fma_f64 v[8:9], v[160:161], v[8:9], -v[10:11]
	s_wait_loadcnt_dscnt 0x401
	v_mul_f64_e32 v[166:167], v[4:5], v[14:15]
	v_mul_f64_e32 v[14:15], v[6:7], v[14:15]
	s_wait_loadcnt_dscnt 0x300
	v_mul_f64_e32 v[162:163], v[156:157], v[142:143]
	v_mul_f64_e32 v[142:143], v[158:159], v[142:143]
	v_add_f64_e32 v[10:11], v[170:171], v[168:169]
	v_add_f64_e32 v[160:161], v[164:165], v[182:183]
	v_fmac_f64_e32 v[166:167], v[6:7], v[12:13]
	v_fma_f64 v[12:13], v[4:5], v[12:13], -v[14:15]
	v_fmac_f64_e32 v[162:163], v[158:159], v[140:141]
	v_fma_f64 v[140:141], v[156:157], v[140:141], -v[142:143]
	v_add_f64_e32 v[14:15], v[10:11], v[8:9]
	v_add_f64_e32 v[160:161], v[160:161], v[172:173]
	ds_load_b128 v[4:7], v2 offset:1904
	ds_load_b128 v[8:11], v2 offset:1920
	s_wait_loadcnt_dscnt 0x201
	v_mul_f64_e32 v[164:165], v[4:5], v[146:147]
	v_mul_f64_e32 v[146:147], v[6:7], v[146:147]
	s_wait_loadcnt_dscnt 0x100
	v_mul_f64_e32 v[142:143], v[8:9], v[150:151]
	v_mul_f64_e32 v[150:151], v[10:11], v[150:151]
	v_add_f64_e32 v[12:13], v[14:15], v[12:13]
	v_add_f64_e32 v[14:15], v[160:161], v[166:167]
	v_fmac_f64_e32 v[164:165], v[6:7], v[144:145]
	v_fma_f64 v[144:145], v[4:5], v[144:145], -v[146:147]
	ds_load_b128 v[4:7], v2 offset:1936
	v_fmac_f64_e32 v[142:143], v[10:11], v[148:149]
	v_fma_f64 v[8:9], v[8:9], v[148:149], -v[150:151]
	v_add_f64_e32 v[12:13], v[12:13], v[140:141]
	v_add_f64_e32 v[14:15], v[14:15], v[162:163]
	s_wait_loadcnt_dscnt 0x0
	v_mul_f64_e32 v[140:141], v[4:5], v[154:155]
	v_mul_f64_e32 v[146:147], v[6:7], v[154:155]
	s_delay_alu instid0(VALU_DEP_4) | instskip(NEXT) | instid1(VALU_DEP_4)
	v_add_f64_e32 v[10:11], v[12:13], v[144:145]
	v_add_f64_e32 v[12:13], v[14:15], v[164:165]
	s_delay_alu instid0(VALU_DEP_4) | instskip(NEXT) | instid1(VALU_DEP_4)
	v_fmac_f64_e32 v[140:141], v[6:7], v[152:153]
	v_fma_f64 v[4:5], v[4:5], v[152:153], -v[146:147]
	s_delay_alu instid0(VALU_DEP_4) | instskip(NEXT) | instid1(VALU_DEP_4)
	v_add_f64_e32 v[6:7], v[10:11], v[8:9]
	v_add_f64_e32 v[8:9], v[12:13], v[142:143]
	s_delay_alu instid0(VALU_DEP_2) | instskip(NEXT) | instid1(VALU_DEP_2)
	v_add_f64_e32 v[4:5], v[6:7], v[4:5]
	v_add_f64_e32 v[6:7], v[8:9], v[140:141]
	s_delay_alu instid0(VALU_DEP_2) | instskip(NEXT) | instid1(VALU_DEP_2)
	v_add_f64_e64 v[4:5], v[176:177], -v[4:5]
	v_add_f64_e64 v[6:7], v[178:179], -v[6:7]
	scratch_store_b128 off, v[4:7], off offset:464
	s_wait_xcnt 0x0
	v_cmpx_lt_u32_e32 28, v1
	s_cbranch_execz .LBB124_335
; %bb.334:
	scratch_load_b128 v[6:9], off, s51
	v_dual_mov_b32 v3, v2 :: v_dual_mov_b32 v4, v2
	v_mov_b32_e32 v5, v2
	scratch_store_b128 off, v[2:5], off offset:448
	s_wait_loadcnt 0x0
	ds_store_b128 v138, v[6:9]
.LBB124_335:
	s_wait_xcnt 0x0
	s_or_b32 exec_lo, exec_lo, s2
	s_wait_storecnt_dscnt 0x0
	s_barrier_signal -1
	s_barrier_wait -1
	s_clause 0x9
	scratch_load_b128 v[4:7], off, off offset:464
	scratch_load_b128 v[8:11], off, off offset:480
	scratch_load_b128 v[12:15], off, off offset:496
	scratch_load_b128 v[140:143], off, off offset:512
	scratch_load_b128 v[144:147], off, off offset:528
	scratch_load_b128 v[148:151], off, off offset:544
	scratch_load_b128 v[152:155], off, off offset:560
	scratch_load_b128 v[156:159], off, off offset:576
	scratch_load_b128 v[160:163], off, off offset:592
	scratch_load_b128 v[164:167], off, off offset:608
	ds_load_b128 v[168:171], v2 offset:1440
	ds_load_b128 v[176:179], v2 offset:1456
	s_clause 0x2
	scratch_load_b128 v[172:175], off, off offset:624
	scratch_load_b128 v[180:183], off, off offset:448
	;; [unrolled: 1-line block ×3, first 2 shown]
	s_mov_b32 s2, exec_lo
	s_wait_loadcnt_dscnt 0xc01
	v_mul_f64_e32 v[188:189], v[170:171], v[6:7]
	v_mul_f64_e32 v[192:193], v[168:169], v[6:7]
	s_wait_loadcnt_dscnt 0xb00
	v_mul_f64_e32 v[194:195], v[176:177], v[10:11]
	v_mul_f64_e32 v[10:11], v[178:179], v[10:11]
	s_delay_alu instid0(VALU_DEP_4) | instskip(NEXT) | instid1(VALU_DEP_4)
	v_fma_f64 v[196:197], v[168:169], v[4:5], -v[188:189]
	v_fmac_f64_e32 v[192:193], v[170:171], v[4:5]
	ds_load_b128 v[4:7], v2 offset:1472
	ds_load_b128 v[168:171], v2 offset:1488
	scratch_load_b128 v[188:191], off, off offset:656
	v_fmac_f64_e32 v[194:195], v[178:179], v[8:9]
	v_fma_f64 v[176:177], v[176:177], v[8:9], -v[10:11]
	scratch_load_b128 v[8:11], off, off offset:672
	s_wait_loadcnt_dscnt 0xc01
	v_mul_f64_e32 v[198:199], v[4:5], v[14:15]
	v_mul_f64_e32 v[14:15], v[6:7], v[14:15]
	v_add_f64_e32 v[178:179], 0, v[196:197]
	v_add_f64_e32 v[192:193], 0, v[192:193]
	s_wait_loadcnt_dscnt 0xb00
	v_mul_f64_e32 v[196:197], v[168:169], v[142:143]
	v_mul_f64_e32 v[142:143], v[170:171], v[142:143]
	v_fmac_f64_e32 v[198:199], v[6:7], v[12:13]
	v_fma_f64 v[200:201], v[4:5], v[12:13], -v[14:15]
	ds_load_b128 v[4:7], v2 offset:1504
	ds_load_b128 v[12:15], v2 offset:1520
	v_add_f64_e32 v[202:203], v[178:179], v[176:177]
	v_add_f64_e32 v[192:193], v[192:193], v[194:195]
	scratch_load_b128 v[176:179], off, off offset:688
	v_fmac_f64_e32 v[196:197], v[170:171], v[140:141]
	v_fma_f64 v[168:169], v[168:169], v[140:141], -v[142:143]
	scratch_load_b128 v[140:143], off, off offset:704
	s_wait_loadcnt_dscnt 0xc01
	v_mul_f64_e32 v[194:195], v[4:5], v[146:147]
	v_mul_f64_e32 v[146:147], v[6:7], v[146:147]
	v_add_f64_e32 v[170:171], v[202:203], v[200:201]
	v_add_f64_e32 v[192:193], v[192:193], v[198:199]
	s_wait_loadcnt_dscnt 0xb00
	v_mul_f64_e32 v[198:199], v[12:13], v[150:151]
	v_mul_f64_e32 v[150:151], v[14:15], v[150:151]
	v_fmac_f64_e32 v[194:195], v[6:7], v[144:145]
	v_fma_f64 v[200:201], v[4:5], v[144:145], -v[146:147]
	ds_load_b128 v[4:7], v2 offset:1536
	ds_load_b128 v[144:147], v2 offset:1552
	v_add_f64_e32 v[202:203], v[170:171], v[168:169]
	v_add_f64_e32 v[192:193], v[192:193], v[196:197]
	scratch_load_b128 v[168:171], off, off offset:720
	s_wait_loadcnt_dscnt 0xb01
	v_mul_f64_e32 v[196:197], v[4:5], v[154:155]
	v_mul_f64_e32 v[154:155], v[6:7], v[154:155]
	v_fmac_f64_e32 v[198:199], v[14:15], v[148:149]
	v_fma_f64 v[148:149], v[12:13], v[148:149], -v[150:151]
	scratch_load_b128 v[12:15], off, off offset:736
	v_add_f64_e32 v[150:151], v[202:203], v[200:201]
	v_add_f64_e32 v[192:193], v[192:193], v[194:195]
	s_wait_loadcnt_dscnt 0xb00
	v_mul_f64_e32 v[194:195], v[144:145], v[158:159]
	v_mul_f64_e32 v[158:159], v[146:147], v[158:159]
	v_fmac_f64_e32 v[196:197], v[6:7], v[152:153]
	v_fma_f64 v[200:201], v[4:5], v[152:153], -v[154:155]
	v_add_f64_e32 v[202:203], v[150:151], v[148:149]
	v_add_f64_e32 v[192:193], v[192:193], v[198:199]
	ds_load_b128 v[4:7], v2 offset:1568
	ds_load_b128 v[148:151], v2 offset:1584
	scratch_load_b128 v[152:155], off, off offset:752
	v_fmac_f64_e32 v[194:195], v[146:147], v[156:157]
	v_fma_f64 v[156:157], v[144:145], v[156:157], -v[158:159]
	scratch_load_b128 v[144:147], off, off offset:768
	s_wait_loadcnt_dscnt 0xc01
	v_mul_f64_e32 v[198:199], v[4:5], v[162:163]
	v_mul_f64_e32 v[162:163], v[6:7], v[162:163]
	v_add_f64_e32 v[158:159], v[202:203], v[200:201]
	v_add_f64_e32 v[192:193], v[192:193], v[196:197]
	s_wait_loadcnt_dscnt 0xb00
	v_mul_f64_e32 v[196:197], v[148:149], v[166:167]
	v_mul_f64_e32 v[166:167], v[150:151], v[166:167]
	v_fmac_f64_e32 v[198:199], v[6:7], v[160:161]
	v_fma_f64 v[200:201], v[4:5], v[160:161], -v[162:163]
	v_add_f64_e32 v[202:203], v[158:159], v[156:157]
	v_add_f64_e32 v[192:193], v[192:193], v[194:195]
	ds_load_b128 v[4:7], v2 offset:1600
	ds_load_b128 v[156:159], v2 offset:1616
	scratch_load_b128 v[160:163], off, off offset:784
	v_fmac_f64_e32 v[196:197], v[150:151], v[164:165]
	v_fma_f64 v[164:165], v[148:149], v[164:165], -v[166:167]
	scratch_load_b128 v[148:151], off, off offset:800
	s_wait_loadcnt_dscnt 0xc01
	v_mul_f64_e32 v[194:195], v[4:5], v[174:175]
	v_mul_f64_e32 v[174:175], v[6:7], v[174:175]
	;; [unrolled: 18-line block ×5, first 2 shown]
	v_add_f64_e32 v[186:187], v[202:203], v[200:201]
	v_add_f64_e32 v[192:193], v[192:193], v[198:199]
	s_wait_loadcnt_dscnt 0xa00
	v_mul_f64_e32 v[198:199], v[164:165], v[14:15]
	v_mul_f64_e32 v[14:15], v[166:167], v[14:15]
	v_fmac_f64_e32 v[194:195], v[6:7], v[168:169]
	v_fma_f64 v[200:201], v[4:5], v[168:169], -v[170:171]
	ds_load_b128 v[4:7], v2 offset:1728
	ds_load_b128 v[168:171], v2 offset:1744
	v_add_f64_e32 v[202:203], v[186:187], v[184:185]
	v_add_f64_e32 v[192:193], v[192:193], v[196:197]
	scratch_load_b128 v[184:187], off, off offset:912
	v_fmac_f64_e32 v[198:199], v[166:167], v[12:13]
	v_fma_f64 v[164:165], v[164:165], v[12:13], -v[14:15]
	scratch_load_b128 v[12:15], off, off offset:928
	s_wait_loadcnt_dscnt 0xb01
	v_mul_f64_e32 v[196:197], v[4:5], v[154:155]
	v_mul_f64_e32 v[154:155], v[6:7], v[154:155]
	v_add_f64_e32 v[166:167], v[202:203], v[200:201]
	v_add_f64_e32 v[192:193], v[192:193], v[194:195]
	s_wait_loadcnt_dscnt 0xa00
	v_mul_f64_e32 v[194:195], v[168:169], v[146:147]
	v_mul_f64_e32 v[146:147], v[170:171], v[146:147]
	v_fmac_f64_e32 v[196:197], v[6:7], v[152:153]
	v_fma_f64 v[200:201], v[4:5], v[152:153], -v[154:155]
	ds_load_b128 v[4:7], v2 offset:1760
	ds_load_b128 v[152:155], v2 offset:1776
	v_add_f64_e32 v[202:203], v[166:167], v[164:165]
	v_add_f64_e32 v[192:193], v[192:193], v[198:199]
	scratch_load_b128 v[164:167], off, off offset:944
	s_wait_loadcnt_dscnt 0xa01
	v_mul_f64_e32 v[198:199], v[4:5], v[162:163]
	v_mul_f64_e32 v[162:163], v[6:7], v[162:163]
	v_fmac_f64_e32 v[194:195], v[170:171], v[144:145]
	v_fma_f64 v[168:169], v[168:169], v[144:145], -v[146:147]
	scratch_load_b128 v[144:147], off, off offset:960
	v_add_f64_e32 v[170:171], v[202:203], v[200:201]
	v_add_f64_e32 v[192:193], v[192:193], v[196:197]
	s_wait_loadcnt_dscnt 0xa00
	v_mul_f64_e32 v[196:197], v[152:153], v[150:151]
	v_mul_f64_e32 v[150:151], v[154:155], v[150:151]
	v_fmac_f64_e32 v[198:199], v[6:7], v[160:161]
	v_fma_f64 v[200:201], v[4:5], v[160:161], -v[162:163]
	ds_load_b128 v[4:7], v2 offset:1792
	ds_load_b128 v[160:163], v2 offset:1808
	v_add_f64_e32 v[168:169], v[170:171], v[168:169]
	v_add_f64_e32 v[170:171], v[192:193], v[194:195]
	v_fmac_f64_e32 v[196:197], v[154:155], v[148:149]
	s_wait_loadcnt_dscnt 0x901
	v_mul_f64_e32 v[192:193], v[4:5], v[174:175]
	v_mul_f64_e32 v[174:175], v[6:7], v[174:175]
	v_fma_f64 v[148:149], v[152:153], v[148:149], -v[150:151]
	s_wait_loadcnt_dscnt 0x800
	v_mul_f64_e32 v[154:155], v[160:161], v[158:159]
	v_mul_f64_e32 v[158:159], v[162:163], v[158:159]
	v_add_f64_e32 v[150:151], v[168:169], v[200:201]
	v_add_f64_e32 v[152:153], v[170:171], v[198:199]
	v_fmac_f64_e32 v[192:193], v[6:7], v[172:173]
	v_fma_f64 v[168:169], v[4:5], v[172:173], -v[174:175]
	v_fmac_f64_e32 v[154:155], v[162:163], v[156:157]
	v_fma_f64 v[156:157], v[160:161], v[156:157], -v[158:159]
	v_add_f64_e32 v[170:171], v[150:151], v[148:149]
	v_add_f64_e32 v[152:153], v[152:153], v[196:197]
	ds_load_b128 v[4:7], v2 offset:1824
	ds_load_b128 v[148:151], v2 offset:1840
	s_wait_loadcnt_dscnt 0x701
	v_mul_f64_e32 v[172:173], v[4:5], v[190:191]
	v_mul_f64_e32 v[174:175], v[6:7], v[190:191]
	s_wait_loadcnt_dscnt 0x600
	v_mul_f64_e32 v[160:161], v[148:149], v[10:11]
	v_mul_f64_e32 v[10:11], v[150:151], v[10:11]
	v_add_f64_e32 v[158:159], v[170:171], v[168:169]
	v_add_f64_e32 v[152:153], v[152:153], v[192:193]
	v_fmac_f64_e32 v[172:173], v[6:7], v[188:189]
	v_fma_f64 v[162:163], v[4:5], v[188:189], -v[174:175]
	v_fmac_f64_e32 v[160:161], v[150:151], v[8:9]
	v_fma_f64 v[8:9], v[148:149], v[8:9], -v[10:11]
	v_add_f64_e32 v[156:157], v[158:159], v[156:157]
	v_add_f64_e32 v[158:159], v[152:153], v[154:155]
	ds_load_b128 v[4:7], v2 offset:1856
	ds_load_b128 v[152:155], v2 offset:1872
	s_wait_loadcnt_dscnt 0x501
	v_mul_f64_e32 v[168:169], v[4:5], v[178:179]
	v_mul_f64_e32 v[170:171], v[6:7], v[178:179]
	;; [unrolled: 16-line block ×4, first 2 shown]
	s_wait_loadcnt_dscnt 0x0
	v_mul_f64_e32 v[14:15], v[140:141], v[146:147]
	v_mul_f64_e32 v[146:147], v[142:143], v[146:147]
	v_add_f64_e32 v[10:11], v[156:157], v[154:155]
	v_add_f64_e32 v[12:13], v[148:149], v[160:161]
	v_fmac_f64_e32 v[2:3], v[6:7], v[164:165]
	v_fma_f64 v[4:5], v[4:5], v[164:165], -v[150:151]
	v_fmac_f64_e32 v[14:15], v[142:143], v[144:145]
	v_add_f64_e32 v[6:7], v[10:11], v[8:9]
	v_add_f64_e32 v[8:9], v[12:13], v[152:153]
	v_fma_f64 v[10:11], v[140:141], v[144:145], -v[146:147]
	s_delay_alu instid0(VALU_DEP_3) | instskip(NEXT) | instid1(VALU_DEP_3)
	v_add_f64_e32 v[4:5], v[6:7], v[4:5]
	v_add_f64_e32 v[2:3], v[8:9], v[2:3]
	s_delay_alu instid0(VALU_DEP_2) | instskip(NEXT) | instid1(VALU_DEP_2)
	v_add_f64_e32 v[4:5], v[4:5], v[10:11]
	v_add_f64_e32 v[6:7], v[2:3], v[14:15]
	s_delay_alu instid0(VALU_DEP_2) | instskip(NEXT) | instid1(VALU_DEP_2)
	v_add_f64_e64 v[2:3], v[180:181], -v[4:5]
	v_add_f64_e64 v[4:5], v[182:183], -v[6:7]
	scratch_store_b128 off, v[2:5], off offset:448
	s_wait_xcnt 0x0
	v_cmpx_lt_u32_e32 27, v1
	s_cbranch_execz .LBB124_337
; %bb.336:
	scratch_load_b128 v[2:5], off, s52
	v_mov_b32_e32 v6, 0
	s_delay_alu instid0(VALU_DEP_1)
	v_dual_mov_b32 v7, v6 :: v_dual_mov_b32 v8, v6
	v_mov_b32_e32 v9, v6
	scratch_store_b128 off, v[6:9], off offset:432
	s_wait_loadcnt 0x0
	ds_store_b128 v138, v[2:5]
.LBB124_337:
	s_wait_xcnt 0x0
	s_or_b32 exec_lo, exec_lo, s2
	s_wait_storecnt_dscnt 0x0
	s_barrier_signal -1
	s_barrier_wait -1
	s_clause 0x9
	scratch_load_b128 v[4:7], off, off offset:448
	scratch_load_b128 v[8:11], off, off offset:464
	;; [unrolled: 1-line block ×10, first 2 shown]
	v_mov_b32_e32 v2, 0
	s_mov_b32 s2, exec_lo
	ds_load_b128 v[168:171], v2 offset:1424
	s_clause 0x2
	scratch_load_b128 v[172:175], off, off offset:608
	scratch_load_b128 v[176:179], off, off offset:432
	;; [unrolled: 1-line block ×3, first 2 shown]
	s_wait_loadcnt_dscnt 0xc00
	v_mul_f64_e32 v[188:189], v[170:171], v[6:7]
	v_mul_f64_e32 v[192:193], v[168:169], v[6:7]
	ds_load_b128 v[180:183], v2 offset:1440
	v_fma_f64 v[196:197], v[168:169], v[4:5], -v[188:189]
	v_fmac_f64_e32 v[192:193], v[170:171], v[4:5]
	ds_load_b128 v[4:7], v2 offset:1456
	s_wait_loadcnt_dscnt 0xb01
	v_mul_f64_e32 v[194:195], v[180:181], v[10:11]
	v_mul_f64_e32 v[10:11], v[182:183], v[10:11]
	scratch_load_b128 v[168:171], off, off offset:640
	ds_load_b128 v[188:191], v2 offset:1472
	s_wait_loadcnt_dscnt 0xb01
	v_mul_f64_e32 v[198:199], v[4:5], v[14:15]
	v_mul_f64_e32 v[14:15], v[6:7], v[14:15]
	v_add_f64_e32 v[192:193], 0, v[192:193]
	v_fmac_f64_e32 v[194:195], v[182:183], v[8:9]
	v_fma_f64 v[180:181], v[180:181], v[8:9], -v[10:11]
	v_add_f64_e32 v[182:183], 0, v[196:197]
	scratch_load_b128 v[8:11], off, off offset:656
	v_fmac_f64_e32 v[198:199], v[6:7], v[12:13]
	v_fma_f64 v[200:201], v[4:5], v[12:13], -v[14:15]
	ds_load_b128 v[4:7], v2 offset:1488
	s_wait_loadcnt_dscnt 0xb01
	v_mul_f64_e32 v[196:197], v[188:189], v[142:143]
	v_mul_f64_e32 v[142:143], v[190:191], v[142:143]
	scratch_load_b128 v[12:15], off, off offset:672
	v_add_f64_e32 v[192:193], v[192:193], v[194:195]
	v_add_f64_e32 v[202:203], v[182:183], v[180:181]
	ds_load_b128 v[180:183], v2 offset:1504
	s_wait_loadcnt_dscnt 0xb01
	v_mul_f64_e32 v[194:195], v[4:5], v[146:147]
	v_mul_f64_e32 v[146:147], v[6:7], v[146:147]
	v_fmac_f64_e32 v[196:197], v[190:191], v[140:141]
	v_fma_f64 v[188:189], v[188:189], v[140:141], -v[142:143]
	scratch_load_b128 v[140:143], off, off offset:688
	v_add_f64_e32 v[192:193], v[192:193], v[198:199]
	v_add_f64_e32 v[190:191], v[202:203], v[200:201]
	v_fmac_f64_e32 v[194:195], v[6:7], v[144:145]
	v_fma_f64 v[200:201], v[4:5], v[144:145], -v[146:147]
	ds_load_b128 v[4:7], v2 offset:1520
	s_wait_loadcnt_dscnt 0xb01
	v_mul_f64_e32 v[198:199], v[180:181], v[150:151]
	v_mul_f64_e32 v[150:151], v[182:183], v[150:151]
	scratch_load_b128 v[144:147], off, off offset:704
	v_add_f64_e32 v[192:193], v[192:193], v[196:197]
	s_wait_loadcnt_dscnt 0xb00
	v_mul_f64_e32 v[196:197], v[4:5], v[154:155]
	v_add_f64_e32 v[202:203], v[190:191], v[188:189]
	v_mul_f64_e32 v[154:155], v[6:7], v[154:155]
	ds_load_b128 v[188:191], v2 offset:1536
	v_fmac_f64_e32 v[198:199], v[182:183], v[148:149]
	v_fma_f64 v[180:181], v[180:181], v[148:149], -v[150:151]
	scratch_load_b128 v[148:151], off, off offset:720
	v_add_f64_e32 v[192:193], v[192:193], v[194:195]
	v_fmac_f64_e32 v[196:197], v[6:7], v[152:153]
	v_add_f64_e32 v[182:183], v[202:203], v[200:201]
	v_fma_f64 v[200:201], v[4:5], v[152:153], -v[154:155]
	ds_load_b128 v[4:7], v2 offset:1552
	s_wait_loadcnt_dscnt 0xb01
	v_mul_f64_e32 v[194:195], v[188:189], v[158:159]
	v_mul_f64_e32 v[158:159], v[190:191], v[158:159]
	scratch_load_b128 v[152:155], off, off offset:736
	v_add_f64_e32 v[192:193], v[192:193], v[198:199]
	s_wait_loadcnt_dscnt 0xb00
	v_mul_f64_e32 v[198:199], v[4:5], v[162:163]
	v_add_f64_e32 v[202:203], v[182:183], v[180:181]
	v_mul_f64_e32 v[162:163], v[6:7], v[162:163]
	ds_load_b128 v[180:183], v2 offset:1568
	v_fmac_f64_e32 v[194:195], v[190:191], v[156:157]
	v_fma_f64 v[188:189], v[188:189], v[156:157], -v[158:159]
	scratch_load_b128 v[156:159], off, off offset:752
	v_add_f64_e32 v[192:193], v[192:193], v[196:197]
	v_fmac_f64_e32 v[198:199], v[6:7], v[160:161]
	v_add_f64_e32 v[190:191], v[202:203], v[200:201]
	;; [unrolled: 18-line block ×3, first 2 shown]
	v_fma_f64 v[200:201], v[4:5], v[172:173], -v[174:175]
	ds_load_b128 v[4:7], v2 offset:1616
	s_wait_loadcnt_dscnt 0xa01
	v_mul_f64_e32 v[198:199], v[188:189], v[186:187]
	v_mul_f64_e32 v[186:187], v[190:191], v[186:187]
	scratch_load_b128 v[172:175], off, off offset:800
	v_add_f64_e32 v[192:193], v[192:193], v[196:197]
	v_add_f64_e32 v[202:203], v[182:183], v[180:181]
	s_wait_loadcnt_dscnt 0xa00
	v_mul_f64_e32 v[196:197], v[4:5], v[170:171]
	v_mul_f64_e32 v[170:171], v[6:7], v[170:171]
	v_fmac_f64_e32 v[198:199], v[190:191], v[184:185]
	v_fma_f64 v[188:189], v[188:189], v[184:185], -v[186:187]
	ds_load_b128 v[180:183], v2 offset:1632
	scratch_load_b128 v[184:187], off, off offset:816
	v_add_f64_e32 v[192:193], v[192:193], v[194:195]
	v_add_f64_e32 v[190:191], v[202:203], v[200:201]
	v_fmac_f64_e32 v[196:197], v[6:7], v[168:169]
	v_fma_f64 v[200:201], v[4:5], v[168:169], -v[170:171]
	ds_load_b128 v[4:7], v2 offset:1648
	s_wait_loadcnt_dscnt 0xa01
	v_mul_f64_e32 v[194:195], v[180:181], v[10:11]
	v_mul_f64_e32 v[10:11], v[182:183], v[10:11]
	scratch_load_b128 v[168:171], off, off offset:832
	v_add_f64_e32 v[192:193], v[192:193], v[198:199]
	s_wait_loadcnt_dscnt 0xa00
	v_mul_f64_e32 v[198:199], v[4:5], v[14:15]
	v_add_f64_e32 v[202:203], v[190:191], v[188:189]
	v_mul_f64_e32 v[14:15], v[6:7], v[14:15]
	ds_load_b128 v[188:191], v2 offset:1664
	v_fmac_f64_e32 v[194:195], v[182:183], v[8:9]
	v_fma_f64 v[180:181], v[180:181], v[8:9], -v[10:11]
	scratch_load_b128 v[8:11], off, off offset:848
	v_add_f64_e32 v[192:193], v[192:193], v[196:197]
	v_fmac_f64_e32 v[198:199], v[6:7], v[12:13]
	v_add_f64_e32 v[182:183], v[202:203], v[200:201]
	v_fma_f64 v[200:201], v[4:5], v[12:13], -v[14:15]
	ds_load_b128 v[4:7], v2 offset:1680
	s_wait_loadcnt_dscnt 0xa01
	v_mul_f64_e32 v[196:197], v[188:189], v[142:143]
	v_mul_f64_e32 v[142:143], v[190:191], v[142:143]
	scratch_load_b128 v[12:15], off, off offset:864
	v_add_f64_e32 v[192:193], v[192:193], v[194:195]
	s_wait_loadcnt_dscnt 0xa00
	v_mul_f64_e32 v[194:195], v[4:5], v[146:147]
	v_add_f64_e32 v[202:203], v[182:183], v[180:181]
	v_mul_f64_e32 v[146:147], v[6:7], v[146:147]
	ds_load_b128 v[180:183], v2 offset:1696
	v_fmac_f64_e32 v[196:197], v[190:191], v[140:141]
	v_fma_f64 v[188:189], v[188:189], v[140:141], -v[142:143]
	scratch_load_b128 v[140:143], off, off offset:880
	v_add_f64_e32 v[192:193], v[192:193], v[198:199]
	v_fmac_f64_e32 v[194:195], v[6:7], v[144:145]
	v_add_f64_e32 v[190:191], v[202:203], v[200:201]
	;; [unrolled: 18-line block ×4, first 2 shown]
	v_fma_f64 v[200:201], v[4:5], v[160:161], -v[162:163]
	ds_load_b128 v[4:7], v2 offset:1776
	s_wait_loadcnt_dscnt 0xa01
	v_mul_f64_e32 v[196:197], v[180:181], v[166:167]
	v_mul_f64_e32 v[166:167], v[182:183], v[166:167]
	scratch_load_b128 v[160:163], off, off offset:960
	v_add_f64_e32 v[192:193], v[192:193], v[194:195]
	s_wait_loadcnt_dscnt 0xa00
	v_mul_f64_e32 v[194:195], v[4:5], v[174:175]
	v_add_f64_e32 v[202:203], v[190:191], v[188:189]
	v_mul_f64_e32 v[174:175], v[6:7], v[174:175]
	ds_load_b128 v[188:191], v2 offset:1792
	v_fmac_f64_e32 v[196:197], v[182:183], v[164:165]
	v_fma_f64 v[164:165], v[180:181], v[164:165], -v[166:167]
	s_wait_loadcnt_dscnt 0x900
	v_mul_f64_e32 v[182:183], v[188:189], v[186:187]
	v_mul_f64_e32 v[186:187], v[190:191], v[186:187]
	v_add_f64_e32 v[180:181], v[192:193], v[198:199]
	v_fmac_f64_e32 v[194:195], v[6:7], v[172:173]
	v_add_f64_e32 v[166:167], v[202:203], v[200:201]
	v_fma_f64 v[172:173], v[4:5], v[172:173], -v[174:175]
	v_fmac_f64_e32 v[182:183], v[190:191], v[184:185]
	v_fma_f64 v[184:185], v[188:189], v[184:185], -v[186:187]
	v_add_f64_e32 v[180:181], v[180:181], v[196:197]
	v_add_f64_e32 v[174:175], v[166:167], v[164:165]
	ds_load_b128 v[4:7], v2 offset:1808
	ds_load_b128 v[164:167], v2 offset:1824
	s_wait_loadcnt_dscnt 0x801
	v_mul_f64_e32 v[192:193], v[4:5], v[170:171]
	v_mul_f64_e32 v[170:171], v[6:7], v[170:171]
	v_add_f64_e32 v[172:173], v[174:175], v[172:173]
	v_add_f64_e32 v[174:175], v[180:181], v[194:195]
	s_wait_loadcnt_dscnt 0x700
	v_mul_f64_e32 v[180:181], v[164:165], v[10:11]
	v_mul_f64_e32 v[10:11], v[166:167], v[10:11]
	v_fmac_f64_e32 v[192:193], v[6:7], v[168:169]
	v_fma_f64 v[186:187], v[4:5], v[168:169], -v[170:171]
	ds_load_b128 v[4:7], v2 offset:1840
	ds_load_b128 v[168:171], v2 offset:1856
	v_add_f64_e32 v[172:173], v[172:173], v[184:185]
	v_add_f64_e32 v[174:175], v[174:175], v[182:183]
	v_fmac_f64_e32 v[180:181], v[166:167], v[8:9]
	v_fma_f64 v[8:9], v[164:165], v[8:9], -v[10:11]
	s_wait_loadcnt_dscnt 0x601
	v_mul_f64_e32 v[182:183], v[4:5], v[14:15]
	v_mul_f64_e32 v[14:15], v[6:7], v[14:15]
	s_wait_loadcnt_dscnt 0x500
	v_mul_f64_e32 v[166:167], v[168:169], v[142:143]
	v_mul_f64_e32 v[142:143], v[170:171], v[142:143]
	v_add_f64_e32 v[10:11], v[172:173], v[186:187]
	v_add_f64_e32 v[164:165], v[174:175], v[192:193]
	v_fmac_f64_e32 v[182:183], v[6:7], v[12:13]
	v_fma_f64 v[12:13], v[4:5], v[12:13], -v[14:15]
	v_fmac_f64_e32 v[166:167], v[170:171], v[140:141]
	v_fma_f64 v[140:141], v[168:169], v[140:141], -v[142:143]
	v_add_f64_e32 v[14:15], v[10:11], v[8:9]
	v_add_f64_e32 v[164:165], v[164:165], v[180:181]
	ds_load_b128 v[4:7], v2 offset:1872
	ds_load_b128 v[8:11], v2 offset:1888
	s_wait_loadcnt_dscnt 0x401
	v_mul_f64_e32 v[172:173], v[4:5], v[146:147]
	v_mul_f64_e32 v[146:147], v[6:7], v[146:147]
	s_wait_loadcnt_dscnt 0x300
	v_mul_f64_e32 v[142:143], v[8:9], v[150:151]
	v_mul_f64_e32 v[150:151], v[10:11], v[150:151]
	v_add_f64_e32 v[12:13], v[14:15], v[12:13]
	v_add_f64_e32 v[14:15], v[164:165], v[182:183]
	v_fmac_f64_e32 v[172:173], v[6:7], v[144:145]
	v_fma_f64 v[144:145], v[4:5], v[144:145], -v[146:147]
	v_fmac_f64_e32 v[142:143], v[10:11], v[148:149]
	v_fma_f64 v[8:9], v[8:9], v[148:149], -v[150:151]
	v_add_f64_e32 v[140:141], v[12:13], v[140:141]
	v_add_f64_e32 v[146:147], v[14:15], v[166:167]
	ds_load_b128 v[4:7], v2 offset:1904
	ds_load_b128 v[12:15], v2 offset:1920
	s_wait_loadcnt_dscnt 0x201
	v_mul_f64_e32 v[164:165], v[4:5], v[154:155]
	v_mul_f64_e32 v[154:155], v[6:7], v[154:155]
	v_add_f64_e32 v[10:11], v[140:141], v[144:145]
	v_add_f64_e32 v[140:141], v[146:147], v[172:173]
	s_wait_loadcnt_dscnt 0x100
	v_mul_f64_e32 v[144:145], v[12:13], v[158:159]
	v_mul_f64_e32 v[146:147], v[14:15], v[158:159]
	v_fmac_f64_e32 v[164:165], v[6:7], v[152:153]
	v_fma_f64 v[148:149], v[4:5], v[152:153], -v[154:155]
	ds_load_b128 v[4:7], v2 offset:1936
	v_add_f64_e32 v[8:9], v[10:11], v[8:9]
	v_add_f64_e32 v[10:11], v[140:141], v[142:143]
	v_fmac_f64_e32 v[144:145], v[14:15], v[156:157]
	v_fma_f64 v[12:13], v[12:13], v[156:157], -v[146:147]
	s_wait_loadcnt_dscnt 0x0
	v_mul_f64_e32 v[140:141], v[4:5], v[162:163]
	v_mul_f64_e32 v[142:143], v[6:7], v[162:163]
	v_add_f64_e32 v[8:9], v[8:9], v[148:149]
	v_add_f64_e32 v[10:11], v[10:11], v[164:165]
	s_delay_alu instid0(VALU_DEP_4) | instskip(NEXT) | instid1(VALU_DEP_4)
	v_fmac_f64_e32 v[140:141], v[6:7], v[160:161]
	v_fma_f64 v[4:5], v[4:5], v[160:161], -v[142:143]
	s_delay_alu instid0(VALU_DEP_4) | instskip(NEXT) | instid1(VALU_DEP_4)
	v_add_f64_e32 v[6:7], v[8:9], v[12:13]
	v_add_f64_e32 v[8:9], v[10:11], v[144:145]
	s_delay_alu instid0(VALU_DEP_2) | instskip(NEXT) | instid1(VALU_DEP_2)
	v_add_f64_e32 v[4:5], v[6:7], v[4:5]
	v_add_f64_e32 v[6:7], v[8:9], v[140:141]
	s_delay_alu instid0(VALU_DEP_2) | instskip(NEXT) | instid1(VALU_DEP_2)
	v_add_f64_e64 v[4:5], v[176:177], -v[4:5]
	v_add_f64_e64 v[6:7], v[178:179], -v[6:7]
	scratch_store_b128 off, v[4:7], off offset:432
	s_wait_xcnt 0x0
	v_cmpx_lt_u32_e32 26, v1
	s_cbranch_execz .LBB124_339
; %bb.338:
	scratch_load_b128 v[6:9], off, s53
	v_dual_mov_b32 v3, v2 :: v_dual_mov_b32 v4, v2
	v_mov_b32_e32 v5, v2
	scratch_store_b128 off, v[2:5], off offset:416
	s_wait_loadcnt 0x0
	ds_store_b128 v138, v[6:9]
.LBB124_339:
	s_wait_xcnt 0x0
	s_or_b32 exec_lo, exec_lo, s2
	s_wait_storecnt_dscnt 0x0
	s_barrier_signal -1
	s_barrier_wait -1
	s_clause 0x9
	scratch_load_b128 v[4:7], off, off offset:432
	scratch_load_b128 v[8:11], off, off offset:448
	;; [unrolled: 1-line block ×10, first 2 shown]
	ds_load_b128 v[168:171], v2 offset:1408
	ds_load_b128 v[176:179], v2 offset:1424
	s_clause 0x2
	scratch_load_b128 v[172:175], off, off offset:592
	scratch_load_b128 v[180:183], off, off offset:416
	;; [unrolled: 1-line block ×3, first 2 shown]
	s_mov_b32 s2, exec_lo
	s_wait_loadcnt_dscnt 0xc01
	v_mul_f64_e32 v[188:189], v[170:171], v[6:7]
	v_mul_f64_e32 v[192:193], v[168:169], v[6:7]
	s_wait_loadcnt_dscnt 0xb00
	v_mul_f64_e32 v[194:195], v[176:177], v[10:11]
	v_mul_f64_e32 v[10:11], v[178:179], v[10:11]
	s_delay_alu instid0(VALU_DEP_4) | instskip(NEXT) | instid1(VALU_DEP_4)
	v_fma_f64 v[196:197], v[168:169], v[4:5], -v[188:189]
	v_fmac_f64_e32 v[192:193], v[170:171], v[4:5]
	ds_load_b128 v[4:7], v2 offset:1440
	ds_load_b128 v[168:171], v2 offset:1456
	scratch_load_b128 v[188:191], off, off offset:624
	v_fmac_f64_e32 v[194:195], v[178:179], v[8:9]
	v_fma_f64 v[176:177], v[176:177], v[8:9], -v[10:11]
	scratch_load_b128 v[8:11], off, off offset:640
	s_wait_loadcnt_dscnt 0xc01
	v_mul_f64_e32 v[198:199], v[4:5], v[14:15]
	v_mul_f64_e32 v[14:15], v[6:7], v[14:15]
	v_add_f64_e32 v[178:179], 0, v[196:197]
	v_add_f64_e32 v[192:193], 0, v[192:193]
	s_wait_loadcnt_dscnt 0xb00
	v_mul_f64_e32 v[196:197], v[168:169], v[142:143]
	v_mul_f64_e32 v[142:143], v[170:171], v[142:143]
	v_fmac_f64_e32 v[198:199], v[6:7], v[12:13]
	v_fma_f64 v[200:201], v[4:5], v[12:13], -v[14:15]
	ds_load_b128 v[4:7], v2 offset:1472
	ds_load_b128 v[12:15], v2 offset:1488
	v_add_f64_e32 v[202:203], v[178:179], v[176:177]
	v_add_f64_e32 v[192:193], v[192:193], v[194:195]
	scratch_load_b128 v[176:179], off, off offset:656
	v_fmac_f64_e32 v[196:197], v[170:171], v[140:141]
	v_fma_f64 v[168:169], v[168:169], v[140:141], -v[142:143]
	scratch_load_b128 v[140:143], off, off offset:672
	s_wait_loadcnt_dscnt 0xc01
	v_mul_f64_e32 v[194:195], v[4:5], v[146:147]
	v_mul_f64_e32 v[146:147], v[6:7], v[146:147]
	v_add_f64_e32 v[170:171], v[202:203], v[200:201]
	v_add_f64_e32 v[192:193], v[192:193], v[198:199]
	s_wait_loadcnt_dscnt 0xb00
	v_mul_f64_e32 v[198:199], v[12:13], v[150:151]
	v_mul_f64_e32 v[150:151], v[14:15], v[150:151]
	v_fmac_f64_e32 v[194:195], v[6:7], v[144:145]
	v_fma_f64 v[200:201], v[4:5], v[144:145], -v[146:147]
	ds_load_b128 v[4:7], v2 offset:1504
	ds_load_b128 v[144:147], v2 offset:1520
	v_add_f64_e32 v[202:203], v[170:171], v[168:169]
	v_add_f64_e32 v[192:193], v[192:193], v[196:197]
	scratch_load_b128 v[168:171], off, off offset:688
	s_wait_loadcnt_dscnt 0xb01
	v_mul_f64_e32 v[196:197], v[4:5], v[154:155]
	v_mul_f64_e32 v[154:155], v[6:7], v[154:155]
	v_fmac_f64_e32 v[198:199], v[14:15], v[148:149]
	v_fma_f64 v[148:149], v[12:13], v[148:149], -v[150:151]
	scratch_load_b128 v[12:15], off, off offset:704
	v_add_f64_e32 v[150:151], v[202:203], v[200:201]
	v_add_f64_e32 v[192:193], v[192:193], v[194:195]
	s_wait_loadcnt_dscnt 0xb00
	v_mul_f64_e32 v[194:195], v[144:145], v[158:159]
	v_mul_f64_e32 v[158:159], v[146:147], v[158:159]
	v_fmac_f64_e32 v[196:197], v[6:7], v[152:153]
	v_fma_f64 v[200:201], v[4:5], v[152:153], -v[154:155]
	v_add_f64_e32 v[202:203], v[150:151], v[148:149]
	v_add_f64_e32 v[192:193], v[192:193], v[198:199]
	ds_load_b128 v[4:7], v2 offset:1536
	ds_load_b128 v[148:151], v2 offset:1552
	scratch_load_b128 v[152:155], off, off offset:720
	v_fmac_f64_e32 v[194:195], v[146:147], v[156:157]
	v_fma_f64 v[156:157], v[144:145], v[156:157], -v[158:159]
	scratch_load_b128 v[144:147], off, off offset:736
	s_wait_loadcnt_dscnt 0xc01
	v_mul_f64_e32 v[198:199], v[4:5], v[162:163]
	v_mul_f64_e32 v[162:163], v[6:7], v[162:163]
	v_add_f64_e32 v[158:159], v[202:203], v[200:201]
	v_add_f64_e32 v[192:193], v[192:193], v[196:197]
	s_wait_loadcnt_dscnt 0xb00
	v_mul_f64_e32 v[196:197], v[148:149], v[166:167]
	v_mul_f64_e32 v[166:167], v[150:151], v[166:167]
	v_fmac_f64_e32 v[198:199], v[6:7], v[160:161]
	v_fma_f64 v[200:201], v[4:5], v[160:161], -v[162:163]
	v_add_f64_e32 v[202:203], v[158:159], v[156:157]
	v_add_f64_e32 v[192:193], v[192:193], v[194:195]
	ds_load_b128 v[4:7], v2 offset:1568
	ds_load_b128 v[156:159], v2 offset:1584
	scratch_load_b128 v[160:163], off, off offset:752
	v_fmac_f64_e32 v[196:197], v[150:151], v[164:165]
	v_fma_f64 v[164:165], v[148:149], v[164:165], -v[166:167]
	scratch_load_b128 v[148:151], off, off offset:768
	s_wait_loadcnt_dscnt 0xc01
	v_mul_f64_e32 v[194:195], v[4:5], v[174:175]
	v_mul_f64_e32 v[174:175], v[6:7], v[174:175]
	;; [unrolled: 18-line block ×5, first 2 shown]
	v_add_f64_e32 v[186:187], v[202:203], v[200:201]
	v_add_f64_e32 v[192:193], v[192:193], v[198:199]
	s_wait_loadcnt_dscnt 0xa00
	v_mul_f64_e32 v[198:199], v[164:165], v[14:15]
	v_mul_f64_e32 v[14:15], v[166:167], v[14:15]
	v_fmac_f64_e32 v[194:195], v[6:7], v[168:169]
	v_fma_f64 v[200:201], v[4:5], v[168:169], -v[170:171]
	ds_load_b128 v[4:7], v2 offset:1696
	ds_load_b128 v[168:171], v2 offset:1712
	v_add_f64_e32 v[202:203], v[186:187], v[184:185]
	v_add_f64_e32 v[192:193], v[192:193], v[196:197]
	scratch_load_b128 v[184:187], off, off offset:880
	v_fmac_f64_e32 v[198:199], v[166:167], v[12:13]
	v_fma_f64 v[164:165], v[164:165], v[12:13], -v[14:15]
	scratch_load_b128 v[12:15], off, off offset:896
	s_wait_loadcnt_dscnt 0xb01
	v_mul_f64_e32 v[196:197], v[4:5], v[154:155]
	v_mul_f64_e32 v[154:155], v[6:7], v[154:155]
	v_add_f64_e32 v[166:167], v[202:203], v[200:201]
	v_add_f64_e32 v[192:193], v[192:193], v[194:195]
	s_wait_loadcnt_dscnt 0xa00
	v_mul_f64_e32 v[194:195], v[168:169], v[146:147]
	v_mul_f64_e32 v[146:147], v[170:171], v[146:147]
	v_fmac_f64_e32 v[196:197], v[6:7], v[152:153]
	v_fma_f64 v[200:201], v[4:5], v[152:153], -v[154:155]
	ds_load_b128 v[4:7], v2 offset:1728
	ds_load_b128 v[152:155], v2 offset:1744
	v_add_f64_e32 v[202:203], v[166:167], v[164:165]
	v_add_f64_e32 v[192:193], v[192:193], v[198:199]
	scratch_load_b128 v[164:167], off, off offset:912
	s_wait_loadcnt_dscnt 0xa01
	v_mul_f64_e32 v[198:199], v[4:5], v[162:163]
	v_mul_f64_e32 v[162:163], v[6:7], v[162:163]
	v_fmac_f64_e32 v[194:195], v[170:171], v[144:145]
	v_fma_f64 v[168:169], v[168:169], v[144:145], -v[146:147]
	scratch_load_b128 v[144:147], off, off offset:928
	v_add_f64_e32 v[170:171], v[202:203], v[200:201]
	v_add_f64_e32 v[192:193], v[192:193], v[196:197]
	s_wait_loadcnt_dscnt 0xa00
	v_mul_f64_e32 v[196:197], v[152:153], v[150:151]
	v_mul_f64_e32 v[150:151], v[154:155], v[150:151]
	v_fmac_f64_e32 v[198:199], v[6:7], v[160:161]
	v_fma_f64 v[200:201], v[4:5], v[160:161], -v[162:163]
	ds_load_b128 v[4:7], v2 offset:1760
	ds_load_b128 v[160:163], v2 offset:1776
	v_add_f64_e32 v[202:203], v[170:171], v[168:169]
	v_add_f64_e32 v[192:193], v[192:193], v[194:195]
	scratch_load_b128 v[168:171], off, off offset:944
	s_wait_loadcnt_dscnt 0xa01
	v_mul_f64_e32 v[194:195], v[4:5], v[174:175]
	v_mul_f64_e32 v[174:175], v[6:7], v[174:175]
	v_fmac_f64_e32 v[196:197], v[154:155], v[148:149]
	v_fma_f64 v[152:153], v[152:153], v[148:149], -v[150:151]
	scratch_load_b128 v[148:151], off, off offset:960
	v_add_f64_e32 v[154:155], v[202:203], v[200:201]
	v_add_f64_e32 v[192:193], v[192:193], v[198:199]
	s_wait_loadcnt_dscnt 0xa00
	v_mul_f64_e32 v[198:199], v[160:161], v[158:159]
	v_mul_f64_e32 v[158:159], v[162:163], v[158:159]
	v_fmac_f64_e32 v[194:195], v[6:7], v[172:173]
	v_fma_f64 v[172:173], v[4:5], v[172:173], -v[174:175]
	v_add_f64_e32 v[174:175], v[154:155], v[152:153]
	v_add_f64_e32 v[192:193], v[192:193], v[196:197]
	ds_load_b128 v[4:7], v2 offset:1792
	ds_load_b128 v[152:155], v2 offset:1808
	v_fmac_f64_e32 v[198:199], v[162:163], v[156:157]
	v_fma_f64 v[156:157], v[160:161], v[156:157], -v[158:159]
	s_wait_loadcnt_dscnt 0x901
	v_mul_f64_e32 v[196:197], v[4:5], v[190:191]
	v_mul_f64_e32 v[190:191], v[6:7], v[190:191]
	s_wait_loadcnt_dscnt 0x800
	v_mul_f64_e32 v[162:163], v[152:153], v[10:11]
	v_mul_f64_e32 v[10:11], v[154:155], v[10:11]
	v_add_f64_e32 v[158:159], v[174:175], v[172:173]
	v_add_f64_e32 v[160:161], v[192:193], v[194:195]
	v_fmac_f64_e32 v[196:197], v[6:7], v[188:189]
	v_fma_f64 v[172:173], v[4:5], v[188:189], -v[190:191]
	v_fmac_f64_e32 v[162:163], v[154:155], v[8:9]
	v_fma_f64 v[8:9], v[152:153], v[8:9], -v[10:11]
	v_add_f64_e32 v[174:175], v[158:159], v[156:157]
	v_add_f64_e32 v[160:161], v[160:161], v[198:199]
	ds_load_b128 v[4:7], v2 offset:1824
	ds_load_b128 v[156:159], v2 offset:1840
	s_wait_loadcnt_dscnt 0x701
	v_mul_f64_e32 v[188:189], v[4:5], v[178:179]
	v_mul_f64_e32 v[178:179], v[6:7], v[178:179]
	s_wait_loadcnt_dscnt 0x600
	v_mul_f64_e32 v[154:155], v[156:157], v[142:143]
	v_mul_f64_e32 v[142:143], v[158:159], v[142:143]
	v_add_f64_e32 v[10:11], v[174:175], v[172:173]
	v_add_f64_e32 v[152:153], v[160:161], v[196:197]
	v_fmac_f64_e32 v[188:189], v[6:7], v[176:177]
	v_fma_f64 v[160:161], v[4:5], v[176:177], -v[178:179]
	v_fmac_f64_e32 v[154:155], v[158:159], v[140:141]
	v_fma_f64 v[140:141], v[156:157], v[140:141], -v[142:143]
	v_add_f64_e32 v[172:173], v[10:11], v[8:9]
	v_add_f64_e32 v[152:153], v[152:153], v[162:163]
	ds_load_b128 v[4:7], v2 offset:1856
	ds_load_b128 v[8:11], v2 offset:1872
	;; [unrolled: 16-line block ×4, first 2 shown]
	s_wait_loadcnt_dscnt 0x101
	v_mul_f64_e32 v[2:3], v[4:5], v[170:171]
	v_mul_f64_e32 v[156:157], v[6:7], v[170:171]
	s_wait_loadcnt_dscnt 0x0
	v_mul_f64_e32 v[144:145], v[8:9], v[150:151]
	v_mul_f64_e32 v[146:147], v[10:11], v[150:151]
	v_add_f64_e32 v[142:143], v[158:159], v[152:153]
	v_add_f64_e32 v[12:13], v[12:13], v[154:155]
	v_fmac_f64_e32 v[2:3], v[6:7], v[168:169]
	v_fma_f64 v[4:5], v[4:5], v[168:169], -v[156:157]
	v_fmac_f64_e32 v[144:145], v[10:11], v[148:149]
	v_fma_f64 v[8:9], v[8:9], v[148:149], -v[146:147]
	v_add_f64_e32 v[6:7], v[142:143], v[140:141]
	v_add_f64_e32 v[12:13], v[12:13], v[14:15]
	s_delay_alu instid0(VALU_DEP_2) | instskip(NEXT) | instid1(VALU_DEP_2)
	v_add_f64_e32 v[4:5], v[6:7], v[4:5]
	v_add_f64_e32 v[2:3], v[12:13], v[2:3]
	s_delay_alu instid0(VALU_DEP_2) | instskip(NEXT) | instid1(VALU_DEP_2)
	;; [unrolled: 3-line block ×3, first 2 shown]
	v_add_f64_e64 v[2:3], v[180:181], -v[4:5]
	v_add_f64_e64 v[4:5], v[182:183], -v[6:7]
	scratch_store_b128 off, v[2:5], off offset:416
	s_wait_xcnt 0x0
	v_cmpx_lt_u32_e32 25, v1
	s_cbranch_execz .LBB124_341
; %bb.340:
	scratch_load_b128 v[2:5], off, s54
	v_mov_b32_e32 v6, 0
	s_delay_alu instid0(VALU_DEP_1)
	v_dual_mov_b32 v7, v6 :: v_dual_mov_b32 v8, v6
	v_mov_b32_e32 v9, v6
	scratch_store_b128 off, v[6:9], off offset:400
	s_wait_loadcnt 0x0
	ds_store_b128 v138, v[2:5]
.LBB124_341:
	s_wait_xcnt 0x0
	s_or_b32 exec_lo, exec_lo, s2
	s_wait_storecnt_dscnt 0x0
	s_barrier_signal -1
	s_barrier_wait -1
	s_clause 0x9
	scratch_load_b128 v[4:7], off, off offset:416
	scratch_load_b128 v[8:11], off, off offset:432
	;; [unrolled: 1-line block ×10, first 2 shown]
	v_mov_b32_e32 v2, 0
	s_mov_b32 s2, exec_lo
	ds_load_b128 v[168:171], v2 offset:1392
	s_clause 0x2
	scratch_load_b128 v[172:175], off, off offset:576
	scratch_load_b128 v[176:179], off, off offset:400
	;; [unrolled: 1-line block ×3, first 2 shown]
	s_wait_loadcnt_dscnt 0xc00
	v_mul_f64_e32 v[188:189], v[170:171], v[6:7]
	v_mul_f64_e32 v[192:193], v[168:169], v[6:7]
	ds_load_b128 v[180:183], v2 offset:1408
	v_fma_f64 v[196:197], v[168:169], v[4:5], -v[188:189]
	v_fmac_f64_e32 v[192:193], v[170:171], v[4:5]
	ds_load_b128 v[4:7], v2 offset:1424
	s_wait_loadcnt_dscnt 0xb01
	v_mul_f64_e32 v[194:195], v[180:181], v[10:11]
	v_mul_f64_e32 v[10:11], v[182:183], v[10:11]
	scratch_load_b128 v[168:171], off, off offset:608
	ds_load_b128 v[188:191], v2 offset:1440
	s_wait_loadcnt_dscnt 0xb01
	v_mul_f64_e32 v[198:199], v[4:5], v[14:15]
	v_mul_f64_e32 v[14:15], v[6:7], v[14:15]
	v_add_f64_e32 v[192:193], 0, v[192:193]
	v_fmac_f64_e32 v[194:195], v[182:183], v[8:9]
	v_fma_f64 v[180:181], v[180:181], v[8:9], -v[10:11]
	v_add_f64_e32 v[182:183], 0, v[196:197]
	scratch_load_b128 v[8:11], off, off offset:624
	v_fmac_f64_e32 v[198:199], v[6:7], v[12:13]
	v_fma_f64 v[200:201], v[4:5], v[12:13], -v[14:15]
	ds_load_b128 v[4:7], v2 offset:1456
	s_wait_loadcnt_dscnt 0xb01
	v_mul_f64_e32 v[196:197], v[188:189], v[142:143]
	v_mul_f64_e32 v[142:143], v[190:191], v[142:143]
	scratch_load_b128 v[12:15], off, off offset:640
	v_add_f64_e32 v[192:193], v[192:193], v[194:195]
	v_add_f64_e32 v[202:203], v[182:183], v[180:181]
	ds_load_b128 v[180:183], v2 offset:1472
	s_wait_loadcnt_dscnt 0xb01
	v_mul_f64_e32 v[194:195], v[4:5], v[146:147]
	v_mul_f64_e32 v[146:147], v[6:7], v[146:147]
	v_fmac_f64_e32 v[196:197], v[190:191], v[140:141]
	v_fma_f64 v[188:189], v[188:189], v[140:141], -v[142:143]
	scratch_load_b128 v[140:143], off, off offset:656
	v_add_f64_e32 v[192:193], v[192:193], v[198:199]
	v_add_f64_e32 v[190:191], v[202:203], v[200:201]
	v_fmac_f64_e32 v[194:195], v[6:7], v[144:145]
	v_fma_f64 v[200:201], v[4:5], v[144:145], -v[146:147]
	ds_load_b128 v[4:7], v2 offset:1488
	s_wait_loadcnt_dscnt 0xb01
	v_mul_f64_e32 v[198:199], v[180:181], v[150:151]
	v_mul_f64_e32 v[150:151], v[182:183], v[150:151]
	scratch_load_b128 v[144:147], off, off offset:672
	v_add_f64_e32 v[192:193], v[192:193], v[196:197]
	s_wait_loadcnt_dscnt 0xb00
	v_mul_f64_e32 v[196:197], v[4:5], v[154:155]
	v_add_f64_e32 v[202:203], v[190:191], v[188:189]
	v_mul_f64_e32 v[154:155], v[6:7], v[154:155]
	ds_load_b128 v[188:191], v2 offset:1504
	v_fmac_f64_e32 v[198:199], v[182:183], v[148:149]
	v_fma_f64 v[180:181], v[180:181], v[148:149], -v[150:151]
	scratch_load_b128 v[148:151], off, off offset:688
	v_add_f64_e32 v[192:193], v[192:193], v[194:195]
	v_fmac_f64_e32 v[196:197], v[6:7], v[152:153]
	v_add_f64_e32 v[182:183], v[202:203], v[200:201]
	v_fma_f64 v[200:201], v[4:5], v[152:153], -v[154:155]
	ds_load_b128 v[4:7], v2 offset:1520
	s_wait_loadcnt_dscnt 0xb01
	v_mul_f64_e32 v[194:195], v[188:189], v[158:159]
	v_mul_f64_e32 v[158:159], v[190:191], v[158:159]
	scratch_load_b128 v[152:155], off, off offset:704
	v_add_f64_e32 v[192:193], v[192:193], v[198:199]
	s_wait_loadcnt_dscnt 0xb00
	v_mul_f64_e32 v[198:199], v[4:5], v[162:163]
	v_add_f64_e32 v[202:203], v[182:183], v[180:181]
	v_mul_f64_e32 v[162:163], v[6:7], v[162:163]
	ds_load_b128 v[180:183], v2 offset:1536
	v_fmac_f64_e32 v[194:195], v[190:191], v[156:157]
	v_fma_f64 v[188:189], v[188:189], v[156:157], -v[158:159]
	scratch_load_b128 v[156:159], off, off offset:720
	v_add_f64_e32 v[192:193], v[192:193], v[196:197]
	v_fmac_f64_e32 v[198:199], v[6:7], v[160:161]
	v_add_f64_e32 v[190:191], v[202:203], v[200:201]
	v_fma_f64 v[200:201], v[4:5], v[160:161], -v[162:163]
	ds_load_b128 v[4:7], v2 offset:1552
	s_wait_loadcnt_dscnt 0xb01
	v_mul_f64_e32 v[196:197], v[180:181], v[166:167]
	v_mul_f64_e32 v[166:167], v[182:183], v[166:167]
	scratch_load_b128 v[160:163], off, off offset:736
	v_add_f64_e32 v[192:193], v[192:193], v[194:195]
	s_wait_loadcnt_dscnt 0xb00
	v_mul_f64_e32 v[194:195], v[4:5], v[174:175]
	v_add_f64_e32 v[202:203], v[190:191], v[188:189]
	v_mul_f64_e32 v[174:175], v[6:7], v[174:175]
	ds_load_b128 v[188:191], v2 offset:1568
	v_fmac_f64_e32 v[196:197], v[182:183], v[164:165]
	v_fma_f64 v[180:181], v[180:181], v[164:165], -v[166:167]
	scratch_load_b128 v[164:167], off, off offset:752
	v_add_f64_e32 v[192:193], v[192:193], v[198:199]
	v_fmac_f64_e32 v[194:195], v[6:7], v[172:173]
	v_add_f64_e32 v[182:183], v[202:203], v[200:201]
	v_fma_f64 v[200:201], v[4:5], v[172:173], -v[174:175]
	ds_load_b128 v[4:7], v2 offset:1584
	s_wait_loadcnt_dscnt 0xa01
	v_mul_f64_e32 v[198:199], v[188:189], v[186:187]
	v_mul_f64_e32 v[186:187], v[190:191], v[186:187]
	scratch_load_b128 v[172:175], off, off offset:768
	v_add_f64_e32 v[192:193], v[192:193], v[196:197]
	v_add_f64_e32 v[202:203], v[182:183], v[180:181]
	s_wait_loadcnt_dscnt 0xa00
	v_mul_f64_e32 v[196:197], v[4:5], v[170:171]
	v_mul_f64_e32 v[170:171], v[6:7], v[170:171]
	v_fmac_f64_e32 v[198:199], v[190:191], v[184:185]
	v_fma_f64 v[188:189], v[188:189], v[184:185], -v[186:187]
	ds_load_b128 v[180:183], v2 offset:1600
	scratch_load_b128 v[184:187], off, off offset:784
	v_add_f64_e32 v[192:193], v[192:193], v[194:195]
	v_add_f64_e32 v[190:191], v[202:203], v[200:201]
	v_fmac_f64_e32 v[196:197], v[6:7], v[168:169]
	v_fma_f64 v[200:201], v[4:5], v[168:169], -v[170:171]
	ds_load_b128 v[4:7], v2 offset:1616
	s_wait_loadcnt_dscnt 0xa01
	v_mul_f64_e32 v[194:195], v[180:181], v[10:11]
	v_mul_f64_e32 v[10:11], v[182:183], v[10:11]
	scratch_load_b128 v[168:171], off, off offset:800
	v_add_f64_e32 v[192:193], v[192:193], v[198:199]
	s_wait_loadcnt_dscnt 0xa00
	v_mul_f64_e32 v[198:199], v[4:5], v[14:15]
	v_add_f64_e32 v[202:203], v[190:191], v[188:189]
	v_mul_f64_e32 v[14:15], v[6:7], v[14:15]
	ds_load_b128 v[188:191], v2 offset:1632
	v_fmac_f64_e32 v[194:195], v[182:183], v[8:9]
	v_fma_f64 v[180:181], v[180:181], v[8:9], -v[10:11]
	scratch_load_b128 v[8:11], off, off offset:816
	v_add_f64_e32 v[192:193], v[192:193], v[196:197]
	v_fmac_f64_e32 v[198:199], v[6:7], v[12:13]
	v_add_f64_e32 v[182:183], v[202:203], v[200:201]
	v_fma_f64 v[200:201], v[4:5], v[12:13], -v[14:15]
	ds_load_b128 v[4:7], v2 offset:1648
	s_wait_loadcnt_dscnt 0xa01
	v_mul_f64_e32 v[196:197], v[188:189], v[142:143]
	v_mul_f64_e32 v[142:143], v[190:191], v[142:143]
	scratch_load_b128 v[12:15], off, off offset:832
	v_add_f64_e32 v[192:193], v[192:193], v[194:195]
	s_wait_loadcnt_dscnt 0xa00
	v_mul_f64_e32 v[194:195], v[4:5], v[146:147]
	v_add_f64_e32 v[202:203], v[182:183], v[180:181]
	v_mul_f64_e32 v[146:147], v[6:7], v[146:147]
	ds_load_b128 v[180:183], v2 offset:1664
	v_fmac_f64_e32 v[196:197], v[190:191], v[140:141]
	v_fma_f64 v[188:189], v[188:189], v[140:141], -v[142:143]
	scratch_load_b128 v[140:143], off, off offset:848
	v_add_f64_e32 v[192:193], v[192:193], v[198:199]
	v_fmac_f64_e32 v[194:195], v[6:7], v[144:145]
	v_add_f64_e32 v[190:191], v[202:203], v[200:201]
	;; [unrolled: 18-line block ×5, first 2 shown]
	v_fma_f64 v[200:201], v[4:5], v[172:173], -v[174:175]
	ds_load_b128 v[4:7], v2 offset:1776
	s_wait_loadcnt_dscnt 0xa01
	v_mul_f64_e32 v[198:199], v[188:189], v[186:187]
	v_mul_f64_e32 v[186:187], v[190:191], v[186:187]
	scratch_load_b128 v[172:175], off, off offset:960
	v_add_f64_e32 v[192:193], v[192:193], v[196:197]
	s_wait_loadcnt_dscnt 0xa00
	v_mul_f64_e32 v[196:197], v[4:5], v[170:171]
	v_add_f64_e32 v[202:203], v[182:183], v[180:181]
	v_mul_f64_e32 v[170:171], v[6:7], v[170:171]
	ds_load_b128 v[180:183], v2 offset:1792
	v_fmac_f64_e32 v[198:199], v[190:191], v[184:185]
	v_fma_f64 v[184:185], v[188:189], v[184:185], -v[186:187]
	s_wait_loadcnt_dscnt 0x900
	v_mul_f64_e32 v[190:191], v[180:181], v[10:11]
	v_mul_f64_e32 v[10:11], v[182:183], v[10:11]
	v_add_f64_e32 v[188:189], v[192:193], v[194:195]
	v_fmac_f64_e32 v[196:197], v[6:7], v[168:169]
	v_add_f64_e32 v[186:187], v[202:203], v[200:201]
	v_fma_f64 v[192:193], v[4:5], v[168:169], -v[170:171]
	ds_load_b128 v[4:7], v2 offset:1808
	ds_load_b128 v[168:171], v2 offset:1824
	v_fmac_f64_e32 v[190:191], v[182:183], v[8:9]
	v_fma_f64 v[8:9], v[180:181], v[8:9], -v[10:11]
	v_add_f64_e32 v[184:185], v[186:187], v[184:185]
	v_add_f64_e32 v[186:187], v[188:189], v[198:199]
	s_wait_loadcnt_dscnt 0x801
	v_mul_f64_e32 v[188:189], v[4:5], v[14:15]
	v_mul_f64_e32 v[14:15], v[6:7], v[14:15]
	s_wait_loadcnt_dscnt 0x700
	v_mul_f64_e32 v[182:183], v[168:169], v[142:143]
	v_mul_f64_e32 v[142:143], v[170:171], v[142:143]
	v_add_f64_e32 v[10:11], v[184:185], v[192:193]
	v_add_f64_e32 v[180:181], v[186:187], v[196:197]
	v_fmac_f64_e32 v[188:189], v[6:7], v[12:13]
	v_fma_f64 v[12:13], v[4:5], v[12:13], -v[14:15]
	v_fmac_f64_e32 v[182:183], v[170:171], v[140:141]
	v_fma_f64 v[140:141], v[168:169], v[140:141], -v[142:143]
	v_add_f64_e32 v[14:15], v[10:11], v[8:9]
	v_add_f64_e32 v[180:181], v[180:181], v[190:191]
	ds_load_b128 v[4:7], v2 offset:1840
	ds_load_b128 v[8:11], v2 offset:1856
	s_wait_loadcnt_dscnt 0x601
	v_mul_f64_e32 v[184:185], v[4:5], v[146:147]
	v_mul_f64_e32 v[146:147], v[6:7], v[146:147]
	s_wait_loadcnt_dscnt 0x500
	v_mul_f64_e32 v[142:143], v[8:9], v[150:151]
	v_mul_f64_e32 v[150:151], v[10:11], v[150:151]
	v_add_f64_e32 v[12:13], v[14:15], v[12:13]
	v_add_f64_e32 v[14:15], v[180:181], v[188:189]
	v_fmac_f64_e32 v[184:185], v[6:7], v[144:145]
	v_fma_f64 v[144:145], v[4:5], v[144:145], -v[146:147]
	v_fmac_f64_e32 v[142:143], v[10:11], v[148:149]
	v_fma_f64 v[8:9], v[8:9], v[148:149], -v[150:151]
	v_add_f64_e32 v[140:141], v[12:13], v[140:141]
	v_add_f64_e32 v[146:147], v[14:15], v[182:183]
	ds_load_b128 v[4:7], v2 offset:1872
	ds_load_b128 v[12:15], v2 offset:1888
	s_wait_loadcnt_dscnt 0x401
	v_mul_f64_e32 v[168:169], v[4:5], v[154:155]
	v_mul_f64_e32 v[154:155], v[6:7], v[154:155]
	v_add_f64_e32 v[10:11], v[140:141], v[144:145]
	v_add_f64_e32 v[140:141], v[146:147], v[184:185]
	s_wait_loadcnt_dscnt 0x300
	v_mul_f64_e32 v[144:145], v[12:13], v[158:159]
	v_mul_f64_e32 v[146:147], v[14:15], v[158:159]
	v_fmac_f64_e32 v[168:169], v[6:7], v[152:153]
	v_fma_f64 v[148:149], v[4:5], v[152:153], -v[154:155]
	v_add_f64_e32 v[150:151], v[10:11], v[8:9]
	v_add_f64_e32 v[140:141], v[140:141], v[142:143]
	ds_load_b128 v[4:7], v2 offset:1904
	ds_load_b128 v[8:11], v2 offset:1920
	v_fmac_f64_e32 v[144:145], v[14:15], v[156:157]
	v_fma_f64 v[12:13], v[12:13], v[156:157], -v[146:147]
	s_wait_loadcnt_dscnt 0x201
	v_mul_f64_e32 v[142:143], v[4:5], v[162:163]
	v_mul_f64_e32 v[152:153], v[6:7], v[162:163]
	s_wait_loadcnt_dscnt 0x100
	v_mul_f64_e32 v[146:147], v[8:9], v[166:167]
	v_add_f64_e32 v[14:15], v[150:151], v[148:149]
	v_add_f64_e32 v[140:141], v[140:141], v[168:169]
	v_mul_f64_e32 v[148:149], v[10:11], v[166:167]
	v_fmac_f64_e32 v[142:143], v[6:7], v[160:161]
	v_fma_f64 v[150:151], v[4:5], v[160:161], -v[152:153]
	ds_load_b128 v[4:7], v2 offset:1936
	v_fmac_f64_e32 v[146:147], v[10:11], v[164:165]
	v_add_f64_e32 v[12:13], v[14:15], v[12:13]
	v_add_f64_e32 v[14:15], v[140:141], v[144:145]
	v_fma_f64 v[8:9], v[8:9], v[164:165], -v[148:149]
	s_wait_loadcnt_dscnt 0x0
	v_mul_f64_e32 v[140:141], v[4:5], v[174:175]
	v_mul_f64_e32 v[144:145], v[6:7], v[174:175]
	v_add_f64_e32 v[10:11], v[12:13], v[150:151]
	v_add_f64_e32 v[12:13], v[14:15], v[142:143]
	s_delay_alu instid0(VALU_DEP_4) | instskip(NEXT) | instid1(VALU_DEP_4)
	v_fmac_f64_e32 v[140:141], v[6:7], v[172:173]
	v_fma_f64 v[4:5], v[4:5], v[172:173], -v[144:145]
	s_delay_alu instid0(VALU_DEP_4) | instskip(NEXT) | instid1(VALU_DEP_4)
	v_add_f64_e32 v[6:7], v[10:11], v[8:9]
	v_add_f64_e32 v[8:9], v[12:13], v[146:147]
	s_delay_alu instid0(VALU_DEP_2) | instskip(NEXT) | instid1(VALU_DEP_2)
	v_add_f64_e32 v[4:5], v[6:7], v[4:5]
	v_add_f64_e32 v[6:7], v[8:9], v[140:141]
	s_delay_alu instid0(VALU_DEP_2) | instskip(NEXT) | instid1(VALU_DEP_2)
	v_add_f64_e64 v[4:5], v[176:177], -v[4:5]
	v_add_f64_e64 v[6:7], v[178:179], -v[6:7]
	scratch_store_b128 off, v[4:7], off offset:400
	s_wait_xcnt 0x0
	v_cmpx_lt_u32_e32 24, v1
	s_cbranch_execz .LBB124_343
; %bb.342:
	scratch_load_b128 v[6:9], off, s55
	v_dual_mov_b32 v3, v2 :: v_dual_mov_b32 v4, v2
	v_mov_b32_e32 v5, v2
	scratch_store_b128 off, v[2:5], off offset:384
	s_wait_loadcnt 0x0
	ds_store_b128 v138, v[6:9]
.LBB124_343:
	s_wait_xcnt 0x0
	s_or_b32 exec_lo, exec_lo, s2
	s_wait_storecnt_dscnt 0x0
	s_barrier_signal -1
	s_barrier_wait -1
	s_clause 0x9
	scratch_load_b128 v[4:7], off, off offset:400
	scratch_load_b128 v[8:11], off, off offset:416
	;; [unrolled: 1-line block ×10, first 2 shown]
	ds_load_b128 v[168:171], v2 offset:1376
	ds_load_b128 v[176:179], v2 offset:1392
	s_clause 0x2
	scratch_load_b128 v[172:175], off, off offset:560
	scratch_load_b128 v[180:183], off, off offset:384
	;; [unrolled: 1-line block ×3, first 2 shown]
	s_mov_b32 s2, exec_lo
	s_wait_loadcnt_dscnt 0xc01
	v_mul_f64_e32 v[188:189], v[170:171], v[6:7]
	v_mul_f64_e32 v[192:193], v[168:169], v[6:7]
	s_wait_loadcnt_dscnt 0xb00
	v_mul_f64_e32 v[194:195], v[176:177], v[10:11]
	v_mul_f64_e32 v[10:11], v[178:179], v[10:11]
	s_delay_alu instid0(VALU_DEP_4) | instskip(NEXT) | instid1(VALU_DEP_4)
	v_fma_f64 v[196:197], v[168:169], v[4:5], -v[188:189]
	v_fmac_f64_e32 v[192:193], v[170:171], v[4:5]
	ds_load_b128 v[4:7], v2 offset:1408
	ds_load_b128 v[168:171], v2 offset:1424
	scratch_load_b128 v[188:191], off, off offset:592
	v_fmac_f64_e32 v[194:195], v[178:179], v[8:9]
	v_fma_f64 v[176:177], v[176:177], v[8:9], -v[10:11]
	scratch_load_b128 v[8:11], off, off offset:608
	s_wait_loadcnt_dscnt 0xc01
	v_mul_f64_e32 v[198:199], v[4:5], v[14:15]
	v_mul_f64_e32 v[14:15], v[6:7], v[14:15]
	v_add_f64_e32 v[178:179], 0, v[196:197]
	v_add_f64_e32 v[192:193], 0, v[192:193]
	s_wait_loadcnt_dscnt 0xb00
	v_mul_f64_e32 v[196:197], v[168:169], v[142:143]
	v_mul_f64_e32 v[142:143], v[170:171], v[142:143]
	v_fmac_f64_e32 v[198:199], v[6:7], v[12:13]
	v_fma_f64 v[200:201], v[4:5], v[12:13], -v[14:15]
	ds_load_b128 v[4:7], v2 offset:1440
	ds_load_b128 v[12:15], v2 offset:1456
	v_add_f64_e32 v[202:203], v[178:179], v[176:177]
	v_add_f64_e32 v[192:193], v[192:193], v[194:195]
	scratch_load_b128 v[176:179], off, off offset:624
	v_fmac_f64_e32 v[196:197], v[170:171], v[140:141]
	v_fma_f64 v[168:169], v[168:169], v[140:141], -v[142:143]
	scratch_load_b128 v[140:143], off, off offset:640
	s_wait_loadcnt_dscnt 0xc01
	v_mul_f64_e32 v[194:195], v[4:5], v[146:147]
	v_mul_f64_e32 v[146:147], v[6:7], v[146:147]
	v_add_f64_e32 v[170:171], v[202:203], v[200:201]
	v_add_f64_e32 v[192:193], v[192:193], v[198:199]
	s_wait_loadcnt_dscnt 0xb00
	v_mul_f64_e32 v[198:199], v[12:13], v[150:151]
	v_mul_f64_e32 v[150:151], v[14:15], v[150:151]
	v_fmac_f64_e32 v[194:195], v[6:7], v[144:145]
	v_fma_f64 v[200:201], v[4:5], v[144:145], -v[146:147]
	ds_load_b128 v[4:7], v2 offset:1472
	ds_load_b128 v[144:147], v2 offset:1488
	v_add_f64_e32 v[202:203], v[170:171], v[168:169]
	v_add_f64_e32 v[192:193], v[192:193], v[196:197]
	scratch_load_b128 v[168:171], off, off offset:656
	s_wait_loadcnt_dscnt 0xb01
	v_mul_f64_e32 v[196:197], v[4:5], v[154:155]
	v_mul_f64_e32 v[154:155], v[6:7], v[154:155]
	v_fmac_f64_e32 v[198:199], v[14:15], v[148:149]
	v_fma_f64 v[148:149], v[12:13], v[148:149], -v[150:151]
	scratch_load_b128 v[12:15], off, off offset:672
	v_add_f64_e32 v[150:151], v[202:203], v[200:201]
	v_add_f64_e32 v[192:193], v[192:193], v[194:195]
	s_wait_loadcnt_dscnt 0xb00
	v_mul_f64_e32 v[194:195], v[144:145], v[158:159]
	v_mul_f64_e32 v[158:159], v[146:147], v[158:159]
	v_fmac_f64_e32 v[196:197], v[6:7], v[152:153]
	v_fma_f64 v[200:201], v[4:5], v[152:153], -v[154:155]
	v_add_f64_e32 v[202:203], v[150:151], v[148:149]
	v_add_f64_e32 v[192:193], v[192:193], v[198:199]
	ds_load_b128 v[4:7], v2 offset:1504
	ds_load_b128 v[148:151], v2 offset:1520
	scratch_load_b128 v[152:155], off, off offset:688
	v_fmac_f64_e32 v[194:195], v[146:147], v[156:157]
	v_fma_f64 v[156:157], v[144:145], v[156:157], -v[158:159]
	scratch_load_b128 v[144:147], off, off offset:704
	s_wait_loadcnt_dscnt 0xc01
	v_mul_f64_e32 v[198:199], v[4:5], v[162:163]
	v_mul_f64_e32 v[162:163], v[6:7], v[162:163]
	v_add_f64_e32 v[158:159], v[202:203], v[200:201]
	v_add_f64_e32 v[192:193], v[192:193], v[196:197]
	s_wait_loadcnt_dscnt 0xb00
	v_mul_f64_e32 v[196:197], v[148:149], v[166:167]
	v_mul_f64_e32 v[166:167], v[150:151], v[166:167]
	v_fmac_f64_e32 v[198:199], v[6:7], v[160:161]
	v_fma_f64 v[200:201], v[4:5], v[160:161], -v[162:163]
	v_add_f64_e32 v[202:203], v[158:159], v[156:157]
	v_add_f64_e32 v[192:193], v[192:193], v[194:195]
	ds_load_b128 v[4:7], v2 offset:1536
	ds_load_b128 v[156:159], v2 offset:1552
	scratch_load_b128 v[160:163], off, off offset:720
	v_fmac_f64_e32 v[196:197], v[150:151], v[164:165]
	v_fma_f64 v[164:165], v[148:149], v[164:165], -v[166:167]
	scratch_load_b128 v[148:151], off, off offset:736
	s_wait_loadcnt_dscnt 0xc01
	v_mul_f64_e32 v[194:195], v[4:5], v[174:175]
	v_mul_f64_e32 v[174:175], v[6:7], v[174:175]
	;; [unrolled: 18-line block ×5, first 2 shown]
	v_add_f64_e32 v[186:187], v[202:203], v[200:201]
	v_add_f64_e32 v[192:193], v[192:193], v[198:199]
	s_wait_loadcnt_dscnt 0xa00
	v_mul_f64_e32 v[198:199], v[164:165], v[14:15]
	v_mul_f64_e32 v[14:15], v[166:167], v[14:15]
	v_fmac_f64_e32 v[194:195], v[6:7], v[168:169]
	v_fma_f64 v[200:201], v[4:5], v[168:169], -v[170:171]
	ds_load_b128 v[4:7], v2 offset:1664
	ds_load_b128 v[168:171], v2 offset:1680
	v_add_f64_e32 v[202:203], v[186:187], v[184:185]
	v_add_f64_e32 v[192:193], v[192:193], v[196:197]
	scratch_load_b128 v[184:187], off, off offset:848
	v_fmac_f64_e32 v[198:199], v[166:167], v[12:13]
	v_fma_f64 v[164:165], v[164:165], v[12:13], -v[14:15]
	scratch_load_b128 v[12:15], off, off offset:864
	s_wait_loadcnt_dscnt 0xb01
	v_mul_f64_e32 v[196:197], v[4:5], v[154:155]
	v_mul_f64_e32 v[154:155], v[6:7], v[154:155]
	v_add_f64_e32 v[166:167], v[202:203], v[200:201]
	v_add_f64_e32 v[192:193], v[192:193], v[194:195]
	s_wait_loadcnt_dscnt 0xa00
	v_mul_f64_e32 v[194:195], v[168:169], v[146:147]
	v_mul_f64_e32 v[146:147], v[170:171], v[146:147]
	v_fmac_f64_e32 v[196:197], v[6:7], v[152:153]
	v_fma_f64 v[200:201], v[4:5], v[152:153], -v[154:155]
	ds_load_b128 v[4:7], v2 offset:1696
	ds_load_b128 v[152:155], v2 offset:1712
	v_add_f64_e32 v[202:203], v[166:167], v[164:165]
	v_add_f64_e32 v[192:193], v[192:193], v[198:199]
	scratch_load_b128 v[164:167], off, off offset:880
	s_wait_loadcnt_dscnt 0xa01
	v_mul_f64_e32 v[198:199], v[4:5], v[162:163]
	v_mul_f64_e32 v[162:163], v[6:7], v[162:163]
	v_fmac_f64_e32 v[194:195], v[170:171], v[144:145]
	v_fma_f64 v[168:169], v[168:169], v[144:145], -v[146:147]
	scratch_load_b128 v[144:147], off, off offset:896
	v_add_f64_e32 v[170:171], v[202:203], v[200:201]
	v_add_f64_e32 v[192:193], v[192:193], v[196:197]
	s_wait_loadcnt_dscnt 0xa00
	v_mul_f64_e32 v[196:197], v[152:153], v[150:151]
	v_mul_f64_e32 v[150:151], v[154:155], v[150:151]
	v_fmac_f64_e32 v[198:199], v[6:7], v[160:161]
	v_fma_f64 v[200:201], v[4:5], v[160:161], -v[162:163]
	ds_load_b128 v[4:7], v2 offset:1728
	ds_load_b128 v[160:163], v2 offset:1744
	v_add_f64_e32 v[202:203], v[170:171], v[168:169]
	v_add_f64_e32 v[192:193], v[192:193], v[194:195]
	scratch_load_b128 v[168:171], off, off offset:912
	s_wait_loadcnt_dscnt 0xa01
	v_mul_f64_e32 v[194:195], v[4:5], v[174:175]
	v_mul_f64_e32 v[174:175], v[6:7], v[174:175]
	v_fmac_f64_e32 v[196:197], v[154:155], v[148:149]
	v_fma_f64 v[152:153], v[152:153], v[148:149], -v[150:151]
	scratch_load_b128 v[148:151], off, off offset:928
	v_add_f64_e32 v[154:155], v[202:203], v[200:201]
	v_add_f64_e32 v[192:193], v[192:193], v[198:199]
	s_wait_loadcnt_dscnt 0xa00
	v_mul_f64_e32 v[198:199], v[160:161], v[158:159]
	v_mul_f64_e32 v[158:159], v[162:163], v[158:159]
	v_fmac_f64_e32 v[194:195], v[6:7], v[172:173]
	v_fma_f64 v[200:201], v[4:5], v[172:173], -v[174:175]
	v_add_f64_e32 v[202:203], v[154:155], v[152:153]
	v_add_f64_e32 v[192:193], v[192:193], v[196:197]
	ds_load_b128 v[4:7], v2 offset:1760
	ds_load_b128 v[152:155], v2 offset:1776
	scratch_load_b128 v[172:175], off, off offset:944
	v_fmac_f64_e32 v[198:199], v[162:163], v[156:157]
	v_fma_f64 v[160:161], v[160:161], v[156:157], -v[158:159]
	scratch_load_b128 v[156:159], off, off offset:960
	s_wait_loadcnt_dscnt 0xb01
	v_mul_f64_e32 v[196:197], v[4:5], v[190:191]
	v_mul_f64_e32 v[190:191], v[6:7], v[190:191]
	v_add_f64_e32 v[162:163], v[202:203], v[200:201]
	v_add_f64_e32 v[192:193], v[192:193], v[194:195]
	s_wait_loadcnt_dscnt 0xa00
	v_mul_f64_e32 v[194:195], v[152:153], v[10:11]
	v_mul_f64_e32 v[10:11], v[154:155], v[10:11]
	v_fmac_f64_e32 v[196:197], v[6:7], v[188:189]
	v_fma_f64 v[188:189], v[4:5], v[188:189], -v[190:191]
	v_add_f64_e32 v[190:191], v[162:163], v[160:161]
	v_add_f64_e32 v[192:193], v[192:193], v[198:199]
	ds_load_b128 v[4:7], v2 offset:1792
	ds_load_b128 v[160:163], v2 offset:1808
	v_fmac_f64_e32 v[194:195], v[154:155], v[8:9]
	v_fma_f64 v[8:9], v[152:153], v[8:9], -v[10:11]
	s_wait_loadcnt_dscnt 0x901
	v_mul_f64_e32 v[198:199], v[4:5], v[178:179]
	v_mul_f64_e32 v[178:179], v[6:7], v[178:179]
	s_wait_loadcnt_dscnt 0x800
	v_mul_f64_e32 v[154:155], v[160:161], v[142:143]
	v_mul_f64_e32 v[142:143], v[162:163], v[142:143]
	v_add_f64_e32 v[10:11], v[190:191], v[188:189]
	v_add_f64_e32 v[152:153], v[192:193], v[196:197]
	v_fmac_f64_e32 v[198:199], v[6:7], v[176:177]
	v_fma_f64 v[176:177], v[4:5], v[176:177], -v[178:179]
	v_fmac_f64_e32 v[154:155], v[162:163], v[140:141]
	v_fma_f64 v[140:141], v[160:161], v[140:141], -v[142:143]
	v_add_f64_e32 v[178:179], v[10:11], v[8:9]
	v_add_f64_e32 v[152:153], v[152:153], v[194:195]
	ds_load_b128 v[4:7], v2 offset:1824
	ds_load_b128 v[8:11], v2 offset:1840
	s_wait_loadcnt_dscnt 0x701
	v_mul_f64_e32 v[188:189], v[4:5], v[186:187]
	v_mul_f64_e32 v[186:187], v[6:7], v[186:187]
	s_wait_loadcnt_dscnt 0x600
	v_mul_f64_e32 v[160:161], v[8:9], v[14:15]
	v_mul_f64_e32 v[14:15], v[10:11], v[14:15]
	v_add_f64_e32 v[142:143], v[178:179], v[176:177]
	v_add_f64_e32 v[152:153], v[152:153], v[198:199]
	v_fmac_f64_e32 v[188:189], v[6:7], v[184:185]
	v_fma_f64 v[162:163], v[4:5], v[184:185], -v[186:187]
	v_fmac_f64_e32 v[160:161], v[10:11], v[12:13]
	v_fma_f64 v[8:9], v[8:9], v[12:13], -v[14:15]
	v_add_f64_e32 v[176:177], v[142:143], v[140:141]
	v_add_f64_e32 v[152:153], v[152:153], v[154:155]
	ds_load_b128 v[4:7], v2 offset:1856
	ds_load_b128 v[140:143], v2 offset:1872
	;; [unrolled: 16-line block ×4, first 2 shown]
	s_wait_loadcnt_dscnt 0x101
	v_mul_f64_e32 v[2:3], v[4:5], v[174:175]
	v_mul_f64_e32 v[152:153], v[6:7], v[174:175]
	s_wait_loadcnt_dscnt 0x0
	v_mul_f64_e32 v[146:147], v[14:15], v[158:159]
	v_add_f64_e32 v[10:11], v[140:141], v[150:151]
	v_add_f64_e32 v[140:141], v[142:143], v[160:161]
	v_mul_f64_e32 v[142:143], v[12:13], v[158:159]
	v_fmac_f64_e32 v[2:3], v[6:7], v[172:173]
	v_fma_f64 v[4:5], v[4:5], v[172:173], -v[152:153]
	v_add_f64_e32 v[6:7], v[10:11], v[8:9]
	v_add_f64_e32 v[8:9], v[140:141], v[144:145]
	v_fmac_f64_e32 v[142:143], v[14:15], v[156:157]
	v_fma_f64 v[10:11], v[12:13], v[156:157], -v[146:147]
	s_delay_alu instid0(VALU_DEP_4) | instskip(NEXT) | instid1(VALU_DEP_4)
	v_add_f64_e32 v[4:5], v[6:7], v[4:5]
	v_add_f64_e32 v[2:3], v[8:9], v[2:3]
	s_delay_alu instid0(VALU_DEP_2) | instskip(NEXT) | instid1(VALU_DEP_2)
	v_add_f64_e32 v[4:5], v[4:5], v[10:11]
	v_add_f64_e32 v[6:7], v[2:3], v[142:143]
	s_delay_alu instid0(VALU_DEP_2) | instskip(NEXT) | instid1(VALU_DEP_2)
	v_add_f64_e64 v[2:3], v[180:181], -v[4:5]
	v_add_f64_e64 v[4:5], v[182:183], -v[6:7]
	scratch_store_b128 off, v[2:5], off offset:384
	s_wait_xcnt 0x0
	v_cmpx_lt_u32_e32 23, v1
	s_cbranch_execz .LBB124_345
; %bb.344:
	scratch_load_b128 v[2:5], off, s56
	v_mov_b32_e32 v6, 0
	s_delay_alu instid0(VALU_DEP_1)
	v_dual_mov_b32 v7, v6 :: v_dual_mov_b32 v8, v6
	v_mov_b32_e32 v9, v6
	scratch_store_b128 off, v[6:9], off offset:368
	s_wait_loadcnt 0x0
	ds_store_b128 v138, v[2:5]
.LBB124_345:
	s_wait_xcnt 0x0
	s_or_b32 exec_lo, exec_lo, s2
	s_wait_storecnt_dscnt 0x0
	s_barrier_signal -1
	s_barrier_wait -1
	s_clause 0x9
	scratch_load_b128 v[4:7], off, off offset:384
	scratch_load_b128 v[8:11], off, off offset:400
	scratch_load_b128 v[12:15], off, off offset:416
	scratch_load_b128 v[140:143], off, off offset:432
	scratch_load_b128 v[144:147], off, off offset:448
	scratch_load_b128 v[148:151], off, off offset:464
	scratch_load_b128 v[152:155], off, off offset:480
	scratch_load_b128 v[156:159], off, off offset:496
	scratch_load_b128 v[160:163], off, off offset:512
	scratch_load_b128 v[164:167], off, off offset:528
	v_mov_b32_e32 v2, 0
	s_mov_b32 s2, exec_lo
	ds_load_b128 v[168:171], v2 offset:1360
	s_clause 0x2
	scratch_load_b128 v[172:175], off, off offset:544
	scratch_load_b128 v[176:179], off, off offset:368
	;; [unrolled: 1-line block ×3, first 2 shown]
	s_wait_loadcnt_dscnt 0xc00
	v_mul_f64_e32 v[188:189], v[170:171], v[6:7]
	v_mul_f64_e32 v[192:193], v[168:169], v[6:7]
	ds_load_b128 v[180:183], v2 offset:1376
	v_fma_f64 v[196:197], v[168:169], v[4:5], -v[188:189]
	v_fmac_f64_e32 v[192:193], v[170:171], v[4:5]
	ds_load_b128 v[4:7], v2 offset:1392
	s_wait_loadcnt_dscnt 0xb01
	v_mul_f64_e32 v[194:195], v[180:181], v[10:11]
	v_mul_f64_e32 v[10:11], v[182:183], v[10:11]
	scratch_load_b128 v[168:171], off, off offset:576
	ds_load_b128 v[188:191], v2 offset:1408
	s_wait_loadcnt_dscnt 0xb01
	v_mul_f64_e32 v[198:199], v[4:5], v[14:15]
	v_mul_f64_e32 v[14:15], v[6:7], v[14:15]
	v_add_f64_e32 v[192:193], 0, v[192:193]
	v_fmac_f64_e32 v[194:195], v[182:183], v[8:9]
	v_fma_f64 v[180:181], v[180:181], v[8:9], -v[10:11]
	v_add_f64_e32 v[182:183], 0, v[196:197]
	scratch_load_b128 v[8:11], off, off offset:592
	v_fmac_f64_e32 v[198:199], v[6:7], v[12:13]
	v_fma_f64 v[200:201], v[4:5], v[12:13], -v[14:15]
	ds_load_b128 v[4:7], v2 offset:1424
	s_wait_loadcnt_dscnt 0xb01
	v_mul_f64_e32 v[196:197], v[188:189], v[142:143]
	v_mul_f64_e32 v[142:143], v[190:191], v[142:143]
	scratch_load_b128 v[12:15], off, off offset:608
	v_add_f64_e32 v[192:193], v[192:193], v[194:195]
	v_add_f64_e32 v[202:203], v[182:183], v[180:181]
	ds_load_b128 v[180:183], v2 offset:1440
	s_wait_loadcnt_dscnt 0xb01
	v_mul_f64_e32 v[194:195], v[4:5], v[146:147]
	v_mul_f64_e32 v[146:147], v[6:7], v[146:147]
	v_fmac_f64_e32 v[196:197], v[190:191], v[140:141]
	v_fma_f64 v[188:189], v[188:189], v[140:141], -v[142:143]
	scratch_load_b128 v[140:143], off, off offset:624
	v_add_f64_e32 v[192:193], v[192:193], v[198:199]
	v_add_f64_e32 v[190:191], v[202:203], v[200:201]
	v_fmac_f64_e32 v[194:195], v[6:7], v[144:145]
	v_fma_f64 v[200:201], v[4:5], v[144:145], -v[146:147]
	ds_load_b128 v[4:7], v2 offset:1456
	s_wait_loadcnt_dscnt 0xb01
	v_mul_f64_e32 v[198:199], v[180:181], v[150:151]
	v_mul_f64_e32 v[150:151], v[182:183], v[150:151]
	scratch_load_b128 v[144:147], off, off offset:640
	v_add_f64_e32 v[192:193], v[192:193], v[196:197]
	s_wait_loadcnt_dscnt 0xb00
	v_mul_f64_e32 v[196:197], v[4:5], v[154:155]
	v_add_f64_e32 v[202:203], v[190:191], v[188:189]
	v_mul_f64_e32 v[154:155], v[6:7], v[154:155]
	ds_load_b128 v[188:191], v2 offset:1472
	v_fmac_f64_e32 v[198:199], v[182:183], v[148:149]
	v_fma_f64 v[180:181], v[180:181], v[148:149], -v[150:151]
	scratch_load_b128 v[148:151], off, off offset:656
	v_add_f64_e32 v[192:193], v[192:193], v[194:195]
	v_fmac_f64_e32 v[196:197], v[6:7], v[152:153]
	v_add_f64_e32 v[182:183], v[202:203], v[200:201]
	v_fma_f64 v[200:201], v[4:5], v[152:153], -v[154:155]
	ds_load_b128 v[4:7], v2 offset:1488
	s_wait_loadcnt_dscnt 0xb01
	v_mul_f64_e32 v[194:195], v[188:189], v[158:159]
	v_mul_f64_e32 v[158:159], v[190:191], v[158:159]
	scratch_load_b128 v[152:155], off, off offset:672
	v_add_f64_e32 v[192:193], v[192:193], v[198:199]
	s_wait_loadcnt_dscnt 0xb00
	v_mul_f64_e32 v[198:199], v[4:5], v[162:163]
	v_add_f64_e32 v[202:203], v[182:183], v[180:181]
	v_mul_f64_e32 v[162:163], v[6:7], v[162:163]
	ds_load_b128 v[180:183], v2 offset:1504
	v_fmac_f64_e32 v[194:195], v[190:191], v[156:157]
	v_fma_f64 v[188:189], v[188:189], v[156:157], -v[158:159]
	scratch_load_b128 v[156:159], off, off offset:688
	v_add_f64_e32 v[192:193], v[192:193], v[196:197]
	v_fmac_f64_e32 v[198:199], v[6:7], v[160:161]
	v_add_f64_e32 v[190:191], v[202:203], v[200:201]
	;; [unrolled: 18-line block ×3, first 2 shown]
	v_fma_f64 v[200:201], v[4:5], v[172:173], -v[174:175]
	ds_load_b128 v[4:7], v2 offset:1552
	s_wait_loadcnt_dscnt 0xa01
	v_mul_f64_e32 v[198:199], v[188:189], v[186:187]
	v_mul_f64_e32 v[186:187], v[190:191], v[186:187]
	scratch_load_b128 v[172:175], off, off offset:736
	v_add_f64_e32 v[192:193], v[192:193], v[196:197]
	v_add_f64_e32 v[202:203], v[182:183], v[180:181]
	s_wait_loadcnt_dscnt 0xa00
	v_mul_f64_e32 v[196:197], v[4:5], v[170:171]
	v_mul_f64_e32 v[170:171], v[6:7], v[170:171]
	v_fmac_f64_e32 v[198:199], v[190:191], v[184:185]
	v_fma_f64 v[188:189], v[188:189], v[184:185], -v[186:187]
	ds_load_b128 v[180:183], v2 offset:1568
	scratch_load_b128 v[184:187], off, off offset:752
	v_add_f64_e32 v[192:193], v[192:193], v[194:195]
	v_add_f64_e32 v[190:191], v[202:203], v[200:201]
	v_fmac_f64_e32 v[196:197], v[6:7], v[168:169]
	v_fma_f64 v[200:201], v[4:5], v[168:169], -v[170:171]
	ds_load_b128 v[4:7], v2 offset:1584
	s_wait_loadcnt_dscnt 0xa01
	v_mul_f64_e32 v[194:195], v[180:181], v[10:11]
	v_mul_f64_e32 v[10:11], v[182:183], v[10:11]
	scratch_load_b128 v[168:171], off, off offset:768
	v_add_f64_e32 v[192:193], v[192:193], v[198:199]
	s_wait_loadcnt_dscnt 0xa00
	v_mul_f64_e32 v[198:199], v[4:5], v[14:15]
	v_add_f64_e32 v[202:203], v[190:191], v[188:189]
	v_mul_f64_e32 v[14:15], v[6:7], v[14:15]
	ds_load_b128 v[188:191], v2 offset:1600
	v_fmac_f64_e32 v[194:195], v[182:183], v[8:9]
	v_fma_f64 v[180:181], v[180:181], v[8:9], -v[10:11]
	scratch_load_b128 v[8:11], off, off offset:784
	v_add_f64_e32 v[192:193], v[192:193], v[196:197]
	v_fmac_f64_e32 v[198:199], v[6:7], v[12:13]
	v_add_f64_e32 v[182:183], v[202:203], v[200:201]
	v_fma_f64 v[200:201], v[4:5], v[12:13], -v[14:15]
	ds_load_b128 v[4:7], v2 offset:1616
	s_wait_loadcnt_dscnt 0xa01
	v_mul_f64_e32 v[196:197], v[188:189], v[142:143]
	v_mul_f64_e32 v[142:143], v[190:191], v[142:143]
	scratch_load_b128 v[12:15], off, off offset:800
	v_add_f64_e32 v[192:193], v[192:193], v[194:195]
	s_wait_loadcnt_dscnt 0xa00
	v_mul_f64_e32 v[194:195], v[4:5], v[146:147]
	v_add_f64_e32 v[202:203], v[182:183], v[180:181]
	v_mul_f64_e32 v[146:147], v[6:7], v[146:147]
	ds_load_b128 v[180:183], v2 offset:1632
	v_fmac_f64_e32 v[196:197], v[190:191], v[140:141]
	v_fma_f64 v[188:189], v[188:189], v[140:141], -v[142:143]
	scratch_load_b128 v[140:143], off, off offset:816
	v_add_f64_e32 v[192:193], v[192:193], v[198:199]
	v_fmac_f64_e32 v[194:195], v[6:7], v[144:145]
	v_add_f64_e32 v[190:191], v[202:203], v[200:201]
	v_fma_f64 v[200:201], v[4:5], v[144:145], -v[146:147]
	ds_load_b128 v[4:7], v2 offset:1648
	s_wait_loadcnt_dscnt 0xa01
	v_mul_f64_e32 v[198:199], v[180:181], v[150:151]
	v_mul_f64_e32 v[150:151], v[182:183], v[150:151]
	scratch_load_b128 v[144:147], off, off offset:832
	v_add_f64_e32 v[192:193], v[192:193], v[196:197]
	s_wait_loadcnt_dscnt 0xa00
	v_mul_f64_e32 v[196:197], v[4:5], v[154:155]
	v_add_f64_e32 v[202:203], v[190:191], v[188:189]
	v_mul_f64_e32 v[154:155], v[6:7], v[154:155]
	ds_load_b128 v[188:191], v2 offset:1664
	v_fmac_f64_e32 v[198:199], v[182:183], v[148:149]
	v_fma_f64 v[180:181], v[180:181], v[148:149], -v[150:151]
	scratch_load_b128 v[148:151], off, off offset:848
	v_add_f64_e32 v[192:193], v[192:193], v[194:195]
	v_fmac_f64_e32 v[196:197], v[6:7], v[152:153]
	v_add_f64_e32 v[182:183], v[202:203], v[200:201]
	v_fma_f64 v[200:201], v[4:5], v[152:153], -v[154:155]
	ds_load_b128 v[4:7], v2 offset:1680
	s_wait_loadcnt_dscnt 0xa01
	v_mul_f64_e32 v[194:195], v[188:189], v[158:159]
	v_mul_f64_e32 v[158:159], v[190:191], v[158:159]
	scratch_load_b128 v[152:155], off, off offset:864
	v_add_f64_e32 v[192:193], v[192:193], v[198:199]
	s_wait_loadcnt_dscnt 0xa00
	v_mul_f64_e32 v[198:199], v[4:5], v[162:163]
	v_add_f64_e32 v[202:203], v[182:183], v[180:181]
	v_mul_f64_e32 v[162:163], v[6:7], v[162:163]
	ds_load_b128 v[180:183], v2 offset:1696
	v_fmac_f64_e32 v[194:195], v[190:191], v[156:157]
	v_fma_f64 v[188:189], v[188:189], v[156:157], -v[158:159]
	scratch_load_b128 v[156:159], off, off offset:880
	v_add_f64_e32 v[192:193], v[192:193], v[196:197]
	v_fmac_f64_e32 v[198:199], v[6:7], v[160:161]
	v_add_f64_e32 v[190:191], v[202:203], v[200:201]
	v_fma_f64 v[200:201], v[4:5], v[160:161], -v[162:163]
	ds_load_b128 v[4:7], v2 offset:1712
	s_wait_loadcnt_dscnt 0xa01
	v_mul_f64_e32 v[196:197], v[180:181], v[166:167]
	v_mul_f64_e32 v[166:167], v[182:183], v[166:167]
	scratch_load_b128 v[160:163], off, off offset:896
	v_add_f64_e32 v[192:193], v[192:193], v[194:195]
	s_wait_loadcnt_dscnt 0xa00
	v_mul_f64_e32 v[194:195], v[4:5], v[174:175]
	v_add_f64_e32 v[202:203], v[190:191], v[188:189]
	v_mul_f64_e32 v[174:175], v[6:7], v[174:175]
	ds_load_b128 v[188:191], v2 offset:1728
	v_fmac_f64_e32 v[196:197], v[182:183], v[164:165]
	v_fma_f64 v[180:181], v[180:181], v[164:165], -v[166:167]
	scratch_load_b128 v[164:167], off, off offset:912
	v_add_f64_e32 v[192:193], v[192:193], v[198:199]
	v_fmac_f64_e32 v[194:195], v[6:7], v[172:173]
	v_add_f64_e32 v[182:183], v[202:203], v[200:201]
	v_fma_f64 v[200:201], v[4:5], v[172:173], -v[174:175]
	ds_load_b128 v[4:7], v2 offset:1744
	s_wait_loadcnt_dscnt 0xa01
	v_mul_f64_e32 v[198:199], v[188:189], v[186:187]
	v_mul_f64_e32 v[186:187], v[190:191], v[186:187]
	scratch_load_b128 v[172:175], off, off offset:928
	v_add_f64_e32 v[192:193], v[192:193], v[196:197]
	s_wait_loadcnt_dscnt 0xa00
	v_mul_f64_e32 v[196:197], v[4:5], v[170:171]
	v_add_f64_e32 v[202:203], v[182:183], v[180:181]
	v_mul_f64_e32 v[170:171], v[6:7], v[170:171]
	ds_load_b128 v[180:183], v2 offset:1760
	v_fmac_f64_e32 v[198:199], v[190:191], v[184:185]
	v_fma_f64 v[188:189], v[188:189], v[184:185], -v[186:187]
	scratch_load_b128 v[184:187], off, off offset:944
	v_add_f64_e32 v[192:193], v[192:193], v[194:195]
	v_fmac_f64_e32 v[196:197], v[6:7], v[168:169]
	v_add_f64_e32 v[190:191], v[202:203], v[200:201]
	v_fma_f64 v[200:201], v[4:5], v[168:169], -v[170:171]
	ds_load_b128 v[4:7], v2 offset:1776
	s_wait_loadcnt_dscnt 0xa01
	v_mul_f64_e32 v[194:195], v[180:181], v[10:11]
	v_mul_f64_e32 v[10:11], v[182:183], v[10:11]
	scratch_load_b128 v[168:171], off, off offset:960
	v_add_f64_e32 v[192:193], v[192:193], v[198:199]
	s_wait_loadcnt_dscnt 0xa00
	v_mul_f64_e32 v[198:199], v[4:5], v[14:15]
	v_add_f64_e32 v[202:203], v[190:191], v[188:189]
	v_mul_f64_e32 v[14:15], v[6:7], v[14:15]
	ds_load_b128 v[188:191], v2 offset:1792
	v_fmac_f64_e32 v[194:195], v[182:183], v[8:9]
	v_fma_f64 v[8:9], v[180:181], v[8:9], -v[10:11]
	s_wait_loadcnt_dscnt 0x900
	v_mul_f64_e32 v[182:183], v[188:189], v[142:143]
	v_mul_f64_e32 v[142:143], v[190:191], v[142:143]
	v_add_f64_e32 v[180:181], v[192:193], v[196:197]
	v_fmac_f64_e32 v[198:199], v[6:7], v[12:13]
	v_add_f64_e32 v[10:11], v[202:203], v[200:201]
	v_fma_f64 v[12:13], v[4:5], v[12:13], -v[14:15]
	v_fmac_f64_e32 v[182:183], v[190:191], v[140:141]
	v_fma_f64 v[140:141], v[188:189], v[140:141], -v[142:143]
	v_add_f64_e32 v[180:181], v[180:181], v[194:195]
	v_add_f64_e32 v[14:15], v[10:11], v[8:9]
	ds_load_b128 v[4:7], v2 offset:1808
	ds_load_b128 v[8:11], v2 offset:1824
	s_wait_loadcnt_dscnt 0x801
	v_mul_f64_e32 v[192:193], v[4:5], v[146:147]
	v_mul_f64_e32 v[146:147], v[6:7], v[146:147]
	s_wait_loadcnt_dscnt 0x700
	v_mul_f64_e32 v[142:143], v[8:9], v[150:151]
	v_mul_f64_e32 v[150:151], v[10:11], v[150:151]
	v_add_f64_e32 v[12:13], v[14:15], v[12:13]
	v_add_f64_e32 v[14:15], v[180:181], v[198:199]
	v_fmac_f64_e32 v[192:193], v[6:7], v[144:145]
	v_fma_f64 v[144:145], v[4:5], v[144:145], -v[146:147]
	v_fmac_f64_e32 v[142:143], v[10:11], v[148:149]
	v_fma_f64 v[8:9], v[8:9], v[148:149], -v[150:151]
	v_add_f64_e32 v[140:141], v[12:13], v[140:141]
	v_add_f64_e32 v[146:147], v[14:15], v[182:183]
	ds_load_b128 v[4:7], v2 offset:1840
	ds_load_b128 v[12:15], v2 offset:1856
	s_wait_loadcnt_dscnt 0x601
	v_mul_f64_e32 v[180:181], v[4:5], v[154:155]
	v_mul_f64_e32 v[154:155], v[6:7], v[154:155]
	v_add_f64_e32 v[10:11], v[140:141], v[144:145]
	v_add_f64_e32 v[140:141], v[146:147], v[192:193]
	s_wait_loadcnt_dscnt 0x500
	v_mul_f64_e32 v[144:145], v[12:13], v[158:159]
	v_mul_f64_e32 v[146:147], v[14:15], v[158:159]
	v_fmac_f64_e32 v[180:181], v[6:7], v[152:153]
	v_fma_f64 v[148:149], v[4:5], v[152:153], -v[154:155]
	v_add_f64_e32 v[150:151], v[10:11], v[8:9]
	v_add_f64_e32 v[140:141], v[140:141], v[142:143]
	ds_load_b128 v[4:7], v2 offset:1872
	ds_load_b128 v[8:11], v2 offset:1888
	v_fmac_f64_e32 v[144:145], v[14:15], v[156:157]
	v_fma_f64 v[12:13], v[12:13], v[156:157], -v[146:147]
	s_wait_loadcnt_dscnt 0x401
	v_mul_f64_e32 v[142:143], v[4:5], v[162:163]
	v_mul_f64_e32 v[152:153], v[6:7], v[162:163]
	s_wait_loadcnt_dscnt 0x300
	v_mul_f64_e32 v[146:147], v[8:9], v[166:167]
	v_add_f64_e32 v[14:15], v[150:151], v[148:149]
	v_add_f64_e32 v[140:141], v[140:141], v[180:181]
	v_mul_f64_e32 v[148:149], v[10:11], v[166:167]
	v_fmac_f64_e32 v[142:143], v[6:7], v[160:161]
	v_fma_f64 v[150:151], v[4:5], v[160:161], -v[152:153]
	v_fmac_f64_e32 v[146:147], v[10:11], v[164:165]
	v_add_f64_e32 v[152:153], v[14:15], v[12:13]
	v_add_f64_e32 v[140:141], v[140:141], v[144:145]
	ds_load_b128 v[4:7], v2 offset:1904
	ds_load_b128 v[12:15], v2 offset:1920
	v_fma_f64 v[8:9], v[8:9], v[164:165], -v[148:149]
	s_wait_loadcnt_dscnt 0x201
	v_mul_f64_e32 v[144:145], v[4:5], v[174:175]
	v_mul_f64_e32 v[154:155], v[6:7], v[174:175]
	s_wait_loadcnt_dscnt 0x100
	v_mul_f64_e32 v[148:149], v[14:15], v[186:187]
	v_add_f64_e32 v[10:11], v[152:153], v[150:151]
	v_add_f64_e32 v[140:141], v[140:141], v[142:143]
	v_mul_f64_e32 v[142:143], v[12:13], v[186:187]
	v_fmac_f64_e32 v[144:145], v[6:7], v[172:173]
	v_fma_f64 v[150:151], v[4:5], v[172:173], -v[154:155]
	ds_load_b128 v[4:7], v2 offset:1936
	v_fma_f64 v[12:13], v[12:13], v[184:185], -v[148:149]
	v_add_f64_e32 v[8:9], v[10:11], v[8:9]
	v_add_f64_e32 v[10:11], v[140:141], v[146:147]
	v_fmac_f64_e32 v[142:143], v[14:15], v[184:185]
	s_wait_loadcnt_dscnt 0x0
	v_mul_f64_e32 v[140:141], v[4:5], v[170:171]
	v_mul_f64_e32 v[146:147], v[6:7], v[170:171]
	v_add_f64_e32 v[8:9], v[8:9], v[150:151]
	v_add_f64_e32 v[10:11], v[10:11], v[144:145]
	s_delay_alu instid0(VALU_DEP_4) | instskip(NEXT) | instid1(VALU_DEP_4)
	v_fmac_f64_e32 v[140:141], v[6:7], v[168:169]
	v_fma_f64 v[4:5], v[4:5], v[168:169], -v[146:147]
	s_delay_alu instid0(VALU_DEP_4) | instskip(NEXT) | instid1(VALU_DEP_4)
	v_add_f64_e32 v[6:7], v[8:9], v[12:13]
	v_add_f64_e32 v[8:9], v[10:11], v[142:143]
	s_delay_alu instid0(VALU_DEP_2) | instskip(NEXT) | instid1(VALU_DEP_2)
	v_add_f64_e32 v[4:5], v[6:7], v[4:5]
	v_add_f64_e32 v[6:7], v[8:9], v[140:141]
	s_delay_alu instid0(VALU_DEP_2) | instskip(NEXT) | instid1(VALU_DEP_2)
	v_add_f64_e64 v[4:5], v[176:177], -v[4:5]
	v_add_f64_e64 v[6:7], v[178:179], -v[6:7]
	scratch_store_b128 off, v[4:7], off offset:368
	s_wait_xcnt 0x0
	v_cmpx_lt_u32_e32 22, v1
	s_cbranch_execz .LBB124_347
; %bb.346:
	scratch_load_b128 v[6:9], off, s57
	v_dual_mov_b32 v3, v2 :: v_dual_mov_b32 v4, v2
	v_mov_b32_e32 v5, v2
	scratch_store_b128 off, v[2:5], off offset:352
	s_wait_loadcnt 0x0
	ds_store_b128 v138, v[6:9]
.LBB124_347:
	s_wait_xcnt 0x0
	s_or_b32 exec_lo, exec_lo, s2
	s_wait_storecnt_dscnt 0x0
	s_barrier_signal -1
	s_barrier_wait -1
	s_clause 0x9
	scratch_load_b128 v[4:7], off, off offset:368
	scratch_load_b128 v[8:11], off, off offset:384
	;; [unrolled: 1-line block ×10, first 2 shown]
	ds_load_b128 v[168:171], v2 offset:1344
	ds_load_b128 v[176:179], v2 offset:1360
	s_clause 0x2
	scratch_load_b128 v[172:175], off, off offset:528
	scratch_load_b128 v[180:183], off, off offset:352
	;; [unrolled: 1-line block ×3, first 2 shown]
	s_mov_b32 s2, exec_lo
	s_wait_loadcnt_dscnt 0xc01
	v_mul_f64_e32 v[188:189], v[170:171], v[6:7]
	v_mul_f64_e32 v[192:193], v[168:169], v[6:7]
	s_wait_loadcnt_dscnt 0xb00
	v_mul_f64_e32 v[194:195], v[176:177], v[10:11]
	v_mul_f64_e32 v[10:11], v[178:179], v[10:11]
	s_delay_alu instid0(VALU_DEP_4) | instskip(NEXT) | instid1(VALU_DEP_4)
	v_fma_f64 v[196:197], v[168:169], v[4:5], -v[188:189]
	v_fmac_f64_e32 v[192:193], v[170:171], v[4:5]
	ds_load_b128 v[4:7], v2 offset:1376
	ds_load_b128 v[168:171], v2 offset:1392
	scratch_load_b128 v[188:191], off, off offset:560
	v_fmac_f64_e32 v[194:195], v[178:179], v[8:9]
	v_fma_f64 v[176:177], v[176:177], v[8:9], -v[10:11]
	scratch_load_b128 v[8:11], off, off offset:576
	s_wait_loadcnt_dscnt 0xc01
	v_mul_f64_e32 v[198:199], v[4:5], v[14:15]
	v_mul_f64_e32 v[14:15], v[6:7], v[14:15]
	v_add_f64_e32 v[178:179], 0, v[196:197]
	v_add_f64_e32 v[192:193], 0, v[192:193]
	s_wait_loadcnt_dscnt 0xb00
	v_mul_f64_e32 v[196:197], v[168:169], v[142:143]
	v_mul_f64_e32 v[142:143], v[170:171], v[142:143]
	v_fmac_f64_e32 v[198:199], v[6:7], v[12:13]
	v_fma_f64 v[200:201], v[4:5], v[12:13], -v[14:15]
	ds_load_b128 v[4:7], v2 offset:1408
	ds_load_b128 v[12:15], v2 offset:1424
	v_add_f64_e32 v[202:203], v[178:179], v[176:177]
	v_add_f64_e32 v[192:193], v[192:193], v[194:195]
	scratch_load_b128 v[176:179], off, off offset:592
	v_fmac_f64_e32 v[196:197], v[170:171], v[140:141]
	v_fma_f64 v[168:169], v[168:169], v[140:141], -v[142:143]
	scratch_load_b128 v[140:143], off, off offset:608
	s_wait_loadcnt_dscnt 0xc01
	v_mul_f64_e32 v[194:195], v[4:5], v[146:147]
	v_mul_f64_e32 v[146:147], v[6:7], v[146:147]
	v_add_f64_e32 v[170:171], v[202:203], v[200:201]
	v_add_f64_e32 v[192:193], v[192:193], v[198:199]
	s_wait_loadcnt_dscnt 0xb00
	v_mul_f64_e32 v[198:199], v[12:13], v[150:151]
	v_mul_f64_e32 v[150:151], v[14:15], v[150:151]
	v_fmac_f64_e32 v[194:195], v[6:7], v[144:145]
	v_fma_f64 v[200:201], v[4:5], v[144:145], -v[146:147]
	ds_load_b128 v[4:7], v2 offset:1440
	ds_load_b128 v[144:147], v2 offset:1456
	v_add_f64_e32 v[202:203], v[170:171], v[168:169]
	v_add_f64_e32 v[192:193], v[192:193], v[196:197]
	scratch_load_b128 v[168:171], off, off offset:624
	s_wait_loadcnt_dscnt 0xb01
	v_mul_f64_e32 v[196:197], v[4:5], v[154:155]
	v_mul_f64_e32 v[154:155], v[6:7], v[154:155]
	v_fmac_f64_e32 v[198:199], v[14:15], v[148:149]
	v_fma_f64 v[148:149], v[12:13], v[148:149], -v[150:151]
	scratch_load_b128 v[12:15], off, off offset:640
	v_add_f64_e32 v[150:151], v[202:203], v[200:201]
	v_add_f64_e32 v[192:193], v[192:193], v[194:195]
	s_wait_loadcnt_dscnt 0xb00
	v_mul_f64_e32 v[194:195], v[144:145], v[158:159]
	v_mul_f64_e32 v[158:159], v[146:147], v[158:159]
	v_fmac_f64_e32 v[196:197], v[6:7], v[152:153]
	v_fma_f64 v[200:201], v[4:5], v[152:153], -v[154:155]
	v_add_f64_e32 v[202:203], v[150:151], v[148:149]
	v_add_f64_e32 v[192:193], v[192:193], v[198:199]
	ds_load_b128 v[4:7], v2 offset:1472
	ds_load_b128 v[148:151], v2 offset:1488
	scratch_load_b128 v[152:155], off, off offset:656
	v_fmac_f64_e32 v[194:195], v[146:147], v[156:157]
	v_fma_f64 v[156:157], v[144:145], v[156:157], -v[158:159]
	scratch_load_b128 v[144:147], off, off offset:672
	s_wait_loadcnt_dscnt 0xc01
	v_mul_f64_e32 v[198:199], v[4:5], v[162:163]
	v_mul_f64_e32 v[162:163], v[6:7], v[162:163]
	v_add_f64_e32 v[158:159], v[202:203], v[200:201]
	v_add_f64_e32 v[192:193], v[192:193], v[196:197]
	s_wait_loadcnt_dscnt 0xb00
	v_mul_f64_e32 v[196:197], v[148:149], v[166:167]
	v_mul_f64_e32 v[166:167], v[150:151], v[166:167]
	v_fmac_f64_e32 v[198:199], v[6:7], v[160:161]
	v_fma_f64 v[200:201], v[4:5], v[160:161], -v[162:163]
	v_add_f64_e32 v[202:203], v[158:159], v[156:157]
	v_add_f64_e32 v[192:193], v[192:193], v[194:195]
	ds_load_b128 v[4:7], v2 offset:1504
	ds_load_b128 v[156:159], v2 offset:1520
	scratch_load_b128 v[160:163], off, off offset:688
	v_fmac_f64_e32 v[196:197], v[150:151], v[164:165]
	v_fma_f64 v[164:165], v[148:149], v[164:165], -v[166:167]
	scratch_load_b128 v[148:151], off, off offset:704
	s_wait_loadcnt_dscnt 0xc01
	v_mul_f64_e32 v[194:195], v[4:5], v[174:175]
	v_mul_f64_e32 v[174:175], v[6:7], v[174:175]
	;; [unrolled: 18-line block ×5, first 2 shown]
	v_add_f64_e32 v[186:187], v[202:203], v[200:201]
	v_add_f64_e32 v[192:193], v[192:193], v[198:199]
	s_wait_loadcnt_dscnt 0xa00
	v_mul_f64_e32 v[198:199], v[164:165], v[14:15]
	v_mul_f64_e32 v[14:15], v[166:167], v[14:15]
	v_fmac_f64_e32 v[194:195], v[6:7], v[168:169]
	v_fma_f64 v[200:201], v[4:5], v[168:169], -v[170:171]
	ds_load_b128 v[4:7], v2 offset:1632
	ds_load_b128 v[168:171], v2 offset:1648
	v_add_f64_e32 v[202:203], v[186:187], v[184:185]
	v_add_f64_e32 v[192:193], v[192:193], v[196:197]
	scratch_load_b128 v[184:187], off, off offset:816
	v_fmac_f64_e32 v[198:199], v[166:167], v[12:13]
	v_fma_f64 v[164:165], v[164:165], v[12:13], -v[14:15]
	scratch_load_b128 v[12:15], off, off offset:832
	s_wait_loadcnt_dscnt 0xb01
	v_mul_f64_e32 v[196:197], v[4:5], v[154:155]
	v_mul_f64_e32 v[154:155], v[6:7], v[154:155]
	v_add_f64_e32 v[166:167], v[202:203], v[200:201]
	v_add_f64_e32 v[192:193], v[192:193], v[194:195]
	s_wait_loadcnt_dscnt 0xa00
	v_mul_f64_e32 v[194:195], v[168:169], v[146:147]
	v_mul_f64_e32 v[146:147], v[170:171], v[146:147]
	v_fmac_f64_e32 v[196:197], v[6:7], v[152:153]
	v_fma_f64 v[200:201], v[4:5], v[152:153], -v[154:155]
	ds_load_b128 v[4:7], v2 offset:1664
	ds_load_b128 v[152:155], v2 offset:1680
	v_add_f64_e32 v[202:203], v[166:167], v[164:165]
	v_add_f64_e32 v[192:193], v[192:193], v[198:199]
	scratch_load_b128 v[164:167], off, off offset:848
	s_wait_loadcnt_dscnt 0xa01
	v_mul_f64_e32 v[198:199], v[4:5], v[162:163]
	v_mul_f64_e32 v[162:163], v[6:7], v[162:163]
	v_fmac_f64_e32 v[194:195], v[170:171], v[144:145]
	v_fma_f64 v[168:169], v[168:169], v[144:145], -v[146:147]
	scratch_load_b128 v[144:147], off, off offset:864
	v_add_f64_e32 v[170:171], v[202:203], v[200:201]
	v_add_f64_e32 v[192:193], v[192:193], v[196:197]
	s_wait_loadcnt_dscnt 0xa00
	v_mul_f64_e32 v[196:197], v[152:153], v[150:151]
	v_mul_f64_e32 v[150:151], v[154:155], v[150:151]
	v_fmac_f64_e32 v[198:199], v[6:7], v[160:161]
	v_fma_f64 v[200:201], v[4:5], v[160:161], -v[162:163]
	ds_load_b128 v[4:7], v2 offset:1696
	ds_load_b128 v[160:163], v2 offset:1712
	v_add_f64_e32 v[202:203], v[170:171], v[168:169]
	v_add_f64_e32 v[192:193], v[192:193], v[194:195]
	scratch_load_b128 v[168:171], off, off offset:880
	s_wait_loadcnt_dscnt 0xa01
	v_mul_f64_e32 v[194:195], v[4:5], v[174:175]
	v_mul_f64_e32 v[174:175], v[6:7], v[174:175]
	v_fmac_f64_e32 v[196:197], v[154:155], v[148:149]
	v_fma_f64 v[152:153], v[152:153], v[148:149], -v[150:151]
	scratch_load_b128 v[148:151], off, off offset:896
	v_add_f64_e32 v[154:155], v[202:203], v[200:201]
	v_add_f64_e32 v[192:193], v[192:193], v[198:199]
	s_wait_loadcnt_dscnt 0xa00
	v_mul_f64_e32 v[198:199], v[160:161], v[158:159]
	v_mul_f64_e32 v[158:159], v[162:163], v[158:159]
	v_fmac_f64_e32 v[194:195], v[6:7], v[172:173]
	v_fma_f64 v[200:201], v[4:5], v[172:173], -v[174:175]
	v_add_f64_e32 v[202:203], v[154:155], v[152:153]
	v_add_f64_e32 v[192:193], v[192:193], v[196:197]
	ds_load_b128 v[4:7], v2 offset:1728
	ds_load_b128 v[152:155], v2 offset:1744
	scratch_load_b128 v[172:175], off, off offset:912
	v_fmac_f64_e32 v[198:199], v[162:163], v[156:157]
	v_fma_f64 v[160:161], v[160:161], v[156:157], -v[158:159]
	scratch_load_b128 v[156:159], off, off offset:928
	s_wait_loadcnt_dscnt 0xb01
	v_mul_f64_e32 v[196:197], v[4:5], v[190:191]
	v_mul_f64_e32 v[190:191], v[6:7], v[190:191]
	v_add_f64_e32 v[162:163], v[202:203], v[200:201]
	v_add_f64_e32 v[192:193], v[192:193], v[194:195]
	s_wait_loadcnt_dscnt 0xa00
	v_mul_f64_e32 v[194:195], v[152:153], v[10:11]
	v_mul_f64_e32 v[10:11], v[154:155], v[10:11]
	v_fmac_f64_e32 v[196:197], v[6:7], v[188:189]
	v_fma_f64 v[200:201], v[4:5], v[188:189], -v[190:191]
	v_add_f64_e32 v[202:203], v[162:163], v[160:161]
	v_add_f64_e32 v[192:193], v[192:193], v[198:199]
	ds_load_b128 v[4:7], v2 offset:1760
	ds_load_b128 v[160:163], v2 offset:1776
	scratch_load_b128 v[188:191], off, off offset:944
	v_fmac_f64_e32 v[194:195], v[154:155], v[8:9]
	v_fma_f64 v[152:153], v[152:153], v[8:9], -v[10:11]
	scratch_load_b128 v[8:11], off, off offset:960
	s_wait_loadcnt_dscnt 0xb01
	v_mul_f64_e32 v[198:199], v[4:5], v[178:179]
	v_mul_f64_e32 v[178:179], v[6:7], v[178:179]
	v_add_f64_e32 v[154:155], v[202:203], v[200:201]
	v_add_f64_e32 v[192:193], v[192:193], v[196:197]
	s_wait_loadcnt_dscnt 0xa00
	v_mul_f64_e32 v[196:197], v[160:161], v[142:143]
	v_mul_f64_e32 v[142:143], v[162:163], v[142:143]
	v_fmac_f64_e32 v[198:199], v[6:7], v[176:177]
	v_fma_f64 v[176:177], v[4:5], v[176:177], -v[178:179]
	v_add_f64_e32 v[178:179], v[154:155], v[152:153]
	v_add_f64_e32 v[192:193], v[192:193], v[194:195]
	ds_load_b128 v[4:7], v2 offset:1792
	ds_load_b128 v[152:155], v2 offset:1808
	v_fmac_f64_e32 v[196:197], v[162:163], v[140:141]
	v_fma_f64 v[140:141], v[160:161], v[140:141], -v[142:143]
	s_wait_loadcnt_dscnt 0x901
	v_mul_f64_e32 v[194:195], v[4:5], v[186:187]
	v_mul_f64_e32 v[186:187], v[6:7], v[186:187]
	s_wait_loadcnt_dscnt 0x800
	v_mul_f64_e32 v[162:163], v[152:153], v[14:15]
	v_mul_f64_e32 v[14:15], v[154:155], v[14:15]
	v_add_f64_e32 v[142:143], v[178:179], v[176:177]
	v_add_f64_e32 v[160:161], v[192:193], v[198:199]
	v_fmac_f64_e32 v[194:195], v[6:7], v[184:185]
	v_fma_f64 v[176:177], v[4:5], v[184:185], -v[186:187]
	v_fmac_f64_e32 v[162:163], v[154:155], v[12:13]
	v_fma_f64 v[12:13], v[152:153], v[12:13], -v[14:15]
	v_add_f64_e32 v[178:179], v[142:143], v[140:141]
	v_add_f64_e32 v[160:161], v[160:161], v[196:197]
	ds_load_b128 v[4:7], v2 offset:1824
	ds_load_b128 v[140:143], v2 offset:1840
	s_wait_loadcnt_dscnt 0x701
	v_mul_f64_e32 v[184:185], v[4:5], v[166:167]
	v_mul_f64_e32 v[166:167], v[6:7], v[166:167]
	s_wait_loadcnt_dscnt 0x600
	v_mul_f64_e32 v[154:155], v[140:141], v[146:147]
	v_mul_f64_e32 v[146:147], v[142:143], v[146:147]
	v_add_f64_e32 v[14:15], v[178:179], v[176:177]
	v_add_f64_e32 v[152:153], v[160:161], v[194:195]
	v_fmac_f64_e32 v[184:185], v[6:7], v[164:165]
	v_fma_f64 v[160:161], v[4:5], v[164:165], -v[166:167]
	v_fmac_f64_e32 v[154:155], v[142:143], v[144:145]
	v_fma_f64 v[140:141], v[140:141], v[144:145], -v[146:147]
	v_add_f64_e32 v[164:165], v[14:15], v[12:13]
	v_add_f64_e32 v[152:153], v[152:153], v[162:163]
	ds_load_b128 v[4:7], v2 offset:1856
	ds_load_b128 v[12:15], v2 offset:1872
	;; [unrolled: 16-line block ×4, first 2 shown]
	s_wait_loadcnt_dscnt 0x101
	v_mul_f64_e32 v[2:3], v[4:5], v[190:191]
	v_mul_f64_e32 v[146:147], v[6:7], v[190:191]
	s_wait_loadcnt_dscnt 0x0
	v_mul_f64_e32 v[150:151], v[12:13], v[10:11]
	v_mul_f64_e32 v[10:11], v[14:15], v[10:11]
	v_add_f64_e32 v[142:143], v[158:159], v[152:153]
	v_add_f64_e32 v[144:145], v[144:145], v[154:155]
	v_fmac_f64_e32 v[2:3], v[6:7], v[188:189]
	v_fma_f64 v[4:5], v[4:5], v[188:189], -v[146:147]
	v_fmac_f64_e32 v[150:151], v[14:15], v[8:9]
	v_fma_f64 v[8:9], v[12:13], v[8:9], -v[10:11]
	v_add_f64_e32 v[6:7], v[142:143], v[140:141]
	v_add_f64_e32 v[140:141], v[144:145], v[148:149]
	s_delay_alu instid0(VALU_DEP_2) | instskip(NEXT) | instid1(VALU_DEP_2)
	v_add_f64_e32 v[4:5], v[6:7], v[4:5]
	v_add_f64_e32 v[2:3], v[140:141], v[2:3]
	s_delay_alu instid0(VALU_DEP_2) | instskip(NEXT) | instid1(VALU_DEP_2)
	;; [unrolled: 3-line block ×3, first 2 shown]
	v_add_f64_e64 v[2:3], v[180:181], -v[4:5]
	v_add_f64_e64 v[4:5], v[182:183], -v[6:7]
	scratch_store_b128 off, v[2:5], off offset:352
	s_wait_xcnt 0x0
	v_cmpx_lt_u32_e32 21, v1
	s_cbranch_execz .LBB124_349
; %bb.348:
	scratch_load_b128 v[2:5], off, s58
	v_mov_b32_e32 v6, 0
	s_delay_alu instid0(VALU_DEP_1)
	v_dual_mov_b32 v7, v6 :: v_dual_mov_b32 v8, v6
	v_mov_b32_e32 v9, v6
	scratch_store_b128 off, v[6:9], off offset:336
	s_wait_loadcnt 0x0
	ds_store_b128 v138, v[2:5]
.LBB124_349:
	s_wait_xcnt 0x0
	s_or_b32 exec_lo, exec_lo, s2
	s_wait_storecnt_dscnt 0x0
	s_barrier_signal -1
	s_barrier_wait -1
	s_clause 0x9
	scratch_load_b128 v[4:7], off, off offset:352
	scratch_load_b128 v[8:11], off, off offset:368
	;; [unrolled: 1-line block ×10, first 2 shown]
	v_mov_b32_e32 v2, 0
	s_mov_b32 s2, exec_lo
	ds_load_b128 v[168:171], v2 offset:1328
	s_clause 0x2
	scratch_load_b128 v[172:175], off, off offset:512
	scratch_load_b128 v[176:179], off, off offset:336
	;; [unrolled: 1-line block ×3, first 2 shown]
	s_wait_loadcnt_dscnt 0xc00
	v_mul_f64_e32 v[188:189], v[170:171], v[6:7]
	v_mul_f64_e32 v[192:193], v[168:169], v[6:7]
	ds_load_b128 v[180:183], v2 offset:1344
	v_fma_f64 v[196:197], v[168:169], v[4:5], -v[188:189]
	v_fmac_f64_e32 v[192:193], v[170:171], v[4:5]
	ds_load_b128 v[4:7], v2 offset:1360
	s_wait_loadcnt_dscnt 0xb01
	v_mul_f64_e32 v[194:195], v[180:181], v[10:11]
	v_mul_f64_e32 v[10:11], v[182:183], v[10:11]
	scratch_load_b128 v[168:171], off, off offset:544
	ds_load_b128 v[188:191], v2 offset:1376
	s_wait_loadcnt_dscnt 0xb01
	v_mul_f64_e32 v[198:199], v[4:5], v[14:15]
	v_mul_f64_e32 v[14:15], v[6:7], v[14:15]
	v_add_f64_e32 v[192:193], 0, v[192:193]
	v_fmac_f64_e32 v[194:195], v[182:183], v[8:9]
	v_fma_f64 v[180:181], v[180:181], v[8:9], -v[10:11]
	v_add_f64_e32 v[182:183], 0, v[196:197]
	scratch_load_b128 v[8:11], off, off offset:560
	v_fmac_f64_e32 v[198:199], v[6:7], v[12:13]
	v_fma_f64 v[200:201], v[4:5], v[12:13], -v[14:15]
	ds_load_b128 v[4:7], v2 offset:1392
	s_wait_loadcnt_dscnt 0xb01
	v_mul_f64_e32 v[196:197], v[188:189], v[142:143]
	v_mul_f64_e32 v[142:143], v[190:191], v[142:143]
	scratch_load_b128 v[12:15], off, off offset:576
	v_add_f64_e32 v[192:193], v[192:193], v[194:195]
	v_add_f64_e32 v[202:203], v[182:183], v[180:181]
	ds_load_b128 v[180:183], v2 offset:1408
	s_wait_loadcnt_dscnt 0xb01
	v_mul_f64_e32 v[194:195], v[4:5], v[146:147]
	v_mul_f64_e32 v[146:147], v[6:7], v[146:147]
	v_fmac_f64_e32 v[196:197], v[190:191], v[140:141]
	v_fma_f64 v[188:189], v[188:189], v[140:141], -v[142:143]
	scratch_load_b128 v[140:143], off, off offset:592
	v_add_f64_e32 v[192:193], v[192:193], v[198:199]
	v_add_f64_e32 v[190:191], v[202:203], v[200:201]
	v_fmac_f64_e32 v[194:195], v[6:7], v[144:145]
	v_fma_f64 v[200:201], v[4:5], v[144:145], -v[146:147]
	ds_load_b128 v[4:7], v2 offset:1424
	s_wait_loadcnt_dscnt 0xb01
	v_mul_f64_e32 v[198:199], v[180:181], v[150:151]
	v_mul_f64_e32 v[150:151], v[182:183], v[150:151]
	scratch_load_b128 v[144:147], off, off offset:608
	v_add_f64_e32 v[192:193], v[192:193], v[196:197]
	s_wait_loadcnt_dscnt 0xb00
	v_mul_f64_e32 v[196:197], v[4:5], v[154:155]
	v_add_f64_e32 v[202:203], v[190:191], v[188:189]
	v_mul_f64_e32 v[154:155], v[6:7], v[154:155]
	ds_load_b128 v[188:191], v2 offset:1440
	v_fmac_f64_e32 v[198:199], v[182:183], v[148:149]
	v_fma_f64 v[180:181], v[180:181], v[148:149], -v[150:151]
	scratch_load_b128 v[148:151], off, off offset:624
	v_add_f64_e32 v[192:193], v[192:193], v[194:195]
	v_fmac_f64_e32 v[196:197], v[6:7], v[152:153]
	v_add_f64_e32 v[182:183], v[202:203], v[200:201]
	v_fma_f64 v[200:201], v[4:5], v[152:153], -v[154:155]
	ds_load_b128 v[4:7], v2 offset:1456
	s_wait_loadcnt_dscnt 0xb01
	v_mul_f64_e32 v[194:195], v[188:189], v[158:159]
	v_mul_f64_e32 v[158:159], v[190:191], v[158:159]
	scratch_load_b128 v[152:155], off, off offset:640
	v_add_f64_e32 v[192:193], v[192:193], v[198:199]
	s_wait_loadcnt_dscnt 0xb00
	v_mul_f64_e32 v[198:199], v[4:5], v[162:163]
	v_add_f64_e32 v[202:203], v[182:183], v[180:181]
	v_mul_f64_e32 v[162:163], v[6:7], v[162:163]
	ds_load_b128 v[180:183], v2 offset:1472
	v_fmac_f64_e32 v[194:195], v[190:191], v[156:157]
	v_fma_f64 v[188:189], v[188:189], v[156:157], -v[158:159]
	scratch_load_b128 v[156:159], off, off offset:656
	v_add_f64_e32 v[192:193], v[192:193], v[196:197]
	v_fmac_f64_e32 v[198:199], v[6:7], v[160:161]
	v_add_f64_e32 v[190:191], v[202:203], v[200:201]
	;; [unrolled: 18-line block ×3, first 2 shown]
	v_fma_f64 v[200:201], v[4:5], v[172:173], -v[174:175]
	ds_load_b128 v[4:7], v2 offset:1520
	s_wait_loadcnt_dscnt 0xa01
	v_mul_f64_e32 v[198:199], v[188:189], v[186:187]
	v_mul_f64_e32 v[186:187], v[190:191], v[186:187]
	scratch_load_b128 v[172:175], off, off offset:704
	v_add_f64_e32 v[192:193], v[192:193], v[196:197]
	v_add_f64_e32 v[202:203], v[182:183], v[180:181]
	s_wait_loadcnt_dscnt 0xa00
	v_mul_f64_e32 v[196:197], v[4:5], v[170:171]
	v_mul_f64_e32 v[170:171], v[6:7], v[170:171]
	v_fmac_f64_e32 v[198:199], v[190:191], v[184:185]
	v_fma_f64 v[188:189], v[188:189], v[184:185], -v[186:187]
	ds_load_b128 v[180:183], v2 offset:1536
	scratch_load_b128 v[184:187], off, off offset:720
	v_add_f64_e32 v[192:193], v[192:193], v[194:195]
	v_add_f64_e32 v[190:191], v[202:203], v[200:201]
	v_fmac_f64_e32 v[196:197], v[6:7], v[168:169]
	v_fma_f64 v[200:201], v[4:5], v[168:169], -v[170:171]
	ds_load_b128 v[4:7], v2 offset:1552
	s_wait_loadcnt_dscnt 0xa01
	v_mul_f64_e32 v[194:195], v[180:181], v[10:11]
	v_mul_f64_e32 v[10:11], v[182:183], v[10:11]
	scratch_load_b128 v[168:171], off, off offset:736
	v_add_f64_e32 v[192:193], v[192:193], v[198:199]
	s_wait_loadcnt_dscnt 0xa00
	v_mul_f64_e32 v[198:199], v[4:5], v[14:15]
	v_add_f64_e32 v[202:203], v[190:191], v[188:189]
	v_mul_f64_e32 v[14:15], v[6:7], v[14:15]
	ds_load_b128 v[188:191], v2 offset:1568
	v_fmac_f64_e32 v[194:195], v[182:183], v[8:9]
	v_fma_f64 v[180:181], v[180:181], v[8:9], -v[10:11]
	scratch_load_b128 v[8:11], off, off offset:752
	v_add_f64_e32 v[192:193], v[192:193], v[196:197]
	v_fmac_f64_e32 v[198:199], v[6:7], v[12:13]
	v_add_f64_e32 v[182:183], v[202:203], v[200:201]
	v_fma_f64 v[200:201], v[4:5], v[12:13], -v[14:15]
	ds_load_b128 v[4:7], v2 offset:1584
	s_wait_loadcnt_dscnt 0xa01
	v_mul_f64_e32 v[196:197], v[188:189], v[142:143]
	v_mul_f64_e32 v[142:143], v[190:191], v[142:143]
	scratch_load_b128 v[12:15], off, off offset:768
	v_add_f64_e32 v[192:193], v[192:193], v[194:195]
	s_wait_loadcnt_dscnt 0xa00
	v_mul_f64_e32 v[194:195], v[4:5], v[146:147]
	v_add_f64_e32 v[202:203], v[182:183], v[180:181]
	v_mul_f64_e32 v[146:147], v[6:7], v[146:147]
	ds_load_b128 v[180:183], v2 offset:1600
	v_fmac_f64_e32 v[196:197], v[190:191], v[140:141]
	v_fma_f64 v[188:189], v[188:189], v[140:141], -v[142:143]
	scratch_load_b128 v[140:143], off, off offset:784
	v_add_f64_e32 v[192:193], v[192:193], v[198:199]
	v_fmac_f64_e32 v[194:195], v[6:7], v[144:145]
	v_add_f64_e32 v[190:191], v[202:203], v[200:201]
	;; [unrolled: 18-line block ×7, first 2 shown]
	v_fma_f64 v[200:201], v[4:5], v[12:13], -v[14:15]
	ds_load_b128 v[4:7], v2 offset:1776
	s_wait_loadcnt_dscnt 0xa01
	v_mul_f64_e32 v[196:197], v[188:189], v[142:143]
	v_mul_f64_e32 v[142:143], v[190:191], v[142:143]
	scratch_load_b128 v[12:15], off, off offset:960
	v_add_f64_e32 v[192:193], v[192:193], v[194:195]
	s_wait_loadcnt_dscnt 0xa00
	v_mul_f64_e32 v[194:195], v[4:5], v[146:147]
	v_add_f64_e32 v[202:203], v[182:183], v[180:181]
	v_mul_f64_e32 v[146:147], v[6:7], v[146:147]
	ds_load_b128 v[180:183], v2 offset:1792
	v_fmac_f64_e32 v[196:197], v[190:191], v[140:141]
	v_fma_f64 v[140:141], v[188:189], v[140:141], -v[142:143]
	s_wait_loadcnt_dscnt 0x900
	v_mul_f64_e32 v[190:191], v[180:181], v[150:151]
	v_mul_f64_e32 v[150:151], v[182:183], v[150:151]
	v_add_f64_e32 v[188:189], v[192:193], v[198:199]
	v_fmac_f64_e32 v[194:195], v[6:7], v[144:145]
	v_add_f64_e32 v[142:143], v[202:203], v[200:201]
	v_fma_f64 v[144:145], v[4:5], v[144:145], -v[146:147]
	v_fmac_f64_e32 v[190:191], v[182:183], v[148:149]
	v_fma_f64 v[148:149], v[180:181], v[148:149], -v[150:151]
	v_add_f64_e32 v[188:189], v[188:189], v[196:197]
	v_add_f64_e32 v[146:147], v[142:143], v[140:141]
	ds_load_b128 v[4:7], v2 offset:1808
	ds_load_b128 v[140:143], v2 offset:1824
	s_wait_loadcnt_dscnt 0x801
	v_mul_f64_e32 v[192:193], v[4:5], v[154:155]
	v_mul_f64_e32 v[154:155], v[6:7], v[154:155]
	s_wait_loadcnt_dscnt 0x700
	v_mul_f64_e32 v[150:151], v[140:141], v[158:159]
	v_mul_f64_e32 v[158:159], v[142:143], v[158:159]
	v_add_f64_e32 v[144:145], v[146:147], v[144:145]
	v_add_f64_e32 v[146:147], v[188:189], v[194:195]
	v_fmac_f64_e32 v[192:193], v[6:7], v[152:153]
	v_fma_f64 v[152:153], v[4:5], v[152:153], -v[154:155]
	v_fmac_f64_e32 v[150:151], v[142:143], v[156:157]
	v_fma_f64 v[140:141], v[140:141], v[156:157], -v[158:159]
	v_add_f64_e32 v[148:149], v[144:145], v[148:149]
	v_add_f64_e32 v[154:155], v[146:147], v[190:191]
	ds_load_b128 v[4:7], v2 offset:1840
	ds_load_b128 v[144:147], v2 offset:1856
	s_wait_loadcnt_dscnt 0x601
	v_mul_f64_e32 v[180:181], v[4:5], v[162:163]
	v_mul_f64_e32 v[162:163], v[6:7], v[162:163]
	v_add_f64_e32 v[142:143], v[148:149], v[152:153]
	v_add_f64_e32 v[148:149], v[154:155], v[192:193]
	s_wait_loadcnt_dscnt 0x500
	v_mul_f64_e32 v[152:153], v[144:145], v[166:167]
	v_mul_f64_e32 v[154:155], v[146:147], v[166:167]
	v_fmac_f64_e32 v[180:181], v[6:7], v[160:161]
	v_fma_f64 v[156:157], v[4:5], v[160:161], -v[162:163]
	v_add_f64_e32 v[158:159], v[142:143], v[140:141]
	v_add_f64_e32 v[148:149], v[148:149], v[150:151]
	ds_load_b128 v[4:7], v2 offset:1872
	ds_load_b128 v[140:143], v2 offset:1888
	v_fmac_f64_e32 v[152:153], v[146:147], v[164:165]
	v_fma_f64 v[144:145], v[144:145], v[164:165], -v[154:155]
	s_wait_loadcnt_dscnt 0x401
	v_mul_f64_e32 v[150:151], v[4:5], v[174:175]
	v_mul_f64_e32 v[160:161], v[6:7], v[174:175]
	s_wait_loadcnt_dscnt 0x300
	v_mul_f64_e32 v[154:155], v[140:141], v[186:187]
	v_add_f64_e32 v[146:147], v[158:159], v[156:157]
	v_add_f64_e32 v[148:149], v[148:149], v[180:181]
	v_mul_f64_e32 v[156:157], v[142:143], v[186:187]
	v_fmac_f64_e32 v[150:151], v[6:7], v[172:173]
	v_fma_f64 v[158:159], v[4:5], v[172:173], -v[160:161]
	v_fmac_f64_e32 v[154:155], v[142:143], v[184:185]
	v_add_f64_e32 v[160:161], v[146:147], v[144:145]
	v_add_f64_e32 v[148:149], v[148:149], v[152:153]
	ds_load_b128 v[4:7], v2 offset:1904
	ds_load_b128 v[144:147], v2 offset:1920
	v_fma_f64 v[140:141], v[140:141], v[184:185], -v[156:157]
	s_wait_loadcnt_dscnt 0x201
	v_mul_f64_e32 v[152:153], v[4:5], v[170:171]
	v_mul_f64_e32 v[162:163], v[6:7], v[170:171]
	v_add_f64_e32 v[142:143], v[160:161], v[158:159]
	v_add_f64_e32 v[148:149], v[148:149], v[150:151]
	s_wait_loadcnt_dscnt 0x100
	v_mul_f64_e32 v[150:151], v[144:145], v[10:11]
	v_mul_f64_e32 v[10:11], v[146:147], v[10:11]
	v_fmac_f64_e32 v[152:153], v[6:7], v[168:169]
	v_fma_f64 v[156:157], v[4:5], v[168:169], -v[162:163]
	ds_load_b128 v[4:7], v2 offset:1936
	v_add_f64_e32 v[140:141], v[142:143], v[140:141]
	v_add_f64_e32 v[142:143], v[148:149], v[154:155]
	v_fmac_f64_e32 v[150:151], v[146:147], v[8:9]
	v_fma_f64 v[8:9], v[144:145], v[8:9], -v[10:11]
	s_wait_loadcnt_dscnt 0x0
	v_mul_f64_e32 v[148:149], v[4:5], v[14:15]
	v_mul_f64_e32 v[14:15], v[6:7], v[14:15]
	v_add_f64_e32 v[10:11], v[140:141], v[156:157]
	v_add_f64_e32 v[140:141], v[142:143], v[152:153]
	s_delay_alu instid0(VALU_DEP_4) | instskip(NEXT) | instid1(VALU_DEP_4)
	v_fmac_f64_e32 v[148:149], v[6:7], v[12:13]
	v_fma_f64 v[4:5], v[4:5], v[12:13], -v[14:15]
	s_delay_alu instid0(VALU_DEP_4) | instskip(NEXT) | instid1(VALU_DEP_4)
	v_add_f64_e32 v[6:7], v[10:11], v[8:9]
	v_add_f64_e32 v[8:9], v[140:141], v[150:151]
	s_delay_alu instid0(VALU_DEP_2) | instskip(NEXT) | instid1(VALU_DEP_2)
	v_add_f64_e32 v[4:5], v[6:7], v[4:5]
	v_add_f64_e32 v[6:7], v[8:9], v[148:149]
	s_delay_alu instid0(VALU_DEP_2) | instskip(NEXT) | instid1(VALU_DEP_2)
	v_add_f64_e64 v[4:5], v[176:177], -v[4:5]
	v_add_f64_e64 v[6:7], v[178:179], -v[6:7]
	scratch_store_b128 off, v[4:7], off offset:336
	s_wait_xcnt 0x0
	v_cmpx_lt_u32_e32 20, v1
	s_cbranch_execz .LBB124_351
; %bb.350:
	scratch_load_b128 v[6:9], off, s59
	v_dual_mov_b32 v3, v2 :: v_dual_mov_b32 v4, v2
	v_mov_b32_e32 v5, v2
	scratch_store_b128 off, v[2:5], off offset:320
	s_wait_loadcnt 0x0
	ds_store_b128 v138, v[6:9]
.LBB124_351:
	s_wait_xcnt 0x0
	s_or_b32 exec_lo, exec_lo, s2
	s_wait_storecnt_dscnt 0x0
	s_barrier_signal -1
	s_barrier_wait -1
	s_clause 0x9
	scratch_load_b128 v[4:7], off, off offset:336
	scratch_load_b128 v[8:11], off, off offset:352
	;; [unrolled: 1-line block ×10, first 2 shown]
	ds_load_b128 v[168:171], v2 offset:1312
	ds_load_b128 v[176:179], v2 offset:1328
	s_clause 0x2
	scratch_load_b128 v[172:175], off, off offset:496
	scratch_load_b128 v[180:183], off, off offset:320
	;; [unrolled: 1-line block ×3, first 2 shown]
	s_mov_b32 s2, exec_lo
	s_wait_loadcnt_dscnt 0xc01
	v_mul_f64_e32 v[188:189], v[170:171], v[6:7]
	v_mul_f64_e32 v[192:193], v[168:169], v[6:7]
	s_wait_loadcnt_dscnt 0xb00
	v_mul_f64_e32 v[194:195], v[176:177], v[10:11]
	v_mul_f64_e32 v[10:11], v[178:179], v[10:11]
	s_delay_alu instid0(VALU_DEP_4) | instskip(NEXT) | instid1(VALU_DEP_4)
	v_fma_f64 v[196:197], v[168:169], v[4:5], -v[188:189]
	v_fmac_f64_e32 v[192:193], v[170:171], v[4:5]
	ds_load_b128 v[4:7], v2 offset:1344
	ds_load_b128 v[168:171], v2 offset:1360
	scratch_load_b128 v[188:191], off, off offset:528
	v_fmac_f64_e32 v[194:195], v[178:179], v[8:9]
	v_fma_f64 v[176:177], v[176:177], v[8:9], -v[10:11]
	scratch_load_b128 v[8:11], off, off offset:544
	s_wait_loadcnt_dscnt 0xc01
	v_mul_f64_e32 v[198:199], v[4:5], v[14:15]
	v_mul_f64_e32 v[14:15], v[6:7], v[14:15]
	v_add_f64_e32 v[178:179], 0, v[196:197]
	v_add_f64_e32 v[192:193], 0, v[192:193]
	s_wait_loadcnt_dscnt 0xb00
	v_mul_f64_e32 v[196:197], v[168:169], v[142:143]
	v_mul_f64_e32 v[142:143], v[170:171], v[142:143]
	v_fmac_f64_e32 v[198:199], v[6:7], v[12:13]
	v_fma_f64 v[200:201], v[4:5], v[12:13], -v[14:15]
	ds_load_b128 v[4:7], v2 offset:1376
	ds_load_b128 v[12:15], v2 offset:1392
	v_add_f64_e32 v[202:203], v[178:179], v[176:177]
	v_add_f64_e32 v[192:193], v[192:193], v[194:195]
	scratch_load_b128 v[176:179], off, off offset:560
	v_fmac_f64_e32 v[196:197], v[170:171], v[140:141]
	v_fma_f64 v[168:169], v[168:169], v[140:141], -v[142:143]
	scratch_load_b128 v[140:143], off, off offset:576
	s_wait_loadcnt_dscnt 0xc01
	v_mul_f64_e32 v[194:195], v[4:5], v[146:147]
	v_mul_f64_e32 v[146:147], v[6:7], v[146:147]
	v_add_f64_e32 v[170:171], v[202:203], v[200:201]
	v_add_f64_e32 v[192:193], v[192:193], v[198:199]
	s_wait_loadcnt_dscnt 0xb00
	v_mul_f64_e32 v[198:199], v[12:13], v[150:151]
	v_mul_f64_e32 v[150:151], v[14:15], v[150:151]
	v_fmac_f64_e32 v[194:195], v[6:7], v[144:145]
	v_fma_f64 v[200:201], v[4:5], v[144:145], -v[146:147]
	ds_load_b128 v[4:7], v2 offset:1408
	ds_load_b128 v[144:147], v2 offset:1424
	v_add_f64_e32 v[202:203], v[170:171], v[168:169]
	v_add_f64_e32 v[192:193], v[192:193], v[196:197]
	scratch_load_b128 v[168:171], off, off offset:592
	s_wait_loadcnt_dscnt 0xb01
	v_mul_f64_e32 v[196:197], v[4:5], v[154:155]
	v_mul_f64_e32 v[154:155], v[6:7], v[154:155]
	v_fmac_f64_e32 v[198:199], v[14:15], v[148:149]
	v_fma_f64 v[148:149], v[12:13], v[148:149], -v[150:151]
	scratch_load_b128 v[12:15], off, off offset:608
	v_add_f64_e32 v[150:151], v[202:203], v[200:201]
	v_add_f64_e32 v[192:193], v[192:193], v[194:195]
	s_wait_loadcnt_dscnt 0xb00
	v_mul_f64_e32 v[194:195], v[144:145], v[158:159]
	v_mul_f64_e32 v[158:159], v[146:147], v[158:159]
	v_fmac_f64_e32 v[196:197], v[6:7], v[152:153]
	v_fma_f64 v[200:201], v[4:5], v[152:153], -v[154:155]
	v_add_f64_e32 v[202:203], v[150:151], v[148:149]
	v_add_f64_e32 v[192:193], v[192:193], v[198:199]
	ds_load_b128 v[4:7], v2 offset:1440
	ds_load_b128 v[148:151], v2 offset:1456
	scratch_load_b128 v[152:155], off, off offset:624
	v_fmac_f64_e32 v[194:195], v[146:147], v[156:157]
	v_fma_f64 v[156:157], v[144:145], v[156:157], -v[158:159]
	scratch_load_b128 v[144:147], off, off offset:640
	s_wait_loadcnt_dscnt 0xc01
	v_mul_f64_e32 v[198:199], v[4:5], v[162:163]
	v_mul_f64_e32 v[162:163], v[6:7], v[162:163]
	v_add_f64_e32 v[158:159], v[202:203], v[200:201]
	v_add_f64_e32 v[192:193], v[192:193], v[196:197]
	s_wait_loadcnt_dscnt 0xb00
	v_mul_f64_e32 v[196:197], v[148:149], v[166:167]
	v_mul_f64_e32 v[166:167], v[150:151], v[166:167]
	v_fmac_f64_e32 v[198:199], v[6:7], v[160:161]
	v_fma_f64 v[200:201], v[4:5], v[160:161], -v[162:163]
	v_add_f64_e32 v[202:203], v[158:159], v[156:157]
	v_add_f64_e32 v[192:193], v[192:193], v[194:195]
	ds_load_b128 v[4:7], v2 offset:1472
	ds_load_b128 v[156:159], v2 offset:1488
	scratch_load_b128 v[160:163], off, off offset:656
	v_fmac_f64_e32 v[196:197], v[150:151], v[164:165]
	v_fma_f64 v[164:165], v[148:149], v[164:165], -v[166:167]
	scratch_load_b128 v[148:151], off, off offset:672
	s_wait_loadcnt_dscnt 0xc01
	v_mul_f64_e32 v[194:195], v[4:5], v[174:175]
	v_mul_f64_e32 v[174:175], v[6:7], v[174:175]
	;; [unrolled: 18-line block ×5, first 2 shown]
	v_add_f64_e32 v[186:187], v[202:203], v[200:201]
	v_add_f64_e32 v[192:193], v[192:193], v[198:199]
	s_wait_loadcnt_dscnt 0xa00
	v_mul_f64_e32 v[198:199], v[164:165], v[14:15]
	v_mul_f64_e32 v[14:15], v[166:167], v[14:15]
	v_fmac_f64_e32 v[194:195], v[6:7], v[168:169]
	v_fma_f64 v[200:201], v[4:5], v[168:169], -v[170:171]
	ds_load_b128 v[4:7], v2 offset:1600
	ds_load_b128 v[168:171], v2 offset:1616
	v_add_f64_e32 v[202:203], v[186:187], v[184:185]
	v_add_f64_e32 v[192:193], v[192:193], v[196:197]
	scratch_load_b128 v[184:187], off, off offset:784
	v_fmac_f64_e32 v[198:199], v[166:167], v[12:13]
	v_fma_f64 v[164:165], v[164:165], v[12:13], -v[14:15]
	scratch_load_b128 v[12:15], off, off offset:800
	s_wait_loadcnt_dscnt 0xb01
	v_mul_f64_e32 v[196:197], v[4:5], v[154:155]
	v_mul_f64_e32 v[154:155], v[6:7], v[154:155]
	v_add_f64_e32 v[166:167], v[202:203], v[200:201]
	v_add_f64_e32 v[192:193], v[192:193], v[194:195]
	s_wait_loadcnt_dscnt 0xa00
	v_mul_f64_e32 v[194:195], v[168:169], v[146:147]
	v_mul_f64_e32 v[146:147], v[170:171], v[146:147]
	v_fmac_f64_e32 v[196:197], v[6:7], v[152:153]
	v_fma_f64 v[200:201], v[4:5], v[152:153], -v[154:155]
	ds_load_b128 v[4:7], v2 offset:1632
	ds_load_b128 v[152:155], v2 offset:1648
	v_add_f64_e32 v[202:203], v[166:167], v[164:165]
	v_add_f64_e32 v[192:193], v[192:193], v[198:199]
	scratch_load_b128 v[164:167], off, off offset:816
	s_wait_loadcnt_dscnt 0xa01
	v_mul_f64_e32 v[198:199], v[4:5], v[162:163]
	v_mul_f64_e32 v[162:163], v[6:7], v[162:163]
	v_fmac_f64_e32 v[194:195], v[170:171], v[144:145]
	v_fma_f64 v[168:169], v[168:169], v[144:145], -v[146:147]
	scratch_load_b128 v[144:147], off, off offset:832
	v_add_f64_e32 v[170:171], v[202:203], v[200:201]
	v_add_f64_e32 v[192:193], v[192:193], v[196:197]
	s_wait_loadcnt_dscnt 0xa00
	v_mul_f64_e32 v[196:197], v[152:153], v[150:151]
	v_mul_f64_e32 v[150:151], v[154:155], v[150:151]
	v_fmac_f64_e32 v[198:199], v[6:7], v[160:161]
	v_fma_f64 v[200:201], v[4:5], v[160:161], -v[162:163]
	ds_load_b128 v[4:7], v2 offset:1664
	ds_load_b128 v[160:163], v2 offset:1680
	v_add_f64_e32 v[202:203], v[170:171], v[168:169]
	v_add_f64_e32 v[192:193], v[192:193], v[194:195]
	scratch_load_b128 v[168:171], off, off offset:848
	s_wait_loadcnt_dscnt 0xa01
	v_mul_f64_e32 v[194:195], v[4:5], v[174:175]
	v_mul_f64_e32 v[174:175], v[6:7], v[174:175]
	v_fmac_f64_e32 v[196:197], v[154:155], v[148:149]
	v_fma_f64 v[152:153], v[152:153], v[148:149], -v[150:151]
	scratch_load_b128 v[148:151], off, off offset:864
	v_add_f64_e32 v[154:155], v[202:203], v[200:201]
	v_add_f64_e32 v[192:193], v[192:193], v[198:199]
	s_wait_loadcnt_dscnt 0xa00
	v_mul_f64_e32 v[198:199], v[160:161], v[158:159]
	v_mul_f64_e32 v[158:159], v[162:163], v[158:159]
	v_fmac_f64_e32 v[194:195], v[6:7], v[172:173]
	v_fma_f64 v[200:201], v[4:5], v[172:173], -v[174:175]
	v_add_f64_e32 v[202:203], v[154:155], v[152:153]
	v_add_f64_e32 v[192:193], v[192:193], v[196:197]
	ds_load_b128 v[4:7], v2 offset:1696
	ds_load_b128 v[152:155], v2 offset:1712
	scratch_load_b128 v[172:175], off, off offset:880
	v_fmac_f64_e32 v[198:199], v[162:163], v[156:157]
	v_fma_f64 v[160:161], v[160:161], v[156:157], -v[158:159]
	scratch_load_b128 v[156:159], off, off offset:896
	s_wait_loadcnt_dscnt 0xb01
	v_mul_f64_e32 v[196:197], v[4:5], v[190:191]
	v_mul_f64_e32 v[190:191], v[6:7], v[190:191]
	v_add_f64_e32 v[162:163], v[202:203], v[200:201]
	v_add_f64_e32 v[192:193], v[192:193], v[194:195]
	s_wait_loadcnt_dscnt 0xa00
	v_mul_f64_e32 v[194:195], v[152:153], v[10:11]
	v_mul_f64_e32 v[10:11], v[154:155], v[10:11]
	v_fmac_f64_e32 v[196:197], v[6:7], v[188:189]
	v_fma_f64 v[200:201], v[4:5], v[188:189], -v[190:191]
	v_add_f64_e32 v[202:203], v[162:163], v[160:161]
	v_add_f64_e32 v[192:193], v[192:193], v[198:199]
	ds_load_b128 v[4:7], v2 offset:1728
	ds_load_b128 v[160:163], v2 offset:1744
	scratch_load_b128 v[188:191], off, off offset:912
	v_fmac_f64_e32 v[194:195], v[154:155], v[8:9]
	v_fma_f64 v[152:153], v[152:153], v[8:9], -v[10:11]
	scratch_load_b128 v[8:11], off, off offset:928
	s_wait_loadcnt_dscnt 0xb01
	v_mul_f64_e32 v[198:199], v[4:5], v[178:179]
	v_mul_f64_e32 v[178:179], v[6:7], v[178:179]
	;; [unrolled: 18-line block ×3, first 2 shown]
	v_add_f64_e32 v[162:163], v[202:203], v[200:201]
	v_add_f64_e32 v[192:193], v[192:193], v[198:199]
	s_wait_loadcnt_dscnt 0xa00
	v_mul_f64_e32 v[198:199], v[152:153], v[14:15]
	v_mul_f64_e32 v[14:15], v[154:155], v[14:15]
	v_fmac_f64_e32 v[194:195], v[6:7], v[184:185]
	v_fma_f64 v[184:185], v[4:5], v[184:185], -v[186:187]
	v_add_f64_e32 v[186:187], v[162:163], v[160:161]
	v_add_f64_e32 v[192:193], v[192:193], v[196:197]
	ds_load_b128 v[4:7], v2 offset:1792
	ds_load_b128 v[160:163], v2 offset:1808
	v_fmac_f64_e32 v[198:199], v[154:155], v[12:13]
	v_fma_f64 v[12:13], v[152:153], v[12:13], -v[14:15]
	s_wait_loadcnt_dscnt 0x901
	v_mul_f64_e32 v[196:197], v[4:5], v[166:167]
	v_mul_f64_e32 v[166:167], v[6:7], v[166:167]
	s_wait_loadcnt_dscnt 0x800
	v_mul_f64_e32 v[154:155], v[160:161], v[146:147]
	v_mul_f64_e32 v[146:147], v[162:163], v[146:147]
	v_add_f64_e32 v[14:15], v[186:187], v[184:185]
	v_add_f64_e32 v[152:153], v[192:193], v[194:195]
	v_fmac_f64_e32 v[196:197], v[6:7], v[164:165]
	v_fma_f64 v[164:165], v[4:5], v[164:165], -v[166:167]
	v_fmac_f64_e32 v[154:155], v[162:163], v[144:145]
	v_fma_f64 v[144:145], v[160:161], v[144:145], -v[146:147]
	v_add_f64_e32 v[166:167], v[14:15], v[12:13]
	v_add_f64_e32 v[152:153], v[152:153], v[198:199]
	ds_load_b128 v[4:7], v2 offset:1824
	ds_load_b128 v[12:15], v2 offset:1840
	s_wait_loadcnt_dscnt 0x701
	v_mul_f64_e32 v[184:185], v[4:5], v[170:171]
	v_mul_f64_e32 v[170:171], v[6:7], v[170:171]
	s_wait_loadcnt_dscnt 0x600
	v_mul_f64_e32 v[160:161], v[12:13], v[150:151]
	v_mul_f64_e32 v[150:151], v[14:15], v[150:151]
	v_add_f64_e32 v[146:147], v[166:167], v[164:165]
	v_add_f64_e32 v[152:153], v[152:153], v[196:197]
	v_fmac_f64_e32 v[184:185], v[6:7], v[168:169]
	v_fma_f64 v[162:163], v[4:5], v[168:169], -v[170:171]
	v_fmac_f64_e32 v[160:161], v[14:15], v[148:149]
	v_fma_f64 v[12:13], v[12:13], v[148:149], -v[150:151]
	v_add_f64_e32 v[164:165], v[146:147], v[144:145]
	v_add_f64_e32 v[152:153], v[152:153], v[154:155]
	ds_load_b128 v[4:7], v2 offset:1856
	ds_load_b128 v[144:147], v2 offset:1872
	s_wait_loadcnt_dscnt 0x501
	v_mul_f64_e32 v[154:155], v[4:5], v[174:175]
	v_mul_f64_e32 v[166:167], v[6:7], v[174:175]
	s_wait_loadcnt_dscnt 0x400
	v_mul_f64_e32 v[150:151], v[144:145], v[158:159]
	v_add_f64_e32 v[14:15], v[164:165], v[162:163]
	v_add_f64_e32 v[148:149], v[152:153], v[184:185]
	v_mul_f64_e32 v[152:153], v[146:147], v[158:159]
	v_fmac_f64_e32 v[154:155], v[6:7], v[172:173]
	v_fma_f64 v[158:159], v[4:5], v[172:173], -v[166:167]
	v_fmac_f64_e32 v[150:151], v[146:147], v[156:157]
	v_add_f64_e32 v[162:163], v[14:15], v[12:13]
	v_add_f64_e32 v[148:149], v[148:149], v[160:161]
	ds_load_b128 v[4:7], v2 offset:1888
	ds_load_b128 v[12:15], v2 offset:1904
	v_fma_f64 v[144:145], v[144:145], v[156:157], -v[152:153]
	s_wait_loadcnt_dscnt 0x301
	v_mul_f64_e32 v[160:161], v[4:5], v[190:191]
	v_mul_f64_e32 v[164:165], v[6:7], v[190:191]
	s_wait_loadcnt_dscnt 0x200
	v_mul_f64_e32 v[152:153], v[12:13], v[10:11]
	v_mul_f64_e32 v[10:11], v[14:15], v[10:11]
	v_add_f64_e32 v[146:147], v[162:163], v[158:159]
	v_add_f64_e32 v[148:149], v[148:149], v[154:155]
	v_fmac_f64_e32 v[160:161], v[6:7], v[188:189]
	v_fma_f64 v[154:155], v[4:5], v[188:189], -v[164:165]
	v_fmac_f64_e32 v[152:153], v[14:15], v[8:9]
	v_fma_f64 v[8:9], v[12:13], v[8:9], -v[10:11]
	v_add_f64_e32 v[156:157], v[146:147], v[144:145]
	v_add_f64_e32 v[148:149], v[148:149], v[150:151]
	ds_load_b128 v[4:7], v2 offset:1920
	ds_load_b128 v[144:147], v2 offset:1936
	s_wait_loadcnt_dscnt 0x101
	v_mul_f64_e32 v[2:3], v[4:5], v[178:179]
	v_mul_f64_e32 v[150:151], v[6:7], v[178:179]
	s_wait_loadcnt_dscnt 0x0
	v_mul_f64_e32 v[14:15], v[144:145], v[142:143]
	v_mul_f64_e32 v[142:143], v[146:147], v[142:143]
	v_add_f64_e32 v[10:11], v[156:157], v[154:155]
	v_add_f64_e32 v[12:13], v[148:149], v[160:161]
	v_fmac_f64_e32 v[2:3], v[6:7], v[176:177]
	v_fma_f64 v[4:5], v[4:5], v[176:177], -v[150:151]
	v_fmac_f64_e32 v[14:15], v[146:147], v[140:141]
	v_add_f64_e32 v[6:7], v[10:11], v[8:9]
	v_add_f64_e32 v[8:9], v[12:13], v[152:153]
	v_fma_f64 v[10:11], v[144:145], v[140:141], -v[142:143]
	s_delay_alu instid0(VALU_DEP_3) | instskip(NEXT) | instid1(VALU_DEP_3)
	v_add_f64_e32 v[4:5], v[6:7], v[4:5]
	v_add_f64_e32 v[2:3], v[8:9], v[2:3]
	s_delay_alu instid0(VALU_DEP_2) | instskip(NEXT) | instid1(VALU_DEP_2)
	v_add_f64_e32 v[4:5], v[4:5], v[10:11]
	v_add_f64_e32 v[6:7], v[2:3], v[14:15]
	s_delay_alu instid0(VALU_DEP_2) | instskip(NEXT) | instid1(VALU_DEP_2)
	v_add_f64_e64 v[2:3], v[180:181], -v[4:5]
	v_add_f64_e64 v[4:5], v[182:183], -v[6:7]
	scratch_store_b128 off, v[2:5], off offset:320
	s_wait_xcnt 0x0
	v_cmpx_lt_u32_e32 19, v1
	s_cbranch_execz .LBB124_353
; %bb.352:
	scratch_load_b128 v[2:5], off, s60
	v_mov_b32_e32 v6, 0
	s_delay_alu instid0(VALU_DEP_1)
	v_dual_mov_b32 v7, v6 :: v_dual_mov_b32 v8, v6
	v_mov_b32_e32 v9, v6
	scratch_store_b128 off, v[6:9], off offset:304
	s_wait_loadcnt 0x0
	ds_store_b128 v138, v[2:5]
.LBB124_353:
	s_wait_xcnt 0x0
	s_or_b32 exec_lo, exec_lo, s2
	s_wait_storecnt_dscnt 0x0
	s_barrier_signal -1
	s_barrier_wait -1
	s_clause 0x9
	scratch_load_b128 v[4:7], off, off offset:320
	scratch_load_b128 v[8:11], off, off offset:336
	;; [unrolled: 1-line block ×10, first 2 shown]
	v_mov_b32_e32 v2, 0
	s_mov_b32 s2, exec_lo
	ds_load_b128 v[168:171], v2 offset:1296
	s_clause 0x2
	scratch_load_b128 v[172:175], off, off offset:480
	scratch_load_b128 v[176:179], off, off offset:304
	;; [unrolled: 1-line block ×3, first 2 shown]
	s_wait_loadcnt_dscnt 0xc00
	v_mul_f64_e32 v[188:189], v[170:171], v[6:7]
	v_mul_f64_e32 v[192:193], v[168:169], v[6:7]
	ds_load_b128 v[180:183], v2 offset:1312
	v_fma_f64 v[196:197], v[168:169], v[4:5], -v[188:189]
	v_fmac_f64_e32 v[192:193], v[170:171], v[4:5]
	ds_load_b128 v[4:7], v2 offset:1328
	s_wait_loadcnt_dscnt 0xb01
	v_mul_f64_e32 v[194:195], v[180:181], v[10:11]
	v_mul_f64_e32 v[10:11], v[182:183], v[10:11]
	scratch_load_b128 v[168:171], off, off offset:512
	ds_load_b128 v[188:191], v2 offset:1344
	s_wait_loadcnt_dscnt 0xb01
	v_mul_f64_e32 v[198:199], v[4:5], v[14:15]
	v_mul_f64_e32 v[14:15], v[6:7], v[14:15]
	v_add_f64_e32 v[192:193], 0, v[192:193]
	v_fmac_f64_e32 v[194:195], v[182:183], v[8:9]
	v_fma_f64 v[180:181], v[180:181], v[8:9], -v[10:11]
	v_add_f64_e32 v[182:183], 0, v[196:197]
	scratch_load_b128 v[8:11], off, off offset:528
	v_fmac_f64_e32 v[198:199], v[6:7], v[12:13]
	v_fma_f64 v[200:201], v[4:5], v[12:13], -v[14:15]
	ds_load_b128 v[4:7], v2 offset:1360
	s_wait_loadcnt_dscnt 0xb01
	v_mul_f64_e32 v[196:197], v[188:189], v[142:143]
	v_mul_f64_e32 v[142:143], v[190:191], v[142:143]
	scratch_load_b128 v[12:15], off, off offset:544
	v_add_f64_e32 v[192:193], v[192:193], v[194:195]
	v_add_f64_e32 v[202:203], v[182:183], v[180:181]
	ds_load_b128 v[180:183], v2 offset:1376
	s_wait_loadcnt_dscnt 0xb01
	v_mul_f64_e32 v[194:195], v[4:5], v[146:147]
	v_mul_f64_e32 v[146:147], v[6:7], v[146:147]
	v_fmac_f64_e32 v[196:197], v[190:191], v[140:141]
	v_fma_f64 v[188:189], v[188:189], v[140:141], -v[142:143]
	scratch_load_b128 v[140:143], off, off offset:560
	v_add_f64_e32 v[192:193], v[192:193], v[198:199]
	v_add_f64_e32 v[190:191], v[202:203], v[200:201]
	v_fmac_f64_e32 v[194:195], v[6:7], v[144:145]
	v_fma_f64 v[200:201], v[4:5], v[144:145], -v[146:147]
	ds_load_b128 v[4:7], v2 offset:1392
	s_wait_loadcnt_dscnt 0xb01
	v_mul_f64_e32 v[198:199], v[180:181], v[150:151]
	v_mul_f64_e32 v[150:151], v[182:183], v[150:151]
	scratch_load_b128 v[144:147], off, off offset:576
	v_add_f64_e32 v[192:193], v[192:193], v[196:197]
	s_wait_loadcnt_dscnt 0xb00
	v_mul_f64_e32 v[196:197], v[4:5], v[154:155]
	v_add_f64_e32 v[202:203], v[190:191], v[188:189]
	v_mul_f64_e32 v[154:155], v[6:7], v[154:155]
	ds_load_b128 v[188:191], v2 offset:1408
	v_fmac_f64_e32 v[198:199], v[182:183], v[148:149]
	v_fma_f64 v[180:181], v[180:181], v[148:149], -v[150:151]
	scratch_load_b128 v[148:151], off, off offset:592
	v_add_f64_e32 v[192:193], v[192:193], v[194:195]
	v_fmac_f64_e32 v[196:197], v[6:7], v[152:153]
	v_add_f64_e32 v[182:183], v[202:203], v[200:201]
	v_fma_f64 v[200:201], v[4:5], v[152:153], -v[154:155]
	ds_load_b128 v[4:7], v2 offset:1424
	s_wait_loadcnt_dscnt 0xb01
	v_mul_f64_e32 v[194:195], v[188:189], v[158:159]
	v_mul_f64_e32 v[158:159], v[190:191], v[158:159]
	scratch_load_b128 v[152:155], off, off offset:608
	v_add_f64_e32 v[192:193], v[192:193], v[198:199]
	s_wait_loadcnt_dscnt 0xb00
	v_mul_f64_e32 v[198:199], v[4:5], v[162:163]
	v_add_f64_e32 v[202:203], v[182:183], v[180:181]
	v_mul_f64_e32 v[162:163], v[6:7], v[162:163]
	ds_load_b128 v[180:183], v2 offset:1440
	v_fmac_f64_e32 v[194:195], v[190:191], v[156:157]
	v_fma_f64 v[188:189], v[188:189], v[156:157], -v[158:159]
	scratch_load_b128 v[156:159], off, off offset:624
	v_add_f64_e32 v[192:193], v[192:193], v[196:197]
	v_fmac_f64_e32 v[198:199], v[6:7], v[160:161]
	v_add_f64_e32 v[190:191], v[202:203], v[200:201]
	;; [unrolled: 18-line block ×3, first 2 shown]
	v_fma_f64 v[200:201], v[4:5], v[172:173], -v[174:175]
	ds_load_b128 v[4:7], v2 offset:1488
	s_wait_loadcnt_dscnt 0xa01
	v_mul_f64_e32 v[198:199], v[188:189], v[186:187]
	v_mul_f64_e32 v[186:187], v[190:191], v[186:187]
	scratch_load_b128 v[172:175], off, off offset:672
	v_add_f64_e32 v[192:193], v[192:193], v[196:197]
	v_add_f64_e32 v[202:203], v[182:183], v[180:181]
	s_wait_loadcnt_dscnt 0xa00
	v_mul_f64_e32 v[196:197], v[4:5], v[170:171]
	v_mul_f64_e32 v[170:171], v[6:7], v[170:171]
	v_fmac_f64_e32 v[198:199], v[190:191], v[184:185]
	v_fma_f64 v[188:189], v[188:189], v[184:185], -v[186:187]
	ds_load_b128 v[180:183], v2 offset:1504
	scratch_load_b128 v[184:187], off, off offset:688
	v_add_f64_e32 v[192:193], v[192:193], v[194:195]
	v_add_f64_e32 v[190:191], v[202:203], v[200:201]
	v_fmac_f64_e32 v[196:197], v[6:7], v[168:169]
	v_fma_f64 v[200:201], v[4:5], v[168:169], -v[170:171]
	ds_load_b128 v[4:7], v2 offset:1520
	s_wait_loadcnt_dscnt 0xa01
	v_mul_f64_e32 v[194:195], v[180:181], v[10:11]
	v_mul_f64_e32 v[10:11], v[182:183], v[10:11]
	scratch_load_b128 v[168:171], off, off offset:704
	v_add_f64_e32 v[192:193], v[192:193], v[198:199]
	s_wait_loadcnt_dscnt 0xa00
	v_mul_f64_e32 v[198:199], v[4:5], v[14:15]
	v_add_f64_e32 v[202:203], v[190:191], v[188:189]
	v_mul_f64_e32 v[14:15], v[6:7], v[14:15]
	ds_load_b128 v[188:191], v2 offset:1536
	v_fmac_f64_e32 v[194:195], v[182:183], v[8:9]
	v_fma_f64 v[180:181], v[180:181], v[8:9], -v[10:11]
	scratch_load_b128 v[8:11], off, off offset:720
	v_add_f64_e32 v[192:193], v[192:193], v[196:197]
	v_fmac_f64_e32 v[198:199], v[6:7], v[12:13]
	v_add_f64_e32 v[182:183], v[202:203], v[200:201]
	v_fma_f64 v[200:201], v[4:5], v[12:13], -v[14:15]
	ds_load_b128 v[4:7], v2 offset:1552
	s_wait_loadcnt_dscnt 0xa01
	v_mul_f64_e32 v[196:197], v[188:189], v[142:143]
	v_mul_f64_e32 v[142:143], v[190:191], v[142:143]
	scratch_load_b128 v[12:15], off, off offset:736
	v_add_f64_e32 v[192:193], v[192:193], v[194:195]
	s_wait_loadcnt_dscnt 0xa00
	v_mul_f64_e32 v[194:195], v[4:5], v[146:147]
	v_add_f64_e32 v[202:203], v[182:183], v[180:181]
	v_mul_f64_e32 v[146:147], v[6:7], v[146:147]
	ds_load_b128 v[180:183], v2 offset:1568
	v_fmac_f64_e32 v[196:197], v[190:191], v[140:141]
	v_fma_f64 v[188:189], v[188:189], v[140:141], -v[142:143]
	scratch_load_b128 v[140:143], off, off offset:752
	v_add_f64_e32 v[192:193], v[192:193], v[198:199]
	v_fmac_f64_e32 v[194:195], v[6:7], v[144:145]
	v_add_f64_e32 v[190:191], v[202:203], v[200:201]
	;; [unrolled: 18-line block ×8, first 2 shown]
	v_fma_f64 v[200:201], v[4:5], v[144:145], -v[146:147]
	ds_load_b128 v[4:7], v2 offset:1776
	s_wait_loadcnt_dscnt 0xa01
	v_mul_f64_e32 v[198:199], v[180:181], v[150:151]
	v_mul_f64_e32 v[150:151], v[182:183], v[150:151]
	scratch_load_b128 v[144:147], off, off offset:960
	v_add_f64_e32 v[192:193], v[192:193], v[196:197]
	s_wait_loadcnt_dscnt 0xa00
	v_mul_f64_e32 v[196:197], v[4:5], v[154:155]
	v_add_f64_e32 v[202:203], v[190:191], v[188:189]
	v_mul_f64_e32 v[154:155], v[6:7], v[154:155]
	ds_load_b128 v[188:191], v2 offset:1792
	v_fmac_f64_e32 v[198:199], v[182:183], v[148:149]
	v_fma_f64 v[148:149], v[180:181], v[148:149], -v[150:151]
	s_wait_loadcnt_dscnt 0x900
	v_mul_f64_e32 v[182:183], v[188:189], v[158:159]
	v_mul_f64_e32 v[158:159], v[190:191], v[158:159]
	v_add_f64_e32 v[180:181], v[192:193], v[194:195]
	v_fmac_f64_e32 v[196:197], v[6:7], v[152:153]
	v_add_f64_e32 v[150:151], v[202:203], v[200:201]
	v_fma_f64 v[152:153], v[4:5], v[152:153], -v[154:155]
	v_fmac_f64_e32 v[182:183], v[190:191], v[156:157]
	v_fma_f64 v[156:157], v[188:189], v[156:157], -v[158:159]
	v_add_f64_e32 v[180:181], v[180:181], v[198:199]
	v_add_f64_e32 v[154:155], v[150:151], v[148:149]
	ds_load_b128 v[4:7], v2 offset:1808
	ds_load_b128 v[148:151], v2 offset:1824
	s_wait_loadcnt_dscnt 0x801
	v_mul_f64_e32 v[192:193], v[4:5], v[162:163]
	v_mul_f64_e32 v[162:163], v[6:7], v[162:163]
	s_wait_loadcnt_dscnt 0x700
	v_mul_f64_e32 v[158:159], v[148:149], v[166:167]
	v_mul_f64_e32 v[166:167], v[150:151], v[166:167]
	v_add_f64_e32 v[152:153], v[154:155], v[152:153]
	v_add_f64_e32 v[154:155], v[180:181], v[196:197]
	v_fmac_f64_e32 v[192:193], v[6:7], v[160:161]
	v_fma_f64 v[160:161], v[4:5], v[160:161], -v[162:163]
	v_fmac_f64_e32 v[158:159], v[150:151], v[164:165]
	v_fma_f64 v[148:149], v[148:149], v[164:165], -v[166:167]
	v_add_f64_e32 v[156:157], v[152:153], v[156:157]
	v_add_f64_e32 v[162:163], v[154:155], v[182:183]
	ds_load_b128 v[4:7], v2 offset:1840
	ds_load_b128 v[152:155], v2 offset:1856
	s_wait_loadcnt_dscnt 0x601
	v_mul_f64_e32 v[180:181], v[4:5], v[174:175]
	v_mul_f64_e32 v[174:175], v[6:7], v[174:175]
	v_add_f64_e32 v[150:151], v[156:157], v[160:161]
	v_add_f64_e32 v[156:157], v[162:163], v[192:193]
	s_wait_loadcnt_dscnt 0x500
	v_mul_f64_e32 v[160:161], v[152:153], v[186:187]
	v_mul_f64_e32 v[162:163], v[154:155], v[186:187]
	v_fmac_f64_e32 v[180:181], v[6:7], v[172:173]
	v_fma_f64 v[164:165], v[4:5], v[172:173], -v[174:175]
	v_add_f64_e32 v[166:167], v[150:151], v[148:149]
	v_add_f64_e32 v[156:157], v[156:157], v[158:159]
	ds_load_b128 v[4:7], v2 offset:1872
	ds_load_b128 v[148:151], v2 offset:1888
	v_fmac_f64_e32 v[160:161], v[154:155], v[184:185]
	v_fma_f64 v[152:153], v[152:153], v[184:185], -v[162:163]
	s_wait_loadcnt_dscnt 0x401
	v_mul_f64_e32 v[158:159], v[4:5], v[170:171]
	v_mul_f64_e32 v[170:171], v[6:7], v[170:171]
	s_wait_loadcnt_dscnt 0x300
	v_mul_f64_e32 v[162:163], v[148:149], v[10:11]
	v_mul_f64_e32 v[10:11], v[150:151], v[10:11]
	v_add_f64_e32 v[154:155], v[166:167], v[164:165]
	v_add_f64_e32 v[156:157], v[156:157], v[180:181]
	v_fmac_f64_e32 v[158:159], v[6:7], v[168:169]
	v_fma_f64 v[164:165], v[4:5], v[168:169], -v[170:171]
	v_fmac_f64_e32 v[162:163], v[150:151], v[8:9]
	v_fma_f64 v[8:9], v[148:149], v[8:9], -v[10:11]
	v_add_f64_e32 v[166:167], v[154:155], v[152:153]
	v_add_f64_e32 v[156:157], v[156:157], v[160:161]
	ds_load_b128 v[4:7], v2 offset:1904
	ds_load_b128 v[152:155], v2 offset:1920
	s_wait_loadcnt_dscnt 0x201
	v_mul_f64_e32 v[160:161], v[4:5], v[14:15]
	v_mul_f64_e32 v[14:15], v[6:7], v[14:15]
	s_wait_loadcnt_dscnt 0x100
	v_mul_f64_e32 v[150:151], v[152:153], v[142:143]
	v_mul_f64_e32 v[142:143], v[154:155], v[142:143]
	v_add_f64_e32 v[10:11], v[166:167], v[164:165]
	v_add_f64_e32 v[148:149], v[156:157], v[158:159]
	v_fmac_f64_e32 v[160:161], v[6:7], v[12:13]
	v_fma_f64 v[12:13], v[4:5], v[12:13], -v[14:15]
	ds_load_b128 v[4:7], v2 offset:1936
	v_fmac_f64_e32 v[150:151], v[154:155], v[140:141]
	v_fma_f64 v[140:141], v[152:153], v[140:141], -v[142:143]
	v_add_f64_e32 v[8:9], v[10:11], v[8:9]
	v_add_f64_e32 v[10:11], v[148:149], v[162:163]
	s_wait_loadcnt_dscnt 0x0
	v_mul_f64_e32 v[14:15], v[4:5], v[146:147]
	v_mul_f64_e32 v[146:147], v[6:7], v[146:147]
	s_delay_alu instid0(VALU_DEP_4) | instskip(NEXT) | instid1(VALU_DEP_4)
	v_add_f64_e32 v[8:9], v[8:9], v[12:13]
	v_add_f64_e32 v[10:11], v[10:11], v[160:161]
	s_delay_alu instid0(VALU_DEP_4) | instskip(NEXT) | instid1(VALU_DEP_4)
	v_fmac_f64_e32 v[14:15], v[6:7], v[144:145]
	v_fma_f64 v[4:5], v[4:5], v[144:145], -v[146:147]
	s_delay_alu instid0(VALU_DEP_4) | instskip(NEXT) | instid1(VALU_DEP_4)
	v_add_f64_e32 v[6:7], v[8:9], v[140:141]
	v_add_f64_e32 v[8:9], v[10:11], v[150:151]
	s_delay_alu instid0(VALU_DEP_2) | instskip(NEXT) | instid1(VALU_DEP_2)
	v_add_f64_e32 v[4:5], v[6:7], v[4:5]
	v_add_f64_e32 v[6:7], v[8:9], v[14:15]
	s_delay_alu instid0(VALU_DEP_2) | instskip(NEXT) | instid1(VALU_DEP_2)
	v_add_f64_e64 v[4:5], v[176:177], -v[4:5]
	v_add_f64_e64 v[6:7], v[178:179], -v[6:7]
	scratch_store_b128 off, v[4:7], off offset:304
	s_wait_xcnt 0x0
	v_cmpx_lt_u32_e32 18, v1
	s_cbranch_execz .LBB124_355
; %bb.354:
	scratch_load_b128 v[6:9], off, s61
	v_dual_mov_b32 v3, v2 :: v_dual_mov_b32 v4, v2
	v_mov_b32_e32 v5, v2
	scratch_store_b128 off, v[2:5], off offset:288
	s_wait_loadcnt 0x0
	ds_store_b128 v138, v[6:9]
.LBB124_355:
	s_wait_xcnt 0x0
	s_or_b32 exec_lo, exec_lo, s2
	s_wait_storecnt_dscnt 0x0
	s_barrier_signal -1
	s_barrier_wait -1
	s_clause 0x9
	scratch_load_b128 v[4:7], off, off offset:304
	scratch_load_b128 v[8:11], off, off offset:320
	;; [unrolled: 1-line block ×10, first 2 shown]
	ds_load_b128 v[168:171], v2 offset:1280
	ds_load_b128 v[176:179], v2 offset:1296
	s_clause 0x2
	scratch_load_b128 v[172:175], off, off offset:464
	scratch_load_b128 v[180:183], off, off offset:288
	;; [unrolled: 1-line block ×3, first 2 shown]
	s_mov_b32 s2, exec_lo
	s_wait_loadcnt_dscnt 0xc01
	v_mul_f64_e32 v[188:189], v[170:171], v[6:7]
	v_mul_f64_e32 v[192:193], v[168:169], v[6:7]
	s_wait_loadcnt_dscnt 0xb00
	v_mul_f64_e32 v[194:195], v[176:177], v[10:11]
	v_mul_f64_e32 v[10:11], v[178:179], v[10:11]
	s_delay_alu instid0(VALU_DEP_4) | instskip(NEXT) | instid1(VALU_DEP_4)
	v_fma_f64 v[196:197], v[168:169], v[4:5], -v[188:189]
	v_fmac_f64_e32 v[192:193], v[170:171], v[4:5]
	ds_load_b128 v[4:7], v2 offset:1312
	ds_load_b128 v[168:171], v2 offset:1328
	scratch_load_b128 v[188:191], off, off offset:496
	v_fmac_f64_e32 v[194:195], v[178:179], v[8:9]
	v_fma_f64 v[176:177], v[176:177], v[8:9], -v[10:11]
	scratch_load_b128 v[8:11], off, off offset:512
	s_wait_loadcnt_dscnt 0xc01
	v_mul_f64_e32 v[198:199], v[4:5], v[14:15]
	v_mul_f64_e32 v[14:15], v[6:7], v[14:15]
	v_add_f64_e32 v[178:179], 0, v[196:197]
	v_add_f64_e32 v[192:193], 0, v[192:193]
	s_wait_loadcnt_dscnt 0xb00
	v_mul_f64_e32 v[196:197], v[168:169], v[142:143]
	v_mul_f64_e32 v[142:143], v[170:171], v[142:143]
	v_fmac_f64_e32 v[198:199], v[6:7], v[12:13]
	v_fma_f64 v[200:201], v[4:5], v[12:13], -v[14:15]
	ds_load_b128 v[4:7], v2 offset:1344
	ds_load_b128 v[12:15], v2 offset:1360
	v_add_f64_e32 v[202:203], v[178:179], v[176:177]
	v_add_f64_e32 v[192:193], v[192:193], v[194:195]
	scratch_load_b128 v[176:179], off, off offset:528
	v_fmac_f64_e32 v[196:197], v[170:171], v[140:141]
	v_fma_f64 v[168:169], v[168:169], v[140:141], -v[142:143]
	scratch_load_b128 v[140:143], off, off offset:544
	s_wait_loadcnt_dscnt 0xc01
	v_mul_f64_e32 v[194:195], v[4:5], v[146:147]
	v_mul_f64_e32 v[146:147], v[6:7], v[146:147]
	v_add_f64_e32 v[170:171], v[202:203], v[200:201]
	v_add_f64_e32 v[192:193], v[192:193], v[198:199]
	s_wait_loadcnt_dscnt 0xb00
	v_mul_f64_e32 v[198:199], v[12:13], v[150:151]
	v_mul_f64_e32 v[150:151], v[14:15], v[150:151]
	v_fmac_f64_e32 v[194:195], v[6:7], v[144:145]
	v_fma_f64 v[200:201], v[4:5], v[144:145], -v[146:147]
	ds_load_b128 v[4:7], v2 offset:1376
	ds_load_b128 v[144:147], v2 offset:1392
	v_add_f64_e32 v[202:203], v[170:171], v[168:169]
	v_add_f64_e32 v[192:193], v[192:193], v[196:197]
	scratch_load_b128 v[168:171], off, off offset:560
	s_wait_loadcnt_dscnt 0xb01
	v_mul_f64_e32 v[196:197], v[4:5], v[154:155]
	v_mul_f64_e32 v[154:155], v[6:7], v[154:155]
	v_fmac_f64_e32 v[198:199], v[14:15], v[148:149]
	v_fma_f64 v[148:149], v[12:13], v[148:149], -v[150:151]
	scratch_load_b128 v[12:15], off, off offset:576
	v_add_f64_e32 v[150:151], v[202:203], v[200:201]
	v_add_f64_e32 v[192:193], v[192:193], v[194:195]
	s_wait_loadcnt_dscnt 0xb00
	v_mul_f64_e32 v[194:195], v[144:145], v[158:159]
	v_mul_f64_e32 v[158:159], v[146:147], v[158:159]
	v_fmac_f64_e32 v[196:197], v[6:7], v[152:153]
	v_fma_f64 v[200:201], v[4:5], v[152:153], -v[154:155]
	v_add_f64_e32 v[202:203], v[150:151], v[148:149]
	v_add_f64_e32 v[192:193], v[192:193], v[198:199]
	ds_load_b128 v[4:7], v2 offset:1408
	ds_load_b128 v[148:151], v2 offset:1424
	scratch_load_b128 v[152:155], off, off offset:592
	v_fmac_f64_e32 v[194:195], v[146:147], v[156:157]
	v_fma_f64 v[156:157], v[144:145], v[156:157], -v[158:159]
	scratch_load_b128 v[144:147], off, off offset:608
	s_wait_loadcnt_dscnt 0xc01
	v_mul_f64_e32 v[198:199], v[4:5], v[162:163]
	v_mul_f64_e32 v[162:163], v[6:7], v[162:163]
	v_add_f64_e32 v[158:159], v[202:203], v[200:201]
	v_add_f64_e32 v[192:193], v[192:193], v[196:197]
	s_wait_loadcnt_dscnt 0xb00
	v_mul_f64_e32 v[196:197], v[148:149], v[166:167]
	v_mul_f64_e32 v[166:167], v[150:151], v[166:167]
	v_fmac_f64_e32 v[198:199], v[6:7], v[160:161]
	v_fma_f64 v[200:201], v[4:5], v[160:161], -v[162:163]
	v_add_f64_e32 v[202:203], v[158:159], v[156:157]
	v_add_f64_e32 v[192:193], v[192:193], v[194:195]
	ds_load_b128 v[4:7], v2 offset:1440
	ds_load_b128 v[156:159], v2 offset:1456
	scratch_load_b128 v[160:163], off, off offset:624
	v_fmac_f64_e32 v[196:197], v[150:151], v[164:165]
	v_fma_f64 v[164:165], v[148:149], v[164:165], -v[166:167]
	scratch_load_b128 v[148:151], off, off offset:640
	s_wait_loadcnt_dscnt 0xc01
	v_mul_f64_e32 v[194:195], v[4:5], v[174:175]
	v_mul_f64_e32 v[174:175], v[6:7], v[174:175]
	;; [unrolled: 18-line block ×5, first 2 shown]
	v_add_f64_e32 v[186:187], v[202:203], v[200:201]
	v_add_f64_e32 v[192:193], v[192:193], v[198:199]
	s_wait_loadcnt_dscnt 0xa00
	v_mul_f64_e32 v[198:199], v[164:165], v[14:15]
	v_mul_f64_e32 v[14:15], v[166:167], v[14:15]
	v_fmac_f64_e32 v[194:195], v[6:7], v[168:169]
	v_fma_f64 v[200:201], v[4:5], v[168:169], -v[170:171]
	ds_load_b128 v[4:7], v2 offset:1568
	ds_load_b128 v[168:171], v2 offset:1584
	v_add_f64_e32 v[202:203], v[186:187], v[184:185]
	v_add_f64_e32 v[192:193], v[192:193], v[196:197]
	scratch_load_b128 v[184:187], off, off offset:752
	v_fmac_f64_e32 v[198:199], v[166:167], v[12:13]
	v_fma_f64 v[164:165], v[164:165], v[12:13], -v[14:15]
	scratch_load_b128 v[12:15], off, off offset:768
	s_wait_loadcnt_dscnt 0xb01
	v_mul_f64_e32 v[196:197], v[4:5], v[154:155]
	v_mul_f64_e32 v[154:155], v[6:7], v[154:155]
	v_add_f64_e32 v[166:167], v[202:203], v[200:201]
	v_add_f64_e32 v[192:193], v[192:193], v[194:195]
	s_wait_loadcnt_dscnt 0xa00
	v_mul_f64_e32 v[194:195], v[168:169], v[146:147]
	v_mul_f64_e32 v[146:147], v[170:171], v[146:147]
	v_fmac_f64_e32 v[196:197], v[6:7], v[152:153]
	v_fma_f64 v[200:201], v[4:5], v[152:153], -v[154:155]
	ds_load_b128 v[4:7], v2 offset:1600
	ds_load_b128 v[152:155], v2 offset:1616
	v_add_f64_e32 v[202:203], v[166:167], v[164:165]
	v_add_f64_e32 v[192:193], v[192:193], v[198:199]
	scratch_load_b128 v[164:167], off, off offset:784
	s_wait_loadcnt_dscnt 0xa01
	v_mul_f64_e32 v[198:199], v[4:5], v[162:163]
	v_mul_f64_e32 v[162:163], v[6:7], v[162:163]
	v_fmac_f64_e32 v[194:195], v[170:171], v[144:145]
	v_fma_f64 v[168:169], v[168:169], v[144:145], -v[146:147]
	scratch_load_b128 v[144:147], off, off offset:800
	v_add_f64_e32 v[170:171], v[202:203], v[200:201]
	v_add_f64_e32 v[192:193], v[192:193], v[196:197]
	s_wait_loadcnt_dscnt 0xa00
	v_mul_f64_e32 v[196:197], v[152:153], v[150:151]
	v_mul_f64_e32 v[150:151], v[154:155], v[150:151]
	v_fmac_f64_e32 v[198:199], v[6:7], v[160:161]
	v_fma_f64 v[200:201], v[4:5], v[160:161], -v[162:163]
	ds_load_b128 v[4:7], v2 offset:1632
	ds_load_b128 v[160:163], v2 offset:1648
	v_add_f64_e32 v[202:203], v[170:171], v[168:169]
	v_add_f64_e32 v[192:193], v[192:193], v[194:195]
	scratch_load_b128 v[168:171], off, off offset:816
	s_wait_loadcnt_dscnt 0xa01
	v_mul_f64_e32 v[194:195], v[4:5], v[174:175]
	v_mul_f64_e32 v[174:175], v[6:7], v[174:175]
	v_fmac_f64_e32 v[196:197], v[154:155], v[148:149]
	v_fma_f64 v[152:153], v[152:153], v[148:149], -v[150:151]
	scratch_load_b128 v[148:151], off, off offset:832
	v_add_f64_e32 v[154:155], v[202:203], v[200:201]
	v_add_f64_e32 v[192:193], v[192:193], v[198:199]
	s_wait_loadcnt_dscnt 0xa00
	v_mul_f64_e32 v[198:199], v[160:161], v[158:159]
	v_mul_f64_e32 v[158:159], v[162:163], v[158:159]
	v_fmac_f64_e32 v[194:195], v[6:7], v[172:173]
	v_fma_f64 v[200:201], v[4:5], v[172:173], -v[174:175]
	v_add_f64_e32 v[202:203], v[154:155], v[152:153]
	v_add_f64_e32 v[192:193], v[192:193], v[196:197]
	ds_load_b128 v[4:7], v2 offset:1664
	ds_load_b128 v[152:155], v2 offset:1680
	scratch_load_b128 v[172:175], off, off offset:848
	v_fmac_f64_e32 v[198:199], v[162:163], v[156:157]
	v_fma_f64 v[160:161], v[160:161], v[156:157], -v[158:159]
	scratch_load_b128 v[156:159], off, off offset:864
	s_wait_loadcnt_dscnt 0xb01
	v_mul_f64_e32 v[196:197], v[4:5], v[190:191]
	v_mul_f64_e32 v[190:191], v[6:7], v[190:191]
	v_add_f64_e32 v[162:163], v[202:203], v[200:201]
	v_add_f64_e32 v[192:193], v[192:193], v[194:195]
	s_wait_loadcnt_dscnt 0xa00
	v_mul_f64_e32 v[194:195], v[152:153], v[10:11]
	v_mul_f64_e32 v[10:11], v[154:155], v[10:11]
	v_fmac_f64_e32 v[196:197], v[6:7], v[188:189]
	v_fma_f64 v[200:201], v[4:5], v[188:189], -v[190:191]
	v_add_f64_e32 v[202:203], v[162:163], v[160:161]
	v_add_f64_e32 v[192:193], v[192:193], v[198:199]
	ds_load_b128 v[4:7], v2 offset:1696
	ds_load_b128 v[160:163], v2 offset:1712
	scratch_load_b128 v[188:191], off, off offset:880
	v_fmac_f64_e32 v[194:195], v[154:155], v[8:9]
	v_fma_f64 v[152:153], v[152:153], v[8:9], -v[10:11]
	scratch_load_b128 v[8:11], off, off offset:896
	s_wait_loadcnt_dscnt 0xb01
	v_mul_f64_e32 v[198:199], v[4:5], v[178:179]
	v_mul_f64_e32 v[178:179], v[6:7], v[178:179]
	;; [unrolled: 18-line block ×4, first 2 shown]
	v_add_f64_e32 v[154:155], v[202:203], v[200:201]
	v_add_f64_e32 v[192:193], v[192:193], v[194:195]
	s_wait_loadcnt_dscnt 0xa00
	v_mul_f64_e32 v[194:195], v[160:161], v[146:147]
	v_mul_f64_e32 v[146:147], v[162:163], v[146:147]
	v_fmac_f64_e32 v[196:197], v[6:7], v[164:165]
	v_fma_f64 v[164:165], v[4:5], v[164:165], -v[166:167]
	v_add_f64_e32 v[166:167], v[154:155], v[152:153]
	v_add_f64_e32 v[192:193], v[192:193], v[198:199]
	ds_load_b128 v[4:7], v2 offset:1792
	ds_load_b128 v[152:155], v2 offset:1808
	v_fmac_f64_e32 v[194:195], v[162:163], v[144:145]
	v_fma_f64 v[144:145], v[160:161], v[144:145], -v[146:147]
	s_wait_loadcnt_dscnt 0x901
	v_mul_f64_e32 v[198:199], v[4:5], v[170:171]
	v_mul_f64_e32 v[170:171], v[6:7], v[170:171]
	s_wait_loadcnt_dscnt 0x800
	v_mul_f64_e32 v[162:163], v[152:153], v[150:151]
	v_mul_f64_e32 v[150:151], v[154:155], v[150:151]
	v_add_f64_e32 v[146:147], v[166:167], v[164:165]
	v_add_f64_e32 v[160:161], v[192:193], v[196:197]
	v_fmac_f64_e32 v[198:199], v[6:7], v[168:169]
	v_fma_f64 v[164:165], v[4:5], v[168:169], -v[170:171]
	v_fmac_f64_e32 v[162:163], v[154:155], v[148:149]
	v_fma_f64 v[148:149], v[152:153], v[148:149], -v[150:151]
	v_add_f64_e32 v[166:167], v[146:147], v[144:145]
	v_add_f64_e32 v[160:161], v[160:161], v[194:195]
	ds_load_b128 v[4:7], v2 offset:1824
	ds_load_b128 v[144:147], v2 offset:1840
	s_wait_loadcnt_dscnt 0x701
	v_mul_f64_e32 v[168:169], v[4:5], v[174:175]
	v_mul_f64_e32 v[170:171], v[6:7], v[174:175]
	s_wait_loadcnt_dscnt 0x600
	v_mul_f64_e32 v[154:155], v[144:145], v[158:159]
	v_mul_f64_e32 v[158:159], v[146:147], v[158:159]
	v_add_f64_e32 v[150:151], v[166:167], v[164:165]
	v_add_f64_e32 v[152:153], v[160:161], v[198:199]
	v_fmac_f64_e32 v[168:169], v[6:7], v[172:173]
	v_fma_f64 v[160:161], v[4:5], v[172:173], -v[170:171]
	v_fmac_f64_e32 v[154:155], v[146:147], v[156:157]
	v_fma_f64 v[144:145], v[144:145], v[156:157], -v[158:159]
	v_add_f64_e32 v[164:165], v[150:151], v[148:149]
	v_add_f64_e32 v[152:153], v[152:153], v[162:163]
	ds_load_b128 v[4:7], v2 offset:1856
	ds_load_b128 v[148:151], v2 offset:1872
	;; [unrolled: 16-line block ×4, first 2 shown]
	s_wait_loadcnt_dscnt 0x101
	v_mul_f64_e32 v[2:3], v[4:5], v[186:187]
	v_mul_f64_e32 v[156:157], v[6:7], v[186:187]
	s_wait_loadcnt_dscnt 0x0
	v_mul_f64_e32 v[146:147], v[8:9], v[14:15]
	v_mul_f64_e32 v[14:15], v[10:11], v[14:15]
	v_add_f64_e32 v[142:143], v[158:159], v[152:153]
	v_add_f64_e32 v[144:145], v[148:149], v[154:155]
	v_fmac_f64_e32 v[2:3], v[6:7], v[184:185]
	v_fma_f64 v[4:5], v[4:5], v[184:185], -v[156:157]
	v_fmac_f64_e32 v[146:147], v[10:11], v[12:13]
	v_fma_f64 v[8:9], v[8:9], v[12:13], -v[14:15]
	v_add_f64_e32 v[6:7], v[142:143], v[140:141]
	v_add_f64_e32 v[140:141], v[144:145], v[150:151]
	s_delay_alu instid0(VALU_DEP_2) | instskip(NEXT) | instid1(VALU_DEP_2)
	v_add_f64_e32 v[4:5], v[6:7], v[4:5]
	v_add_f64_e32 v[2:3], v[140:141], v[2:3]
	s_delay_alu instid0(VALU_DEP_2) | instskip(NEXT) | instid1(VALU_DEP_2)
	;; [unrolled: 3-line block ×3, first 2 shown]
	v_add_f64_e64 v[2:3], v[180:181], -v[4:5]
	v_add_f64_e64 v[4:5], v[182:183], -v[6:7]
	scratch_store_b128 off, v[2:5], off offset:288
	s_wait_xcnt 0x0
	v_cmpx_lt_u32_e32 17, v1
	s_cbranch_execz .LBB124_357
; %bb.356:
	scratch_load_b128 v[2:5], off, s62
	v_mov_b32_e32 v6, 0
	s_delay_alu instid0(VALU_DEP_1)
	v_dual_mov_b32 v7, v6 :: v_dual_mov_b32 v8, v6
	v_mov_b32_e32 v9, v6
	scratch_store_b128 off, v[6:9], off offset:272
	s_wait_loadcnt 0x0
	ds_store_b128 v138, v[2:5]
.LBB124_357:
	s_wait_xcnt 0x0
	s_or_b32 exec_lo, exec_lo, s2
	s_wait_storecnt_dscnt 0x0
	s_barrier_signal -1
	s_barrier_wait -1
	s_clause 0x9
	scratch_load_b128 v[4:7], off, off offset:288
	scratch_load_b128 v[8:11], off, off offset:304
	;; [unrolled: 1-line block ×10, first 2 shown]
	v_mov_b32_e32 v2, 0
	s_mov_b32 s2, exec_lo
	ds_load_b128 v[168:171], v2 offset:1264
	s_clause 0x2
	scratch_load_b128 v[172:175], off, off offset:448
	scratch_load_b128 v[176:179], off, off offset:272
	;; [unrolled: 1-line block ×3, first 2 shown]
	s_wait_loadcnt_dscnt 0xc00
	v_mul_f64_e32 v[188:189], v[170:171], v[6:7]
	v_mul_f64_e32 v[192:193], v[168:169], v[6:7]
	ds_load_b128 v[180:183], v2 offset:1280
	v_fma_f64 v[196:197], v[168:169], v[4:5], -v[188:189]
	v_fmac_f64_e32 v[192:193], v[170:171], v[4:5]
	ds_load_b128 v[4:7], v2 offset:1296
	s_wait_loadcnt_dscnt 0xb01
	v_mul_f64_e32 v[194:195], v[180:181], v[10:11]
	v_mul_f64_e32 v[10:11], v[182:183], v[10:11]
	scratch_load_b128 v[168:171], off, off offset:480
	ds_load_b128 v[188:191], v2 offset:1312
	s_wait_loadcnt_dscnt 0xb01
	v_mul_f64_e32 v[198:199], v[4:5], v[14:15]
	v_mul_f64_e32 v[14:15], v[6:7], v[14:15]
	v_add_f64_e32 v[192:193], 0, v[192:193]
	v_fmac_f64_e32 v[194:195], v[182:183], v[8:9]
	v_fma_f64 v[180:181], v[180:181], v[8:9], -v[10:11]
	v_add_f64_e32 v[182:183], 0, v[196:197]
	scratch_load_b128 v[8:11], off, off offset:496
	v_fmac_f64_e32 v[198:199], v[6:7], v[12:13]
	v_fma_f64 v[200:201], v[4:5], v[12:13], -v[14:15]
	ds_load_b128 v[4:7], v2 offset:1328
	s_wait_loadcnt_dscnt 0xb01
	v_mul_f64_e32 v[196:197], v[188:189], v[142:143]
	v_mul_f64_e32 v[142:143], v[190:191], v[142:143]
	scratch_load_b128 v[12:15], off, off offset:512
	v_add_f64_e32 v[192:193], v[192:193], v[194:195]
	v_add_f64_e32 v[202:203], v[182:183], v[180:181]
	ds_load_b128 v[180:183], v2 offset:1344
	s_wait_loadcnt_dscnt 0xb01
	v_mul_f64_e32 v[194:195], v[4:5], v[146:147]
	v_mul_f64_e32 v[146:147], v[6:7], v[146:147]
	v_fmac_f64_e32 v[196:197], v[190:191], v[140:141]
	v_fma_f64 v[188:189], v[188:189], v[140:141], -v[142:143]
	scratch_load_b128 v[140:143], off, off offset:528
	v_add_f64_e32 v[192:193], v[192:193], v[198:199]
	v_add_f64_e32 v[190:191], v[202:203], v[200:201]
	v_fmac_f64_e32 v[194:195], v[6:7], v[144:145]
	v_fma_f64 v[200:201], v[4:5], v[144:145], -v[146:147]
	ds_load_b128 v[4:7], v2 offset:1360
	s_wait_loadcnt_dscnt 0xb01
	v_mul_f64_e32 v[198:199], v[180:181], v[150:151]
	v_mul_f64_e32 v[150:151], v[182:183], v[150:151]
	scratch_load_b128 v[144:147], off, off offset:544
	v_add_f64_e32 v[192:193], v[192:193], v[196:197]
	s_wait_loadcnt_dscnt 0xb00
	v_mul_f64_e32 v[196:197], v[4:5], v[154:155]
	v_add_f64_e32 v[202:203], v[190:191], v[188:189]
	v_mul_f64_e32 v[154:155], v[6:7], v[154:155]
	ds_load_b128 v[188:191], v2 offset:1376
	v_fmac_f64_e32 v[198:199], v[182:183], v[148:149]
	v_fma_f64 v[180:181], v[180:181], v[148:149], -v[150:151]
	scratch_load_b128 v[148:151], off, off offset:560
	v_add_f64_e32 v[192:193], v[192:193], v[194:195]
	v_fmac_f64_e32 v[196:197], v[6:7], v[152:153]
	v_add_f64_e32 v[182:183], v[202:203], v[200:201]
	v_fma_f64 v[200:201], v[4:5], v[152:153], -v[154:155]
	ds_load_b128 v[4:7], v2 offset:1392
	s_wait_loadcnt_dscnt 0xb01
	v_mul_f64_e32 v[194:195], v[188:189], v[158:159]
	v_mul_f64_e32 v[158:159], v[190:191], v[158:159]
	scratch_load_b128 v[152:155], off, off offset:576
	v_add_f64_e32 v[192:193], v[192:193], v[198:199]
	s_wait_loadcnt_dscnt 0xb00
	v_mul_f64_e32 v[198:199], v[4:5], v[162:163]
	v_add_f64_e32 v[202:203], v[182:183], v[180:181]
	v_mul_f64_e32 v[162:163], v[6:7], v[162:163]
	ds_load_b128 v[180:183], v2 offset:1408
	v_fmac_f64_e32 v[194:195], v[190:191], v[156:157]
	v_fma_f64 v[188:189], v[188:189], v[156:157], -v[158:159]
	scratch_load_b128 v[156:159], off, off offset:592
	v_add_f64_e32 v[192:193], v[192:193], v[196:197]
	v_fmac_f64_e32 v[198:199], v[6:7], v[160:161]
	v_add_f64_e32 v[190:191], v[202:203], v[200:201]
	;; [unrolled: 18-line block ×3, first 2 shown]
	v_fma_f64 v[200:201], v[4:5], v[172:173], -v[174:175]
	ds_load_b128 v[4:7], v2 offset:1456
	s_wait_loadcnt_dscnt 0xa01
	v_mul_f64_e32 v[198:199], v[188:189], v[186:187]
	v_mul_f64_e32 v[186:187], v[190:191], v[186:187]
	scratch_load_b128 v[172:175], off, off offset:640
	v_add_f64_e32 v[192:193], v[192:193], v[196:197]
	v_add_f64_e32 v[202:203], v[182:183], v[180:181]
	s_wait_loadcnt_dscnt 0xa00
	v_mul_f64_e32 v[196:197], v[4:5], v[170:171]
	v_mul_f64_e32 v[170:171], v[6:7], v[170:171]
	v_fmac_f64_e32 v[198:199], v[190:191], v[184:185]
	v_fma_f64 v[188:189], v[188:189], v[184:185], -v[186:187]
	ds_load_b128 v[180:183], v2 offset:1472
	scratch_load_b128 v[184:187], off, off offset:656
	v_add_f64_e32 v[192:193], v[192:193], v[194:195]
	v_add_f64_e32 v[190:191], v[202:203], v[200:201]
	v_fmac_f64_e32 v[196:197], v[6:7], v[168:169]
	v_fma_f64 v[200:201], v[4:5], v[168:169], -v[170:171]
	ds_load_b128 v[4:7], v2 offset:1488
	s_wait_loadcnt_dscnt 0xa01
	v_mul_f64_e32 v[194:195], v[180:181], v[10:11]
	v_mul_f64_e32 v[10:11], v[182:183], v[10:11]
	scratch_load_b128 v[168:171], off, off offset:672
	v_add_f64_e32 v[192:193], v[192:193], v[198:199]
	s_wait_loadcnt_dscnt 0xa00
	v_mul_f64_e32 v[198:199], v[4:5], v[14:15]
	v_add_f64_e32 v[202:203], v[190:191], v[188:189]
	v_mul_f64_e32 v[14:15], v[6:7], v[14:15]
	ds_load_b128 v[188:191], v2 offset:1504
	v_fmac_f64_e32 v[194:195], v[182:183], v[8:9]
	v_fma_f64 v[180:181], v[180:181], v[8:9], -v[10:11]
	scratch_load_b128 v[8:11], off, off offset:688
	v_add_f64_e32 v[192:193], v[192:193], v[196:197]
	v_fmac_f64_e32 v[198:199], v[6:7], v[12:13]
	v_add_f64_e32 v[182:183], v[202:203], v[200:201]
	v_fma_f64 v[200:201], v[4:5], v[12:13], -v[14:15]
	ds_load_b128 v[4:7], v2 offset:1520
	s_wait_loadcnt_dscnt 0xa01
	v_mul_f64_e32 v[196:197], v[188:189], v[142:143]
	v_mul_f64_e32 v[142:143], v[190:191], v[142:143]
	scratch_load_b128 v[12:15], off, off offset:704
	v_add_f64_e32 v[192:193], v[192:193], v[194:195]
	s_wait_loadcnt_dscnt 0xa00
	v_mul_f64_e32 v[194:195], v[4:5], v[146:147]
	v_add_f64_e32 v[202:203], v[182:183], v[180:181]
	v_mul_f64_e32 v[146:147], v[6:7], v[146:147]
	ds_load_b128 v[180:183], v2 offset:1536
	v_fmac_f64_e32 v[196:197], v[190:191], v[140:141]
	v_fma_f64 v[188:189], v[188:189], v[140:141], -v[142:143]
	scratch_load_b128 v[140:143], off, off offset:720
	v_add_f64_e32 v[192:193], v[192:193], v[198:199]
	v_fmac_f64_e32 v[194:195], v[6:7], v[144:145]
	v_add_f64_e32 v[190:191], v[202:203], v[200:201]
	;; [unrolled: 18-line block ×9, first 2 shown]
	v_fma_f64 v[200:201], v[4:5], v[152:153], -v[154:155]
	ds_load_b128 v[4:7], v2 offset:1776
	s_wait_loadcnt_dscnt 0xa01
	v_mul_f64_e32 v[194:195], v[188:189], v[158:159]
	v_mul_f64_e32 v[158:159], v[190:191], v[158:159]
	scratch_load_b128 v[152:155], off, off offset:960
	v_add_f64_e32 v[192:193], v[192:193], v[198:199]
	s_wait_loadcnt_dscnt 0xa00
	v_mul_f64_e32 v[198:199], v[4:5], v[162:163]
	v_add_f64_e32 v[202:203], v[182:183], v[180:181]
	v_mul_f64_e32 v[162:163], v[6:7], v[162:163]
	ds_load_b128 v[180:183], v2 offset:1792
	v_fmac_f64_e32 v[194:195], v[190:191], v[156:157]
	v_fma_f64 v[156:157], v[188:189], v[156:157], -v[158:159]
	s_wait_loadcnt_dscnt 0x900
	v_mul_f64_e32 v[190:191], v[180:181], v[166:167]
	v_mul_f64_e32 v[166:167], v[182:183], v[166:167]
	v_add_f64_e32 v[188:189], v[192:193], v[196:197]
	v_fmac_f64_e32 v[198:199], v[6:7], v[160:161]
	v_add_f64_e32 v[158:159], v[202:203], v[200:201]
	v_fma_f64 v[160:161], v[4:5], v[160:161], -v[162:163]
	v_fmac_f64_e32 v[190:191], v[182:183], v[164:165]
	v_fma_f64 v[164:165], v[180:181], v[164:165], -v[166:167]
	v_add_f64_e32 v[188:189], v[188:189], v[194:195]
	v_add_f64_e32 v[162:163], v[158:159], v[156:157]
	ds_load_b128 v[4:7], v2 offset:1808
	ds_load_b128 v[156:159], v2 offset:1824
	s_wait_loadcnt_dscnt 0x801
	v_mul_f64_e32 v[192:193], v[4:5], v[174:175]
	v_mul_f64_e32 v[174:175], v[6:7], v[174:175]
	s_wait_loadcnt_dscnt 0x700
	v_mul_f64_e32 v[166:167], v[156:157], v[186:187]
	v_mul_f64_e32 v[180:181], v[158:159], v[186:187]
	v_add_f64_e32 v[160:161], v[162:163], v[160:161]
	v_add_f64_e32 v[162:163], v[188:189], v[198:199]
	v_fmac_f64_e32 v[192:193], v[6:7], v[172:173]
	v_fma_f64 v[172:173], v[4:5], v[172:173], -v[174:175]
	v_fmac_f64_e32 v[166:167], v[158:159], v[184:185]
	v_fma_f64 v[156:157], v[156:157], v[184:185], -v[180:181]
	v_add_f64_e32 v[164:165], v[160:161], v[164:165]
	v_add_f64_e32 v[174:175], v[162:163], v[190:191]
	ds_load_b128 v[4:7], v2 offset:1840
	ds_load_b128 v[160:163], v2 offset:1856
	s_wait_loadcnt_dscnt 0x601
	v_mul_f64_e32 v[182:183], v[4:5], v[170:171]
	v_mul_f64_e32 v[170:171], v[6:7], v[170:171]
	v_add_f64_e32 v[158:159], v[164:165], v[172:173]
	v_add_f64_e32 v[164:165], v[174:175], v[192:193]
	s_wait_loadcnt_dscnt 0x500
	v_mul_f64_e32 v[172:173], v[160:161], v[10:11]
	v_mul_f64_e32 v[10:11], v[162:163], v[10:11]
	v_fmac_f64_e32 v[182:183], v[6:7], v[168:169]
	v_fma_f64 v[168:169], v[4:5], v[168:169], -v[170:171]
	v_add_f64_e32 v[170:171], v[158:159], v[156:157]
	v_add_f64_e32 v[164:165], v[164:165], v[166:167]
	ds_load_b128 v[4:7], v2 offset:1872
	ds_load_b128 v[156:159], v2 offset:1888
	v_fmac_f64_e32 v[172:173], v[162:163], v[8:9]
	v_fma_f64 v[8:9], v[160:161], v[8:9], -v[10:11]
	s_wait_loadcnt_dscnt 0x401
	v_mul_f64_e32 v[166:167], v[4:5], v[14:15]
	v_mul_f64_e32 v[14:15], v[6:7], v[14:15]
	s_wait_loadcnt_dscnt 0x300
	v_mul_f64_e32 v[162:163], v[156:157], v[142:143]
	v_mul_f64_e32 v[142:143], v[158:159], v[142:143]
	v_add_f64_e32 v[10:11], v[170:171], v[168:169]
	v_add_f64_e32 v[160:161], v[164:165], v[182:183]
	v_fmac_f64_e32 v[166:167], v[6:7], v[12:13]
	v_fma_f64 v[12:13], v[4:5], v[12:13], -v[14:15]
	v_fmac_f64_e32 v[162:163], v[158:159], v[140:141]
	v_fma_f64 v[140:141], v[156:157], v[140:141], -v[142:143]
	v_add_f64_e32 v[14:15], v[10:11], v[8:9]
	v_add_f64_e32 v[160:161], v[160:161], v[172:173]
	ds_load_b128 v[4:7], v2 offset:1904
	ds_load_b128 v[8:11], v2 offset:1920
	s_wait_loadcnt_dscnt 0x201
	v_mul_f64_e32 v[164:165], v[4:5], v[146:147]
	v_mul_f64_e32 v[146:147], v[6:7], v[146:147]
	s_wait_loadcnt_dscnt 0x100
	v_mul_f64_e32 v[142:143], v[8:9], v[150:151]
	v_mul_f64_e32 v[150:151], v[10:11], v[150:151]
	v_add_f64_e32 v[12:13], v[14:15], v[12:13]
	v_add_f64_e32 v[14:15], v[160:161], v[166:167]
	v_fmac_f64_e32 v[164:165], v[6:7], v[144:145]
	v_fma_f64 v[144:145], v[4:5], v[144:145], -v[146:147]
	ds_load_b128 v[4:7], v2 offset:1936
	v_fmac_f64_e32 v[142:143], v[10:11], v[148:149]
	v_fma_f64 v[8:9], v[8:9], v[148:149], -v[150:151]
	v_add_f64_e32 v[12:13], v[12:13], v[140:141]
	v_add_f64_e32 v[14:15], v[14:15], v[162:163]
	s_wait_loadcnt_dscnt 0x0
	v_mul_f64_e32 v[140:141], v[4:5], v[154:155]
	v_mul_f64_e32 v[146:147], v[6:7], v[154:155]
	s_delay_alu instid0(VALU_DEP_4) | instskip(NEXT) | instid1(VALU_DEP_4)
	v_add_f64_e32 v[10:11], v[12:13], v[144:145]
	v_add_f64_e32 v[12:13], v[14:15], v[164:165]
	s_delay_alu instid0(VALU_DEP_4) | instskip(NEXT) | instid1(VALU_DEP_4)
	v_fmac_f64_e32 v[140:141], v[6:7], v[152:153]
	v_fma_f64 v[4:5], v[4:5], v[152:153], -v[146:147]
	s_delay_alu instid0(VALU_DEP_4) | instskip(NEXT) | instid1(VALU_DEP_4)
	v_add_f64_e32 v[6:7], v[10:11], v[8:9]
	v_add_f64_e32 v[8:9], v[12:13], v[142:143]
	s_delay_alu instid0(VALU_DEP_2) | instskip(NEXT) | instid1(VALU_DEP_2)
	v_add_f64_e32 v[4:5], v[6:7], v[4:5]
	v_add_f64_e32 v[6:7], v[8:9], v[140:141]
	s_delay_alu instid0(VALU_DEP_2) | instskip(NEXT) | instid1(VALU_DEP_2)
	v_add_f64_e64 v[4:5], v[176:177], -v[4:5]
	v_add_f64_e64 v[6:7], v[178:179], -v[6:7]
	scratch_store_b128 off, v[4:7], off offset:272
	s_wait_xcnt 0x0
	v_cmpx_lt_u32_e32 16, v1
	s_cbranch_execz .LBB124_359
; %bb.358:
	scratch_load_b128 v[6:9], off, s63
	v_dual_mov_b32 v3, v2 :: v_dual_mov_b32 v4, v2
	v_mov_b32_e32 v5, v2
	scratch_store_b128 off, v[2:5], off offset:256
	s_wait_loadcnt 0x0
	ds_store_b128 v138, v[6:9]
.LBB124_359:
	s_wait_xcnt 0x0
	s_or_b32 exec_lo, exec_lo, s2
	s_wait_storecnt_dscnt 0x0
	s_barrier_signal -1
	s_barrier_wait -1
	s_clause 0x9
	scratch_load_b128 v[4:7], off, off offset:272
	scratch_load_b128 v[8:11], off, off offset:288
	;; [unrolled: 1-line block ×10, first 2 shown]
	ds_load_b128 v[168:171], v2 offset:1248
	ds_load_b128 v[176:179], v2 offset:1264
	s_clause 0x2
	scratch_load_b128 v[172:175], off, off offset:432
	scratch_load_b128 v[180:183], off, off offset:256
	;; [unrolled: 1-line block ×3, first 2 shown]
	s_mov_b32 s2, exec_lo
	s_wait_loadcnt_dscnt 0xc01
	v_mul_f64_e32 v[188:189], v[170:171], v[6:7]
	v_mul_f64_e32 v[192:193], v[168:169], v[6:7]
	s_wait_loadcnt_dscnt 0xb00
	v_mul_f64_e32 v[194:195], v[176:177], v[10:11]
	v_mul_f64_e32 v[10:11], v[178:179], v[10:11]
	s_delay_alu instid0(VALU_DEP_4) | instskip(NEXT) | instid1(VALU_DEP_4)
	v_fma_f64 v[196:197], v[168:169], v[4:5], -v[188:189]
	v_fmac_f64_e32 v[192:193], v[170:171], v[4:5]
	ds_load_b128 v[4:7], v2 offset:1280
	ds_load_b128 v[168:171], v2 offset:1296
	scratch_load_b128 v[188:191], off, off offset:464
	v_fmac_f64_e32 v[194:195], v[178:179], v[8:9]
	v_fma_f64 v[176:177], v[176:177], v[8:9], -v[10:11]
	scratch_load_b128 v[8:11], off, off offset:480
	s_wait_loadcnt_dscnt 0xc01
	v_mul_f64_e32 v[198:199], v[4:5], v[14:15]
	v_mul_f64_e32 v[14:15], v[6:7], v[14:15]
	v_add_f64_e32 v[178:179], 0, v[196:197]
	v_add_f64_e32 v[192:193], 0, v[192:193]
	s_wait_loadcnt_dscnt 0xb00
	v_mul_f64_e32 v[196:197], v[168:169], v[142:143]
	v_mul_f64_e32 v[142:143], v[170:171], v[142:143]
	v_fmac_f64_e32 v[198:199], v[6:7], v[12:13]
	v_fma_f64 v[200:201], v[4:5], v[12:13], -v[14:15]
	ds_load_b128 v[4:7], v2 offset:1312
	ds_load_b128 v[12:15], v2 offset:1328
	v_add_f64_e32 v[202:203], v[178:179], v[176:177]
	v_add_f64_e32 v[192:193], v[192:193], v[194:195]
	scratch_load_b128 v[176:179], off, off offset:496
	v_fmac_f64_e32 v[196:197], v[170:171], v[140:141]
	v_fma_f64 v[168:169], v[168:169], v[140:141], -v[142:143]
	scratch_load_b128 v[140:143], off, off offset:512
	s_wait_loadcnt_dscnt 0xc01
	v_mul_f64_e32 v[194:195], v[4:5], v[146:147]
	v_mul_f64_e32 v[146:147], v[6:7], v[146:147]
	v_add_f64_e32 v[170:171], v[202:203], v[200:201]
	v_add_f64_e32 v[192:193], v[192:193], v[198:199]
	s_wait_loadcnt_dscnt 0xb00
	v_mul_f64_e32 v[198:199], v[12:13], v[150:151]
	v_mul_f64_e32 v[150:151], v[14:15], v[150:151]
	v_fmac_f64_e32 v[194:195], v[6:7], v[144:145]
	v_fma_f64 v[200:201], v[4:5], v[144:145], -v[146:147]
	ds_load_b128 v[4:7], v2 offset:1344
	ds_load_b128 v[144:147], v2 offset:1360
	v_add_f64_e32 v[202:203], v[170:171], v[168:169]
	v_add_f64_e32 v[192:193], v[192:193], v[196:197]
	scratch_load_b128 v[168:171], off, off offset:528
	s_wait_loadcnt_dscnt 0xb01
	v_mul_f64_e32 v[196:197], v[4:5], v[154:155]
	v_mul_f64_e32 v[154:155], v[6:7], v[154:155]
	v_fmac_f64_e32 v[198:199], v[14:15], v[148:149]
	v_fma_f64 v[148:149], v[12:13], v[148:149], -v[150:151]
	scratch_load_b128 v[12:15], off, off offset:544
	v_add_f64_e32 v[150:151], v[202:203], v[200:201]
	v_add_f64_e32 v[192:193], v[192:193], v[194:195]
	s_wait_loadcnt_dscnt 0xb00
	v_mul_f64_e32 v[194:195], v[144:145], v[158:159]
	v_mul_f64_e32 v[158:159], v[146:147], v[158:159]
	v_fmac_f64_e32 v[196:197], v[6:7], v[152:153]
	v_fma_f64 v[200:201], v[4:5], v[152:153], -v[154:155]
	v_add_f64_e32 v[202:203], v[150:151], v[148:149]
	v_add_f64_e32 v[192:193], v[192:193], v[198:199]
	ds_load_b128 v[4:7], v2 offset:1376
	ds_load_b128 v[148:151], v2 offset:1392
	scratch_load_b128 v[152:155], off, off offset:560
	v_fmac_f64_e32 v[194:195], v[146:147], v[156:157]
	v_fma_f64 v[156:157], v[144:145], v[156:157], -v[158:159]
	scratch_load_b128 v[144:147], off, off offset:576
	s_wait_loadcnt_dscnt 0xc01
	v_mul_f64_e32 v[198:199], v[4:5], v[162:163]
	v_mul_f64_e32 v[162:163], v[6:7], v[162:163]
	v_add_f64_e32 v[158:159], v[202:203], v[200:201]
	v_add_f64_e32 v[192:193], v[192:193], v[196:197]
	s_wait_loadcnt_dscnt 0xb00
	v_mul_f64_e32 v[196:197], v[148:149], v[166:167]
	v_mul_f64_e32 v[166:167], v[150:151], v[166:167]
	v_fmac_f64_e32 v[198:199], v[6:7], v[160:161]
	v_fma_f64 v[200:201], v[4:5], v[160:161], -v[162:163]
	v_add_f64_e32 v[202:203], v[158:159], v[156:157]
	v_add_f64_e32 v[192:193], v[192:193], v[194:195]
	ds_load_b128 v[4:7], v2 offset:1408
	ds_load_b128 v[156:159], v2 offset:1424
	scratch_load_b128 v[160:163], off, off offset:592
	v_fmac_f64_e32 v[196:197], v[150:151], v[164:165]
	v_fma_f64 v[164:165], v[148:149], v[164:165], -v[166:167]
	scratch_load_b128 v[148:151], off, off offset:608
	s_wait_loadcnt_dscnt 0xc01
	v_mul_f64_e32 v[194:195], v[4:5], v[174:175]
	v_mul_f64_e32 v[174:175], v[6:7], v[174:175]
	;; [unrolled: 18-line block ×5, first 2 shown]
	v_add_f64_e32 v[186:187], v[202:203], v[200:201]
	v_add_f64_e32 v[192:193], v[192:193], v[198:199]
	s_wait_loadcnt_dscnt 0xa00
	v_mul_f64_e32 v[198:199], v[164:165], v[14:15]
	v_mul_f64_e32 v[14:15], v[166:167], v[14:15]
	v_fmac_f64_e32 v[194:195], v[6:7], v[168:169]
	v_fma_f64 v[200:201], v[4:5], v[168:169], -v[170:171]
	ds_load_b128 v[4:7], v2 offset:1536
	ds_load_b128 v[168:171], v2 offset:1552
	v_add_f64_e32 v[202:203], v[186:187], v[184:185]
	v_add_f64_e32 v[192:193], v[192:193], v[196:197]
	scratch_load_b128 v[184:187], off, off offset:720
	v_fmac_f64_e32 v[198:199], v[166:167], v[12:13]
	v_fma_f64 v[164:165], v[164:165], v[12:13], -v[14:15]
	scratch_load_b128 v[12:15], off, off offset:736
	s_wait_loadcnt_dscnt 0xb01
	v_mul_f64_e32 v[196:197], v[4:5], v[154:155]
	v_mul_f64_e32 v[154:155], v[6:7], v[154:155]
	v_add_f64_e32 v[166:167], v[202:203], v[200:201]
	v_add_f64_e32 v[192:193], v[192:193], v[194:195]
	s_wait_loadcnt_dscnt 0xa00
	v_mul_f64_e32 v[194:195], v[168:169], v[146:147]
	v_mul_f64_e32 v[146:147], v[170:171], v[146:147]
	v_fmac_f64_e32 v[196:197], v[6:7], v[152:153]
	v_fma_f64 v[200:201], v[4:5], v[152:153], -v[154:155]
	ds_load_b128 v[4:7], v2 offset:1568
	ds_load_b128 v[152:155], v2 offset:1584
	v_add_f64_e32 v[202:203], v[166:167], v[164:165]
	v_add_f64_e32 v[192:193], v[192:193], v[198:199]
	scratch_load_b128 v[164:167], off, off offset:752
	s_wait_loadcnt_dscnt 0xa01
	v_mul_f64_e32 v[198:199], v[4:5], v[162:163]
	v_mul_f64_e32 v[162:163], v[6:7], v[162:163]
	v_fmac_f64_e32 v[194:195], v[170:171], v[144:145]
	v_fma_f64 v[168:169], v[168:169], v[144:145], -v[146:147]
	scratch_load_b128 v[144:147], off, off offset:768
	v_add_f64_e32 v[170:171], v[202:203], v[200:201]
	v_add_f64_e32 v[192:193], v[192:193], v[196:197]
	s_wait_loadcnt_dscnt 0xa00
	v_mul_f64_e32 v[196:197], v[152:153], v[150:151]
	v_mul_f64_e32 v[150:151], v[154:155], v[150:151]
	v_fmac_f64_e32 v[198:199], v[6:7], v[160:161]
	v_fma_f64 v[200:201], v[4:5], v[160:161], -v[162:163]
	ds_load_b128 v[4:7], v2 offset:1600
	ds_load_b128 v[160:163], v2 offset:1616
	v_add_f64_e32 v[202:203], v[170:171], v[168:169]
	v_add_f64_e32 v[192:193], v[192:193], v[194:195]
	scratch_load_b128 v[168:171], off, off offset:784
	s_wait_loadcnt_dscnt 0xa01
	v_mul_f64_e32 v[194:195], v[4:5], v[174:175]
	v_mul_f64_e32 v[174:175], v[6:7], v[174:175]
	v_fmac_f64_e32 v[196:197], v[154:155], v[148:149]
	v_fma_f64 v[152:153], v[152:153], v[148:149], -v[150:151]
	scratch_load_b128 v[148:151], off, off offset:800
	v_add_f64_e32 v[154:155], v[202:203], v[200:201]
	v_add_f64_e32 v[192:193], v[192:193], v[198:199]
	s_wait_loadcnt_dscnt 0xa00
	v_mul_f64_e32 v[198:199], v[160:161], v[158:159]
	v_mul_f64_e32 v[158:159], v[162:163], v[158:159]
	v_fmac_f64_e32 v[194:195], v[6:7], v[172:173]
	v_fma_f64 v[200:201], v[4:5], v[172:173], -v[174:175]
	v_add_f64_e32 v[202:203], v[154:155], v[152:153]
	v_add_f64_e32 v[192:193], v[192:193], v[196:197]
	ds_load_b128 v[4:7], v2 offset:1632
	ds_load_b128 v[152:155], v2 offset:1648
	scratch_load_b128 v[172:175], off, off offset:816
	v_fmac_f64_e32 v[198:199], v[162:163], v[156:157]
	v_fma_f64 v[160:161], v[160:161], v[156:157], -v[158:159]
	scratch_load_b128 v[156:159], off, off offset:832
	s_wait_loadcnt_dscnt 0xb01
	v_mul_f64_e32 v[196:197], v[4:5], v[190:191]
	v_mul_f64_e32 v[190:191], v[6:7], v[190:191]
	v_add_f64_e32 v[162:163], v[202:203], v[200:201]
	v_add_f64_e32 v[192:193], v[192:193], v[194:195]
	s_wait_loadcnt_dscnt 0xa00
	v_mul_f64_e32 v[194:195], v[152:153], v[10:11]
	v_mul_f64_e32 v[10:11], v[154:155], v[10:11]
	v_fmac_f64_e32 v[196:197], v[6:7], v[188:189]
	v_fma_f64 v[200:201], v[4:5], v[188:189], -v[190:191]
	v_add_f64_e32 v[202:203], v[162:163], v[160:161]
	v_add_f64_e32 v[192:193], v[192:193], v[198:199]
	ds_load_b128 v[4:7], v2 offset:1664
	ds_load_b128 v[160:163], v2 offset:1680
	scratch_load_b128 v[188:191], off, off offset:848
	v_fmac_f64_e32 v[194:195], v[154:155], v[8:9]
	v_fma_f64 v[152:153], v[152:153], v[8:9], -v[10:11]
	scratch_load_b128 v[8:11], off, off offset:864
	s_wait_loadcnt_dscnt 0xb01
	v_mul_f64_e32 v[198:199], v[4:5], v[178:179]
	v_mul_f64_e32 v[178:179], v[6:7], v[178:179]
	;; [unrolled: 18-line block ×5, first 2 shown]
	v_add_f64_e32 v[162:163], v[202:203], v[200:201]
	v_add_f64_e32 v[192:193], v[192:193], v[196:197]
	s_wait_loadcnt_dscnt 0xa00
	v_mul_f64_e32 v[196:197], v[152:153], v[150:151]
	v_mul_f64_e32 v[150:151], v[154:155], v[150:151]
	v_fmac_f64_e32 v[198:199], v[6:7], v[168:169]
	v_fma_f64 v[168:169], v[4:5], v[168:169], -v[170:171]
	v_add_f64_e32 v[170:171], v[162:163], v[160:161]
	v_add_f64_e32 v[192:193], v[192:193], v[194:195]
	ds_load_b128 v[4:7], v2 offset:1792
	ds_load_b128 v[160:163], v2 offset:1808
	v_fmac_f64_e32 v[196:197], v[154:155], v[148:149]
	v_fma_f64 v[148:149], v[152:153], v[148:149], -v[150:151]
	s_wait_loadcnt_dscnt 0x901
	v_mul_f64_e32 v[194:195], v[4:5], v[174:175]
	v_mul_f64_e32 v[174:175], v[6:7], v[174:175]
	s_wait_loadcnt_dscnt 0x800
	v_mul_f64_e32 v[154:155], v[160:161], v[158:159]
	v_mul_f64_e32 v[158:159], v[162:163], v[158:159]
	v_add_f64_e32 v[150:151], v[170:171], v[168:169]
	v_add_f64_e32 v[152:153], v[192:193], v[198:199]
	v_fmac_f64_e32 v[194:195], v[6:7], v[172:173]
	v_fma_f64 v[168:169], v[4:5], v[172:173], -v[174:175]
	v_fmac_f64_e32 v[154:155], v[162:163], v[156:157]
	v_fma_f64 v[156:157], v[160:161], v[156:157], -v[158:159]
	v_add_f64_e32 v[170:171], v[150:151], v[148:149]
	v_add_f64_e32 v[152:153], v[152:153], v[196:197]
	ds_load_b128 v[4:7], v2 offset:1824
	ds_load_b128 v[148:151], v2 offset:1840
	s_wait_loadcnt_dscnt 0x701
	v_mul_f64_e32 v[172:173], v[4:5], v[190:191]
	v_mul_f64_e32 v[174:175], v[6:7], v[190:191]
	s_wait_loadcnt_dscnt 0x600
	v_mul_f64_e32 v[160:161], v[148:149], v[10:11]
	v_mul_f64_e32 v[10:11], v[150:151], v[10:11]
	v_add_f64_e32 v[158:159], v[170:171], v[168:169]
	v_add_f64_e32 v[152:153], v[152:153], v[194:195]
	v_fmac_f64_e32 v[172:173], v[6:7], v[188:189]
	v_fma_f64 v[162:163], v[4:5], v[188:189], -v[174:175]
	v_fmac_f64_e32 v[160:161], v[150:151], v[8:9]
	v_fma_f64 v[8:9], v[148:149], v[8:9], -v[10:11]
	v_add_f64_e32 v[156:157], v[158:159], v[156:157]
	v_add_f64_e32 v[158:159], v[152:153], v[154:155]
	ds_load_b128 v[4:7], v2 offset:1856
	ds_load_b128 v[152:155], v2 offset:1872
	;; [unrolled: 16-line block ×4, first 2 shown]
	s_wait_loadcnt_dscnt 0x101
	v_mul_f64_e32 v[2:3], v[4:5], v[166:167]
	v_mul_f64_e32 v[150:151], v[6:7], v[166:167]
	s_wait_loadcnt_dscnt 0x0
	v_mul_f64_e32 v[14:15], v[140:141], v[146:147]
	v_mul_f64_e32 v[146:147], v[142:143], v[146:147]
	v_add_f64_e32 v[10:11], v[156:157], v[154:155]
	v_add_f64_e32 v[12:13], v[148:149], v[160:161]
	v_fmac_f64_e32 v[2:3], v[6:7], v[164:165]
	v_fma_f64 v[4:5], v[4:5], v[164:165], -v[150:151]
	v_fmac_f64_e32 v[14:15], v[142:143], v[144:145]
	v_add_f64_e32 v[6:7], v[10:11], v[8:9]
	v_add_f64_e32 v[8:9], v[12:13], v[152:153]
	v_fma_f64 v[10:11], v[140:141], v[144:145], -v[146:147]
	s_delay_alu instid0(VALU_DEP_3) | instskip(NEXT) | instid1(VALU_DEP_3)
	v_add_f64_e32 v[4:5], v[6:7], v[4:5]
	v_add_f64_e32 v[2:3], v[8:9], v[2:3]
	s_delay_alu instid0(VALU_DEP_2) | instskip(NEXT) | instid1(VALU_DEP_2)
	v_add_f64_e32 v[4:5], v[4:5], v[10:11]
	v_add_f64_e32 v[6:7], v[2:3], v[14:15]
	s_delay_alu instid0(VALU_DEP_2) | instskip(NEXT) | instid1(VALU_DEP_2)
	v_add_f64_e64 v[2:3], v[180:181], -v[4:5]
	v_add_f64_e64 v[4:5], v[182:183], -v[6:7]
	scratch_store_b128 off, v[2:5], off offset:256
	s_wait_xcnt 0x0
	v_cmpx_lt_u32_e32 15, v1
	s_cbranch_execz .LBB124_361
; %bb.360:
	scratch_load_b128 v[2:5], off, s64
	v_mov_b32_e32 v6, 0
	s_delay_alu instid0(VALU_DEP_1)
	v_dual_mov_b32 v7, v6 :: v_dual_mov_b32 v8, v6
	v_mov_b32_e32 v9, v6
	scratch_store_b128 off, v[6:9], off offset:240
	s_wait_loadcnt 0x0
	ds_store_b128 v138, v[2:5]
.LBB124_361:
	s_wait_xcnt 0x0
	s_or_b32 exec_lo, exec_lo, s2
	s_wait_storecnt_dscnt 0x0
	s_barrier_signal -1
	s_barrier_wait -1
	s_clause 0x9
	scratch_load_b128 v[4:7], off, off offset:256
	scratch_load_b128 v[8:11], off, off offset:272
	;; [unrolled: 1-line block ×10, first 2 shown]
	v_mov_b32_e32 v2, 0
	s_mov_b32 s2, exec_lo
	ds_load_b128 v[168:171], v2 offset:1232
	s_clause 0x2
	scratch_load_b128 v[172:175], off, off offset:416
	scratch_load_b128 v[176:179], off, off offset:240
	;; [unrolled: 1-line block ×3, first 2 shown]
	s_wait_loadcnt_dscnt 0xc00
	v_mul_f64_e32 v[188:189], v[170:171], v[6:7]
	v_mul_f64_e32 v[192:193], v[168:169], v[6:7]
	ds_load_b128 v[180:183], v2 offset:1248
	v_fma_f64 v[196:197], v[168:169], v[4:5], -v[188:189]
	v_fmac_f64_e32 v[192:193], v[170:171], v[4:5]
	ds_load_b128 v[4:7], v2 offset:1264
	s_wait_loadcnt_dscnt 0xb01
	v_mul_f64_e32 v[194:195], v[180:181], v[10:11]
	v_mul_f64_e32 v[10:11], v[182:183], v[10:11]
	scratch_load_b128 v[168:171], off, off offset:448
	ds_load_b128 v[188:191], v2 offset:1280
	s_wait_loadcnt_dscnt 0xb01
	v_mul_f64_e32 v[198:199], v[4:5], v[14:15]
	v_mul_f64_e32 v[14:15], v[6:7], v[14:15]
	v_add_f64_e32 v[192:193], 0, v[192:193]
	v_fmac_f64_e32 v[194:195], v[182:183], v[8:9]
	v_fma_f64 v[180:181], v[180:181], v[8:9], -v[10:11]
	v_add_f64_e32 v[182:183], 0, v[196:197]
	scratch_load_b128 v[8:11], off, off offset:464
	v_fmac_f64_e32 v[198:199], v[6:7], v[12:13]
	v_fma_f64 v[200:201], v[4:5], v[12:13], -v[14:15]
	ds_load_b128 v[4:7], v2 offset:1296
	s_wait_loadcnt_dscnt 0xb01
	v_mul_f64_e32 v[196:197], v[188:189], v[142:143]
	v_mul_f64_e32 v[142:143], v[190:191], v[142:143]
	scratch_load_b128 v[12:15], off, off offset:480
	v_add_f64_e32 v[192:193], v[192:193], v[194:195]
	v_add_f64_e32 v[202:203], v[182:183], v[180:181]
	ds_load_b128 v[180:183], v2 offset:1312
	s_wait_loadcnt_dscnt 0xb01
	v_mul_f64_e32 v[194:195], v[4:5], v[146:147]
	v_mul_f64_e32 v[146:147], v[6:7], v[146:147]
	v_fmac_f64_e32 v[196:197], v[190:191], v[140:141]
	v_fma_f64 v[188:189], v[188:189], v[140:141], -v[142:143]
	scratch_load_b128 v[140:143], off, off offset:496
	v_add_f64_e32 v[192:193], v[192:193], v[198:199]
	v_add_f64_e32 v[190:191], v[202:203], v[200:201]
	v_fmac_f64_e32 v[194:195], v[6:7], v[144:145]
	v_fma_f64 v[200:201], v[4:5], v[144:145], -v[146:147]
	ds_load_b128 v[4:7], v2 offset:1328
	s_wait_loadcnt_dscnt 0xb01
	v_mul_f64_e32 v[198:199], v[180:181], v[150:151]
	v_mul_f64_e32 v[150:151], v[182:183], v[150:151]
	scratch_load_b128 v[144:147], off, off offset:512
	v_add_f64_e32 v[192:193], v[192:193], v[196:197]
	s_wait_loadcnt_dscnt 0xb00
	v_mul_f64_e32 v[196:197], v[4:5], v[154:155]
	v_add_f64_e32 v[202:203], v[190:191], v[188:189]
	v_mul_f64_e32 v[154:155], v[6:7], v[154:155]
	ds_load_b128 v[188:191], v2 offset:1344
	v_fmac_f64_e32 v[198:199], v[182:183], v[148:149]
	v_fma_f64 v[180:181], v[180:181], v[148:149], -v[150:151]
	scratch_load_b128 v[148:151], off, off offset:528
	v_add_f64_e32 v[192:193], v[192:193], v[194:195]
	v_fmac_f64_e32 v[196:197], v[6:7], v[152:153]
	v_add_f64_e32 v[182:183], v[202:203], v[200:201]
	v_fma_f64 v[200:201], v[4:5], v[152:153], -v[154:155]
	ds_load_b128 v[4:7], v2 offset:1360
	s_wait_loadcnt_dscnt 0xb01
	v_mul_f64_e32 v[194:195], v[188:189], v[158:159]
	v_mul_f64_e32 v[158:159], v[190:191], v[158:159]
	scratch_load_b128 v[152:155], off, off offset:544
	v_add_f64_e32 v[192:193], v[192:193], v[198:199]
	s_wait_loadcnt_dscnt 0xb00
	v_mul_f64_e32 v[198:199], v[4:5], v[162:163]
	v_add_f64_e32 v[202:203], v[182:183], v[180:181]
	v_mul_f64_e32 v[162:163], v[6:7], v[162:163]
	ds_load_b128 v[180:183], v2 offset:1376
	v_fmac_f64_e32 v[194:195], v[190:191], v[156:157]
	v_fma_f64 v[188:189], v[188:189], v[156:157], -v[158:159]
	scratch_load_b128 v[156:159], off, off offset:560
	v_add_f64_e32 v[192:193], v[192:193], v[196:197]
	v_fmac_f64_e32 v[198:199], v[6:7], v[160:161]
	v_add_f64_e32 v[190:191], v[202:203], v[200:201]
	;; [unrolled: 18-line block ×3, first 2 shown]
	v_fma_f64 v[200:201], v[4:5], v[172:173], -v[174:175]
	ds_load_b128 v[4:7], v2 offset:1424
	s_wait_loadcnt_dscnt 0xa01
	v_mul_f64_e32 v[198:199], v[188:189], v[186:187]
	v_mul_f64_e32 v[186:187], v[190:191], v[186:187]
	scratch_load_b128 v[172:175], off, off offset:608
	v_add_f64_e32 v[192:193], v[192:193], v[196:197]
	v_add_f64_e32 v[202:203], v[182:183], v[180:181]
	s_wait_loadcnt_dscnt 0xa00
	v_mul_f64_e32 v[196:197], v[4:5], v[170:171]
	v_mul_f64_e32 v[170:171], v[6:7], v[170:171]
	v_fmac_f64_e32 v[198:199], v[190:191], v[184:185]
	v_fma_f64 v[188:189], v[188:189], v[184:185], -v[186:187]
	ds_load_b128 v[180:183], v2 offset:1440
	scratch_load_b128 v[184:187], off, off offset:624
	v_add_f64_e32 v[192:193], v[192:193], v[194:195]
	v_add_f64_e32 v[190:191], v[202:203], v[200:201]
	v_fmac_f64_e32 v[196:197], v[6:7], v[168:169]
	v_fma_f64 v[200:201], v[4:5], v[168:169], -v[170:171]
	ds_load_b128 v[4:7], v2 offset:1456
	s_wait_loadcnt_dscnt 0xa01
	v_mul_f64_e32 v[194:195], v[180:181], v[10:11]
	v_mul_f64_e32 v[10:11], v[182:183], v[10:11]
	scratch_load_b128 v[168:171], off, off offset:640
	v_add_f64_e32 v[192:193], v[192:193], v[198:199]
	s_wait_loadcnt_dscnt 0xa00
	v_mul_f64_e32 v[198:199], v[4:5], v[14:15]
	v_add_f64_e32 v[202:203], v[190:191], v[188:189]
	v_mul_f64_e32 v[14:15], v[6:7], v[14:15]
	ds_load_b128 v[188:191], v2 offset:1472
	v_fmac_f64_e32 v[194:195], v[182:183], v[8:9]
	v_fma_f64 v[180:181], v[180:181], v[8:9], -v[10:11]
	scratch_load_b128 v[8:11], off, off offset:656
	v_add_f64_e32 v[192:193], v[192:193], v[196:197]
	v_fmac_f64_e32 v[198:199], v[6:7], v[12:13]
	v_add_f64_e32 v[182:183], v[202:203], v[200:201]
	v_fma_f64 v[200:201], v[4:5], v[12:13], -v[14:15]
	ds_load_b128 v[4:7], v2 offset:1488
	s_wait_loadcnt_dscnt 0xa01
	v_mul_f64_e32 v[196:197], v[188:189], v[142:143]
	v_mul_f64_e32 v[142:143], v[190:191], v[142:143]
	scratch_load_b128 v[12:15], off, off offset:672
	v_add_f64_e32 v[192:193], v[192:193], v[194:195]
	s_wait_loadcnt_dscnt 0xa00
	v_mul_f64_e32 v[194:195], v[4:5], v[146:147]
	v_add_f64_e32 v[202:203], v[182:183], v[180:181]
	v_mul_f64_e32 v[146:147], v[6:7], v[146:147]
	ds_load_b128 v[180:183], v2 offset:1504
	v_fmac_f64_e32 v[196:197], v[190:191], v[140:141]
	v_fma_f64 v[188:189], v[188:189], v[140:141], -v[142:143]
	scratch_load_b128 v[140:143], off, off offset:688
	v_add_f64_e32 v[192:193], v[192:193], v[198:199]
	v_fmac_f64_e32 v[194:195], v[6:7], v[144:145]
	v_add_f64_e32 v[190:191], v[202:203], v[200:201]
	;; [unrolled: 18-line block ×10, first 2 shown]
	v_fma_f64 v[200:201], v[4:5], v[160:161], -v[162:163]
	ds_load_b128 v[4:7], v2 offset:1776
	s_wait_loadcnt_dscnt 0xa01
	v_mul_f64_e32 v[196:197], v[180:181], v[166:167]
	v_mul_f64_e32 v[166:167], v[182:183], v[166:167]
	scratch_load_b128 v[160:163], off, off offset:960
	v_add_f64_e32 v[192:193], v[192:193], v[194:195]
	s_wait_loadcnt_dscnt 0xa00
	v_mul_f64_e32 v[194:195], v[4:5], v[174:175]
	v_add_f64_e32 v[202:203], v[190:191], v[188:189]
	v_mul_f64_e32 v[174:175], v[6:7], v[174:175]
	ds_load_b128 v[188:191], v2 offset:1792
	v_fmac_f64_e32 v[196:197], v[182:183], v[164:165]
	v_fma_f64 v[164:165], v[180:181], v[164:165], -v[166:167]
	s_wait_loadcnt_dscnt 0x900
	v_mul_f64_e32 v[182:183], v[188:189], v[186:187]
	v_mul_f64_e32 v[186:187], v[190:191], v[186:187]
	v_add_f64_e32 v[180:181], v[192:193], v[198:199]
	v_fmac_f64_e32 v[194:195], v[6:7], v[172:173]
	v_add_f64_e32 v[166:167], v[202:203], v[200:201]
	v_fma_f64 v[172:173], v[4:5], v[172:173], -v[174:175]
	v_fmac_f64_e32 v[182:183], v[190:191], v[184:185]
	v_fma_f64 v[184:185], v[188:189], v[184:185], -v[186:187]
	v_add_f64_e32 v[180:181], v[180:181], v[196:197]
	v_add_f64_e32 v[174:175], v[166:167], v[164:165]
	ds_load_b128 v[4:7], v2 offset:1808
	ds_load_b128 v[164:167], v2 offset:1824
	s_wait_loadcnt_dscnt 0x801
	v_mul_f64_e32 v[192:193], v[4:5], v[170:171]
	v_mul_f64_e32 v[170:171], v[6:7], v[170:171]
	v_add_f64_e32 v[172:173], v[174:175], v[172:173]
	v_add_f64_e32 v[174:175], v[180:181], v[194:195]
	s_wait_loadcnt_dscnt 0x700
	v_mul_f64_e32 v[180:181], v[164:165], v[10:11]
	v_mul_f64_e32 v[10:11], v[166:167], v[10:11]
	v_fmac_f64_e32 v[192:193], v[6:7], v[168:169]
	v_fma_f64 v[186:187], v[4:5], v[168:169], -v[170:171]
	ds_load_b128 v[4:7], v2 offset:1840
	ds_load_b128 v[168:171], v2 offset:1856
	v_add_f64_e32 v[172:173], v[172:173], v[184:185]
	v_add_f64_e32 v[174:175], v[174:175], v[182:183]
	v_fmac_f64_e32 v[180:181], v[166:167], v[8:9]
	v_fma_f64 v[8:9], v[164:165], v[8:9], -v[10:11]
	s_wait_loadcnt_dscnt 0x601
	v_mul_f64_e32 v[182:183], v[4:5], v[14:15]
	v_mul_f64_e32 v[14:15], v[6:7], v[14:15]
	s_wait_loadcnt_dscnt 0x500
	v_mul_f64_e32 v[166:167], v[168:169], v[142:143]
	v_mul_f64_e32 v[142:143], v[170:171], v[142:143]
	v_add_f64_e32 v[10:11], v[172:173], v[186:187]
	v_add_f64_e32 v[164:165], v[174:175], v[192:193]
	v_fmac_f64_e32 v[182:183], v[6:7], v[12:13]
	v_fma_f64 v[12:13], v[4:5], v[12:13], -v[14:15]
	v_fmac_f64_e32 v[166:167], v[170:171], v[140:141]
	v_fma_f64 v[140:141], v[168:169], v[140:141], -v[142:143]
	v_add_f64_e32 v[14:15], v[10:11], v[8:9]
	v_add_f64_e32 v[164:165], v[164:165], v[180:181]
	ds_load_b128 v[4:7], v2 offset:1872
	ds_load_b128 v[8:11], v2 offset:1888
	s_wait_loadcnt_dscnt 0x401
	v_mul_f64_e32 v[172:173], v[4:5], v[146:147]
	v_mul_f64_e32 v[146:147], v[6:7], v[146:147]
	s_wait_loadcnt_dscnt 0x300
	v_mul_f64_e32 v[142:143], v[8:9], v[150:151]
	v_mul_f64_e32 v[150:151], v[10:11], v[150:151]
	v_add_f64_e32 v[12:13], v[14:15], v[12:13]
	v_add_f64_e32 v[14:15], v[164:165], v[182:183]
	v_fmac_f64_e32 v[172:173], v[6:7], v[144:145]
	v_fma_f64 v[144:145], v[4:5], v[144:145], -v[146:147]
	v_fmac_f64_e32 v[142:143], v[10:11], v[148:149]
	v_fma_f64 v[8:9], v[8:9], v[148:149], -v[150:151]
	v_add_f64_e32 v[140:141], v[12:13], v[140:141]
	v_add_f64_e32 v[146:147], v[14:15], v[166:167]
	ds_load_b128 v[4:7], v2 offset:1904
	ds_load_b128 v[12:15], v2 offset:1920
	s_wait_loadcnt_dscnt 0x201
	v_mul_f64_e32 v[164:165], v[4:5], v[154:155]
	v_mul_f64_e32 v[154:155], v[6:7], v[154:155]
	v_add_f64_e32 v[10:11], v[140:141], v[144:145]
	v_add_f64_e32 v[140:141], v[146:147], v[172:173]
	s_wait_loadcnt_dscnt 0x100
	v_mul_f64_e32 v[144:145], v[12:13], v[158:159]
	v_mul_f64_e32 v[146:147], v[14:15], v[158:159]
	v_fmac_f64_e32 v[164:165], v[6:7], v[152:153]
	v_fma_f64 v[148:149], v[4:5], v[152:153], -v[154:155]
	ds_load_b128 v[4:7], v2 offset:1936
	v_add_f64_e32 v[8:9], v[10:11], v[8:9]
	v_add_f64_e32 v[10:11], v[140:141], v[142:143]
	v_fmac_f64_e32 v[144:145], v[14:15], v[156:157]
	v_fma_f64 v[12:13], v[12:13], v[156:157], -v[146:147]
	s_wait_loadcnt_dscnt 0x0
	v_mul_f64_e32 v[140:141], v[4:5], v[162:163]
	v_mul_f64_e32 v[142:143], v[6:7], v[162:163]
	v_add_f64_e32 v[8:9], v[8:9], v[148:149]
	v_add_f64_e32 v[10:11], v[10:11], v[164:165]
	s_delay_alu instid0(VALU_DEP_4) | instskip(NEXT) | instid1(VALU_DEP_4)
	v_fmac_f64_e32 v[140:141], v[6:7], v[160:161]
	v_fma_f64 v[4:5], v[4:5], v[160:161], -v[142:143]
	s_delay_alu instid0(VALU_DEP_4) | instskip(NEXT) | instid1(VALU_DEP_4)
	v_add_f64_e32 v[6:7], v[8:9], v[12:13]
	v_add_f64_e32 v[8:9], v[10:11], v[144:145]
	s_delay_alu instid0(VALU_DEP_2) | instskip(NEXT) | instid1(VALU_DEP_2)
	v_add_f64_e32 v[4:5], v[6:7], v[4:5]
	v_add_f64_e32 v[6:7], v[8:9], v[140:141]
	s_delay_alu instid0(VALU_DEP_2) | instskip(NEXT) | instid1(VALU_DEP_2)
	v_add_f64_e64 v[4:5], v[176:177], -v[4:5]
	v_add_f64_e64 v[6:7], v[178:179], -v[6:7]
	scratch_store_b128 off, v[4:7], off offset:240
	s_wait_xcnt 0x0
	v_cmpx_lt_u32_e32 14, v1
	s_cbranch_execz .LBB124_363
; %bb.362:
	scratch_load_b128 v[6:9], off, s65
	v_dual_mov_b32 v3, v2 :: v_dual_mov_b32 v4, v2
	v_mov_b32_e32 v5, v2
	scratch_store_b128 off, v[2:5], off offset:224
	s_wait_loadcnt 0x0
	ds_store_b128 v138, v[6:9]
.LBB124_363:
	s_wait_xcnt 0x0
	s_or_b32 exec_lo, exec_lo, s2
	s_wait_storecnt_dscnt 0x0
	s_barrier_signal -1
	s_barrier_wait -1
	s_clause 0x9
	scratch_load_b128 v[4:7], off, off offset:240
	scratch_load_b128 v[8:11], off, off offset:256
	;; [unrolled: 1-line block ×10, first 2 shown]
	ds_load_b128 v[168:171], v2 offset:1216
	ds_load_b128 v[176:179], v2 offset:1232
	s_clause 0x2
	scratch_load_b128 v[172:175], off, off offset:400
	scratch_load_b128 v[180:183], off, off offset:224
	;; [unrolled: 1-line block ×3, first 2 shown]
	s_mov_b32 s2, exec_lo
	s_wait_loadcnt_dscnt 0xc01
	v_mul_f64_e32 v[188:189], v[170:171], v[6:7]
	v_mul_f64_e32 v[192:193], v[168:169], v[6:7]
	s_wait_loadcnt_dscnt 0xb00
	v_mul_f64_e32 v[194:195], v[176:177], v[10:11]
	v_mul_f64_e32 v[10:11], v[178:179], v[10:11]
	s_delay_alu instid0(VALU_DEP_4) | instskip(NEXT) | instid1(VALU_DEP_4)
	v_fma_f64 v[196:197], v[168:169], v[4:5], -v[188:189]
	v_fmac_f64_e32 v[192:193], v[170:171], v[4:5]
	ds_load_b128 v[4:7], v2 offset:1248
	ds_load_b128 v[168:171], v2 offset:1264
	scratch_load_b128 v[188:191], off, off offset:432
	v_fmac_f64_e32 v[194:195], v[178:179], v[8:9]
	v_fma_f64 v[176:177], v[176:177], v[8:9], -v[10:11]
	scratch_load_b128 v[8:11], off, off offset:448
	s_wait_loadcnt_dscnt 0xc01
	v_mul_f64_e32 v[198:199], v[4:5], v[14:15]
	v_mul_f64_e32 v[14:15], v[6:7], v[14:15]
	v_add_f64_e32 v[178:179], 0, v[196:197]
	v_add_f64_e32 v[192:193], 0, v[192:193]
	s_wait_loadcnt_dscnt 0xb00
	v_mul_f64_e32 v[196:197], v[168:169], v[142:143]
	v_mul_f64_e32 v[142:143], v[170:171], v[142:143]
	v_fmac_f64_e32 v[198:199], v[6:7], v[12:13]
	v_fma_f64 v[200:201], v[4:5], v[12:13], -v[14:15]
	ds_load_b128 v[4:7], v2 offset:1280
	ds_load_b128 v[12:15], v2 offset:1296
	v_add_f64_e32 v[202:203], v[178:179], v[176:177]
	v_add_f64_e32 v[192:193], v[192:193], v[194:195]
	scratch_load_b128 v[176:179], off, off offset:464
	v_fmac_f64_e32 v[196:197], v[170:171], v[140:141]
	v_fma_f64 v[168:169], v[168:169], v[140:141], -v[142:143]
	scratch_load_b128 v[140:143], off, off offset:480
	s_wait_loadcnt_dscnt 0xc01
	v_mul_f64_e32 v[194:195], v[4:5], v[146:147]
	v_mul_f64_e32 v[146:147], v[6:7], v[146:147]
	v_add_f64_e32 v[170:171], v[202:203], v[200:201]
	v_add_f64_e32 v[192:193], v[192:193], v[198:199]
	s_wait_loadcnt_dscnt 0xb00
	v_mul_f64_e32 v[198:199], v[12:13], v[150:151]
	v_mul_f64_e32 v[150:151], v[14:15], v[150:151]
	v_fmac_f64_e32 v[194:195], v[6:7], v[144:145]
	v_fma_f64 v[200:201], v[4:5], v[144:145], -v[146:147]
	ds_load_b128 v[4:7], v2 offset:1312
	ds_load_b128 v[144:147], v2 offset:1328
	v_add_f64_e32 v[202:203], v[170:171], v[168:169]
	v_add_f64_e32 v[192:193], v[192:193], v[196:197]
	scratch_load_b128 v[168:171], off, off offset:496
	s_wait_loadcnt_dscnt 0xb01
	v_mul_f64_e32 v[196:197], v[4:5], v[154:155]
	v_mul_f64_e32 v[154:155], v[6:7], v[154:155]
	v_fmac_f64_e32 v[198:199], v[14:15], v[148:149]
	v_fma_f64 v[148:149], v[12:13], v[148:149], -v[150:151]
	scratch_load_b128 v[12:15], off, off offset:512
	v_add_f64_e32 v[150:151], v[202:203], v[200:201]
	v_add_f64_e32 v[192:193], v[192:193], v[194:195]
	s_wait_loadcnt_dscnt 0xb00
	v_mul_f64_e32 v[194:195], v[144:145], v[158:159]
	v_mul_f64_e32 v[158:159], v[146:147], v[158:159]
	v_fmac_f64_e32 v[196:197], v[6:7], v[152:153]
	v_fma_f64 v[200:201], v[4:5], v[152:153], -v[154:155]
	v_add_f64_e32 v[202:203], v[150:151], v[148:149]
	v_add_f64_e32 v[192:193], v[192:193], v[198:199]
	ds_load_b128 v[4:7], v2 offset:1344
	ds_load_b128 v[148:151], v2 offset:1360
	scratch_load_b128 v[152:155], off, off offset:528
	v_fmac_f64_e32 v[194:195], v[146:147], v[156:157]
	v_fma_f64 v[156:157], v[144:145], v[156:157], -v[158:159]
	scratch_load_b128 v[144:147], off, off offset:544
	s_wait_loadcnt_dscnt 0xc01
	v_mul_f64_e32 v[198:199], v[4:5], v[162:163]
	v_mul_f64_e32 v[162:163], v[6:7], v[162:163]
	v_add_f64_e32 v[158:159], v[202:203], v[200:201]
	v_add_f64_e32 v[192:193], v[192:193], v[196:197]
	s_wait_loadcnt_dscnt 0xb00
	v_mul_f64_e32 v[196:197], v[148:149], v[166:167]
	v_mul_f64_e32 v[166:167], v[150:151], v[166:167]
	v_fmac_f64_e32 v[198:199], v[6:7], v[160:161]
	v_fma_f64 v[200:201], v[4:5], v[160:161], -v[162:163]
	v_add_f64_e32 v[202:203], v[158:159], v[156:157]
	v_add_f64_e32 v[192:193], v[192:193], v[194:195]
	ds_load_b128 v[4:7], v2 offset:1376
	ds_load_b128 v[156:159], v2 offset:1392
	scratch_load_b128 v[160:163], off, off offset:560
	v_fmac_f64_e32 v[196:197], v[150:151], v[164:165]
	v_fma_f64 v[164:165], v[148:149], v[164:165], -v[166:167]
	scratch_load_b128 v[148:151], off, off offset:576
	s_wait_loadcnt_dscnt 0xc01
	v_mul_f64_e32 v[194:195], v[4:5], v[174:175]
	v_mul_f64_e32 v[174:175], v[6:7], v[174:175]
	;; [unrolled: 18-line block ×5, first 2 shown]
	v_add_f64_e32 v[186:187], v[202:203], v[200:201]
	v_add_f64_e32 v[192:193], v[192:193], v[198:199]
	s_wait_loadcnt_dscnt 0xa00
	v_mul_f64_e32 v[198:199], v[164:165], v[14:15]
	v_mul_f64_e32 v[14:15], v[166:167], v[14:15]
	v_fmac_f64_e32 v[194:195], v[6:7], v[168:169]
	v_fma_f64 v[200:201], v[4:5], v[168:169], -v[170:171]
	ds_load_b128 v[4:7], v2 offset:1504
	ds_load_b128 v[168:171], v2 offset:1520
	v_add_f64_e32 v[202:203], v[186:187], v[184:185]
	v_add_f64_e32 v[192:193], v[192:193], v[196:197]
	scratch_load_b128 v[184:187], off, off offset:688
	v_fmac_f64_e32 v[198:199], v[166:167], v[12:13]
	v_fma_f64 v[164:165], v[164:165], v[12:13], -v[14:15]
	scratch_load_b128 v[12:15], off, off offset:704
	s_wait_loadcnt_dscnt 0xb01
	v_mul_f64_e32 v[196:197], v[4:5], v[154:155]
	v_mul_f64_e32 v[154:155], v[6:7], v[154:155]
	v_add_f64_e32 v[166:167], v[202:203], v[200:201]
	v_add_f64_e32 v[192:193], v[192:193], v[194:195]
	s_wait_loadcnt_dscnt 0xa00
	v_mul_f64_e32 v[194:195], v[168:169], v[146:147]
	v_mul_f64_e32 v[146:147], v[170:171], v[146:147]
	v_fmac_f64_e32 v[196:197], v[6:7], v[152:153]
	v_fma_f64 v[200:201], v[4:5], v[152:153], -v[154:155]
	ds_load_b128 v[4:7], v2 offset:1536
	ds_load_b128 v[152:155], v2 offset:1552
	v_add_f64_e32 v[202:203], v[166:167], v[164:165]
	v_add_f64_e32 v[192:193], v[192:193], v[198:199]
	scratch_load_b128 v[164:167], off, off offset:720
	s_wait_loadcnt_dscnt 0xa01
	v_mul_f64_e32 v[198:199], v[4:5], v[162:163]
	v_mul_f64_e32 v[162:163], v[6:7], v[162:163]
	v_fmac_f64_e32 v[194:195], v[170:171], v[144:145]
	v_fma_f64 v[168:169], v[168:169], v[144:145], -v[146:147]
	scratch_load_b128 v[144:147], off, off offset:736
	v_add_f64_e32 v[170:171], v[202:203], v[200:201]
	v_add_f64_e32 v[192:193], v[192:193], v[196:197]
	s_wait_loadcnt_dscnt 0xa00
	v_mul_f64_e32 v[196:197], v[152:153], v[150:151]
	v_mul_f64_e32 v[150:151], v[154:155], v[150:151]
	v_fmac_f64_e32 v[198:199], v[6:7], v[160:161]
	v_fma_f64 v[200:201], v[4:5], v[160:161], -v[162:163]
	ds_load_b128 v[4:7], v2 offset:1568
	ds_load_b128 v[160:163], v2 offset:1584
	v_add_f64_e32 v[202:203], v[170:171], v[168:169]
	v_add_f64_e32 v[192:193], v[192:193], v[194:195]
	scratch_load_b128 v[168:171], off, off offset:752
	s_wait_loadcnt_dscnt 0xa01
	v_mul_f64_e32 v[194:195], v[4:5], v[174:175]
	v_mul_f64_e32 v[174:175], v[6:7], v[174:175]
	v_fmac_f64_e32 v[196:197], v[154:155], v[148:149]
	v_fma_f64 v[152:153], v[152:153], v[148:149], -v[150:151]
	scratch_load_b128 v[148:151], off, off offset:768
	v_add_f64_e32 v[154:155], v[202:203], v[200:201]
	v_add_f64_e32 v[192:193], v[192:193], v[198:199]
	s_wait_loadcnt_dscnt 0xa00
	v_mul_f64_e32 v[198:199], v[160:161], v[158:159]
	v_mul_f64_e32 v[158:159], v[162:163], v[158:159]
	v_fmac_f64_e32 v[194:195], v[6:7], v[172:173]
	v_fma_f64 v[200:201], v[4:5], v[172:173], -v[174:175]
	v_add_f64_e32 v[202:203], v[154:155], v[152:153]
	v_add_f64_e32 v[192:193], v[192:193], v[196:197]
	ds_load_b128 v[4:7], v2 offset:1600
	ds_load_b128 v[152:155], v2 offset:1616
	scratch_load_b128 v[172:175], off, off offset:784
	v_fmac_f64_e32 v[198:199], v[162:163], v[156:157]
	v_fma_f64 v[160:161], v[160:161], v[156:157], -v[158:159]
	scratch_load_b128 v[156:159], off, off offset:800
	s_wait_loadcnt_dscnt 0xb01
	v_mul_f64_e32 v[196:197], v[4:5], v[190:191]
	v_mul_f64_e32 v[190:191], v[6:7], v[190:191]
	v_add_f64_e32 v[162:163], v[202:203], v[200:201]
	v_add_f64_e32 v[192:193], v[192:193], v[194:195]
	s_wait_loadcnt_dscnt 0xa00
	v_mul_f64_e32 v[194:195], v[152:153], v[10:11]
	v_mul_f64_e32 v[10:11], v[154:155], v[10:11]
	v_fmac_f64_e32 v[196:197], v[6:7], v[188:189]
	v_fma_f64 v[200:201], v[4:5], v[188:189], -v[190:191]
	v_add_f64_e32 v[202:203], v[162:163], v[160:161]
	v_add_f64_e32 v[192:193], v[192:193], v[198:199]
	ds_load_b128 v[4:7], v2 offset:1632
	ds_load_b128 v[160:163], v2 offset:1648
	scratch_load_b128 v[188:191], off, off offset:816
	v_fmac_f64_e32 v[194:195], v[154:155], v[8:9]
	v_fma_f64 v[152:153], v[152:153], v[8:9], -v[10:11]
	scratch_load_b128 v[8:11], off, off offset:832
	s_wait_loadcnt_dscnt 0xb01
	v_mul_f64_e32 v[198:199], v[4:5], v[178:179]
	v_mul_f64_e32 v[178:179], v[6:7], v[178:179]
	;; [unrolled: 18-line block ×6, first 2 shown]
	v_add_f64_e32 v[154:155], v[202:203], v[200:201]
	v_add_f64_e32 v[192:193], v[192:193], v[198:199]
	s_wait_loadcnt_dscnt 0xa00
	v_mul_f64_e32 v[198:199], v[160:161], v[158:159]
	v_mul_f64_e32 v[158:159], v[162:163], v[158:159]
	v_fmac_f64_e32 v[194:195], v[6:7], v[172:173]
	v_fma_f64 v[172:173], v[4:5], v[172:173], -v[174:175]
	v_add_f64_e32 v[174:175], v[154:155], v[152:153]
	v_add_f64_e32 v[192:193], v[192:193], v[196:197]
	ds_load_b128 v[4:7], v2 offset:1792
	ds_load_b128 v[152:155], v2 offset:1808
	v_fmac_f64_e32 v[198:199], v[162:163], v[156:157]
	v_fma_f64 v[156:157], v[160:161], v[156:157], -v[158:159]
	s_wait_loadcnt_dscnt 0x901
	v_mul_f64_e32 v[196:197], v[4:5], v[190:191]
	v_mul_f64_e32 v[190:191], v[6:7], v[190:191]
	s_wait_loadcnt_dscnt 0x800
	v_mul_f64_e32 v[162:163], v[152:153], v[10:11]
	v_mul_f64_e32 v[10:11], v[154:155], v[10:11]
	v_add_f64_e32 v[158:159], v[174:175], v[172:173]
	v_add_f64_e32 v[160:161], v[192:193], v[194:195]
	v_fmac_f64_e32 v[196:197], v[6:7], v[188:189]
	v_fma_f64 v[172:173], v[4:5], v[188:189], -v[190:191]
	v_fmac_f64_e32 v[162:163], v[154:155], v[8:9]
	v_fma_f64 v[8:9], v[152:153], v[8:9], -v[10:11]
	v_add_f64_e32 v[174:175], v[158:159], v[156:157]
	v_add_f64_e32 v[160:161], v[160:161], v[198:199]
	ds_load_b128 v[4:7], v2 offset:1824
	ds_load_b128 v[156:159], v2 offset:1840
	s_wait_loadcnt_dscnt 0x701
	v_mul_f64_e32 v[188:189], v[4:5], v[178:179]
	v_mul_f64_e32 v[178:179], v[6:7], v[178:179]
	s_wait_loadcnt_dscnt 0x600
	v_mul_f64_e32 v[154:155], v[156:157], v[142:143]
	v_mul_f64_e32 v[142:143], v[158:159], v[142:143]
	v_add_f64_e32 v[10:11], v[174:175], v[172:173]
	v_add_f64_e32 v[152:153], v[160:161], v[196:197]
	v_fmac_f64_e32 v[188:189], v[6:7], v[176:177]
	v_fma_f64 v[160:161], v[4:5], v[176:177], -v[178:179]
	v_fmac_f64_e32 v[154:155], v[158:159], v[140:141]
	v_fma_f64 v[140:141], v[156:157], v[140:141], -v[142:143]
	v_add_f64_e32 v[172:173], v[10:11], v[8:9]
	v_add_f64_e32 v[152:153], v[152:153], v[162:163]
	ds_load_b128 v[4:7], v2 offset:1856
	ds_load_b128 v[8:11], v2 offset:1872
	;; [unrolled: 16-line block ×4, first 2 shown]
	s_wait_loadcnt_dscnt 0x101
	v_mul_f64_e32 v[2:3], v[4:5], v[170:171]
	v_mul_f64_e32 v[156:157], v[6:7], v[170:171]
	s_wait_loadcnt_dscnt 0x0
	v_mul_f64_e32 v[144:145], v[8:9], v[150:151]
	v_mul_f64_e32 v[146:147], v[10:11], v[150:151]
	v_add_f64_e32 v[142:143], v[158:159], v[152:153]
	v_add_f64_e32 v[12:13], v[12:13], v[154:155]
	v_fmac_f64_e32 v[2:3], v[6:7], v[168:169]
	v_fma_f64 v[4:5], v[4:5], v[168:169], -v[156:157]
	v_fmac_f64_e32 v[144:145], v[10:11], v[148:149]
	v_fma_f64 v[8:9], v[8:9], v[148:149], -v[146:147]
	v_add_f64_e32 v[6:7], v[142:143], v[140:141]
	v_add_f64_e32 v[12:13], v[12:13], v[14:15]
	s_delay_alu instid0(VALU_DEP_2) | instskip(NEXT) | instid1(VALU_DEP_2)
	v_add_f64_e32 v[4:5], v[6:7], v[4:5]
	v_add_f64_e32 v[2:3], v[12:13], v[2:3]
	s_delay_alu instid0(VALU_DEP_2) | instskip(NEXT) | instid1(VALU_DEP_2)
	;; [unrolled: 3-line block ×3, first 2 shown]
	v_add_f64_e64 v[2:3], v[180:181], -v[4:5]
	v_add_f64_e64 v[4:5], v[182:183], -v[6:7]
	scratch_store_b128 off, v[2:5], off offset:224
	s_wait_xcnt 0x0
	v_cmpx_lt_u32_e32 13, v1
	s_cbranch_execz .LBB124_365
; %bb.364:
	scratch_load_b128 v[2:5], off, s66
	v_mov_b32_e32 v6, 0
	s_delay_alu instid0(VALU_DEP_1)
	v_dual_mov_b32 v7, v6 :: v_dual_mov_b32 v8, v6
	v_mov_b32_e32 v9, v6
	scratch_store_b128 off, v[6:9], off offset:208
	s_wait_loadcnt 0x0
	ds_store_b128 v138, v[2:5]
.LBB124_365:
	s_wait_xcnt 0x0
	s_or_b32 exec_lo, exec_lo, s2
	s_wait_storecnt_dscnt 0x0
	s_barrier_signal -1
	s_barrier_wait -1
	s_clause 0x9
	scratch_load_b128 v[4:7], off, off offset:224
	scratch_load_b128 v[8:11], off, off offset:240
	;; [unrolled: 1-line block ×10, first 2 shown]
	v_mov_b32_e32 v2, 0
	s_mov_b32 s2, exec_lo
	ds_load_b128 v[168:171], v2 offset:1200
	s_clause 0x2
	scratch_load_b128 v[172:175], off, off offset:384
	scratch_load_b128 v[176:179], off, off offset:208
	;; [unrolled: 1-line block ×3, first 2 shown]
	s_wait_loadcnt_dscnt 0xc00
	v_mul_f64_e32 v[188:189], v[170:171], v[6:7]
	v_mul_f64_e32 v[192:193], v[168:169], v[6:7]
	ds_load_b128 v[180:183], v2 offset:1216
	v_fma_f64 v[196:197], v[168:169], v[4:5], -v[188:189]
	v_fmac_f64_e32 v[192:193], v[170:171], v[4:5]
	ds_load_b128 v[4:7], v2 offset:1232
	s_wait_loadcnt_dscnt 0xb01
	v_mul_f64_e32 v[194:195], v[180:181], v[10:11]
	v_mul_f64_e32 v[10:11], v[182:183], v[10:11]
	scratch_load_b128 v[168:171], off, off offset:416
	ds_load_b128 v[188:191], v2 offset:1248
	s_wait_loadcnt_dscnt 0xb01
	v_mul_f64_e32 v[198:199], v[4:5], v[14:15]
	v_mul_f64_e32 v[14:15], v[6:7], v[14:15]
	v_add_f64_e32 v[192:193], 0, v[192:193]
	v_fmac_f64_e32 v[194:195], v[182:183], v[8:9]
	v_fma_f64 v[180:181], v[180:181], v[8:9], -v[10:11]
	v_add_f64_e32 v[182:183], 0, v[196:197]
	scratch_load_b128 v[8:11], off, off offset:432
	v_fmac_f64_e32 v[198:199], v[6:7], v[12:13]
	v_fma_f64 v[200:201], v[4:5], v[12:13], -v[14:15]
	ds_load_b128 v[4:7], v2 offset:1264
	s_wait_loadcnt_dscnt 0xb01
	v_mul_f64_e32 v[196:197], v[188:189], v[142:143]
	v_mul_f64_e32 v[142:143], v[190:191], v[142:143]
	scratch_load_b128 v[12:15], off, off offset:448
	v_add_f64_e32 v[192:193], v[192:193], v[194:195]
	v_add_f64_e32 v[202:203], v[182:183], v[180:181]
	ds_load_b128 v[180:183], v2 offset:1280
	s_wait_loadcnt_dscnt 0xb01
	v_mul_f64_e32 v[194:195], v[4:5], v[146:147]
	v_mul_f64_e32 v[146:147], v[6:7], v[146:147]
	v_fmac_f64_e32 v[196:197], v[190:191], v[140:141]
	v_fma_f64 v[188:189], v[188:189], v[140:141], -v[142:143]
	scratch_load_b128 v[140:143], off, off offset:464
	v_add_f64_e32 v[192:193], v[192:193], v[198:199]
	v_add_f64_e32 v[190:191], v[202:203], v[200:201]
	v_fmac_f64_e32 v[194:195], v[6:7], v[144:145]
	v_fma_f64 v[200:201], v[4:5], v[144:145], -v[146:147]
	ds_load_b128 v[4:7], v2 offset:1296
	s_wait_loadcnt_dscnt 0xb01
	v_mul_f64_e32 v[198:199], v[180:181], v[150:151]
	v_mul_f64_e32 v[150:151], v[182:183], v[150:151]
	scratch_load_b128 v[144:147], off, off offset:480
	v_add_f64_e32 v[192:193], v[192:193], v[196:197]
	s_wait_loadcnt_dscnt 0xb00
	v_mul_f64_e32 v[196:197], v[4:5], v[154:155]
	v_add_f64_e32 v[202:203], v[190:191], v[188:189]
	v_mul_f64_e32 v[154:155], v[6:7], v[154:155]
	ds_load_b128 v[188:191], v2 offset:1312
	v_fmac_f64_e32 v[198:199], v[182:183], v[148:149]
	v_fma_f64 v[180:181], v[180:181], v[148:149], -v[150:151]
	scratch_load_b128 v[148:151], off, off offset:496
	v_add_f64_e32 v[192:193], v[192:193], v[194:195]
	v_fmac_f64_e32 v[196:197], v[6:7], v[152:153]
	v_add_f64_e32 v[182:183], v[202:203], v[200:201]
	v_fma_f64 v[200:201], v[4:5], v[152:153], -v[154:155]
	ds_load_b128 v[4:7], v2 offset:1328
	s_wait_loadcnt_dscnt 0xb01
	v_mul_f64_e32 v[194:195], v[188:189], v[158:159]
	v_mul_f64_e32 v[158:159], v[190:191], v[158:159]
	scratch_load_b128 v[152:155], off, off offset:512
	v_add_f64_e32 v[192:193], v[192:193], v[198:199]
	s_wait_loadcnt_dscnt 0xb00
	v_mul_f64_e32 v[198:199], v[4:5], v[162:163]
	v_add_f64_e32 v[202:203], v[182:183], v[180:181]
	v_mul_f64_e32 v[162:163], v[6:7], v[162:163]
	ds_load_b128 v[180:183], v2 offset:1344
	v_fmac_f64_e32 v[194:195], v[190:191], v[156:157]
	v_fma_f64 v[188:189], v[188:189], v[156:157], -v[158:159]
	scratch_load_b128 v[156:159], off, off offset:528
	v_add_f64_e32 v[192:193], v[192:193], v[196:197]
	v_fmac_f64_e32 v[198:199], v[6:7], v[160:161]
	v_add_f64_e32 v[190:191], v[202:203], v[200:201]
	;; [unrolled: 18-line block ×3, first 2 shown]
	v_fma_f64 v[200:201], v[4:5], v[172:173], -v[174:175]
	ds_load_b128 v[4:7], v2 offset:1392
	s_wait_loadcnt_dscnt 0xa01
	v_mul_f64_e32 v[198:199], v[188:189], v[186:187]
	v_mul_f64_e32 v[186:187], v[190:191], v[186:187]
	scratch_load_b128 v[172:175], off, off offset:576
	v_add_f64_e32 v[192:193], v[192:193], v[196:197]
	v_add_f64_e32 v[202:203], v[182:183], v[180:181]
	s_wait_loadcnt_dscnt 0xa00
	v_mul_f64_e32 v[196:197], v[4:5], v[170:171]
	v_mul_f64_e32 v[170:171], v[6:7], v[170:171]
	v_fmac_f64_e32 v[198:199], v[190:191], v[184:185]
	v_fma_f64 v[188:189], v[188:189], v[184:185], -v[186:187]
	ds_load_b128 v[180:183], v2 offset:1408
	scratch_load_b128 v[184:187], off, off offset:592
	v_add_f64_e32 v[192:193], v[192:193], v[194:195]
	v_add_f64_e32 v[190:191], v[202:203], v[200:201]
	v_fmac_f64_e32 v[196:197], v[6:7], v[168:169]
	v_fma_f64 v[200:201], v[4:5], v[168:169], -v[170:171]
	ds_load_b128 v[4:7], v2 offset:1424
	s_wait_loadcnt_dscnt 0xa01
	v_mul_f64_e32 v[194:195], v[180:181], v[10:11]
	v_mul_f64_e32 v[10:11], v[182:183], v[10:11]
	scratch_load_b128 v[168:171], off, off offset:608
	v_add_f64_e32 v[192:193], v[192:193], v[198:199]
	s_wait_loadcnt_dscnt 0xa00
	v_mul_f64_e32 v[198:199], v[4:5], v[14:15]
	v_add_f64_e32 v[202:203], v[190:191], v[188:189]
	v_mul_f64_e32 v[14:15], v[6:7], v[14:15]
	ds_load_b128 v[188:191], v2 offset:1440
	v_fmac_f64_e32 v[194:195], v[182:183], v[8:9]
	v_fma_f64 v[180:181], v[180:181], v[8:9], -v[10:11]
	scratch_load_b128 v[8:11], off, off offset:624
	v_add_f64_e32 v[192:193], v[192:193], v[196:197]
	v_fmac_f64_e32 v[198:199], v[6:7], v[12:13]
	v_add_f64_e32 v[182:183], v[202:203], v[200:201]
	v_fma_f64 v[200:201], v[4:5], v[12:13], -v[14:15]
	ds_load_b128 v[4:7], v2 offset:1456
	s_wait_loadcnt_dscnt 0xa01
	v_mul_f64_e32 v[196:197], v[188:189], v[142:143]
	v_mul_f64_e32 v[142:143], v[190:191], v[142:143]
	scratch_load_b128 v[12:15], off, off offset:640
	v_add_f64_e32 v[192:193], v[192:193], v[194:195]
	s_wait_loadcnt_dscnt 0xa00
	v_mul_f64_e32 v[194:195], v[4:5], v[146:147]
	v_add_f64_e32 v[202:203], v[182:183], v[180:181]
	v_mul_f64_e32 v[146:147], v[6:7], v[146:147]
	ds_load_b128 v[180:183], v2 offset:1472
	v_fmac_f64_e32 v[196:197], v[190:191], v[140:141]
	v_fma_f64 v[188:189], v[188:189], v[140:141], -v[142:143]
	scratch_load_b128 v[140:143], off, off offset:656
	v_add_f64_e32 v[192:193], v[192:193], v[198:199]
	v_fmac_f64_e32 v[194:195], v[6:7], v[144:145]
	v_add_f64_e32 v[190:191], v[202:203], v[200:201]
	;; [unrolled: 18-line block ×11, first 2 shown]
	v_fma_f64 v[200:201], v[4:5], v[172:173], -v[174:175]
	ds_load_b128 v[4:7], v2 offset:1776
	s_wait_loadcnt_dscnt 0xa01
	v_mul_f64_e32 v[198:199], v[188:189], v[186:187]
	v_mul_f64_e32 v[186:187], v[190:191], v[186:187]
	scratch_load_b128 v[172:175], off, off offset:960
	v_add_f64_e32 v[192:193], v[192:193], v[196:197]
	s_wait_loadcnt_dscnt 0xa00
	v_mul_f64_e32 v[196:197], v[4:5], v[170:171]
	v_add_f64_e32 v[202:203], v[182:183], v[180:181]
	v_mul_f64_e32 v[170:171], v[6:7], v[170:171]
	ds_load_b128 v[180:183], v2 offset:1792
	v_fmac_f64_e32 v[198:199], v[190:191], v[184:185]
	v_fma_f64 v[184:185], v[188:189], v[184:185], -v[186:187]
	s_wait_loadcnt_dscnt 0x900
	v_mul_f64_e32 v[190:191], v[180:181], v[10:11]
	v_mul_f64_e32 v[10:11], v[182:183], v[10:11]
	v_add_f64_e32 v[188:189], v[192:193], v[194:195]
	v_fmac_f64_e32 v[196:197], v[6:7], v[168:169]
	v_add_f64_e32 v[186:187], v[202:203], v[200:201]
	v_fma_f64 v[192:193], v[4:5], v[168:169], -v[170:171]
	ds_load_b128 v[4:7], v2 offset:1808
	ds_load_b128 v[168:171], v2 offset:1824
	v_fmac_f64_e32 v[190:191], v[182:183], v[8:9]
	v_fma_f64 v[8:9], v[180:181], v[8:9], -v[10:11]
	v_add_f64_e32 v[184:185], v[186:187], v[184:185]
	v_add_f64_e32 v[186:187], v[188:189], v[198:199]
	s_wait_loadcnt_dscnt 0x801
	v_mul_f64_e32 v[188:189], v[4:5], v[14:15]
	v_mul_f64_e32 v[14:15], v[6:7], v[14:15]
	s_wait_loadcnt_dscnt 0x700
	v_mul_f64_e32 v[182:183], v[168:169], v[142:143]
	v_mul_f64_e32 v[142:143], v[170:171], v[142:143]
	v_add_f64_e32 v[10:11], v[184:185], v[192:193]
	v_add_f64_e32 v[180:181], v[186:187], v[196:197]
	v_fmac_f64_e32 v[188:189], v[6:7], v[12:13]
	v_fma_f64 v[12:13], v[4:5], v[12:13], -v[14:15]
	v_fmac_f64_e32 v[182:183], v[170:171], v[140:141]
	v_fma_f64 v[140:141], v[168:169], v[140:141], -v[142:143]
	v_add_f64_e32 v[14:15], v[10:11], v[8:9]
	v_add_f64_e32 v[180:181], v[180:181], v[190:191]
	ds_load_b128 v[4:7], v2 offset:1840
	ds_load_b128 v[8:11], v2 offset:1856
	s_wait_loadcnt_dscnt 0x601
	v_mul_f64_e32 v[184:185], v[4:5], v[146:147]
	v_mul_f64_e32 v[146:147], v[6:7], v[146:147]
	s_wait_loadcnt_dscnt 0x500
	v_mul_f64_e32 v[142:143], v[8:9], v[150:151]
	v_mul_f64_e32 v[150:151], v[10:11], v[150:151]
	v_add_f64_e32 v[12:13], v[14:15], v[12:13]
	v_add_f64_e32 v[14:15], v[180:181], v[188:189]
	v_fmac_f64_e32 v[184:185], v[6:7], v[144:145]
	v_fma_f64 v[144:145], v[4:5], v[144:145], -v[146:147]
	v_fmac_f64_e32 v[142:143], v[10:11], v[148:149]
	v_fma_f64 v[8:9], v[8:9], v[148:149], -v[150:151]
	v_add_f64_e32 v[140:141], v[12:13], v[140:141]
	v_add_f64_e32 v[146:147], v[14:15], v[182:183]
	ds_load_b128 v[4:7], v2 offset:1872
	ds_load_b128 v[12:15], v2 offset:1888
	s_wait_loadcnt_dscnt 0x401
	v_mul_f64_e32 v[168:169], v[4:5], v[154:155]
	v_mul_f64_e32 v[154:155], v[6:7], v[154:155]
	v_add_f64_e32 v[10:11], v[140:141], v[144:145]
	v_add_f64_e32 v[140:141], v[146:147], v[184:185]
	s_wait_loadcnt_dscnt 0x300
	v_mul_f64_e32 v[144:145], v[12:13], v[158:159]
	v_mul_f64_e32 v[146:147], v[14:15], v[158:159]
	v_fmac_f64_e32 v[168:169], v[6:7], v[152:153]
	v_fma_f64 v[148:149], v[4:5], v[152:153], -v[154:155]
	v_add_f64_e32 v[150:151], v[10:11], v[8:9]
	v_add_f64_e32 v[140:141], v[140:141], v[142:143]
	ds_load_b128 v[4:7], v2 offset:1904
	ds_load_b128 v[8:11], v2 offset:1920
	v_fmac_f64_e32 v[144:145], v[14:15], v[156:157]
	v_fma_f64 v[12:13], v[12:13], v[156:157], -v[146:147]
	s_wait_loadcnt_dscnt 0x201
	v_mul_f64_e32 v[142:143], v[4:5], v[162:163]
	v_mul_f64_e32 v[152:153], v[6:7], v[162:163]
	s_wait_loadcnt_dscnt 0x100
	v_mul_f64_e32 v[146:147], v[8:9], v[166:167]
	v_add_f64_e32 v[14:15], v[150:151], v[148:149]
	v_add_f64_e32 v[140:141], v[140:141], v[168:169]
	v_mul_f64_e32 v[148:149], v[10:11], v[166:167]
	v_fmac_f64_e32 v[142:143], v[6:7], v[160:161]
	v_fma_f64 v[150:151], v[4:5], v[160:161], -v[152:153]
	ds_load_b128 v[4:7], v2 offset:1936
	v_fmac_f64_e32 v[146:147], v[10:11], v[164:165]
	v_add_f64_e32 v[12:13], v[14:15], v[12:13]
	v_add_f64_e32 v[14:15], v[140:141], v[144:145]
	v_fma_f64 v[8:9], v[8:9], v[164:165], -v[148:149]
	s_wait_loadcnt_dscnt 0x0
	v_mul_f64_e32 v[140:141], v[4:5], v[174:175]
	v_mul_f64_e32 v[144:145], v[6:7], v[174:175]
	v_add_f64_e32 v[10:11], v[12:13], v[150:151]
	v_add_f64_e32 v[12:13], v[14:15], v[142:143]
	s_delay_alu instid0(VALU_DEP_4) | instskip(NEXT) | instid1(VALU_DEP_4)
	v_fmac_f64_e32 v[140:141], v[6:7], v[172:173]
	v_fma_f64 v[4:5], v[4:5], v[172:173], -v[144:145]
	s_delay_alu instid0(VALU_DEP_4) | instskip(NEXT) | instid1(VALU_DEP_4)
	v_add_f64_e32 v[6:7], v[10:11], v[8:9]
	v_add_f64_e32 v[8:9], v[12:13], v[146:147]
	s_delay_alu instid0(VALU_DEP_2) | instskip(NEXT) | instid1(VALU_DEP_2)
	v_add_f64_e32 v[4:5], v[6:7], v[4:5]
	v_add_f64_e32 v[6:7], v[8:9], v[140:141]
	s_delay_alu instid0(VALU_DEP_2) | instskip(NEXT) | instid1(VALU_DEP_2)
	v_add_f64_e64 v[4:5], v[176:177], -v[4:5]
	v_add_f64_e64 v[6:7], v[178:179], -v[6:7]
	scratch_store_b128 off, v[4:7], off offset:208
	s_wait_xcnt 0x0
	v_cmpx_lt_u32_e32 12, v1
	s_cbranch_execz .LBB124_367
; %bb.366:
	scratch_load_b128 v[6:9], off, s67
	v_dual_mov_b32 v3, v2 :: v_dual_mov_b32 v4, v2
	v_mov_b32_e32 v5, v2
	scratch_store_b128 off, v[2:5], off offset:192
	s_wait_loadcnt 0x0
	ds_store_b128 v138, v[6:9]
.LBB124_367:
	s_wait_xcnt 0x0
	s_or_b32 exec_lo, exec_lo, s2
	s_wait_storecnt_dscnt 0x0
	s_barrier_signal -1
	s_barrier_wait -1
	s_clause 0x9
	scratch_load_b128 v[4:7], off, off offset:208
	scratch_load_b128 v[8:11], off, off offset:224
	;; [unrolled: 1-line block ×10, first 2 shown]
	ds_load_b128 v[168:171], v2 offset:1184
	ds_load_b128 v[176:179], v2 offset:1200
	s_clause 0x2
	scratch_load_b128 v[172:175], off, off offset:368
	scratch_load_b128 v[180:183], off, off offset:192
	;; [unrolled: 1-line block ×3, first 2 shown]
	s_mov_b32 s2, exec_lo
	s_wait_loadcnt_dscnt 0xc01
	v_mul_f64_e32 v[188:189], v[170:171], v[6:7]
	v_mul_f64_e32 v[192:193], v[168:169], v[6:7]
	s_wait_loadcnt_dscnt 0xb00
	v_mul_f64_e32 v[194:195], v[176:177], v[10:11]
	v_mul_f64_e32 v[10:11], v[178:179], v[10:11]
	s_delay_alu instid0(VALU_DEP_4) | instskip(NEXT) | instid1(VALU_DEP_4)
	v_fma_f64 v[196:197], v[168:169], v[4:5], -v[188:189]
	v_fmac_f64_e32 v[192:193], v[170:171], v[4:5]
	ds_load_b128 v[4:7], v2 offset:1216
	ds_load_b128 v[168:171], v2 offset:1232
	scratch_load_b128 v[188:191], off, off offset:400
	v_fmac_f64_e32 v[194:195], v[178:179], v[8:9]
	v_fma_f64 v[176:177], v[176:177], v[8:9], -v[10:11]
	scratch_load_b128 v[8:11], off, off offset:416
	s_wait_loadcnt_dscnt 0xc01
	v_mul_f64_e32 v[198:199], v[4:5], v[14:15]
	v_mul_f64_e32 v[14:15], v[6:7], v[14:15]
	v_add_f64_e32 v[178:179], 0, v[196:197]
	v_add_f64_e32 v[192:193], 0, v[192:193]
	s_wait_loadcnt_dscnt 0xb00
	v_mul_f64_e32 v[196:197], v[168:169], v[142:143]
	v_mul_f64_e32 v[142:143], v[170:171], v[142:143]
	v_fmac_f64_e32 v[198:199], v[6:7], v[12:13]
	v_fma_f64 v[200:201], v[4:5], v[12:13], -v[14:15]
	ds_load_b128 v[4:7], v2 offset:1248
	ds_load_b128 v[12:15], v2 offset:1264
	v_add_f64_e32 v[202:203], v[178:179], v[176:177]
	v_add_f64_e32 v[192:193], v[192:193], v[194:195]
	scratch_load_b128 v[176:179], off, off offset:432
	v_fmac_f64_e32 v[196:197], v[170:171], v[140:141]
	v_fma_f64 v[168:169], v[168:169], v[140:141], -v[142:143]
	scratch_load_b128 v[140:143], off, off offset:448
	s_wait_loadcnt_dscnt 0xc01
	v_mul_f64_e32 v[194:195], v[4:5], v[146:147]
	v_mul_f64_e32 v[146:147], v[6:7], v[146:147]
	v_add_f64_e32 v[170:171], v[202:203], v[200:201]
	v_add_f64_e32 v[192:193], v[192:193], v[198:199]
	s_wait_loadcnt_dscnt 0xb00
	v_mul_f64_e32 v[198:199], v[12:13], v[150:151]
	v_mul_f64_e32 v[150:151], v[14:15], v[150:151]
	v_fmac_f64_e32 v[194:195], v[6:7], v[144:145]
	v_fma_f64 v[200:201], v[4:5], v[144:145], -v[146:147]
	ds_load_b128 v[4:7], v2 offset:1280
	ds_load_b128 v[144:147], v2 offset:1296
	v_add_f64_e32 v[202:203], v[170:171], v[168:169]
	v_add_f64_e32 v[192:193], v[192:193], v[196:197]
	scratch_load_b128 v[168:171], off, off offset:464
	s_wait_loadcnt_dscnt 0xb01
	v_mul_f64_e32 v[196:197], v[4:5], v[154:155]
	v_mul_f64_e32 v[154:155], v[6:7], v[154:155]
	v_fmac_f64_e32 v[198:199], v[14:15], v[148:149]
	v_fma_f64 v[148:149], v[12:13], v[148:149], -v[150:151]
	scratch_load_b128 v[12:15], off, off offset:480
	v_add_f64_e32 v[150:151], v[202:203], v[200:201]
	v_add_f64_e32 v[192:193], v[192:193], v[194:195]
	s_wait_loadcnt_dscnt 0xb00
	v_mul_f64_e32 v[194:195], v[144:145], v[158:159]
	v_mul_f64_e32 v[158:159], v[146:147], v[158:159]
	v_fmac_f64_e32 v[196:197], v[6:7], v[152:153]
	v_fma_f64 v[200:201], v[4:5], v[152:153], -v[154:155]
	v_add_f64_e32 v[202:203], v[150:151], v[148:149]
	v_add_f64_e32 v[192:193], v[192:193], v[198:199]
	ds_load_b128 v[4:7], v2 offset:1312
	ds_load_b128 v[148:151], v2 offset:1328
	scratch_load_b128 v[152:155], off, off offset:496
	v_fmac_f64_e32 v[194:195], v[146:147], v[156:157]
	v_fma_f64 v[156:157], v[144:145], v[156:157], -v[158:159]
	scratch_load_b128 v[144:147], off, off offset:512
	s_wait_loadcnt_dscnt 0xc01
	v_mul_f64_e32 v[198:199], v[4:5], v[162:163]
	v_mul_f64_e32 v[162:163], v[6:7], v[162:163]
	v_add_f64_e32 v[158:159], v[202:203], v[200:201]
	v_add_f64_e32 v[192:193], v[192:193], v[196:197]
	s_wait_loadcnt_dscnt 0xb00
	v_mul_f64_e32 v[196:197], v[148:149], v[166:167]
	v_mul_f64_e32 v[166:167], v[150:151], v[166:167]
	v_fmac_f64_e32 v[198:199], v[6:7], v[160:161]
	v_fma_f64 v[200:201], v[4:5], v[160:161], -v[162:163]
	v_add_f64_e32 v[202:203], v[158:159], v[156:157]
	v_add_f64_e32 v[192:193], v[192:193], v[194:195]
	ds_load_b128 v[4:7], v2 offset:1344
	ds_load_b128 v[156:159], v2 offset:1360
	scratch_load_b128 v[160:163], off, off offset:528
	v_fmac_f64_e32 v[196:197], v[150:151], v[164:165]
	v_fma_f64 v[164:165], v[148:149], v[164:165], -v[166:167]
	scratch_load_b128 v[148:151], off, off offset:544
	s_wait_loadcnt_dscnt 0xc01
	v_mul_f64_e32 v[194:195], v[4:5], v[174:175]
	v_mul_f64_e32 v[174:175], v[6:7], v[174:175]
	;; [unrolled: 18-line block ×5, first 2 shown]
	v_add_f64_e32 v[186:187], v[202:203], v[200:201]
	v_add_f64_e32 v[192:193], v[192:193], v[198:199]
	s_wait_loadcnt_dscnt 0xa00
	v_mul_f64_e32 v[198:199], v[164:165], v[14:15]
	v_mul_f64_e32 v[14:15], v[166:167], v[14:15]
	v_fmac_f64_e32 v[194:195], v[6:7], v[168:169]
	v_fma_f64 v[200:201], v[4:5], v[168:169], -v[170:171]
	ds_load_b128 v[4:7], v2 offset:1472
	ds_load_b128 v[168:171], v2 offset:1488
	v_add_f64_e32 v[202:203], v[186:187], v[184:185]
	v_add_f64_e32 v[192:193], v[192:193], v[196:197]
	scratch_load_b128 v[184:187], off, off offset:656
	v_fmac_f64_e32 v[198:199], v[166:167], v[12:13]
	v_fma_f64 v[164:165], v[164:165], v[12:13], -v[14:15]
	scratch_load_b128 v[12:15], off, off offset:672
	s_wait_loadcnt_dscnt 0xb01
	v_mul_f64_e32 v[196:197], v[4:5], v[154:155]
	v_mul_f64_e32 v[154:155], v[6:7], v[154:155]
	v_add_f64_e32 v[166:167], v[202:203], v[200:201]
	v_add_f64_e32 v[192:193], v[192:193], v[194:195]
	s_wait_loadcnt_dscnt 0xa00
	v_mul_f64_e32 v[194:195], v[168:169], v[146:147]
	v_mul_f64_e32 v[146:147], v[170:171], v[146:147]
	v_fmac_f64_e32 v[196:197], v[6:7], v[152:153]
	v_fma_f64 v[200:201], v[4:5], v[152:153], -v[154:155]
	ds_load_b128 v[4:7], v2 offset:1504
	ds_load_b128 v[152:155], v2 offset:1520
	v_add_f64_e32 v[202:203], v[166:167], v[164:165]
	v_add_f64_e32 v[192:193], v[192:193], v[198:199]
	scratch_load_b128 v[164:167], off, off offset:688
	s_wait_loadcnt_dscnt 0xa01
	v_mul_f64_e32 v[198:199], v[4:5], v[162:163]
	v_mul_f64_e32 v[162:163], v[6:7], v[162:163]
	v_fmac_f64_e32 v[194:195], v[170:171], v[144:145]
	v_fma_f64 v[168:169], v[168:169], v[144:145], -v[146:147]
	scratch_load_b128 v[144:147], off, off offset:704
	v_add_f64_e32 v[170:171], v[202:203], v[200:201]
	v_add_f64_e32 v[192:193], v[192:193], v[196:197]
	s_wait_loadcnt_dscnt 0xa00
	v_mul_f64_e32 v[196:197], v[152:153], v[150:151]
	v_mul_f64_e32 v[150:151], v[154:155], v[150:151]
	v_fmac_f64_e32 v[198:199], v[6:7], v[160:161]
	v_fma_f64 v[200:201], v[4:5], v[160:161], -v[162:163]
	ds_load_b128 v[4:7], v2 offset:1536
	ds_load_b128 v[160:163], v2 offset:1552
	v_add_f64_e32 v[202:203], v[170:171], v[168:169]
	v_add_f64_e32 v[192:193], v[192:193], v[194:195]
	scratch_load_b128 v[168:171], off, off offset:720
	s_wait_loadcnt_dscnt 0xa01
	v_mul_f64_e32 v[194:195], v[4:5], v[174:175]
	v_mul_f64_e32 v[174:175], v[6:7], v[174:175]
	v_fmac_f64_e32 v[196:197], v[154:155], v[148:149]
	v_fma_f64 v[152:153], v[152:153], v[148:149], -v[150:151]
	scratch_load_b128 v[148:151], off, off offset:736
	v_add_f64_e32 v[154:155], v[202:203], v[200:201]
	v_add_f64_e32 v[192:193], v[192:193], v[198:199]
	s_wait_loadcnt_dscnt 0xa00
	v_mul_f64_e32 v[198:199], v[160:161], v[158:159]
	v_mul_f64_e32 v[158:159], v[162:163], v[158:159]
	v_fmac_f64_e32 v[194:195], v[6:7], v[172:173]
	v_fma_f64 v[200:201], v[4:5], v[172:173], -v[174:175]
	v_add_f64_e32 v[202:203], v[154:155], v[152:153]
	v_add_f64_e32 v[192:193], v[192:193], v[196:197]
	ds_load_b128 v[4:7], v2 offset:1568
	ds_load_b128 v[152:155], v2 offset:1584
	scratch_load_b128 v[172:175], off, off offset:752
	v_fmac_f64_e32 v[198:199], v[162:163], v[156:157]
	v_fma_f64 v[160:161], v[160:161], v[156:157], -v[158:159]
	scratch_load_b128 v[156:159], off, off offset:768
	s_wait_loadcnt_dscnt 0xb01
	v_mul_f64_e32 v[196:197], v[4:5], v[190:191]
	v_mul_f64_e32 v[190:191], v[6:7], v[190:191]
	v_add_f64_e32 v[162:163], v[202:203], v[200:201]
	v_add_f64_e32 v[192:193], v[192:193], v[194:195]
	s_wait_loadcnt_dscnt 0xa00
	v_mul_f64_e32 v[194:195], v[152:153], v[10:11]
	v_mul_f64_e32 v[10:11], v[154:155], v[10:11]
	v_fmac_f64_e32 v[196:197], v[6:7], v[188:189]
	v_fma_f64 v[200:201], v[4:5], v[188:189], -v[190:191]
	v_add_f64_e32 v[202:203], v[162:163], v[160:161]
	v_add_f64_e32 v[192:193], v[192:193], v[198:199]
	ds_load_b128 v[4:7], v2 offset:1600
	ds_load_b128 v[160:163], v2 offset:1616
	scratch_load_b128 v[188:191], off, off offset:784
	v_fmac_f64_e32 v[194:195], v[154:155], v[8:9]
	v_fma_f64 v[152:153], v[152:153], v[8:9], -v[10:11]
	scratch_load_b128 v[8:11], off, off offset:800
	s_wait_loadcnt_dscnt 0xb01
	v_mul_f64_e32 v[198:199], v[4:5], v[178:179]
	v_mul_f64_e32 v[178:179], v[6:7], v[178:179]
	;; [unrolled: 18-line block ×7, first 2 shown]
	v_add_f64_e32 v[162:163], v[202:203], v[200:201]
	v_add_f64_e32 v[192:193], v[192:193], v[194:195]
	s_wait_loadcnt_dscnt 0xa00
	v_mul_f64_e32 v[194:195], v[152:153], v[10:11]
	v_mul_f64_e32 v[10:11], v[154:155], v[10:11]
	v_fmac_f64_e32 v[196:197], v[6:7], v[188:189]
	v_fma_f64 v[188:189], v[4:5], v[188:189], -v[190:191]
	v_add_f64_e32 v[190:191], v[162:163], v[160:161]
	v_add_f64_e32 v[192:193], v[192:193], v[198:199]
	ds_load_b128 v[4:7], v2 offset:1792
	ds_load_b128 v[160:163], v2 offset:1808
	v_fmac_f64_e32 v[194:195], v[154:155], v[8:9]
	v_fma_f64 v[8:9], v[152:153], v[8:9], -v[10:11]
	s_wait_loadcnt_dscnt 0x901
	v_mul_f64_e32 v[198:199], v[4:5], v[178:179]
	v_mul_f64_e32 v[178:179], v[6:7], v[178:179]
	s_wait_loadcnt_dscnt 0x800
	v_mul_f64_e32 v[154:155], v[160:161], v[142:143]
	v_mul_f64_e32 v[142:143], v[162:163], v[142:143]
	v_add_f64_e32 v[10:11], v[190:191], v[188:189]
	v_add_f64_e32 v[152:153], v[192:193], v[196:197]
	v_fmac_f64_e32 v[198:199], v[6:7], v[176:177]
	v_fma_f64 v[176:177], v[4:5], v[176:177], -v[178:179]
	v_fmac_f64_e32 v[154:155], v[162:163], v[140:141]
	v_fma_f64 v[140:141], v[160:161], v[140:141], -v[142:143]
	v_add_f64_e32 v[178:179], v[10:11], v[8:9]
	v_add_f64_e32 v[152:153], v[152:153], v[194:195]
	ds_load_b128 v[4:7], v2 offset:1824
	ds_load_b128 v[8:11], v2 offset:1840
	s_wait_loadcnt_dscnt 0x701
	v_mul_f64_e32 v[188:189], v[4:5], v[186:187]
	v_mul_f64_e32 v[186:187], v[6:7], v[186:187]
	s_wait_loadcnt_dscnt 0x600
	v_mul_f64_e32 v[160:161], v[8:9], v[14:15]
	v_mul_f64_e32 v[14:15], v[10:11], v[14:15]
	v_add_f64_e32 v[142:143], v[178:179], v[176:177]
	v_add_f64_e32 v[152:153], v[152:153], v[198:199]
	v_fmac_f64_e32 v[188:189], v[6:7], v[184:185]
	v_fma_f64 v[162:163], v[4:5], v[184:185], -v[186:187]
	v_fmac_f64_e32 v[160:161], v[10:11], v[12:13]
	v_fma_f64 v[8:9], v[8:9], v[12:13], -v[14:15]
	v_add_f64_e32 v[176:177], v[142:143], v[140:141]
	v_add_f64_e32 v[152:153], v[152:153], v[154:155]
	ds_load_b128 v[4:7], v2 offset:1856
	ds_load_b128 v[140:143], v2 offset:1872
	;; [unrolled: 16-line block ×4, first 2 shown]
	s_wait_loadcnt_dscnt 0x101
	v_mul_f64_e32 v[2:3], v[4:5], v[174:175]
	v_mul_f64_e32 v[152:153], v[6:7], v[174:175]
	s_wait_loadcnt_dscnt 0x0
	v_mul_f64_e32 v[146:147], v[14:15], v[158:159]
	v_add_f64_e32 v[10:11], v[140:141], v[150:151]
	v_add_f64_e32 v[140:141], v[142:143], v[160:161]
	v_mul_f64_e32 v[142:143], v[12:13], v[158:159]
	v_fmac_f64_e32 v[2:3], v[6:7], v[172:173]
	v_fma_f64 v[4:5], v[4:5], v[172:173], -v[152:153]
	v_add_f64_e32 v[6:7], v[10:11], v[8:9]
	v_add_f64_e32 v[8:9], v[140:141], v[144:145]
	v_fmac_f64_e32 v[142:143], v[14:15], v[156:157]
	v_fma_f64 v[10:11], v[12:13], v[156:157], -v[146:147]
	s_delay_alu instid0(VALU_DEP_4) | instskip(NEXT) | instid1(VALU_DEP_4)
	v_add_f64_e32 v[4:5], v[6:7], v[4:5]
	v_add_f64_e32 v[2:3], v[8:9], v[2:3]
	s_delay_alu instid0(VALU_DEP_2) | instskip(NEXT) | instid1(VALU_DEP_2)
	v_add_f64_e32 v[4:5], v[4:5], v[10:11]
	v_add_f64_e32 v[6:7], v[2:3], v[142:143]
	s_delay_alu instid0(VALU_DEP_2) | instskip(NEXT) | instid1(VALU_DEP_2)
	v_add_f64_e64 v[2:3], v[180:181], -v[4:5]
	v_add_f64_e64 v[4:5], v[182:183], -v[6:7]
	scratch_store_b128 off, v[2:5], off offset:192
	s_wait_xcnt 0x0
	v_cmpx_lt_u32_e32 11, v1
	s_cbranch_execz .LBB124_369
; %bb.368:
	scratch_load_b128 v[2:5], off, s68
	v_mov_b32_e32 v6, 0
	s_delay_alu instid0(VALU_DEP_1)
	v_dual_mov_b32 v7, v6 :: v_dual_mov_b32 v8, v6
	v_mov_b32_e32 v9, v6
	scratch_store_b128 off, v[6:9], off offset:176
	s_wait_loadcnt 0x0
	ds_store_b128 v138, v[2:5]
.LBB124_369:
	s_wait_xcnt 0x0
	s_or_b32 exec_lo, exec_lo, s2
	s_wait_storecnt_dscnt 0x0
	s_barrier_signal -1
	s_barrier_wait -1
	s_clause 0x9
	scratch_load_b128 v[4:7], off, off offset:192
	scratch_load_b128 v[8:11], off, off offset:208
	;; [unrolled: 1-line block ×10, first 2 shown]
	v_mov_b32_e32 v2, 0
	s_mov_b32 s2, exec_lo
	ds_load_b128 v[168:171], v2 offset:1168
	s_clause 0x2
	scratch_load_b128 v[172:175], off, off offset:352
	scratch_load_b128 v[176:179], off, off offset:176
	;; [unrolled: 1-line block ×3, first 2 shown]
	s_wait_loadcnt_dscnt 0xc00
	v_mul_f64_e32 v[188:189], v[170:171], v[6:7]
	v_mul_f64_e32 v[192:193], v[168:169], v[6:7]
	ds_load_b128 v[180:183], v2 offset:1184
	v_fma_f64 v[196:197], v[168:169], v[4:5], -v[188:189]
	v_fmac_f64_e32 v[192:193], v[170:171], v[4:5]
	ds_load_b128 v[4:7], v2 offset:1200
	s_wait_loadcnt_dscnt 0xb01
	v_mul_f64_e32 v[194:195], v[180:181], v[10:11]
	v_mul_f64_e32 v[10:11], v[182:183], v[10:11]
	scratch_load_b128 v[168:171], off, off offset:384
	ds_load_b128 v[188:191], v2 offset:1216
	s_wait_loadcnt_dscnt 0xb01
	v_mul_f64_e32 v[198:199], v[4:5], v[14:15]
	v_mul_f64_e32 v[14:15], v[6:7], v[14:15]
	v_add_f64_e32 v[192:193], 0, v[192:193]
	v_fmac_f64_e32 v[194:195], v[182:183], v[8:9]
	v_fma_f64 v[180:181], v[180:181], v[8:9], -v[10:11]
	v_add_f64_e32 v[182:183], 0, v[196:197]
	scratch_load_b128 v[8:11], off, off offset:400
	v_fmac_f64_e32 v[198:199], v[6:7], v[12:13]
	v_fma_f64 v[200:201], v[4:5], v[12:13], -v[14:15]
	ds_load_b128 v[4:7], v2 offset:1232
	s_wait_loadcnt_dscnt 0xb01
	v_mul_f64_e32 v[196:197], v[188:189], v[142:143]
	v_mul_f64_e32 v[142:143], v[190:191], v[142:143]
	scratch_load_b128 v[12:15], off, off offset:416
	v_add_f64_e32 v[192:193], v[192:193], v[194:195]
	v_add_f64_e32 v[202:203], v[182:183], v[180:181]
	ds_load_b128 v[180:183], v2 offset:1248
	s_wait_loadcnt_dscnt 0xb01
	v_mul_f64_e32 v[194:195], v[4:5], v[146:147]
	v_mul_f64_e32 v[146:147], v[6:7], v[146:147]
	v_fmac_f64_e32 v[196:197], v[190:191], v[140:141]
	v_fma_f64 v[188:189], v[188:189], v[140:141], -v[142:143]
	scratch_load_b128 v[140:143], off, off offset:432
	v_add_f64_e32 v[192:193], v[192:193], v[198:199]
	v_add_f64_e32 v[190:191], v[202:203], v[200:201]
	v_fmac_f64_e32 v[194:195], v[6:7], v[144:145]
	v_fma_f64 v[200:201], v[4:5], v[144:145], -v[146:147]
	ds_load_b128 v[4:7], v2 offset:1264
	s_wait_loadcnt_dscnt 0xb01
	v_mul_f64_e32 v[198:199], v[180:181], v[150:151]
	v_mul_f64_e32 v[150:151], v[182:183], v[150:151]
	scratch_load_b128 v[144:147], off, off offset:448
	v_add_f64_e32 v[192:193], v[192:193], v[196:197]
	s_wait_loadcnt_dscnt 0xb00
	v_mul_f64_e32 v[196:197], v[4:5], v[154:155]
	v_add_f64_e32 v[202:203], v[190:191], v[188:189]
	v_mul_f64_e32 v[154:155], v[6:7], v[154:155]
	ds_load_b128 v[188:191], v2 offset:1280
	v_fmac_f64_e32 v[198:199], v[182:183], v[148:149]
	v_fma_f64 v[180:181], v[180:181], v[148:149], -v[150:151]
	scratch_load_b128 v[148:151], off, off offset:464
	v_add_f64_e32 v[192:193], v[192:193], v[194:195]
	v_fmac_f64_e32 v[196:197], v[6:7], v[152:153]
	v_add_f64_e32 v[182:183], v[202:203], v[200:201]
	v_fma_f64 v[200:201], v[4:5], v[152:153], -v[154:155]
	ds_load_b128 v[4:7], v2 offset:1296
	s_wait_loadcnt_dscnt 0xb01
	v_mul_f64_e32 v[194:195], v[188:189], v[158:159]
	v_mul_f64_e32 v[158:159], v[190:191], v[158:159]
	scratch_load_b128 v[152:155], off, off offset:480
	v_add_f64_e32 v[192:193], v[192:193], v[198:199]
	s_wait_loadcnt_dscnt 0xb00
	v_mul_f64_e32 v[198:199], v[4:5], v[162:163]
	v_add_f64_e32 v[202:203], v[182:183], v[180:181]
	v_mul_f64_e32 v[162:163], v[6:7], v[162:163]
	ds_load_b128 v[180:183], v2 offset:1312
	v_fmac_f64_e32 v[194:195], v[190:191], v[156:157]
	v_fma_f64 v[188:189], v[188:189], v[156:157], -v[158:159]
	scratch_load_b128 v[156:159], off, off offset:496
	v_add_f64_e32 v[192:193], v[192:193], v[196:197]
	v_fmac_f64_e32 v[198:199], v[6:7], v[160:161]
	v_add_f64_e32 v[190:191], v[202:203], v[200:201]
	;; [unrolled: 18-line block ×3, first 2 shown]
	v_fma_f64 v[200:201], v[4:5], v[172:173], -v[174:175]
	ds_load_b128 v[4:7], v2 offset:1360
	s_wait_loadcnt_dscnt 0xa01
	v_mul_f64_e32 v[198:199], v[188:189], v[186:187]
	v_mul_f64_e32 v[186:187], v[190:191], v[186:187]
	scratch_load_b128 v[172:175], off, off offset:544
	v_add_f64_e32 v[192:193], v[192:193], v[196:197]
	v_add_f64_e32 v[202:203], v[182:183], v[180:181]
	s_wait_loadcnt_dscnt 0xa00
	v_mul_f64_e32 v[196:197], v[4:5], v[170:171]
	v_mul_f64_e32 v[170:171], v[6:7], v[170:171]
	v_fmac_f64_e32 v[198:199], v[190:191], v[184:185]
	v_fma_f64 v[188:189], v[188:189], v[184:185], -v[186:187]
	ds_load_b128 v[180:183], v2 offset:1376
	scratch_load_b128 v[184:187], off, off offset:560
	v_add_f64_e32 v[192:193], v[192:193], v[194:195]
	v_add_f64_e32 v[190:191], v[202:203], v[200:201]
	v_fmac_f64_e32 v[196:197], v[6:7], v[168:169]
	v_fma_f64 v[200:201], v[4:5], v[168:169], -v[170:171]
	ds_load_b128 v[4:7], v2 offset:1392
	s_wait_loadcnt_dscnt 0xa01
	v_mul_f64_e32 v[194:195], v[180:181], v[10:11]
	v_mul_f64_e32 v[10:11], v[182:183], v[10:11]
	scratch_load_b128 v[168:171], off, off offset:576
	v_add_f64_e32 v[192:193], v[192:193], v[198:199]
	s_wait_loadcnt_dscnt 0xa00
	v_mul_f64_e32 v[198:199], v[4:5], v[14:15]
	v_add_f64_e32 v[202:203], v[190:191], v[188:189]
	v_mul_f64_e32 v[14:15], v[6:7], v[14:15]
	ds_load_b128 v[188:191], v2 offset:1408
	v_fmac_f64_e32 v[194:195], v[182:183], v[8:9]
	v_fma_f64 v[180:181], v[180:181], v[8:9], -v[10:11]
	scratch_load_b128 v[8:11], off, off offset:592
	v_add_f64_e32 v[192:193], v[192:193], v[196:197]
	v_fmac_f64_e32 v[198:199], v[6:7], v[12:13]
	v_add_f64_e32 v[182:183], v[202:203], v[200:201]
	v_fma_f64 v[200:201], v[4:5], v[12:13], -v[14:15]
	ds_load_b128 v[4:7], v2 offset:1424
	s_wait_loadcnt_dscnt 0xa01
	v_mul_f64_e32 v[196:197], v[188:189], v[142:143]
	v_mul_f64_e32 v[142:143], v[190:191], v[142:143]
	scratch_load_b128 v[12:15], off, off offset:608
	v_add_f64_e32 v[192:193], v[192:193], v[194:195]
	s_wait_loadcnt_dscnt 0xa00
	v_mul_f64_e32 v[194:195], v[4:5], v[146:147]
	v_add_f64_e32 v[202:203], v[182:183], v[180:181]
	v_mul_f64_e32 v[146:147], v[6:7], v[146:147]
	ds_load_b128 v[180:183], v2 offset:1440
	v_fmac_f64_e32 v[196:197], v[190:191], v[140:141]
	v_fma_f64 v[188:189], v[188:189], v[140:141], -v[142:143]
	scratch_load_b128 v[140:143], off, off offset:624
	v_add_f64_e32 v[192:193], v[192:193], v[198:199]
	v_fmac_f64_e32 v[194:195], v[6:7], v[144:145]
	v_add_f64_e32 v[190:191], v[202:203], v[200:201]
	;; [unrolled: 18-line block ×12, first 2 shown]
	v_fma_f64 v[200:201], v[4:5], v[168:169], -v[170:171]
	ds_load_b128 v[4:7], v2 offset:1776
	s_wait_loadcnt_dscnt 0xa01
	v_mul_f64_e32 v[194:195], v[180:181], v[10:11]
	v_mul_f64_e32 v[10:11], v[182:183], v[10:11]
	scratch_load_b128 v[168:171], off, off offset:960
	v_add_f64_e32 v[192:193], v[192:193], v[198:199]
	s_wait_loadcnt_dscnt 0xa00
	v_mul_f64_e32 v[198:199], v[4:5], v[14:15]
	v_add_f64_e32 v[202:203], v[190:191], v[188:189]
	v_mul_f64_e32 v[14:15], v[6:7], v[14:15]
	ds_load_b128 v[188:191], v2 offset:1792
	v_fmac_f64_e32 v[194:195], v[182:183], v[8:9]
	v_fma_f64 v[8:9], v[180:181], v[8:9], -v[10:11]
	s_wait_loadcnt_dscnt 0x900
	v_mul_f64_e32 v[182:183], v[188:189], v[142:143]
	v_mul_f64_e32 v[142:143], v[190:191], v[142:143]
	v_add_f64_e32 v[180:181], v[192:193], v[196:197]
	v_fmac_f64_e32 v[198:199], v[6:7], v[12:13]
	v_add_f64_e32 v[10:11], v[202:203], v[200:201]
	v_fma_f64 v[12:13], v[4:5], v[12:13], -v[14:15]
	v_fmac_f64_e32 v[182:183], v[190:191], v[140:141]
	v_fma_f64 v[140:141], v[188:189], v[140:141], -v[142:143]
	v_add_f64_e32 v[180:181], v[180:181], v[194:195]
	v_add_f64_e32 v[14:15], v[10:11], v[8:9]
	ds_load_b128 v[4:7], v2 offset:1808
	ds_load_b128 v[8:11], v2 offset:1824
	s_wait_loadcnt_dscnt 0x801
	v_mul_f64_e32 v[192:193], v[4:5], v[146:147]
	v_mul_f64_e32 v[146:147], v[6:7], v[146:147]
	s_wait_loadcnt_dscnt 0x700
	v_mul_f64_e32 v[142:143], v[8:9], v[150:151]
	v_mul_f64_e32 v[150:151], v[10:11], v[150:151]
	v_add_f64_e32 v[12:13], v[14:15], v[12:13]
	v_add_f64_e32 v[14:15], v[180:181], v[198:199]
	v_fmac_f64_e32 v[192:193], v[6:7], v[144:145]
	v_fma_f64 v[144:145], v[4:5], v[144:145], -v[146:147]
	v_fmac_f64_e32 v[142:143], v[10:11], v[148:149]
	v_fma_f64 v[8:9], v[8:9], v[148:149], -v[150:151]
	v_add_f64_e32 v[140:141], v[12:13], v[140:141]
	v_add_f64_e32 v[146:147], v[14:15], v[182:183]
	ds_load_b128 v[4:7], v2 offset:1840
	ds_load_b128 v[12:15], v2 offset:1856
	s_wait_loadcnt_dscnt 0x601
	v_mul_f64_e32 v[180:181], v[4:5], v[154:155]
	v_mul_f64_e32 v[154:155], v[6:7], v[154:155]
	v_add_f64_e32 v[10:11], v[140:141], v[144:145]
	v_add_f64_e32 v[140:141], v[146:147], v[192:193]
	s_wait_loadcnt_dscnt 0x500
	v_mul_f64_e32 v[144:145], v[12:13], v[158:159]
	v_mul_f64_e32 v[146:147], v[14:15], v[158:159]
	v_fmac_f64_e32 v[180:181], v[6:7], v[152:153]
	v_fma_f64 v[148:149], v[4:5], v[152:153], -v[154:155]
	v_add_f64_e32 v[150:151], v[10:11], v[8:9]
	v_add_f64_e32 v[140:141], v[140:141], v[142:143]
	ds_load_b128 v[4:7], v2 offset:1872
	ds_load_b128 v[8:11], v2 offset:1888
	v_fmac_f64_e32 v[144:145], v[14:15], v[156:157]
	v_fma_f64 v[12:13], v[12:13], v[156:157], -v[146:147]
	s_wait_loadcnt_dscnt 0x401
	v_mul_f64_e32 v[142:143], v[4:5], v[162:163]
	v_mul_f64_e32 v[152:153], v[6:7], v[162:163]
	s_wait_loadcnt_dscnt 0x300
	v_mul_f64_e32 v[146:147], v[8:9], v[166:167]
	v_add_f64_e32 v[14:15], v[150:151], v[148:149]
	v_add_f64_e32 v[140:141], v[140:141], v[180:181]
	v_mul_f64_e32 v[148:149], v[10:11], v[166:167]
	v_fmac_f64_e32 v[142:143], v[6:7], v[160:161]
	v_fma_f64 v[150:151], v[4:5], v[160:161], -v[152:153]
	v_fmac_f64_e32 v[146:147], v[10:11], v[164:165]
	v_add_f64_e32 v[152:153], v[14:15], v[12:13]
	v_add_f64_e32 v[140:141], v[140:141], v[144:145]
	ds_load_b128 v[4:7], v2 offset:1904
	ds_load_b128 v[12:15], v2 offset:1920
	v_fma_f64 v[8:9], v[8:9], v[164:165], -v[148:149]
	s_wait_loadcnt_dscnt 0x201
	v_mul_f64_e32 v[144:145], v[4:5], v[174:175]
	v_mul_f64_e32 v[154:155], v[6:7], v[174:175]
	s_wait_loadcnt_dscnt 0x100
	v_mul_f64_e32 v[148:149], v[14:15], v[186:187]
	v_add_f64_e32 v[10:11], v[152:153], v[150:151]
	v_add_f64_e32 v[140:141], v[140:141], v[142:143]
	v_mul_f64_e32 v[142:143], v[12:13], v[186:187]
	v_fmac_f64_e32 v[144:145], v[6:7], v[172:173]
	v_fma_f64 v[150:151], v[4:5], v[172:173], -v[154:155]
	ds_load_b128 v[4:7], v2 offset:1936
	v_fma_f64 v[12:13], v[12:13], v[184:185], -v[148:149]
	v_add_f64_e32 v[8:9], v[10:11], v[8:9]
	v_add_f64_e32 v[10:11], v[140:141], v[146:147]
	v_fmac_f64_e32 v[142:143], v[14:15], v[184:185]
	s_wait_loadcnt_dscnt 0x0
	v_mul_f64_e32 v[140:141], v[4:5], v[170:171]
	v_mul_f64_e32 v[146:147], v[6:7], v[170:171]
	v_add_f64_e32 v[8:9], v[8:9], v[150:151]
	v_add_f64_e32 v[10:11], v[10:11], v[144:145]
	s_delay_alu instid0(VALU_DEP_4) | instskip(NEXT) | instid1(VALU_DEP_4)
	v_fmac_f64_e32 v[140:141], v[6:7], v[168:169]
	v_fma_f64 v[4:5], v[4:5], v[168:169], -v[146:147]
	s_delay_alu instid0(VALU_DEP_4) | instskip(NEXT) | instid1(VALU_DEP_4)
	v_add_f64_e32 v[6:7], v[8:9], v[12:13]
	v_add_f64_e32 v[8:9], v[10:11], v[142:143]
	s_delay_alu instid0(VALU_DEP_2) | instskip(NEXT) | instid1(VALU_DEP_2)
	v_add_f64_e32 v[4:5], v[6:7], v[4:5]
	v_add_f64_e32 v[6:7], v[8:9], v[140:141]
	s_delay_alu instid0(VALU_DEP_2) | instskip(NEXT) | instid1(VALU_DEP_2)
	v_add_f64_e64 v[4:5], v[176:177], -v[4:5]
	v_add_f64_e64 v[6:7], v[178:179], -v[6:7]
	scratch_store_b128 off, v[4:7], off offset:176
	s_wait_xcnt 0x0
	v_cmpx_lt_u32_e32 10, v1
	s_cbranch_execz .LBB124_371
; %bb.370:
	scratch_load_b128 v[6:9], off, s69
	v_dual_mov_b32 v3, v2 :: v_dual_mov_b32 v4, v2
	v_mov_b32_e32 v5, v2
	scratch_store_b128 off, v[2:5], off offset:160
	s_wait_loadcnt 0x0
	ds_store_b128 v138, v[6:9]
.LBB124_371:
	s_wait_xcnt 0x0
	s_or_b32 exec_lo, exec_lo, s2
	s_wait_storecnt_dscnt 0x0
	s_barrier_signal -1
	s_barrier_wait -1
	s_clause 0x9
	scratch_load_b128 v[4:7], off, off offset:176
	scratch_load_b128 v[8:11], off, off offset:192
	;; [unrolled: 1-line block ×10, first 2 shown]
	ds_load_b128 v[168:171], v2 offset:1152
	ds_load_b128 v[176:179], v2 offset:1168
	s_clause 0x2
	scratch_load_b128 v[172:175], off, off offset:336
	scratch_load_b128 v[180:183], off, off offset:160
	;; [unrolled: 1-line block ×3, first 2 shown]
	s_mov_b32 s2, exec_lo
	s_wait_loadcnt_dscnt 0xc01
	v_mul_f64_e32 v[188:189], v[170:171], v[6:7]
	v_mul_f64_e32 v[192:193], v[168:169], v[6:7]
	s_wait_loadcnt_dscnt 0xb00
	v_mul_f64_e32 v[194:195], v[176:177], v[10:11]
	v_mul_f64_e32 v[10:11], v[178:179], v[10:11]
	s_delay_alu instid0(VALU_DEP_4) | instskip(NEXT) | instid1(VALU_DEP_4)
	v_fma_f64 v[196:197], v[168:169], v[4:5], -v[188:189]
	v_fmac_f64_e32 v[192:193], v[170:171], v[4:5]
	ds_load_b128 v[4:7], v2 offset:1184
	ds_load_b128 v[168:171], v2 offset:1200
	scratch_load_b128 v[188:191], off, off offset:368
	v_fmac_f64_e32 v[194:195], v[178:179], v[8:9]
	v_fma_f64 v[176:177], v[176:177], v[8:9], -v[10:11]
	scratch_load_b128 v[8:11], off, off offset:384
	s_wait_loadcnt_dscnt 0xc01
	v_mul_f64_e32 v[198:199], v[4:5], v[14:15]
	v_mul_f64_e32 v[14:15], v[6:7], v[14:15]
	v_add_f64_e32 v[178:179], 0, v[196:197]
	v_add_f64_e32 v[192:193], 0, v[192:193]
	s_wait_loadcnt_dscnt 0xb00
	v_mul_f64_e32 v[196:197], v[168:169], v[142:143]
	v_mul_f64_e32 v[142:143], v[170:171], v[142:143]
	v_fmac_f64_e32 v[198:199], v[6:7], v[12:13]
	v_fma_f64 v[200:201], v[4:5], v[12:13], -v[14:15]
	ds_load_b128 v[4:7], v2 offset:1216
	ds_load_b128 v[12:15], v2 offset:1232
	v_add_f64_e32 v[202:203], v[178:179], v[176:177]
	v_add_f64_e32 v[192:193], v[192:193], v[194:195]
	scratch_load_b128 v[176:179], off, off offset:400
	v_fmac_f64_e32 v[196:197], v[170:171], v[140:141]
	v_fma_f64 v[168:169], v[168:169], v[140:141], -v[142:143]
	scratch_load_b128 v[140:143], off, off offset:416
	s_wait_loadcnt_dscnt 0xc01
	v_mul_f64_e32 v[194:195], v[4:5], v[146:147]
	v_mul_f64_e32 v[146:147], v[6:7], v[146:147]
	v_add_f64_e32 v[170:171], v[202:203], v[200:201]
	v_add_f64_e32 v[192:193], v[192:193], v[198:199]
	s_wait_loadcnt_dscnt 0xb00
	v_mul_f64_e32 v[198:199], v[12:13], v[150:151]
	v_mul_f64_e32 v[150:151], v[14:15], v[150:151]
	v_fmac_f64_e32 v[194:195], v[6:7], v[144:145]
	v_fma_f64 v[200:201], v[4:5], v[144:145], -v[146:147]
	ds_load_b128 v[4:7], v2 offset:1248
	ds_load_b128 v[144:147], v2 offset:1264
	v_add_f64_e32 v[202:203], v[170:171], v[168:169]
	v_add_f64_e32 v[192:193], v[192:193], v[196:197]
	scratch_load_b128 v[168:171], off, off offset:432
	s_wait_loadcnt_dscnt 0xb01
	v_mul_f64_e32 v[196:197], v[4:5], v[154:155]
	v_mul_f64_e32 v[154:155], v[6:7], v[154:155]
	v_fmac_f64_e32 v[198:199], v[14:15], v[148:149]
	v_fma_f64 v[148:149], v[12:13], v[148:149], -v[150:151]
	scratch_load_b128 v[12:15], off, off offset:448
	v_add_f64_e32 v[150:151], v[202:203], v[200:201]
	v_add_f64_e32 v[192:193], v[192:193], v[194:195]
	s_wait_loadcnt_dscnt 0xb00
	v_mul_f64_e32 v[194:195], v[144:145], v[158:159]
	v_mul_f64_e32 v[158:159], v[146:147], v[158:159]
	v_fmac_f64_e32 v[196:197], v[6:7], v[152:153]
	v_fma_f64 v[200:201], v[4:5], v[152:153], -v[154:155]
	v_add_f64_e32 v[202:203], v[150:151], v[148:149]
	v_add_f64_e32 v[192:193], v[192:193], v[198:199]
	ds_load_b128 v[4:7], v2 offset:1280
	ds_load_b128 v[148:151], v2 offset:1296
	scratch_load_b128 v[152:155], off, off offset:464
	v_fmac_f64_e32 v[194:195], v[146:147], v[156:157]
	v_fma_f64 v[156:157], v[144:145], v[156:157], -v[158:159]
	scratch_load_b128 v[144:147], off, off offset:480
	s_wait_loadcnt_dscnt 0xc01
	v_mul_f64_e32 v[198:199], v[4:5], v[162:163]
	v_mul_f64_e32 v[162:163], v[6:7], v[162:163]
	v_add_f64_e32 v[158:159], v[202:203], v[200:201]
	v_add_f64_e32 v[192:193], v[192:193], v[196:197]
	s_wait_loadcnt_dscnt 0xb00
	v_mul_f64_e32 v[196:197], v[148:149], v[166:167]
	v_mul_f64_e32 v[166:167], v[150:151], v[166:167]
	v_fmac_f64_e32 v[198:199], v[6:7], v[160:161]
	v_fma_f64 v[200:201], v[4:5], v[160:161], -v[162:163]
	v_add_f64_e32 v[202:203], v[158:159], v[156:157]
	v_add_f64_e32 v[192:193], v[192:193], v[194:195]
	ds_load_b128 v[4:7], v2 offset:1312
	ds_load_b128 v[156:159], v2 offset:1328
	scratch_load_b128 v[160:163], off, off offset:496
	v_fmac_f64_e32 v[196:197], v[150:151], v[164:165]
	v_fma_f64 v[164:165], v[148:149], v[164:165], -v[166:167]
	scratch_load_b128 v[148:151], off, off offset:512
	s_wait_loadcnt_dscnt 0xc01
	v_mul_f64_e32 v[194:195], v[4:5], v[174:175]
	v_mul_f64_e32 v[174:175], v[6:7], v[174:175]
	;; [unrolled: 18-line block ×5, first 2 shown]
	v_add_f64_e32 v[186:187], v[202:203], v[200:201]
	v_add_f64_e32 v[192:193], v[192:193], v[198:199]
	s_wait_loadcnt_dscnt 0xa00
	v_mul_f64_e32 v[198:199], v[164:165], v[14:15]
	v_mul_f64_e32 v[14:15], v[166:167], v[14:15]
	v_fmac_f64_e32 v[194:195], v[6:7], v[168:169]
	v_fma_f64 v[200:201], v[4:5], v[168:169], -v[170:171]
	ds_load_b128 v[4:7], v2 offset:1440
	ds_load_b128 v[168:171], v2 offset:1456
	v_add_f64_e32 v[202:203], v[186:187], v[184:185]
	v_add_f64_e32 v[192:193], v[192:193], v[196:197]
	scratch_load_b128 v[184:187], off, off offset:624
	v_fmac_f64_e32 v[198:199], v[166:167], v[12:13]
	v_fma_f64 v[164:165], v[164:165], v[12:13], -v[14:15]
	scratch_load_b128 v[12:15], off, off offset:640
	s_wait_loadcnt_dscnt 0xb01
	v_mul_f64_e32 v[196:197], v[4:5], v[154:155]
	v_mul_f64_e32 v[154:155], v[6:7], v[154:155]
	v_add_f64_e32 v[166:167], v[202:203], v[200:201]
	v_add_f64_e32 v[192:193], v[192:193], v[194:195]
	s_wait_loadcnt_dscnt 0xa00
	v_mul_f64_e32 v[194:195], v[168:169], v[146:147]
	v_mul_f64_e32 v[146:147], v[170:171], v[146:147]
	v_fmac_f64_e32 v[196:197], v[6:7], v[152:153]
	v_fma_f64 v[200:201], v[4:5], v[152:153], -v[154:155]
	ds_load_b128 v[4:7], v2 offset:1472
	ds_load_b128 v[152:155], v2 offset:1488
	v_add_f64_e32 v[202:203], v[166:167], v[164:165]
	v_add_f64_e32 v[192:193], v[192:193], v[198:199]
	scratch_load_b128 v[164:167], off, off offset:656
	s_wait_loadcnt_dscnt 0xa01
	v_mul_f64_e32 v[198:199], v[4:5], v[162:163]
	v_mul_f64_e32 v[162:163], v[6:7], v[162:163]
	v_fmac_f64_e32 v[194:195], v[170:171], v[144:145]
	v_fma_f64 v[168:169], v[168:169], v[144:145], -v[146:147]
	scratch_load_b128 v[144:147], off, off offset:672
	v_add_f64_e32 v[170:171], v[202:203], v[200:201]
	v_add_f64_e32 v[192:193], v[192:193], v[196:197]
	s_wait_loadcnt_dscnt 0xa00
	v_mul_f64_e32 v[196:197], v[152:153], v[150:151]
	v_mul_f64_e32 v[150:151], v[154:155], v[150:151]
	v_fmac_f64_e32 v[198:199], v[6:7], v[160:161]
	v_fma_f64 v[200:201], v[4:5], v[160:161], -v[162:163]
	ds_load_b128 v[4:7], v2 offset:1504
	ds_load_b128 v[160:163], v2 offset:1520
	v_add_f64_e32 v[202:203], v[170:171], v[168:169]
	v_add_f64_e32 v[192:193], v[192:193], v[194:195]
	scratch_load_b128 v[168:171], off, off offset:688
	s_wait_loadcnt_dscnt 0xa01
	v_mul_f64_e32 v[194:195], v[4:5], v[174:175]
	v_mul_f64_e32 v[174:175], v[6:7], v[174:175]
	v_fmac_f64_e32 v[196:197], v[154:155], v[148:149]
	v_fma_f64 v[152:153], v[152:153], v[148:149], -v[150:151]
	scratch_load_b128 v[148:151], off, off offset:704
	v_add_f64_e32 v[154:155], v[202:203], v[200:201]
	v_add_f64_e32 v[192:193], v[192:193], v[198:199]
	s_wait_loadcnt_dscnt 0xa00
	v_mul_f64_e32 v[198:199], v[160:161], v[158:159]
	v_mul_f64_e32 v[158:159], v[162:163], v[158:159]
	v_fmac_f64_e32 v[194:195], v[6:7], v[172:173]
	v_fma_f64 v[200:201], v[4:5], v[172:173], -v[174:175]
	v_add_f64_e32 v[202:203], v[154:155], v[152:153]
	v_add_f64_e32 v[192:193], v[192:193], v[196:197]
	ds_load_b128 v[4:7], v2 offset:1536
	ds_load_b128 v[152:155], v2 offset:1552
	scratch_load_b128 v[172:175], off, off offset:720
	v_fmac_f64_e32 v[198:199], v[162:163], v[156:157]
	v_fma_f64 v[160:161], v[160:161], v[156:157], -v[158:159]
	scratch_load_b128 v[156:159], off, off offset:736
	s_wait_loadcnt_dscnt 0xb01
	v_mul_f64_e32 v[196:197], v[4:5], v[190:191]
	v_mul_f64_e32 v[190:191], v[6:7], v[190:191]
	v_add_f64_e32 v[162:163], v[202:203], v[200:201]
	v_add_f64_e32 v[192:193], v[192:193], v[194:195]
	s_wait_loadcnt_dscnt 0xa00
	v_mul_f64_e32 v[194:195], v[152:153], v[10:11]
	v_mul_f64_e32 v[10:11], v[154:155], v[10:11]
	v_fmac_f64_e32 v[196:197], v[6:7], v[188:189]
	v_fma_f64 v[200:201], v[4:5], v[188:189], -v[190:191]
	v_add_f64_e32 v[202:203], v[162:163], v[160:161]
	v_add_f64_e32 v[192:193], v[192:193], v[198:199]
	ds_load_b128 v[4:7], v2 offset:1568
	ds_load_b128 v[160:163], v2 offset:1584
	scratch_load_b128 v[188:191], off, off offset:752
	v_fmac_f64_e32 v[194:195], v[154:155], v[8:9]
	v_fma_f64 v[152:153], v[152:153], v[8:9], -v[10:11]
	scratch_load_b128 v[8:11], off, off offset:768
	s_wait_loadcnt_dscnt 0xb01
	v_mul_f64_e32 v[198:199], v[4:5], v[178:179]
	v_mul_f64_e32 v[178:179], v[6:7], v[178:179]
	;; [unrolled: 18-line block ×8, first 2 shown]
	v_add_f64_e32 v[154:155], v[202:203], v[200:201]
	v_add_f64_e32 v[192:193], v[192:193], v[196:197]
	s_wait_loadcnt_dscnt 0xa00
	v_mul_f64_e32 v[196:197], v[160:161], v[142:143]
	v_mul_f64_e32 v[142:143], v[162:163], v[142:143]
	v_fmac_f64_e32 v[198:199], v[6:7], v[176:177]
	v_fma_f64 v[176:177], v[4:5], v[176:177], -v[178:179]
	v_add_f64_e32 v[178:179], v[154:155], v[152:153]
	v_add_f64_e32 v[192:193], v[192:193], v[194:195]
	ds_load_b128 v[4:7], v2 offset:1792
	ds_load_b128 v[152:155], v2 offset:1808
	v_fmac_f64_e32 v[196:197], v[162:163], v[140:141]
	v_fma_f64 v[140:141], v[160:161], v[140:141], -v[142:143]
	s_wait_loadcnt_dscnt 0x901
	v_mul_f64_e32 v[194:195], v[4:5], v[186:187]
	v_mul_f64_e32 v[186:187], v[6:7], v[186:187]
	s_wait_loadcnt_dscnt 0x800
	v_mul_f64_e32 v[162:163], v[152:153], v[14:15]
	v_mul_f64_e32 v[14:15], v[154:155], v[14:15]
	v_add_f64_e32 v[142:143], v[178:179], v[176:177]
	v_add_f64_e32 v[160:161], v[192:193], v[198:199]
	v_fmac_f64_e32 v[194:195], v[6:7], v[184:185]
	v_fma_f64 v[176:177], v[4:5], v[184:185], -v[186:187]
	v_fmac_f64_e32 v[162:163], v[154:155], v[12:13]
	v_fma_f64 v[12:13], v[152:153], v[12:13], -v[14:15]
	v_add_f64_e32 v[178:179], v[142:143], v[140:141]
	v_add_f64_e32 v[160:161], v[160:161], v[196:197]
	ds_load_b128 v[4:7], v2 offset:1824
	ds_load_b128 v[140:143], v2 offset:1840
	s_wait_loadcnt_dscnt 0x701
	v_mul_f64_e32 v[184:185], v[4:5], v[166:167]
	v_mul_f64_e32 v[166:167], v[6:7], v[166:167]
	s_wait_loadcnt_dscnt 0x600
	v_mul_f64_e32 v[154:155], v[140:141], v[146:147]
	v_mul_f64_e32 v[146:147], v[142:143], v[146:147]
	v_add_f64_e32 v[14:15], v[178:179], v[176:177]
	v_add_f64_e32 v[152:153], v[160:161], v[194:195]
	v_fmac_f64_e32 v[184:185], v[6:7], v[164:165]
	v_fma_f64 v[160:161], v[4:5], v[164:165], -v[166:167]
	v_fmac_f64_e32 v[154:155], v[142:143], v[144:145]
	v_fma_f64 v[140:141], v[140:141], v[144:145], -v[146:147]
	v_add_f64_e32 v[164:165], v[14:15], v[12:13]
	v_add_f64_e32 v[152:153], v[152:153], v[162:163]
	ds_load_b128 v[4:7], v2 offset:1856
	ds_load_b128 v[12:15], v2 offset:1872
	;; [unrolled: 16-line block ×4, first 2 shown]
	s_wait_loadcnt_dscnt 0x101
	v_mul_f64_e32 v[2:3], v[4:5], v[190:191]
	v_mul_f64_e32 v[146:147], v[6:7], v[190:191]
	s_wait_loadcnt_dscnt 0x0
	v_mul_f64_e32 v[150:151], v[12:13], v[10:11]
	v_mul_f64_e32 v[10:11], v[14:15], v[10:11]
	v_add_f64_e32 v[142:143], v[158:159], v[152:153]
	v_add_f64_e32 v[144:145], v[144:145], v[154:155]
	v_fmac_f64_e32 v[2:3], v[6:7], v[188:189]
	v_fma_f64 v[4:5], v[4:5], v[188:189], -v[146:147]
	v_fmac_f64_e32 v[150:151], v[14:15], v[8:9]
	v_fma_f64 v[8:9], v[12:13], v[8:9], -v[10:11]
	v_add_f64_e32 v[6:7], v[142:143], v[140:141]
	v_add_f64_e32 v[140:141], v[144:145], v[148:149]
	s_delay_alu instid0(VALU_DEP_2) | instskip(NEXT) | instid1(VALU_DEP_2)
	v_add_f64_e32 v[4:5], v[6:7], v[4:5]
	v_add_f64_e32 v[2:3], v[140:141], v[2:3]
	s_delay_alu instid0(VALU_DEP_2) | instskip(NEXT) | instid1(VALU_DEP_2)
	;; [unrolled: 3-line block ×3, first 2 shown]
	v_add_f64_e64 v[2:3], v[180:181], -v[4:5]
	v_add_f64_e64 v[4:5], v[182:183], -v[6:7]
	scratch_store_b128 off, v[2:5], off offset:160
	s_wait_xcnt 0x0
	v_cmpx_lt_u32_e32 9, v1
	s_cbranch_execz .LBB124_373
; %bb.372:
	scratch_load_b128 v[2:5], off, s70
	v_mov_b32_e32 v6, 0
	s_delay_alu instid0(VALU_DEP_1)
	v_dual_mov_b32 v7, v6 :: v_dual_mov_b32 v8, v6
	v_mov_b32_e32 v9, v6
	scratch_store_b128 off, v[6:9], off offset:144
	s_wait_loadcnt 0x0
	ds_store_b128 v138, v[2:5]
.LBB124_373:
	s_wait_xcnt 0x0
	s_or_b32 exec_lo, exec_lo, s2
	s_wait_storecnt_dscnt 0x0
	s_barrier_signal -1
	s_barrier_wait -1
	s_clause 0x9
	scratch_load_b128 v[4:7], off, off offset:160
	scratch_load_b128 v[8:11], off, off offset:176
	;; [unrolled: 1-line block ×10, first 2 shown]
	v_mov_b32_e32 v2, 0
	s_mov_b32 s2, exec_lo
	ds_load_b128 v[168:171], v2 offset:1136
	s_clause 0x2
	scratch_load_b128 v[172:175], off, off offset:320
	scratch_load_b128 v[176:179], off, off offset:144
	scratch_load_b128 v[184:187], off, off offset:336
	s_wait_loadcnt_dscnt 0xc00
	v_mul_f64_e32 v[188:189], v[170:171], v[6:7]
	v_mul_f64_e32 v[192:193], v[168:169], v[6:7]
	ds_load_b128 v[180:183], v2 offset:1152
	v_fma_f64 v[196:197], v[168:169], v[4:5], -v[188:189]
	v_fmac_f64_e32 v[192:193], v[170:171], v[4:5]
	ds_load_b128 v[4:7], v2 offset:1168
	s_wait_loadcnt_dscnt 0xb01
	v_mul_f64_e32 v[194:195], v[180:181], v[10:11]
	v_mul_f64_e32 v[10:11], v[182:183], v[10:11]
	scratch_load_b128 v[168:171], off, off offset:352
	ds_load_b128 v[188:191], v2 offset:1184
	s_wait_loadcnt_dscnt 0xb01
	v_mul_f64_e32 v[198:199], v[4:5], v[14:15]
	v_mul_f64_e32 v[14:15], v[6:7], v[14:15]
	v_add_f64_e32 v[192:193], 0, v[192:193]
	v_fmac_f64_e32 v[194:195], v[182:183], v[8:9]
	v_fma_f64 v[180:181], v[180:181], v[8:9], -v[10:11]
	v_add_f64_e32 v[182:183], 0, v[196:197]
	scratch_load_b128 v[8:11], off, off offset:368
	v_fmac_f64_e32 v[198:199], v[6:7], v[12:13]
	v_fma_f64 v[200:201], v[4:5], v[12:13], -v[14:15]
	ds_load_b128 v[4:7], v2 offset:1200
	s_wait_loadcnt_dscnt 0xb01
	v_mul_f64_e32 v[196:197], v[188:189], v[142:143]
	v_mul_f64_e32 v[142:143], v[190:191], v[142:143]
	scratch_load_b128 v[12:15], off, off offset:384
	v_add_f64_e32 v[192:193], v[192:193], v[194:195]
	v_add_f64_e32 v[202:203], v[182:183], v[180:181]
	ds_load_b128 v[180:183], v2 offset:1216
	s_wait_loadcnt_dscnt 0xb01
	v_mul_f64_e32 v[194:195], v[4:5], v[146:147]
	v_mul_f64_e32 v[146:147], v[6:7], v[146:147]
	v_fmac_f64_e32 v[196:197], v[190:191], v[140:141]
	v_fma_f64 v[188:189], v[188:189], v[140:141], -v[142:143]
	scratch_load_b128 v[140:143], off, off offset:400
	v_add_f64_e32 v[192:193], v[192:193], v[198:199]
	v_add_f64_e32 v[190:191], v[202:203], v[200:201]
	v_fmac_f64_e32 v[194:195], v[6:7], v[144:145]
	v_fma_f64 v[200:201], v[4:5], v[144:145], -v[146:147]
	ds_load_b128 v[4:7], v2 offset:1232
	s_wait_loadcnt_dscnt 0xb01
	v_mul_f64_e32 v[198:199], v[180:181], v[150:151]
	v_mul_f64_e32 v[150:151], v[182:183], v[150:151]
	scratch_load_b128 v[144:147], off, off offset:416
	v_add_f64_e32 v[192:193], v[192:193], v[196:197]
	s_wait_loadcnt_dscnt 0xb00
	v_mul_f64_e32 v[196:197], v[4:5], v[154:155]
	v_add_f64_e32 v[202:203], v[190:191], v[188:189]
	v_mul_f64_e32 v[154:155], v[6:7], v[154:155]
	ds_load_b128 v[188:191], v2 offset:1248
	v_fmac_f64_e32 v[198:199], v[182:183], v[148:149]
	v_fma_f64 v[180:181], v[180:181], v[148:149], -v[150:151]
	scratch_load_b128 v[148:151], off, off offset:432
	v_add_f64_e32 v[192:193], v[192:193], v[194:195]
	v_fmac_f64_e32 v[196:197], v[6:7], v[152:153]
	v_add_f64_e32 v[182:183], v[202:203], v[200:201]
	v_fma_f64 v[200:201], v[4:5], v[152:153], -v[154:155]
	ds_load_b128 v[4:7], v2 offset:1264
	s_wait_loadcnt_dscnt 0xb01
	v_mul_f64_e32 v[194:195], v[188:189], v[158:159]
	v_mul_f64_e32 v[158:159], v[190:191], v[158:159]
	scratch_load_b128 v[152:155], off, off offset:448
	v_add_f64_e32 v[192:193], v[192:193], v[198:199]
	s_wait_loadcnt_dscnt 0xb00
	v_mul_f64_e32 v[198:199], v[4:5], v[162:163]
	v_add_f64_e32 v[202:203], v[182:183], v[180:181]
	v_mul_f64_e32 v[162:163], v[6:7], v[162:163]
	ds_load_b128 v[180:183], v2 offset:1280
	v_fmac_f64_e32 v[194:195], v[190:191], v[156:157]
	v_fma_f64 v[188:189], v[188:189], v[156:157], -v[158:159]
	scratch_load_b128 v[156:159], off, off offset:464
	v_add_f64_e32 v[192:193], v[192:193], v[196:197]
	v_fmac_f64_e32 v[198:199], v[6:7], v[160:161]
	v_add_f64_e32 v[190:191], v[202:203], v[200:201]
	;; [unrolled: 18-line block ×3, first 2 shown]
	v_fma_f64 v[200:201], v[4:5], v[172:173], -v[174:175]
	ds_load_b128 v[4:7], v2 offset:1328
	s_wait_loadcnt_dscnt 0xa01
	v_mul_f64_e32 v[198:199], v[188:189], v[186:187]
	v_mul_f64_e32 v[186:187], v[190:191], v[186:187]
	scratch_load_b128 v[172:175], off, off offset:512
	v_add_f64_e32 v[192:193], v[192:193], v[196:197]
	v_add_f64_e32 v[202:203], v[182:183], v[180:181]
	s_wait_loadcnt_dscnt 0xa00
	v_mul_f64_e32 v[196:197], v[4:5], v[170:171]
	v_mul_f64_e32 v[170:171], v[6:7], v[170:171]
	v_fmac_f64_e32 v[198:199], v[190:191], v[184:185]
	v_fma_f64 v[188:189], v[188:189], v[184:185], -v[186:187]
	ds_load_b128 v[180:183], v2 offset:1344
	scratch_load_b128 v[184:187], off, off offset:528
	v_add_f64_e32 v[192:193], v[192:193], v[194:195]
	v_add_f64_e32 v[190:191], v[202:203], v[200:201]
	v_fmac_f64_e32 v[196:197], v[6:7], v[168:169]
	v_fma_f64 v[200:201], v[4:5], v[168:169], -v[170:171]
	ds_load_b128 v[4:7], v2 offset:1360
	s_wait_loadcnt_dscnt 0xa01
	v_mul_f64_e32 v[194:195], v[180:181], v[10:11]
	v_mul_f64_e32 v[10:11], v[182:183], v[10:11]
	scratch_load_b128 v[168:171], off, off offset:544
	v_add_f64_e32 v[192:193], v[192:193], v[198:199]
	s_wait_loadcnt_dscnt 0xa00
	v_mul_f64_e32 v[198:199], v[4:5], v[14:15]
	v_add_f64_e32 v[202:203], v[190:191], v[188:189]
	v_mul_f64_e32 v[14:15], v[6:7], v[14:15]
	ds_load_b128 v[188:191], v2 offset:1376
	v_fmac_f64_e32 v[194:195], v[182:183], v[8:9]
	v_fma_f64 v[180:181], v[180:181], v[8:9], -v[10:11]
	scratch_load_b128 v[8:11], off, off offset:560
	v_add_f64_e32 v[192:193], v[192:193], v[196:197]
	v_fmac_f64_e32 v[198:199], v[6:7], v[12:13]
	v_add_f64_e32 v[182:183], v[202:203], v[200:201]
	v_fma_f64 v[200:201], v[4:5], v[12:13], -v[14:15]
	ds_load_b128 v[4:7], v2 offset:1392
	s_wait_loadcnt_dscnt 0xa01
	v_mul_f64_e32 v[196:197], v[188:189], v[142:143]
	v_mul_f64_e32 v[142:143], v[190:191], v[142:143]
	scratch_load_b128 v[12:15], off, off offset:576
	v_add_f64_e32 v[192:193], v[192:193], v[194:195]
	s_wait_loadcnt_dscnt 0xa00
	v_mul_f64_e32 v[194:195], v[4:5], v[146:147]
	v_add_f64_e32 v[202:203], v[182:183], v[180:181]
	v_mul_f64_e32 v[146:147], v[6:7], v[146:147]
	ds_load_b128 v[180:183], v2 offset:1408
	v_fmac_f64_e32 v[196:197], v[190:191], v[140:141]
	v_fma_f64 v[188:189], v[188:189], v[140:141], -v[142:143]
	scratch_load_b128 v[140:143], off, off offset:592
	v_add_f64_e32 v[192:193], v[192:193], v[198:199]
	v_fmac_f64_e32 v[194:195], v[6:7], v[144:145]
	v_add_f64_e32 v[190:191], v[202:203], v[200:201]
	;; [unrolled: 18-line block ×13, first 2 shown]
	v_fma_f64 v[200:201], v[4:5], v[12:13], -v[14:15]
	ds_load_b128 v[4:7], v2 offset:1776
	s_wait_loadcnt_dscnt 0xa01
	v_mul_f64_e32 v[196:197], v[188:189], v[142:143]
	v_mul_f64_e32 v[142:143], v[190:191], v[142:143]
	scratch_load_b128 v[12:15], off, off offset:960
	v_add_f64_e32 v[192:193], v[192:193], v[194:195]
	s_wait_loadcnt_dscnt 0xa00
	v_mul_f64_e32 v[194:195], v[4:5], v[146:147]
	v_add_f64_e32 v[202:203], v[182:183], v[180:181]
	v_mul_f64_e32 v[146:147], v[6:7], v[146:147]
	ds_load_b128 v[180:183], v2 offset:1792
	v_fmac_f64_e32 v[196:197], v[190:191], v[140:141]
	v_fma_f64 v[140:141], v[188:189], v[140:141], -v[142:143]
	s_wait_loadcnt_dscnt 0x900
	v_mul_f64_e32 v[190:191], v[180:181], v[150:151]
	v_mul_f64_e32 v[150:151], v[182:183], v[150:151]
	v_add_f64_e32 v[188:189], v[192:193], v[198:199]
	v_fmac_f64_e32 v[194:195], v[6:7], v[144:145]
	v_add_f64_e32 v[142:143], v[202:203], v[200:201]
	v_fma_f64 v[144:145], v[4:5], v[144:145], -v[146:147]
	v_fmac_f64_e32 v[190:191], v[182:183], v[148:149]
	v_fma_f64 v[148:149], v[180:181], v[148:149], -v[150:151]
	v_add_f64_e32 v[188:189], v[188:189], v[196:197]
	v_add_f64_e32 v[146:147], v[142:143], v[140:141]
	ds_load_b128 v[4:7], v2 offset:1808
	ds_load_b128 v[140:143], v2 offset:1824
	s_wait_loadcnt_dscnt 0x801
	v_mul_f64_e32 v[192:193], v[4:5], v[154:155]
	v_mul_f64_e32 v[154:155], v[6:7], v[154:155]
	s_wait_loadcnt_dscnt 0x700
	v_mul_f64_e32 v[150:151], v[140:141], v[158:159]
	v_mul_f64_e32 v[158:159], v[142:143], v[158:159]
	v_add_f64_e32 v[144:145], v[146:147], v[144:145]
	v_add_f64_e32 v[146:147], v[188:189], v[194:195]
	v_fmac_f64_e32 v[192:193], v[6:7], v[152:153]
	v_fma_f64 v[152:153], v[4:5], v[152:153], -v[154:155]
	v_fmac_f64_e32 v[150:151], v[142:143], v[156:157]
	v_fma_f64 v[140:141], v[140:141], v[156:157], -v[158:159]
	v_add_f64_e32 v[148:149], v[144:145], v[148:149]
	v_add_f64_e32 v[154:155], v[146:147], v[190:191]
	ds_load_b128 v[4:7], v2 offset:1840
	ds_load_b128 v[144:147], v2 offset:1856
	s_wait_loadcnt_dscnt 0x601
	v_mul_f64_e32 v[180:181], v[4:5], v[162:163]
	v_mul_f64_e32 v[162:163], v[6:7], v[162:163]
	v_add_f64_e32 v[142:143], v[148:149], v[152:153]
	v_add_f64_e32 v[148:149], v[154:155], v[192:193]
	s_wait_loadcnt_dscnt 0x500
	v_mul_f64_e32 v[152:153], v[144:145], v[166:167]
	v_mul_f64_e32 v[154:155], v[146:147], v[166:167]
	v_fmac_f64_e32 v[180:181], v[6:7], v[160:161]
	v_fma_f64 v[156:157], v[4:5], v[160:161], -v[162:163]
	v_add_f64_e32 v[158:159], v[142:143], v[140:141]
	v_add_f64_e32 v[148:149], v[148:149], v[150:151]
	ds_load_b128 v[4:7], v2 offset:1872
	ds_load_b128 v[140:143], v2 offset:1888
	v_fmac_f64_e32 v[152:153], v[146:147], v[164:165]
	v_fma_f64 v[144:145], v[144:145], v[164:165], -v[154:155]
	s_wait_loadcnt_dscnt 0x401
	v_mul_f64_e32 v[150:151], v[4:5], v[174:175]
	v_mul_f64_e32 v[160:161], v[6:7], v[174:175]
	s_wait_loadcnt_dscnt 0x300
	v_mul_f64_e32 v[154:155], v[140:141], v[186:187]
	v_add_f64_e32 v[146:147], v[158:159], v[156:157]
	v_add_f64_e32 v[148:149], v[148:149], v[180:181]
	v_mul_f64_e32 v[156:157], v[142:143], v[186:187]
	v_fmac_f64_e32 v[150:151], v[6:7], v[172:173]
	v_fma_f64 v[158:159], v[4:5], v[172:173], -v[160:161]
	v_fmac_f64_e32 v[154:155], v[142:143], v[184:185]
	v_add_f64_e32 v[160:161], v[146:147], v[144:145]
	v_add_f64_e32 v[148:149], v[148:149], v[152:153]
	ds_load_b128 v[4:7], v2 offset:1904
	ds_load_b128 v[144:147], v2 offset:1920
	v_fma_f64 v[140:141], v[140:141], v[184:185], -v[156:157]
	s_wait_loadcnt_dscnt 0x201
	v_mul_f64_e32 v[152:153], v[4:5], v[170:171]
	v_mul_f64_e32 v[162:163], v[6:7], v[170:171]
	v_add_f64_e32 v[142:143], v[160:161], v[158:159]
	v_add_f64_e32 v[148:149], v[148:149], v[150:151]
	s_wait_loadcnt_dscnt 0x100
	v_mul_f64_e32 v[150:151], v[144:145], v[10:11]
	v_mul_f64_e32 v[10:11], v[146:147], v[10:11]
	v_fmac_f64_e32 v[152:153], v[6:7], v[168:169]
	v_fma_f64 v[156:157], v[4:5], v[168:169], -v[162:163]
	ds_load_b128 v[4:7], v2 offset:1936
	v_add_f64_e32 v[140:141], v[142:143], v[140:141]
	v_add_f64_e32 v[142:143], v[148:149], v[154:155]
	v_fmac_f64_e32 v[150:151], v[146:147], v[8:9]
	v_fma_f64 v[8:9], v[144:145], v[8:9], -v[10:11]
	s_wait_loadcnt_dscnt 0x0
	v_mul_f64_e32 v[148:149], v[4:5], v[14:15]
	v_mul_f64_e32 v[14:15], v[6:7], v[14:15]
	v_add_f64_e32 v[10:11], v[140:141], v[156:157]
	v_add_f64_e32 v[140:141], v[142:143], v[152:153]
	s_delay_alu instid0(VALU_DEP_4) | instskip(NEXT) | instid1(VALU_DEP_4)
	v_fmac_f64_e32 v[148:149], v[6:7], v[12:13]
	v_fma_f64 v[4:5], v[4:5], v[12:13], -v[14:15]
	s_delay_alu instid0(VALU_DEP_4) | instskip(NEXT) | instid1(VALU_DEP_4)
	v_add_f64_e32 v[6:7], v[10:11], v[8:9]
	v_add_f64_e32 v[8:9], v[140:141], v[150:151]
	s_delay_alu instid0(VALU_DEP_2) | instskip(NEXT) | instid1(VALU_DEP_2)
	v_add_f64_e32 v[4:5], v[6:7], v[4:5]
	v_add_f64_e32 v[6:7], v[8:9], v[148:149]
	s_delay_alu instid0(VALU_DEP_2) | instskip(NEXT) | instid1(VALU_DEP_2)
	v_add_f64_e64 v[4:5], v[176:177], -v[4:5]
	v_add_f64_e64 v[6:7], v[178:179], -v[6:7]
	scratch_store_b128 off, v[4:7], off offset:144
	s_wait_xcnt 0x0
	v_cmpx_lt_u32_e32 8, v1
	s_cbranch_execz .LBB124_375
; %bb.374:
	scratch_load_b128 v[6:9], off, s71
	v_dual_mov_b32 v3, v2 :: v_dual_mov_b32 v4, v2
	v_mov_b32_e32 v5, v2
	scratch_store_b128 off, v[2:5], off offset:128
	s_wait_loadcnt 0x0
	ds_store_b128 v138, v[6:9]
.LBB124_375:
	s_wait_xcnt 0x0
	s_or_b32 exec_lo, exec_lo, s2
	s_wait_storecnt_dscnt 0x0
	s_barrier_signal -1
	s_barrier_wait -1
	s_clause 0x9
	scratch_load_b128 v[4:7], off, off offset:144
	scratch_load_b128 v[8:11], off, off offset:160
	scratch_load_b128 v[12:15], off, off offset:176
	scratch_load_b128 v[140:143], off, off offset:192
	scratch_load_b128 v[144:147], off, off offset:208
	scratch_load_b128 v[148:151], off, off offset:224
	scratch_load_b128 v[152:155], off, off offset:240
	scratch_load_b128 v[156:159], off, off offset:256
	scratch_load_b128 v[160:163], off, off offset:272
	scratch_load_b128 v[164:167], off, off offset:288
	ds_load_b128 v[168:171], v2 offset:1120
	ds_load_b128 v[176:179], v2 offset:1136
	s_clause 0x2
	scratch_load_b128 v[172:175], off, off offset:304
	scratch_load_b128 v[180:183], off, off offset:128
	;; [unrolled: 1-line block ×3, first 2 shown]
	s_mov_b32 s2, exec_lo
	s_wait_loadcnt_dscnt 0xc01
	v_mul_f64_e32 v[188:189], v[170:171], v[6:7]
	v_mul_f64_e32 v[192:193], v[168:169], v[6:7]
	s_wait_loadcnt_dscnt 0xb00
	v_mul_f64_e32 v[194:195], v[176:177], v[10:11]
	v_mul_f64_e32 v[10:11], v[178:179], v[10:11]
	s_delay_alu instid0(VALU_DEP_4) | instskip(NEXT) | instid1(VALU_DEP_4)
	v_fma_f64 v[196:197], v[168:169], v[4:5], -v[188:189]
	v_fmac_f64_e32 v[192:193], v[170:171], v[4:5]
	ds_load_b128 v[4:7], v2 offset:1152
	ds_load_b128 v[168:171], v2 offset:1168
	scratch_load_b128 v[188:191], off, off offset:336
	v_fmac_f64_e32 v[194:195], v[178:179], v[8:9]
	v_fma_f64 v[176:177], v[176:177], v[8:9], -v[10:11]
	scratch_load_b128 v[8:11], off, off offset:352
	s_wait_loadcnt_dscnt 0xc01
	v_mul_f64_e32 v[198:199], v[4:5], v[14:15]
	v_mul_f64_e32 v[14:15], v[6:7], v[14:15]
	v_add_f64_e32 v[178:179], 0, v[196:197]
	v_add_f64_e32 v[192:193], 0, v[192:193]
	s_wait_loadcnt_dscnt 0xb00
	v_mul_f64_e32 v[196:197], v[168:169], v[142:143]
	v_mul_f64_e32 v[142:143], v[170:171], v[142:143]
	v_fmac_f64_e32 v[198:199], v[6:7], v[12:13]
	v_fma_f64 v[200:201], v[4:5], v[12:13], -v[14:15]
	ds_load_b128 v[4:7], v2 offset:1184
	ds_load_b128 v[12:15], v2 offset:1200
	v_add_f64_e32 v[202:203], v[178:179], v[176:177]
	v_add_f64_e32 v[192:193], v[192:193], v[194:195]
	scratch_load_b128 v[176:179], off, off offset:368
	v_fmac_f64_e32 v[196:197], v[170:171], v[140:141]
	v_fma_f64 v[168:169], v[168:169], v[140:141], -v[142:143]
	scratch_load_b128 v[140:143], off, off offset:384
	s_wait_loadcnt_dscnt 0xc01
	v_mul_f64_e32 v[194:195], v[4:5], v[146:147]
	v_mul_f64_e32 v[146:147], v[6:7], v[146:147]
	v_add_f64_e32 v[170:171], v[202:203], v[200:201]
	v_add_f64_e32 v[192:193], v[192:193], v[198:199]
	s_wait_loadcnt_dscnt 0xb00
	v_mul_f64_e32 v[198:199], v[12:13], v[150:151]
	v_mul_f64_e32 v[150:151], v[14:15], v[150:151]
	v_fmac_f64_e32 v[194:195], v[6:7], v[144:145]
	v_fma_f64 v[200:201], v[4:5], v[144:145], -v[146:147]
	ds_load_b128 v[4:7], v2 offset:1216
	ds_load_b128 v[144:147], v2 offset:1232
	v_add_f64_e32 v[202:203], v[170:171], v[168:169]
	v_add_f64_e32 v[192:193], v[192:193], v[196:197]
	scratch_load_b128 v[168:171], off, off offset:400
	s_wait_loadcnt_dscnt 0xb01
	v_mul_f64_e32 v[196:197], v[4:5], v[154:155]
	v_mul_f64_e32 v[154:155], v[6:7], v[154:155]
	v_fmac_f64_e32 v[198:199], v[14:15], v[148:149]
	v_fma_f64 v[148:149], v[12:13], v[148:149], -v[150:151]
	scratch_load_b128 v[12:15], off, off offset:416
	v_add_f64_e32 v[150:151], v[202:203], v[200:201]
	v_add_f64_e32 v[192:193], v[192:193], v[194:195]
	s_wait_loadcnt_dscnt 0xb00
	v_mul_f64_e32 v[194:195], v[144:145], v[158:159]
	v_mul_f64_e32 v[158:159], v[146:147], v[158:159]
	v_fmac_f64_e32 v[196:197], v[6:7], v[152:153]
	v_fma_f64 v[200:201], v[4:5], v[152:153], -v[154:155]
	v_add_f64_e32 v[202:203], v[150:151], v[148:149]
	v_add_f64_e32 v[192:193], v[192:193], v[198:199]
	ds_load_b128 v[4:7], v2 offset:1248
	ds_load_b128 v[148:151], v2 offset:1264
	scratch_load_b128 v[152:155], off, off offset:432
	v_fmac_f64_e32 v[194:195], v[146:147], v[156:157]
	v_fma_f64 v[156:157], v[144:145], v[156:157], -v[158:159]
	scratch_load_b128 v[144:147], off, off offset:448
	s_wait_loadcnt_dscnt 0xc01
	v_mul_f64_e32 v[198:199], v[4:5], v[162:163]
	v_mul_f64_e32 v[162:163], v[6:7], v[162:163]
	v_add_f64_e32 v[158:159], v[202:203], v[200:201]
	v_add_f64_e32 v[192:193], v[192:193], v[196:197]
	s_wait_loadcnt_dscnt 0xb00
	v_mul_f64_e32 v[196:197], v[148:149], v[166:167]
	v_mul_f64_e32 v[166:167], v[150:151], v[166:167]
	v_fmac_f64_e32 v[198:199], v[6:7], v[160:161]
	v_fma_f64 v[200:201], v[4:5], v[160:161], -v[162:163]
	v_add_f64_e32 v[202:203], v[158:159], v[156:157]
	v_add_f64_e32 v[192:193], v[192:193], v[194:195]
	ds_load_b128 v[4:7], v2 offset:1280
	ds_load_b128 v[156:159], v2 offset:1296
	scratch_load_b128 v[160:163], off, off offset:464
	v_fmac_f64_e32 v[196:197], v[150:151], v[164:165]
	v_fma_f64 v[164:165], v[148:149], v[164:165], -v[166:167]
	scratch_load_b128 v[148:151], off, off offset:480
	s_wait_loadcnt_dscnt 0xc01
	v_mul_f64_e32 v[194:195], v[4:5], v[174:175]
	v_mul_f64_e32 v[174:175], v[6:7], v[174:175]
	;; [unrolled: 18-line block ×5, first 2 shown]
	v_add_f64_e32 v[186:187], v[202:203], v[200:201]
	v_add_f64_e32 v[192:193], v[192:193], v[198:199]
	s_wait_loadcnt_dscnt 0xa00
	v_mul_f64_e32 v[198:199], v[164:165], v[14:15]
	v_mul_f64_e32 v[14:15], v[166:167], v[14:15]
	v_fmac_f64_e32 v[194:195], v[6:7], v[168:169]
	v_fma_f64 v[200:201], v[4:5], v[168:169], -v[170:171]
	ds_load_b128 v[4:7], v2 offset:1408
	ds_load_b128 v[168:171], v2 offset:1424
	v_add_f64_e32 v[202:203], v[186:187], v[184:185]
	v_add_f64_e32 v[192:193], v[192:193], v[196:197]
	scratch_load_b128 v[184:187], off, off offset:592
	v_fmac_f64_e32 v[198:199], v[166:167], v[12:13]
	v_fma_f64 v[164:165], v[164:165], v[12:13], -v[14:15]
	scratch_load_b128 v[12:15], off, off offset:608
	s_wait_loadcnt_dscnt 0xb01
	v_mul_f64_e32 v[196:197], v[4:5], v[154:155]
	v_mul_f64_e32 v[154:155], v[6:7], v[154:155]
	v_add_f64_e32 v[166:167], v[202:203], v[200:201]
	v_add_f64_e32 v[192:193], v[192:193], v[194:195]
	s_wait_loadcnt_dscnt 0xa00
	v_mul_f64_e32 v[194:195], v[168:169], v[146:147]
	v_mul_f64_e32 v[146:147], v[170:171], v[146:147]
	v_fmac_f64_e32 v[196:197], v[6:7], v[152:153]
	v_fma_f64 v[200:201], v[4:5], v[152:153], -v[154:155]
	ds_load_b128 v[4:7], v2 offset:1440
	ds_load_b128 v[152:155], v2 offset:1456
	v_add_f64_e32 v[202:203], v[166:167], v[164:165]
	v_add_f64_e32 v[192:193], v[192:193], v[198:199]
	scratch_load_b128 v[164:167], off, off offset:624
	s_wait_loadcnt_dscnt 0xa01
	v_mul_f64_e32 v[198:199], v[4:5], v[162:163]
	v_mul_f64_e32 v[162:163], v[6:7], v[162:163]
	v_fmac_f64_e32 v[194:195], v[170:171], v[144:145]
	v_fma_f64 v[168:169], v[168:169], v[144:145], -v[146:147]
	scratch_load_b128 v[144:147], off, off offset:640
	v_add_f64_e32 v[170:171], v[202:203], v[200:201]
	v_add_f64_e32 v[192:193], v[192:193], v[196:197]
	s_wait_loadcnt_dscnt 0xa00
	v_mul_f64_e32 v[196:197], v[152:153], v[150:151]
	v_mul_f64_e32 v[150:151], v[154:155], v[150:151]
	v_fmac_f64_e32 v[198:199], v[6:7], v[160:161]
	v_fma_f64 v[200:201], v[4:5], v[160:161], -v[162:163]
	ds_load_b128 v[4:7], v2 offset:1472
	ds_load_b128 v[160:163], v2 offset:1488
	v_add_f64_e32 v[202:203], v[170:171], v[168:169]
	v_add_f64_e32 v[192:193], v[192:193], v[194:195]
	scratch_load_b128 v[168:171], off, off offset:656
	s_wait_loadcnt_dscnt 0xa01
	v_mul_f64_e32 v[194:195], v[4:5], v[174:175]
	v_mul_f64_e32 v[174:175], v[6:7], v[174:175]
	v_fmac_f64_e32 v[196:197], v[154:155], v[148:149]
	v_fma_f64 v[152:153], v[152:153], v[148:149], -v[150:151]
	scratch_load_b128 v[148:151], off, off offset:672
	v_add_f64_e32 v[154:155], v[202:203], v[200:201]
	v_add_f64_e32 v[192:193], v[192:193], v[198:199]
	s_wait_loadcnt_dscnt 0xa00
	v_mul_f64_e32 v[198:199], v[160:161], v[158:159]
	v_mul_f64_e32 v[158:159], v[162:163], v[158:159]
	v_fmac_f64_e32 v[194:195], v[6:7], v[172:173]
	v_fma_f64 v[200:201], v[4:5], v[172:173], -v[174:175]
	v_add_f64_e32 v[202:203], v[154:155], v[152:153]
	v_add_f64_e32 v[192:193], v[192:193], v[196:197]
	ds_load_b128 v[4:7], v2 offset:1504
	ds_load_b128 v[152:155], v2 offset:1520
	scratch_load_b128 v[172:175], off, off offset:688
	v_fmac_f64_e32 v[198:199], v[162:163], v[156:157]
	v_fma_f64 v[160:161], v[160:161], v[156:157], -v[158:159]
	scratch_load_b128 v[156:159], off, off offset:704
	s_wait_loadcnt_dscnt 0xb01
	v_mul_f64_e32 v[196:197], v[4:5], v[190:191]
	v_mul_f64_e32 v[190:191], v[6:7], v[190:191]
	v_add_f64_e32 v[162:163], v[202:203], v[200:201]
	v_add_f64_e32 v[192:193], v[192:193], v[194:195]
	s_wait_loadcnt_dscnt 0xa00
	v_mul_f64_e32 v[194:195], v[152:153], v[10:11]
	v_mul_f64_e32 v[10:11], v[154:155], v[10:11]
	v_fmac_f64_e32 v[196:197], v[6:7], v[188:189]
	v_fma_f64 v[200:201], v[4:5], v[188:189], -v[190:191]
	v_add_f64_e32 v[202:203], v[162:163], v[160:161]
	v_add_f64_e32 v[192:193], v[192:193], v[198:199]
	ds_load_b128 v[4:7], v2 offset:1536
	ds_load_b128 v[160:163], v2 offset:1552
	scratch_load_b128 v[188:191], off, off offset:720
	v_fmac_f64_e32 v[194:195], v[154:155], v[8:9]
	v_fma_f64 v[152:153], v[152:153], v[8:9], -v[10:11]
	scratch_load_b128 v[8:11], off, off offset:736
	s_wait_loadcnt_dscnt 0xb01
	v_mul_f64_e32 v[198:199], v[4:5], v[178:179]
	v_mul_f64_e32 v[178:179], v[6:7], v[178:179]
	v_add_f64_e32 v[154:155], v[202:203], v[200:201]
	v_add_f64_e32 v[192:193], v[192:193], v[196:197]
	s_wait_loadcnt_dscnt 0xa00
	v_mul_f64_e32 v[196:197], v[160:161], v[142:143]
	v_mul_f64_e32 v[142:143], v[162:163], v[142:143]
	v_fmac_f64_e32 v[198:199], v[6:7], v[176:177]
	v_fma_f64 v[200:201], v[4:5], v[176:177], -v[178:179]
	v_add_f64_e32 v[202:203], v[154:155], v[152:153]
	v_add_f64_e32 v[192:193], v[192:193], v[194:195]
	ds_load_b128 v[4:7], v2 offset:1568
	ds_load_b128 v[152:155], v2 offset:1584
	scratch_load_b128 v[176:179], off, off offset:752
	v_fmac_f64_e32 v[196:197], v[162:163], v[140:141]
	v_fma_f64 v[160:161], v[160:161], v[140:141], -v[142:143]
	scratch_load_b128 v[140:143], off, off offset:768
	s_wait_loadcnt_dscnt 0xb01
	v_mul_f64_e32 v[194:195], v[4:5], v[186:187]
	v_mul_f64_e32 v[186:187], v[6:7], v[186:187]
	v_add_f64_e32 v[162:163], v[202:203], v[200:201]
	v_add_f64_e32 v[192:193], v[192:193], v[198:199]
	s_wait_loadcnt_dscnt 0xa00
	v_mul_f64_e32 v[198:199], v[152:153], v[14:15]
	v_mul_f64_e32 v[14:15], v[154:155], v[14:15]
	v_fmac_f64_e32 v[194:195], v[6:7], v[184:185]
	v_fma_f64 v[200:201], v[4:5], v[184:185], -v[186:187]
	v_add_f64_e32 v[202:203], v[162:163], v[160:161]
	v_add_f64_e32 v[192:193], v[192:193], v[196:197]
	ds_load_b128 v[4:7], v2 offset:1600
	ds_load_b128 v[160:163], v2 offset:1616
	scratch_load_b128 v[184:187], off, off offset:784
	v_fmac_f64_e32 v[198:199], v[154:155], v[12:13]
	v_fma_f64 v[152:153], v[152:153], v[12:13], -v[14:15]
	scratch_load_b128 v[12:15], off, off offset:800
	s_wait_loadcnt_dscnt 0xb01
	v_mul_f64_e32 v[196:197], v[4:5], v[166:167]
	v_mul_f64_e32 v[166:167], v[6:7], v[166:167]
	v_add_f64_e32 v[154:155], v[202:203], v[200:201]
	v_add_f64_e32 v[192:193], v[192:193], v[194:195]
	s_wait_loadcnt_dscnt 0xa00
	v_mul_f64_e32 v[194:195], v[160:161], v[146:147]
	v_mul_f64_e32 v[146:147], v[162:163], v[146:147]
	v_fmac_f64_e32 v[196:197], v[6:7], v[164:165]
	v_fma_f64 v[200:201], v[4:5], v[164:165], -v[166:167]
	v_add_f64_e32 v[202:203], v[154:155], v[152:153]
	v_add_f64_e32 v[192:193], v[192:193], v[198:199]
	ds_load_b128 v[4:7], v2 offset:1632
	ds_load_b128 v[152:155], v2 offset:1648
	scratch_load_b128 v[164:167], off, off offset:816
	v_fmac_f64_e32 v[194:195], v[162:163], v[144:145]
	v_fma_f64 v[160:161], v[160:161], v[144:145], -v[146:147]
	scratch_load_b128 v[144:147], off, off offset:832
	s_wait_loadcnt_dscnt 0xb01
	v_mul_f64_e32 v[198:199], v[4:5], v[170:171]
	v_mul_f64_e32 v[170:171], v[6:7], v[170:171]
	v_add_f64_e32 v[162:163], v[202:203], v[200:201]
	v_add_f64_e32 v[192:193], v[192:193], v[196:197]
	s_wait_loadcnt_dscnt 0xa00
	v_mul_f64_e32 v[196:197], v[152:153], v[150:151]
	v_mul_f64_e32 v[150:151], v[154:155], v[150:151]
	v_fmac_f64_e32 v[198:199], v[6:7], v[168:169]
	v_fma_f64 v[200:201], v[4:5], v[168:169], -v[170:171]
	v_add_f64_e32 v[202:203], v[162:163], v[160:161]
	v_add_f64_e32 v[192:193], v[192:193], v[194:195]
	ds_load_b128 v[4:7], v2 offset:1664
	ds_load_b128 v[160:163], v2 offset:1680
	scratch_load_b128 v[168:171], off, off offset:848
	v_fmac_f64_e32 v[196:197], v[154:155], v[148:149]
	v_fma_f64 v[152:153], v[152:153], v[148:149], -v[150:151]
	scratch_load_b128 v[148:151], off, off offset:864
	s_wait_loadcnt_dscnt 0xb01
	v_mul_f64_e32 v[194:195], v[4:5], v[174:175]
	v_mul_f64_e32 v[174:175], v[6:7], v[174:175]
	v_add_f64_e32 v[154:155], v[202:203], v[200:201]
	v_add_f64_e32 v[192:193], v[192:193], v[198:199]
	s_wait_loadcnt_dscnt 0xa00
	v_mul_f64_e32 v[198:199], v[160:161], v[158:159]
	v_mul_f64_e32 v[158:159], v[162:163], v[158:159]
	v_fmac_f64_e32 v[194:195], v[6:7], v[172:173]
	v_fma_f64 v[200:201], v[4:5], v[172:173], -v[174:175]
	v_add_f64_e32 v[202:203], v[154:155], v[152:153]
	v_add_f64_e32 v[192:193], v[192:193], v[196:197]
	ds_load_b128 v[4:7], v2 offset:1696
	ds_load_b128 v[152:155], v2 offset:1712
	scratch_load_b128 v[172:175], off, off offset:880
	v_fmac_f64_e32 v[198:199], v[162:163], v[156:157]
	v_fma_f64 v[160:161], v[160:161], v[156:157], -v[158:159]
	scratch_load_b128 v[156:159], off, off offset:896
	s_wait_loadcnt_dscnt 0xb01
	v_mul_f64_e32 v[196:197], v[4:5], v[190:191]
	v_mul_f64_e32 v[190:191], v[6:7], v[190:191]
	v_add_f64_e32 v[162:163], v[202:203], v[200:201]
	v_add_f64_e32 v[192:193], v[192:193], v[194:195]
	s_wait_loadcnt_dscnt 0xa00
	v_mul_f64_e32 v[194:195], v[152:153], v[10:11]
	v_mul_f64_e32 v[10:11], v[154:155], v[10:11]
	v_fmac_f64_e32 v[196:197], v[6:7], v[188:189]
	v_fma_f64 v[200:201], v[4:5], v[188:189], -v[190:191]
	v_add_f64_e32 v[202:203], v[162:163], v[160:161]
	v_add_f64_e32 v[192:193], v[192:193], v[198:199]
	ds_load_b128 v[4:7], v2 offset:1728
	ds_load_b128 v[160:163], v2 offset:1744
	scratch_load_b128 v[188:191], off, off offset:912
	v_fmac_f64_e32 v[194:195], v[154:155], v[8:9]
	v_fma_f64 v[152:153], v[152:153], v[8:9], -v[10:11]
	scratch_load_b128 v[8:11], off, off offset:928
	s_wait_loadcnt_dscnt 0xb01
	v_mul_f64_e32 v[198:199], v[4:5], v[178:179]
	v_mul_f64_e32 v[178:179], v[6:7], v[178:179]
	v_add_f64_e32 v[154:155], v[202:203], v[200:201]
	v_add_f64_e32 v[192:193], v[192:193], v[196:197]
	s_wait_loadcnt_dscnt 0xa00
	v_mul_f64_e32 v[196:197], v[160:161], v[142:143]
	v_mul_f64_e32 v[142:143], v[162:163], v[142:143]
	v_fmac_f64_e32 v[198:199], v[6:7], v[176:177]
	v_fma_f64 v[200:201], v[4:5], v[176:177], -v[178:179]
	v_add_f64_e32 v[202:203], v[154:155], v[152:153]
	v_add_f64_e32 v[192:193], v[192:193], v[194:195]
	ds_load_b128 v[4:7], v2 offset:1760
	ds_load_b128 v[152:155], v2 offset:1776
	scratch_load_b128 v[176:179], off, off offset:944
	v_fmac_f64_e32 v[196:197], v[162:163], v[140:141]
	v_fma_f64 v[160:161], v[160:161], v[140:141], -v[142:143]
	scratch_load_b128 v[140:143], off, off offset:960
	s_wait_loadcnt_dscnt 0xb01
	v_mul_f64_e32 v[194:195], v[4:5], v[186:187]
	v_mul_f64_e32 v[186:187], v[6:7], v[186:187]
	v_add_f64_e32 v[162:163], v[202:203], v[200:201]
	v_add_f64_e32 v[192:193], v[192:193], v[198:199]
	s_wait_loadcnt_dscnt 0xa00
	v_mul_f64_e32 v[198:199], v[152:153], v[14:15]
	v_mul_f64_e32 v[14:15], v[154:155], v[14:15]
	v_fmac_f64_e32 v[194:195], v[6:7], v[184:185]
	v_fma_f64 v[184:185], v[4:5], v[184:185], -v[186:187]
	v_add_f64_e32 v[186:187], v[162:163], v[160:161]
	v_add_f64_e32 v[192:193], v[192:193], v[196:197]
	ds_load_b128 v[4:7], v2 offset:1792
	ds_load_b128 v[160:163], v2 offset:1808
	v_fmac_f64_e32 v[198:199], v[154:155], v[12:13]
	v_fma_f64 v[12:13], v[152:153], v[12:13], -v[14:15]
	s_wait_loadcnt_dscnt 0x901
	v_mul_f64_e32 v[196:197], v[4:5], v[166:167]
	v_mul_f64_e32 v[166:167], v[6:7], v[166:167]
	s_wait_loadcnt_dscnt 0x800
	v_mul_f64_e32 v[154:155], v[160:161], v[146:147]
	v_mul_f64_e32 v[146:147], v[162:163], v[146:147]
	v_add_f64_e32 v[14:15], v[186:187], v[184:185]
	v_add_f64_e32 v[152:153], v[192:193], v[194:195]
	v_fmac_f64_e32 v[196:197], v[6:7], v[164:165]
	v_fma_f64 v[164:165], v[4:5], v[164:165], -v[166:167]
	v_fmac_f64_e32 v[154:155], v[162:163], v[144:145]
	v_fma_f64 v[144:145], v[160:161], v[144:145], -v[146:147]
	v_add_f64_e32 v[166:167], v[14:15], v[12:13]
	v_add_f64_e32 v[152:153], v[152:153], v[198:199]
	ds_load_b128 v[4:7], v2 offset:1824
	ds_load_b128 v[12:15], v2 offset:1840
	s_wait_loadcnt_dscnt 0x701
	v_mul_f64_e32 v[184:185], v[4:5], v[170:171]
	v_mul_f64_e32 v[170:171], v[6:7], v[170:171]
	s_wait_loadcnt_dscnt 0x600
	v_mul_f64_e32 v[160:161], v[12:13], v[150:151]
	v_mul_f64_e32 v[150:151], v[14:15], v[150:151]
	v_add_f64_e32 v[146:147], v[166:167], v[164:165]
	v_add_f64_e32 v[152:153], v[152:153], v[196:197]
	v_fmac_f64_e32 v[184:185], v[6:7], v[168:169]
	v_fma_f64 v[162:163], v[4:5], v[168:169], -v[170:171]
	v_fmac_f64_e32 v[160:161], v[14:15], v[148:149]
	v_fma_f64 v[12:13], v[12:13], v[148:149], -v[150:151]
	v_add_f64_e32 v[164:165], v[146:147], v[144:145]
	v_add_f64_e32 v[152:153], v[152:153], v[154:155]
	ds_load_b128 v[4:7], v2 offset:1856
	ds_load_b128 v[144:147], v2 offset:1872
	s_wait_loadcnt_dscnt 0x501
	v_mul_f64_e32 v[154:155], v[4:5], v[174:175]
	v_mul_f64_e32 v[166:167], v[6:7], v[174:175]
	s_wait_loadcnt_dscnt 0x400
	v_mul_f64_e32 v[150:151], v[144:145], v[158:159]
	v_add_f64_e32 v[14:15], v[164:165], v[162:163]
	v_add_f64_e32 v[148:149], v[152:153], v[184:185]
	v_mul_f64_e32 v[152:153], v[146:147], v[158:159]
	v_fmac_f64_e32 v[154:155], v[6:7], v[172:173]
	v_fma_f64 v[158:159], v[4:5], v[172:173], -v[166:167]
	v_fmac_f64_e32 v[150:151], v[146:147], v[156:157]
	v_add_f64_e32 v[162:163], v[14:15], v[12:13]
	v_add_f64_e32 v[148:149], v[148:149], v[160:161]
	ds_load_b128 v[4:7], v2 offset:1888
	ds_load_b128 v[12:15], v2 offset:1904
	v_fma_f64 v[144:145], v[144:145], v[156:157], -v[152:153]
	s_wait_loadcnt_dscnt 0x301
	v_mul_f64_e32 v[160:161], v[4:5], v[190:191]
	v_mul_f64_e32 v[164:165], v[6:7], v[190:191]
	s_wait_loadcnt_dscnt 0x200
	v_mul_f64_e32 v[152:153], v[12:13], v[10:11]
	v_mul_f64_e32 v[10:11], v[14:15], v[10:11]
	v_add_f64_e32 v[146:147], v[162:163], v[158:159]
	v_add_f64_e32 v[148:149], v[148:149], v[154:155]
	v_fmac_f64_e32 v[160:161], v[6:7], v[188:189]
	v_fma_f64 v[154:155], v[4:5], v[188:189], -v[164:165]
	v_fmac_f64_e32 v[152:153], v[14:15], v[8:9]
	v_fma_f64 v[8:9], v[12:13], v[8:9], -v[10:11]
	v_add_f64_e32 v[156:157], v[146:147], v[144:145]
	v_add_f64_e32 v[148:149], v[148:149], v[150:151]
	ds_load_b128 v[4:7], v2 offset:1920
	ds_load_b128 v[144:147], v2 offset:1936
	s_wait_loadcnt_dscnt 0x101
	v_mul_f64_e32 v[2:3], v[4:5], v[178:179]
	v_mul_f64_e32 v[150:151], v[6:7], v[178:179]
	s_wait_loadcnt_dscnt 0x0
	v_mul_f64_e32 v[14:15], v[144:145], v[142:143]
	v_mul_f64_e32 v[142:143], v[146:147], v[142:143]
	v_add_f64_e32 v[10:11], v[156:157], v[154:155]
	v_add_f64_e32 v[12:13], v[148:149], v[160:161]
	v_fmac_f64_e32 v[2:3], v[6:7], v[176:177]
	v_fma_f64 v[4:5], v[4:5], v[176:177], -v[150:151]
	v_fmac_f64_e32 v[14:15], v[146:147], v[140:141]
	v_add_f64_e32 v[6:7], v[10:11], v[8:9]
	v_add_f64_e32 v[8:9], v[12:13], v[152:153]
	v_fma_f64 v[10:11], v[144:145], v[140:141], -v[142:143]
	s_delay_alu instid0(VALU_DEP_3) | instskip(NEXT) | instid1(VALU_DEP_3)
	v_add_f64_e32 v[4:5], v[6:7], v[4:5]
	v_add_f64_e32 v[2:3], v[8:9], v[2:3]
	s_delay_alu instid0(VALU_DEP_2) | instskip(NEXT) | instid1(VALU_DEP_2)
	v_add_f64_e32 v[4:5], v[4:5], v[10:11]
	v_add_f64_e32 v[6:7], v[2:3], v[14:15]
	s_delay_alu instid0(VALU_DEP_2) | instskip(NEXT) | instid1(VALU_DEP_2)
	v_add_f64_e64 v[2:3], v[180:181], -v[4:5]
	v_add_f64_e64 v[4:5], v[182:183], -v[6:7]
	scratch_store_b128 off, v[2:5], off offset:128
	s_wait_xcnt 0x0
	v_cmpx_lt_u32_e32 7, v1
	s_cbranch_execz .LBB124_377
; %bb.376:
	scratch_load_b128 v[2:5], off, s72
	v_mov_b32_e32 v6, 0
	s_delay_alu instid0(VALU_DEP_1)
	v_dual_mov_b32 v7, v6 :: v_dual_mov_b32 v8, v6
	v_mov_b32_e32 v9, v6
	scratch_store_b128 off, v[6:9], off offset:112
	s_wait_loadcnt 0x0
	ds_store_b128 v138, v[2:5]
.LBB124_377:
	s_wait_xcnt 0x0
	s_or_b32 exec_lo, exec_lo, s2
	s_wait_storecnt_dscnt 0x0
	s_barrier_signal -1
	s_barrier_wait -1
	s_clause 0x9
	scratch_load_b128 v[4:7], off, off offset:128
	scratch_load_b128 v[8:11], off, off offset:144
	;; [unrolled: 1-line block ×10, first 2 shown]
	v_mov_b32_e32 v2, 0
	s_mov_b32 s2, exec_lo
	ds_load_b128 v[168:171], v2 offset:1104
	s_clause 0x2
	scratch_load_b128 v[172:175], off, off offset:288
	scratch_load_b128 v[176:179], off, off offset:112
	;; [unrolled: 1-line block ×3, first 2 shown]
	s_wait_loadcnt_dscnt 0xc00
	v_mul_f64_e32 v[188:189], v[170:171], v[6:7]
	v_mul_f64_e32 v[192:193], v[168:169], v[6:7]
	ds_load_b128 v[180:183], v2 offset:1120
	v_fma_f64 v[196:197], v[168:169], v[4:5], -v[188:189]
	v_fmac_f64_e32 v[192:193], v[170:171], v[4:5]
	ds_load_b128 v[4:7], v2 offset:1136
	s_wait_loadcnt_dscnt 0xb01
	v_mul_f64_e32 v[194:195], v[180:181], v[10:11]
	v_mul_f64_e32 v[10:11], v[182:183], v[10:11]
	scratch_load_b128 v[168:171], off, off offset:320
	ds_load_b128 v[188:191], v2 offset:1152
	s_wait_loadcnt_dscnt 0xb01
	v_mul_f64_e32 v[198:199], v[4:5], v[14:15]
	v_mul_f64_e32 v[14:15], v[6:7], v[14:15]
	v_add_f64_e32 v[192:193], 0, v[192:193]
	v_fmac_f64_e32 v[194:195], v[182:183], v[8:9]
	v_fma_f64 v[180:181], v[180:181], v[8:9], -v[10:11]
	v_add_f64_e32 v[182:183], 0, v[196:197]
	scratch_load_b128 v[8:11], off, off offset:336
	v_fmac_f64_e32 v[198:199], v[6:7], v[12:13]
	v_fma_f64 v[200:201], v[4:5], v[12:13], -v[14:15]
	ds_load_b128 v[4:7], v2 offset:1168
	s_wait_loadcnt_dscnt 0xb01
	v_mul_f64_e32 v[196:197], v[188:189], v[142:143]
	v_mul_f64_e32 v[142:143], v[190:191], v[142:143]
	scratch_load_b128 v[12:15], off, off offset:352
	v_add_f64_e32 v[192:193], v[192:193], v[194:195]
	v_add_f64_e32 v[202:203], v[182:183], v[180:181]
	ds_load_b128 v[180:183], v2 offset:1184
	s_wait_loadcnt_dscnt 0xb01
	v_mul_f64_e32 v[194:195], v[4:5], v[146:147]
	v_mul_f64_e32 v[146:147], v[6:7], v[146:147]
	v_fmac_f64_e32 v[196:197], v[190:191], v[140:141]
	v_fma_f64 v[188:189], v[188:189], v[140:141], -v[142:143]
	scratch_load_b128 v[140:143], off, off offset:368
	v_add_f64_e32 v[192:193], v[192:193], v[198:199]
	v_add_f64_e32 v[190:191], v[202:203], v[200:201]
	v_fmac_f64_e32 v[194:195], v[6:7], v[144:145]
	v_fma_f64 v[200:201], v[4:5], v[144:145], -v[146:147]
	ds_load_b128 v[4:7], v2 offset:1200
	s_wait_loadcnt_dscnt 0xb01
	v_mul_f64_e32 v[198:199], v[180:181], v[150:151]
	v_mul_f64_e32 v[150:151], v[182:183], v[150:151]
	scratch_load_b128 v[144:147], off, off offset:384
	v_add_f64_e32 v[192:193], v[192:193], v[196:197]
	s_wait_loadcnt_dscnt 0xb00
	v_mul_f64_e32 v[196:197], v[4:5], v[154:155]
	v_add_f64_e32 v[202:203], v[190:191], v[188:189]
	v_mul_f64_e32 v[154:155], v[6:7], v[154:155]
	ds_load_b128 v[188:191], v2 offset:1216
	v_fmac_f64_e32 v[198:199], v[182:183], v[148:149]
	v_fma_f64 v[180:181], v[180:181], v[148:149], -v[150:151]
	scratch_load_b128 v[148:151], off, off offset:400
	v_add_f64_e32 v[192:193], v[192:193], v[194:195]
	v_fmac_f64_e32 v[196:197], v[6:7], v[152:153]
	v_add_f64_e32 v[182:183], v[202:203], v[200:201]
	v_fma_f64 v[200:201], v[4:5], v[152:153], -v[154:155]
	ds_load_b128 v[4:7], v2 offset:1232
	s_wait_loadcnt_dscnt 0xb01
	v_mul_f64_e32 v[194:195], v[188:189], v[158:159]
	v_mul_f64_e32 v[158:159], v[190:191], v[158:159]
	scratch_load_b128 v[152:155], off, off offset:416
	v_add_f64_e32 v[192:193], v[192:193], v[198:199]
	s_wait_loadcnt_dscnt 0xb00
	v_mul_f64_e32 v[198:199], v[4:5], v[162:163]
	v_add_f64_e32 v[202:203], v[182:183], v[180:181]
	v_mul_f64_e32 v[162:163], v[6:7], v[162:163]
	ds_load_b128 v[180:183], v2 offset:1248
	v_fmac_f64_e32 v[194:195], v[190:191], v[156:157]
	v_fma_f64 v[188:189], v[188:189], v[156:157], -v[158:159]
	scratch_load_b128 v[156:159], off, off offset:432
	v_add_f64_e32 v[192:193], v[192:193], v[196:197]
	v_fmac_f64_e32 v[198:199], v[6:7], v[160:161]
	v_add_f64_e32 v[190:191], v[202:203], v[200:201]
	v_fma_f64 v[200:201], v[4:5], v[160:161], -v[162:163]
	ds_load_b128 v[4:7], v2 offset:1264
	s_wait_loadcnt_dscnt 0xb01
	v_mul_f64_e32 v[196:197], v[180:181], v[166:167]
	v_mul_f64_e32 v[166:167], v[182:183], v[166:167]
	scratch_load_b128 v[160:163], off, off offset:448
	v_add_f64_e32 v[192:193], v[192:193], v[194:195]
	s_wait_loadcnt_dscnt 0xb00
	v_mul_f64_e32 v[194:195], v[4:5], v[174:175]
	v_add_f64_e32 v[202:203], v[190:191], v[188:189]
	v_mul_f64_e32 v[174:175], v[6:7], v[174:175]
	ds_load_b128 v[188:191], v2 offset:1280
	v_fmac_f64_e32 v[196:197], v[182:183], v[164:165]
	v_fma_f64 v[180:181], v[180:181], v[164:165], -v[166:167]
	scratch_load_b128 v[164:167], off, off offset:464
	v_add_f64_e32 v[192:193], v[192:193], v[198:199]
	v_fmac_f64_e32 v[194:195], v[6:7], v[172:173]
	v_add_f64_e32 v[182:183], v[202:203], v[200:201]
	v_fma_f64 v[200:201], v[4:5], v[172:173], -v[174:175]
	ds_load_b128 v[4:7], v2 offset:1296
	s_wait_loadcnt_dscnt 0xa01
	v_mul_f64_e32 v[198:199], v[188:189], v[186:187]
	v_mul_f64_e32 v[186:187], v[190:191], v[186:187]
	scratch_load_b128 v[172:175], off, off offset:480
	v_add_f64_e32 v[192:193], v[192:193], v[196:197]
	v_add_f64_e32 v[202:203], v[182:183], v[180:181]
	s_wait_loadcnt_dscnt 0xa00
	v_mul_f64_e32 v[196:197], v[4:5], v[170:171]
	v_mul_f64_e32 v[170:171], v[6:7], v[170:171]
	v_fmac_f64_e32 v[198:199], v[190:191], v[184:185]
	v_fma_f64 v[188:189], v[188:189], v[184:185], -v[186:187]
	ds_load_b128 v[180:183], v2 offset:1312
	scratch_load_b128 v[184:187], off, off offset:496
	v_add_f64_e32 v[192:193], v[192:193], v[194:195]
	v_add_f64_e32 v[190:191], v[202:203], v[200:201]
	v_fmac_f64_e32 v[196:197], v[6:7], v[168:169]
	v_fma_f64 v[200:201], v[4:5], v[168:169], -v[170:171]
	ds_load_b128 v[4:7], v2 offset:1328
	s_wait_loadcnt_dscnt 0xa01
	v_mul_f64_e32 v[194:195], v[180:181], v[10:11]
	v_mul_f64_e32 v[10:11], v[182:183], v[10:11]
	scratch_load_b128 v[168:171], off, off offset:512
	v_add_f64_e32 v[192:193], v[192:193], v[198:199]
	s_wait_loadcnt_dscnt 0xa00
	v_mul_f64_e32 v[198:199], v[4:5], v[14:15]
	v_add_f64_e32 v[202:203], v[190:191], v[188:189]
	v_mul_f64_e32 v[14:15], v[6:7], v[14:15]
	ds_load_b128 v[188:191], v2 offset:1344
	v_fmac_f64_e32 v[194:195], v[182:183], v[8:9]
	v_fma_f64 v[180:181], v[180:181], v[8:9], -v[10:11]
	scratch_load_b128 v[8:11], off, off offset:528
	v_add_f64_e32 v[192:193], v[192:193], v[196:197]
	v_fmac_f64_e32 v[198:199], v[6:7], v[12:13]
	v_add_f64_e32 v[182:183], v[202:203], v[200:201]
	v_fma_f64 v[200:201], v[4:5], v[12:13], -v[14:15]
	ds_load_b128 v[4:7], v2 offset:1360
	s_wait_loadcnt_dscnt 0xa01
	v_mul_f64_e32 v[196:197], v[188:189], v[142:143]
	v_mul_f64_e32 v[142:143], v[190:191], v[142:143]
	scratch_load_b128 v[12:15], off, off offset:544
	v_add_f64_e32 v[192:193], v[192:193], v[194:195]
	s_wait_loadcnt_dscnt 0xa00
	v_mul_f64_e32 v[194:195], v[4:5], v[146:147]
	v_add_f64_e32 v[202:203], v[182:183], v[180:181]
	v_mul_f64_e32 v[146:147], v[6:7], v[146:147]
	ds_load_b128 v[180:183], v2 offset:1376
	v_fmac_f64_e32 v[196:197], v[190:191], v[140:141]
	v_fma_f64 v[188:189], v[188:189], v[140:141], -v[142:143]
	scratch_load_b128 v[140:143], off, off offset:560
	v_add_f64_e32 v[192:193], v[192:193], v[198:199]
	v_fmac_f64_e32 v[194:195], v[6:7], v[144:145]
	v_add_f64_e32 v[190:191], v[202:203], v[200:201]
	;; [unrolled: 18-line block ×14, first 2 shown]
	v_fma_f64 v[200:201], v[4:5], v[144:145], -v[146:147]
	ds_load_b128 v[4:7], v2 offset:1776
	s_wait_loadcnt_dscnt 0xa01
	v_mul_f64_e32 v[198:199], v[180:181], v[150:151]
	v_mul_f64_e32 v[150:151], v[182:183], v[150:151]
	scratch_load_b128 v[144:147], off, off offset:960
	v_add_f64_e32 v[192:193], v[192:193], v[196:197]
	s_wait_loadcnt_dscnt 0xa00
	v_mul_f64_e32 v[196:197], v[4:5], v[154:155]
	v_add_f64_e32 v[202:203], v[190:191], v[188:189]
	v_mul_f64_e32 v[154:155], v[6:7], v[154:155]
	ds_load_b128 v[188:191], v2 offset:1792
	v_fmac_f64_e32 v[198:199], v[182:183], v[148:149]
	v_fma_f64 v[148:149], v[180:181], v[148:149], -v[150:151]
	s_wait_loadcnt_dscnt 0x900
	v_mul_f64_e32 v[182:183], v[188:189], v[158:159]
	v_mul_f64_e32 v[158:159], v[190:191], v[158:159]
	v_add_f64_e32 v[180:181], v[192:193], v[194:195]
	v_fmac_f64_e32 v[196:197], v[6:7], v[152:153]
	v_add_f64_e32 v[150:151], v[202:203], v[200:201]
	v_fma_f64 v[152:153], v[4:5], v[152:153], -v[154:155]
	v_fmac_f64_e32 v[182:183], v[190:191], v[156:157]
	v_fma_f64 v[156:157], v[188:189], v[156:157], -v[158:159]
	v_add_f64_e32 v[180:181], v[180:181], v[198:199]
	v_add_f64_e32 v[154:155], v[150:151], v[148:149]
	ds_load_b128 v[4:7], v2 offset:1808
	ds_load_b128 v[148:151], v2 offset:1824
	s_wait_loadcnt_dscnt 0x801
	v_mul_f64_e32 v[192:193], v[4:5], v[162:163]
	v_mul_f64_e32 v[162:163], v[6:7], v[162:163]
	s_wait_loadcnt_dscnt 0x700
	v_mul_f64_e32 v[158:159], v[148:149], v[166:167]
	v_mul_f64_e32 v[166:167], v[150:151], v[166:167]
	v_add_f64_e32 v[152:153], v[154:155], v[152:153]
	v_add_f64_e32 v[154:155], v[180:181], v[196:197]
	v_fmac_f64_e32 v[192:193], v[6:7], v[160:161]
	v_fma_f64 v[160:161], v[4:5], v[160:161], -v[162:163]
	v_fmac_f64_e32 v[158:159], v[150:151], v[164:165]
	v_fma_f64 v[148:149], v[148:149], v[164:165], -v[166:167]
	v_add_f64_e32 v[156:157], v[152:153], v[156:157]
	v_add_f64_e32 v[162:163], v[154:155], v[182:183]
	ds_load_b128 v[4:7], v2 offset:1840
	ds_load_b128 v[152:155], v2 offset:1856
	s_wait_loadcnt_dscnt 0x601
	v_mul_f64_e32 v[180:181], v[4:5], v[174:175]
	v_mul_f64_e32 v[174:175], v[6:7], v[174:175]
	v_add_f64_e32 v[150:151], v[156:157], v[160:161]
	v_add_f64_e32 v[156:157], v[162:163], v[192:193]
	s_wait_loadcnt_dscnt 0x500
	v_mul_f64_e32 v[160:161], v[152:153], v[186:187]
	v_mul_f64_e32 v[162:163], v[154:155], v[186:187]
	v_fmac_f64_e32 v[180:181], v[6:7], v[172:173]
	v_fma_f64 v[164:165], v[4:5], v[172:173], -v[174:175]
	v_add_f64_e32 v[166:167], v[150:151], v[148:149]
	v_add_f64_e32 v[156:157], v[156:157], v[158:159]
	ds_load_b128 v[4:7], v2 offset:1872
	ds_load_b128 v[148:151], v2 offset:1888
	v_fmac_f64_e32 v[160:161], v[154:155], v[184:185]
	v_fma_f64 v[152:153], v[152:153], v[184:185], -v[162:163]
	s_wait_loadcnt_dscnt 0x401
	v_mul_f64_e32 v[158:159], v[4:5], v[170:171]
	v_mul_f64_e32 v[170:171], v[6:7], v[170:171]
	s_wait_loadcnt_dscnt 0x300
	v_mul_f64_e32 v[162:163], v[148:149], v[10:11]
	v_mul_f64_e32 v[10:11], v[150:151], v[10:11]
	v_add_f64_e32 v[154:155], v[166:167], v[164:165]
	v_add_f64_e32 v[156:157], v[156:157], v[180:181]
	v_fmac_f64_e32 v[158:159], v[6:7], v[168:169]
	v_fma_f64 v[164:165], v[4:5], v[168:169], -v[170:171]
	v_fmac_f64_e32 v[162:163], v[150:151], v[8:9]
	v_fma_f64 v[8:9], v[148:149], v[8:9], -v[10:11]
	v_add_f64_e32 v[166:167], v[154:155], v[152:153]
	v_add_f64_e32 v[156:157], v[156:157], v[160:161]
	ds_load_b128 v[4:7], v2 offset:1904
	ds_load_b128 v[152:155], v2 offset:1920
	s_wait_loadcnt_dscnt 0x201
	v_mul_f64_e32 v[160:161], v[4:5], v[14:15]
	v_mul_f64_e32 v[14:15], v[6:7], v[14:15]
	s_wait_loadcnt_dscnt 0x100
	v_mul_f64_e32 v[150:151], v[152:153], v[142:143]
	v_mul_f64_e32 v[142:143], v[154:155], v[142:143]
	v_add_f64_e32 v[10:11], v[166:167], v[164:165]
	v_add_f64_e32 v[148:149], v[156:157], v[158:159]
	v_fmac_f64_e32 v[160:161], v[6:7], v[12:13]
	v_fma_f64 v[12:13], v[4:5], v[12:13], -v[14:15]
	ds_load_b128 v[4:7], v2 offset:1936
	v_fmac_f64_e32 v[150:151], v[154:155], v[140:141]
	v_fma_f64 v[140:141], v[152:153], v[140:141], -v[142:143]
	v_add_f64_e32 v[8:9], v[10:11], v[8:9]
	v_add_f64_e32 v[10:11], v[148:149], v[162:163]
	s_wait_loadcnt_dscnt 0x0
	v_mul_f64_e32 v[14:15], v[4:5], v[146:147]
	v_mul_f64_e32 v[146:147], v[6:7], v[146:147]
	s_delay_alu instid0(VALU_DEP_4) | instskip(NEXT) | instid1(VALU_DEP_4)
	v_add_f64_e32 v[8:9], v[8:9], v[12:13]
	v_add_f64_e32 v[10:11], v[10:11], v[160:161]
	s_delay_alu instid0(VALU_DEP_4) | instskip(NEXT) | instid1(VALU_DEP_4)
	v_fmac_f64_e32 v[14:15], v[6:7], v[144:145]
	v_fma_f64 v[4:5], v[4:5], v[144:145], -v[146:147]
	s_delay_alu instid0(VALU_DEP_4) | instskip(NEXT) | instid1(VALU_DEP_4)
	v_add_f64_e32 v[6:7], v[8:9], v[140:141]
	v_add_f64_e32 v[8:9], v[10:11], v[150:151]
	s_delay_alu instid0(VALU_DEP_2) | instskip(NEXT) | instid1(VALU_DEP_2)
	v_add_f64_e32 v[4:5], v[6:7], v[4:5]
	v_add_f64_e32 v[6:7], v[8:9], v[14:15]
	s_delay_alu instid0(VALU_DEP_2) | instskip(NEXT) | instid1(VALU_DEP_2)
	v_add_f64_e64 v[4:5], v[176:177], -v[4:5]
	v_add_f64_e64 v[6:7], v[178:179], -v[6:7]
	scratch_store_b128 off, v[4:7], off offset:112
	s_wait_xcnt 0x0
	v_cmpx_lt_u32_e32 6, v1
	s_cbranch_execz .LBB124_379
; %bb.378:
	scratch_load_b128 v[6:9], off, s73
	v_dual_mov_b32 v3, v2 :: v_dual_mov_b32 v4, v2
	v_mov_b32_e32 v5, v2
	scratch_store_b128 off, v[2:5], off offset:96
	s_wait_loadcnt 0x0
	ds_store_b128 v138, v[6:9]
.LBB124_379:
	s_wait_xcnt 0x0
	s_or_b32 exec_lo, exec_lo, s2
	s_wait_storecnt_dscnt 0x0
	s_barrier_signal -1
	s_barrier_wait -1
	s_clause 0x9
	scratch_load_b128 v[4:7], off, off offset:112
	scratch_load_b128 v[8:11], off, off offset:128
	;; [unrolled: 1-line block ×10, first 2 shown]
	ds_load_b128 v[168:171], v2 offset:1088
	ds_load_b128 v[176:179], v2 offset:1104
	s_clause 0x2
	scratch_load_b128 v[172:175], off, off offset:272
	scratch_load_b128 v[180:183], off, off offset:96
	;; [unrolled: 1-line block ×3, first 2 shown]
	s_mov_b32 s2, exec_lo
	s_wait_loadcnt_dscnt 0xc01
	v_mul_f64_e32 v[188:189], v[170:171], v[6:7]
	v_mul_f64_e32 v[192:193], v[168:169], v[6:7]
	s_wait_loadcnt_dscnt 0xb00
	v_mul_f64_e32 v[194:195], v[176:177], v[10:11]
	v_mul_f64_e32 v[10:11], v[178:179], v[10:11]
	s_delay_alu instid0(VALU_DEP_4) | instskip(NEXT) | instid1(VALU_DEP_4)
	v_fma_f64 v[196:197], v[168:169], v[4:5], -v[188:189]
	v_fmac_f64_e32 v[192:193], v[170:171], v[4:5]
	ds_load_b128 v[4:7], v2 offset:1120
	ds_load_b128 v[168:171], v2 offset:1136
	scratch_load_b128 v[188:191], off, off offset:304
	v_fmac_f64_e32 v[194:195], v[178:179], v[8:9]
	v_fma_f64 v[176:177], v[176:177], v[8:9], -v[10:11]
	scratch_load_b128 v[8:11], off, off offset:320
	s_wait_loadcnt_dscnt 0xc01
	v_mul_f64_e32 v[198:199], v[4:5], v[14:15]
	v_mul_f64_e32 v[14:15], v[6:7], v[14:15]
	v_add_f64_e32 v[178:179], 0, v[196:197]
	v_add_f64_e32 v[192:193], 0, v[192:193]
	s_wait_loadcnt_dscnt 0xb00
	v_mul_f64_e32 v[196:197], v[168:169], v[142:143]
	v_mul_f64_e32 v[142:143], v[170:171], v[142:143]
	v_fmac_f64_e32 v[198:199], v[6:7], v[12:13]
	v_fma_f64 v[200:201], v[4:5], v[12:13], -v[14:15]
	ds_load_b128 v[4:7], v2 offset:1152
	ds_load_b128 v[12:15], v2 offset:1168
	v_add_f64_e32 v[202:203], v[178:179], v[176:177]
	v_add_f64_e32 v[192:193], v[192:193], v[194:195]
	scratch_load_b128 v[176:179], off, off offset:336
	v_fmac_f64_e32 v[196:197], v[170:171], v[140:141]
	v_fma_f64 v[168:169], v[168:169], v[140:141], -v[142:143]
	scratch_load_b128 v[140:143], off, off offset:352
	s_wait_loadcnt_dscnt 0xc01
	v_mul_f64_e32 v[194:195], v[4:5], v[146:147]
	v_mul_f64_e32 v[146:147], v[6:7], v[146:147]
	v_add_f64_e32 v[170:171], v[202:203], v[200:201]
	v_add_f64_e32 v[192:193], v[192:193], v[198:199]
	s_wait_loadcnt_dscnt 0xb00
	v_mul_f64_e32 v[198:199], v[12:13], v[150:151]
	v_mul_f64_e32 v[150:151], v[14:15], v[150:151]
	v_fmac_f64_e32 v[194:195], v[6:7], v[144:145]
	v_fma_f64 v[200:201], v[4:5], v[144:145], -v[146:147]
	ds_load_b128 v[4:7], v2 offset:1184
	ds_load_b128 v[144:147], v2 offset:1200
	v_add_f64_e32 v[202:203], v[170:171], v[168:169]
	v_add_f64_e32 v[192:193], v[192:193], v[196:197]
	scratch_load_b128 v[168:171], off, off offset:368
	s_wait_loadcnt_dscnt 0xb01
	v_mul_f64_e32 v[196:197], v[4:5], v[154:155]
	v_mul_f64_e32 v[154:155], v[6:7], v[154:155]
	v_fmac_f64_e32 v[198:199], v[14:15], v[148:149]
	v_fma_f64 v[148:149], v[12:13], v[148:149], -v[150:151]
	scratch_load_b128 v[12:15], off, off offset:384
	v_add_f64_e32 v[150:151], v[202:203], v[200:201]
	v_add_f64_e32 v[192:193], v[192:193], v[194:195]
	s_wait_loadcnt_dscnt 0xb00
	v_mul_f64_e32 v[194:195], v[144:145], v[158:159]
	v_mul_f64_e32 v[158:159], v[146:147], v[158:159]
	v_fmac_f64_e32 v[196:197], v[6:7], v[152:153]
	v_fma_f64 v[200:201], v[4:5], v[152:153], -v[154:155]
	v_add_f64_e32 v[202:203], v[150:151], v[148:149]
	v_add_f64_e32 v[192:193], v[192:193], v[198:199]
	ds_load_b128 v[4:7], v2 offset:1216
	ds_load_b128 v[148:151], v2 offset:1232
	scratch_load_b128 v[152:155], off, off offset:400
	v_fmac_f64_e32 v[194:195], v[146:147], v[156:157]
	v_fma_f64 v[156:157], v[144:145], v[156:157], -v[158:159]
	scratch_load_b128 v[144:147], off, off offset:416
	s_wait_loadcnt_dscnt 0xc01
	v_mul_f64_e32 v[198:199], v[4:5], v[162:163]
	v_mul_f64_e32 v[162:163], v[6:7], v[162:163]
	v_add_f64_e32 v[158:159], v[202:203], v[200:201]
	v_add_f64_e32 v[192:193], v[192:193], v[196:197]
	s_wait_loadcnt_dscnt 0xb00
	v_mul_f64_e32 v[196:197], v[148:149], v[166:167]
	v_mul_f64_e32 v[166:167], v[150:151], v[166:167]
	v_fmac_f64_e32 v[198:199], v[6:7], v[160:161]
	v_fma_f64 v[200:201], v[4:5], v[160:161], -v[162:163]
	v_add_f64_e32 v[202:203], v[158:159], v[156:157]
	v_add_f64_e32 v[192:193], v[192:193], v[194:195]
	ds_load_b128 v[4:7], v2 offset:1248
	ds_load_b128 v[156:159], v2 offset:1264
	scratch_load_b128 v[160:163], off, off offset:432
	v_fmac_f64_e32 v[196:197], v[150:151], v[164:165]
	v_fma_f64 v[164:165], v[148:149], v[164:165], -v[166:167]
	scratch_load_b128 v[148:151], off, off offset:448
	s_wait_loadcnt_dscnt 0xc01
	v_mul_f64_e32 v[194:195], v[4:5], v[174:175]
	v_mul_f64_e32 v[174:175], v[6:7], v[174:175]
	;; [unrolled: 18-line block ×5, first 2 shown]
	v_add_f64_e32 v[186:187], v[202:203], v[200:201]
	v_add_f64_e32 v[192:193], v[192:193], v[198:199]
	s_wait_loadcnt_dscnt 0xa00
	v_mul_f64_e32 v[198:199], v[164:165], v[14:15]
	v_mul_f64_e32 v[14:15], v[166:167], v[14:15]
	v_fmac_f64_e32 v[194:195], v[6:7], v[168:169]
	v_fma_f64 v[200:201], v[4:5], v[168:169], -v[170:171]
	ds_load_b128 v[4:7], v2 offset:1376
	ds_load_b128 v[168:171], v2 offset:1392
	v_add_f64_e32 v[202:203], v[186:187], v[184:185]
	v_add_f64_e32 v[192:193], v[192:193], v[196:197]
	scratch_load_b128 v[184:187], off, off offset:560
	v_fmac_f64_e32 v[198:199], v[166:167], v[12:13]
	v_fma_f64 v[164:165], v[164:165], v[12:13], -v[14:15]
	scratch_load_b128 v[12:15], off, off offset:576
	s_wait_loadcnt_dscnt 0xb01
	v_mul_f64_e32 v[196:197], v[4:5], v[154:155]
	v_mul_f64_e32 v[154:155], v[6:7], v[154:155]
	v_add_f64_e32 v[166:167], v[202:203], v[200:201]
	v_add_f64_e32 v[192:193], v[192:193], v[194:195]
	s_wait_loadcnt_dscnt 0xa00
	v_mul_f64_e32 v[194:195], v[168:169], v[146:147]
	v_mul_f64_e32 v[146:147], v[170:171], v[146:147]
	v_fmac_f64_e32 v[196:197], v[6:7], v[152:153]
	v_fma_f64 v[200:201], v[4:5], v[152:153], -v[154:155]
	ds_load_b128 v[4:7], v2 offset:1408
	ds_load_b128 v[152:155], v2 offset:1424
	v_add_f64_e32 v[202:203], v[166:167], v[164:165]
	v_add_f64_e32 v[192:193], v[192:193], v[198:199]
	scratch_load_b128 v[164:167], off, off offset:592
	s_wait_loadcnt_dscnt 0xa01
	v_mul_f64_e32 v[198:199], v[4:5], v[162:163]
	v_mul_f64_e32 v[162:163], v[6:7], v[162:163]
	v_fmac_f64_e32 v[194:195], v[170:171], v[144:145]
	v_fma_f64 v[168:169], v[168:169], v[144:145], -v[146:147]
	scratch_load_b128 v[144:147], off, off offset:608
	v_add_f64_e32 v[170:171], v[202:203], v[200:201]
	v_add_f64_e32 v[192:193], v[192:193], v[196:197]
	s_wait_loadcnt_dscnt 0xa00
	v_mul_f64_e32 v[196:197], v[152:153], v[150:151]
	v_mul_f64_e32 v[150:151], v[154:155], v[150:151]
	v_fmac_f64_e32 v[198:199], v[6:7], v[160:161]
	v_fma_f64 v[200:201], v[4:5], v[160:161], -v[162:163]
	ds_load_b128 v[4:7], v2 offset:1440
	ds_load_b128 v[160:163], v2 offset:1456
	v_add_f64_e32 v[202:203], v[170:171], v[168:169]
	v_add_f64_e32 v[192:193], v[192:193], v[194:195]
	scratch_load_b128 v[168:171], off, off offset:624
	s_wait_loadcnt_dscnt 0xa01
	v_mul_f64_e32 v[194:195], v[4:5], v[174:175]
	v_mul_f64_e32 v[174:175], v[6:7], v[174:175]
	v_fmac_f64_e32 v[196:197], v[154:155], v[148:149]
	v_fma_f64 v[152:153], v[152:153], v[148:149], -v[150:151]
	scratch_load_b128 v[148:151], off, off offset:640
	v_add_f64_e32 v[154:155], v[202:203], v[200:201]
	v_add_f64_e32 v[192:193], v[192:193], v[198:199]
	s_wait_loadcnt_dscnt 0xa00
	v_mul_f64_e32 v[198:199], v[160:161], v[158:159]
	v_mul_f64_e32 v[158:159], v[162:163], v[158:159]
	v_fmac_f64_e32 v[194:195], v[6:7], v[172:173]
	v_fma_f64 v[200:201], v[4:5], v[172:173], -v[174:175]
	v_add_f64_e32 v[202:203], v[154:155], v[152:153]
	v_add_f64_e32 v[192:193], v[192:193], v[196:197]
	ds_load_b128 v[4:7], v2 offset:1472
	ds_load_b128 v[152:155], v2 offset:1488
	scratch_load_b128 v[172:175], off, off offset:656
	v_fmac_f64_e32 v[198:199], v[162:163], v[156:157]
	v_fma_f64 v[160:161], v[160:161], v[156:157], -v[158:159]
	scratch_load_b128 v[156:159], off, off offset:672
	s_wait_loadcnt_dscnt 0xb01
	v_mul_f64_e32 v[196:197], v[4:5], v[190:191]
	v_mul_f64_e32 v[190:191], v[6:7], v[190:191]
	v_add_f64_e32 v[162:163], v[202:203], v[200:201]
	v_add_f64_e32 v[192:193], v[192:193], v[194:195]
	s_wait_loadcnt_dscnt 0xa00
	v_mul_f64_e32 v[194:195], v[152:153], v[10:11]
	v_mul_f64_e32 v[10:11], v[154:155], v[10:11]
	v_fmac_f64_e32 v[196:197], v[6:7], v[188:189]
	v_fma_f64 v[200:201], v[4:5], v[188:189], -v[190:191]
	v_add_f64_e32 v[202:203], v[162:163], v[160:161]
	v_add_f64_e32 v[192:193], v[192:193], v[198:199]
	ds_load_b128 v[4:7], v2 offset:1504
	ds_load_b128 v[160:163], v2 offset:1520
	scratch_load_b128 v[188:191], off, off offset:688
	v_fmac_f64_e32 v[194:195], v[154:155], v[8:9]
	v_fma_f64 v[152:153], v[152:153], v[8:9], -v[10:11]
	scratch_load_b128 v[8:11], off, off offset:704
	s_wait_loadcnt_dscnt 0xb01
	v_mul_f64_e32 v[198:199], v[4:5], v[178:179]
	v_mul_f64_e32 v[178:179], v[6:7], v[178:179]
	v_add_f64_e32 v[154:155], v[202:203], v[200:201]
	v_add_f64_e32 v[192:193], v[192:193], v[196:197]
	s_wait_loadcnt_dscnt 0xa00
	v_mul_f64_e32 v[196:197], v[160:161], v[142:143]
	v_mul_f64_e32 v[142:143], v[162:163], v[142:143]
	v_fmac_f64_e32 v[198:199], v[6:7], v[176:177]
	v_fma_f64 v[200:201], v[4:5], v[176:177], -v[178:179]
	v_add_f64_e32 v[202:203], v[154:155], v[152:153]
	v_add_f64_e32 v[192:193], v[192:193], v[194:195]
	ds_load_b128 v[4:7], v2 offset:1536
	ds_load_b128 v[152:155], v2 offset:1552
	scratch_load_b128 v[176:179], off, off offset:720
	v_fmac_f64_e32 v[196:197], v[162:163], v[140:141]
	v_fma_f64 v[160:161], v[160:161], v[140:141], -v[142:143]
	scratch_load_b128 v[140:143], off, off offset:736
	s_wait_loadcnt_dscnt 0xb01
	v_mul_f64_e32 v[194:195], v[4:5], v[186:187]
	v_mul_f64_e32 v[186:187], v[6:7], v[186:187]
	v_add_f64_e32 v[162:163], v[202:203], v[200:201]
	v_add_f64_e32 v[192:193], v[192:193], v[198:199]
	s_wait_loadcnt_dscnt 0xa00
	v_mul_f64_e32 v[198:199], v[152:153], v[14:15]
	v_mul_f64_e32 v[14:15], v[154:155], v[14:15]
	v_fmac_f64_e32 v[194:195], v[6:7], v[184:185]
	v_fma_f64 v[200:201], v[4:5], v[184:185], -v[186:187]
	v_add_f64_e32 v[202:203], v[162:163], v[160:161]
	v_add_f64_e32 v[192:193], v[192:193], v[196:197]
	ds_load_b128 v[4:7], v2 offset:1568
	ds_load_b128 v[160:163], v2 offset:1584
	scratch_load_b128 v[184:187], off, off offset:752
	v_fmac_f64_e32 v[198:199], v[154:155], v[12:13]
	v_fma_f64 v[152:153], v[152:153], v[12:13], -v[14:15]
	scratch_load_b128 v[12:15], off, off offset:768
	s_wait_loadcnt_dscnt 0xb01
	v_mul_f64_e32 v[196:197], v[4:5], v[166:167]
	v_mul_f64_e32 v[166:167], v[6:7], v[166:167]
	v_add_f64_e32 v[154:155], v[202:203], v[200:201]
	v_add_f64_e32 v[192:193], v[192:193], v[194:195]
	s_wait_loadcnt_dscnt 0xa00
	v_mul_f64_e32 v[194:195], v[160:161], v[146:147]
	v_mul_f64_e32 v[146:147], v[162:163], v[146:147]
	v_fmac_f64_e32 v[196:197], v[6:7], v[164:165]
	v_fma_f64 v[200:201], v[4:5], v[164:165], -v[166:167]
	v_add_f64_e32 v[202:203], v[154:155], v[152:153]
	v_add_f64_e32 v[192:193], v[192:193], v[198:199]
	ds_load_b128 v[4:7], v2 offset:1600
	ds_load_b128 v[152:155], v2 offset:1616
	scratch_load_b128 v[164:167], off, off offset:784
	v_fmac_f64_e32 v[194:195], v[162:163], v[144:145]
	v_fma_f64 v[160:161], v[160:161], v[144:145], -v[146:147]
	scratch_load_b128 v[144:147], off, off offset:800
	s_wait_loadcnt_dscnt 0xb01
	v_mul_f64_e32 v[198:199], v[4:5], v[170:171]
	v_mul_f64_e32 v[170:171], v[6:7], v[170:171]
	v_add_f64_e32 v[162:163], v[202:203], v[200:201]
	v_add_f64_e32 v[192:193], v[192:193], v[196:197]
	s_wait_loadcnt_dscnt 0xa00
	v_mul_f64_e32 v[196:197], v[152:153], v[150:151]
	v_mul_f64_e32 v[150:151], v[154:155], v[150:151]
	v_fmac_f64_e32 v[198:199], v[6:7], v[168:169]
	v_fma_f64 v[200:201], v[4:5], v[168:169], -v[170:171]
	v_add_f64_e32 v[202:203], v[162:163], v[160:161]
	v_add_f64_e32 v[192:193], v[192:193], v[194:195]
	ds_load_b128 v[4:7], v2 offset:1632
	ds_load_b128 v[160:163], v2 offset:1648
	scratch_load_b128 v[168:171], off, off offset:816
	v_fmac_f64_e32 v[196:197], v[154:155], v[148:149]
	v_fma_f64 v[152:153], v[152:153], v[148:149], -v[150:151]
	scratch_load_b128 v[148:151], off, off offset:832
	s_wait_loadcnt_dscnt 0xb01
	v_mul_f64_e32 v[194:195], v[4:5], v[174:175]
	v_mul_f64_e32 v[174:175], v[6:7], v[174:175]
	v_add_f64_e32 v[154:155], v[202:203], v[200:201]
	v_add_f64_e32 v[192:193], v[192:193], v[198:199]
	s_wait_loadcnt_dscnt 0xa00
	v_mul_f64_e32 v[198:199], v[160:161], v[158:159]
	v_mul_f64_e32 v[158:159], v[162:163], v[158:159]
	v_fmac_f64_e32 v[194:195], v[6:7], v[172:173]
	v_fma_f64 v[200:201], v[4:5], v[172:173], -v[174:175]
	v_add_f64_e32 v[202:203], v[154:155], v[152:153]
	v_add_f64_e32 v[192:193], v[192:193], v[196:197]
	ds_load_b128 v[4:7], v2 offset:1664
	ds_load_b128 v[152:155], v2 offset:1680
	scratch_load_b128 v[172:175], off, off offset:848
	v_fmac_f64_e32 v[198:199], v[162:163], v[156:157]
	v_fma_f64 v[160:161], v[160:161], v[156:157], -v[158:159]
	scratch_load_b128 v[156:159], off, off offset:864
	s_wait_loadcnt_dscnt 0xb01
	v_mul_f64_e32 v[196:197], v[4:5], v[190:191]
	v_mul_f64_e32 v[190:191], v[6:7], v[190:191]
	v_add_f64_e32 v[162:163], v[202:203], v[200:201]
	v_add_f64_e32 v[192:193], v[192:193], v[194:195]
	s_wait_loadcnt_dscnt 0xa00
	v_mul_f64_e32 v[194:195], v[152:153], v[10:11]
	v_mul_f64_e32 v[10:11], v[154:155], v[10:11]
	v_fmac_f64_e32 v[196:197], v[6:7], v[188:189]
	v_fma_f64 v[200:201], v[4:5], v[188:189], -v[190:191]
	v_add_f64_e32 v[202:203], v[162:163], v[160:161]
	v_add_f64_e32 v[192:193], v[192:193], v[198:199]
	ds_load_b128 v[4:7], v2 offset:1696
	ds_load_b128 v[160:163], v2 offset:1712
	scratch_load_b128 v[188:191], off, off offset:880
	v_fmac_f64_e32 v[194:195], v[154:155], v[8:9]
	v_fma_f64 v[152:153], v[152:153], v[8:9], -v[10:11]
	scratch_load_b128 v[8:11], off, off offset:896
	s_wait_loadcnt_dscnt 0xb01
	v_mul_f64_e32 v[198:199], v[4:5], v[178:179]
	v_mul_f64_e32 v[178:179], v[6:7], v[178:179]
	v_add_f64_e32 v[154:155], v[202:203], v[200:201]
	v_add_f64_e32 v[192:193], v[192:193], v[196:197]
	s_wait_loadcnt_dscnt 0xa00
	v_mul_f64_e32 v[196:197], v[160:161], v[142:143]
	v_mul_f64_e32 v[142:143], v[162:163], v[142:143]
	v_fmac_f64_e32 v[198:199], v[6:7], v[176:177]
	v_fma_f64 v[200:201], v[4:5], v[176:177], -v[178:179]
	v_add_f64_e32 v[202:203], v[154:155], v[152:153]
	v_add_f64_e32 v[192:193], v[192:193], v[194:195]
	ds_load_b128 v[4:7], v2 offset:1728
	ds_load_b128 v[152:155], v2 offset:1744
	scratch_load_b128 v[176:179], off, off offset:912
	v_fmac_f64_e32 v[196:197], v[162:163], v[140:141]
	v_fma_f64 v[160:161], v[160:161], v[140:141], -v[142:143]
	scratch_load_b128 v[140:143], off, off offset:928
	s_wait_loadcnt_dscnt 0xb01
	v_mul_f64_e32 v[194:195], v[4:5], v[186:187]
	v_mul_f64_e32 v[186:187], v[6:7], v[186:187]
	v_add_f64_e32 v[162:163], v[202:203], v[200:201]
	v_add_f64_e32 v[192:193], v[192:193], v[198:199]
	s_wait_loadcnt_dscnt 0xa00
	v_mul_f64_e32 v[198:199], v[152:153], v[14:15]
	v_mul_f64_e32 v[14:15], v[154:155], v[14:15]
	v_fmac_f64_e32 v[194:195], v[6:7], v[184:185]
	v_fma_f64 v[200:201], v[4:5], v[184:185], -v[186:187]
	v_add_f64_e32 v[202:203], v[162:163], v[160:161]
	v_add_f64_e32 v[192:193], v[192:193], v[196:197]
	ds_load_b128 v[4:7], v2 offset:1760
	ds_load_b128 v[160:163], v2 offset:1776
	scratch_load_b128 v[184:187], off, off offset:944
	v_fmac_f64_e32 v[198:199], v[154:155], v[12:13]
	v_fma_f64 v[152:153], v[152:153], v[12:13], -v[14:15]
	scratch_load_b128 v[12:15], off, off offset:960
	s_wait_loadcnt_dscnt 0xb01
	v_mul_f64_e32 v[196:197], v[4:5], v[166:167]
	v_mul_f64_e32 v[166:167], v[6:7], v[166:167]
	v_add_f64_e32 v[154:155], v[202:203], v[200:201]
	v_add_f64_e32 v[192:193], v[192:193], v[194:195]
	s_wait_loadcnt_dscnt 0xa00
	v_mul_f64_e32 v[194:195], v[160:161], v[146:147]
	v_mul_f64_e32 v[146:147], v[162:163], v[146:147]
	v_fmac_f64_e32 v[196:197], v[6:7], v[164:165]
	v_fma_f64 v[164:165], v[4:5], v[164:165], -v[166:167]
	v_add_f64_e32 v[166:167], v[154:155], v[152:153]
	v_add_f64_e32 v[192:193], v[192:193], v[198:199]
	ds_load_b128 v[4:7], v2 offset:1792
	ds_load_b128 v[152:155], v2 offset:1808
	v_fmac_f64_e32 v[194:195], v[162:163], v[144:145]
	v_fma_f64 v[144:145], v[160:161], v[144:145], -v[146:147]
	s_wait_loadcnt_dscnt 0x901
	v_mul_f64_e32 v[198:199], v[4:5], v[170:171]
	v_mul_f64_e32 v[170:171], v[6:7], v[170:171]
	s_wait_loadcnt_dscnt 0x800
	v_mul_f64_e32 v[162:163], v[152:153], v[150:151]
	v_mul_f64_e32 v[150:151], v[154:155], v[150:151]
	v_add_f64_e32 v[146:147], v[166:167], v[164:165]
	v_add_f64_e32 v[160:161], v[192:193], v[196:197]
	v_fmac_f64_e32 v[198:199], v[6:7], v[168:169]
	v_fma_f64 v[164:165], v[4:5], v[168:169], -v[170:171]
	v_fmac_f64_e32 v[162:163], v[154:155], v[148:149]
	v_fma_f64 v[148:149], v[152:153], v[148:149], -v[150:151]
	v_add_f64_e32 v[166:167], v[146:147], v[144:145]
	v_add_f64_e32 v[160:161], v[160:161], v[194:195]
	ds_load_b128 v[4:7], v2 offset:1824
	ds_load_b128 v[144:147], v2 offset:1840
	s_wait_loadcnt_dscnt 0x701
	v_mul_f64_e32 v[168:169], v[4:5], v[174:175]
	v_mul_f64_e32 v[170:171], v[6:7], v[174:175]
	s_wait_loadcnt_dscnt 0x600
	v_mul_f64_e32 v[154:155], v[144:145], v[158:159]
	v_mul_f64_e32 v[158:159], v[146:147], v[158:159]
	v_add_f64_e32 v[150:151], v[166:167], v[164:165]
	v_add_f64_e32 v[152:153], v[160:161], v[198:199]
	v_fmac_f64_e32 v[168:169], v[6:7], v[172:173]
	v_fma_f64 v[160:161], v[4:5], v[172:173], -v[170:171]
	v_fmac_f64_e32 v[154:155], v[146:147], v[156:157]
	v_fma_f64 v[144:145], v[144:145], v[156:157], -v[158:159]
	v_add_f64_e32 v[164:165], v[150:151], v[148:149]
	v_add_f64_e32 v[152:153], v[152:153], v[162:163]
	ds_load_b128 v[4:7], v2 offset:1856
	ds_load_b128 v[148:151], v2 offset:1872
	;; [unrolled: 16-line block ×4, first 2 shown]
	s_wait_loadcnt_dscnt 0x101
	v_mul_f64_e32 v[2:3], v[4:5], v[186:187]
	v_mul_f64_e32 v[156:157], v[6:7], v[186:187]
	s_wait_loadcnt_dscnt 0x0
	v_mul_f64_e32 v[146:147], v[8:9], v[14:15]
	v_mul_f64_e32 v[14:15], v[10:11], v[14:15]
	v_add_f64_e32 v[142:143], v[158:159], v[152:153]
	v_add_f64_e32 v[144:145], v[148:149], v[154:155]
	v_fmac_f64_e32 v[2:3], v[6:7], v[184:185]
	v_fma_f64 v[4:5], v[4:5], v[184:185], -v[156:157]
	v_fmac_f64_e32 v[146:147], v[10:11], v[12:13]
	v_fma_f64 v[8:9], v[8:9], v[12:13], -v[14:15]
	v_add_f64_e32 v[6:7], v[142:143], v[140:141]
	v_add_f64_e32 v[140:141], v[144:145], v[150:151]
	s_delay_alu instid0(VALU_DEP_2) | instskip(NEXT) | instid1(VALU_DEP_2)
	v_add_f64_e32 v[4:5], v[6:7], v[4:5]
	v_add_f64_e32 v[2:3], v[140:141], v[2:3]
	s_delay_alu instid0(VALU_DEP_2) | instskip(NEXT) | instid1(VALU_DEP_2)
	;; [unrolled: 3-line block ×3, first 2 shown]
	v_add_f64_e64 v[2:3], v[180:181], -v[4:5]
	v_add_f64_e64 v[4:5], v[182:183], -v[6:7]
	scratch_store_b128 off, v[2:5], off offset:96
	s_wait_xcnt 0x0
	v_cmpx_lt_u32_e32 5, v1
	s_cbranch_execz .LBB124_381
; %bb.380:
	scratch_load_b128 v[2:5], off, s74
	v_mov_b32_e32 v6, 0
	s_delay_alu instid0(VALU_DEP_1)
	v_dual_mov_b32 v7, v6 :: v_dual_mov_b32 v8, v6
	v_mov_b32_e32 v9, v6
	scratch_store_b128 off, v[6:9], off offset:80
	s_wait_loadcnt 0x0
	ds_store_b128 v138, v[2:5]
.LBB124_381:
	s_wait_xcnt 0x0
	s_or_b32 exec_lo, exec_lo, s2
	s_wait_storecnt_dscnt 0x0
	s_barrier_signal -1
	s_barrier_wait -1
	s_clause 0x9
	scratch_load_b128 v[4:7], off, off offset:96
	scratch_load_b128 v[8:11], off, off offset:112
	;; [unrolled: 1-line block ×10, first 2 shown]
	v_mov_b32_e32 v2, 0
	s_mov_b32 s2, exec_lo
	ds_load_b128 v[168:171], v2 offset:1072
	s_clause 0x2
	scratch_load_b128 v[172:175], off, off offset:256
	scratch_load_b128 v[176:179], off, off offset:80
	;; [unrolled: 1-line block ×3, first 2 shown]
	s_wait_loadcnt_dscnt 0xc00
	v_mul_f64_e32 v[188:189], v[170:171], v[6:7]
	v_mul_f64_e32 v[192:193], v[168:169], v[6:7]
	ds_load_b128 v[180:183], v2 offset:1088
	v_fma_f64 v[196:197], v[168:169], v[4:5], -v[188:189]
	v_fmac_f64_e32 v[192:193], v[170:171], v[4:5]
	ds_load_b128 v[4:7], v2 offset:1104
	s_wait_loadcnt_dscnt 0xb01
	v_mul_f64_e32 v[194:195], v[180:181], v[10:11]
	v_mul_f64_e32 v[10:11], v[182:183], v[10:11]
	scratch_load_b128 v[168:171], off, off offset:288
	ds_load_b128 v[188:191], v2 offset:1120
	s_wait_loadcnt_dscnt 0xb01
	v_mul_f64_e32 v[198:199], v[4:5], v[14:15]
	v_mul_f64_e32 v[14:15], v[6:7], v[14:15]
	v_add_f64_e32 v[192:193], 0, v[192:193]
	v_fmac_f64_e32 v[194:195], v[182:183], v[8:9]
	v_fma_f64 v[180:181], v[180:181], v[8:9], -v[10:11]
	v_add_f64_e32 v[182:183], 0, v[196:197]
	scratch_load_b128 v[8:11], off, off offset:304
	v_fmac_f64_e32 v[198:199], v[6:7], v[12:13]
	v_fma_f64 v[200:201], v[4:5], v[12:13], -v[14:15]
	ds_load_b128 v[4:7], v2 offset:1136
	s_wait_loadcnt_dscnt 0xb01
	v_mul_f64_e32 v[196:197], v[188:189], v[142:143]
	v_mul_f64_e32 v[142:143], v[190:191], v[142:143]
	scratch_load_b128 v[12:15], off, off offset:320
	v_add_f64_e32 v[192:193], v[192:193], v[194:195]
	v_add_f64_e32 v[202:203], v[182:183], v[180:181]
	ds_load_b128 v[180:183], v2 offset:1152
	s_wait_loadcnt_dscnt 0xb01
	v_mul_f64_e32 v[194:195], v[4:5], v[146:147]
	v_mul_f64_e32 v[146:147], v[6:7], v[146:147]
	v_fmac_f64_e32 v[196:197], v[190:191], v[140:141]
	v_fma_f64 v[188:189], v[188:189], v[140:141], -v[142:143]
	scratch_load_b128 v[140:143], off, off offset:336
	v_add_f64_e32 v[192:193], v[192:193], v[198:199]
	v_add_f64_e32 v[190:191], v[202:203], v[200:201]
	v_fmac_f64_e32 v[194:195], v[6:7], v[144:145]
	v_fma_f64 v[200:201], v[4:5], v[144:145], -v[146:147]
	ds_load_b128 v[4:7], v2 offset:1168
	s_wait_loadcnt_dscnt 0xb01
	v_mul_f64_e32 v[198:199], v[180:181], v[150:151]
	v_mul_f64_e32 v[150:151], v[182:183], v[150:151]
	scratch_load_b128 v[144:147], off, off offset:352
	v_add_f64_e32 v[192:193], v[192:193], v[196:197]
	s_wait_loadcnt_dscnt 0xb00
	v_mul_f64_e32 v[196:197], v[4:5], v[154:155]
	v_add_f64_e32 v[202:203], v[190:191], v[188:189]
	v_mul_f64_e32 v[154:155], v[6:7], v[154:155]
	ds_load_b128 v[188:191], v2 offset:1184
	v_fmac_f64_e32 v[198:199], v[182:183], v[148:149]
	v_fma_f64 v[180:181], v[180:181], v[148:149], -v[150:151]
	scratch_load_b128 v[148:151], off, off offset:368
	v_add_f64_e32 v[192:193], v[192:193], v[194:195]
	v_fmac_f64_e32 v[196:197], v[6:7], v[152:153]
	v_add_f64_e32 v[182:183], v[202:203], v[200:201]
	v_fma_f64 v[200:201], v[4:5], v[152:153], -v[154:155]
	ds_load_b128 v[4:7], v2 offset:1200
	s_wait_loadcnt_dscnt 0xb01
	v_mul_f64_e32 v[194:195], v[188:189], v[158:159]
	v_mul_f64_e32 v[158:159], v[190:191], v[158:159]
	scratch_load_b128 v[152:155], off, off offset:384
	v_add_f64_e32 v[192:193], v[192:193], v[198:199]
	s_wait_loadcnt_dscnt 0xb00
	v_mul_f64_e32 v[198:199], v[4:5], v[162:163]
	v_add_f64_e32 v[202:203], v[182:183], v[180:181]
	v_mul_f64_e32 v[162:163], v[6:7], v[162:163]
	ds_load_b128 v[180:183], v2 offset:1216
	v_fmac_f64_e32 v[194:195], v[190:191], v[156:157]
	v_fma_f64 v[188:189], v[188:189], v[156:157], -v[158:159]
	scratch_load_b128 v[156:159], off, off offset:400
	v_add_f64_e32 v[192:193], v[192:193], v[196:197]
	v_fmac_f64_e32 v[198:199], v[6:7], v[160:161]
	v_add_f64_e32 v[190:191], v[202:203], v[200:201]
	;; [unrolled: 18-line block ×3, first 2 shown]
	v_fma_f64 v[200:201], v[4:5], v[172:173], -v[174:175]
	ds_load_b128 v[4:7], v2 offset:1264
	s_wait_loadcnt_dscnt 0xa01
	v_mul_f64_e32 v[198:199], v[188:189], v[186:187]
	v_mul_f64_e32 v[186:187], v[190:191], v[186:187]
	scratch_load_b128 v[172:175], off, off offset:448
	v_add_f64_e32 v[192:193], v[192:193], v[196:197]
	v_add_f64_e32 v[202:203], v[182:183], v[180:181]
	s_wait_loadcnt_dscnt 0xa00
	v_mul_f64_e32 v[196:197], v[4:5], v[170:171]
	v_mul_f64_e32 v[170:171], v[6:7], v[170:171]
	v_fmac_f64_e32 v[198:199], v[190:191], v[184:185]
	v_fma_f64 v[188:189], v[188:189], v[184:185], -v[186:187]
	ds_load_b128 v[180:183], v2 offset:1280
	scratch_load_b128 v[184:187], off, off offset:464
	v_add_f64_e32 v[192:193], v[192:193], v[194:195]
	v_add_f64_e32 v[190:191], v[202:203], v[200:201]
	v_fmac_f64_e32 v[196:197], v[6:7], v[168:169]
	v_fma_f64 v[200:201], v[4:5], v[168:169], -v[170:171]
	ds_load_b128 v[4:7], v2 offset:1296
	s_wait_loadcnt_dscnt 0xa01
	v_mul_f64_e32 v[194:195], v[180:181], v[10:11]
	v_mul_f64_e32 v[10:11], v[182:183], v[10:11]
	scratch_load_b128 v[168:171], off, off offset:480
	v_add_f64_e32 v[192:193], v[192:193], v[198:199]
	s_wait_loadcnt_dscnt 0xa00
	v_mul_f64_e32 v[198:199], v[4:5], v[14:15]
	v_add_f64_e32 v[202:203], v[190:191], v[188:189]
	v_mul_f64_e32 v[14:15], v[6:7], v[14:15]
	ds_load_b128 v[188:191], v2 offset:1312
	v_fmac_f64_e32 v[194:195], v[182:183], v[8:9]
	v_fma_f64 v[180:181], v[180:181], v[8:9], -v[10:11]
	scratch_load_b128 v[8:11], off, off offset:496
	v_add_f64_e32 v[192:193], v[192:193], v[196:197]
	v_fmac_f64_e32 v[198:199], v[6:7], v[12:13]
	v_add_f64_e32 v[182:183], v[202:203], v[200:201]
	v_fma_f64 v[200:201], v[4:5], v[12:13], -v[14:15]
	ds_load_b128 v[4:7], v2 offset:1328
	s_wait_loadcnt_dscnt 0xa01
	v_mul_f64_e32 v[196:197], v[188:189], v[142:143]
	v_mul_f64_e32 v[142:143], v[190:191], v[142:143]
	scratch_load_b128 v[12:15], off, off offset:512
	v_add_f64_e32 v[192:193], v[192:193], v[194:195]
	s_wait_loadcnt_dscnt 0xa00
	v_mul_f64_e32 v[194:195], v[4:5], v[146:147]
	v_add_f64_e32 v[202:203], v[182:183], v[180:181]
	v_mul_f64_e32 v[146:147], v[6:7], v[146:147]
	ds_load_b128 v[180:183], v2 offset:1344
	v_fmac_f64_e32 v[196:197], v[190:191], v[140:141]
	v_fma_f64 v[188:189], v[188:189], v[140:141], -v[142:143]
	scratch_load_b128 v[140:143], off, off offset:528
	v_add_f64_e32 v[192:193], v[192:193], v[198:199]
	v_fmac_f64_e32 v[194:195], v[6:7], v[144:145]
	v_add_f64_e32 v[190:191], v[202:203], v[200:201]
	;; [unrolled: 18-line block ×15, first 2 shown]
	v_fma_f64 v[200:201], v[4:5], v[152:153], -v[154:155]
	ds_load_b128 v[4:7], v2 offset:1776
	s_wait_loadcnt_dscnt 0xa01
	v_mul_f64_e32 v[194:195], v[188:189], v[158:159]
	v_mul_f64_e32 v[158:159], v[190:191], v[158:159]
	scratch_load_b128 v[152:155], off, off offset:960
	v_add_f64_e32 v[192:193], v[192:193], v[198:199]
	s_wait_loadcnt_dscnt 0xa00
	v_mul_f64_e32 v[198:199], v[4:5], v[162:163]
	v_add_f64_e32 v[202:203], v[182:183], v[180:181]
	v_mul_f64_e32 v[162:163], v[6:7], v[162:163]
	ds_load_b128 v[180:183], v2 offset:1792
	v_fmac_f64_e32 v[194:195], v[190:191], v[156:157]
	v_fma_f64 v[156:157], v[188:189], v[156:157], -v[158:159]
	s_wait_loadcnt_dscnt 0x900
	v_mul_f64_e32 v[190:191], v[180:181], v[166:167]
	v_mul_f64_e32 v[166:167], v[182:183], v[166:167]
	v_add_f64_e32 v[188:189], v[192:193], v[196:197]
	v_fmac_f64_e32 v[198:199], v[6:7], v[160:161]
	v_add_f64_e32 v[158:159], v[202:203], v[200:201]
	v_fma_f64 v[160:161], v[4:5], v[160:161], -v[162:163]
	v_fmac_f64_e32 v[190:191], v[182:183], v[164:165]
	v_fma_f64 v[164:165], v[180:181], v[164:165], -v[166:167]
	v_add_f64_e32 v[188:189], v[188:189], v[194:195]
	v_add_f64_e32 v[162:163], v[158:159], v[156:157]
	ds_load_b128 v[4:7], v2 offset:1808
	ds_load_b128 v[156:159], v2 offset:1824
	s_wait_loadcnt_dscnt 0x801
	v_mul_f64_e32 v[192:193], v[4:5], v[174:175]
	v_mul_f64_e32 v[174:175], v[6:7], v[174:175]
	s_wait_loadcnt_dscnt 0x700
	v_mul_f64_e32 v[166:167], v[156:157], v[186:187]
	v_mul_f64_e32 v[180:181], v[158:159], v[186:187]
	v_add_f64_e32 v[160:161], v[162:163], v[160:161]
	v_add_f64_e32 v[162:163], v[188:189], v[198:199]
	v_fmac_f64_e32 v[192:193], v[6:7], v[172:173]
	v_fma_f64 v[172:173], v[4:5], v[172:173], -v[174:175]
	v_fmac_f64_e32 v[166:167], v[158:159], v[184:185]
	v_fma_f64 v[156:157], v[156:157], v[184:185], -v[180:181]
	v_add_f64_e32 v[164:165], v[160:161], v[164:165]
	v_add_f64_e32 v[174:175], v[162:163], v[190:191]
	ds_load_b128 v[4:7], v2 offset:1840
	ds_load_b128 v[160:163], v2 offset:1856
	s_wait_loadcnt_dscnt 0x601
	v_mul_f64_e32 v[182:183], v[4:5], v[170:171]
	v_mul_f64_e32 v[170:171], v[6:7], v[170:171]
	v_add_f64_e32 v[158:159], v[164:165], v[172:173]
	v_add_f64_e32 v[164:165], v[174:175], v[192:193]
	s_wait_loadcnt_dscnt 0x500
	v_mul_f64_e32 v[172:173], v[160:161], v[10:11]
	v_mul_f64_e32 v[10:11], v[162:163], v[10:11]
	v_fmac_f64_e32 v[182:183], v[6:7], v[168:169]
	v_fma_f64 v[168:169], v[4:5], v[168:169], -v[170:171]
	v_add_f64_e32 v[170:171], v[158:159], v[156:157]
	v_add_f64_e32 v[164:165], v[164:165], v[166:167]
	ds_load_b128 v[4:7], v2 offset:1872
	ds_load_b128 v[156:159], v2 offset:1888
	v_fmac_f64_e32 v[172:173], v[162:163], v[8:9]
	v_fma_f64 v[8:9], v[160:161], v[8:9], -v[10:11]
	s_wait_loadcnt_dscnt 0x401
	v_mul_f64_e32 v[166:167], v[4:5], v[14:15]
	v_mul_f64_e32 v[14:15], v[6:7], v[14:15]
	s_wait_loadcnt_dscnt 0x300
	v_mul_f64_e32 v[162:163], v[156:157], v[142:143]
	v_mul_f64_e32 v[142:143], v[158:159], v[142:143]
	v_add_f64_e32 v[10:11], v[170:171], v[168:169]
	v_add_f64_e32 v[160:161], v[164:165], v[182:183]
	v_fmac_f64_e32 v[166:167], v[6:7], v[12:13]
	v_fma_f64 v[12:13], v[4:5], v[12:13], -v[14:15]
	v_fmac_f64_e32 v[162:163], v[158:159], v[140:141]
	v_fma_f64 v[140:141], v[156:157], v[140:141], -v[142:143]
	v_add_f64_e32 v[14:15], v[10:11], v[8:9]
	v_add_f64_e32 v[160:161], v[160:161], v[172:173]
	ds_load_b128 v[4:7], v2 offset:1904
	ds_load_b128 v[8:11], v2 offset:1920
	s_wait_loadcnt_dscnt 0x201
	v_mul_f64_e32 v[164:165], v[4:5], v[146:147]
	v_mul_f64_e32 v[146:147], v[6:7], v[146:147]
	s_wait_loadcnt_dscnt 0x100
	v_mul_f64_e32 v[142:143], v[8:9], v[150:151]
	v_mul_f64_e32 v[150:151], v[10:11], v[150:151]
	v_add_f64_e32 v[12:13], v[14:15], v[12:13]
	v_add_f64_e32 v[14:15], v[160:161], v[166:167]
	v_fmac_f64_e32 v[164:165], v[6:7], v[144:145]
	v_fma_f64 v[144:145], v[4:5], v[144:145], -v[146:147]
	ds_load_b128 v[4:7], v2 offset:1936
	v_fmac_f64_e32 v[142:143], v[10:11], v[148:149]
	v_fma_f64 v[8:9], v[8:9], v[148:149], -v[150:151]
	v_add_f64_e32 v[12:13], v[12:13], v[140:141]
	v_add_f64_e32 v[14:15], v[14:15], v[162:163]
	s_wait_loadcnt_dscnt 0x0
	v_mul_f64_e32 v[140:141], v[4:5], v[154:155]
	v_mul_f64_e32 v[146:147], v[6:7], v[154:155]
	s_delay_alu instid0(VALU_DEP_4) | instskip(NEXT) | instid1(VALU_DEP_4)
	v_add_f64_e32 v[10:11], v[12:13], v[144:145]
	v_add_f64_e32 v[12:13], v[14:15], v[164:165]
	s_delay_alu instid0(VALU_DEP_4) | instskip(NEXT) | instid1(VALU_DEP_4)
	v_fmac_f64_e32 v[140:141], v[6:7], v[152:153]
	v_fma_f64 v[4:5], v[4:5], v[152:153], -v[146:147]
	s_delay_alu instid0(VALU_DEP_4) | instskip(NEXT) | instid1(VALU_DEP_4)
	v_add_f64_e32 v[6:7], v[10:11], v[8:9]
	v_add_f64_e32 v[8:9], v[12:13], v[142:143]
	s_delay_alu instid0(VALU_DEP_2) | instskip(NEXT) | instid1(VALU_DEP_2)
	v_add_f64_e32 v[4:5], v[6:7], v[4:5]
	v_add_f64_e32 v[6:7], v[8:9], v[140:141]
	s_delay_alu instid0(VALU_DEP_2) | instskip(NEXT) | instid1(VALU_DEP_2)
	v_add_f64_e64 v[4:5], v[176:177], -v[4:5]
	v_add_f64_e64 v[6:7], v[178:179], -v[6:7]
	scratch_store_b128 off, v[4:7], off offset:80
	s_wait_xcnt 0x0
	v_cmpx_lt_u32_e32 4, v1
	s_cbranch_execz .LBB124_383
; %bb.382:
	scratch_load_b128 v[6:9], off, s14
	v_dual_mov_b32 v3, v2 :: v_dual_mov_b32 v4, v2
	v_mov_b32_e32 v5, v2
	scratch_store_b128 off, v[2:5], off offset:64
	s_wait_loadcnt 0x0
	ds_store_b128 v138, v[6:9]
.LBB124_383:
	s_wait_xcnt 0x0
	s_or_b32 exec_lo, exec_lo, s2
	s_wait_storecnt_dscnt 0x0
	s_barrier_signal -1
	s_barrier_wait -1
	s_clause 0x9
	scratch_load_b128 v[4:7], off, off offset:80
	scratch_load_b128 v[8:11], off, off offset:96
	;; [unrolled: 1-line block ×10, first 2 shown]
	ds_load_b128 v[168:171], v2 offset:1056
	ds_load_b128 v[176:179], v2 offset:1072
	s_clause 0x2
	scratch_load_b128 v[172:175], off, off offset:240
	scratch_load_b128 v[180:183], off, off offset:64
	;; [unrolled: 1-line block ×3, first 2 shown]
	s_mov_b32 s2, exec_lo
	s_wait_loadcnt_dscnt 0xc01
	v_mul_f64_e32 v[188:189], v[170:171], v[6:7]
	v_mul_f64_e32 v[192:193], v[168:169], v[6:7]
	s_wait_loadcnt_dscnt 0xb00
	v_mul_f64_e32 v[194:195], v[176:177], v[10:11]
	v_mul_f64_e32 v[10:11], v[178:179], v[10:11]
	s_delay_alu instid0(VALU_DEP_4) | instskip(NEXT) | instid1(VALU_DEP_4)
	v_fma_f64 v[196:197], v[168:169], v[4:5], -v[188:189]
	v_fmac_f64_e32 v[192:193], v[170:171], v[4:5]
	ds_load_b128 v[4:7], v2 offset:1088
	ds_load_b128 v[168:171], v2 offset:1104
	scratch_load_b128 v[188:191], off, off offset:272
	v_fmac_f64_e32 v[194:195], v[178:179], v[8:9]
	v_fma_f64 v[176:177], v[176:177], v[8:9], -v[10:11]
	scratch_load_b128 v[8:11], off, off offset:288
	s_wait_loadcnt_dscnt 0xc01
	v_mul_f64_e32 v[198:199], v[4:5], v[14:15]
	v_mul_f64_e32 v[14:15], v[6:7], v[14:15]
	v_add_f64_e32 v[178:179], 0, v[196:197]
	v_add_f64_e32 v[192:193], 0, v[192:193]
	s_wait_loadcnt_dscnt 0xb00
	v_mul_f64_e32 v[196:197], v[168:169], v[142:143]
	v_mul_f64_e32 v[142:143], v[170:171], v[142:143]
	v_fmac_f64_e32 v[198:199], v[6:7], v[12:13]
	v_fma_f64 v[200:201], v[4:5], v[12:13], -v[14:15]
	ds_load_b128 v[4:7], v2 offset:1120
	ds_load_b128 v[12:15], v2 offset:1136
	v_add_f64_e32 v[202:203], v[178:179], v[176:177]
	v_add_f64_e32 v[192:193], v[192:193], v[194:195]
	scratch_load_b128 v[176:179], off, off offset:304
	v_fmac_f64_e32 v[196:197], v[170:171], v[140:141]
	v_fma_f64 v[168:169], v[168:169], v[140:141], -v[142:143]
	scratch_load_b128 v[140:143], off, off offset:320
	s_wait_loadcnt_dscnt 0xc01
	v_mul_f64_e32 v[194:195], v[4:5], v[146:147]
	v_mul_f64_e32 v[146:147], v[6:7], v[146:147]
	v_add_f64_e32 v[170:171], v[202:203], v[200:201]
	v_add_f64_e32 v[192:193], v[192:193], v[198:199]
	s_wait_loadcnt_dscnt 0xb00
	v_mul_f64_e32 v[198:199], v[12:13], v[150:151]
	v_mul_f64_e32 v[150:151], v[14:15], v[150:151]
	v_fmac_f64_e32 v[194:195], v[6:7], v[144:145]
	v_fma_f64 v[200:201], v[4:5], v[144:145], -v[146:147]
	ds_load_b128 v[4:7], v2 offset:1152
	ds_load_b128 v[144:147], v2 offset:1168
	v_add_f64_e32 v[202:203], v[170:171], v[168:169]
	v_add_f64_e32 v[192:193], v[192:193], v[196:197]
	scratch_load_b128 v[168:171], off, off offset:336
	s_wait_loadcnt_dscnt 0xb01
	v_mul_f64_e32 v[196:197], v[4:5], v[154:155]
	v_mul_f64_e32 v[154:155], v[6:7], v[154:155]
	v_fmac_f64_e32 v[198:199], v[14:15], v[148:149]
	v_fma_f64 v[148:149], v[12:13], v[148:149], -v[150:151]
	scratch_load_b128 v[12:15], off, off offset:352
	v_add_f64_e32 v[150:151], v[202:203], v[200:201]
	v_add_f64_e32 v[192:193], v[192:193], v[194:195]
	s_wait_loadcnt_dscnt 0xb00
	v_mul_f64_e32 v[194:195], v[144:145], v[158:159]
	v_mul_f64_e32 v[158:159], v[146:147], v[158:159]
	v_fmac_f64_e32 v[196:197], v[6:7], v[152:153]
	v_fma_f64 v[200:201], v[4:5], v[152:153], -v[154:155]
	v_add_f64_e32 v[202:203], v[150:151], v[148:149]
	v_add_f64_e32 v[192:193], v[192:193], v[198:199]
	ds_load_b128 v[4:7], v2 offset:1184
	ds_load_b128 v[148:151], v2 offset:1200
	scratch_load_b128 v[152:155], off, off offset:368
	v_fmac_f64_e32 v[194:195], v[146:147], v[156:157]
	v_fma_f64 v[156:157], v[144:145], v[156:157], -v[158:159]
	scratch_load_b128 v[144:147], off, off offset:384
	s_wait_loadcnt_dscnt 0xc01
	v_mul_f64_e32 v[198:199], v[4:5], v[162:163]
	v_mul_f64_e32 v[162:163], v[6:7], v[162:163]
	v_add_f64_e32 v[158:159], v[202:203], v[200:201]
	v_add_f64_e32 v[192:193], v[192:193], v[196:197]
	s_wait_loadcnt_dscnt 0xb00
	v_mul_f64_e32 v[196:197], v[148:149], v[166:167]
	v_mul_f64_e32 v[166:167], v[150:151], v[166:167]
	v_fmac_f64_e32 v[198:199], v[6:7], v[160:161]
	v_fma_f64 v[200:201], v[4:5], v[160:161], -v[162:163]
	v_add_f64_e32 v[202:203], v[158:159], v[156:157]
	v_add_f64_e32 v[192:193], v[192:193], v[194:195]
	ds_load_b128 v[4:7], v2 offset:1216
	ds_load_b128 v[156:159], v2 offset:1232
	scratch_load_b128 v[160:163], off, off offset:400
	v_fmac_f64_e32 v[196:197], v[150:151], v[164:165]
	v_fma_f64 v[164:165], v[148:149], v[164:165], -v[166:167]
	scratch_load_b128 v[148:151], off, off offset:416
	s_wait_loadcnt_dscnt 0xc01
	v_mul_f64_e32 v[194:195], v[4:5], v[174:175]
	v_mul_f64_e32 v[174:175], v[6:7], v[174:175]
	;; [unrolled: 18-line block ×5, first 2 shown]
	v_add_f64_e32 v[186:187], v[202:203], v[200:201]
	v_add_f64_e32 v[192:193], v[192:193], v[198:199]
	s_wait_loadcnt_dscnt 0xa00
	v_mul_f64_e32 v[198:199], v[164:165], v[14:15]
	v_mul_f64_e32 v[14:15], v[166:167], v[14:15]
	v_fmac_f64_e32 v[194:195], v[6:7], v[168:169]
	v_fma_f64 v[200:201], v[4:5], v[168:169], -v[170:171]
	ds_load_b128 v[4:7], v2 offset:1344
	ds_load_b128 v[168:171], v2 offset:1360
	v_add_f64_e32 v[202:203], v[186:187], v[184:185]
	v_add_f64_e32 v[192:193], v[192:193], v[196:197]
	scratch_load_b128 v[184:187], off, off offset:528
	v_fmac_f64_e32 v[198:199], v[166:167], v[12:13]
	v_fma_f64 v[164:165], v[164:165], v[12:13], -v[14:15]
	scratch_load_b128 v[12:15], off, off offset:544
	s_wait_loadcnt_dscnt 0xb01
	v_mul_f64_e32 v[196:197], v[4:5], v[154:155]
	v_mul_f64_e32 v[154:155], v[6:7], v[154:155]
	v_add_f64_e32 v[166:167], v[202:203], v[200:201]
	v_add_f64_e32 v[192:193], v[192:193], v[194:195]
	s_wait_loadcnt_dscnt 0xa00
	v_mul_f64_e32 v[194:195], v[168:169], v[146:147]
	v_mul_f64_e32 v[146:147], v[170:171], v[146:147]
	v_fmac_f64_e32 v[196:197], v[6:7], v[152:153]
	v_fma_f64 v[200:201], v[4:5], v[152:153], -v[154:155]
	ds_load_b128 v[4:7], v2 offset:1376
	ds_load_b128 v[152:155], v2 offset:1392
	v_add_f64_e32 v[202:203], v[166:167], v[164:165]
	v_add_f64_e32 v[192:193], v[192:193], v[198:199]
	scratch_load_b128 v[164:167], off, off offset:560
	s_wait_loadcnt_dscnt 0xa01
	v_mul_f64_e32 v[198:199], v[4:5], v[162:163]
	v_mul_f64_e32 v[162:163], v[6:7], v[162:163]
	v_fmac_f64_e32 v[194:195], v[170:171], v[144:145]
	v_fma_f64 v[168:169], v[168:169], v[144:145], -v[146:147]
	scratch_load_b128 v[144:147], off, off offset:576
	v_add_f64_e32 v[170:171], v[202:203], v[200:201]
	v_add_f64_e32 v[192:193], v[192:193], v[196:197]
	s_wait_loadcnt_dscnt 0xa00
	v_mul_f64_e32 v[196:197], v[152:153], v[150:151]
	v_mul_f64_e32 v[150:151], v[154:155], v[150:151]
	v_fmac_f64_e32 v[198:199], v[6:7], v[160:161]
	v_fma_f64 v[200:201], v[4:5], v[160:161], -v[162:163]
	ds_load_b128 v[4:7], v2 offset:1408
	ds_load_b128 v[160:163], v2 offset:1424
	v_add_f64_e32 v[202:203], v[170:171], v[168:169]
	v_add_f64_e32 v[192:193], v[192:193], v[194:195]
	scratch_load_b128 v[168:171], off, off offset:592
	s_wait_loadcnt_dscnt 0xa01
	v_mul_f64_e32 v[194:195], v[4:5], v[174:175]
	v_mul_f64_e32 v[174:175], v[6:7], v[174:175]
	v_fmac_f64_e32 v[196:197], v[154:155], v[148:149]
	v_fma_f64 v[152:153], v[152:153], v[148:149], -v[150:151]
	scratch_load_b128 v[148:151], off, off offset:608
	v_add_f64_e32 v[154:155], v[202:203], v[200:201]
	v_add_f64_e32 v[192:193], v[192:193], v[198:199]
	s_wait_loadcnt_dscnt 0xa00
	v_mul_f64_e32 v[198:199], v[160:161], v[158:159]
	v_mul_f64_e32 v[158:159], v[162:163], v[158:159]
	v_fmac_f64_e32 v[194:195], v[6:7], v[172:173]
	v_fma_f64 v[200:201], v[4:5], v[172:173], -v[174:175]
	v_add_f64_e32 v[202:203], v[154:155], v[152:153]
	v_add_f64_e32 v[192:193], v[192:193], v[196:197]
	ds_load_b128 v[4:7], v2 offset:1440
	ds_load_b128 v[152:155], v2 offset:1456
	scratch_load_b128 v[172:175], off, off offset:624
	v_fmac_f64_e32 v[198:199], v[162:163], v[156:157]
	v_fma_f64 v[160:161], v[160:161], v[156:157], -v[158:159]
	scratch_load_b128 v[156:159], off, off offset:640
	s_wait_loadcnt_dscnt 0xb01
	v_mul_f64_e32 v[196:197], v[4:5], v[190:191]
	v_mul_f64_e32 v[190:191], v[6:7], v[190:191]
	v_add_f64_e32 v[162:163], v[202:203], v[200:201]
	v_add_f64_e32 v[192:193], v[192:193], v[194:195]
	s_wait_loadcnt_dscnt 0xa00
	v_mul_f64_e32 v[194:195], v[152:153], v[10:11]
	v_mul_f64_e32 v[10:11], v[154:155], v[10:11]
	v_fmac_f64_e32 v[196:197], v[6:7], v[188:189]
	v_fma_f64 v[200:201], v[4:5], v[188:189], -v[190:191]
	v_add_f64_e32 v[202:203], v[162:163], v[160:161]
	v_add_f64_e32 v[192:193], v[192:193], v[198:199]
	ds_load_b128 v[4:7], v2 offset:1472
	ds_load_b128 v[160:163], v2 offset:1488
	scratch_load_b128 v[188:191], off, off offset:656
	v_fmac_f64_e32 v[194:195], v[154:155], v[8:9]
	v_fma_f64 v[152:153], v[152:153], v[8:9], -v[10:11]
	scratch_load_b128 v[8:11], off, off offset:672
	s_wait_loadcnt_dscnt 0xb01
	v_mul_f64_e32 v[198:199], v[4:5], v[178:179]
	v_mul_f64_e32 v[178:179], v[6:7], v[178:179]
	;; [unrolled: 18-line block ×11, first 2 shown]
	v_add_f64_e32 v[162:163], v[202:203], v[200:201]
	v_add_f64_e32 v[192:193], v[192:193], v[196:197]
	s_wait_loadcnt_dscnt 0xa00
	v_mul_f64_e32 v[196:197], v[152:153], v[150:151]
	v_mul_f64_e32 v[150:151], v[154:155], v[150:151]
	v_fmac_f64_e32 v[198:199], v[6:7], v[168:169]
	v_fma_f64 v[168:169], v[4:5], v[168:169], -v[170:171]
	v_add_f64_e32 v[170:171], v[162:163], v[160:161]
	v_add_f64_e32 v[192:193], v[192:193], v[194:195]
	ds_load_b128 v[4:7], v2 offset:1792
	ds_load_b128 v[160:163], v2 offset:1808
	v_fmac_f64_e32 v[196:197], v[154:155], v[148:149]
	v_fma_f64 v[148:149], v[152:153], v[148:149], -v[150:151]
	s_wait_loadcnt_dscnt 0x901
	v_mul_f64_e32 v[194:195], v[4:5], v[174:175]
	v_mul_f64_e32 v[174:175], v[6:7], v[174:175]
	s_wait_loadcnt_dscnt 0x800
	v_mul_f64_e32 v[154:155], v[160:161], v[158:159]
	v_mul_f64_e32 v[158:159], v[162:163], v[158:159]
	v_add_f64_e32 v[150:151], v[170:171], v[168:169]
	v_add_f64_e32 v[152:153], v[192:193], v[198:199]
	v_fmac_f64_e32 v[194:195], v[6:7], v[172:173]
	v_fma_f64 v[168:169], v[4:5], v[172:173], -v[174:175]
	v_fmac_f64_e32 v[154:155], v[162:163], v[156:157]
	v_fma_f64 v[156:157], v[160:161], v[156:157], -v[158:159]
	v_add_f64_e32 v[170:171], v[150:151], v[148:149]
	v_add_f64_e32 v[152:153], v[152:153], v[196:197]
	ds_load_b128 v[4:7], v2 offset:1824
	ds_load_b128 v[148:151], v2 offset:1840
	s_wait_loadcnt_dscnt 0x701
	v_mul_f64_e32 v[172:173], v[4:5], v[190:191]
	v_mul_f64_e32 v[174:175], v[6:7], v[190:191]
	s_wait_loadcnt_dscnt 0x600
	v_mul_f64_e32 v[160:161], v[148:149], v[10:11]
	v_mul_f64_e32 v[10:11], v[150:151], v[10:11]
	v_add_f64_e32 v[158:159], v[170:171], v[168:169]
	v_add_f64_e32 v[152:153], v[152:153], v[194:195]
	v_fmac_f64_e32 v[172:173], v[6:7], v[188:189]
	v_fma_f64 v[162:163], v[4:5], v[188:189], -v[174:175]
	v_fmac_f64_e32 v[160:161], v[150:151], v[8:9]
	v_fma_f64 v[8:9], v[148:149], v[8:9], -v[10:11]
	v_add_f64_e32 v[156:157], v[158:159], v[156:157]
	v_add_f64_e32 v[158:159], v[152:153], v[154:155]
	ds_load_b128 v[4:7], v2 offset:1856
	ds_load_b128 v[152:155], v2 offset:1872
	;; [unrolled: 16-line block ×4, first 2 shown]
	s_wait_loadcnt_dscnt 0x101
	v_mul_f64_e32 v[2:3], v[4:5], v[166:167]
	v_mul_f64_e32 v[150:151], v[6:7], v[166:167]
	s_wait_loadcnt_dscnt 0x0
	v_mul_f64_e32 v[14:15], v[140:141], v[146:147]
	v_mul_f64_e32 v[146:147], v[142:143], v[146:147]
	v_add_f64_e32 v[10:11], v[156:157], v[154:155]
	v_add_f64_e32 v[12:13], v[148:149], v[160:161]
	v_fmac_f64_e32 v[2:3], v[6:7], v[164:165]
	v_fma_f64 v[4:5], v[4:5], v[164:165], -v[150:151]
	v_fmac_f64_e32 v[14:15], v[142:143], v[144:145]
	v_add_f64_e32 v[6:7], v[10:11], v[8:9]
	v_add_f64_e32 v[8:9], v[12:13], v[152:153]
	v_fma_f64 v[10:11], v[140:141], v[144:145], -v[146:147]
	s_delay_alu instid0(VALU_DEP_3) | instskip(NEXT) | instid1(VALU_DEP_3)
	v_add_f64_e32 v[4:5], v[6:7], v[4:5]
	v_add_f64_e32 v[2:3], v[8:9], v[2:3]
	s_delay_alu instid0(VALU_DEP_2) | instskip(NEXT) | instid1(VALU_DEP_2)
	v_add_f64_e32 v[4:5], v[4:5], v[10:11]
	v_add_f64_e32 v[6:7], v[2:3], v[14:15]
	s_delay_alu instid0(VALU_DEP_2) | instskip(NEXT) | instid1(VALU_DEP_2)
	v_add_f64_e64 v[2:3], v[180:181], -v[4:5]
	v_add_f64_e64 v[4:5], v[182:183], -v[6:7]
	scratch_store_b128 off, v[2:5], off offset:64
	s_wait_xcnt 0x0
	v_cmpx_lt_u32_e32 3, v1
	s_cbranch_execz .LBB124_385
; %bb.384:
	scratch_load_b128 v[2:5], off, s16
	v_mov_b32_e32 v6, 0
	s_delay_alu instid0(VALU_DEP_1)
	v_dual_mov_b32 v7, v6 :: v_dual_mov_b32 v8, v6
	v_mov_b32_e32 v9, v6
	scratch_store_b128 off, v[6:9], off offset:48
	s_wait_loadcnt 0x0
	ds_store_b128 v138, v[2:5]
.LBB124_385:
	s_wait_xcnt 0x0
	s_or_b32 exec_lo, exec_lo, s2
	s_wait_storecnt_dscnt 0x0
	s_barrier_signal -1
	s_barrier_wait -1
	s_clause 0x9
	scratch_load_b128 v[4:7], off, off offset:64
	scratch_load_b128 v[8:11], off, off offset:80
	;; [unrolled: 1-line block ×10, first 2 shown]
	v_mov_b32_e32 v2, 0
	s_mov_b32 s2, exec_lo
	ds_load_b128 v[168:171], v2 offset:1040
	s_clause 0x2
	scratch_load_b128 v[172:175], off, off offset:224
	scratch_load_b128 v[176:179], off, off offset:48
	;; [unrolled: 1-line block ×3, first 2 shown]
	s_wait_loadcnt_dscnt 0xc00
	v_mul_f64_e32 v[188:189], v[170:171], v[6:7]
	v_mul_f64_e32 v[192:193], v[168:169], v[6:7]
	ds_load_b128 v[180:183], v2 offset:1056
	v_fma_f64 v[196:197], v[168:169], v[4:5], -v[188:189]
	v_fmac_f64_e32 v[192:193], v[170:171], v[4:5]
	ds_load_b128 v[4:7], v2 offset:1072
	s_wait_loadcnt_dscnt 0xb01
	v_mul_f64_e32 v[194:195], v[180:181], v[10:11]
	v_mul_f64_e32 v[10:11], v[182:183], v[10:11]
	scratch_load_b128 v[168:171], off, off offset:256
	ds_load_b128 v[188:191], v2 offset:1088
	s_wait_loadcnt_dscnt 0xb01
	v_mul_f64_e32 v[198:199], v[4:5], v[14:15]
	v_mul_f64_e32 v[14:15], v[6:7], v[14:15]
	v_add_f64_e32 v[192:193], 0, v[192:193]
	v_fmac_f64_e32 v[194:195], v[182:183], v[8:9]
	v_fma_f64 v[180:181], v[180:181], v[8:9], -v[10:11]
	v_add_f64_e32 v[182:183], 0, v[196:197]
	scratch_load_b128 v[8:11], off, off offset:272
	v_fmac_f64_e32 v[198:199], v[6:7], v[12:13]
	v_fma_f64 v[200:201], v[4:5], v[12:13], -v[14:15]
	ds_load_b128 v[4:7], v2 offset:1104
	s_wait_loadcnt_dscnt 0xb01
	v_mul_f64_e32 v[196:197], v[188:189], v[142:143]
	v_mul_f64_e32 v[142:143], v[190:191], v[142:143]
	scratch_load_b128 v[12:15], off, off offset:288
	v_add_f64_e32 v[192:193], v[192:193], v[194:195]
	v_add_f64_e32 v[202:203], v[182:183], v[180:181]
	ds_load_b128 v[180:183], v2 offset:1120
	s_wait_loadcnt_dscnt 0xb01
	v_mul_f64_e32 v[194:195], v[4:5], v[146:147]
	v_mul_f64_e32 v[146:147], v[6:7], v[146:147]
	v_fmac_f64_e32 v[196:197], v[190:191], v[140:141]
	v_fma_f64 v[188:189], v[188:189], v[140:141], -v[142:143]
	scratch_load_b128 v[140:143], off, off offset:304
	v_add_f64_e32 v[192:193], v[192:193], v[198:199]
	v_add_f64_e32 v[190:191], v[202:203], v[200:201]
	v_fmac_f64_e32 v[194:195], v[6:7], v[144:145]
	v_fma_f64 v[200:201], v[4:5], v[144:145], -v[146:147]
	ds_load_b128 v[4:7], v2 offset:1136
	s_wait_loadcnt_dscnt 0xb01
	v_mul_f64_e32 v[198:199], v[180:181], v[150:151]
	v_mul_f64_e32 v[150:151], v[182:183], v[150:151]
	scratch_load_b128 v[144:147], off, off offset:320
	v_add_f64_e32 v[192:193], v[192:193], v[196:197]
	s_wait_loadcnt_dscnt 0xb00
	v_mul_f64_e32 v[196:197], v[4:5], v[154:155]
	v_add_f64_e32 v[202:203], v[190:191], v[188:189]
	v_mul_f64_e32 v[154:155], v[6:7], v[154:155]
	ds_load_b128 v[188:191], v2 offset:1152
	v_fmac_f64_e32 v[198:199], v[182:183], v[148:149]
	v_fma_f64 v[180:181], v[180:181], v[148:149], -v[150:151]
	scratch_load_b128 v[148:151], off, off offset:336
	v_add_f64_e32 v[192:193], v[192:193], v[194:195]
	v_fmac_f64_e32 v[196:197], v[6:7], v[152:153]
	v_add_f64_e32 v[182:183], v[202:203], v[200:201]
	v_fma_f64 v[200:201], v[4:5], v[152:153], -v[154:155]
	ds_load_b128 v[4:7], v2 offset:1168
	s_wait_loadcnt_dscnt 0xb01
	v_mul_f64_e32 v[194:195], v[188:189], v[158:159]
	v_mul_f64_e32 v[158:159], v[190:191], v[158:159]
	scratch_load_b128 v[152:155], off, off offset:352
	v_add_f64_e32 v[192:193], v[192:193], v[198:199]
	s_wait_loadcnt_dscnt 0xb00
	v_mul_f64_e32 v[198:199], v[4:5], v[162:163]
	v_add_f64_e32 v[202:203], v[182:183], v[180:181]
	v_mul_f64_e32 v[162:163], v[6:7], v[162:163]
	ds_load_b128 v[180:183], v2 offset:1184
	v_fmac_f64_e32 v[194:195], v[190:191], v[156:157]
	v_fma_f64 v[188:189], v[188:189], v[156:157], -v[158:159]
	scratch_load_b128 v[156:159], off, off offset:368
	v_add_f64_e32 v[192:193], v[192:193], v[196:197]
	v_fmac_f64_e32 v[198:199], v[6:7], v[160:161]
	v_add_f64_e32 v[190:191], v[202:203], v[200:201]
	v_fma_f64 v[200:201], v[4:5], v[160:161], -v[162:163]
	ds_load_b128 v[4:7], v2 offset:1200
	s_wait_loadcnt_dscnt 0xb01
	v_mul_f64_e32 v[196:197], v[180:181], v[166:167]
	v_mul_f64_e32 v[166:167], v[182:183], v[166:167]
	scratch_load_b128 v[160:163], off, off offset:384
	v_add_f64_e32 v[192:193], v[192:193], v[194:195]
	s_wait_loadcnt_dscnt 0xb00
	v_mul_f64_e32 v[194:195], v[4:5], v[174:175]
	v_add_f64_e32 v[202:203], v[190:191], v[188:189]
	v_mul_f64_e32 v[174:175], v[6:7], v[174:175]
	ds_load_b128 v[188:191], v2 offset:1216
	v_fmac_f64_e32 v[196:197], v[182:183], v[164:165]
	v_fma_f64 v[180:181], v[180:181], v[164:165], -v[166:167]
	scratch_load_b128 v[164:167], off, off offset:400
	v_add_f64_e32 v[192:193], v[192:193], v[198:199]
	v_fmac_f64_e32 v[194:195], v[6:7], v[172:173]
	v_add_f64_e32 v[182:183], v[202:203], v[200:201]
	v_fma_f64 v[200:201], v[4:5], v[172:173], -v[174:175]
	ds_load_b128 v[4:7], v2 offset:1232
	s_wait_loadcnt_dscnt 0xa01
	v_mul_f64_e32 v[198:199], v[188:189], v[186:187]
	v_mul_f64_e32 v[186:187], v[190:191], v[186:187]
	scratch_load_b128 v[172:175], off, off offset:416
	v_add_f64_e32 v[192:193], v[192:193], v[196:197]
	v_add_f64_e32 v[202:203], v[182:183], v[180:181]
	s_wait_loadcnt_dscnt 0xa00
	v_mul_f64_e32 v[196:197], v[4:5], v[170:171]
	v_mul_f64_e32 v[170:171], v[6:7], v[170:171]
	v_fmac_f64_e32 v[198:199], v[190:191], v[184:185]
	v_fma_f64 v[188:189], v[188:189], v[184:185], -v[186:187]
	ds_load_b128 v[180:183], v2 offset:1248
	scratch_load_b128 v[184:187], off, off offset:432
	v_add_f64_e32 v[192:193], v[192:193], v[194:195]
	v_add_f64_e32 v[190:191], v[202:203], v[200:201]
	v_fmac_f64_e32 v[196:197], v[6:7], v[168:169]
	v_fma_f64 v[200:201], v[4:5], v[168:169], -v[170:171]
	ds_load_b128 v[4:7], v2 offset:1264
	s_wait_loadcnt_dscnt 0xa01
	v_mul_f64_e32 v[194:195], v[180:181], v[10:11]
	v_mul_f64_e32 v[10:11], v[182:183], v[10:11]
	scratch_load_b128 v[168:171], off, off offset:448
	v_add_f64_e32 v[192:193], v[192:193], v[198:199]
	s_wait_loadcnt_dscnt 0xa00
	v_mul_f64_e32 v[198:199], v[4:5], v[14:15]
	v_add_f64_e32 v[202:203], v[190:191], v[188:189]
	v_mul_f64_e32 v[14:15], v[6:7], v[14:15]
	ds_load_b128 v[188:191], v2 offset:1280
	v_fmac_f64_e32 v[194:195], v[182:183], v[8:9]
	v_fma_f64 v[180:181], v[180:181], v[8:9], -v[10:11]
	scratch_load_b128 v[8:11], off, off offset:464
	v_add_f64_e32 v[192:193], v[192:193], v[196:197]
	v_fmac_f64_e32 v[198:199], v[6:7], v[12:13]
	v_add_f64_e32 v[182:183], v[202:203], v[200:201]
	v_fma_f64 v[200:201], v[4:5], v[12:13], -v[14:15]
	ds_load_b128 v[4:7], v2 offset:1296
	s_wait_loadcnt_dscnt 0xa01
	v_mul_f64_e32 v[196:197], v[188:189], v[142:143]
	v_mul_f64_e32 v[142:143], v[190:191], v[142:143]
	scratch_load_b128 v[12:15], off, off offset:480
	v_add_f64_e32 v[192:193], v[192:193], v[194:195]
	s_wait_loadcnt_dscnt 0xa00
	v_mul_f64_e32 v[194:195], v[4:5], v[146:147]
	v_add_f64_e32 v[202:203], v[182:183], v[180:181]
	v_mul_f64_e32 v[146:147], v[6:7], v[146:147]
	ds_load_b128 v[180:183], v2 offset:1312
	v_fmac_f64_e32 v[196:197], v[190:191], v[140:141]
	v_fma_f64 v[188:189], v[188:189], v[140:141], -v[142:143]
	scratch_load_b128 v[140:143], off, off offset:496
	v_add_f64_e32 v[192:193], v[192:193], v[198:199]
	v_fmac_f64_e32 v[194:195], v[6:7], v[144:145]
	v_add_f64_e32 v[190:191], v[202:203], v[200:201]
	;; [unrolled: 18-line block ×16, first 2 shown]
	v_fma_f64 v[200:201], v[4:5], v[160:161], -v[162:163]
	ds_load_b128 v[4:7], v2 offset:1776
	s_wait_loadcnt_dscnt 0xa01
	v_mul_f64_e32 v[196:197], v[180:181], v[166:167]
	v_mul_f64_e32 v[166:167], v[182:183], v[166:167]
	scratch_load_b128 v[160:163], off, off offset:960
	v_add_f64_e32 v[192:193], v[192:193], v[194:195]
	s_wait_loadcnt_dscnt 0xa00
	v_mul_f64_e32 v[194:195], v[4:5], v[174:175]
	v_add_f64_e32 v[202:203], v[190:191], v[188:189]
	v_mul_f64_e32 v[174:175], v[6:7], v[174:175]
	ds_load_b128 v[188:191], v2 offset:1792
	v_fmac_f64_e32 v[196:197], v[182:183], v[164:165]
	v_fma_f64 v[164:165], v[180:181], v[164:165], -v[166:167]
	s_wait_loadcnt_dscnt 0x900
	v_mul_f64_e32 v[182:183], v[188:189], v[186:187]
	v_mul_f64_e32 v[186:187], v[190:191], v[186:187]
	v_add_f64_e32 v[180:181], v[192:193], v[198:199]
	v_fmac_f64_e32 v[194:195], v[6:7], v[172:173]
	v_add_f64_e32 v[166:167], v[202:203], v[200:201]
	v_fma_f64 v[172:173], v[4:5], v[172:173], -v[174:175]
	v_fmac_f64_e32 v[182:183], v[190:191], v[184:185]
	v_fma_f64 v[184:185], v[188:189], v[184:185], -v[186:187]
	v_add_f64_e32 v[180:181], v[180:181], v[196:197]
	v_add_f64_e32 v[174:175], v[166:167], v[164:165]
	ds_load_b128 v[4:7], v2 offset:1808
	ds_load_b128 v[164:167], v2 offset:1824
	s_wait_loadcnt_dscnt 0x801
	v_mul_f64_e32 v[192:193], v[4:5], v[170:171]
	v_mul_f64_e32 v[170:171], v[6:7], v[170:171]
	v_add_f64_e32 v[172:173], v[174:175], v[172:173]
	v_add_f64_e32 v[174:175], v[180:181], v[194:195]
	s_wait_loadcnt_dscnt 0x700
	v_mul_f64_e32 v[180:181], v[164:165], v[10:11]
	v_mul_f64_e32 v[10:11], v[166:167], v[10:11]
	v_fmac_f64_e32 v[192:193], v[6:7], v[168:169]
	v_fma_f64 v[186:187], v[4:5], v[168:169], -v[170:171]
	ds_load_b128 v[4:7], v2 offset:1840
	ds_load_b128 v[168:171], v2 offset:1856
	v_add_f64_e32 v[172:173], v[172:173], v[184:185]
	v_add_f64_e32 v[174:175], v[174:175], v[182:183]
	v_fmac_f64_e32 v[180:181], v[166:167], v[8:9]
	v_fma_f64 v[8:9], v[164:165], v[8:9], -v[10:11]
	s_wait_loadcnt_dscnt 0x601
	v_mul_f64_e32 v[182:183], v[4:5], v[14:15]
	v_mul_f64_e32 v[14:15], v[6:7], v[14:15]
	s_wait_loadcnt_dscnt 0x500
	v_mul_f64_e32 v[166:167], v[168:169], v[142:143]
	v_mul_f64_e32 v[142:143], v[170:171], v[142:143]
	v_add_f64_e32 v[10:11], v[172:173], v[186:187]
	v_add_f64_e32 v[164:165], v[174:175], v[192:193]
	v_fmac_f64_e32 v[182:183], v[6:7], v[12:13]
	v_fma_f64 v[12:13], v[4:5], v[12:13], -v[14:15]
	v_fmac_f64_e32 v[166:167], v[170:171], v[140:141]
	v_fma_f64 v[140:141], v[168:169], v[140:141], -v[142:143]
	v_add_f64_e32 v[14:15], v[10:11], v[8:9]
	v_add_f64_e32 v[164:165], v[164:165], v[180:181]
	ds_load_b128 v[4:7], v2 offset:1872
	ds_load_b128 v[8:11], v2 offset:1888
	s_wait_loadcnt_dscnt 0x401
	v_mul_f64_e32 v[172:173], v[4:5], v[146:147]
	v_mul_f64_e32 v[146:147], v[6:7], v[146:147]
	s_wait_loadcnt_dscnt 0x300
	v_mul_f64_e32 v[142:143], v[8:9], v[150:151]
	v_mul_f64_e32 v[150:151], v[10:11], v[150:151]
	v_add_f64_e32 v[12:13], v[14:15], v[12:13]
	v_add_f64_e32 v[14:15], v[164:165], v[182:183]
	v_fmac_f64_e32 v[172:173], v[6:7], v[144:145]
	v_fma_f64 v[144:145], v[4:5], v[144:145], -v[146:147]
	v_fmac_f64_e32 v[142:143], v[10:11], v[148:149]
	v_fma_f64 v[8:9], v[8:9], v[148:149], -v[150:151]
	v_add_f64_e32 v[140:141], v[12:13], v[140:141]
	v_add_f64_e32 v[146:147], v[14:15], v[166:167]
	ds_load_b128 v[4:7], v2 offset:1904
	ds_load_b128 v[12:15], v2 offset:1920
	s_wait_loadcnt_dscnt 0x201
	v_mul_f64_e32 v[164:165], v[4:5], v[154:155]
	v_mul_f64_e32 v[154:155], v[6:7], v[154:155]
	v_add_f64_e32 v[10:11], v[140:141], v[144:145]
	v_add_f64_e32 v[140:141], v[146:147], v[172:173]
	s_wait_loadcnt_dscnt 0x100
	v_mul_f64_e32 v[144:145], v[12:13], v[158:159]
	v_mul_f64_e32 v[146:147], v[14:15], v[158:159]
	v_fmac_f64_e32 v[164:165], v[6:7], v[152:153]
	v_fma_f64 v[148:149], v[4:5], v[152:153], -v[154:155]
	ds_load_b128 v[4:7], v2 offset:1936
	v_add_f64_e32 v[8:9], v[10:11], v[8:9]
	v_add_f64_e32 v[10:11], v[140:141], v[142:143]
	v_fmac_f64_e32 v[144:145], v[14:15], v[156:157]
	v_fma_f64 v[12:13], v[12:13], v[156:157], -v[146:147]
	s_wait_loadcnt_dscnt 0x0
	v_mul_f64_e32 v[140:141], v[4:5], v[162:163]
	v_mul_f64_e32 v[142:143], v[6:7], v[162:163]
	v_add_f64_e32 v[8:9], v[8:9], v[148:149]
	v_add_f64_e32 v[10:11], v[10:11], v[164:165]
	s_delay_alu instid0(VALU_DEP_4) | instskip(NEXT) | instid1(VALU_DEP_4)
	v_fmac_f64_e32 v[140:141], v[6:7], v[160:161]
	v_fma_f64 v[4:5], v[4:5], v[160:161], -v[142:143]
	s_delay_alu instid0(VALU_DEP_4) | instskip(NEXT) | instid1(VALU_DEP_4)
	v_add_f64_e32 v[6:7], v[8:9], v[12:13]
	v_add_f64_e32 v[8:9], v[10:11], v[144:145]
	s_delay_alu instid0(VALU_DEP_2) | instskip(NEXT) | instid1(VALU_DEP_2)
	v_add_f64_e32 v[4:5], v[6:7], v[4:5]
	v_add_f64_e32 v[6:7], v[8:9], v[140:141]
	s_delay_alu instid0(VALU_DEP_2) | instskip(NEXT) | instid1(VALU_DEP_2)
	v_add_f64_e64 v[4:5], v[176:177], -v[4:5]
	v_add_f64_e64 v[6:7], v[178:179], -v[6:7]
	scratch_store_b128 off, v[4:7], off offset:48
	s_wait_xcnt 0x0
	v_cmpx_lt_u32_e32 2, v1
	s_cbranch_execz .LBB124_387
; %bb.386:
	scratch_load_b128 v[6:9], off, s18
	v_dual_mov_b32 v3, v2 :: v_dual_mov_b32 v4, v2
	v_mov_b32_e32 v5, v2
	scratch_store_b128 off, v[2:5], off offset:32
	s_wait_loadcnt 0x0
	ds_store_b128 v138, v[6:9]
.LBB124_387:
	s_wait_xcnt 0x0
	s_or_b32 exec_lo, exec_lo, s2
	s_wait_storecnt_dscnt 0x0
	s_barrier_signal -1
	s_barrier_wait -1
	s_clause 0x9
	scratch_load_b128 v[4:7], off, off offset:48
	scratch_load_b128 v[8:11], off, off offset:64
	;; [unrolled: 1-line block ×10, first 2 shown]
	ds_load_b128 v[168:171], v2 offset:1024
	ds_load_b128 v[176:179], v2 offset:1040
	s_clause 0x2
	scratch_load_b128 v[172:175], off, off offset:208
	scratch_load_b128 v[180:183], off, off offset:32
	;; [unrolled: 1-line block ×3, first 2 shown]
	s_mov_b32 s2, exec_lo
	v_ashrrev_i32_e32 v21, 31, v20
	v_ashrrev_i32_e32 v25, 31, v24
	;; [unrolled: 1-line block ×3, first 2 shown]
	v_dual_ashrrev_i32 v33, 31, v32 :: v_dual_ashrrev_i32 v23, 31, v22
	v_dual_ashrrev_i32 v27, 31, v26 :: v_dual_ashrrev_i32 v37, 31, v36
	;; [unrolled: 1-line block ×8, first 2 shown]
	v_ashrrev_i32_e32 v65, 31, v64
	v_ashrrev_i32_e32 v69, 31, v68
	v_dual_ashrrev_i32 v73, 31, v72 :: v_dual_ashrrev_i32 v55, 31, v54
	v_ashrrev_i32_e32 v59, 31, v58
	v_ashrrev_i32_e32 v63, 31, v62
	v_dual_ashrrev_i32 v67, 31, v66 :: v_dual_ashrrev_i32 v77, 31, v76
	v_dual_ashrrev_i32 v81, 31, v80 :: v_dual_ashrrev_i32 v71, 31, v70
	;; [unrolled: 1-line block ×3, first 2 shown]
	v_ashrrev_i32_e32 v89, 31, v88
	v_dual_ashrrev_i32 v93, 31, v92 :: v_dual_ashrrev_i32 v79, 31, v78
	v_dual_ashrrev_i32 v97, 31, v96 :: v_dual_ashrrev_i32 v83, 31, v82
	v_ashrrev_i32_e32 v101, 31, v100
	v_dual_ashrrev_i32 v105, 31, v104 :: v_dual_ashrrev_i32 v87, 31, v86
	v_ashrrev_i32_e32 v91, 31, v90
	v_dual_ashrrev_i32 v95, 31, v94 :: v_dual_ashrrev_i32 v109, 31, v108
	v_dual_ashrrev_i32 v113, 31, v112 :: v_dual_ashrrev_i32 v99, 31, v98
	;; [unrolled: 1-line block ×3, first 2 shown]
	v_ashrrev_i32_e32 v121, 31, v120
	v_dual_ashrrev_i32 v125, 31, v124 :: v_dual_ashrrev_i32 v107, 31, v106
	v_dual_ashrrev_i32 v129, 31, v128 :: v_dual_ashrrev_i32 v111, 31, v110
	v_ashrrev_i32_e32 v133, 31, v132
	v_dual_ashrrev_i32 v137, 31, v136 :: v_dual_ashrrev_i32 v115, 31, v114
	v_ashrrev_i32_e32 v119, 31, v118
	v_ashrrev_i32_e32 v123, 31, v122
	;; [unrolled: 1-line block ×5, first 2 shown]
	s_wait_loadcnt_dscnt 0xc01
	v_mul_f64_e32 v[188:189], v[170:171], v[6:7]
	v_mul_f64_e32 v[192:193], v[168:169], v[6:7]
	s_wait_loadcnt_dscnt 0xb00
	v_mul_f64_e32 v[194:195], v[176:177], v[10:11]
	v_mul_f64_e32 v[10:11], v[178:179], v[10:11]
	s_delay_alu instid0(VALU_DEP_4) | instskip(NEXT) | instid1(VALU_DEP_4)
	v_fma_f64 v[196:197], v[168:169], v[4:5], -v[188:189]
	v_fmac_f64_e32 v[192:193], v[170:171], v[4:5]
	ds_load_b128 v[4:7], v2 offset:1056
	ds_load_b128 v[188:191], v2 offset:1072
	scratch_load_b128 v[168:171], off, off offset:240
	v_fmac_f64_e32 v[194:195], v[178:179], v[8:9]
	v_fma_f64 v[176:177], v[176:177], v[8:9], -v[10:11]
	scratch_load_b128 v[8:11], off, off offset:256
	s_wait_loadcnt_dscnt 0xc01
	v_mul_f64_e32 v[198:199], v[4:5], v[14:15]
	v_mul_f64_e32 v[14:15], v[6:7], v[14:15]
	v_add_f64_e32 v[178:179], 0, v[196:197]
	v_add_f64_e32 v[192:193], 0, v[192:193]
	s_wait_loadcnt_dscnt 0xb00
	v_mul_f64_e32 v[196:197], v[188:189], v[142:143]
	v_mul_f64_e32 v[142:143], v[190:191], v[142:143]
	v_fmac_f64_e32 v[198:199], v[6:7], v[12:13]
	v_fma_f64 v[200:201], v[4:5], v[12:13], -v[14:15]
	ds_load_b128 v[4:7], v2 offset:1088
	scratch_load_b128 v[12:15], off, off offset:272
	v_add_f64_e32 v[202:203], v[178:179], v[176:177]
	v_add_f64_e32 v[192:193], v[192:193], v[194:195]
	ds_load_b128 v[176:179], v2 offset:1104
	v_fmac_f64_e32 v[196:197], v[190:191], v[140:141]
	v_fma_f64 v[188:189], v[188:189], v[140:141], -v[142:143]
	scratch_load_b128 v[140:143], off, off offset:288
	s_wait_loadcnt_dscnt 0xc01
	v_mul_f64_e32 v[194:195], v[4:5], v[146:147]
	v_mul_f64_e32 v[146:147], v[6:7], v[146:147]
	v_add_f64_e32 v[190:191], v[202:203], v[200:201]
	v_add_f64_e32 v[192:193], v[192:193], v[198:199]
	s_wait_loadcnt_dscnt 0xb00
	v_mul_f64_e32 v[198:199], v[176:177], v[150:151]
	v_mul_f64_e32 v[150:151], v[178:179], v[150:151]
	v_fmac_f64_e32 v[194:195], v[6:7], v[144:145]
	v_fma_f64 v[200:201], v[4:5], v[144:145], -v[146:147]
	ds_load_b128 v[4:7], v2 offset:1120
	scratch_load_b128 v[144:147], off, off offset:304
	v_add_f64_e32 v[202:203], v[190:191], v[188:189]
	v_add_f64_e32 v[192:193], v[192:193], v[196:197]
	ds_load_b128 v[188:191], v2 offset:1136
	s_wait_loadcnt_dscnt 0xb01
	v_mul_f64_e32 v[196:197], v[4:5], v[154:155]
	v_mul_f64_e32 v[154:155], v[6:7], v[154:155]
	v_fmac_f64_e32 v[198:199], v[178:179], v[148:149]
	v_fma_f64 v[176:177], v[176:177], v[148:149], -v[150:151]
	scratch_load_b128 v[148:151], off, off offset:320
	v_add_f64_e32 v[178:179], v[202:203], v[200:201]
	v_add_f64_e32 v[192:193], v[192:193], v[194:195]
	s_wait_loadcnt_dscnt 0xb00
	v_mul_f64_e32 v[194:195], v[188:189], v[158:159]
	v_mul_f64_e32 v[158:159], v[190:191], v[158:159]
	v_fmac_f64_e32 v[196:197], v[6:7], v[152:153]
	v_fma_f64 v[200:201], v[4:5], v[152:153], -v[154:155]
	ds_load_b128 v[4:7], v2 offset:1152
	scratch_load_b128 v[152:155], off, off offset:336
	v_add_f64_e32 v[202:203], v[178:179], v[176:177]
	v_add_f64_e32 v[192:193], v[192:193], v[198:199]
	ds_load_b128 v[176:179], v2 offset:1168
	s_wait_loadcnt_dscnt 0xb01
	v_mul_f64_e32 v[198:199], v[4:5], v[162:163]
	v_mul_f64_e32 v[162:163], v[6:7], v[162:163]
	v_fmac_f64_e32 v[194:195], v[190:191], v[156:157]
	v_fma_f64 v[188:189], v[188:189], v[156:157], -v[158:159]
	scratch_load_b128 v[156:159], off, off offset:352
	;; [unrolled: 18-line block ×3, first 2 shown]
	v_add_f64_e32 v[178:179], v[202:203], v[200:201]
	v_add_f64_e32 v[192:193], v[192:193], v[198:199]
	s_wait_loadcnt_dscnt 0xa00
	v_mul_f64_e32 v[198:199], v[188:189], v[186:187]
	v_mul_f64_e32 v[186:187], v[190:191], v[186:187]
	v_fmac_f64_e32 v[194:195], v[6:7], v[172:173]
	v_fma_f64 v[200:201], v[4:5], v[172:173], -v[174:175]
	ds_load_b128 v[4:7], v2 offset:1216
	scratch_load_b128 v[172:175], off, off offset:400
	v_add_f64_e32 v[202:203], v[178:179], v[176:177]
	v_add_f64_e32 v[192:193], v[192:193], v[196:197]
	ds_load_b128 v[176:179], v2 offset:1232
	v_fmac_f64_e32 v[198:199], v[190:191], v[184:185]
	s_wait_loadcnt_dscnt 0xa01
	v_mul_f64_e32 v[196:197], v[4:5], v[170:171]
	v_mul_f64_e32 v[170:171], v[6:7], v[170:171]
	v_fma_f64 v[188:189], v[188:189], v[184:185], -v[186:187]
	scratch_load_b128 v[184:187], off, off offset:416
	v_add_f64_e32 v[190:191], v[202:203], v[200:201]
	v_add_f64_e32 v[192:193], v[192:193], v[194:195]
	s_wait_loadcnt_dscnt 0xa00
	v_mul_f64_e32 v[194:195], v[176:177], v[10:11]
	v_mul_f64_e32 v[10:11], v[178:179], v[10:11]
	v_fmac_f64_e32 v[196:197], v[6:7], v[168:169]
	v_fma_f64 v[200:201], v[4:5], v[168:169], -v[170:171]
	ds_load_b128 v[4:7], v2 offset:1248
	scratch_load_b128 v[168:171], off, off offset:432
	v_add_f64_e32 v[202:203], v[190:191], v[188:189]
	v_add_f64_e32 v[192:193], v[192:193], v[198:199]
	ds_load_b128 v[188:191], v2 offset:1264
	s_wait_loadcnt_dscnt 0xa01
	v_mul_f64_e32 v[198:199], v[4:5], v[14:15]
	v_mul_f64_e32 v[14:15], v[6:7], v[14:15]
	v_fmac_f64_e32 v[194:195], v[178:179], v[8:9]
	v_fma_f64 v[176:177], v[176:177], v[8:9], -v[10:11]
	scratch_load_b128 v[8:11], off, off offset:448
	v_add_f64_e32 v[178:179], v[202:203], v[200:201]
	v_add_f64_e32 v[192:193], v[192:193], v[196:197]
	s_wait_loadcnt_dscnt 0xa00
	v_mul_f64_e32 v[196:197], v[188:189], v[142:143]
	v_mul_f64_e32 v[142:143], v[190:191], v[142:143]
	v_fmac_f64_e32 v[198:199], v[6:7], v[12:13]
	v_fma_f64 v[200:201], v[4:5], v[12:13], -v[14:15]
	ds_load_b128 v[4:7], v2 offset:1280
	scratch_load_b128 v[12:15], off, off offset:464
	v_add_f64_e32 v[202:203], v[178:179], v[176:177]
	v_add_f64_e32 v[192:193], v[192:193], v[194:195]
	ds_load_b128 v[176:179], v2 offset:1296
	s_wait_loadcnt_dscnt 0xa01
	v_mul_f64_e32 v[194:195], v[4:5], v[146:147]
	v_mul_f64_e32 v[146:147], v[6:7], v[146:147]
	v_fmac_f64_e32 v[196:197], v[190:191], v[140:141]
	;; [unrolled: 18-line block ×17, first 2 shown]
	v_fma_f64 v[176:177], v[176:177], v[164:165], -v[166:167]
	scratch_load_b128 v[164:167], off, off offset:960
	v_add_f64_e32 v[178:179], v[202:203], v[200:201]
	v_add_f64_e32 v[192:193], v[192:193], v[198:199]
	s_wait_loadcnt_dscnt 0xa00
	v_mul_f64_e32 v[198:199], v[188:189], v[186:187]
	v_mul_f64_e32 v[186:187], v[190:191], v[186:187]
	v_fmac_f64_e32 v[194:195], v[6:7], v[172:173]
	v_fma_f64 v[200:201], v[4:5], v[172:173], -v[174:175]
	ds_load_b128 v[4:7], v2 offset:1792
	ds_load_b128 v[172:175], v2 offset:1808
	v_add_f64_e32 v[176:177], v[178:179], v[176:177]
	v_add_f64_e32 v[178:179], v[192:193], v[196:197]
	s_wait_loadcnt_dscnt 0x901
	v_mul_f64_e32 v[192:193], v[4:5], v[170:171]
	v_mul_f64_e32 v[170:171], v[6:7], v[170:171]
	v_fmac_f64_e32 v[198:199], v[190:191], v[184:185]
	v_fma_f64 v[184:185], v[188:189], v[184:185], -v[186:187]
	s_wait_loadcnt_dscnt 0x800
	v_mul_f64_e32 v[186:187], v[172:173], v[10:11]
	v_mul_f64_e32 v[10:11], v[174:175], v[10:11]
	v_add_f64_e32 v[176:177], v[176:177], v[200:201]
	v_add_f64_e32 v[178:179], v[178:179], v[194:195]
	v_fmac_f64_e32 v[192:193], v[6:7], v[168:169]
	v_fma_f64 v[188:189], v[4:5], v[168:169], -v[170:171]
	ds_load_b128 v[4:7], v2 offset:1824
	ds_load_b128 v[168:171], v2 offset:1840
	v_fmac_f64_e32 v[186:187], v[174:175], v[8:9]
	v_fma_f64 v[8:9], v[172:173], v[8:9], -v[10:11]
	v_add_f64_e32 v[176:177], v[176:177], v[184:185]
	v_add_f64_e32 v[178:179], v[178:179], v[198:199]
	s_wait_loadcnt_dscnt 0x701
	v_mul_f64_e32 v[184:185], v[4:5], v[14:15]
	v_mul_f64_e32 v[14:15], v[6:7], v[14:15]
	s_wait_loadcnt_dscnt 0x600
	v_mul_f64_e32 v[174:175], v[168:169], v[142:143]
	v_mul_f64_e32 v[142:143], v[170:171], v[142:143]
	v_add_f64_e32 v[10:11], v[176:177], v[188:189]
	v_add_f64_e32 v[172:173], v[178:179], v[192:193]
	v_fmac_f64_e32 v[184:185], v[6:7], v[12:13]
	v_fma_f64 v[12:13], v[4:5], v[12:13], -v[14:15]
	v_fmac_f64_e32 v[174:175], v[170:171], v[140:141]
	v_fma_f64 v[140:141], v[168:169], v[140:141], -v[142:143]
	v_add_f64_e32 v[14:15], v[10:11], v[8:9]
	v_add_f64_e32 v[172:173], v[172:173], v[186:187]
	ds_load_b128 v[4:7], v2 offset:1856
	ds_load_b128 v[8:11], v2 offset:1872
	s_wait_loadcnt_dscnt 0x501
	v_mul_f64_e32 v[176:177], v[4:5], v[146:147]
	v_mul_f64_e32 v[146:147], v[6:7], v[146:147]
	s_wait_loadcnt_dscnt 0x400
	v_mul_f64_e32 v[142:143], v[8:9], v[150:151]
	v_mul_f64_e32 v[150:151], v[10:11], v[150:151]
	v_add_f64_e32 v[12:13], v[14:15], v[12:13]
	v_add_f64_e32 v[14:15], v[172:173], v[184:185]
	v_fmac_f64_e32 v[176:177], v[6:7], v[144:145]
	v_fma_f64 v[144:145], v[4:5], v[144:145], -v[146:147]
	v_fmac_f64_e32 v[142:143], v[10:11], v[148:149]
	v_fma_f64 v[8:9], v[8:9], v[148:149], -v[150:151]
	v_add_f64_e32 v[140:141], v[12:13], v[140:141]
	v_add_f64_e32 v[146:147], v[14:15], v[174:175]
	ds_load_b128 v[4:7], v2 offset:1888
	ds_load_b128 v[12:15], v2 offset:1904
	s_wait_loadcnt_dscnt 0x301
	v_mul_f64_e32 v[168:169], v[4:5], v[154:155]
	v_mul_f64_e32 v[154:155], v[6:7], v[154:155]
	v_add_f64_e32 v[10:11], v[140:141], v[144:145]
	v_add_f64_e32 v[140:141], v[146:147], v[176:177]
	s_wait_loadcnt_dscnt 0x200
	v_mul_f64_e32 v[144:145], v[12:13], v[158:159]
	v_mul_f64_e32 v[146:147], v[14:15], v[158:159]
	v_fmac_f64_e32 v[168:169], v[6:7], v[152:153]
	v_fma_f64 v[148:149], v[4:5], v[152:153], -v[154:155]
	v_add_f64_e32 v[150:151], v[10:11], v[8:9]
	v_add_f64_e32 v[140:141], v[140:141], v[142:143]
	ds_load_b128 v[4:7], v2 offset:1920
	ds_load_b128 v[8:11], v2 offset:1936
	v_fmac_f64_e32 v[144:145], v[14:15], v[156:157]
	v_fma_f64 v[12:13], v[12:13], v[156:157], -v[146:147]
	s_wait_loadcnt_dscnt 0x101
	v_mul_f64_e32 v[2:3], v[4:5], v[162:163]
	v_mul_f64_e32 v[142:143], v[6:7], v[162:163]
	s_wait_loadcnt_dscnt 0x0
	v_mul_f64_e32 v[146:147], v[8:9], v[166:167]
	v_add_f64_e32 v[14:15], v[150:151], v[148:149]
	v_add_f64_e32 v[140:141], v[140:141], v[168:169]
	v_mul_f64_e32 v[148:149], v[10:11], v[166:167]
	v_fmac_f64_e32 v[2:3], v[6:7], v[160:161]
	v_fma_f64 v[4:5], v[4:5], v[160:161], -v[142:143]
	v_fmac_f64_e32 v[146:147], v[10:11], v[164:165]
	v_add_f64_e32 v[6:7], v[14:15], v[12:13]
	v_add_f64_e32 v[12:13], v[140:141], v[144:145]
	v_fma_f64 v[8:9], v[8:9], v[164:165], -v[148:149]
	s_delay_alu instid0(VALU_DEP_3) | instskip(NEXT) | instid1(VALU_DEP_3)
	v_add_f64_e32 v[4:5], v[6:7], v[4:5]
	v_add_f64_e32 v[2:3], v[12:13], v[2:3]
	s_delay_alu instid0(VALU_DEP_2) | instskip(NEXT) | instid1(VALU_DEP_2)
	v_add_f64_e32 v[4:5], v[4:5], v[8:9]
	v_add_f64_e32 v[6:7], v[2:3], v[146:147]
	s_delay_alu instid0(VALU_DEP_2) | instskip(NEXT) | instid1(VALU_DEP_2)
	v_add_f64_e64 v[2:3], v[180:181], -v[4:5]
	v_add_f64_e64 v[4:5], v[182:183], -v[6:7]
	scratch_store_b128 off, v[2:5], off offset:32
	s_wait_xcnt 0x0
	v_cmpx_lt_u32_e32 1, v1
	s_cbranch_execz .LBB124_389
; %bb.388:
	scratch_load_b128 v[2:5], off, s20
	v_mov_b32_e32 v6, 0
	s_delay_alu instid0(VALU_DEP_1)
	v_dual_mov_b32 v7, v6 :: v_dual_mov_b32 v8, v6
	v_mov_b32_e32 v9, v6
	scratch_store_b128 off, v[6:9], off offset:16
	s_wait_loadcnt 0x0
	ds_store_b128 v138, v[2:5]
.LBB124_389:
	s_wait_xcnt 0x0
	s_or_b32 exec_lo, exec_lo, s2
	s_wait_storecnt_dscnt 0x0
	s_barrier_signal -1
	s_barrier_wait -1
	s_clause 0x9
	scratch_load_b128 v[4:7], off, off offset:32
	scratch_load_b128 v[8:11], off, off offset:48
	;; [unrolled: 1-line block ×10, first 2 shown]
	v_mov_b32_e32 v2, 0
	s_mov_b32 s2, exec_lo
	ds_load_b128 v[168:171], v2 offset:1008
	s_clause 0x2
	scratch_load_b128 v[172:175], off, off offset:192
	scratch_load_b128 v[176:179], off, off offset:16
	;; [unrolled: 1-line block ×3, first 2 shown]
	s_wait_loadcnt_dscnt 0xc00
	v_mul_f64_e32 v[188:189], v[170:171], v[6:7]
	v_mul_f64_e32 v[192:193], v[168:169], v[6:7]
	ds_load_b128 v[180:183], v2 offset:1024
	v_fma_f64 v[196:197], v[168:169], v[4:5], -v[188:189]
	v_fmac_f64_e32 v[192:193], v[170:171], v[4:5]
	ds_load_b128 v[4:7], v2 offset:1040
	s_wait_loadcnt_dscnt 0xb01
	v_mul_f64_e32 v[194:195], v[180:181], v[10:11]
	v_mul_f64_e32 v[10:11], v[182:183], v[10:11]
	scratch_load_b128 v[168:171], off, off offset:224
	ds_load_b128 v[188:191], v2 offset:1056
	s_wait_loadcnt_dscnt 0xb01
	v_mul_f64_e32 v[198:199], v[4:5], v[14:15]
	v_mul_f64_e32 v[14:15], v[6:7], v[14:15]
	v_add_f64_e32 v[192:193], 0, v[192:193]
	v_fmac_f64_e32 v[194:195], v[182:183], v[8:9]
	v_fma_f64 v[180:181], v[180:181], v[8:9], -v[10:11]
	v_add_f64_e32 v[182:183], 0, v[196:197]
	scratch_load_b128 v[8:11], off, off offset:240
	v_fmac_f64_e32 v[198:199], v[6:7], v[12:13]
	v_fma_f64 v[200:201], v[4:5], v[12:13], -v[14:15]
	ds_load_b128 v[4:7], v2 offset:1072
	s_wait_loadcnt_dscnt 0xb01
	v_mul_f64_e32 v[196:197], v[188:189], v[142:143]
	v_mul_f64_e32 v[142:143], v[190:191], v[142:143]
	scratch_load_b128 v[12:15], off, off offset:256
	v_add_f64_e32 v[192:193], v[192:193], v[194:195]
	v_add_f64_e32 v[202:203], v[182:183], v[180:181]
	ds_load_b128 v[180:183], v2 offset:1088
	s_wait_loadcnt_dscnt 0xb01
	v_mul_f64_e32 v[194:195], v[4:5], v[146:147]
	v_mul_f64_e32 v[146:147], v[6:7], v[146:147]
	v_fmac_f64_e32 v[196:197], v[190:191], v[140:141]
	v_fma_f64 v[188:189], v[188:189], v[140:141], -v[142:143]
	scratch_load_b128 v[140:143], off, off offset:272
	v_add_f64_e32 v[192:193], v[192:193], v[198:199]
	v_add_f64_e32 v[190:191], v[202:203], v[200:201]
	v_fmac_f64_e32 v[194:195], v[6:7], v[144:145]
	v_fma_f64 v[200:201], v[4:5], v[144:145], -v[146:147]
	ds_load_b128 v[4:7], v2 offset:1104
	s_wait_loadcnt_dscnt 0xb01
	v_mul_f64_e32 v[198:199], v[180:181], v[150:151]
	v_mul_f64_e32 v[150:151], v[182:183], v[150:151]
	scratch_load_b128 v[144:147], off, off offset:288
	v_add_f64_e32 v[192:193], v[192:193], v[196:197]
	s_wait_loadcnt_dscnt 0xb00
	v_mul_f64_e32 v[196:197], v[4:5], v[154:155]
	v_add_f64_e32 v[202:203], v[190:191], v[188:189]
	v_mul_f64_e32 v[154:155], v[6:7], v[154:155]
	ds_load_b128 v[188:191], v2 offset:1120
	v_fmac_f64_e32 v[198:199], v[182:183], v[148:149]
	v_fma_f64 v[180:181], v[180:181], v[148:149], -v[150:151]
	scratch_load_b128 v[148:151], off, off offset:304
	v_add_f64_e32 v[192:193], v[192:193], v[194:195]
	v_fmac_f64_e32 v[196:197], v[6:7], v[152:153]
	v_add_f64_e32 v[182:183], v[202:203], v[200:201]
	v_fma_f64 v[200:201], v[4:5], v[152:153], -v[154:155]
	ds_load_b128 v[4:7], v2 offset:1136
	s_wait_loadcnt_dscnt 0xb01
	v_mul_f64_e32 v[194:195], v[188:189], v[158:159]
	v_mul_f64_e32 v[158:159], v[190:191], v[158:159]
	scratch_load_b128 v[152:155], off, off offset:320
	v_add_f64_e32 v[192:193], v[192:193], v[198:199]
	s_wait_loadcnt_dscnt 0xb00
	v_mul_f64_e32 v[198:199], v[4:5], v[162:163]
	v_add_f64_e32 v[202:203], v[182:183], v[180:181]
	v_mul_f64_e32 v[162:163], v[6:7], v[162:163]
	ds_load_b128 v[180:183], v2 offset:1152
	v_fmac_f64_e32 v[194:195], v[190:191], v[156:157]
	v_fma_f64 v[188:189], v[188:189], v[156:157], -v[158:159]
	scratch_load_b128 v[156:159], off, off offset:336
	v_add_f64_e32 v[192:193], v[192:193], v[196:197]
	v_fmac_f64_e32 v[198:199], v[6:7], v[160:161]
	v_add_f64_e32 v[190:191], v[202:203], v[200:201]
	;; [unrolled: 18-line block ×3, first 2 shown]
	v_fma_f64 v[200:201], v[4:5], v[172:173], -v[174:175]
	ds_load_b128 v[4:7], v2 offset:1200
	s_wait_loadcnt_dscnt 0xa01
	v_mul_f64_e32 v[198:199], v[188:189], v[186:187]
	v_mul_f64_e32 v[186:187], v[190:191], v[186:187]
	scratch_load_b128 v[172:175], off, off offset:384
	v_add_f64_e32 v[192:193], v[192:193], v[196:197]
	v_add_f64_e32 v[202:203], v[182:183], v[180:181]
	s_wait_loadcnt_dscnt 0xa00
	v_mul_f64_e32 v[196:197], v[4:5], v[170:171]
	v_mul_f64_e32 v[170:171], v[6:7], v[170:171]
	v_fmac_f64_e32 v[198:199], v[190:191], v[184:185]
	v_fma_f64 v[188:189], v[188:189], v[184:185], -v[186:187]
	ds_load_b128 v[180:183], v2 offset:1216
	scratch_load_b128 v[184:187], off, off offset:400
	v_add_f64_e32 v[192:193], v[192:193], v[194:195]
	v_add_f64_e32 v[190:191], v[202:203], v[200:201]
	v_fmac_f64_e32 v[196:197], v[6:7], v[168:169]
	v_fma_f64 v[200:201], v[4:5], v[168:169], -v[170:171]
	ds_load_b128 v[4:7], v2 offset:1232
	s_wait_loadcnt_dscnt 0xa01
	v_mul_f64_e32 v[194:195], v[180:181], v[10:11]
	v_mul_f64_e32 v[10:11], v[182:183], v[10:11]
	scratch_load_b128 v[168:171], off, off offset:416
	v_add_f64_e32 v[192:193], v[192:193], v[198:199]
	s_wait_loadcnt_dscnt 0xa00
	v_mul_f64_e32 v[198:199], v[4:5], v[14:15]
	v_add_f64_e32 v[202:203], v[190:191], v[188:189]
	v_mul_f64_e32 v[14:15], v[6:7], v[14:15]
	ds_load_b128 v[188:191], v2 offset:1248
	v_fmac_f64_e32 v[194:195], v[182:183], v[8:9]
	v_fma_f64 v[180:181], v[180:181], v[8:9], -v[10:11]
	scratch_load_b128 v[8:11], off, off offset:432
	v_add_f64_e32 v[192:193], v[192:193], v[196:197]
	v_fmac_f64_e32 v[198:199], v[6:7], v[12:13]
	v_add_f64_e32 v[182:183], v[202:203], v[200:201]
	v_fma_f64 v[200:201], v[4:5], v[12:13], -v[14:15]
	ds_load_b128 v[4:7], v2 offset:1264
	s_wait_loadcnt_dscnt 0xa01
	v_mul_f64_e32 v[196:197], v[188:189], v[142:143]
	v_mul_f64_e32 v[142:143], v[190:191], v[142:143]
	scratch_load_b128 v[12:15], off, off offset:448
	v_add_f64_e32 v[192:193], v[192:193], v[194:195]
	s_wait_loadcnt_dscnt 0xa00
	v_mul_f64_e32 v[194:195], v[4:5], v[146:147]
	v_add_f64_e32 v[202:203], v[182:183], v[180:181]
	v_mul_f64_e32 v[146:147], v[6:7], v[146:147]
	ds_load_b128 v[180:183], v2 offset:1280
	v_fmac_f64_e32 v[196:197], v[190:191], v[140:141]
	v_fma_f64 v[188:189], v[188:189], v[140:141], -v[142:143]
	scratch_load_b128 v[140:143], off, off offset:464
	v_add_f64_e32 v[192:193], v[192:193], v[198:199]
	v_fmac_f64_e32 v[194:195], v[6:7], v[144:145]
	v_add_f64_e32 v[190:191], v[202:203], v[200:201]
	;; [unrolled: 18-line block ×17, first 2 shown]
	v_fma_f64 v[200:201], v[4:5], v[172:173], -v[174:175]
	ds_load_b128 v[4:7], v2 offset:1776
	s_wait_loadcnt_dscnt 0xa01
	v_mul_f64_e32 v[198:199], v[188:189], v[186:187]
	v_mul_f64_e32 v[186:187], v[190:191], v[186:187]
	scratch_load_b128 v[172:175], off, off offset:960
	v_add_f64_e32 v[192:193], v[192:193], v[196:197]
	s_wait_loadcnt_dscnt 0xa00
	v_mul_f64_e32 v[196:197], v[4:5], v[170:171]
	v_add_f64_e32 v[202:203], v[182:183], v[180:181]
	v_mul_f64_e32 v[170:171], v[6:7], v[170:171]
	ds_load_b128 v[180:183], v2 offset:1792
	v_fmac_f64_e32 v[198:199], v[190:191], v[184:185]
	v_fma_f64 v[184:185], v[188:189], v[184:185], -v[186:187]
	s_wait_loadcnt_dscnt 0x900
	v_mul_f64_e32 v[190:191], v[180:181], v[10:11]
	v_mul_f64_e32 v[10:11], v[182:183], v[10:11]
	v_add_f64_e32 v[188:189], v[192:193], v[194:195]
	v_fmac_f64_e32 v[196:197], v[6:7], v[168:169]
	v_add_f64_e32 v[186:187], v[202:203], v[200:201]
	v_fma_f64 v[192:193], v[4:5], v[168:169], -v[170:171]
	ds_load_b128 v[4:7], v2 offset:1808
	ds_load_b128 v[168:171], v2 offset:1824
	v_fmac_f64_e32 v[190:191], v[182:183], v[8:9]
	v_fma_f64 v[8:9], v[180:181], v[8:9], -v[10:11]
	v_add_f64_e32 v[184:185], v[186:187], v[184:185]
	v_add_f64_e32 v[186:187], v[188:189], v[198:199]
	s_wait_loadcnt_dscnt 0x801
	v_mul_f64_e32 v[188:189], v[4:5], v[14:15]
	v_mul_f64_e32 v[14:15], v[6:7], v[14:15]
	s_wait_loadcnt_dscnt 0x700
	v_mul_f64_e32 v[182:183], v[168:169], v[142:143]
	v_mul_f64_e32 v[142:143], v[170:171], v[142:143]
	v_add_f64_e32 v[10:11], v[184:185], v[192:193]
	v_add_f64_e32 v[180:181], v[186:187], v[196:197]
	v_fmac_f64_e32 v[188:189], v[6:7], v[12:13]
	v_fma_f64 v[12:13], v[4:5], v[12:13], -v[14:15]
	v_fmac_f64_e32 v[182:183], v[170:171], v[140:141]
	v_fma_f64 v[140:141], v[168:169], v[140:141], -v[142:143]
	v_add_f64_e32 v[14:15], v[10:11], v[8:9]
	v_add_f64_e32 v[180:181], v[180:181], v[190:191]
	ds_load_b128 v[4:7], v2 offset:1840
	ds_load_b128 v[8:11], v2 offset:1856
	s_wait_loadcnt_dscnt 0x601
	v_mul_f64_e32 v[184:185], v[4:5], v[146:147]
	v_mul_f64_e32 v[146:147], v[6:7], v[146:147]
	s_wait_loadcnt_dscnt 0x500
	v_mul_f64_e32 v[142:143], v[8:9], v[150:151]
	v_mul_f64_e32 v[150:151], v[10:11], v[150:151]
	v_add_f64_e32 v[12:13], v[14:15], v[12:13]
	v_add_f64_e32 v[14:15], v[180:181], v[188:189]
	v_fmac_f64_e32 v[184:185], v[6:7], v[144:145]
	v_fma_f64 v[144:145], v[4:5], v[144:145], -v[146:147]
	v_fmac_f64_e32 v[142:143], v[10:11], v[148:149]
	v_fma_f64 v[8:9], v[8:9], v[148:149], -v[150:151]
	v_add_f64_e32 v[140:141], v[12:13], v[140:141]
	v_add_f64_e32 v[146:147], v[14:15], v[182:183]
	ds_load_b128 v[4:7], v2 offset:1872
	ds_load_b128 v[12:15], v2 offset:1888
	s_wait_loadcnt_dscnt 0x401
	v_mul_f64_e32 v[168:169], v[4:5], v[154:155]
	v_mul_f64_e32 v[154:155], v[6:7], v[154:155]
	v_add_f64_e32 v[10:11], v[140:141], v[144:145]
	v_add_f64_e32 v[140:141], v[146:147], v[184:185]
	s_wait_loadcnt_dscnt 0x300
	v_mul_f64_e32 v[144:145], v[12:13], v[158:159]
	v_mul_f64_e32 v[146:147], v[14:15], v[158:159]
	v_fmac_f64_e32 v[168:169], v[6:7], v[152:153]
	v_fma_f64 v[148:149], v[4:5], v[152:153], -v[154:155]
	v_add_f64_e32 v[150:151], v[10:11], v[8:9]
	v_add_f64_e32 v[140:141], v[140:141], v[142:143]
	ds_load_b128 v[4:7], v2 offset:1904
	ds_load_b128 v[8:11], v2 offset:1920
	v_fmac_f64_e32 v[144:145], v[14:15], v[156:157]
	v_fma_f64 v[12:13], v[12:13], v[156:157], -v[146:147]
	s_wait_loadcnt_dscnt 0x201
	v_mul_f64_e32 v[142:143], v[4:5], v[162:163]
	v_mul_f64_e32 v[152:153], v[6:7], v[162:163]
	s_wait_loadcnt_dscnt 0x100
	v_mul_f64_e32 v[146:147], v[8:9], v[166:167]
	v_add_f64_e32 v[14:15], v[150:151], v[148:149]
	v_add_f64_e32 v[140:141], v[140:141], v[168:169]
	v_mul_f64_e32 v[148:149], v[10:11], v[166:167]
	v_fmac_f64_e32 v[142:143], v[6:7], v[160:161]
	v_fma_f64 v[150:151], v[4:5], v[160:161], -v[152:153]
	ds_load_b128 v[4:7], v2 offset:1936
	v_fmac_f64_e32 v[146:147], v[10:11], v[164:165]
	v_add_f64_e32 v[12:13], v[14:15], v[12:13]
	v_add_f64_e32 v[14:15], v[140:141], v[144:145]
	v_fma_f64 v[8:9], v[8:9], v[164:165], -v[148:149]
	s_wait_loadcnt_dscnt 0x0
	v_mul_f64_e32 v[140:141], v[4:5], v[174:175]
	v_mul_f64_e32 v[144:145], v[6:7], v[174:175]
	v_add_f64_e32 v[10:11], v[12:13], v[150:151]
	v_add_f64_e32 v[12:13], v[14:15], v[142:143]
	s_delay_alu instid0(VALU_DEP_4) | instskip(NEXT) | instid1(VALU_DEP_4)
	v_fmac_f64_e32 v[140:141], v[6:7], v[172:173]
	v_fma_f64 v[4:5], v[4:5], v[172:173], -v[144:145]
	s_delay_alu instid0(VALU_DEP_4) | instskip(NEXT) | instid1(VALU_DEP_4)
	v_add_f64_e32 v[6:7], v[10:11], v[8:9]
	v_add_f64_e32 v[8:9], v[12:13], v[146:147]
	s_delay_alu instid0(VALU_DEP_2) | instskip(NEXT) | instid1(VALU_DEP_2)
	v_add_f64_e32 v[4:5], v[6:7], v[4:5]
	v_add_f64_e32 v[6:7], v[8:9], v[140:141]
	s_delay_alu instid0(VALU_DEP_2) | instskip(NEXT) | instid1(VALU_DEP_2)
	v_add_f64_e64 v[4:5], v[176:177], -v[4:5]
	v_add_f64_e64 v[6:7], v[178:179], -v[6:7]
	scratch_store_b128 off, v[4:7], off offset:16
	s_wait_xcnt 0x0
	v_cmpx_ne_u32_e32 0, v1
	s_cbranch_execz .LBB124_391
; %bb.390:
	scratch_load_b128 v[6:9], off, off
	v_dual_mov_b32 v3, v2 :: v_dual_mov_b32 v4, v2
	v_mov_b32_e32 v5, v2
	scratch_store_b128 off, v[2:5], off
	s_wait_loadcnt 0x0
	ds_store_b128 v138, v[6:9]
.LBB124_391:
	s_wait_xcnt 0x0
	s_or_b32 exec_lo, exec_lo, s2
	s_wait_storecnt_dscnt 0x0
	s_barrier_signal -1
	s_barrier_wait -1
	s_clause 0x9
	scratch_load_b128 v[4:7], off, off offset:16
	scratch_load_b128 v[8:11], off, off offset:32
	;; [unrolled: 1-line block ×10, first 2 shown]
	ds_load_b128 v[166:169], v2 offset:992
	ds_load_b128 v[174:177], v2 offset:1008
	s_clause 0x2
	scratch_load_b128 v[170:173], off, off offset:176
	scratch_load_b128 v[188:191], off, off
	scratch_load_b128 v[178:181], off, off offset:192
	s_and_b32 vcc_lo, exec_lo, s75
	s_wait_loadcnt_dscnt 0xc01
	v_mul_f64_e32 v[182:183], v[168:169], v[6:7]
	v_mul_f64_e32 v[186:187], v[166:167], v[6:7]
	s_wait_loadcnt_dscnt 0xb00
	v_mul_f64_e32 v[192:193], v[174:175], v[10:11]
	v_mul_f64_e32 v[10:11], v[176:177], v[10:11]
	s_delay_alu instid0(VALU_DEP_4) | instskip(NEXT) | instid1(VALU_DEP_4)
	v_fma_f64 v[194:195], v[166:167], v[4:5], -v[182:183]
	v_fmac_f64_e32 v[186:187], v[168:169], v[4:5]
	ds_load_b128 v[4:7], v2 offset:1024
	ds_load_b128 v[166:169], v2 offset:1040
	scratch_load_b128 v[182:185], off, off offset:208
	v_fmac_f64_e32 v[192:193], v[176:177], v[8:9]
	v_fma_f64 v[174:175], v[174:175], v[8:9], -v[10:11]
	scratch_load_b128 v[8:11], off, off offset:224
	s_wait_loadcnt_dscnt 0xc01
	v_mul_f64_e32 v[196:197], v[4:5], v[14:15]
	v_mul_f64_e32 v[14:15], v[6:7], v[14:15]
	v_add_f64_e32 v[176:177], 0, v[194:195]
	v_add_f64_e32 v[186:187], 0, v[186:187]
	s_wait_loadcnt_dscnt 0xb00
	v_mul_f64_e32 v[194:195], v[166:167], v[140:141]
	v_mul_f64_e32 v[140:141], v[168:169], v[140:141]
	v_fmac_f64_e32 v[196:197], v[6:7], v[12:13]
	v_fma_f64 v[198:199], v[4:5], v[12:13], -v[14:15]
	ds_load_b128 v[4:7], v2 offset:1056
	ds_load_b128 v[12:15], v2 offset:1072
	v_add_f64_e32 v[200:201], v[176:177], v[174:175]
	v_add_f64_e32 v[186:187], v[186:187], v[192:193]
	scratch_load_b128 v[174:177], off, off offset:240
	v_fmac_f64_e32 v[194:195], v[168:169], v[138:139]
	v_fma_f64 v[166:167], v[166:167], v[138:139], -v[140:141]
	scratch_load_b128 v[138:141], off, off offset:256
	s_wait_loadcnt_dscnt 0xc01
	v_mul_f64_e32 v[192:193], v[4:5], v[144:145]
	v_mul_f64_e32 v[144:145], v[6:7], v[144:145]
	v_add_f64_e32 v[168:169], v[200:201], v[198:199]
	v_add_f64_e32 v[186:187], v[186:187], v[196:197]
	s_wait_loadcnt_dscnt 0xb00
	v_mul_f64_e32 v[196:197], v[12:13], v[148:149]
	v_mul_f64_e32 v[148:149], v[14:15], v[148:149]
	v_fmac_f64_e32 v[192:193], v[6:7], v[142:143]
	v_fma_f64 v[198:199], v[4:5], v[142:143], -v[144:145]
	ds_load_b128 v[4:7], v2 offset:1088
	ds_load_b128 v[142:145], v2 offset:1104
	v_add_f64_e32 v[200:201], v[168:169], v[166:167]
	v_add_f64_e32 v[186:187], v[186:187], v[194:195]
	scratch_load_b128 v[166:169], off, off offset:272
	s_wait_loadcnt_dscnt 0xb01
	v_mul_f64_e32 v[194:195], v[4:5], v[152:153]
	v_mul_f64_e32 v[152:153], v[6:7], v[152:153]
	v_fmac_f64_e32 v[196:197], v[14:15], v[146:147]
	v_fma_f64 v[146:147], v[12:13], v[146:147], -v[148:149]
	scratch_load_b128 v[12:15], off, off offset:288
	v_add_f64_e32 v[148:149], v[200:201], v[198:199]
	v_add_f64_e32 v[186:187], v[186:187], v[192:193]
	s_wait_loadcnt_dscnt 0xb00
	v_mul_f64_e32 v[192:193], v[142:143], v[156:157]
	v_mul_f64_e32 v[156:157], v[144:145], v[156:157]
	v_fmac_f64_e32 v[194:195], v[6:7], v[150:151]
	v_fma_f64 v[198:199], v[4:5], v[150:151], -v[152:153]
	v_add_f64_e32 v[200:201], v[148:149], v[146:147]
	v_add_f64_e32 v[186:187], v[186:187], v[196:197]
	ds_load_b128 v[4:7], v2 offset:1120
	ds_load_b128 v[146:149], v2 offset:1136
	scratch_load_b128 v[150:153], off, off offset:304
	v_fmac_f64_e32 v[192:193], v[144:145], v[154:155]
	v_fma_f64 v[154:155], v[142:143], v[154:155], -v[156:157]
	scratch_load_b128 v[142:145], off, off offset:320
	s_wait_loadcnt_dscnt 0xc01
	v_mul_f64_e32 v[196:197], v[4:5], v[160:161]
	v_mul_f64_e32 v[160:161], v[6:7], v[160:161]
	v_add_f64_e32 v[156:157], v[200:201], v[198:199]
	v_add_f64_e32 v[186:187], v[186:187], v[194:195]
	s_wait_loadcnt_dscnt 0xb00
	v_mul_f64_e32 v[194:195], v[146:147], v[164:165]
	v_mul_f64_e32 v[164:165], v[148:149], v[164:165]
	v_fmac_f64_e32 v[196:197], v[6:7], v[158:159]
	v_fma_f64 v[198:199], v[4:5], v[158:159], -v[160:161]
	v_add_f64_e32 v[200:201], v[156:157], v[154:155]
	v_add_f64_e32 v[186:187], v[186:187], v[192:193]
	ds_load_b128 v[4:7], v2 offset:1152
	ds_load_b128 v[154:157], v2 offset:1168
	scratch_load_b128 v[158:161], off, off offset:336
	v_fmac_f64_e32 v[194:195], v[148:149], v[162:163]
	v_fma_f64 v[162:163], v[146:147], v[162:163], -v[164:165]
	scratch_load_b128 v[146:149], off, off offset:352
	s_wait_loadcnt_dscnt 0xc01
	v_mul_f64_e32 v[192:193], v[4:5], v[172:173]
	v_mul_f64_e32 v[172:173], v[6:7], v[172:173]
	;; [unrolled: 18-line block ×5, first 2 shown]
	v_add_f64_e32 v[180:181], v[200:201], v[198:199]
	v_add_f64_e32 v[186:187], v[186:187], v[196:197]
	s_wait_loadcnt_dscnt 0xa00
	v_mul_f64_e32 v[196:197], v[162:163], v[14:15]
	v_mul_f64_e32 v[14:15], v[164:165], v[14:15]
	v_fmac_f64_e32 v[192:193], v[6:7], v[166:167]
	v_fma_f64 v[198:199], v[4:5], v[166:167], -v[168:169]
	ds_load_b128 v[4:7], v2 offset:1280
	ds_load_b128 v[166:169], v2 offset:1296
	v_add_f64_e32 v[200:201], v[180:181], v[178:179]
	v_add_f64_e32 v[186:187], v[186:187], v[194:195]
	scratch_load_b128 v[178:181], off, off offset:464
	v_fmac_f64_e32 v[196:197], v[164:165], v[12:13]
	v_fma_f64 v[162:163], v[162:163], v[12:13], -v[14:15]
	scratch_load_b128 v[12:15], off, off offset:480
	s_wait_loadcnt_dscnt 0xb01
	v_mul_f64_e32 v[194:195], v[4:5], v[152:153]
	v_mul_f64_e32 v[152:153], v[6:7], v[152:153]
	v_add_f64_e32 v[164:165], v[200:201], v[198:199]
	v_add_f64_e32 v[186:187], v[186:187], v[192:193]
	s_wait_loadcnt_dscnt 0xa00
	v_mul_f64_e32 v[192:193], v[166:167], v[144:145]
	v_mul_f64_e32 v[144:145], v[168:169], v[144:145]
	v_fmac_f64_e32 v[194:195], v[6:7], v[150:151]
	v_fma_f64 v[198:199], v[4:5], v[150:151], -v[152:153]
	ds_load_b128 v[4:7], v2 offset:1312
	ds_load_b128 v[150:153], v2 offset:1328
	v_add_f64_e32 v[200:201], v[164:165], v[162:163]
	v_add_f64_e32 v[186:187], v[186:187], v[196:197]
	scratch_load_b128 v[162:165], off, off offset:496
	s_wait_loadcnt_dscnt 0xa01
	v_mul_f64_e32 v[196:197], v[4:5], v[160:161]
	v_mul_f64_e32 v[160:161], v[6:7], v[160:161]
	v_fmac_f64_e32 v[192:193], v[168:169], v[142:143]
	v_fma_f64 v[166:167], v[166:167], v[142:143], -v[144:145]
	scratch_load_b128 v[142:145], off, off offset:512
	v_add_f64_e32 v[168:169], v[200:201], v[198:199]
	v_add_f64_e32 v[186:187], v[186:187], v[194:195]
	s_wait_loadcnt_dscnt 0xa00
	v_mul_f64_e32 v[194:195], v[150:151], v[148:149]
	v_mul_f64_e32 v[148:149], v[152:153], v[148:149]
	v_fmac_f64_e32 v[196:197], v[6:7], v[158:159]
	v_fma_f64 v[198:199], v[4:5], v[158:159], -v[160:161]
	ds_load_b128 v[4:7], v2 offset:1344
	ds_load_b128 v[158:161], v2 offset:1360
	v_add_f64_e32 v[200:201], v[168:169], v[166:167]
	v_add_f64_e32 v[186:187], v[186:187], v[192:193]
	scratch_load_b128 v[166:169], off, off offset:528
	s_wait_loadcnt_dscnt 0xa01
	v_mul_f64_e32 v[192:193], v[4:5], v[172:173]
	v_mul_f64_e32 v[172:173], v[6:7], v[172:173]
	v_fmac_f64_e32 v[194:195], v[152:153], v[146:147]
	v_fma_f64 v[150:151], v[150:151], v[146:147], -v[148:149]
	scratch_load_b128 v[146:149], off, off offset:544
	v_add_f64_e32 v[152:153], v[200:201], v[198:199]
	v_add_f64_e32 v[186:187], v[186:187], v[196:197]
	s_wait_loadcnt_dscnt 0xa00
	v_mul_f64_e32 v[196:197], v[158:159], v[156:157]
	v_mul_f64_e32 v[156:157], v[160:161], v[156:157]
	v_fmac_f64_e32 v[192:193], v[6:7], v[170:171]
	v_fma_f64 v[198:199], v[4:5], v[170:171], -v[172:173]
	v_add_f64_e32 v[200:201], v[152:153], v[150:151]
	v_add_f64_e32 v[186:187], v[186:187], v[194:195]
	ds_load_b128 v[4:7], v2 offset:1376
	ds_load_b128 v[150:153], v2 offset:1392
	scratch_load_b128 v[170:173], off, off offset:560
	v_fmac_f64_e32 v[196:197], v[160:161], v[154:155]
	v_fma_f64 v[158:159], v[158:159], v[154:155], -v[156:157]
	scratch_load_b128 v[154:157], off, off offset:576
	s_wait_loadcnt_dscnt 0xb01
	v_mul_f64_e32 v[194:195], v[4:5], v[184:185]
	v_mul_f64_e32 v[184:185], v[6:7], v[184:185]
	v_add_f64_e32 v[160:161], v[200:201], v[198:199]
	v_add_f64_e32 v[186:187], v[186:187], v[192:193]
	s_wait_loadcnt_dscnt 0xa00
	v_mul_f64_e32 v[192:193], v[150:151], v[10:11]
	v_mul_f64_e32 v[10:11], v[152:153], v[10:11]
	v_fmac_f64_e32 v[194:195], v[6:7], v[182:183]
	v_fma_f64 v[198:199], v[4:5], v[182:183], -v[184:185]
	v_add_f64_e32 v[200:201], v[160:161], v[158:159]
	v_add_f64_e32 v[186:187], v[186:187], v[196:197]
	ds_load_b128 v[4:7], v2 offset:1408
	ds_load_b128 v[158:161], v2 offset:1424
	scratch_load_b128 v[182:185], off, off offset:592
	v_fmac_f64_e32 v[192:193], v[152:153], v[8:9]
	v_fma_f64 v[150:151], v[150:151], v[8:9], -v[10:11]
	scratch_load_b128 v[8:11], off, off offset:608
	s_wait_loadcnt_dscnt 0xb01
	v_mul_f64_e32 v[196:197], v[4:5], v[176:177]
	v_mul_f64_e32 v[176:177], v[6:7], v[176:177]
	;; [unrolled: 18-line block ×13, first 2 shown]
	v_add_f64_e32 v[160:161], v[200:201], v[198:199]
	v_add_f64_e32 v[186:187], v[186:187], v[192:193]
	s_wait_loadcnt_dscnt 0xa00
	v_mul_f64_e32 v[192:193], v[150:151], v[10:11]
	v_mul_f64_e32 v[10:11], v[152:153], v[10:11]
	v_fmac_f64_e32 v[194:195], v[6:7], v[182:183]
	v_fma_f64 v[182:183], v[4:5], v[182:183], -v[184:185]
	v_add_f64_e32 v[184:185], v[160:161], v[158:159]
	v_add_f64_e32 v[186:187], v[186:187], v[196:197]
	ds_load_b128 v[4:7], v2 offset:1792
	ds_load_b128 v[158:161], v2 offset:1808
	v_fmac_f64_e32 v[192:193], v[152:153], v[8:9]
	v_fma_f64 v[8:9], v[150:151], v[8:9], -v[10:11]
	s_wait_loadcnt_dscnt 0x901
	v_mul_f64_e32 v[196:197], v[4:5], v[176:177]
	v_mul_f64_e32 v[176:177], v[6:7], v[176:177]
	s_wait_loadcnt_dscnt 0x800
	v_mul_f64_e32 v[152:153], v[158:159], v[140:141]
	v_mul_f64_e32 v[140:141], v[160:161], v[140:141]
	v_add_f64_e32 v[10:11], v[184:185], v[182:183]
	v_add_f64_e32 v[150:151], v[186:187], v[194:195]
	v_lshl_add_u64 v[186:187], v[20:21], 4, s[10:11]
	v_lshl_add_u64 v[184:185], v[22:23], 4, s[10:11]
	v_lshl_add_u64 v[22:23], v[120:121], 4, s[10:11]
	v_lshl_add_u64 v[20:21], v[122:123], 4, s[10:11]
	v_fmac_f64_e32 v[196:197], v[6:7], v[174:175]
	v_fma_f64 v[174:175], v[4:5], v[174:175], -v[176:177]
	v_fmac_f64_e32 v[152:153], v[160:161], v[138:139]
	v_fma_f64 v[138:139], v[158:159], v[138:139], -v[140:141]
	v_add_f64_e32 v[176:177], v[10:11], v[8:9]
	v_add_f64_e32 v[150:151], v[150:151], v[192:193]
	ds_load_b128 v[4:7], v2 offset:1824
	ds_load_b128 v[8:11], v2 offset:1840
	s_wait_loadcnt_dscnt 0x701
	v_mul_f64_e32 v[182:183], v[4:5], v[180:181]
	v_mul_f64_e32 v[180:181], v[6:7], v[180:181]
	s_wait_loadcnt_dscnt 0x600
	v_mul_f64_e32 v[158:159], v[8:9], v[14:15]
	v_mul_f64_e32 v[14:15], v[10:11], v[14:15]
	v_add_f64_e32 v[140:141], v[176:177], v[174:175]
	v_add_f64_e32 v[150:151], v[150:151], v[196:197]
	v_lshl_add_u64 v[176:177], v[30:31], 4, s[10:11]
	v_lshl_add_u64 v[30:31], v[112:113], 4, s[10:11]
	v_fmac_f64_e32 v[182:183], v[6:7], v[178:179]
	v_fma_f64 v[160:161], v[4:5], v[178:179], -v[180:181]
	v_fmac_f64_e32 v[158:159], v[10:11], v[12:13]
	v_fma_f64 v[8:9], v[8:9], v[12:13], -v[14:15]
	v_lshl_add_u64 v[180:181], v[26:27], 4, s[10:11]
	v_lshl_add_u64 v[178:179], v[28:29], 4, s[10:11]
	;; [unrolled: 1-line block ×4, first 2 shown]
	v_add_f64_e32 v[174:175], v[140:141], v[138:139]
	v_add_f64_e32 v[150:151], v[150:151], v[152:153]
	ds_load_b128 v[4:7], v2 offset:1856
	ds_load_b128 v[138:141], v2 offset:1872
	s_wait_loadcnt_dscnt 0x501
	v_mul_f64_e32 v[152:153], v[4:5], v[164:165]
	v_mul_f64_e32 v[164:165], v[6:7], v[164:165]
	s_wait_loadcnt_dscnt 0x400
	v_mul_f64_e32 v[14:15], v[138:139], v[144:145]
	v_mul_f64_e32 v[144:145], v[140:141], v[144:145]
	v_add_f64_e32 v[10:11], v[174:175], v[160:161]
	v_add_f64_e32 v[12:13], v[150:151], v[182:183]
	v_lshl_add_u64 v[182:183], v[24:25], 4, s[10:11]
	v_lshl_add_u64 v[174:175], v[32:33], 4, s[10:11]
	;; [unrolled: 1-line block ×4, first 2 shown]
	v_fmac_f64_e32 v[152:153], v[6:7], v[162:163]
	v_fma_f64 v[150:151], v[4:5], v[162:163], -v[164:165]
	v_fmac_f64_e32 v[14:15], v[140:141], v[142:143]
	v_fma_f64 v[138:139], v[138:139], v[142:143], -v[144:145]
	v_lshl_add_u64 v[164:165], v[42:43], 4, s[10:11]
	v_lshl_add_u64 v[42:43], v[100:101], 4, s[10:11]
	v_add_f64_e32 v[160:161], v[10:11], v[8:9]
	v_add_f64_e32 v[12:13], v[12:13], v[158:159]
	ds_load_b128 v[4:7], v2 offset:1888
	ds_load_b128 v[8:11], v2 offset:1904
	s_wait_loadcnt_dscnt 0x301
	v_mul_f64_e32 v[158:159], v[4:5], v[168:169]
	v_mul_f64_e32 v[162:163], v[6:7], v[168:169]
	s_wait_loadcnt_dscnt 0x200
	v_mul_f64_e32 v[142:143], v[8:9], v[148:149]
	v_mul_f64_e32 v[144:145], v[10:11], v[148:149]
	v_lshl_add_u64 v[168:169], v[38:39], 4, s[10:11]
	v_lshl_add_u64 v[38:39], v[104:105], 4, s[10:11]
	v_add_f64_e32 v[140:141], v[160:161], v[150:151]
	v_add_f64_e32 v[12:13], v[12:13], v[152:153]
	v_lshl_add_u64 v[160:161], v[46:47], 4, s[10:11]
	v_lshl_add_u64 v[152:153], v[54:55], 4, s[10:11]
	;; [unrolled: 1-line block ×4, first 2 shown]
	v_fmac_f64_e32 v[158:159], v[6:7], v[166:167]
	v_fma_f64 v[148:149], v[4:5], v[166:167], -v[162:163]
	v_fmac_f64_e32 v[142:143], v[10:11], v[146:147]
	v_fma_f64 v[8:9], v[8:9], v[146:147], -v[144:145]
	v_lshl_add_u64 v[166:167], v[40:41], 4, s[10:11]
	v_lshl_add_u64 v[162:163], v[44:45], 4, s[10:11]
	;; [unrolled: 1-line block ×6, first 2 shown]
	v_add_f64_e32 v[138:139], v[140:141], v[138:139]
	v_add_f64_e32 v[140:141], v[12:13], v[14:15]
	ds_load_b128 v[4:7], v2 offset:1920
	ds_load_b128 v[12:15], v2 offset:1936
	s_wait_loadcnt_dscnt 0x101
	v_mul_f64_e32 v[2:3], v[4:5], v[172:173]
	v_mul_f64_e32 v[150:151], v[6:7], v[172:173]
	s_wait_loadcnt_dscnt 0x0
	v_mul_f64_e32 v[144:145], v[14:15], v[156:157]
	v_lshl_add_u64 v[172:173], v[34:35], 4, s[10:11]
	v_lshl_add_u64 v[34:35], v[108:109], 4, s[10:11]
	v_add_f64_e32 v[10:11], v[138:139], v[148:149]
	v_add_f64_e32 v[138:139], v[140:141], v[158:159]
	v_mul_f64_e32 v[140:141], v[12:13], v[156:157]
	v_lshl_add_u64 v[158:159], v[48:49], 4, s[10:11]
	v_lshl_add_u64 v[156:157], v[50:51], 4, s[10:11]
	;; [unrolled: 1-line block ×6, first 2 shown]
	v_fmac_f64_e32 v[2:3], v[6:7], v[170:171]
	v_fma_f64 v[4:5], v[4:5], v[170:171], -v[150:151]
	v_lshl_add_u64 v[170:171], v[36:37], 4, s[10:11]
	v_lshl_add_u64 v[150:151], v[56:57], 4, s[10:11]
	v_lshl_add_u64 v[56:57], v[88:89], 4, s[10:11]
	v_lshl_add_u64 v[36:37], v[106:107], 4, s[10:11]
	v_add_f64_e32 v[6:7], v[10:11], v[8:9]
	v_add_f64_e32 v[8:9], v[138:139], v[142:143]
	v_fmac_f64_e32 v[140:141], v[14:15], v[154:155]
	v_fma_f64 v[10:11], v[12:13], v[154:155], -v[144:145]
	v_lshl_add_u64 v[154:155], v[52:53], 4, s[10:11]
	v_lshl_add_u64 v[144:145], v[62:63], 4, s[10:11]
	;; [unrolled: 1-line block ×11, first 2 shown]
	v_add_f64_e32 v[4:5], v[6:7], v[4:5]
	v_add_f64_e32 v[2:3], v[8:9], v[2:3]
	v_lshl_add_u64 v[8:9], v[130:131], 4, s[10:11]
	v_lshl_add_u64 v[6:7], v[132:133], 4, s[10:11]
	s_delay_alu instid0(VALU_DEP_4) | instskip(NEXT) | instid1(VALU_DEP_4)
	v_add_f64_e32 v[4:5], v[4:5], v[10:11]
	v_add_f64_e32 v[2:3], v[2:3], v[140:141]
	v_lshl_add_u64 v[140:141], v[66:67], 4, s[10:11]
	v_lshl_add_u64 v[66:67], v[70:71], 4, s[10:11]
	;; [unrolled: 1-line block ×4, first 2 shown]
	v_add_f64_e64 v[188:189], v[188:189], -v[4:5]
	v_add_f64_e64 v[190:191], v[190:191], -v[2:3]
	v_lshl_add_u64 v[4:5], v[134:135], 4, s[10:11]
	v_lshl_add_u64 v[2:3], v[136:137], 4, s[10:11]
	scratch_store_b128 off, v[188:191], off
	s_cbranch_vccz .LBB124_512
; %bb.392:
	v_mov_b32_e32 v74, 0
	s_load_b64 s[2:3], s[0:1], 0x4
	v_bfe_u32 v76, v0, 10, 10
	v_bfe_u32 v0, v0, 20, 10
	global_load_b32 v75, v74, s[8:9] offset:236
	s_wait_kmcnt 0x0
	s_lshr_b32 s0, s2, 16
	v_mul_u32_u24_e32 v76, s3, v76
	s_mul_i32 s0, s0, s3
	s_delay_alu instid0(SALU_CYCLE_1) | instskip(NEXT) | instid1(VALU_DEP_1)
	v_mul_u32_u24_e32 v1, s0, v1
	v_add3_u32 v0, v1, v76, v0
	s_delay_alu instid0(VALU_DEP_1)
	v_lshl_add_u32 v0, v0, 4, 0x7a8
	s_wait_loadcnt 0x0
	v_cmp_ne_u32_e32 vcc_lo, 60, v75
	s_cbranch_vccz .LBB124_394
; %bb.393:
	v_lshlrev_b32_e32 v1, 4, v75
	s_clause 0x1
	scratch_load_b128 v[76:79], off, s17
	scratch_load_b128 v[80:83], v1, off offset:-16
	s_wait_loadcnt 0x1
	ds_store_2addr_b64 v0, v[76:77], v[78:79] offset1:1
	s_wait_loadcnt 0x0
	s_clause 0x1
	scratch_store_b128 off, v[80:83], s17
	scratch_store_b128 v1, v[76:79], off offset:-16
.LBB124_394:
	global_load_b32 v1, v74, s[8:9] offset:232
	s_wait_loadcnt 0x0
	v_cmp_eq_u32_e32 vcc_lo, 59, v1
	s_cbranch_vccnz .LBB124_396
; %bb.395:
	v_lshlrev_b32_e32 v1, 4, v1
	s_clause 0x1
	scratch_load_b128 v[74:77], off, s19
	scratch_load_b128 v[78:81], v1, off offset:-16
	s_wait_loadcnt 0x1
	ds_store_2addr_b64 v0, v[74:75], v[76:77] offset1:1
	s_wait_loadcnt 0x0
	s_clause 0x1
	scratch_store_b128 off, v[78:81], s19
	scratch_store_b128 v1, v[74:77], off offset:-16
.LBB124_396:
	s_wait_xcnt 0x0
	v_mov_b32_e32 v1, 0
	global_load_b32 v74, v1, s[8:9] offset:228
	s_wait_loadcnt 0x0
	v_cmp_eq_u32_e32 vcc_lo, 58, v74
	s_cbranch_vccnz .LBB124_398
; %bb.397:
	v_lshlrev_b32_e32 v74, 4, v74
	s_delay_alu instid0(VALU_DEP_1)
	v_mov_b32_e32 v82, v74
	s_clause 0x1
	scratch_load_b128 v[74:77], off, s21
	scratch_load_b128 v[78:81], v82, off offset:-16
	s_wait_loadcnt 0x1
	ds_store_2addr_b64 v0, v[74:75], v[76:77] offset1:1
	s_wait_loadcnt 0x0
	s_clause 0x1
	scratch_store_b128 off, v[78:81], s21
	scratch_store_b128 v82, v[74:77], off offset:-16
.LBB124_398:
	global_load_b32 v1, v1, s[8:9] offset:224
	s_wait_loadcnt 0x0
	v_cmp_eq_u32_e32 vcc_lo, 57, v1
	s_cbranch_vccnz .LBB124_400
; %bb.399:
	s_wait_xcnt 0x0
	v_lshlrev_b32_e32 v1, 4, v1
	s_clause 0x1
	scratch_load_b128 v[74:77], off, s22
	scratch_load_b128 v[78:81], v1, off offset:-16
	s_wait_loadcnt 0x1
	ds_store_2addr_b64 v0, v[74:75], v[76:77] offset1:1
	s_wait_loadcnt 0x0
	s_clause 0x1
	scratch_store_b128 off, v[78:81], s22
	scratch_store_b128 v1, v[74:77], off offset:-16
.LBB124_400:
	s_wait_xcnt 0x0
	v_mov_b32_e32 v1, 0
	global_load_b32 v74, v1, s[8:9] offset:220
	s_wait_loadcnt 0x0
	v_cmp_eq_u32_e32 vcc_lo, 56, v74
	s_cbranch_vccnz .LBB124_402
; %bb.401:
	v_lshlrev_b32_e32 v74, 4, v74
	s_delay_alu instid0(VALU_DEP_1)
	v_mov_b32_e32 v82, v74
	s_clause 0x1
	scratch_load_b128 v[74:77], off, s23
	scratch_load_b128 v[78:81], v82, off offset:-16
	s_wait_loadcnt 0x1
	ds_store_2addr_b64 v0, v[74:75], v[76:77] offset1:1
	s_wait_loadcnt 0x0
	s_clause 0x1
	scratch_store_b128 off, v[78:81], s23
	scratch_store_b128 v82, v[74:77], off offset:-16
.LBB124_402:
	global_load_b32 v1, v1, s[8:9] offset:216
	s_wait_loadcnt 0x0
	v_cmp_eq_u32_e32 vcc_lo, 55, v1
	s_cbranch_vccnz .LBB124_404
; %bb.403:
	s_wait_xcnt 0x0
	v_lshlrev_b32_e32 v1, 4, v1
	s_clause 0x1
	scratch_load_b128 v[74:77], off, s24
	scratch_load_b128 v[78:81], v1, off offset:-16
	s_wait_loadcnt 0x1
	ds_store_2addr_b64 v0, v[74:75], v[76:77] offset1:1
	s_wait_loadcnt 0x0
	s_clause 0x1
	scratch_store_b128 off, v[78:81], s24
	scratch_store_b128 v1, v[74:77], off offset:-16
.LBB124_404:
	;; [unrolled: 37-line block ×28, first 2 shown]
	s_wait_xcnt 0x0
	v_mov_b32_e32 v1, 0
	global_load_b32 v74, v1, s[8:9] offset:4
	s_wait_loadcnt 0x0
	v_cmp_eq_u32_e32 vcc_lo, 2, v74
	s_cbranch_vccnz .LBB124_510
; %bb.509:
	v_lshlrev_b32_e32 v74, 4, v74
	s_delay_alu instid0(VALU_DEP_1)
	v_mov_b32_e32 v82, v74
	s_clause 0x1
	scratch_load_b128 v[74:77], off, s20
	scratch_load_b128 v[78:81], v82, off offset:-16
	s_wait_loadcnt 0x1
	ds_store_2addr_b64 v0, v[74:75], v[76:77] offset1:1
	s_wait_loadcnt 0x0
	s_clause 0x1
	scratch_store_b128 off, v[78:81], s20
	scratch_store_b128 v82, v[74:77], off offset:-16
.LBB124_510:
	global_load_b32 v1, v1, s[8:9]
	s_wait_loadcnt 0x0
	v_cmp_eq_u32_e32 vcc_lo, 1, v1
	s_cbranch_vccnz .LBB124_512
; %bb.511:
	s_wait_xcnt 0x0
	v_lshlrev_b32_e32 v1, 4, v1
	scratch_load_b128 v[74:77], off, off
	scratch_load_b128 v[78:81], v1, off offset:-16
	s_wait_loadcnt 0x1
	ds_store_2addr_b64 v0, v[74:75], v[76:77] offset1:1
	s_wait_loadcnt 0x0
	scratch_store_b128 off, v[78:81], off
	scratch_store_b128 v1, v[74:77], off offset:-16
.LBB124_512:
	scratch_load_b128 v[74:77], off, off
	s_wait_loadcnt 0x0
	flat_store_b128 v[16:17], v[74:77]
	scratch_load_b128 v[74:77], off, s20
	s_wait_loadcnt 0x0
	flat_store_b128 v[18:19], v[74:77]
	scratch_load_b128 v[16:19], off, s18
	;; [unrolled: 3-line block ×60, first 2 shown]
	s_wait_loadcnt 0x0
	flat_store_b128 v[2:3], v[4:7]
	s_sendmsg sendmsg(MSG_DEALLOC_VGPRS)
	s_endpgm
	.section	.rodata,"a",@progbits
	.p2align	6, 0x0
	.amdhsa_kernel _ZN9rocsolver6v33100L18getri_kernel_smallILi61E19rocblas_complex_numIdEPKPS3_EEvT1_iilPiilS8_bb
		.amdhsa_group_segment_fixed_size 2984
		.amdhsa_private_segment_fixed_size 992
		.amdhsa_kernarg_size 60
		.amdhsa_user_sgpr_count 4
		.amdhsa_user_sgpr_dispatch_ptr 1
		.amdhsa_user_sgpr_queue_ptr 0
		.amdhsa_user_sgpr_kernarg_segment_ptr 1
		.amdhsa_user_sgpr_dispatch_id 0
		.amdhsa_user_sgpr_kernarg_preload_length 0
		.amdhsa_user_sgpr_kernarg_preload_offset 0
		.amdhsa_user_sgpr_private_segment_size 0
		.amdhsa_wavefront_size32 1
		.amdhsa_uses_dynamic_stack 0
		.amdhsa_enable_private_segment 1
		.amdhsa_system_sgpr_workgroup_id_x 1
		.amdhsa_system_sgpr_workgroup_id_y 0
		.amdhsa_system_sgpr_workgroup_id_z 0
		.amdhsa_system_sgpr_workgroup_info 0
		.amdhsa_system_vgpr_workitem_id 2
		.amdhsa_next_free_vgpr 204
		.amdhsa_next_free_sgpr 105
		.amdhsa_named_barrier_count 0
		.amdhsa_reserve_vcc 1
		.amdhsa_float_round_mode_32 0
		.amdhsa_float_round_mode_16_64 0
		.amdhsa_float_denorm_mode_32 3
		.amdhsa_float_denorm_mode_16_64 3
		.amdhsa_fp16_overflow 0
		.amdhsa_memory_ordered 1
		.amdhsa_forward_progress 1
		.amdhsa_inst_pref_size 255
		.amdhsa_round_robin_scheduling 0
		.amdhsa_exception_fp_ieee_invalid_op 0
		.amdhsa_exception_fp_denorm_src 0
		.amdhsa_exception_fp_ieee_div_zero 0
		.amdhsa_exception_fp_ieee_overflow 0
		.amdhsa_exception_fp_ieee_underflow 0
		.amdhsa_exception_fp_ieee_inexact 0
		.amdhsa_exception_int_div_zero 0
	.end_amdhsa_kernel
	.section	.text._ZN9rocsolver6v33100L18getri_kernel_smallILi61E19rocblas_complex_numIdEPKPS3_EEvT1_iilPiilS8_bb,"axG",@progbits,_ZN9rocsolver6v33100L18getri_kernel_smallILi61E19rocblas_complex_numIdEPKPS3_EEvT1_iilPiilS8_bb,comdat
.Lfunc_end124:
	.size	_ZN9rocsolver6v33100L18getri_kernel_smallILi61E19rocblas_complex_numIdEPKPS3_EEvT1_iilPiilS8_bb, .Lfunc_end124-_ZN9rocsolver6v33100L18getri_kernel_smallILi61E19rocblas_complex_numIdEPKPS3_EEvT1_iilPiilS8_bb
                                        ; -- End function
	.set _ZN9rocsolver6v33100L18getri_kernel_smallILi61E19rocblas_complex_numIdEPKPS3_EEvT1_iilPiilS8_bb.num_vgpr, 204
	.set _ZN9rocsolver6v33100L18getri_kernel_smallILi61E19rocblas_complex_numIdEPKPS3_EEvT1_iilPiilS8_bb.num_agpr, 0
	.set _ZN9rocsolver6v33100L18getri_kernel_smallILi61E19rocblas_complex_numIdEPKPS3_EEvT1_iilPiilS8_bb.numbered_sgpr, 105
	.set _ZN9rocsolver6v33100L18getri_kernel_smallILi61E19rocblas_complex_numIdEPKPS3_EEvT1_iilPiilS8_bb.num_named_barrier, 0
	.set _ZN9rocsolver6v33100L18getri_kernel_smallILi61E19rocblas_complex_numIdEPKPS3_EEvT1_iilPiilS8_bb.private_seg_size, 992
	.set _ZN9rocsolver6v33100L18getri_kernel_smallILi61E19rocblas_complex_numIdEPKPS3_EEvT1_iilPiilS8_bb.uses_vcc, 1
	.set _ZN9rocsolver6v33100L18getri_kernel_smallILi61E19rocblas_complex_numIdEPKPS3_EEvT1_iilPiilS8_bb.uses_flat_scratch, 1
	.set _ZN9rocsolver6v33100L18getri_kernel_smallILi61E19rocblas_complex_numIdEPKPS3_EEvT1_iilPiilS8_bb.has_dyn_sized_stack, 0
	.set _ZN9rocsolver6v33100L18getri_kernel_smallILi61E19rocblas_complex_numIdEPKPS3_EEvT1_iilPiilS8_bb.has_recursion, 0
	.set _ZN9rocsolver6v33100L18getri_kernel_smallILi61E19rocblas_complex_numIdEPKPS3_EEvT1_iilPiilS8_bb.has_indirect_call, 0
	.section	.AMDGPU.csdata,"",@progbits
; Kernel info:
; codeLenInByte = 133416
; TotalNumSgprs: 107
; NumVgprs: 204
; ScratchSize: 992
; MemoryBound: 0
; FloatMode: 240
; IeeeMode: 1
; LDSByteSize: 2984 bytes/workgroup (compile time only)
; SGPRBlocks: 0
; VGPRBlocks: 12
; NumSGPRsForWavesPerEU: 107
; NumVGPRsForWavesPerEU: 204
; NamedBarCnt: 0
; Occupancy: 4
; WaveLimiterHint : 1
; COMPUTE_PGM_RSRC2:SCRATCH_EN: 1
; COMPUTE_PGM_RSRC2:USER_SGPR: 4
; COMPUTE_PGM_RSRC2:TRAP_HANDLER: 0
; COMPUTE_PGM_RSRC2:TGID_X_EN: 1
; COMPUTE_PGM_RSRC2:TGID_Y_EN: 0
; COMPUTE_PGM_RSRC2:TGID_Z_EN: 0
; COMPUTE_PGM_RSRC2:TIDIG_COMP_CNT: 2
	.section	.text._ZN9rocsolver6v33100L18getri_kernel_smallILi62E19rocblas_complex_numIdEPKPS3_EEvT1_iilPiilS8_bb,"axG",@progbits,_ZN9rocsolver6v33100L18getri_kernel_smallILi62E19rocblas_complex_numIdEPKPS3_EEvT1_iilPiilS8_bb,comdat
	.globl	_ZN9rocsolver6v33100L18getri_kernel_smallILi62E19rocblas_complex_numIdEPKPS3_EEvT1_iilPiilS8_bb ; -- Begin function _ZN9rocsolver6v33100L18getri_kernel_smallILi62E19rocblas_complex_numIdEPKPS3_EEvT1_iilPiilS8_bb
	.p2align	8
	.type	_ZN9rocsolver6v33100L18getri_kernel_smallILi62E19rocblas_complex_numIdEPKPS3_EEvT1_iilPiilS8_bb,@function
_ZN9rocsolver6v33100L18getri_kernel_smallILi62E19rocblas_complex_numIdEPKPS3_EEvT1_iilPiilS8_bb: ; @_ZN9rocsolver6v33100L18getri_kernel_smallILi62E19rocblas_complex_numIdEPKPS3_EEvT1_iilPiilS8_bb
; %bb.0:
	v_and_b32_e32 v1, 0x3ff, v0
	s_mov_b32 s4, exec_lo
	s_delay_alu instid0(VALU_DEP_1)
	v_cmpx_gt_u32_e32 62, v1
	s_cbranch_execz .LBB125_274
; %bb.1:
	s_clause 0x1
	s_load_b32 s14, s[2:3], 0x38
	s_load_b64 s[8:9], s[2:3], 0x0
	s_getreg_b32 s6, hwreg(HW_REG_IB_STS2, 6, 4)
	s_wait_kmcnt 0x0
	s_bitcmp1_b32 s14, 8
	s_cselect_b32 s76, -1, 0
	s_bfe_u32 s4, ttmp6, 0x4000c
	s_and_b32 s5, ttmp6, 15
	s_add_co_i32 s4, s4, 1
	s_delay_alu instid0(SALU_CYCLE_1) | instskip(NEXT) | instid1(SALU_CYCLE_1)
	s_mul_i32 s4, ttmp9, s4
	s_add_co_i32 s5, s5, s4
	s_cmp_eq_u32 s6, 0
	s_cselect_b32 s12, ttmp9, s5
	s_load_b128 s[4:7], s[2:3], 0x28
	s_ashr_i32 s13, s12, 31
	s_delay_alu instid0(SALU_CYCLE_1) | instskip(NEXT) | instid1(SALU_CYCLE_1)
	s_lshl_b64 s[10:11], s[12:13], 3
	s_add_nc_u64 s[8:9], s[8:9], s[10:11]
	s_load_b64 s[10:11], s[8:9], 0x0
	s_wait_xcnt 0x0
	s_bfe_u32 s8, s14, 0x10008
	s_delay_alu instid0(SALU_CYCLE_1)
	s_cmp_eq_u32 s8, 0
                                        ; implicit-def: $sgpr8_sgpr9
	s_cbranch_scc1 .LBB125_3
; %bb.2:
	s_load_b96 s[16:18], s[2:3], 0x18
	s_wait_kmcnt 0x0
	s_mul_u64 s[4:5], s[4:5], s[12:13]
	s_delay_alu instid0(SALU_CYCLE_1) | instskip(SKIP_4) | instid1(SALU_CYCLE_1)
	s_lshl_b64 s[4:5], s[4:5], 2
	s_ashr_i32 s9, s18, 31
	s_mov_b32 s8, s18
	s_add_nc_u64 s[4:5], s[16:17], s[4:5]
	s_lshl_b64 s[8:9], s[8:9], 2
	s_add_nc_u64 s[8:9], s[4:5], s[8:9]
.LBB125_3:
	s_wait_kmcnt 0x0
	s_clause 0x1
	s_load_b64 s[4:5], s[2:3], 0x8
	s_load_b32 s77, s[2:3], 0x38
	v_dual_mov_b32 v15, 0 :: v_dual_lshlrev_b32 v14, 4, v1
	s_movk_i32 s78, 0x240
	s_movk_i32 s79, 0x250
	;; [unrolled: 1-line block ×16, first 2 shown]
	s_wait_kmcnt 0x0
	s_ashr_i32 s3, s4, 31
	s_mov_b32 s2, s4
	v_add3_u32 v22, s5, s5, v1
	s_lshl_b64 s[2:3], s[2:3], 4
	s_movk_i32 s94, 0x340
	s_add_nc_u64 s[10:11], s[10:11], s[2:3]
	s_ashr_i32 s3, s5, 31
	flat_load_b128 v[2:5], v1, s[10:11] scale_offset
	v_add_nc_u64_e32 v[18:19], s[10:11], v[14:15]
	s_mov_b32 s2, s5
	v_add_nc_u32_e32 v24, s5, v22
	s_movk_i32 s95, 0x350
	s_movk_i32 s96, 0x360
	;; [unrolled: 1-line block ×4, first 2 shown]
	v_lshl_add_u64 v[20:21], s[2:3], 4, v[18:19]
	v_add_nc_u32_e32 v26, s5, v24
	s_movk_i32 s99, 0x390
	s_movk_i32 s100, 0x3a0
	;; [unrolled: 1-line block ×4, first 2 shown]
	v_add_nc_u32_e32 v28, s5, v26
	s_movk_i32 vcc_lo, 0x3d0
	s_mov_b32 s20, 16
	s_mov_b32 s18, 32
	;; [unrolled: 1-line block ×3, first 2 shown]
	v_add_nc_u32_e32 v30, s5, v28
	s_mov_b32 s14, 64
	s_movk_i32 s75, 0x50
	s_movk_i32 s74, 0x60
	s_movk_i32 s73, 0x70
	v_add_nc_u32_e32 v32, s5, v30
	s_movk_i32 s72, 0x80
	s_movk_i32 s71, 0x90
	s_movk_i32 s70, 0xa0
	s_movk_i32 s69, 0xb0
	v_add_nc_u32_e32 v34, s5, v32
	s_movk_i32 s68, 0xc0
	;; [unrolled: 5-line block ×7, first 2 shown]
	s_movk_i32 s47, 0x210
	s_movk_i32 s46, 0x220
	;; [unrolled: 1-line block ×3, first 2 shown]
	v_add_nc_u32_e32 v46, s5, v44
	s_mov_b32 s44, s78
	s_mov_b32 s43, s79
	s_mov_b32 s42, s80
	s_mov_b32 s41, s81
	v_add_nc_u32_e32 v48, s5, v46
	s_mov_b32 s40, s82
	s_mov_b32 s39, s83
	s_mov_b32 s38, s84
	s_mov_b32 s37, s85
	;; [unrolled: 5-line block ×6, first 2 shown]
	v_add_nc_u32_e32 v58, s5, v56
	s_mov_b32 s17, s104
	s_mov_b32 s15, vcc_lo
	s_bitcmp0_b32 s77, 0
	s_mov_b32 s3, -1
	v_add_nc_u32_e32 v60, s5, v58
	s_delay_alu instid0(VALU_DEP_1) | instskip(NEXT) | instid1(VALU_DEP_1)
	v_add_nc_u32_e32 v62, s5, v60
	v_add_nc_u32_e32 v64, s5, v62
	s_delay_alu instid0(VALU_DEP_1) | instskip(NEXT) | instid1(VALU_DEP_1)
	v_add_nc_u32_e32 v66, s5, v64
	;; [unrolled: 3-line block ×20, first 2 shown]
	v_add_nc_u32_e32 v140, s5, v138
	s_wait_loadcnt_dscnt 0x0
	scratch_store_b128 off, v[2:5], off
	flat_load_b128 v[2:5], v[20:21]
	s_wait_loadcnt_dscnt 0x0
	scratch_store_b128 off, v[2:5], off offset:16
	flat_load_b128 v[2:5], v22, s[10:11] scale_offset
	s_wait_loadcnt_dscnt 0x0
	scratch_store_b128 off, v[2:5], off offset:32
	flat_load_b128 v[2:5], v24, s[10:11] scale_offset
	;; [unrolled: 3-line block ×60, first 2 shown]
	s_wait_loadcnt_dscnt 0x0
	scratch_store_b128 off, v[2:5], off offset:976
	s_cbranch_scc1 .LBB125_272
; %bb.4:
	v_cmp_eq_u32_e64 s2, 0, v1
	s_wait_xcnt 0x0
	s_and_saveexec_b32 s3, s2
; %bb.5:
	v_mov_b32_e32 v2, 0
	ds_store_b32 v2, v2 offset:1984
; %bb.6:
	s_or_b32 exec_lo, exec_lo, s3
	s_wait_storecnt_dscnt 0x0
	s_barrier_signal -1
	s_barrier_wait -1
	scratch_load_b128 v[2:5], v1, off scale_offset
	s_wait_loadcnt 0x0
	v_cmp_eq_f64_e32 vcc_lo, 0, v[2:3]
	v_cmp_eq_f64_e64 s3, 0, v[4:5]
	s_and_b32 s3, vcc_lo, s3
	s_delay_alu instid0(SALU_CYCLE_1)
	s_and_saveexec_b32 s4, s3
	s_cbranch_execz .LBB125_10
; %bb.7:
	v_mov_b32_e32 v2, 0
	s_mov_b32 s5, 0
	ds_load_b32 v3, v2 offset:1984
	s_wait_dscnt 0x0
	v_readfirstlane_b32 s3, v3
	v_add_nc_u32_e32 v3, 1, v1
	s_cmp_eq_u32 s3, 0
	s_delay_alu instid0(VALU_DEP_1) | instskip(SKIP_1) | instid1(SALU_CYCLE_1)
	v_cmp_gt_i32_e32 vcc_lo, s3, v3
	s_cselect_b32 s77, -1, 0
	s_or_b32 s77, s77, vcc_lo
	s_delay_alu instid0(SALU_CYCLE_1)
	s_and_b32 exec_lo, exec_lo, s77
	s_cbranch_execz .LBB125_10
; %bb.8:
	v_mov_b32_e32 v4, s3
.LBB125_9:                              ; =>This Inner Loop Header: Depth=1
	ds_cmpstore_rtn_b32 v4, v2, v3, v4 offset:1984
	s_wait_dscnt 0x0
	v_cmp_ne_u32_e32 vcc_lo, 0, v4
	v_cmp_le_i32_e64 s3, v4, v3
	s_and_b32 s3, vcc_lo, s3
	s_delay_alu instid0(SALU_CYCLE_1) | instskip(NEXT) | instid1(SALU_CYCLE_1)
	s_and_b32 s3, exec_lo, s3
	s_or_b32 s5, s3, s5
	s_delay_alu instid0(SALU_CYCLE_1)
	s_and_not1_b32 exec_lo, exec_lo, s5
	s_cbranch_execnz .LBB125_9
.LBB125_10:
	s_or_b32 exec_lo, exec_lo, s4
	v_mov_b32_e32 v2, 0
	s_barrier_signal -1
	s_barrier_wait -1
	ds_load_b32 v3, v2 offset:1984
	s_and_saveexec_b32 s3, s2
	s_cbranch_execz .LBB125_12
; %bb.11:
	s_lshl_b64 s[4:5], s[12:13], 2
	s_delay_alu instid0(SALU_CYCLE_1)
	s_add_nc_u64 s[4:5], s[6:7], s[4:5]
	s_wait_dscnt 0x0
	global_store_b32 v2, v3, s[4:5]
.LBB125_12:
	s_wait_xcnt 0x0
	s_or_b32 exec_lo, exec_lo, s3
	s_wait_dscnt 0x0
	v_cmp_ne_u32_e32 vcc_lo, 0, v3
	s_mov_b32 s3, 0
	s_cbranch_vccnz .LBB125_272
; %bb.13:
	v_lshl_add_u32 v15, v1, 4, 0
                                        ; implicit-def: $vgpr6_vgpr7
                                        ; implicit-def: $vgpr10_vgpr11
	scratch_load_b128 v[2:5], v15, off
	s_wait_loadcnt 0x0
	v_cmp_ngt_f64_e64 s3, |v[2:3]|, |v[4:5]|
	s_wait_xcnt 0x0
	s_and_saveexec_b32 s4, s3
	s_delay_alu instid0(SALU_CYCLE_1)
	s_xor_b32 s3, exec_lo, s4
	s_cbranch_execz .LBB125_15
; %bb.14:
	v_div_scale_f64 v[6:7], null, v[4:5], v[4:5], v[2:3]
	v_div_scale_f64 v[12:13], vcc_lo, v[2:3], v[4:5], v[2:3]
	s_delay_alu instid0(VALU_DEP_2) | instskip(SKIP_1) | instid1(TRANS32_DEP_1)
	v_rcp_f64_e32 v[8:9], v[6:7]
	v_nop
	v_fma_f64 v[10:11], -v[6:7], v[8:9], 1.0
	s_delay_alu instid0(VALU_DEP_1) | instskip(NEXT) | instid1(VALU_DEP_1)
	v_fmac_f64_e32 v[8:9], v[8:9], v[10:11]
	v_fma_f64 v[10:11], -v[6:7], v[8:9], 1.0
	s_delay_alu instid0(VALU_DEP_1) | instskip(NEXT) | instid1(VALU_DEP_1)
	v_fmac_f64_e32 v[8:9], v[8:9], v[10:11]
	v_mul_f64_e32 v[10:11], v[12:13], v[8:9]
	s_delay_alu instid0(VALU_DEP_1) | instskip(NEXT) | instid1(VALU_DEP_1)
	v_fma_f64 v[6:7], -v[6:7], v[10:11], v[12:13]
	v_div_fmas_f64 v[6:7], v[6:7], v[8:9], v[10:11]
	s_delay_alu instid0(VALU_DEP_1) | instskip(NEXT) | instid1(VALU_DEP_1)
	v_div_fixup_f64 v[6:7], v[6:7], v[4:5], v[2:3]
	v_fmac_f64_e32 v[4:5], v[2:3], v[6:7]
	s_delay_alu instid0(VALU_DEP_1) | instskip(SKIP_1) | instid1(VALU_DEP_2)
	v_div_scale_f64 v[2:3], null, v[4:5], v[4:5], 1.0
	v_div_scale_f64 v[12:13], vcc_lo, 1.0, v[4:5], 1.0
	v_rcp_f64_e32 v[8:9], v[2:3]
	v_nop
	s_delay_alu instid0(TRANS32_DEP_1) | instskip(NEXT) | instid1(VALU_DEP_1)
	v_fma_f64 v[10:11], -v[2:3], v[8:9], 1.0
	v_fmac_f64_e32 v[8:9], v[8:9], v[10:11]
	s_delay_alu instid0(VALU_DEP_1) | instskip(NEXT) | instid1(VALU_DEP_1)
	v_fma_f64 v[10:11], -v[2:3], v[8:9], 1.0
	v_fmac_f64_e32 v[8:9], v[8:9], v[10:11]
	s_delay_alu instid0(VALU_DEP_1) | instskip(NEXT) | instid1(VALU_DEP_1)
	v_mul_f64_e32 v[10:11], v[12:13], v[8:9]
	v_fma_f64 v[2:3], -v[2:3], v[10:11], v[12:13]
	s_delay_alu instid0(VALU_DEP_1) | instskip(NEXT) | instid1(VALU_DEP_1)
	v_div_fmas_f64 v[2:3], v[2:3], v[8:9], v[10:11]
	v_div_fixup_f64 v[8:9], v[2:3], v[4:5], 1.0
                                        ; implicit-def: $vgpr2_vgpr3
	s_delay_alu instid0(VALU_DEP_1) | instskip(SKIP_1) | instid1(VALU_DEP_2)
	v_mul_f64_e32 v[6:7], v[6:7], v[8:9]
	v_xor_b32_e32 v9, 0x80000000, v9
	v_xor_b32_e32 v11, 0x80000000, v7
	s_delay_alu instid0(VALU_DEP_3)
	v_mov_b32_e32 v10, v6
.LBB125_15:
	s_and_not1_saveexec_b32 s3, s3
	s_cbranch_execz .LBB125_17
; %bb.16:
	v_div_scale_f64 v[6:7], null, v[2:3], v[2:3], v[4:5]
	v_div_scale_f64 v[12:13], vcc_lo, v[4:5], v[2:3], v[4:5]
	s_delay_alu instid0(VALU_DEP_2) | instskip(SKIP_1) | instid1(TRANS32_DEP_1)
	v_rcp_f64_e32 v[8:9], v[6:7]
	v_nop
	v_fma_f64 v[10:11], -v[6:7], v[8:9], 1.0
	s_delay_alu instid0(VALU_DEP_1) | instskip(NEXT) | instid1(VALU_DEP_1)
	v_fmac_f64_e32 v[8:9], v[8:9], v[10:11]
	v_fma_f64 v[10:11], -v[6:7], v[8:9], 1.0
	s_delay_alu instid0(VALU_DEP_1) | instskip(NEXT) | instid1(VALU_DEP_1)
	v_fmac_f64_e32 v[8:9], v[8:9], v[10:11]
	v_mul_f64_e32 v[10:11], v[12:13], v[8:9]
	s_delay_alu instid0(VALU_DEP_1) | instskip(NEXT) | instid1(VALU_DEP_1)
	v_fma_f64 v[6:7], -v[6:7], v[10:11], v[12:13]
	v_div_fmas_f64 v[6:7], v[6:7], v[8:9], v[10:11]
	s_delay_alu instid0(VALU_DEP_1) | instskip(NEXT) | instid1(VALU_DEP_1)
	v_div_fixup_f64 v[8:9], v[6:7], v[2:3], v[4:5]
	v_fmac_f64_e32 v[2:3], v[4:5], v[8:9]
	s_delay_alu instid0(VALU_DEP_1) | instskip(NEXT) | instid1(VALU_DEP_1)
	v_div_scale_f64 v[4:5], null, v[2:3], v[2:3], 1.0
	v_rcp_f64_e32 v[6:7], v[4:5]
	v_nop
	s_delay_alu instid0(TRANS32_DEP_1) | instskip(NEXT) | instid1(VALU_DEP_1)
	v_fma_f64 v[10:11], -v[4:5], v[6:7], 1.0
	v_fmac_f64_e32 v[6:7], v[6:7], v[10:11]
	s_delay_alu instid0(VALU_DEP_1) | instskip(NEXT) | instid1(VALU_DEP_1)
	v_fma_f64 v[10:11], -v[4:5], v[6:7], 1.0
	v_fmac_f64_e32 v[6:7], v[6:7], v[10:11]
	v_div_scale_f64 v[10:11], vcc_lo, 1.0, v[2:3], 1.0
	s_delay_alu instid0(VALU_DEP_1) | instskip(NEXT) | instid1(VALU_DEP_1)
	v_mul_f64_e32 v[12:13], v[10:11], v[6:7]
	v_fma_f64 v[4:5], -v[4:5], v[12:13], v[10:11]
	s_delay_alu instid0(VALU_DEP_1) | instskip(NEXT) | instid1(VALU_DEP_1)
	v_div_fmas_f64 v[4:5], v[4:5], v[6:7], v[12:13]
	v_div_fixup_f64 v[6:7], v[4:5], v[2:3], 1.0
	s_delay_alu instid0(VALU_DEP_1)
	v_mul_f64_e64 v[8:9], v[8:9], -v[6:7]
	v_xor_b32_e32 v11, 0x80000000, v7
	v_mov_b32_e32 v10, v6
.LBB125_17:
	s_or_b32 exec_lo, exec_lo, s3
	s_clause 0x1
	scratch_store_b128 v15, v[6:9], off
	scratch_load_b128 v[2:5], off, s20
	v_xor_b32_e32 v13, 0x80000000, v9
	v_mov_b32_e32 v12, v8
	s_wait_xcnt 0x1
	v_add_nc_u32_e32 v6, 0x3e0, v14
	ds_store_b128 v14, v[10:13]
	s_wait_loadcnt 0x0
	ds_store_b128 v14, v[2:5] offset:992
	s_wait_storecnt_dscnt 0x0
	s_barrier_signal -1
	s_barrier_wait -1
	s_wait_xcnt 0x0
	s_and_saveexec_b32 s3, s2
	s_cbranch_execz .LBB125_19
; %bb.18:
	scratch_load_b128 v[2:5], v15, off
	ds_load_b128 v[8:11], v6
	v_mov_b32_e32 v7, 0
	ds_load_b128 v[142:145], v7 offset:16
	s_wait_loadcnt_dscnt 0x1
	v_mul_f64_e32 v[12:13], v[8:9], v[4:5]
	v_mul_f64_e32 v[4:5], v[10:11], v[4:5]
	s_delay_alu instid0(VALU_DEP_2) | instskip(NEXT) | instid1(VALU_DEP_2)
	v_fmac_f64_e32 v[12:13], v[10:11], v[2:3]
	v_fma_f64 v[2:3], v[8:9], v[2:3], -v[4:5]
	s_delay_alu instid0(VALU_DEP_2) | instskip(NEXT) | instid1(VALU_DEP_2)
	v_add_f64_e32 v[8:9], 0, v[12:13]
	v_add_f64_e32 v[2:3], 0, v[2:3]
	s_wait_dscnt 0x0
	s_delay_alu instid0(VALU_DEP_2) | instskip(NEXT) | instid1(VALU_DEP_2)
	v_mul_f64_e32 v[10:11], v[8:9], v[144:145]
	v_mul_f64_e32 v[4:5], v[2:3], v[144:145]
	s_delay_alu instid0(VALU_DEP_2) | instskip(NEXT) | instid1(VALU_DEP_2)
	v_fma_f64 v[2:3], v[2:3], v[142:143], -v[10:11]
	v_fmac_f64_e32 v[4:5], v[8:9], v[142:143]
	scratch_store_b128 off, v[2:5], off offset:16
.LBB125_19:
	s_wait_xcnt 0x0
	s_or_b32 exec_lo, exec_lo, s3
	s_wait_storecnt 0x0
	s_barrier_signal -1
	s_barrier_wait -1
	scratch_load_b128 v[2:5], off, s18
	v_cmp_gt_u32_e32 vcc_lo, 2, v1
	s_wait_loadcnt 0x0
	ds_store_b128 v6, v[2:5]
	s_wait_dscnt 0x0
	s_barrier_signal -1
	s_barrier_wait -1
	s_and_saveexec_b32 s3, vcc_lo
	s_cbranch_execz .LBB125_23
; %bb.20:
	scratch_load_b128 v[2:5], v15, off
	ds_load_b128 v[8:11], v6
	s_wait_loadcnt_dscnt 0x0
	v_mul_f64_e32 v[12:13], v[10:11], v[4:5]
	v_mul_f64_e32 v[16:17], v[8:9], v[4:5]
	s_delay_alu instid0(VALU_DEP_2) | instskip(NEXT) | instid1(VALU_DEP_2)
	v_fma_f64 v[4:5], v[8:9], v[2:3], -v[12:13]
	v_fmac_f64_e32 v[16:17], v[10:11], v[2:3]
	s_delay_alu instid0(VALU_DEP_2) | instskip(NEXT) | instid1(VALU_DEP_2)
	v_add_f64_e32 v[4:5], 0, v[4:5]
	v_add_f64_e32 v[2:3], 0, v[16:17]
	s_and_saveexec_b32 s4, s2
	s_cbranch_execz .LBB125_22
; %bb.21:
	scratch_load_b128 v[8:11], off, off offset:16
	v_mov_b32_e32 v7, 0
	ds_load_b128 v[142:145], v7 offset:1008
	s_wait_loadcnt_dscnt 0x0
	v_mul_f64_e32 v[12:13], v[142:143], v[10:11]
	v_mul_f64_e32 v[10:11], v[144:145], v[10:11]
	s_delay_alu instid0(VALU_DEP_2) | instskip(NEXT) | instid1(VALU_DEP_2)
	v_fmac_f64_e32 v[12:13], v[144:145], v[8:9]
	v_fma_f64 v[8:9], v[142:143], v[8:9], -v[10:11]
	s_delay_alu instid0(VALU_DEP_2) | instskip(NEXT) | instid1(VALU_DEP_2)
	v_add_f64_e32 v[2:3], v[2:3], v[12:13]
	v_add_f64_e32 v[4:5], v[4:5], v[8:9]
.LBB125_22:
	s_or_b32 exec_lo, exec_lo, s4
	v_mov_b32_e32 v7, 0
	ds_load_b128 v[8:11], v7 offset:32
	s_wait_dscnt 0x0
	v_mul_f64_e32 v[16:17], v[2:3], v[10:11]
	v_mul_f64_e32 v[12:13], v[4:5], v[10:11]
	s_delay_alu instid0(VALU_DEP_2) | instskip(NEXT) | instid1(VALU_DEP_2)
	v_fma_f64 v[10:11], v[4:5], v[8:9], -v[16:17]
	v_fmac_f64_e32 v[12:13], v[2:3], v[8:9]
	scratch_store_b128 off, v[10:13], off offset:32
.LBB125_23:
	s_wait_xcnt 0x0
	s_or_b32 exec_lo, exec_lo, s3
	s_wait_storecnt 0x0
	s_barrier_signal -1
	s_barrier_wait -1
	scratch_load_b128 v[2:5], off, s16
	v_add_nc_u32_e32 v7, -1, v1
	s_mov_b32 s4, exec_lo
	s_wait_loadcnt 0x0
	ds_store_b128 v6, v[2:5]
	s_wait_dscnt 0x0
	s_barrier_signal -1
	s_barrier_wait -1
	v_cmpx_gt_u32_e32 3, v1
	s_cbranch_execz .LBB125_27
; %bb.24:
	v_dual_mov_b32 v10, v14 :: v_dual_add_nc_u32 v8, -1, v1
	v_mov_b64_e32 v[2:3], 0
	v_mov_b64_e32 v[4:5], 0
	v_add_nc_u32_e32 v9, 0x3e0, v14
	s_delay_alu instid0(VALU_DEP_4)
	v_or_b32_e32 v10, 8, v10
	s_mov_b32 s5, 0
.LBB125_25:                             ; =>This Inner Loop Header: Depth=1
	scratch_load_b128 v[142:145], v10, off offset:-8
	ds_load_b128 v[146:149], v9
	s_wait_xcnt 0x0
	v_dual_add_nc_u32 v9, 16, v9 :: v_dual_add_nc_u32 v10, 16, v10
	v_add_nc_u32_e32 v8, 1, v8
	s_delay_alu instid0(VALU_DEP_1) | instskip(SKIP_4) | instid1(VALU_DEP_2)
	v_cmp_lt_u32_e64 s3, 1, v8
	s_or_b32 s5, s3, s5
	s_wait_loadcnt_dscnt 0x0
	v_mul_f64_e32 v[12:13], v[148:149], v[144:145]
	v_mul_f64_e32 v[16:17], v[146:147], v[144:145]
	v_fma_f64 v[12:13], v[146:147], v[142:143], -v[12:13]
	s_delay_alu instid0(VALU_DEP_2) | instskip(NEXT) | instid1(VALU_DEP_2)
	v_fmac_f64_e32 v[16:17], v[148:149], v[142:143]
	v_add_f64_e32 v[4:5], v[4:5], v[12:13]
	s_delay_alu instid0(VALU_DEP_2)
	v_add_f64_e32 v[2:3], v[2:3], v[16:17]
	s_and_not1_b32 exec_lo, exec_lo, s5
	s_cbranch_execnz .LBB125_25
; %bb.26:
	s_or_b32 exec_lo, exec_lo, s5
	v_mov_b32_e32 v8, 0
	ds_load_b128 v[8:11], v8 offset:48
	s_wait_dscnt 0x0
	v_mul_f64_e32 v[16:17], v[2:3], v[10:11]
	v_mul_f64_e32 v[12:13], v[4:5], v[10:11]
	s_delay_alu instid0(VALU_DEP_2) | instskip(NEXT) | instid1(VALU_DEP_2)
	v_fma_f64 v[10:11], v[4:5], v[8:9], -v[16:17]
	v_fmac_f64_e32 v[12:13], v[2:3], v[8:9]
	scratch_store_b128 off, v[10:13], off offset:48
.LBB125_27:
	s_wait_xcnt 0x0
	s_or_b32 exec_lo, exec_lo, s4
	s_wait_storecnt 0x0
	s_barrier_signal -1
	s_barrier_wait -1
	scratch_load_b128 v[2:5], off, s14
	v_cmp_gt_u32_e64 s3, 4, v1
	s_wait_loadcnt 0x0
	ds_store_b128 v6, v[2:5]
	s_wait_dscnt 0x0
	s_barrier_signal -1
	s_barrier_wait -1
	s_and_saveexec_b32 s5, s3
	s_cbranch_execz .LBB125_31
; %bb.28:
	v_dual_mov_b32 v10, v14 :: v_dual_add_nc_u32 v8, -1, v1
	v_mov_b64_e32 v[2:3], 0
	v_mov_b64_e32 v[4:5], 0
	v_add_nc_u32_e32 v9, 0x3e0, v14
	s_delay_alu instid0(VALU_DEP_4)
	v_or_b32_e32 v10, 8, v10
	s_mov_b32 s77, 0
.LBB125_29:                             ; =>This Inner Loop Header: Depth=1
	scratch_load_b128 v[142:145], v10, off offset:-8
	ds_load_b128 v[146:149], v9
	s_wait_xcnt 0x0
	v_dual_add_nc_u32 v9, 16, v9 :: v_dual_add_nc_u32 v10, 16, v10
	v_add_nc_u32_e32 v8, 1, v8
	s_delay_alu instid0(VALU_DEP_1) | instskip(SKIP_4) | instid1(VALU_DEP_2)
	v_cmp_lt_u32_e64 s4, 2, v8
	s_or_b32 s77, s4, s77
	s_wait_loadcnt_dscnt 0x0
	v_mul_f64_e32 v[12:13], v[148:149], v[144:145]
	v_mul_f64_e32 v[16:17], v[146:147], v[144:145]
	v_fma_f64 v[12:13], v[146:147], v[142:143], -v[12:13]
	s_delay_alu instid0(VALU_DEP_2) | instskip(NEXT) | instid1(VALU_DEP_2)
	v_fmac_f64_e32 v[16:17], v[148:149], v[142:143]
	v_add_f64_e32 v[4:5], v[4:5], v[12:13]
	s_delay_alu instid0(VALU_DEP_2)
	v_add_f64_e32 v[2:3], v[2:3], v[16:17]
	s_and_not1_b32 exec_lo, exec_lo, s77
	s_cbranch_execnz .LBB125_29
; %bb.30:
	s_or_b32 exec_lo, exec_lo, s77
	v_mov_b32_e32 v8, 0
	ds_load_b128 v[8:11], v8 offset:64
	s_wait_dscnt 0x0
	v_mul_f64_e32 v[16:17], v[2:3], v[10:11]
	v_mul_f64_e32 v[12:13], v[4:5], v[10:11]
	s_delay_alu instid0(VALU_DEP_2) | instskip(NEXT) | instid1(VALU_DEP_2)
	v_fma_f64 v[10:11], v[4:5], v[8:9], -v[16:17]
	v_fmac_f64_e32 v[12:13], v[2:3], v[8:9]
	scratch_store_b128 off, v[10:13], off offset:64
.LBB125_31:
	s_wait_xcnt 0x0
	s_or_b32 exec_lo, exec_lo, s5
	s_wait_storecnt 0x0
	s_barrier_signal -1
	s_barrier_wait -1
	scratch_load_b128 v[2:5], off, s75
	s_mov_b32 s5, exec_lo
	s_wait_loadcnt 0x0
	ds_store_b128 v6, v[2:5]
	s_wait_dscnt 0x0
	s_barrier_signal -1
	s_barrier_wait -1
	v_cmpx_gt_u32_e32 5, v1
	s_cbranch_execz .LBB125_35
; %bb.32:
	v_dual_mov_b32 v10, v14 :: v_dual_add_nc_u32 v8, -1, v1
	v_mov_b64_e32 v[2:3], 0
	v_mov_b64_e32 v[4:5], 0
	v_add_nc_u32_e32 v9, 0x3e0, v14
	s_delay_alu instid0(VALU_DEP_4)
	v_or_b32_e32 v10, 8, v10
	s_mov_b32 s77, 0
.LBB125_33:                             ; =>This Inner Loop Header: Depth=1
	scratch_load_b128 v[142:145], v10, off offset:-8
	ds_load_b128 v[146:149], v9
	s_wait_xcnt 0x0
	v_dual_add_nc_u32 v9, 16, v9 :: v_dual_add_nc_u32 v10, 16, v10
	v_add_nc_u32_e32 v8, 1, v8
	s_delay_alu instid0(VALU_DEP_1) | instskip(SKIP_4) | instid1(VALU_DEP_2)
	v_cmp_lt_u32_e64 s4, 3, v8
	s_or_b32 s77, s4, s77
	s_wait_loadcnt_dscnt 0x0
	v_mul_f64_e32 v[12:13], v[148:149], v[144:145]
	v_mul_f64_e32 v[16:17], v[146:147], v[144:145]
	v_fma_f64 v[12:13], v[146:147], v[142:143], -v[12:13]
	s_delay_alu instid0(VALU_DEP_2) | instskip(NEXT) | instid1(VALU_DEP_2)
	v_fmac_f64_e32 v[16:17], v[148:149], v[142:143]
	v_add_f64_e32 v[4:5], v[4:5], v[12:13]
	s_delay_alu instid0(VALU_DEP_2)
	v_add_f64_e32 v[2:3], v[2:3], v[16:17]
	s_and_not1_b32 exec_lo, exec_lo, s77
	s_cbranch_execnz .LBB125_33
; %bb.34:
	s_or_b32 exec_lo, exec_lo, s77
	v_mov_b32_e32 v8, 0
	ds_load_b128 v[8:11], v8 offset:80
	s_wait_dscnt 0x0
	v_mul_f64_e32 v[16:17], v[2:3], v[10:11]
	v_mul_f64_e32 v[12:13], v[4:5], v[10:11]
	s_delay_alu instid0(VALU_DEP_2) | instskip(NEXT) | instid1(VALU_DEP_2)
	v_fma_f64 v[10:11], v[4:5], v[8:9], -v[16:17]
	v_fmac_f64_e32 v[12:13], v[2:3], v[8:9]
	scratch_store_b128 off, v[10:13], off offset:80
.LBB125_35:
	s_wait_xcnt 0x0
	s_or_b32 exec_lo, exec_lo, s5
	s_wait_storecnt 0x0
	s_barrier_signal -1
	s_barrier_wait -1
	scratch_load_b128 v[2:5], off, s74
	v_cmp_gt_u32_e64 s4, 6, v1
	s_wait_loadcnt 0x0
	ds_store_b128 v6, v[2:5]
	s_wait_dscnt 0x0
	s_barrier_signal -1
	s_barrier_wait -1
	s_and_saveexec_b32 s77, s4
	s_cbranch_execz .LBB125_39
; %bb.36:
	v_dual_mov_b32 v10, v14 :: v_dual_add_nc_u32 v8, -1, v1
	v_mov_b64_e32 v[2:3], 0
	v_mov_b64_e32 v[4:5], 0
	v_add_nc_u32_e32 v9, 0x3e0, v14
	s_delay_alu instid0(VALU_DEP_4)
	v_or_b32_e32 v10, 8, v10
	s_mov_b32 s78, 0
.LBB125_37:                             ; =>This Inner Loop Header: Depth=1
	scratch_load_b128 v[142:145], v10, off offset:-8
	ds_load_b128 v[146:149], v9
	s_wait_xcnt 0x0
	v_dual_add_nc_u32 v9, 16, v9 :: v_dual_add_nc_u32 v10, 16, v10
	v_add_nc_u32_e32 v8, 1, v8
	s_delay_alu instid0(VALU_DEP_1) | instskip(SKIP_4) | instid1(VALU_DEP_2)
	v_cmp_lt_u32_e64 s5, 4, v8
	s_or_b32 s78, s5, s78
	s_wait_loadcnt_dscnt 0x0
	v_mul_f64_e32 v[12:13], v[148:149], v[144:145]
	v_mul_f64_e32 v[16:17], v[146:147], v[144:145]
	v_fma_f64 v[12:13], v[146:147], v[142:143], -v[12:13]
	s_delay_alu instid0(VALU_DEP_2) | instskip(NEXT) | instid1(VALU_DEP_2)
	v_fmac_f64_e32 v[16:17], v[148:149], v[142:143]
	v_add_f64_e32 v[4:5], v[4:5], v[12:13]
	s_delay_alu instid0(VALU_DEP_2)
	v_add_f64_e32 v[2:3], v[2:3], v[16:17]
	s_and_not1_b32 exec_lo, exec_lo, s78
	s_cbranch_execnz .LBB125_37
; %bb.38:
	s_or_b32 exec_lo, exec_lo, s78
	v_mov_b32_e32 v8, 0
	ds_load_b128 v[8:11], v8 offset:96
	s_wait_dscnt 0x0
	v_mul_f64_e32 v[16:17], v[2:3], v[10:11]
	v_mul_f64_e32 v[12:13], v[4:5], v[10:11]
	s_delay_alu instid0(VALU_DEP_2) | instskip(NEXT) | instid1(VALU_DEP_2)
	v_fma_f64 v[10:11], v[4:5], v[8:9], -v[16:17]
	v_fmac_f64_e32 v[12:13], v[2:3], v[8:9]
	scratch_store_b128 off, v[10:13], off offset:96
.LBB125_39:
	s_wait_xcnt 0x0
	s_or_b32 exec_lo, exec_lo, s77
	s_wait_storecnt 0x0
	s_barrier_signal -1
	s_barrier_wait -1
	scratch_load_b128 v[2:5], off, s73
	s_mov_b32 s77, exec_lo
	s_wait_loadcnt 0x0
	ds_store_b128 v6, v[2:5]
	s_wait_dscnt 0x0
	s_barrier_signal -1
	s_barrier_wait -1
	v_cmpx_gt_u32_e32 7, v1
	s_cbranch_execz .LBB125_43
; %bb.40:
	v_dual_mov_b32 v10, v14 :: v_dual_add_nc_u32 v8, -1, v1
	v_mov_b64_e32 v[2:3], 0
	v_mov_b64_e32 v[4:5], 0
	v_add_nc_u32_e32 v9, 0x3e0, v14
	s_delay_alu instid0(VALU_DEP_4)
	v_or_b32_e32 v10, 8, v10
	s_mov_b32 s78, 0
.LBB125_41:                             ; =>This Inner Loop Header: Depth=1
	scratch_load_b128 v[142:145], v10, off offset:-8
	ds_load_b128 v[146:149], v9
	s_wait_xcnt 0x0
	v_dual_add_nc_u32 v9, 16, v9 :: v_dual_add_nc_u32 v10, 16, v10
	v_add_nc_u32_e32 v8, 1, v8
	s_delay_alu instid0(VALU_DEP_1) | instskip(SKIP_4) | instid1(VALU_DEP_2)
	v_cmp_lt_u32_e64 s5, 5, v8
	s_or_b32 s78, s5, s78
	s_wait_loadcnt_dscnt 0x0
	v_mul_f64_e32 v[12:13], v[148:149], v[144:145]
	v_mul_f64_e32 v[16:17], v[146:147], v[144:145]
	v_fma_f64 v[12:13], v[146:147], v[142:143], -v[12:13]
	s_delay_alu instid0(VALU_DEP_2) | instskip(NEXT) | instid1(VALU_DEP_2)
	v_fmac_f64_e32 v[16:17], v[148:149], v[142:143]
	v_add_f64_e32 v[4:5], v[4:5], v[12:13]
	s_delay_alu instid0(VALU_DEP_2)
	v_add_f64_e32 v[2:3], v[2:3], v[16:17]
	s_and_not1_b32 exec_lo, exec_lo, s78
	s_cbranch_execnz .LBB125_41
; %bb.42:
	s_or_b32 exec_lo, exec_lo, s78
	v_mov_b32_e32 v8, 0
	ds_load_b128 v[8:11], v8 offset:112
	s_wait_dscnt 0x0
	v_mul_f64_e32 v[16:17], v[2:3], v[10:11]
	v_mul_f64_e32 v[12:13], v[4:5], v[10:11]
	s_delay_alu instid0(VALU_DEP_2) | instskip(NEXT) | instid1(VALU_DEP_2)
	v_fma_f64 v[10:11], v[4:5], v[8:9], -v[16:17]
	v_fmac_f64_e32 v[12:13], v[2:3], v[8:9]
	scratch_store_b128 off, v[10:13], off offset:112
.LBB125_43:
	s_wait_xcnt 0x0
	s_or_b32 exec_lo, exec_lo, s77
	s_wait_storecnt 0x0
	s_barrier_signal -1
	s_barrier_wait -1
	scratch_load_b128 v[2:5], off, s72
	s_mov_b32 s77, exec_lo
	s_wait_loadcnt 0x0
	ds_store_b128 v6, v[2:5]
	s_wait_dscnt 0x0
	s_barrier_signal -1
	s_barrier_wait -1
	v_cmpx_gt_u32_e32 8, v1
	s_cbranch_execz .LBB125_59
; %bb.44:
	scratch_load_b128 v[2:5], v15, off
	ds_load_b128 v[8:11], v6
	s_mov_b32 s78, exec_lo
	s_wait_loadcnt_dscnt 0x0
	v_mul_f64_e32 v[12:13], v[10:11], v[4:5]
	v_mul_f64_e32 v[16:17], v[8:9], v[4:5]
	s_delay_alu instid0(VALU_DEP_2) | instskip(NEXT) | instid1(VALU_DEP_2)
	v_fma_f64 v[4:5], v[8:9], v[2:3], -v[12:13]
	v_fmac_f64_e32 v[16:17], v[10:11], v[2:3]
	s_delay_alu instid0(VALU_DEP_2) | instskip(NEXT) | instid1(VALU_DEP_2)
	v_add_f64_e32 v[4:5], 0, v[4:5]
	v_add_f64_e32 v[2:3], 0, v[16:17]
	v_cmpx_ne_u32_e32 7, v1
	s_cbranch_execz .LBB125_58
; %bb.45:
	scratch_load_b128 v[8:11], v15, off offset:16
	ds_load_b128 v[142:145], v6 offset:16
	s_wait_loadcnt_dscnt 0x0
	v_mul_f64_e32 v[12:13], v[144:145], v[10:11]
	v_mul_f64_e32 v[10:11], v[142:143], v[10:11]
	s_delay_alu instid0(VALU_DEP_2) | instskip(NEXT) | instid1(VALU_DEP_2)
	v_fma_f64 v[12:13], v[142:143], v[8:9], -v[12:13]
	v_fmac_f64_e32 v[10:11], v[144:145], v[8:9]
	s_delay_alu instid0(VALU_DEP_2) | instskip(NEXT) | instid1(VALU_DEP_2)
	v_add_f64_e32 v[4:5], v[4:5], v[12:13]
	v_add_f64_e32 v[2:3], v[2:3], v[10:11]
	s_and_saveexec_b32 s5, s4
	s_cbranch_execz .LBB125_57
; %bb.46:
	scratch_load_b128 v[8:11], v15, off offset:32
	ds_load_b128 v[142:145], v6 offset:32
	s_mov_b32 s79, exec_lo
	s_wait_loadcnt_dscnt 0x0
	v_mul_f64_e32 v[12:13], v[144:145], v[10:11]
	v_mul_f64_e32 v[10:11], v[142:143], v[10:11]
	s_delay_alu instid0(VALU_DEP_2) | instskip(NEXT) | instid1(VALU_DEP_2)
	v_fma_f64 v[12:13], v[142:143], v[8:9], -v[12:13]
	v_fmac_f64_e32 v[10:11], v[144:145], v[8:9]
	s_delay_alu instid0(VALU_DEP_2) | instskip(NEXT) | instid1(VALU_DEP_2)
	v_add_f64_e32 v[4:5], v[4:5], v[12:13]
	v_add_f64_e32 v[2:3], v[2:3], v[10:11]
	v_cmpx_ne_u32_e32 5, v1
	s_cbranch_execz .LBB125_56
; %bb.47:
	scratch_load_b128 v[8:11], v15, off offset:48
	ds_load_b128 v[142:145], v6 offset:48
	s_wait_loadcnt_dscnt 0x0
	v_mul_f64_e32 v[12:13], v[144:145], v[10:11]
	v_mul_f64_e32 v[10:11], v[142:143], v[10:11]
	s_delay_alu instid0(VALU_DEP_2) | instskip(NEXT) | instid1(VALU_DEP_2)
	v_fma_f64 v[12:13], v[142:143], v[8:9], -v[12:13]
	v_fmac_f64_e32 v[10:11], v[144:145], v[8:9]
	s_delay_alu instid0(VALU_DEP_2) | instskip(NEXT) | instid1(VALU_DEP_2)
	v_add_f64_e32 v[4:5], v[4:5], v[12:13]
	v_add_f64_e32 v[2:3], v[2:3], v[10:11]
	s_and_saveexec_b32 s4, s3
	s_cbranch_execz .LBB125_55
; %bb.48:
	scratch_load_b128 v[8:11], v15, off offset:64
	ds_load_b128 v[142:145], v6 offset:64
	s_mov_b32 s80, exec_lo
	s_wait_loadcnt_dscnt 0x0
	v_mul_f64_e32 v[12:13], v[144:145], v[10:11]
	v_mul_f64_e32 v[10:11], v[142:143], v[10:11]
	s_delay_alu instid0(VALU_DEP_2) | instskip(NEXT) | instid1(VALU_DEP_2)
	v_fma_f64 v[12:13], v[142:143], v[8:9], -v[12:13]
	v_fmac_f64_e32 v[10:11], v[144:145], v[8:9]
	s_delay_alu instid0(VALU_DEP_2) | instskip(NEXT) | instid1(VALU_DEP_2)
	v_add_f64_e32 v[4:5], v[4:5], v[12:13]
	v_add_f64_e32 v[2:3], v[2:3], v[10:11]
	v_cmpx_ne_u32_e32 3, v1
	s_cbranch_execz .LBB125_54
; %bb.49:
	scratch_load_b128 v[8:11], v15, off offset:80
	ds_load_b128 v[142:145], v6 offset:80
	s_wait_loadcnt_dscnt 0x0
	v_mul_f64_e32 v[12:13], v[144:145], v[10:11]
	v_mul_f64_e32 v[10:11], v[142:143], v[10:11]
	s_delay_alu instid0(VALU_DEP_2) | instskip(NEXT) | instid1(VALU_DEP_2)
	v_fma_f64 v[12:13], v[142:143], v[8:9], -v[12:13]
	v_fmac_f64_e32 v[10:11], v[144:145], v[8:9]
	s_delay_alu instid0(VALU_DEP_2) | instskip(NEXT) | instid1(VALU_DEP_2)
	v_add_f64_e32 v[4:5], v[4:5], v[12:13]
	v_add_f64_e32 v[2:3], v[2:3], v[10:11]
	s_and_saveexec_b32 s3, vcc_lo
	s_cbranch_execz .LBB125_53
; %bb.50:
	scratch_load_b128 v[8:11], v15, off offset:96
	ds_load_b128 v[142:145], v6 offset:96
	s_wait_loadcnt_dscnt 0x0
	v_mul_f64_e32 v[12:13], v[144:145], v[10:11]
	v_mul_f64_e32 v[10:11], v[142:143], v[10:11]
	s_delay_alu instid0(VALU_DEP_2) | instskip(NEXT) | instid1(VALU_DEP_2)
	v_fma_f64 v[12:13], v[142:143], v[8:9], -v[12:13]
	v_fmac_f64_e32 v[10:11], v[144:145], v[8:9]
	s_delay_alu instid0(VALU_DEP_2) | instskip(NEXT) | instid1(VALU_DEP_2)
	v_add_f64_e32 v[4:5], v[4:5], v[12:13]
	v_add_f64_e32 v[2:3], v[2:3], v[10:11]
	s_and_saveexec_b32 s81, s2
	s_cbranch_execz .LBB125_52
; %bb.51:
	scratch_load_b128 v[8:11], v15, off offset:112
	ds_load_b128 v[142:145], v6 offset:112
	s_wait_loadcnt_dscnt 0x0
	v_mul_f64_e32 v[12:13], v[144:145], v[10:11]
	v_mul_f64_e32 v[10:11], v[142:143], v[10:11]
	s_delay_alu instid0(VALU_DEP_2) | instskip(NEXT) | instid1(VALU_DEP_2)
	v_fma_f64 v[12:13], v[142:143], v[8:9], -v[12:13]
	v_fmac_f64_e32 v[10:11], v[144:145], v[8:9]
	s_delay_alu instid0(VALU_DEP_2) | instskip(NEXT) | instid1(VALU_DEP_2)
	v_add_f64_e32 v[4:5], v[4:5], v[12:13]
	v_add_f64_e32 v[2:3], v[2:3], v[10:11]
.LBB125_52:
	s_or_b32 exec_lo, exec_lo, s81
.LBB125_53:
	s_delay_alu instid0(SALU_CYCLE_1)
	s_or_b32 exec_lo, exec_lo, s3
.LBB125_54:
	s_delay_alu instid0(SALU_CYCLE_1)
	s_or_b32 exec_lo, exec_lo, s80
.LBB125_55:
	s_delay_alu instid0(SALU_CYCLE_1)
	s_or_b32 exec_lo, exec_lo, s4
.LBB125_56:
	s_delay_alu instid0(SALU_CYCLE_1)
	s_or_b32 exec_lo, exec_lo, s79
.LBB125_57:
	s_delay_alu instid0(SALU_CYCLE_1)
	s_or_b32 exec_lo, exec_lo, s5
.LBB125_58:
	s_delay_alu instid0(SALU_CYCLE_1)
	s_or_b32 exec_lo, exec_lo, s78
	v_mov_b32_e32 v8, 0
	ds_load_b128 v[8:11], v8 offset:128
	s_wait_dscnt 0x0
	v_mul_f64_e32 v[16:17], v[2:3], v[10:11]
	v_mul_f64_e32 v[12:13], v[4:5], v[10:11]
	s_delay_alu instid0(VALU_DEP_2) | instskip(NEXT) | instid1(VALU_DEP_2)
	v_fma_f64 v[10:11], v[4:5], v[8:9], -v[16:17]
	v_fmac_f64_e32 v[12:13], v[2:3], v[8:9]
	scratch_store_b128 off, v[10:13], off offset:128
.LBB125_59:
	s_wait_xcnt 0x0
	s_or_b32 exec_lo, exec_lo, s77
	s_wait_storecnt 0x0
	s_barrier_signal -1
	s_barrier_wait -1
	scratch_load_b128 v[2:5], off, s71
	s_mov_b32 s2, exec_lo
	s_wait_loadcnt 0x0
	ds_store_b128 v6, v[2:5]
	s_wait_dscnt 0x0
	s_barrier_signal -1
	s_barrier_wait -1
	v_cmpx_gt_u32_e32 9, v1
	s_cbranch_execz .LBB125_63
; %bb.60:
	v_dual_mov_b32 v10, v14 :: v_dual_add_nc_u32 v8, -1, v1
	v_mov_b64_e32 v[2:3], 0
	v_mov_b64_e32 v[4:5], 0
	v_add_nc_u32_e32 v9, 0x3e0, v14
	s_delay_alu instid0(VALU_DEP_4)
	v_or_b32_e32 v10, 8, v10
	s_mov_b32 s3, 0
.LBB125_61:                             ; =>This Inner Loop Header: Depth=1
	scratch_load_b128 v[142:145], v10, off offset:-8
	ds_load_b128 v[146:149], v9
	s_wait_xcnt 0x0
	v_dual_add_nc_u32 v9, 16, v9 :: v_dual_add_nc_u32 v10, 16, v10
	v_add_nc_u32_e32 v8, 1, v8
	s_delay_alu instid0(VALU_DEP_1) | instskip(SKIP_4) | instid1(VALU_DEP_2)
	v_cmp_lt_u32_e32 vcc_lo, 7, v8
	s_or_b32 s3, vcc_lo, s3
	s_wait_loadcnt_dscnt 0x0
	v_mul_f64_e32 v[12:13], v[148:149], v[144:145]
	v_mul_f64_e32 v[16:17], v[146:147], v[144:145]
	v_fma_f64 v[12:13], v[146:147], v[142:143], -v[12:13]
	s_delay_alu instid0(VALU_DEP_2) | instskip(NEXT) | instid1(VALU_DEP_2)
	v_fmac_f64_e32 v[16:17], v[148:149], v[142:143]
	v_add_f64_e32 v[4:5], v[4:5], v[12:13]
	s_delay_alu instid0(VALU_DEP_2)
	v_add_f64_e32 v[2:3], v[2:3], v[16:17]
	s_and_not1_b32 exec_lo, exec_lo, s3
	s_cbranch_execnz .LBB125_61
; %bb.62:
	s_or_b32 exec_lo, exec_lo, s3
	v_mov_b32_e32 v8, 0
	ds_load_b128 v[8:11], v8 offset:144
	s_wait_dscnt 0x0
	v_mul_f64_e32 v[16:17], v[2:3], v[10:11]
	v_mul_f64_e32 v[12:13], v[4:5], v[10:11]
	s_delay_alu instid0(VALU_DEP_2) | instskip(NEXT) | instid1(VALU_DEP_2)
	v_fma_f64 v[10:11], v[4:5], v[8:9], -v[16:17]
	v_fmac_f64_e32 v[12:13], v[2:3], v[8:9]
	scratch_store_b128 off, v[10:13], off offset:144
.LBB125_63:
	s_wait_xcnt 0x0
	s_or_b32 exec_lo, exec_lo, s2
	s_wait_storecnt 0x0
	s_barrier_signal -1
	s_barrier_wait -1
	scratch_load_b128 v[2:5], off, s70
	s_mov_b32 s2, exec_lo
	s_wait_loadcnt 0x0
	ds_store_b128 v6, v[2:5]
	s_wait_dscnt 0x0
	s_barrier_signal -1
	s_barrier_wait -1
	v_cmpx_gt_u32_e32 10, v1
	s_cbranch_execz .LBB125_67
; %bb.64:
	v_dual_mov_b32 v10, v14 :: v_dual_add_nc_u32 v8, -1, v1
	v_mov_b64_e32 v[2:3], 0
	v_mov_b64_e32 v[4:5], 0
	v_add_nc_u32_e32 v9, 0x3e0, v14
	s_delay_alu instid0(VALU_DEP_4)
	v_or_b32_e32 v10, 8, v10
	s_mov_b32 s3, 0
.LBB125_65:                             ; =>This Inner Loop Header: Depth=1
	scratch_load_b128 v[142:145], v10, off offset:-8
	ds_load_b128 v[146:149], v9
	s_wait_xcnt 0x0
	v_dual_add_nc_u32 v9, 16, v9 :: v_dual_add_nc_u32 v10, 16, v10
	v_add_nc_u32_e32 v8, 1, v8
	s_delay_alu instid0(VALU_DEP_1) | instskip(SKIP_4) | instid1(VALU_DEP_2)
	v_cmp_lt_u32_e32 vcc_lo, 8, v8
	s_or_b32 s3, vcc_lo, s3
	s_wait_loadcnt_dscnt 0x0
	v_mul_f64_e32 v[12:13], v[148:149], v[144:145]
	v_mul_f64_e32 v[16:17], v[146:147], v[144:145]
	v_fma_f64 v[12:13], v[146:147], v[142:143], -v[12:13]
	s_delay_alu instid0(VALU_DEP_2) | instskip(NEXT) | instid1(VALU_DEP_2)
	v_fmac_f64_e32 v[16:17], v[148:149], v[142:143]
	v_add_f64_e32 v[4:5], v[4:5], v[12:13]
	s_delay_alu instid0(VALU_DEP_2)
	v_add_f64_e32 v[2:3], v[2:3], v[16:17]
	s_and_not1_b32 exec_lo, exec_lo, s3
	s_cbranch_execnz .LBB125_65
; %bb.66:
	s_or_b32 exec_lo, exec_lo, s3
	v_mov_b32_e32 v8, 0
	ds_load_b128 v[8:11], v8 offset:160
	s_wait_dscnt 0x0
	v_mul_f64_e32 v[16:17], v[2:3], v[10:11]
	v_mul_f64_e32 v[12:13], v[4:5], v[10:11]
	s_delay_alu instid0(VALU_DEP_2) | instskip(NEXT) | instid1(VALU_DEP_2)
	v_fma_f64 v[10:11], v[4:5], v[8:9], -v[16:17]
	v_fmac_f64_e32 v[12:13], v[2:3], v[8:9]
	scratch_store_b128 off, v[10:13], off offset:160
.LBB125_67:
	;; [unrolled: 54-line block ×10, first 2 shown]
	s_wait_xcnt 0x0
	s_or_b32 exec_lo, exec_lo, s2
	s_wait_storecnt 0x0
	s_barrier_signal -1
	s_barrier_wait -1
	scratch_load_b128 v[2:5], off, s61
	s_mov_b32 s2, exec_lo
	s_wait_loadcnt 0x0
	ds_store_b128 v6, v[2:5]
	s_wait_dscnt 0x0
	s_barrier_signal -1
	s_barrier_wait -1
	v_cmpx_gt_u32_e32 19, v1
	s_cbranch_execz .LBB125_103
; %bb.100:
	v_dual_mov_b32 v10, v14 :: v_dual_add_nc_u32 v8, -1, v1
	v_mov_b64_e32 v[2:3], 0
	v_mov_b64_e32 v[4:5], 0
	v_add_nc_u32_e32 v9, 0x3e0, v14
	s_delay_alu instid0(VALU_DEP_4)
	v_or_b32_e32 v10, 8, v10
	s_mov_b32 s3, 0
.LBB125_101:                            ; =>This Inner Loop Header: Depth=1
	scratch_load_b128 v[142:145], v10, off offset:-8
	ds_load_b128 v[146:149], v9
	s_wait_xcnt 0x0
	v_dual_add_nc_u32 v9, 16, v9 :: v_dual_add_nc_u32 v10, 16, v10
	v_add_nc_u32_e32 v8, 1, v8
	s_delay_alu instid0(VALU_DEP_1) | instskip(SKIP_4) | instid1(VALU_DEP_2)
	v_cmp_lt_u32_e32 vcc_lo, 17, v8
	s_or_b32 s3, vcc_lo, s3
	s_wait_loadcnt_dscnt 0x0
	v_mul_f64_e32 v[12:13], v[148:149], v[144:145]
	v_mul_f64_e32 v[16:17], v[146:147], v[144:145]
	v_fma_f64 v[12:13], v[146:147], v[142:143], -v[12:13]
	s_delay_alu instid0(VALU_DEP_2) | instskip(NEXT) | instid1(VALU_DEP_2)
	v_fmac_f64_e32 v[16:17], v[148:149], v[142:143]
	v_add_f64_e32 v[4:5], v[4:5], v[12:13]
	s_delay_alu instid0(VALU_DEP_2)
	v_add_f64_e32 v[2:3], v[2:3], v[16:17]
	s_and_not1_b32 exec_lo, exec_lo, s3
	s_cbranch_execnz .LBB125_101
; %bb.102:
	s_or_b32 exec_lo, exec_lo, s3
	v_mov_b32_e32 v8, 0
	ds_load_b128 v[8:11], v8 offset:304
	s_wait_dscnt 0x0
	v_mul_f64_e32 v[16:17], v[2:3], v[10:11]
	v_mul_f64_e32 v[12:13], v[4:5], v[10:11]
	s_delay_alu instid0(VALU_DEP_2) | instskip(NEXT) | instid1(VALU_DEP_2)
	v_fma_f64 v[10:11], v[4:5], v[8:9], -v[16:17]
	v_fmac_f64_e32 v[12:13], v[2:3], v[8:9]
	scratch_store_b128 off, v[10:13], off offset:304
.LBB125_103:
	s_wait_xcnt 0x0
	s_or_b32 exec_lo, exec_lo, s2
	s_wait_storecnt 0x0
	s_barrier_signal -1
	s_barrier_wait -1
	scratch_load_b128 v[2:5], off, s60
	s_mov_b32 s2, exec_lo
	s_wait_loadcnt 0x0
	ds_store_b128 v6, v[2:5]
	s_wait_dscnt 0x0
	s_barrier_signal -1
	s_barrier_wait -1
	v_cmpx_gt_u32_e32 20, v1
	s_cbranch_execz .LBB125_107
; %bb.104:
	v_dual_mov_b32 v10, v14 :: v_dual_add_nc_u32 v8, -1, v1
	v_mov_b64_e32 v[2:3], 0
	v_mov_b64_e32 v[4:5], 0
	v_add_nc_u32_e32 v9, 0x3e0, v14
	s_delay_alu instid0(VALU_DEP_4)
	v_or_b32_e32 v10, 8, v10
	s_mov_b32 s3, 0
.LBB125_105:                            ; =>This Inner Loop Header: Depth=1
	scratch_load_b128 v[142:145], v10, off offset:-8
	ds_load_b128 v[146:149], v9
	s_wait_xcnt 0x0
	v_dual_add_nc_u32 v9, 16, v9 :: v_dual_add_nc_u32 v10, 16, v10
	v_add_nc_u32_e32 v8, 1, v8
	s_delay_alu instid0(VALU_DEP_1) | instskip(SKIP_4) | instid1(VALU_DEP_2)
	v_cmp_lt_u32_e32 vcc_lo, 18, v8
	s_or_b32 s3, vcc_lo, s3
	s_wait_loadcnt_dscnt 0x0
	v_mul_f64_e32 v[12:13], v[148:149], v[144:145]
	v_mul_f64_e32 v[16:17], v[146:147], v[144:145]
	v_fma_f64 v[12:13], v[146:147], v[142:143], -v[12:13]
	s_delay_alu instid0(VALU_DEP_2) | instskip(NEXT) | instid1(VALU_DEP_2)
	v_fmac_f64_e32 v[16:17], v[148:149], v[142:143]
	v_add_f64_e32 v[4:5], v[4:5], v[12:13]
	s_delay_alu instid0(VALU_DEP_2)
	v_add_f64_e32 v[2:3], v[2:3], v[16:17]
	s_and_not1_b32 exec_lo, exec_lo, s3
	s_cbranch_execnz .LBB125_105
; %bb.106:
	s_or_b32 exec_lo, exec_lo, s3
	v_mov_b32_e32 v8, 0
	ds_load_b128 v[8:11], v8 offset:320
	s_wait_dscnt 0x0
	v_mul_f64_e32 v[16:17], v[2:3], v[10:11]
	v_mul_f64_e32 v[12:13], v[4:5], v[10:11]
	s_delay_alu instid0(VALU_DEP_2) | instskip(NEXT) | instid1(VALU_DEP_2)
	v_fma_f64 v[10:11], v[4:5], v[8:9], -v[16:17]
	v_fmac_f64_e32 v[12:13], v[2:3], v[8:9]
	scratch_store_b128 off, v[10:13], off offset:320
.LBB125_107:
	;; [unrolled: 54-line block ×42, first 2 shown]
	s_wait_xcnt 0x0
	s_or_b32 exec_lo, exec_lo, s2
	s_wait_storecnt 0x0
	s_barrier_signal -1
	s_barrier_wait -1
	scratch_load_b128 v[2:5], off, s15
	s_mov_b32 s2, exec_lo
	s_wait_loadcnt 0x0
	ds_store_b128 v6, v[2:5]
	s_wait_dscnt 0x0
	s_barrier_signal -1
	s_barrier_wait -1
	v_cmpx_ne_u32_e32 61, v1
	s_cbranch_execz .LBB125_271
; %bb.268:
	v_mov_b32_e32 v8, v14
	v_mov_b64_e32 v[2:3], 0
	v_mov_b64_e32 v[4:5], 0
	s_mov_b32 s3, 0
	s_delay_alu instid0(VALU_DEP_3)
	v_or_b32_e32 v8, 8, v8
.LBB125_269:                            ; =>This Inner Loop Header: Depth=1
	scratch_load_b128 v[10:13], v8, off offset:-8
	ds_load_b128 v[14:17], v6
	v_dual_add_nc_u32 v7, 1, v7 :: v_dual_add_nc_u32 v6, 16, v6
	s_wait_xcnt 0x0
	v_add_nc_u32_e32 v8, 16, v8
	s_delay_alu instid0(VALU_DEP_2) | instskip(SKIP_4) | instid1(VALU_DEP_2)
	v_cmp_lt_u32_e32 vcc_lo, 59, v7
	s_or_b32 s3, vcc_lo, s3
	s_wait_loadcnt_dscnt 0x0
	v_mul_f64_e32 v[142:143], v[16:17], v[12:13]
	v_mul_f64_e32 v[12:13], v[14:15], v[12:13]
	v_fma_f64 v[14:15], v[14:15], v[10:11], -v[142:143]
	s_delay_alu instid0(VALU_DEP_2) | instskip(NEXT) | instid1(VALU_DEP_2)
	v_fmac_f64_e32 v[12:13], v[16:17], v[10:11]
	v_add_f64_e32 v[4:5], v[4:5], v[14:15]
	s_delay_alu instid0(VALU_DEP_2)
	v_add_f64_e32 v[2:3], v[2:3], v[12:13]
	s_and_not1_b32 exec_lo, exec_lo, s3
	s_cbranch_execnz .LBB125_269
; %bb.270:
	s_or_b32 exec_lo, exec_lo, s3
	v_mov_b32_e32 v6, 0
	ds_load_b128 v[6:9], v6 offset:976
	s_wait_dscnt 0x0
	v_mul_f64_e32 v[12:13], v[2:3], v[8:9]
	v_mul_f64_e32 v[10:11], v[4:5], v[8:9]
	s_delay_alu instid0(VALU_DEP_2) | instskip(NEXT) | instid1(VALU_DEP_2)
	v_fma_f64 v[8:9], v[4:5], v[6:7], -v[12:13]
	v_fmac_f64_e32 v[10:11], v[2:3], v[6:7]
	scratch_store_b128 off, v[8:11], off offset:976
.LBB125_271:
	s_wait_xcnt 0x0
	s_or_b32 exec_lo, exec_lo, s2
	s_mov_b32 s3, -1
	s_wait_storecnt 0x0
	s_barrier_signal -1
	s_barrier_wait -1
.LBB125_272:
	s_and_b32 vcc_lo, exec_lo, s3
	s_cbranch_vccz .LBB125_274
; %bb.273:
	s_wait_xcnt 0x0
	v_mov_b32_e32 v2, 0
	s_lshl_b64 s[2:3], s[12:13], 2
	s_delay_alu instid0(SALU_CYCLE_1)
	s_add_nc_u64 s[2:3], s[6:7], s[2:3]
	global_load_b32 v2, v2, s[2:3]
	s_wait_loadcnt 0x0
	v_cmp_ne_u32_e32 vcc_lo, 0, v2
	s_cbranch_vccz .LBB125_275
.LBB125_274:
	s_sendmsg sendmsg(MSG_DEALLOC_VGPRS)
	s_endpgm
.LBB125_275:
	v_lshl_add_u32 v16, v1, 4, 0x3e0
	s_wait_xcnt 0x0
	s_mov_b32 s2, exec_lo
	v_cmpx_eq_u32_e32 61, v1
	s_cbranch_execz .LBB125_277
; %bb.276:
	scratch_load_b128 v[2:5], off, s17
	v_mov_b32_e32 v6, 0
	s_delay_alu instid0(VALU_DEP_1)
	v_dual_mov_b32 v7, v6 :: v_dual_mov_b32 v8, v6
	v_mov_b32_e32 v9, v6
	scratch_store_b128 off, v[6:9], off offset:960
	s_wait_loadcnt 0x0
	ds_store_b128 v16, v[2:5]
.LBB125_277:
	s_wait_xcnt 0x0
	s_or_b32 exec_lo, exec_lo, s2
	s_wait_storecnt_dscnt 0x0
	s_barrier_signal -1
	s_barrier_wait -1
	s_clause 0x1
	scratch_load_b128 v[4:7], off, off offset:976
	scratch_load_b128 v[8:11], off, off offset:960
	v_mov_b32_e32 v2, 0
	s_mov_b32 s2, exec_lo
	ds_load_b128 v[12:15], v2 offset:1968
	s_wait_loadcnt_dscnt 0x100
	v_mul_f64_e32 v[142:143], v[14:15], v[6:7]
	v_mul_f64_e32 v[6:7], v[12:13], v[6:7]
	s_delay_alu instid0(VALU_DEP_2) | instskip(NEXT) | instid1(VALU_DEP_2)
	v_fma_f64 v[12:13], v[12:13], v[4:5], -v[142:143]
	v_fmac_f64_e32 v[6:7], v[14:15], v[4:5]
	s_delay_alu instid0(VALU_DEP_2) | instskip(NEXT) | instid1(VALU_DEP_2)
	v_add_f64_e32 v[4:5], 0, v[12:13]
	v_add_f64_e32 v[6:7], 0, v[6:7]
	s_wait_loadcnt 0x0
	s_delay_alu instid0(VALU_DEP_2) | instskip(NEXT) | instid1(VALU_DEP_2)
	v_add_f64_e64 v[4:5], v[8:9], -v[4:5]
	v_add_f64_e64 v[6:7], v[10:11], -v[6:7]
	scratch_store_b128 off, v[4:7], off offset:960
	s_wait_xcnt 0x0
	v_cmpx_lt_u32_e32 59, v1
	s_cbranch_execz .LBB125_279
; %bb.278:
	scratch_load_b128 v[6:9], off, s19
	v_dual_mov_b32 v3, v2 :: v_dual_mov_b32 v4, v2
	v_mov_b32_e32 v5, v2
	scratch_store_b128 off, v[2:5], off offset:944
	s_wait_loadcnt 0x0
	ds_store_b128 v16, v[6:9]
.LBB125_279:
	s_wait_xcnt 0x0
	s_or_b32 exec_lo, exec_lo, s2
	s_wait_storecnt_dscnt 0x0
	s_barrier_signal -1
	s_barrier_wait -1
	s_clause 0x2
	scratch_load_b128 v[4:7], off, off offset:960
	scratch_load_b128 v[8:11], off, off offset:976
	;; [unrolled: 1-line block ×3, first 2 shown]
	ds_load_b128 v[142:145], v2 offset:1952
	ds_load_b128 v[146:149], v2 offset:1968
	s_mov_b32 s2, exec_lo
	s_wait_loadcnt_dscnt 0x201
	v_mul_f64_e32 v[2:3], v[144:145], v[6:7]
	v_mul_f64_e32 v[6:7], v[142:143], v[6:7]
	s_wait_loadcnt_dscnt 0x100
	v_mul_f64_e32 v[150:151], v[146:147], v[10:11]
	v_mul_f64_e32 v[10:11], v[148:149], v[10:11]
	s_delay_alu instid0(VALU_DEP_4) | instskip(NEXT) | instid1(VALU_DEP_4)
	v_fma_f64 v[2:3], v[142:143], v[4:5], -v[2:3]
	v_fmac_f64_e32 v[6:7], v[144:145], v[4:5]
	s_delay_alu instid0(VALU_DEP_4) | instskip(NEXT) | instid1(VALU_DEP_4)
	v_fmac_f64_e32 v[150:151], v[148:149], v[8:9]
	v_fma_f64 v[4:5], v[146:147], v[8:9], -v[10:11]
	s_delay_alu instid0(VALU_DEP_4) | instskip(NEXT) | instid1(VALU_DEP_4)
	v_add_f64_e32 v[2:3], 0, v[2:3]
	v_add_f64_e32 v[6:7], 0, v[6:7]
	s_delay_alu instid0(VALU_DEP_2) | instskip(NEXT) | instid1(VALU_DEP_2)
	v_add_f64_e32 v[2:3], v[2:3], v[4:5]
	v_add_f64_e32 v[4:5], v[6:7], v[150:151]
	s_wait_loadcnt 0x0
	s_delay_alu instid0(VALU_DEP_2) | instskip(NEXT) | instid1(VALU_DEP_2)
	v_add_f64_e64 v[2:3], v[12:13], -v[2:3]
	v_add_f64_e64 v[4:5], v[14:15], -v[4:5]
	scratch_store_b128 off, v[2:5], off offset:944
	s_wait_xcnt 0x0
	v_cmpx_lt_u32_e32 58, v1
	s_cbranch_execz .LBB125_281
; %bb.280:
	scratch_load_b128 v[2:5], off, s21
	v_mov_b32_e32 v6, 0
	s_delay_alu instid0(VALU_DEP_1)
	v_dual_mov_b32 v7, v6 :: v_dual_mov_b32 v8, v6
	v_mov_b32_e32 v9, v6
	scratch_store_b128 off, v[6:9], off offset:928
	s_wait_loadcnt 0x0
	ds_store_b128 v16, v[2:5]
.LBB125_281:
	s_wait_xcnt 0x0
	s_or_b32 exec_lo, exec_lo, s2
	s_wait_storecnt_dscnt 0x0
	s_barrier_signal -1
	s_barrier_wait -1
	s_clause 0x3
	scratch_load_b128 v[4:7], off, off offset:944
	scratch_load_b128 v[8:11], off, off offset:960
	;; [unrolled: 1-line block ×4, first 2 shown]
	v_mov_b32_e32 v2, 0
	ds_load_b128 v[146:149], v2 offset:1936
	ds_load_b128 v[150:153], v2 offset:1952
	s_mov_b32 s2, exec_lo
	s_wait_loadcnt_dscnt 0x301
	v_mul_f64_e32 v[154:155], v[148:149], v[6:7]
	v_mul_f64_e32 v[156:157], v[146:147], v[6:7]
	s_wait_loadcnt_dscnt 0x200
	v_mul_f64_e32 v[158:159], v[150:151], v[10:11]
	v_mul_f64_e32 v[10:11], v[152:153], v[10:11]
	s_delay_alu instid0(VALU_DEP_4) | instskip(NEXT) | instid1(VALU_DEP_4)
	v_fma_f64 v[146:147], v[146:147], v[4:5], -v[154:155]
	v_fmac_f64_e32 v[156:157], v[148:149], v[4:5]
	ds_load_b128 v[4:7], v2 offset:1968
	v_fmac_f64_e32 v[158:159], v[152:153], v[8:9]
	v_fma_f64 v[8:9], v[150:151], v[8:9], -v[10:11]
	s_wait_loadcnt_dscnt 0x100
	v_mul_f64_e32 v[148:149], v[4:5], v[14:15]
	v_mul_f64_e32 v[14:15], v[6:7], v[14:15]
	v_add_f64_e32 v[10:11], 0, v[146:147]
	v_add_f64_e32 v[146:147], 0, v[156:157]
	s_delay_alu instid0(VALU_DEP_4) | instskip(NEXT) | instid1(VALU_DEP_4)
	v_fmac_f64_e32 v[148:149], v[6:7], v[12:13]
	v_fma_f64 v[4:5], v[4:5], v[12:13], -v[14:15]
	s_delay_alu instid0(VALU_DEP_4) | instskip(NEXT) | instid1(VALU_DEP_4)
	v_add_f64_e32 v[6:7], v[10:11], v[8:9]
	v_add_f64_e32 v[8:9], v[146:147], v[158:159]
	s_delay_alu instid0(VALU_DEP_2) | instskip(NEXT) | instid1(VALU_DEP_2)
	v_add_f64_e32 v[4:5], v[6:7], v[4:5]
	v_add_f64_e32 v[6:7], v[8:9], v[148:149]
	s_wait_loadcnt 0x0
	s_delay_alu instid0(VALU_DEP_2) | instskip(NEXT) | instid1(VALU_DEP_2)
	v_add_f64_e64 v[4:5], v[142:143], -v[4:5]
	v_add_f64_e64 v[6:7], v[144:145], -v[6:7]
	scratch_store_b128 off, v[4:7], off offset:928
	s_wait_xcnt 0x0
	v_cmpx_lt_u32_e32 57, v1
	s_cbranch_execz .LBB125_283
; %bb.282:
	scratch_load_b128 v[6:9], off, s22
	v_dual_mov_b32 v3, v2 :: v_dual_mov_b32 v4, v2
	v_mov_b32_e32 v5, v2
	scratch_store_b128 off, v[2:5], off offset:912
	s_wait_loadcnt 0x0
	ds_store_b128 v16, v[6:9]
.LBB125_283:
	s_wait_xcnt 0x0
	s_or_b32 exec_lo, exec_lo, s2
	s_wait_storecnt_dscnt 0x0
	s_barrier_signal -1
	s_barrier_wait -1
	s_clause 0x4
	scratch_load_b128 v[4:7], off, off offset:928
	scratch_load_b128 v[8:11], off, off offset:944
	scratch_load_b128 v[12:15], off, off offset:960
	scratch_load_b128 v[142:145], off, off offset:976
	scratch_load_b128 v[146:149], off, off offset:912
	ds_load_b128 v[150:153], v2 offset:1920
	ds_load_b128 v[154:157], v2 offset:1936
	s_mov_b32 s2, exec_lo
	s_wait_loadcnt_dscnt 0x401
	v_mul_f64_e32 v[158:159], v[152:153], v[6:7]
	v_mul_f64_e32 v[160:161], v[150:151], v[6:7]
	s_wait_loadcnt_dscnt 0x300
	v_mul_f64_e32 v[162:163], v[154:155], v[10:11]
	v_mul_f64_e32 v[10:11], v[156:157], v[10:11]
	s_delay_alu instid0(VALU_DEP_4) | instskip(NEXT) | instid1(VALU_DEP_4)
	v_fma_f64 v[158:159], v[150:151], v[4:5], -v[158:159]
	v_fmac_f64_e32 v[160:161], v[152:153], v[4:5]
	ds_load_b128 v[4:7], v2 offset:1952
	ds_load_b128 v[150:153], v2 offset:1968
	v_fmac_f64_e32 v[162:163], v[156:157], v[8:9]
	v_fma_f64 v[8:9], v[154:155], v[8:9], -v[10:11]
	s_wait_loadcnt_dscnt 0x201
	v_mul_f64_e32 v[2:3], v[4:5], v[14:15]
	v_mul_f64_e32 v[14:15], v[6:7], v[14:15]
	s_wait_loadcnt_dscnt 0x100
	v_mul_f64_e32 v[156:157], v[150:151], v[144:145]
	v_mul_f64_e32 v[144:145], v[152:153], v[144:145]
	v_add_f64_e32 v[10:11], 0, v[158:159]
	v_add_f64_e32 v[154:155], 0, v[160:161]
	v_fmac_f64_e32 v[2:3], v[6:7], v[12:13]
	v_fma_f64 v[4:5], v[4:5], v[12:13], -v[14:15]
	v_fmac_f64_e32 v[156:157], v[152:153], v[142:143]
	v_add_f64_e32 v[6:7], v[10:11], v[8:9]
	v_add_f64_e32 v[8:9], v[154:155], v[162:163]
	v_fma_f64 v[10:11], v[150:151], v[142:143], -v[144:145]
	s_delay_alu instid0(VALU_DEP_3) | instskip(NEXT) | instid1(VALU_DEP_3)
	v_add_f64_e32 v[4:5], v[6:7], v[4:5]
	v_add_f64_e32 v[2:3], v[8:9], v[2:3]
	s_delay_alu instid0(VALU_DEP_2) | instskip(NEXT) | instid1(VALU_DEP_2)
	v_add_f64_e32 v[4:5], v[4:5], v[10:11]
	v_add_f64_e32 v[6:7], v[2:3], v[156:157]
	s_wait_loadcnt 0x0
	s_delay_alu instid0(VALU_DEP_2) | instskip(NEXT) | instid1(VALU_DEP_2)
	v_add_f64_e64 v[2:3], v[146:147], -v[4:5]
	v_add_f64_e64 v[4:5], v[148:149], -v[6:7]
	scratch_store_b128 off, v[2:5], off offset:912
	s_wait_xcnt 0x0
	v_cmpx_lt_u32_e32 56, v1
	s_cbranch_execz .LBB125_285
; %bb.284:
	scratch_load_b128 v[2:5], off, s23
	v_mov_b32_e32 v6, 0
	s_delay_alu instid0(VALU_DEP_1)
	v_dual_mov_b32 v7, v6 :: v_dual_mov_b32 v8, v6
	v_mov_b32_e32 v9, v6
	scratch_store_b128 off, v[6:9], off offset:896
	s_wait_loadcnt 0x0
	ds_store_b128 v16, v[2:5]
.LBB125_285:
	s_wait_xcnt 0x0
	s_or_b32 exec_lo, exec_lo, s2
	s_wait_storecnt_dscnt 0x0
	s_barrier_signal -1
	s_barrier_wait -1
	s_clause 0x5
	scratch_load_b128 v[4:7], off, off offset:912
	scratch_load_b128 v[8:11], off, off offset:928
	scratch_load_b128 v[12:15], off, off offset:944
	scratch_load_b128 v[142:145], off, off offset:960
	scratch_load_b128 v[146:149], off, off offset:976
	scratch_load_b128 v[150:153], off, off offset:896
	v_mov_b32_e32 v2, 0
	ds_load_b128 v[154:157], v2 offset:1904
	ds_load_b128 v[158:161], v2 offset:1920
	s_mov_b32 s2, exec_lo
	s_wait_loadcnt_dscnt 0x501
	v_mul_f64_e32 v[162:163], v[156:157], v[6:7]
	v_mul_f64_e32 v[164:165], v[154:155], v[6:7]
	s_wait_loadcnt_dscnt 0x400
	v_mul_f64_e32 v[166:167], v[158:159], v[10:11]
	v_mul_f64_e32 v[10:11], v[160:161], v[10:11]
	s_delay_alu instid0(VALU_DEP_4) | instskip(NEXT) | instid1(VALU_DEP_4)
	v_fma_f64 v[162:163], v[154:155], v[4:5], -v[162:163]
	v_fmac_f64_e32 v[164:165], v[156:157], v[4:5]
	ds_load_b128 v[4:7], v2 offset:1936
	ds_load_b128 v[154:157], v2 offset:1952
	v_fmac_f64_e32 v[166:167], v[160:161], v[8:9]
	v_fma_f64 v[8:9], v[158:159], v[8:9], -v[10:11]
	s_wait_loadcnt_dscnt 0x301
	v_mul_f64_e32 v[168:169], v[4:5], v[14:15]
	v_mul_f64_e32 v[14:15], v[6:7], v[14:15]
	s_wait_loadcnt_dscnt 0x200
	v_mul_f64_e32 v[160:161], v[154:155], v[144:145]
	v_mul_f64_e32 v[144:145], v[156:157], v[144:145]
	v_add_f64_e32 v[10:11], 0, v[162:163]
	v_add_f64_e32 v[158:159], 0, v[164:165]
	v_fmac_f64_e32 v[168:169], v[6:7], v[12:13]
	v_fma_f64 v[12:13], v[4:5], v[12:13], -v[14:15]
	ds_load_b128 v[4:7], v2 offset:1968
	v_fmac_f64_e32 v[160:161], v[156:157], v[142:143]
	v_fma_f64 v[142:143], v[154:155], v[142:143], -v[144:145]
	v_add_f64_e32 v[8:9], v[10:11], v[8:9]
	v_add_f64_e32 v[10:11], v[158:159], v[166:167]
	s_wait_loadcnt_dscnt 0x100
	v_mul_f64_e32 v[14:15], v[4:5], v[148:149]
	v_mul_f64_e32 v[148:149], v[6:7], v[148:149]
	s_delay_alu instid0(VALU_DEP_4) | instskip(NEXT) | instid1(VALU_DEP_4)
	v_add_f64_e32 v[8:9], v[8:9], v[12:13]
	v_add_f64_e32 v[10:11], v[10:11], v[168:169]
	s_delay_alu instid0(VALU_DEP_4) | instskip(NEXT) | instid1(VALU_DEP_4)
	v_fmac_f64_e32 v[14:15], v[6:7], v[146:147]
	v_fma_f64 v[4:5], v[4:5], v[146:147], -v[148:149]
	s_delay_alu instid0(VALU_DEP_4) | instskip(NEXT) | instid1(VALU_DEP_4)
	v_add_f64_e32 v[6:7], v[8:9], v[142:143]
	v_add_f64_e32 v[8:9], v[10:11], v[160:161]
	s_delay_alu instid0(VALU_DEP_2) | instskip(NEXT) | instid1(VALU_DEP_2)
	v_add_f64_e32 v[4:5], v[6:7], v[4:5]
	v_add_f64_e32 v[6:7], v[8:9], v[14:15]
	s_wait_loadcnt 0x0
	s_delay_alu instid0(VALU_DEP_2) | instskip(NEXT) | instid1(VALU_DEP_2)
	v_add_f64_e64 v[4:5], v[150:151], -v[4:5]
	v_add_f64_e64 v[6:7], v[152:153], -v[6:7]
	scratch_store_b128 off, v[4:7], off offset:896
	s_wait_xcnt 0x0
	v_cmpx_lt_u32_e32 55, v1
	s_cbranch_execz .LBB125_287
; %bb.286:
	scratch_load_b128 v[6:9], off, s24
	v_dual_mov_b32 v3, v2 :: v_dual_mov_b32 v4, v2
	v_mov_b32_e32 v5, v2
	scratch_store_b128 off, v[2:5], off offset:880
	s_wait_loadcnt 0x0
	ds_store_b128 v16, v[6:9]
.LBB125_287:
	s_wait_xcnt 0x0
	s_or_b32 exec_lo, exec_lo, s2
	s_wait_storecnt_dscnt 0x0
	s_barrier_signal -1
	s_barrier_wait -1
	s_clause 0x6
	scratch_load_b128 v[4:7], off, off offset:896
	scratch_load_b128 v[8:11], off, off offset:912
	;; [unrolled: 1-line block ×7, first 2 shown]
	ds_load_b128 v[158:161], v2 offset:1888
	ds_load_b128 v[162:165], v2 offset:1904
	s_mov_b32 s2, exec_lo
	s_wait_loadcnt_dscnt 0x601
	v_mul_f64_e32 v[166:167], v[160:161], v[6:7]
	v_mul_f64_e32 v[168:169], v[158:159], v[6:7]
	s_wait_loadcnt_dscnt 0x500
	v_mul_f64_e32 v[170:171], v[162:163], v[10:11]
	v_mul_f64_e32 v[10:11], v[164:165], v[10:11]
	s_delay_alu instid0(VALU_DEP_4) | instskip(NEXT) | instid1(VALU_DEP_4)
	v_fma_f64 v[166:167], v[158:159], v[4:5], -v[166:167]
	v_fmac_f64_e32 v[168:169], v[160:161], v[4:5]
	ds_load_b128 v[4:7], v2 offset:1920
	ds_load_b128 v[158:161], v2 offset:1936
	v_fmac_f64_e32 v[170:171], v[164:165], v[8:9]
	v_fma_f64 v[8:9], v[162:163], v[8:9], -v[10:11]
	s_wait_loadcnt_dscnt 0x401
	v_mul_f64_e32 v[172:173], v[4:5], v[14:15]
	v_mul_f64_e32 v[14:15], v[6:7], v[14:15]
	s_wait_loadcnt_dscnt 0x300
	v_mul_f64_e32 v[164:165], v[158:159], v[144:145]
	v_mul_f64_e32 v[144:145], v[160:161], v[144:145]
	v_add_f64_e32 v[10:11], 0, v[166:167]
	v_add_f64_e32 v[162:163], 0, v[168:169]
	v_fmac_f64_e32 v[172:173], v[6:7], v[12:13]
	v_fma_f64 v[12:13], v[4:5], v[12:13], -v[14:15]
	v_fmac_f64_e32 v[164:165], v[160:161], v[142:143]
	v_fma_f64 v[142:143], v[158:159], v[142:143], -v[144:145]
	v_add_f64_e32 v[14:15], v[10:11], v[8:9]
	v_add_f64_e32 v[162:163], v[162:163], v[170:171]
	ds_load_b128 v[4:7], v2 offset:1952
	ds_load_b128 v[8:11], v2 offset:1968
	s_wait_loadcnt_dscnt 0x201
	v_mul_f64_e32 v[2:3], v[4:5], v[148:149]
	v_mul_f64_e32 v[148:149], v[6:7], v[148:149]
	s_wait_loadcnt_dscnt 0x100
	v_mul_f64_e32 v[144:145], v[8:9], v[152:153]
	v_mul_f64_e32 v[152:153], v[10:11], v[152:153]
	v_add_f64_e32 v[12:13], v[14:15], v[12:13]
	v_add_f64_e32 v[14:15], v[162:163], v[172:173]
	v_fmac_f64_e32 v[2:3], v[6:7], v[146:147]
	v_fma_f64 v[4:5], v[4:5], v[146:147], -v[148:149]
	v_fmac_f64_e32 v[144:145], v[10:11], v[150:151]
	v_fma_f64 v[8:9], v[8:9], v[150:151], -v[152:153]
	v_add_f64_e32 v[6:7], v[12:13], v[142:143]
	v_add_f64_e32 v[12:13], v[14:15], v[164:165]
	s_delay_alu instid0(VALU_DEP_2) | instskip(NEXT) | instid1(VALU_DEP_2)
	v_add_f64_e32 v[4:5], v[6:7], v[4:5]
	v_add_f64_e32 v[2:3], v[12:13], v[2:3]
	s_delay_alu instid0(VALU_DEP_2) | instskip(NEXT) | instid1(VALU_DEP_2)
	v_add_f64_e32 v[4:5], v[4:5], v[8:9]
	v_add_f64_e32 v[6:7], v[2:3], v[144:145]
	s_wait_loadcnt 0x0
	s_delay_alu instid0(VALU_DEP_2) | instskip(NEXT) | instid1(VALU_DEP_2)
	v_add_f64_e64 v[2:3], v[154:155], -v[4:5]
	v_add_f64_e64 v[4:5], v[156:157], -v[6:7]
	scratch_store_b128 off, v[2:5], off offset:880
	s_wait_xcnt 0x0
	v_cmpx_lt_u32_e32 54, v1
	s_cbranch_execz .LBB125_289
; %bb.288:
	scratch_load_b128 v[2:5], off, s25
	v_mov_b32_e32 v6, 0
	s_delay_alu instid0(VALU_DEP_1)
	v_dual_mov_b32 v7, v6 :: v_dual_mov_b32 v8, v6
	v_mov_b32_e32 v9, v6
	scratch_store_b128 off, v[6:9], off offset:864
	s_wait_loadcnt 0x0
	ds_store_b128 v16, v[2:5]
.LBB125_289:
	s_wait_xcnt 0x0
	s_or_b32 exec_lo, exec_lo, s2
	s_wait_storecnt_dscnt 0x0
	s_barrier_signal -1
	s_barrier_wait -1
	s_clause 0x7
	scratch_load_b128 v[4:7], off, off offset:880
	scratch_load_b128 v[8:11], off, off offset:896
	;; [unrolled: 1-line block ×8, first 2 shown]
	v_mov_b32_e32 v2, 0
	ds_load_b128 v[162:165], v2 offset:1872
	ds_load_b128 v[166:169], v2 offset:1888
	s_mov_b32 s2, exec_lo
	s_wait_loadcnt_dscnt 0x701
	v_mul_f64_e32 v[170:171], v[164:165], v[6:7]
	v_mul_f64_e32 v[172:173], v[162:163], v[6:7]
	s_wait_loadcnt_dscnt 0x600
	v_mul_f64_e32 v[174:175], v[166:167], v[10:11]
	v_mul_f64_e32 v[10:11], v[168:169], v[10:11]
	s_delay_alu instid0(VALU_DEP_4) | instskip(NEXT) | instid1(VALU_DEP_4)
	v_fma_f64 v[170:171], v[162:163], v[4:5], -v[170:171]
	v_fmac_f64_e32 v[172:173], v[164:165], v[4:5]
	ds_load_b128 v[4:7], v2 offset:1904
	ds_load_b128 v[162:165], v2 offset:1920
	v_fmac_f64_e32 v[174:175], v[168:169], v[8:9]
	v_fma_f64 v[8:9], v[166:167], v[8:9], -v[10:11]
	s_wait_loadcnt_dscnt 0x501
	v_mul_f64_e32 v[176:177], v[4:5], v[14:15]
	v_mul_f64_e32 v[14:15], v[6:7], v[14:15]
	s_wait_loadcnt_dscnt 0x400
	v_mul_f64_e32 v[168:169], v[162:163], v[144:145]
	v_mul_f64_e32 v[144:145], v[164:165], v[144:145]
	v_add_f64_e32 v[10:11], 0, v[170:171]
	v_add_f64_e32 v[166:167], 0, v[172:173]
	v_fmac_f64_e32 v[176:177], v[6:7], v[12:13]
	v_fma_f64 v[12:13], v[4:5], v[12:13], -v[14:15]
	v_fmac_f64_e32 v[168:169], v[164:165], v[142:143]
	v_fma_f64 v[142:143], v[162:163], v[142:143], -v[144:145]
	v_add_f64_e32 v[14:15], v[10:11], v[8:9]
	v_add_f64_e32 v[166:167], v[166:167], v[174:175]
	ds_load_b128 v[4:7], v2 offset:1936
	ds_load_b128 v[8:11], v2 offset:1952
	s_wait_loadcnt_dscnt 0x301
	v_mul_f64_e32 v[170:171], v[4:5], v[148:149]
	v_mul_f64_e32 v[148:149], v[6:7], v[148:149]
	s_wait_loadcnt_dscnt 0x200
	v_mul_f64_e32 v[144:145], v[8:9], v[152:153]
	v_mul_f64_e32 v[152:153], v[10:11], v[152:153]
	v_add_f64_e32 v[12:13], v[14:15], v[12:13]
	v_add_f64_e32 v[14:15], v[166:167], v[176:177]
	v_fmac_f64_e32 v[170:171], v[6:7], v[146:147]
	v_fma_f64 v[146:147], v[4:5], v[146:147], -v[148:149]
	ds_load_b128 v[4:7], v2 offset:1968
	v_fmac_f64_e32 v[144:145], v[10:11], v[150:151]
	v_fma_f64 v[8:9], v[8:9], v[150:151], -v[152:153]
	v_add_f64_e32 v[12:13], v[12:13], v[142:143]
	v_add_f64_e32 v[14:15], v[14:15], v[168:169]
	s_wait_loadcnt_dscnt 0x100
	v_mul_f64_e32 v[142:143], v[4:5], v[156:157]
	v_mul_f64_e32 v[148:149], v[6:7], v[156:157]
	s_delay_alu instid0(VALU_DEP_4) | instskip(NEXT) | instid1(VALU_DEP_4)
	v_add_f64_e32 v[10:11], v[12:13], v[146:147]
	v_add_f64_e32 v[12:13], v[14:15], v[170:171]
	s_delay_alu instid0(VALU_DEP_4) | instskip(NEXT) | instid1(VALU_DEP_4)
	v_fmac_f64_e32 v[142:143], v[6:7], v[154:155]
	v_fma_f64 v[4:5], v[4:5], v[154:155], -v[148:149]
	s_delay_alu instid0(VALU_DEP_4) | instskip(NEXT) | instid1(VALU_DEP_4)
	v_add_f64_e32 v[6:7], v[10:11], v[8:9]
	v_add_f64_e32 v[8:9], v[12:13], v[144:145]
	s_delay_alu instid0(VALU_DEP_2) | instskip(NEXT) | instid1(VALU_DEP_2)
	v_add_f64_e32 v[4:5], v[6:7], v[4:5]
	v_add_f64_e32 v[6:7], v[8:9], v[142:143]
	s_wait_loadcnt 0x0
	s_delay_alu instid0(VALU_DEP_2) | instskip(NEXT) | instid1(VALU_DEP_2)
	v_add_f64_e64 v[4:5], v[158:159], -v[4:5]
	v_add_f64_e64 v[6:7], v[160:161], -v[6:7]
	scratch_store_b128 off, v[4:7], off offset:864
	s_wait_xcnt 0x0
	v_cmpx_lt_u32_e32 53, v1
	s_cbranch_execz .LBB125_291
; %bb.290:
	scratch_load_b128 v[6:9], off, s26
	v_dual_mov_b32 v3, v2 :: v_dual_mov_b32 v4, v2
	v_mov_b32_e32 v5, v2
	scratch_store_b128 off, v[2:5], off offset:848
	s_wait_loadcnt 0x0
	ds_store_b128 v16, v[6:9]
.LBB125_291:
	s_wait_xcnt 0x0
	s_or_b32 exec_lo, exec_lo, s2
	s_wait_storecnt_dscnt 0x0
	s_barrier_signal -1
	s_barrier_wait -1
	s_clause 0x7
	scratch_load_b128 v[4:7], off, off offset:864
	scratch_load_b128 v[8:11], off, off offset:880
	;; [unrolled: 1-line block ×8, first 2 shown]
	ds_load_b128 v[162:165], v2 offset:1856
	ds_load_b128 v[166:169], v2 offset:1872
	scratch_load_b128 v[170:173], off, off offset:848
	s_mov_b32 s2, exec_lo
	s_wait_loadcnt_dscnt 0x801
	v_mul_f64_e32 v[174:175], v[164:165], v[6:7]
	v_mul_f64_e32 v[176:177], v[162:163], v[6:7]
	s_wait_loadcnt_dscnt 0x700
	v_mul_f64_e32 v[178:179], v[166:167], v[10:11]
	v_mul_f64_e32 v[10:11], v[168:169], v[10:11]
	s_delay_alu instid0(VALU_DEP_4) | instskip(NEXT) | instid1(VALU_DEP_4)
	v_fma_f64 v[174:175], v[162:163], v[4:5], -v[174:175]
	v_fmac_f64_e32 v[176:177], v[164:165], v[4:5]
	ds_load_b128 v[4:7], v2 offset:1888
	ds_load_b128 v[162:165], v2 offset:1904
	v_fmac_f64_e32 v[178:179], v[168:169], v[8:9]
	v_fma_f64 v[8:9], v[166:167], v[8:9], -v[10:11]
	s_wait_loadcnt_dscnt 0x601
	v_mul_f64_e32 v[180:181], v[4:5], v[14:15]
	v_mul_f64_e32 v[14:15], v[6:7], v[14:15]
	s_wait_loadcnt_dscnt 0x500
	v_mul_f64_e32 v[168:169], v[162:163], v[144:145]
	v_mul_f64_e32 v[144:145], v[164:165], v[144:145]
	v_add_f64_e32 v[10:11], 0, v[174:175]
	v_add_f64_e32 v[166:167], 0, v[176:177]
	v_fmac_f64_e32 v[180:181], v[6:7], v[12:13]
	v_fma_f64 v[12:13], v[4:5], v[12:13], -v[14:15]
	v_fmac_f64_e32 v[168:169], v[164:165], v[142:143]
	v_fma_f64 v[142:143], v[162:163], v[142:143], -v[144:145]
	v_add_f64_e32 v[14:15], v[10:11], v[8:9]
	v_add_f64_e32 v[166:167], v[166:167], v[178:179]
	ds_load_b128 v[4:7], v2 offset:1920
	ds_load_b128 v[8:11], v2 offset:1936
	s_wait_loadcnt_dscnt 0x401
	v_mul_f64_e32 v[174:175], v[4:5], v[148:149]
	v_mul_f64_e32 v[148:149], v[6:7], v[148:149]
	s_wait_loadcnt_dscnt 0x300
	v_mul_f64_e32 v[144:145], v[8:9], v[152:153]
	v_mul_f64_e32 v[152:153], v[10:11], v[152:153]
	v_add_f64_e32 v[12:13], v[14:15], v[12:13]
	v_add_f64_e32 v[14:15], v[166:167], v[180:181]
	v_fmac_f64_e32 v[174:175], v[6:7], v[146:147]
	v_fma_f64 v[146:147], v[4:5], v[146:147], -v[148:149]
	v_fmac_f64_e32 v[144:145], v[10:11], v[150:151]
	v_fma_f64 v[8:9], v[8:9], v[150:151], -v[152:153]
	v_add_f64_e32 v[142:143], v[12:13], v[142:143]
	v_add_f64_e32 v[148:149], v[14:15], v[168:169]
	ds_load_b128 v[4:7], v2 offset:1952
	ds_load_b128 v[12:15], v2 offset:1968
	s_wait_loadcnt_dscnt 0x201
	v_mul_f64_e32 v[2:3], v[4:5], v[156:157]
	v_mul_f64_e32 v[156:157], v[6:7], v[156:157]
	v_add_f64_e32 v[10:11], v[142:143], v[146:147]
	v_add_f64_e32 v[142:143], v[148:149], v[174:175]
	s_wait_loadcnt_dscnt 0x100
	v_mul_f64_e32 v[146:147], v[12:13], v[160:161]
	v_mul_f64_e32 v[148:149], v[14:15], v[160:161]
	v_fmac_f64_e32 v[2:3], v[6:7], v[154:155]
	v_fma_f64 v[4:5], v[4:5], v[154:155], -v[156:157]
	v_add_f64_e32 v[6:7], v[10:11], v[8:9]
	v_add_f64_e32 v[8:9], v[142:143], v[144:145]
	v_fmac_f64_e32 v[146:147], v[14:15], v[158:159]
	v_fma_f64 v[10:11], v[12:13], v[158:159], -v[148:149]
	s_delay_alu instid0(VALU_DEP_4) | instskip(NEXT) | instid1(VALU_DEP_4)
	v_add_f64_e32 v[4:5], v[6:7], v[4:5]
	v_add_f64_e32 v[2:3], v[8:9], v[2:3]
	s_delay_alu instid0(VALU_DEP_2) | instskip(NEXT) | instid1(VALU_DEP_2)
	v_add_f64_e32 v[4:5], v[4:5], v[10:11]
	v_add_f64_e32 v[6:7], v[2:3], v[146:147]
	s_wait_loadcnt 0x0
	s_delay_alu instid0(VALU_DEP_2) | instskip(NEXT) | instid1(VALU_DEP_2)
	v_add_f64_e64 v[2:3], v[170:171], -v[4:5]
	v_add_f64_e64 v[4:5], v[172:173], -v[6:7]
	scratch_store_b128 off, v[2:5], off offset:848
	s_wait_xcnt 0x0
	v_cmpx_lt_u32_e32 52, v1
	s_cbranch_execz .LBB125_293
; %bb.292:
	scratch_load_b128 v[2:5], off, s27
	v_mov_b32_e32 v6, 0
	s_delay_alu instid0(VALU_DEP_1)
	v_dual_mov_b32 v7, v6 :: v_dual_mov_b32 v8, v6
	v_mov_b32_e32 v9, v6
	scratch_store_b128 off, v[6:9], off offset:832
	s_wait_loadcnt 0x0
	ds_store_b128 v16, v[2:5]
.LBB125_293:
	s_wait_xcnt 0x0
	s_or_b32 exec_lo, exec_lo, s2
	s_wait_storecnt_dscnt 0x0
	s_barrier_signal -1
	s_barrier_wait -1
	s_clause 0x8
	scratch_load_b128 v[4:7], off, off offset:848
	scratch_load_b128 v[8:11], off, off offset:864
	;; [unrolled: 1-line block ×9, first 2 shown]
	v_mov_b32_e32 v2, 0
	scratch_load_b128 v[170:173], off, off offset:832
	s_mov_b32 s2, exec_lo
	ds_load_b128 v[166:169], v2 offset:1840
	ds_load_b128 v[174:177], v2 offset:1856
	s_wait_loadcnt_dscnt 0x901
	v_mul_f64_e32 v[178:179], v[168:169], v[6:7]
	v_mul_f64_e32 v[180:181], v[166:167], v[6:7]
	s_wait_loadcnt_dscnt 0x800
	v_mul_f64_e32 v[182:183], v[174:175], v[10:11]
	v_mul_f64_e32 v[10:11], v[176:177], v[10:11]
	s_delay_alu instid0(VALU_DEP_4) | instskip(NEXT) | instid1(VALU_DEP_4)
	v_fma_f64 v[178:179], v[166:167], v[4:5], -v[178:179]
	v_fmac_f64_e32 v[180:181], v[168:169], v[4:5]
	ds_load_b128 v[4:7], v2 offset:1872
	ds_load_b128 v[166:169], v2 offset:1888
	v_fmac_f64_e32 v[182:183], v[176:177], v[8:9]
	v_fma_f64 v[8:9], v[174:175], v[8:9], -v[10:11]
	s_wait_loadcnt_dscnt 0x701
	v_mul_f64_e32 v[184:185], v[4:5], v[14:15]
	v_mul_f64_e32 v[14:15], v[6:7], v[14:15]
	s_wait_loadcnt_dscnt 0x600
	v_mul_f64_e32 v[176:177], v[166:167], v[144:145]
	v_mul_f64_e32 v[144:145], v[168:169], v[144:145]
	v_add_f64_e32 v[10:11], 0, v[178:179]
	v_add_f64_e32 v[174:175], 0, v[180:181]
	v_fmac_f64_e32 v[184:185], v[6:7], v[12:13]
	v_fma_f64 v[12:13], v[4:5], v[12:13], -v[14:15]
	v_fmac_f64_e32 v[176:177], v[168:169], v[142:143]
	v_fma_f64 v[142:143], v[166:167], v[142:143], -v[144:145]
	v_add_f64_e32 v[14:15], v[10:11], v[8:9]
	v_add_f64_e32 v[174:175], v[174:175], v[182:183]
	ds_load_b128 v[4:7], v2 offset:1904
	ds_load_b128 v[8:11], v2 offset:1920
	s_wait_loadcnt_dscnt 0x501
	v_mul_f64_e32 v[178:179], v[4:5], v[148:149]
	v_mul_f64_e32 v[148:149], v[6:7], v[148:149]
	s_wait_loadcnt_dscnt 0x400
	v_mul_f64_e32 v[144:145], v[8:9], v[152:153]
	v_mul_f64_e32 v[152:153], v[10:11], v[152:153]
	v_add_f64_e32 v[12:13], v[14:15], v[12:13]
	v_add_f64_e32 v[14:15], v[174:175], v[184:185]
	v_fmac_f64_e32 v[178:179], v[6:7], v[146:147]
	v_fma_f64 v[146:147], v[4:5], v[146:147], -v[148:149]
	v_fmac_f64_e32 v[144:145], v[10:11], v[150:151]
	v_fma_f64 v[8:9], v[8:9], v[150:151], -v[152:153]
	v_add_f64_e32 v[142:143], v[12:13], v[142:143]
	v_add_f64_e32 v[148:149], v[14:15], v[176:177]
	ds_load_b128 v[4:7], v2 offset:1936
	ds_load_b128 v[12:15], v2 offset:1952
	s_wait_loadcnt_dscnt 0x301
	v_mul_f64_e32 v[166:167], v[4:5], v[156:157]
	v_mul_f64_e32 v[156:157], v[6:7], v[156:157]
	v_add_f64_e32 v[10:11], v[142:143], v[146:147]
	v_add_f64_e32 v[142:143], v[148:149], v[178:179]
	s_wait_loadcnt_dscnt 0x200
	v_mul_f64_e32 v[146:147], v[12:13], v[160:161]
	v_mul_f64_e32 v[148:149], v[14:15], v[160:161]
	v_fmac_f64_e32 v[166:167], v[6:7], v[154:155]
	v_fma_f64 v[150:151], v[4:5], v[154:155], -v[156:157]
	ds_load_b128 v[4:7], v2 offset:1968
	v_add_f64_e32 v[8:9], v[10:11], v[8:9]
	v_add_f64_e32 v[10:11], v[142:143], v[144:145]
	v_fmac_f64_e32 v[146:147], v[14:15], v[158:159]
	v_fma_f64 v[12:13], v[12:13], v[158:159], -v[148:149]
	s_wait_loadcnt_dscnt 0x100
	v_mul_f64_e32 v[142:143], v[4:5], v[164:165]
	v_mul_f64_e32 v[144:145], v[6:7], v[164:165]
	v_add_f64_e32 v[8:9], v[8:9], v[150:151]
	v_add_f64_e32 v[10:11], v[10:11], v[166:167]
	s_delay_alu instid0(VALU_DEP_4) | instskip(NEXT) | instid1(VALU_DEP_4)
	v_fmac_f64_e32 v[142:143], v[6:7], v[162:163]
	v_fma_f64 v[4:5], v[4:5], v[162:163], -v[144:145]
	s_delay_alu instid0(VALU_DEP_4) | instskip(NEXT) | instid1(VALU_DEP_4)
	v_add_f64_e32 v[6:7], v[8:9], v[12:13]
	v_add_f64_e32 v[8:9], v[10:11], v[146:147]
	s_delay_alu instid0(VALU_DEP_2) | instskip(NEXT) | instid1(VALU_DEP_2)
	v_add_f64_e32 v[4:5], v[6:7], v[4:5]
	v_add_f64_e32 v[6:7], v[8:9], v[142:143]
	s_wait_loadcnt 0x0
	s_delay_alu instid0(VALU_DEP_2) | instskip(NEXT) | instid1(VALU_DEP_2)
	v_add_f64_e64 v[4:5], v[170:171], -v[4:5]
	v_add_f64_e64 v[6:7], v[172:173], -v[6:7]
	scratch_store_b128 off, v[4:7], off offset:832
	s_wait_xcnt 0x0
	v_cmpx_lt_u32_e32 51, v1
	s_cbranch_execz .LBB125_295
; %bb.294:
	scratch_load_b128 v[6:9], off, s28
	v_dual_mov_b32 v3, v2 :: v_dual_mov_b32 v4, v2
	v_mov_b32_e32 v5, v2
	scratch_store_b128 off, v[2:5], off offset:816
	s_wait_loadcnt 0x0
	ds_store_b128 v16, v[6:9]
.LBB125_295:
	s_wait_xcnt 0x0
	s_or_b32 exec_lo, exec_lo, s2
	s_wait_storecnt_dscnt 0x0
	s_barrier_signal -1
	s_barrier_wait -1
	s_clause 0x9
	scratch_load_b128 v[4:7], off, off offset:832
	scratch_load_b128 v[8:11], off, off offset:848
	scratch_load_b128 v[12:15], off, off offset:864
	scratch_load_b128 v[142:145], off, off offset:880
	scratch_load_b128 v[146:149], off, off offset:896
	scratch_load_b128 v[150:153], off, off offset:912
	scratch_load_b128 v[154:157], off, off offset:928
	scratch_load_b128 v[158:161], off, off offset:944
	scratch_load_b128 v[162:165], off, off offset:960
	scratch_load_b128 v[166:169], off, off offset:976
	ds_load_b128 v[170:173], v2 offset:1824
	ds_load_b128 v[174:177], v2 offset:1840
	scratch_load_b128 v[178:181], off, off offset:816
	s_mov_b32 s2, exec_lo
	s_wait_loadcnt_dscnt 0xa01
	v_mul_f64_e32 v[182:183], v[172:173], v[6:7]
	v_mul_f64_e32 v[184:185], v[170:171], v[6:7]
	s_wait_loadcnt_dscnt 0x900
	v_mul_f64_e32 v[186:187], v[174:175], v[10:11]
	v_mul_f64_e32 v[10:11], v[176:177], v[10:11]
	s_delay_alu instid0(VALU_DEP_4) | instskip(NEXT) | instid1(VALU_DEP_4)
	v_fma_f64 v[182:183], v[170:171], v[4:5], -v[182:183]
	v_fmac_f64_e32 v[184:185], v[172:173], v[4:5]
	ds_load_b128 v[4:7], v2 offset:1856
	ds_load_b128 v[170:173], v2 offset:1872
	v_fmac_f64_e32 v[186:187], v[176:177], v[8:9]
	v_fma_f64 v[8:9], v[174:175], v[8:9], -v[10:11]
	s_wait_loadcnt_dscnt 0x801
	v_mul_f64_e32 v[188:189], v[4:5], v[14:15]
	v_mul_f64_e32 v[14:15], v[6:7], v[14:15]
	s_wait_loadcnt_dscnt 0x700
	v_mul_f64_e32 v[176:177], v[170:171], v[144:145]
	v_mul_f64_e32 v[144:145], v[172:173], v[144:145]
	v_add_f64_e32 v[10:11], 0, v[182:183]
	v_add_f64_e32 v[174:175], 0, v[184:185]
	v_fmac_f64_e32 v[188:189], v[6:7], v[12:13]
	v_fma_f64 v[12:13], v[4:5], v[12:13], -v[14:15]
	v_fmac_f64_e32 v[176:177], v[172:173], v[142:143]
	v_fma_f64 v[142:143], v[170:171], v[142:143], -v[144:145]
	v_add_f64_e32 v[14:15], v[10:11], v[8:9]
	v_add_f64_e32 v[174:175], v[174:175], v[186:187]
	ds_load_b128 v[4:7], v2 offset:1888
	ds_load_b128 v[8:11], v2 offset:1904
	s_wait_loadcnt_dscnt 0x601
	v_mul_f64_e32 v[182:183], v[4:5], v[148:149]
	v_mul_f64_e32 v[148:149], v[6:7], v[148:149]
	s_wait_loadcnt_dscnt 0x500
	v_mul_f64_e32 v[144:145], v[8:9], v[152:153]
	v_mul_f64_e32 v[152:153], v[10:11], v[152:153]
	v_add_f64_e32 v[12:13], v[14:15], v[12:13]
	v_add_f64_e32 v[14:15], v[174:175], v[188:189]
	v_fmac_f64_e32 v[182:183], v[6:7], v[146:147]
	v_fma_f64 v[146:147], v[4:5], v[146:147], -v[148:149]
	v_fmac_f64_e32 v[144:145], v[10:11], v[150:151]
	v_fma_f64 v[8:9], v[8:9], v[150:151], -v[152:153]
	v_add_f64_e32 v[142:143], v[12:13], v[142:143]
	v_add_f64_e32 v[148:149], v[14:15], v[176:177]
	ds_load_b128 v[4:7], v2 offset:1920
	ds_load_b128 v[12:15], v2 offset:1936
	s_wait_loadcnt_dscnt 0x401
	v_mul_f64_e32 v[170:171], v[4:5], v[156:157]
	v_mul_f64_e32 v[156:157], v[6:7], v[156:157]
	v_add_f64_e32 v[10:11], v[142:143], v[146:147]
	v_add_f64_e32 v[142:143], v[148:149], v[182:183]
	s_wait_loadcnt_dscnt 0x300
	v_mul_f64_e32 v[146:147], v[12:13], v[160:161]
	v_mul_f64_e32 v[148:149], v[14:15], v[160:161]
	v_fmac_f64_e32 v[170:171], v[6:7], v[154:155]
	v_fma_f64 v[150:151], v[4:5], v[154:155], -v[156:157]
	v_add_f64_e32 v[152:153], v[10:11], v[8:9]
	v_add_f64_e32 v[142:143], v[142:143], v[144:145]
	ds_load_b128 v[4:7], v2 offset:1952
	ds_load_b128 v[8:11], v2 offset:1968
	v_fmac_f64_e32 v[146:147], v[14:15], v[158:159]
	v_fma_f64 v[12:13], v[12:13], v[158:159], -v[148:149]
	s_wait_loadcnt_dscnt 0x201
	v_mul_f64_e32 v[2:3], v[4:5], v[164:165]
	v_mul_f64_e32 v[144:145], v[6:7], v[164:165]
	s_wait_loadcnt_dscnt 0x100
	v_mul_f64_e32 v[148:149], v[8:9], v[168:169]
	v_add_f64_e32 v[14:15], v[152:153], v[150:151]
	v_add_f64_e32 v[142:143], v[142:143], v[170:171]
	v_mul_f64_e32 v[150:151], v[10:11], v[168:169]
	v_fmac_f64_e32 v[2:3], v[6:7], v[162:163]
	v_fma_f64 v[4:5], v[4:5], v[162:163], -v[144:145]
	v_fmac_f64_e32 v[148:149], v[10:11], v[166:167]
	v_add_f64_e32 v[6:7], v[14:15], v[12:13]
	v_add_f64_e32 v[12:13], v[142:143], v[146:147]
	v_fma_f64 v[8:9], v[8:9], v[166:167], -v[150:151]
	s_delay_alu instid0(VALU_DEP_3) | instskip(NEXT) | instid1(VALU_DEP_3)
	v_add_f64_e32 v[4:5], v[6:7], v[4:5]
	v_add_f64_e32 v[2:3], v[12:13], v[2:3]
	s_delay_alu instid0(VALU_DEP_2) | instskip(NEXT) | instid1(VALU_DEP_2)
	v_add_f64_e32 v[4:5], v[4:5], v[8:9]
	v_add_f64_e32 v[6:7], v[2:3], v[148:149]
	s_wait_loadcnt 0x0
	s_delay_alu instid0(VALU_DEP_2) | instskip(NEXT) | instid1(VALU_DEP_2)
	v_add_f64_e64 v[2:3], v[178:179], -v[4:5]
	v_add_f64_e64 v[4:5], v[180:181], -v[6:7]
	scratch_store_b128 off, v[2:5], off offset:816
	s_wait_xcnt 0x0
	v_cmpx_lt_u32_e32 50, v1
	s_cbranch_execz .LBB125_297
; %bb.296:
	scratch_load_b128 v[2:5], off, s29
	v_mov_b32_e32 v6, 0
	s_delay_alu instid0(VALU_DEP_1)
	v_dual_mov_b32 v7, v6 :: v_dual_mov_b32 v8, v6
	v_mov_b32_e32 v9, v6
	scratch_store_b128 off, v[6:9], off offset:800
	s_wait_loadcnt 0x0
	ds_store_b128 v16, v[2:5]
.LBB125_297:
	s_wait_xcnt 0x0
	s_or_b32 exec_lo, exec_lo, s2
	s_wait_storecnt_dscnt 0x0
	s_barrier_signal -1
	s_barrier_wait -1
	s_clause 0x9
	scratch_load_b128 v[4:7], off, off offset:816
	scratch_load_b128 v[8:11], off, off offset:832
	scratch_load_b128 v[12:15], off, off offset:848
	scratch_load_b128 v[142:145], off, off offset:864
	scratch_load_b128 v[146:149], off, off offset:880
	scratch_load_b128 v[150:153], off, off offset:896
	scratch_load_b128 v[154:157], off, off offset:912
	scratch_load_b128 v[158:161], off, off offset:928
	scratch_load_b128 v[162:165], off, off offset:944
	scratch_load_b128 v[166:169], off, off offset:960
	v_mov_b32_e32 v2, 0
	s_mov_b32 s2, exec_lo
	ds_load_b128 v[170:173], v2 offset:1808
	s_clause 0x1
	scratch_load_b128 v[174:177], off, off offset:976
	scratch_load_b128 v[178:181], off, off offset:800
	s_wait_loadcnt_dscnt 0xb00
	v_mul_f64_e32 v[186:187], v[172:173], v[6:7]
	v_mul_f64_e32 v[188:189], v[170:171], v[6:7]
	ds_load_b128 v[182:185], v2 offset:1824
	s_wait_loadcnt_dscnt 0xa00
	v_mul_f64_e32 v[190:191], v[182:183], v[10:11]
	v_mul_f64_e32 v[10:11], v[184:185], v[10:11]
	v_fma_f64 v[186:187], v[170:171], v[4:5], -v[186:187]
	v_fmac_f64_e32 v[188:189], v[172:173], v[4:5]
	ds_load_b128 v[4:7], v2 offset:1840
	ds_load_b128 v[170:173], v2 offset:1856
	s_wait_loadcnt_dscnt 0x901
	v_mul_f64_e32 v[192:193], v[4:5], v[14:15]
	v_mul_f64_e32 v[14:15], v[6:7], v[14:15]
	v_fmac_f64_e32 v[190:191], v[184:185], v[8:9]
	v_fma_f64 v[8:9], v[182:183], v[8:9], -v[10:11]
	s_wait_loadcnt_dscnt 0x800
	v_mul_f64_e32 v[184:185], v[170:171], v[144:145]
	v_mul_f64_e32 v[144:145], v[172:173], v[144:145]
	v_add_f64_e32 v[10:11], 0, v[186:187]
	v_add_f64_e32 v[182:183], 0, v[188:189]
	v_fmac_f64_e32 v[192:193], v[6:7], v[12:13]
	v_fma_f64 v[12:13], v[4:5], v[12:13], -v[14:15]
	v_fmac_f64_e32 v[184:185], v[172:173], v[142:143]
	v_fma_f64 v[142:143], v[170:171], v[142:143], -v[144:145]
	v_add_f64_e32 v[14:15], v[10:11], v[8:9]
	v_add_f64_e32 v[182:183], v[182:183], v[190:191]
	ds_load_b128 v[4:7], v2 offset:1872
	ds_load_b128 v[8:11], v2 offset:1888
	s_wait_loadcnt_dscnt 0x701
	v_mul_f64_e32 v[186:187], v[4:5], v[148:149]
	v_mul_f64_e32 v[148:149], v[6:7], v[148:149]
	s_wait_loadcnt_dscnt 0x600
	v_mul_f64_e32 v[144:145], v[8:9], v[152:153]
	v_mul_f64_e32 v[152:153], v[10:11], v[152:153]
	v_add_f64_e32 v[12:13], v[14:15], v[12:13]
	v_add_f64_e32 v[14:15], v[182:183], v[192:193]
	v_fmac_f64_e32 v[186:187], v[6:7], v[146:147]
	v_fma_f64 v[146:147], v[4:5], v[146:147], -v[148:149]
	v_fmac_f64_e32 v[144:145], v[10:11], v[150:151]
	v_fma_f64 v[8:9], v[8:9], v[150:151], -v[152:153]
	v_add_f64_e32 v[142:143], v[12:13], v[142:143]
	v_add_f64_e32 v[148:149], v[14:15], v[184:185]
	ds_load_b128 v[4:7], v2 offset:1904
	ds_load_b128 v[12:15], v2 offset:1920
	s_wait_loadcnt_dscnt 0x501
	v_mul_f64_e32 v[170:171], v[4:5], v[156:157]
	v_mul_f64_e32 v[156:157], v[6:7], v[156:157]
	v_add_f64_e32 v[10:11], v[142:143], v[146:147]
	v_add_f64_e32 v[142:143], v[148:149], v[186:187]
	s_wait_loadcnt_dscnt 0x400
	v_mul_f64_e32 v[146:147], v[12:13], v[160:161]
	v_mul_f64_e32 v[148:149], v[14:15], v[160:161]
	v_fmac_f64_e32 v[170:171], v[6:7], v[154:155]
	v_fma_f64 v[150:151], v[4:5], v[154:155], -v[156:157]
	v_add_f64_e32 v[152:153], v[10:11], v[8:9]
	v_add_f64_e32 v[142:143], v[142:143], v[144:145]
	ds_load_b128 v[4:7], v2 offset:1936
	ds_load_b128 v[8:11], v2 offset:1952
	v_fmac_f64_e32 v[146:147], v[14:15], v[158:159]
	v_fma_f64 v[12:13], v[12:13], v[158:159], -v[148:149]
	s_wait_loadcnt_dscnt 0x301
	v_mul_f64_e32 v[144:145], v[4:5], v[164:165]
	v_mul_f64_e32 v[154:155], v[6:7], v[164:165]
	s_wait_loadcnt_dscnt 0x200
	v_mul_f64_e32 v[148:149], v[8:9], v[168:169]
	v_add_f64_e32 v[14:15], v[152:153], v[150:151]
	v_add_f64_e32 v[142:143], v[142:143], v[170:171]
	v_mul_f64_e32 v[150:151], v[10:11], v[168:169]
	v_fmac_f64_e32 v[144:145], v[6:7], v[162:163]
	v_fma_f64 v[152:153], v[4:5], v[162:163], -v[154:155]
	ds_load_b128 v[4:7], v2 offset:1968
	v_fmac_f64_e32 v[148:149], v[10:11], v[166:167]
	v_add_f64_e32 v[12:13], v[14:15], v[12:13]
	v_add_f64_e32 v[14:15], v[142:143], v[146:147]
	v_fma_f64 v[8:9], v[8:9], v[166:167], -v[150:151]
	s_wait_loadcnt_dscnt 0x100
	v_mul_f64_e32 v[142:143], v[4:5], v[176:177]
	v_mul_f64_e32 v[146:147], v[6:7], v[176:177]
	v_add_f64_e32 v[10:11], v[12:13], v[152:153]
	v_add_f64_e32 v[12:13], v[14:15], v[144:145]
	s_delay_alu instid0(VALU_DEP_4) | instskip(NEXT) | instid1(VALU_DEP_4)
	v_fmac_f64_e32 v[142:143], v[6:7], v[174:175]
	v_fma_f64 v[4:5], v[4:5], v[174:175], -v[146:147]
	s_delay_alu instid0(VALU_DEP_4) | instskip(NEXT) | instid1(VALU_DEP_4)
	v_add_f64_e32 v[6:7], v[10:11], v[8:9]
	v_add_f64_e32 v[8:9], v[12:13], v[148:149]
	s_delay_alu instid0(VALU_DEP_2) | instskip(NEXT) | instid1(VALU_DEP_2)
	v_add_f64_e32 v[4:5], v[6:7], v[4:5]
	v_add_f64_e32 v[6:7], v[8:9], v[142:143]
	s_wait_loadcnt 0x0
	s_delay_alu instid0(VALU_DEP_2) | instskip(NEXT) | instid1(VALU_DEP_2)
	v_add_f64_e64 v[4:5], v[178:179], -v[4:5]
	v_add_f64_e64 v[6:7], v[180:181], -v[6:7]
	scratch_store_b128 off, v[4:7], off offset:800
	s_wait_xcnt 0x0
	v_cmpx_lt_u32_e32 49, v1
	s_cbranch_execz .LBB125_299
; %bb.298:
	scratch_load_b128 v[6:9], off, s30
	v_dual_mov_b32 v3, v2 :: v_dual_mov_b32 v4, v2
	v_mov_b32_e32 v5, v2
	scratch_store_b128 off, v[2:5], off offset:784
	s_wait_loadcnt 0x0
	ds_store_b128 v16, v[6:9]
.LBB125_299:
	s_wait_xcnt 0x0
	s_or_b32 exec_lo, exec_lo, s2
	s_wait_storecnt_dscnt 0x0
	s_barrier_signal -1
	s_barrier_wait -1
	s_clause 0x9
	scratch_load_b128 v[4:7], off, off offset:800
	scratch_load_b128 v[8:11], off, off offset:816
	;; [unrolled: 1-line block ×10, first 2 shown]
	ds_load_b128 v[170:173], v2 offset:1792
	ds_load_b128 v[178:181], v2 offset:1808
	s_clause 0x2
	scratch_load_b128 v[174:177], off, off offset:960
	scratch_load_b128 v[182:185], off, off offset:784
	;; [unrolled: 1-line block ×3, first 2 shown]
	s_mov_b32 s2, exec_lo
	s_wait_loadcnt_dscnt 0xc01
	v_mul_f64_e32 v[190:191], v[172:173], v[6:7]
	v_mul_f64_e32 v[192:193], v[170:171], v[6:7]
	s_wait_loadcnt_dscnt 0xb00
	v_mul_f64_e32 v[194:195], v[178:179], v[10:11]
	v_mul_f64_e32 v[10:11], v[180:181], v[10:11]
	s_delay_alu instid0(VALU_DEP_4) | instskip(NEXT) | instid1(VALU_DEP_4)
	v_fma_f64 v[190:191], v[170:171], v[4:5], -v[190:191]
	v_fmac_f64_e32 v[192:193], v[172:173], v[4:5]
	ds_load_b128 v[4:7], v2 offset:1824
	ds_load_b128 v[170:173], v2 offset:1840
	v_fmac_f64_e32 v[194:195], v[180:181], v[8:9]
	v_fma_f64 v[8:9], v[178:179], v[8:9], -v[10:11]
	s_wait_loadcnt_dscnt 0xa01
	v_mul_f64_e32 v[196:197], v[4:5], v[14:15]
	v_mul_f64_e32 v[14:15], v[6:7], v[14:15]
	s_wait_loadcnt_dscnt 0x900
	v_mul_f64_e32 v[180:181], v[170:171], v[144:145]
	v_mul_f64_e32 v[144:145], v[172:173], v[144:145]
	v_add_f64_e32 v[10:11], 0, v[190:191]
	v_add_f64_e32 v[178:179], 0, v[192:193]
	v_fmac_f64_e32 v[196:197], v[6:7], v[12:13]
	v_fma_f64 v[12:13], v[4:5], v[12:13], -v[14:15]
	v_fmac_f64_e32 v[180:181], v[172:173], v[142:143]
	v_fma_f64 v[142:143], v[170:171], v[142:143], -v[144:145]
	v_add_f64_e32 v[14:15], v[10:11], v[8:9]
	v_add_f64_e32 v[178:179], v[178:179], v[194:195]
	ds_load_b128 v[4:7], v2 offset:1856
	ds_load_b128 v[8:11], v2 offset:1872
	s_wait_loadcnt_dscnt 0x801
	v_mul_f64_e32 v[190:191], v[4:5], v[148:149]
	v_mul_f64_e32 v[148:149], v[6:7], v[148:149]
	s_wait_loadcnt_dscnt 0x700
	v_mul_f64_e32 v[144:145], v[8:9], v[152:153]
	v_mul_f64_e32 v[152:153], v[10:11], v[152:153]
	v_add_f64_e32 v[12:13], v[14:15], v[12:13]
	v_add_f64_e32 v[14:15], v[178:179], v[196:197]
	v_fmac_f64_e32 v[190:191], v[6:7], v[146:147]
	v_fma_f64 v[146:147], v[4:5], v[146:147], -v[148:149]
	v_fmac_f64_e32 v[144:145], v[10:11], v[150:151]
	v_fma_f64 v[8:9], v[8:9], v[150:151], -v[152:153]
	v_add_f64_e32 v[142:143], v[12:13], v[142:143]
	v_add_f64_e32 v[148:149], v[14:15], v[180:181]
	ds_load_b128 v[4:7], v2 offset:1888
	ds_load_b128 v[12:15], v2 offset:1904
	s_wait_loadcnt_dscnt 0x601
	v_mul_f64_e32 v[170:171], v[4:5], v[156:157]
	v_mul_f64_e32 v[156:157], v[6:7], v[156:157]
	v_add_f64_e32 v[10:11], v[142:143], v[146:147]
	v_add_f64_e32 v[142:143], v[148:149], v[190:191]
	s_wait_loadcnt_dscnt 0x500
	v_mul_f64_e32 v[146:147], v[12:13], v[160:161]
	v_mul_f64_e32 v[148:149], v[14:15], v[160:161]
	v_fmac_f64_e32 v[170:171], v[6:7], v[154:155]
	v_fma_f64 v[150:151], v[4:5], v[154:155], -v[156:157]
	v_add_f64_e32 v[152:153], v[10:11], v[8:9]
	v_add_f64_e32 v[142:143], v[142:143], v[144:145]
	ds_load_b128 v[4:7], v2 offset:1920
	ds_load_b128 v[8:11], v2 offset:1936
	v_fmac_f64_e32 v[146:147], v[14:15], v[158:159]
	v_fma_f64 v[12:13], v[12:13], v[158:159], -v[148:149]
	s_wait_loadcnt_dscnt 0x401
	v_mul_f64_e32 v[144:145], v[4:5], v[164:165]
	v_mul_f64_e32 v[154:155], v[6:7], v[164:165]
	s_wait_loadcnt_dscnt 0x300
	v_mul_f64_e32 v[148:149], v[8:9], v[168:169]
	v_add_f64_e32 v[14:15], v[152:153], v[150:151]
	v_add_f64_e32 v[142:143], v[142:143], v[170:171]
	v_mul_f64_e32 v[150:151], v[10:11], v[168:169]
	v_fmac_f64_e32 v[144:145], v[6:7], v[162:163]
	v_fma_f64 v[152:153], v[4:5], v[162:163], -v[154:155]
	v_fmac_f64_e32 v[148:149], v[10:11], v[166:167]
	v_add_f64_e32 v[154:155], v[14:15], v[12:13]
	v_add_f64_e32 v[142:143], v[142:143], v[146:147]
	ds_load_b128 v[4:7], v2 offset:1952
	ds_load_b128 v[12:15], v2 offset:1968
	v_fma_f64 v[8:9], v[8:9], v[166:167], -v[150:151]
	s_wait_loadcnt_dscnt 0x201
	v_mul_f64_e32 v[2:3], v[4:5], v[176:177]
	v_mul_f64_e32 v[146:147], v[6:7], v[176:177]
	s_wait_loadcnt_dscnt 0x0
	v_mul_f64_e32 v[150:151], v[14:15], v[188:189]
	v_add_f64_e32 v[10:11], v[154:155], v[152:153]
	v_add_f64_e32 v[142:143], v[142:143], v[144:145]
	v_mul_f64_e32 v[144:145], v[12:13], v[188:189]
	v_fmac_f64_e32 v[2:3], v[6:7], v[174:175]
	v_fma_f64 v[4:5], v[4:5], v[174:175], -v[146:147]
	v_add_f64_e32 v[6:7], v[10:11], v[8:9]
	v_add_f64_e32 v[8:9], v[142:143], v[148:149]
	v_fmac_f64_e32 v[144:145], v[14:15], v[186:187]
	v_fma_f64 v[10:11], v[12:13], v[186:187], -v[150:151]
	s_delay_alu instid0(VALU_DEP_4) | instskip(NEXT) | instid1(VALU_DEP_4)
	v_add_f64_e32 v[4:5], v[6:7], v[4:5]
	v_add_f64_e32 v[2:3], v[8:9], v[2:3]
	s_delay_alu instid0(VALU_DEP_2) | instskip(NEXT) | instid1(VALU_DEP_2)
	v_add_f64_e32 v[4:5], v[4:5], v[10:11]
	v_add_f64_e32 v[6:7], v[2:3], v[144:145]
	s_delay_alu instid0(VALU_DEP_2) | instskip(NEXT) | instid1(VALU_DEP_2)
	v_add_f64_e64 v[2:3], v[182:183], -v[4:5]
	v_add_f64_e64 v[4:5], v[184:185], -v[6:7]
	scratch_store_b128 off, v[2:5], off offset:784
	s_wait_xcnt 0x0
	v_cmpx_lt_u32_e32 48, v1
	s_cbranch_execz .LBB125_301
; %bb.300:
	scratch_load_b128 v[2:5], off, s31
	v_mov_b32_e32 v6, 0
	s_delay_alu instid0(VALU_DEP_1)
	v_dual_mov_b32 v7, v6 :: v_dual_mov_b32 v8, v6
	v_mov_b32_e32 v9, v6
	scratch_store_b128 off, v[6:9], off offset:768
	s_wait_loadcnt 0x0
	ds_store_b128 v16, v[2:5]
.LBB125_301:
	s_wait_xcnt 0x0
	s_or_b32 exec_lo, exec_lo, s2
	s_wait_storecnt_dscnt 0x0
	s_barrier_signal -1
	s_barrier_wait -1
	s_clause 0x9
	scratch_load_b128 v[4:7], off, off offset:784
	scratch_load_b128 v[8:11], off, off offset:800
	;; [unrolled: 1-line block ×10, first 2 shown]
	v_mov_b32_e32 v2, 0
	s_mov_b32 s2, exec_lo
	ds_load_b128 v[170:173], v2 offset:1776
	s_clause 0x2
	scratch_load_b128 v[174:177], off, off offset:944
	scratch_load_b128 v[178:181], off, off offset:768
	;; [unrolled: 1-line block ×3, first 2 shown]
	s_wait_loadcnt_dscnt 0xc00
	v_mul_f64_e32 v[190:191], v[172:173], v[6:7]
	v_mul_f64_e32 v[194:195], v[170:171], v[6:7]
	ds_load_b128 v[182:185], v2 offset:1792
	v_fma_f64 v[198:199], v[170:171], v[4:5], -v[190:191]
	v_fmac_f64_e32 v[194:195], v[172:173], v[4:5]
	ds_load_b128 v[4:7], v2 offset:1808
	s_wait_loadcnt_dscnt 0xb01
	v_mul_f64_e32 v[196:197], v[182:183], v[10:11]
	v_mul_f64_e32 v[10:11], v[184:185], v[10:11]
	scratch_load_b128 v[170:173], off, off offset:976
	ds_load_b128 v[190:193], v2 offset:1824
	s_wait_loadcnt_dscnt 0xb01
	v_mul_f64_e32 v[200:201], v[4:5], v[14:15]
	v_mul_f64_e32 v[14:15], v[6:7], v[14:15]
	v_fmac_f64_e32 v[196:197], v[184:185], v[8:9]
	v_fma_f64 v[8:9], v[182:183], v[8:9], -v[10:11]
	v_add_f64_e32 v[10:11], 0, v[198:199]
	v_add_f64_e32 v[182:183], 0, v[194:195]
	s_wait_loadcnt_dscnt 0xa00
	v_mul_f64_e32 v[184:185], v[190:191], v[144:145]
	v_mul_f64_e32 v[144:145], v[192:193], v[144:145]
	v_fmac_f64_e32 v[200:201], v[6:7], v[12:13]
	v_fma_f64 v[12:13], v[4:5], v[12:13], -v[14:15]
	v_add_f64_e32 v[14:15], v[10:11], v[8:9]
	v_add_f64_e32 v[182:183], v[182:183], v[196:197]
	ds_load_b128 v[4:7], v2 offset:1840
	ds_load_b128 v[8:11], v2 offset:1856
	v_fmac_f64_e32 v[184:185], v[192:193], v[142:143]
	v_fma_f64 v[142:143], v[190:191], v[142:143], -v[144:145]
	s_wait_loadcnt_dscnt 0x901
	v_mul_f64_e32 v[194:195], v[4:5], v[148:149]
	v_mul_f64_e32 v[148:149], v[6:7], v[148:149]
	s_wait_loadcnt_dscnt 0x800
	v_mul_f64_e32 v[144:145], v[8:9], v[152:153]
	v_mul_f64_e32 v[152:153], v[10:11], v[152:153]
	v_add_f64_e32 v[12:13], v[14:15], v[12:13]
	v_add_f64_e32 v[14:15], v[182:183], v[200:201]
	v_fmac_f64_e32 v[194:195], v[6:7], v[146:147]
	v_fma_f64 v[146:147], v[4:5], v[146:147], -v[148:149]
	v_fmac_f64_e32 v[144:145], v[10:11], v[150:151]
	v_fma_f64 v[8:9], v[8:9], v[150:151], -v[152:153]
	v_add_f64_e32 v[142:143], v[12:13], v[142:143]
	v_add_f64_e32 v[148:149], v[14:15], v[184:185]
	ds_load_b128 v[4:7], v2 offset:1872
	ds_load_b128 v[12:15], v2 offset:1888
	s_wait_loadcnt_dscnt 0x701
	v_mul_f64_e32 v[182:183], v[4:5], v[156:157]
	v_mul_f64_e32 v[156:157], v[6:7], v[156:157]
	v_add_f64_e32 v[10:11], v[142:143], v[146:147]
	v_add_f64_e32 v[142:143], v[148:149], v[194:195]
	s_wait_loadcnt_dscnt 0x600
	v_mul_f64_e32 v[146:147], v[12:13], v[160:161]
	v_mul_f64_e32 v[148:149], v[14:15], v[160:161]
	v_fmac_f64_e32 v[182:183], v[6:7], v[154:155]
	v_fma_f64 v[150:151], v[4:5], v[154:155], -v[156:157]
	v_add_f64_e32 v[152:153], v[10:11], v[8:9]
	v_add_f64_e32 v[142:143], v[142:143], v[144:145]
	ds_load_b128 v[4:7], v2 offset:1904
	ds_load_b128 v[8:11], v2 offset:1920
	v_fmac_f64_e32 v[146:147], v[14:15], v[158:159]
	v_fma_f64 v[12:13], v[12:13], v[158:159], -v[148:149]
	s_wait_loadcnt_dscnt 0x501
	v_mul_f64_e32 v[144:145], v[4:5], v[164:165]
	v_mul_f64_e32 v[154:155], v[6:7], v[164:165]
	s_wait_loadcnt_dscnt 0x400
	v_mul_f64_e32 v[148:149], v[8:9], v[168:169]
	v_add_f64_e32 v[14:15], v[152:153], v[150:151]
	v_add_f64_e32 v[142:143], v[142:143], v[182:183]
	v_mul_f64_e32 v[150:151], v[10:11], v[168:169]
	v_fmac_f64_e32 v[144:145], v[6:7], v[162:163]
	v_fma_f64 v[152:153], v[4:5], v[162:163], -v[154:155]
	v_fmac_f64_e32 v[148:149], v[10:11], v[166:167]
	v_add_f64_e32 v[154:155], v[14:15], v[12:13]
	v_add_f64_e32 v[142:143], v[142:143], v[146:147]
	ds_load_b128 v[4:7], v2 offset:1936
	ds_load_b128 v[12:15], v2 offset:1952
	v_fma_f64 v[8:9], v[8:9], v[166:167], -v[150:151]
	s_wait_loadcnt_dscnt 0x301
	v_mul_f64_e32 v[146:147], v[4:5], v[176:177]
	v_mul_f64_e32 v[156:157], v[6:7], v[176:177]
	s_wait_loadcnt_dscnt 0x100
	v_mul_f64_e32 v[150:151], v[14:15], v[188:189]
	v_add_f64_e32 v[10:11], v[154:155], v[152:153]
	v_add_f64_e32 v[142:143], v[142:143], v[144:145]
	v_mul_f64_e32 v[144:145], v[12:13], v[188:189]
	v_fmac_f64_e32 v[146:147], v[6:7], v[174:175]
	v_fma_f64 v[152:153], v[4:5], v[174:175], -v[156:157]
	ds_load_b128 v[4:7], v2 offset:1968
	v_fma_f64 v[12:13], v[12:13], v[186:187], -v[150:151]
	v_add_f64_e32 v[8:9], v[10:11], v[8:9]
	v_add_f64_e32 v[10:11], v[142:143], v[148:149]
	v_fmac_f64_e32 v[144:145], v[14:15], v[186:187]
	s_wait_loadcnt_dscnt 0x0
	v_mul_f64_e32 v[142:143], v[4:5], v[172:173]
	v_mul_f64_e32 v[148:149], v[6:7], v[172:173]
	v_add_f64_e32 v[8:9], v[8:9], v[152:153]
	v_add_f64_e32 v[10:11], v[10:11], v[146:147]
	s_delay_alu instid0(VALU_DEP_4) | instskip(NEXT) | instid1(VALU_DEP_4)
	v_fmac_f64_e32 v[142:143], v[6:7], v[170:171]
	v_fma_f64 v[4:5], v[4:5], v[170:171], -v[148:149]
	s_delay_alu instid0(VALU_DEP_4) | instskip(NEXT) | instid1(VALU_DEP_4)
	v_add_f64_e32 v[6:7], v[8:9], v[12:13]
	v_add_f64_e32 v[8:9], v[10:11], v[144:145]
	s_delay_alu instid0(VALU_DEP_2) | instskip(NEXT) | instid1(VALU_DEP_2)
	v_add_f64_e32 v[4:5], v[6:7], v[4:5]
	v_add_f64_e32 v[6:7], v[8:9], v[142:143]
	s_delay_alu instid0(VALU_DEP_2) | instskip(NEXT) | instid1(VALU_DEP_2)
	v_add_f64_e64 v[4:5], v[178:179], -v[4:5]
	v_add_f64_e64 v[6:7], v[180:181], -v[6:7]
	scratch_store_b128 off, v[4:7], off offset:768
	s_wait_xcnt 0x0
	v_cmpx_lt_u32_e32 47, v1
	s_cbranch_execz .LBB125_303
; %bb.302:
	scratch_load_b128 v[6:9], off, s33
	v_dual_mov_b32 v3, v2 :: v_dual_mov_b32 v4, v2
	v_mov_b32_e32 v5, v2
	scratch_store_b128 off, v[2:5], off offset:752
	s_wait_loadcnt 0x0
	ds_store_b128 v16, v[6:9]
.LBB125_303:
	s_wait_xcnt 0x0
	s_or_b32 exec_lo, exec_lo, s2
	s_wait_storecnt_dscnt 0x0
	s_barrier_signal -1
	s_barrier_wait -1
	s_clause 0x9
	scratch_load_b128 v[4:7], off, off offset:768
	scratch_load_b128 v[8:11], off, off offset:784
	;; [unrolled: 1-line block ×10, first 2 shown]
	ds_load_b128 v[170:173], v2 offset:1760
	ds_load_b128 v[178:181], v2 offset:1776
	s_clause 0x2
	scratch_load_b128 v[174:177], off, off offset:928
	scratch_load_b128 v[182:185], off, off offset:752
	;; [unrolled: 1-line block ×3, first 2 shown]
	s_mov_b32 s2, exec_lo
	s_wait_loadcnt_dscnt 0xc01
	v_mul_f64_e32 v[190:191], v[172:173], v[6:7]
	v_mul_f64_e32 v[194:195], v[170:171], v[6:7]
	s_wait_loadcnt_dscnt 0xb00
	v_mul_f64_e32 v[196:197], v[178:179], v[10:11]
	v_mul_f64_e32 v[10:11], v[180:181], v[10:11]
	s_delay_alu instid0(VALU_DEP_4) | instskip(NEXT) | instid1(VALU_DEP_4)
	v_fma_f64 v[198:199], v[170:171], v[4:5], -v[190:191]
	v_fmac_f64_e32 v[194:195], v[172:173], v[4:5]
	ds_load_b128 v[4:7], v2 offset:1792
	ds_load_b128 v[170:173], v2 offset:1808
	scratch_load_b128 v[190:193], off, off offset:960
	v_fmac_f64_e32 v[196:197], v[180:181], v[8:9]
	v_fma_f64 v[178:179], v[178:179], v[8:9], -v[10:11]
	scratch_load_b128 v[8:11], off, off offset:976
	s_wait_loadcnt_dscnt 0xc01
	v_mul_f64_e32 v[200:201], v[4:5], v[14:15]
	v_mul_f64_e32 v[14:15], v[6:7], v[14:15]
	v_add_f64_e32 v[180:181], 0, v[198:199]
	v_add_f64_e32 v[194:195], 0, v[194:195]
	s_wait_loadcnt_dscnt 0xb00
	v_mul_f64_e32 v[198:199], v[170:171], v[144:145]
	v_mul_f64_e32 v[144:145], v[172:173], v[144:145]
	v_fmac_f64_e32 v[200:201], v[6:7], v[12:13]
	v_fma_f64 v[202:203], v[4:5], v[12:13], -v[14:15]
	ds_load_b128 v[4:7], v2 offset:1824
	ds_load_b128 v[12:15], v2 offset:1840
	v_add_f64_e32 v[178:179], v[180:181], v[178:179]
	v_add_f64_e32 v[180:181], v[194:195], v[196:197]
	v_fmac_f64_e32 v[198:199], v[172:173], v[142:143]
	v_fma_f64 v[142:143], v[170:171], v[142:143], -v[144:145]
	s_wait_loadcnt_dscnt 0xa01
	v_mul_f64_e32 v[194:195], v[4:5], v[148:149]
	v_mul_f64_e32 v[148:149], v[6:7], v[148:149]
	s_wait_loadcnt_dscnt 0x900
	v_mul_f64_e32 v[172:173], v[12:13], v[152:153]
	v_mul_f64_e32 v[152:153], v[14:15], v[152:153]
	v_add_f64_e32 v[144:145], v[178:179], v[202:203]
	v_add_f64_e32 v[170:171], v[180:181], v[200:201]
	v_fmac_f64_e32 v[194:195], v[6:7], v[146:147]
	v_fma_f64 v[146:147], v[4:5], v[146:147], -v[148:149]
	v_fmac_f64_e32 v[172:173], v[14:15], v[150:151]
	v_fma_f64 v[12:13], v[12:13], v[150:151], -v[152:153]
	v_add_f64_e32 v[148:149], v[144:145], v[142:143]
	v_add_f64_e32 v[170:171], v[170:171], v[198:199]
	ds_load_b128 v[4:7], v2 offset:1856
	ds_load_b128 v[142:145], v2 offset:1872
	s_wait_loadcnt_dscnt 0x801
	v_mul_f64_e32 v[178:179], v[4:5], v[156:157]
	v_mul_f64_e32 v[156:157], v[6:7], v[156:157]
	s_wait_loadcnt_dscnt 0x700
	v_mul_f64_e32 v[150:151], v[144:145], v[160:161]
	v_add_f64_e32 v[14:15], v[148:149], v[146:147]
	v_add_f64_e32 v[146:147], v[170:171], v[194:195]
	v_mul_f64_e32 v[148:149], v[142:143], v[160:161]
	v_fmac_f64_e32 v[178:179], v[6:7], v[154:155]
	v_fma_f64 v[152:153], v[4:5], v[154:155], -v[156:157]
	v_fma_f64 v[142:143], v[142:143], v[158:159], -v[150:151]
	v_add_f64_e32 v[154:155], v[14:15], v[12:13]
	v_add_f64_e32 v[146:147], v[146:147], v[172:173]
	ds_load_b128 v[4:7], v2 offset:1888
	ds_load_b128 v[12:15], v2 offset:1904
	v_fmac_f64_e32 v[148:149], v[144:145], v[158:159]
	s_wait_loadcnt_dscnt 0x601
	v_mul_f64_e32 v[156:157], v[4:5], v[164:165]
	v_mul_f64_e32 v[160:161], v[6:7], v[164:165]
	s_wait_loadcnt_dscnt 0x500
	v_mul_f64_e32 v[150:151], v[12:13], v[168:169]
	v_add_f64_e32 v[144:145], v[154:155], v[152:153]
	v_add_f64_e32 v[146:147], v[146:147], v[178:179]
	v_mul_f64_e32 v[152:153], v[14:15], v[168:169]
	v_fmac_f64_e32 v[156:157], v[6:7], v[162:163]
	v_fma_f64 v[154:155], v[4:5], v[162:163], -v[160:161]
	v_fmac_f64_e32 v[150:151], v[14:15], v[166:167]
	v_add_f64_e32 v[158:159], v[144:145], v[142:143]
	v_add_f64_e32 v[146:147], v[146:147], v[148:149]
	ds_load_b128 v[4:7], v2 offset:1920
	ds_load_b128 v[142:145], v2 offset:1936
	v_fma_f64 v[12:13], v[12:13], v[166:167], -v[152:153]
	s_wait_loadcnt_dscnt 0x401
	v_mul_f64_e32 v[148:149], v[4:5], v[176:177]
	v_mul_f64_e32 v[160:161], v[6:7], v[176:177]
	s_wait_loadcnt_dscnt 0x200
	v_mul_f64_e32 v[152:153], v[142:143], v[188:189]
	v_add_f64_e32 v[14:15], v[158:159], v[154:155]
	v_add_f64_e32 v[146:147], v[146:147], v[156:157]
	v_mul_f64_e32 v[154:155], v[144:145], v[188:189]
	v_fmac_f64_e32 v[148:149], v[6:7], v[174:175]
	v_fma_f64 v[156:157], v[4:5], v[174:175], -v[160:161]
	v_fmac_f64_e32 v[152:153], v[144:145], v[186:187]
	v_add_f64_e32 v[158:159], v[14:15], v[12:13]
	v_add_f64_e32 v[146:147], v[146:147], v[150:151]
	ds_load_b128 v[4:7], v2 offset:1952
	ds_load_b128 v[12:15], v2 offset:1968
	v_fma_f64 v[142:143], v[142:143], v[186:187], -v[154:155]
	s_wait_loadcnt_dscnt 0x101
	v_mul_f64_e32 v[2:3], v[4:5], v[192:193]
	v_mul_f64_e32 v[150:151], v[6:7], v[192:193]
	v_add_f64_e32 v[144:145], v[158:159], v[156:157]
	v_add_f64_e32 v[146:147], v[146:147], v[148:149]
	s_wait_loadcnt_dscnt 0x0
	v_mul_f64_e32 v[148:149], v[12:13], v[10:11]
	v_mul_f64_e32 v[10:11], v[14:15], v[10:11]
	v_fmac_f64_e32 v[2:3], v[6:7], v[190:191]
	v_fma_f64 v[4:5], v[4:5], v[190:191], -v[150:151]
	v_add_f64_e32 v[6:7], v[144:145], v[142:143]
	v_add_f64_e32 v[142:143], v[146:147], v[152:153]
	v_fmac_f64_e32 v[148:149], v[14:15], v[8:9]
	v_fma_f64 v[8:9], v[12:13], v[8:9], -v[10:11]
	s_delay_alu instid0(VALU_DEP_4) | instskip(NEXT) | instid1(VALU_DEP_4)
	v_add_f64_e32 v[4:5], v[6:7], v[4:5]
	v_add_f64_e32 v[2:3], v[142:143], v[2:3]
	s_delay_alu instid0(VALU_DEP_2) | instskip(NEXT) | instid1(VALU_DEP_2)
	v_add_f64_e32 v[4:5], v[4:5], v[8:9]
	v_add_f64_e32 v[6:7], v[2:3], v[148:149]
	s_delay_alu instid0(VALU_DEP_2) | instskip(NEXT) | instid1(VALU_DEP_2)
	v_add_f64_e64 v[2:3], v[182:183], -v[4:5]
	v_add_f64_e64 v[4:5], v[184:185], -v[6:7]
	scratch_store_b128 off, v[2:5], off offset:752
	s_wait_xcnt 0x0
	v_cmpx_lt_u32_e32 46, v1
	s_cbranch_execz .LBB125_305
; %bb.304:
	scratch_load_b128 v[2:5], off, s34
	v_mov_b32_e32 v6, 0
	s_delay_alu instid0(VALU_DEP_1)
	v_dual_mov_b32 v7, v6 :: v_dual_mov_b32 v8, v6
	v_mov_b32_e32 v9, v6
	scratch_store_b128 off, v[6:9], off offset:736
	s_wait_loadcnt 0x0
	ds_store_b128 v16, v[2:5]
.LBB125_305:
	s_wait_xcnt 0x0
	s_or_b32 exec_lo, exec_lo, s2
	s_wait_storecnt_dscnt 0x0
	s_barrier_signal -1
	s_barrier_wait -1
	s_clause 0x9
	scratch_load_b128 v[4:7], off, off offset:752
	scratch_load_b128 v[8:11], off, off offset:768
	;; [unrolled: 1-line block ×10, first 2 shown]
	v_mov_b32_e32 v2, 0
	s_mov_b32 s2, exec_lo
	ds_load_b128 v[170:173], v2 offset:1744
	s_clause 0x2
	scratch_load_b128 v[174:177], off, off offset:912
	scratch_load_b128 v[178:181], off, off offset:736
	;; [unrolled: 1-line block ×3, first 2 shown]
	s_wait_loadcnt_dscnt 0xc00
	v_mul_f64_e32 v[190:191], v[172:173], v[6:7]
	v_mul_f64_e32 v[194:195], v[170:171], v[6:7]
	ds_load_b128 v[182:185], v2 offset:1760
	v_fma_f64 v[198:199], v[170:171], v[4:5], -v[190:191]
	v_fmac_f64_e32 v[194:195], v[172:173], v[4:5]
	ds_load_b128 v[4:7], v2 offset:1776
	s_wait_loadcnt_dscnt 0xb01
	v_mul_f64_e32 v[196:197], v[182:183], v[10:11]
	v_mul_f64_e32 v[10:11], v[184:185], v[10:11]
	scratch_load_b128 v[170:173], off, off offset:944
	ds_load_b128 v[190:193], v2 offset:1792
	s_wait_loadcnt_dscnt 0xb01
	v_mul_f64_e32 v[200:201], v[4:5], v[14:15]
	v_mul_f64_e32 v[14:15], v[6:7], v[14:15]
	v_add_f64_e32 v[194:195], 0, v[194:195]
	v_fmac_f64_e32 v[196:197], v[184:185], v[8:9]
	v_fma_f64 v[182:183], v[182:183], v[8:9], -v[10:11]
	v_add_f64_e32 v[184:185], 0, v[198:199]
	scratch_load_b128 v[8:11], off, off offset:960
	v_fmac_f64_e32 v[200:201], v[6:7], v[12:13]
	v_fma_f64 v[202:203], v[4:5], v[12:13], -v[14:15]
	ds_load_b128 v[4:7], v2 offset:1808
	s_wait_loadcnt_dscnt 0xb01
	v_mul_f64_e32 v[198:199], v[190:191], v[144:145]
	v_mul_f64_e32 v[144:145], v[192:193], v[144:145]
	scratch_load_b128 v[12:15], off, off offset:976
	v_add_f64_e32 v[194:195], v[194:195], v[196:197]
	v_add_f64_e32 v[204:205], v[184:185], v[182:183]
	ds_load_b128 v[182:185], v2 offset:1824
	s_wait_loadcnt_dscnt 0xb01
	v_mul_f64_e32 v[196:197], v[4:5], v[148:149]
	v_mul_f64_e32 v[148:149], v[6:7], v[148:149]
	v_fmac_f64_e32 v[198:199], v[192:193], v[142:143]
	v_fma_f64 v[142:143], v[190:191], v[142:143], -v[144:145]
	s_wait_loadcnt_dscnt 0xa00
	v_mul_f64_e32 v[192:193], v[182:183], v[152:153]
	v_mul_f64_e32 v[152:153], v[184:185], v[152:153]
	v_add_f64_e32 v[190:191], v[194:195], v[200:201]
	v_add_f64_e32 v[144:145], v[204:205], v[202:203]
	v_fmac_f64_e32 v[196:197], v[6:7], v[146:147]
	v_fma_f64 v[146:147], v[4:5], v[146:147], -v[148:149]
	v_fmac_f64_e32 v[192:193], v[184:185], v[150:151]
	v_fma_f64 v[150:151], v[182:183], v[150:151], -v[152:153]
	v_add_f64_e32 v[190:191], v[190:191], v[198:199]
	v_add_f64_e32 v[148:149], v[144:145], v[142:143]
	ds_load_b128 v[4:7], v2 offset:1840
	ds_load_b128 v[142:145], v2 offset:1856
	s_wait_loadcnt_dscnt 0x901
	v_mul_f64_e32 v[194:195], v[4:5], v[156:157]
	v_mul_f64_e32 v[156:157], v[6:7], v[156:157]
	s_wait_loadcnt_dscnt 0x800
	v_mul_f64_e32 v[152:153], v[142:143], v[160:161]
	v_mul_f64_e32 v[160:161], v[144:145], v[160:161]
	v_add_f64_e32 v[146:147], v[148:149], v[146:147]
	v_add_f64_e32 v[148:149], v[190:191], v[196:197]
	v_fmac_f64_e32 v[194:195], v[6:7], v[154:155]
	v_fma_f64 v[154:155], v[4:5], v[154:155], -v[156:157]
	v_fmac_f64_e32 v[152:153], v[144:145], v[158:159]
	v_fma_f64 v[142:143], v[142:143], v[158:159], -v[160:161]
	v_add_f64_e32 v[150:151], v[146:147], v[150:151]
	v_add_f64_e32 v[156:157], v[148:149], v[192:193]
	ds_load_b128 v[4:7], v2 offset:1872
	ds_load_b128 v[146:149], v2 offset:1888
	s_wait_loadcnt_dscnt 0x701
	v_mul_f64_e32 v[182:183], v[4:5], v[164:165]
	v_mul_f64_e32 v[164:165], v[6:7], v[164:165]
	v_add_f64_e32 v[144:145], v[150:151], v[154:155]
	v_add_f64_e32 v[150:151], v[156:157], v[194:195]
	s_wait_loadcnt_dscnt 0x600
	v_mul_f64_e32 v[154:155], v[146:147], v[168:169]
	v_mul_f64_e32 v[156:157], v[148:149], v[168:169]
	v_fmac_f64_e32 v[182:183], v[6:7], v[162:163]
	v_fma_f64 v[158:159], v[4:5], v[162:163], -v[164:165]
	v_add_f64_e32 v[160:161], v[144:145], v[142:143]
	v_add_f64_e32 v[150:151], v[150:151], v[152:153]
	ds_load_b128 v[4:7], v2 offset:1904
	ds_load_b128 v[142:145], v2 offset:1920
	v_fmac_f64_e32 v[154:155], v[148:149], v[166:167]
	v_fma_f64 v[146:147], v[146:147], v[166:167], -v[156:157]
	s_wait_loadcnt_dscnt 0x501
	v_mul_f64_e32 v[152:153], v[4:5], v[176:177]
	v_mul_f64_e32 v[162:163], v[6:7], v[176:177]
	s_wait_loadcnt_dscnt 0x300
	v_mul_f64_e32 v[156:157], v[142:143], v[188:189]
	v_add_f64_e32 v[148:149], v[160:161], v[158:159]
	v_add_f64_e32 v[150:151], v[150:151], v[182:183]
	v_mul_f64_e32 v[158:159], v[144:145], v[188:189]
	v_fmac_f64_e32 v[152:153], v[6:7], v[174:175]
	v_fma_f64 v[160:161], v[4:5], v[174:175], -v[162:163]
	v_fmac_f64_e32 v[156:157], v[144:145], v[186:187]
	v_add_f64_e32 v[162:163], v[148:149], v[146:147]
	v_add_f64_e32 v[150:151], v[150:151], v[154:155]
	ds_load_b128 v[4:7], v2 offset:1936
	ds_load_b128 v[146:149], v2 offset:1952
	v_fma_f64 v[142:143], v[142:143], v[186:187], -v[158:159]
	s_wait_loadcnt_dscnt 0x201
	v_mul_f64_e32 v[154:155], v[4:5], v[172:173]
	v_mul_f64_e32 v[164:165], v[6:7], v[172:173]
	v_add_f64_e32 v[144:145], v[162:163], v[160:161]
	v_add_f64_e32 v[150:151], v[150:151], v[152:153]
	s_wait_loadcnt_dscnt 0x100
	v_mul_f64_e32 v[152:153], v[146:147], v[10:11]
	v_mul_f64_e32 v[10:11], v[148:149], v[10:11]
	v_fmac_f64_e32 v[154:155], v[6:7], v[170:171]
	v_fma_f64 v[158:159], v[4:5], v[170:171], -v[164:165]
	ds_load_b128 v[4:7], v2 offset:1968
	v_add_f64_e32 v[142:143], v[144:145], v[142:143]
	v_add_f64_e32 v[144:145], v[150:151], v[156:157]
	v_fmac_f64_e32 v[152:153], v[148:149], v[8:9]
	v_fma_f64 v[8:9], v[146:147], v[8:9], -v[10:11]
	s_wait_loadcnt_dscnt 0x0
	v_mul_f64_e32 v[150:151], v[4:5], v[14:15]
	v_mul_f64_e32 v[14:15], v[6:7], v[14:15]
	v_add_f64_e32 v[10:11], v[142:143], v[158:159]
	v_add_f64_e32 v[142:143], v[144:145], v[154:155]
	s_delay_alu instid0(VALU_DEP_4) | instskip(NEXT) | instid1(VALU_DEP_4)
	v_fmac_f64_e32 v[150:151], v[6:7], v[12:13]
	v_fma_f64 v[4:5], v[4:5], v[12:13], -v[14:15]
	s_delay_alu instid0(VALU_DEP_4) | instskip(NEXT) | instid1(VALU_DEP_4)
	v_add_f64_e32 v[6:7], v[10:11], v[8:9]
	v_add_f64_e32 v[8:9], v[142:143], v[152:153]
	s_delay_alu instid0(VALU_DEP_2) | instskip(NEXT) | instid1(VALU_DEP_2)
	v_add_f64_e32 v[4:5], v[6:7], v[4:5]
	v_add_f64_e32 v[6:7], v[8:9], v[150:151]
	s_delay_alu instid0(VALU_DEP_2) | instskip(NEXT) | instid1(VALU_DEP_2)
	v_add_f64_e64 v[4:5], v[178:179], -v[4:5]
	v_add_f64_e64 v[6:7], v[180:181], -v[6:7]
	scratch_store_b128 off, v[4:7], off offset:736
	s_wait_xcnt 0x0
	v_cmpx_lt_u32_e32 45, v1
	s_cbranch_execz .LBB125_307
; %bb.306:
	scratch_load_b128 v[6:9], off, s35
	v_dual_mov_b32 v3, v2 :: v_dual_mov_b32 v4, v2
	v_mov_b32_e32 v5, v2
	scratch_store_b128 off, v[2:5], off offset:720
	s_wait_loadcnt 0x0
	ds_store_b128 v16, v[6:9]
.LBB125_307:
	s_wait_xcnt 0x0
	s_or_b32 exec_lo, exec_lo, s2
	s_wait_storecnt_dscnt 0x0
	s_barrier_signal -1
	s_barrier_wait -1
	s_clause 0x9
	scratch_load_b128 v[4:7], off, off offset:736
	scratch_load_b128 v[8:11], off, off offset:752
	;; [unrolled: 1-line block ×10, first 2 shown]
	ds_load_b128 v[170:173], v2 offset:1728
	ds_load_b128 v[178:181], v2 offset:1744
	s_clause 0x2
	scratch_load_b128 v[174:177], off, off offset:896
	scratch_load_b128 v[182:185], off, off offset:720
	scratch_load_b128 v[186:189], off, off offset:912
	s_mov_b32 s2, exec_lo
	s_wait_loadcnt_dscnt 0xc01
	v_mul_f64_e32 v[190:191], v[172:173], v[6:7]
	v_mul_f64_e32 v[194:195], v[170:171], v[6:7]
	s_wait_loadcnt_dscnt 0xb00
	v_mul_f64_e32 v[196:197], v[178:179], v[10:11]
	v_mul_f64_e32 v[10:11], v[180:181], v[10:11]
	s_delay_alu instid0(VALU_DEP_4) | instskip(NEXT) | instid1(VALU_DEP_4)
	v_fma_f64 v[198:199], v[170:171], v[4:5], -v[190:191]
	v_fmac_f64_e32 v[194:195], v[172:173], v[4:5]
	ds_load_b128 v[4:7], v2 offset:1760
	ds_load_b128 v[170:173], v2 offset:1776
	scratch_load_b128 v[190:193], off, off offset:928
	v_fmac_f64_e32 v[196:197], v[180:181], v[8:9]
	v_fma_f64 v[178:179], v[178:179], v[8:9], -v[10:11]
	scratch_load_b128 v[8:11], off, off offset:944
	s_wait_loadcnt_dscnt 0xc01
	v_mul_f64_e32 v[200:201], v[4:5], v[14:15]
	v_mul_f64_e32 v[14:15], v[6:7], v[14:15]
	v_add_f64_e32 v[180:181], 0, v[198:199]
	v_add_f64_e32 v[194:195], 0, v[194:195]
	s_wait_loadcnt_dscnt 0xb00
	v_mul_f64_e32 v[198:199], v[170:171], v[144:145]
	v_mul_f64_e32 v[144:145], v[172:173], v[144:145]
	v_fmac_f64_e32 v[200:201], v[6:7], v[12:13]
	v_fma_f64 v[202:203], v[4:5], v[12:13], -v[14:15]
	ds_load_b128 v[4:7], v2 offset:1792
	ds_load_b128 v[12:15], v2 offset:1808
	v_add_f64_e32 v[204:205], v[180:181], v[178:179]
	v_add_f64_e32 v[194:195], v[194:195], v[196:197]
	scratch_load_b128 v[178:181], off, off offset:960
	v_fmac_f64_e32 v[198:199], v[172:173], v[142:143]
	v_fma_f64 v[170:171], v[170:171], v[142:143], -v[144:145]
	scratch_load_b128 v[142:145], off, off offset:976
	s_wait_loadcnt_dscnt 0xc01
	v_mul_f64_e32 v[196:197], v[4:5], v[148:149]
	v_mul_f64_e32 v[148:149], v[6:7], v[148:149]
	v_add_f64_e32 v[172:173], v[204:205], v[202:203]
	v_add_f64_e32 v[194:195], v[194:195], v[200:201]
	s_wait_loadcnt_dscnt 0xb00
	v_mul_f64_e32 v[200:201], v[12:13], v[152:153]
	v_mul_f64_e32 v[152:153], v[14:15], v[152:153]
	v_fmac_f64_e32 v[196:197], v[6:7], v[146:147]
	v_fma_f64 v[202:203], v[4:5], v[146:147], -v[148:149]
	ds_load_b128 v[4:7], v2 offset:1824
	ds_load_b128 v[146:149], v2 offset:1840
	v_add_f64_e32 v[170:171], v[172:173], v[170:171]
	v_add_f64_e32 v[172:173], v[194:195], v[198:199]
	s_wait_loadcnt_dscnt 0xa01
	v_mul_f64_e32 v[194:195], v[4:5], v[156:157]
	v_mul_f64_e32 v[156:157], v[6:7], v[156:157]
	v_fmac_f64_e32 v[200:201], v[14:15], v[150:151]
	v_fma_f64 v[12:13], v[12:13], v[150:151], -v[152:153]
	s_wait_loadcnt_dscnt 0x900
	v_mul_f64_e32 v[152:153], v[146:147], v[160:161]
	v_mul_f64_e32 v[160:161], v[148:149], v[160:161]
	v_add_f64_e32 v[14:15], v[170:171], v[202:203]
	v_add_f64_e32 v[150:151], v[172:173], v[196:197]
	v_fmac_f64_e32 v[194:195], v[6:7], v[154:155]
	v_fma_f64 v[154:155], v[4:5], v[154:155], -v[156:157]
	v_fmac_f64_e32 v[152:153], v[148:149], v[158:159]
	v_fma_f64 v[146:147], v[146:147], v[158:159], -v[160:161]
	v_add_f64_e32 v[156:157], v[14:15], v[12:13]
	v_add_f64_e32 v[150:151], v[150:151], v[200:201]
	ds_load_b128 v[4:7], v2 offset:1856
	ds_load_b128 v[12:15], v2 offset:1872
	s_wait_loadcnt_dscnt 0x801
	v_mul_f64_e32 v[170:171], v[4:5], v[164:165]
	v_mul_f64_e32 v[164:165], v[6:7], v[164:165]
	v_add_f64_e32 v[148:149], v[156:157], v[154:155]
	v_add_f64_e32 v[150:151], v[150:151], v[194:195]
	s_wait_loadcnt_dscnt 0x700
	v_mul_f64_e32 v[154:155], v[12:13], v[168:169]
	v_mul_f64_e32 v[156:157], v[14:15], v[168:169]
	v_fmac_f64_e32 v[170:171], v[6:7], v[162:163]
	v_fma_f64 v[158:159], v[4:5], v[162:163], -v[164:165]
	v_add_f64_e32 v[160:161], v[148:149], v[146:147]
	v_add_f64_e32 v[150:151], v[150:151], v[152:153]
	ds_load_b128 v[4:7], v2 offset:1888
	ds_load_b128 v[146:149], v2 offset:1904
	v_fmac_f64_e32 v[154:155], v[14:15], v[166:167]
	v_fma_f64 v[12:13], v[12:13], v[166:167], -v[156:157]
	s_wait_loadcnt_dscnt 0x601
	v_mul_f64_e32 v[152:153], v[4:5], v[176:177]
	v_mul_f64_e32 v[162:163], v[6:7], v[176:177]
	s_wait_loadcnt_dscnt 0x400
	v_mul_f64_e32 v[156:157], v[146:147], v[188:189]
	v_add_f64_e32 v[14:15], v[160:161], v[158:159]
	v_add_f64_e32 v[150:151], v[150:151], v[170:171]
	v_mul_f64_e32 v[158:159], v[148:149], v[188:189]
	v_fmac_f64_e32 v[152:153], v[6:7], v[174:175]
	v_fma_f64 v[160:161], v[4:5], v[174:175], -v[162:163]
	v_fmac_f64_e32 v[156:157], v[148:149], v[186:187]
	v_add_f64_e32 v[162:163], v[14:15], v[12:13]
	v_add_f64_e32 v[150:151], v[150:151], v[154:155]
	ds_load_b128 v[4:7], v2 offset:1920
	ds_load_b128 v[12:15], v2 offset:1936
	v_fma_f64 v[146:147], v[146:147], v[186:187], -v[158:159]
	s_wait_loadcnt_dscnt 0x301
	v_mul_f64_e32 v[154:155], v[4:5], v[192:193]
	v_mul_f64_e32 v[164:165], v[6:7], v[192:193]
	v_add_f64_e32 v[148:149], v[162:163], v[160:161]
	v_add_f64_e32 v[150:151], v[150:151], v[152:153]
	s_wait_loadcnt_dscnt 0x200
	v_mul_f64_e32 v[152:153], v[12:13], v[10:11]
	v_mul_f64_e32 v[10:11], v[14:15], v[10:11]
	v_fmac_f64_e32 v[154:155], v[6:7], v[190:191]
	v_fma_f64 v[158:159], v[4:5], v[190:191], -v[164:165]
	v_add_f64_e32 v[160:161], v[148:149], v[146:147]
	v_add_f64_e32 v[150:151], v[150:151], v[156:157]
	ds_load_b128 v[4:7], v2 offset:1952
	ds_load_b128 v[146:149], v2 offset:1968
	v_fmac_f64_e32 v[152:153], v[14:15], v[8:9]
	v_fma_f64 v[8:9], v[12:13], v[8:9], -v[10:11]
	s_wait_loadcnt_dscnt 0x101
	v_mul_f64_e32 v[2:3], v[4:5], v[180:181]
	v_mul_f64_e32 v[156:157], v[6:7], v[180:181]
	s_wait_loadcnt_dscnt 0x0
	v_mul_f64_e32 v[14:15], v[146:147], v[144:145]
	v_mul_f64_e32 v[144:145], v[148:149], v[144:145]
	v_add_f64_e32 v[10:11], v[160:161], v[158:159]
	v_add_f64_e32 v[12:13], v[150:151], v[154:155]
	v_fmac_f64_e32 v[2:3], v[6:7], v[178:179]
	v_fma_f64 v[4:5], v[4:5], v[178:179], -v[156:157]
	v_fmac_f64_e32 v[14:15], v[148:149], v[142:143]
	v_add_f64_e32 v[6:7], v[10:11], v[8:9]
	v_add_f64_e32 v[8:9], v[12:13], v[152:153]
	v_fma_f64 v[10:11], v[146:147], v[142:143], -v[144:145]
	s_delay_alu instid0(VALU_DEP_3) | instskip(NEXT) | instid1(VALU_DEP_3)
	v_add_f64_e32 v[4:5], v[6:7], v[4:5]
	v_add_f64_e32 v[2:3], v[8:9], v[2:3]
	s_delay_alu instid0(VALU_DEP_2) | instskip(NEXT) | instid1(VALU_DEP_2)
	v_add_f64_e32 v[4:5], v[4:5], v[10:11]
	v_add_f64_e32 v[6:7], v[2:3], v[14:15]
	s_delay_alu instid0(VALU_DEP_2) | instskip(NEXT) | instid1(VALU_DEP_2)
	v_add_f64_e64 v[2:3], v[182:183], -v[4:5]
	v_add_f64_e64 v[4:5], v[184:185], -v[6:7]
	scratch_store_b128 off, v[2:5], off offset:720
	s_wait_xcnt 0x0
	v_cmpx_lt_u32_e32 44, v1
	s_cbranch_execz .LBB125_309
; %bb.308:
	scratch_load_b128 v[2:5], off, s36
	v_mov_b32_e32 v6, 0
	s_delay_alu instid0(VALU_DEP_1)
	v_dual_mov_b32 v7, v6 :: v_dual_mov_b32 v8, v6
	v_mov_b32_e32 v9, v6
	scratch_store_b128 off, v[6:9], off offset:704
	s_wait_loadcnt 0x0
	ds_store_b128 v16, v[2:5]
.LBB125_309:
	s_wait_xcnt 0x0
	s_or_b32 exec_lo, exec_lo, s2
	s_wait_storecnt_dscnt 0x0
	s_barrier_signal -1
	s_barrier_wait -1
	s_clause 0x9
	scratch_load_b128 v[4:7], off, off offset:720
	scratch_load_b128 v[8:11], off, off offset:736
	;; [unrolled: 1-line block ×10, first 2 shown]
	v_mov_b32_e32 v2, 0
	s_mov_b32 s2, exec_lo
	ds_load_b128 v[170:173], v2 offset:1712
	s_clause 0x2
	scratch_load_b128 v[174:177], off, off offset:880
	scratch_load_b128 v[178:181], off, off offset:704
	;; [unrolled: 1-line block ×3, first 2 shown]
	s_wait_loadcnt_dscnt 0xc00
	v_mul_f64_e32 v[190:191], v[172:173], v[6:7]
	v_mul_f64_e32 v[194:195], v[170:171], v[6:7]
	ds_load_b128 v[182:185], v2 offset:1728
	v_fma_f64 v[198:199], v[170:171], v[4:5], -v[190:191]
	v_fmac_f64_e32 v[194:195], v[172:173], v[4:5]
	ds_load_b128 v[4:7], v2 offset:1744
	s_wait_loadcnt_dscnt 0xb01
	v_mul_f64_e32 v[196:197], v[182:183], v[10:11]
	v_mul_f64_e32 v[10:11], v[184:185], v[10:11]
	scratch_load_b128 v[170:173], off, off offset:912
	ds_load_b128 v[190:193], v2 offset:1760
	s_wait_loadcnt_dscnt 0xb01
	v_mul_f64_e32 v[200:201], v[4:5], v[14:15]
	v_mul_f64_e32 v[14:15], v[6:7], v[14:15]
	v_add_f64_e32 v[194:195], 0, v[194:195]
	v_fmac_f64_e32 v[196:197], v[184:185], v[8:9]
	v_fma_f64 v[182:183], v[182:183], v[8:9], -v[10:11]
	v_add_f64_e32 v[184:185], 0, v[198:199]
	scratch_load_b128 v[8:11], off, off offset:928
	v_fmac_f64_e32 v[200:201], v[6:7], v[12:13]
	v_fma_f64 v[202:203], v[4:5], v[12:13], -v[14:15]
	ds_load_b128 v[4:7], v2 offset:1776
	s_wait_loadcnt_dscnt 0xb01
	v_mul_f64_e32 v[198:199], v[190:191], v[144:145]
	v_mul_f64_e32 v[144:145], v[192:193], v[144:145]
	scratch_load_b128 v[12:15], off, off offset:944
	v_add_f64_e32 v[194:195], v[194:195], v[196:197]
	v_add_f64_e32 v[204:205], v[184:185], v[182:183]
	ds_load_b128 v[182:185], v2 offset:1792
	s_wait_loadcnt_dscnt 0xb01
	v_mul_f64_e32 v[196:197], v[4:5], v[148:149]
	v_mul_f64_e32 v[148:149], v[6:7], v[148:149]
	v_fmac_f64_e32 v[198:199], v[192:193], v[142:143]
	v_fma_f64 v[190:191], v[190:191], v[142:143], -v[144:145]
	scratch_load_b128 v[142:145], off, off offset:960
	v_add_f64_e32 v[194:195], v[194:195], v[200:201]
	v_add_f64_e32 v[192:193], v[204:205], v[202:203]
	v_fmac_f64_e32 v[196:197], v[6:7], v[146:147]
	v_fma_f64 v[202:203], v[4:5], v[146:147], -v[148:149]
	ds_load_b128 v[4:7], v2 offset:1808
	s_wait_loadcnt_dscnt 0xb01
	v_mul_f64_e32 v[200:201], v[182:183], v[152:153]
	v_mul_f64_e32 v[152:153], v[184:185], v[152:153]
	scratch_load_b128 v[146:149], off, off offset:976
	v_add_f64_e32 v[194:195], v[194:195], v[198:199]
	s_wait_loadcnt_dscnt 0xb00
	v_mul_f64_e32 v[198:199], v[4:5], v[156:157]
	v_add_f64_e32 v[204:205], v[192:193], v[190:191]
	v_mul_f64_e32 v[156:157], v[6:7], v[156:157]
	ds_load_b128 v[190:193], v2 offset:1824
	v_fmac_f64_e32 v[200:201], v[184:185], v[150:151]
	v_fma_f64 v[150:151], v[182:183], v[150:151], -v[152:153]
	s_wait_loadcnt_dscnt 0xa00
	v_mul_f64_e32 v[184:185], v[190:191], v[160:161]
	v_mul_f64_e32 v[160:161], v[192:193], v[160:161]
	v_add_f64_e32 v[182:183], v[194:195], v[196:197]
	v_fmac_f64_e32 v[198:199], v[6:7], v[154:155]
	v_add_f64_e32 v[152:153], v[204:205], v[202:203]
	v_fma_f64 v[154:155], v[4:5], v[154:155], -v[156:157]
	v_fmac_f64_e32 v[184:185], v[192:193], v[158:159]
	v_fma_f64 v[158:159], v[190:191], v[158:159], -v[160:161]
	v_add_f64_e32 v[182:183], v[182:183], v[200:201]
	v_add_f64_e32 v[156:157], v[152:153], v[150:151]
	ds_load_b128 v[4:7], v2 offset:1840
	ds_load_b128 v[150:153], v2 offset:1856
	s_wait_loadcnt_dscnt 0x901
	v_mul_f64_e32 v[194:195], v[4:5], v[164:165]
	v_mul_f64_e32 v[164:165], v[6:7], v[164:165]
	s_wait_loadcnt_dscnt 0x800
	v_mul_f64_e32 v[160:161], v[150:151], v[168:169]
	v_mul_f64_e32 v[168:169], v[152:153], v[168:169]
	v_add_f64_e32 v[154:155], v[156:157], v[154:155]
	v_add_f64_e32 v[156:157], v[182:183], v[198:199]
	v_fmac_f64_e32 v[194:195], v[6:7], v[162:163]
	v_fma_f64 v[162:163], v[4:5], v[162:163], -v[164:165]
	v_fmac_f64_e32 v[160:161], v[152:153], v[166:167]
	v_fma_f64 v[150:151], v[150:151], v[166:167], -v[168:169]
	v_add_f64_e32 v[158:159], v[154:155], v[158:159]
	v_add_f64_e32 v[164:165], v[156:157], v[184:185]
	ds_load_b128 v[4:7], v2 offset:1872
	ds_load_b128 v[154:157], v2 offset:1888
	s_wait_loadcnt_dscnt 0x701
	v_mul_f64_e32 v[182:183], v[4:5], v[176:177]
	v_mul_f64_e32 v[176:177], v[6:7], v[176:177]
	v_add_f64_e32 v[152:153], v[158:159], v[162:163]
	v_add_f64_e32 v[158:159], v[164:165], v[194:195]
	s_wait_loadcnt_dscnt 0x500
	v_mul_f64_e32 v[162:163], v[154:155], v[188:189]
	v_mul_f64_e32 v[164:165], v[156:157], v[188:189]
	v_fmac_f64_e32 v[182:183], v[6:7], v[174:175]
	v_fma_f64 v[166:167], v[4:5], v[174:175], -v[176:177]
	v_add_f64_e32 v[168:169], v[152:153], v[150:151]
	v_add_f64_e32 v[158:159], v[158:159], v[160:161]
	ds_load_b128 v[4:7], v2 offset:1904
	ds_load_b128 v[150:153], v2 offset:1920
	v_fmac_f64_e32 v[162:163], v[156:157], v[186:187]
	v_fma_f64 v[154:155], v[154:155], v[186:187], -v[164:165]
	s_wait_loadcnt_dscnt 0x401
	v_mul_f64_e32 v[160:161], v[4:5], v[172:173]
	v_mul_f64_e32 v[172:173], v[6:7], v[172:173]
	v_add_f64_e32 v[156:157], v[168:169], v[166:167]
	v_add_f64_e32 v[158:159], v[158:159], v[182:183]
	s_wait_loadcnt_dscnt 0x300
	v_mul_f64_e32 v[164:165], v[150:151], v[10:11]
	v_mul_f64_e32 v[10:11], v[152:153], v[10:11]
	v_fmac_f64_e32 v[160:161], v[6:7], v[170:171]
	v_fma_f64 v[166:167], v[4:5], v[170:171], -v[172:173]
	v_add_f64_e32 v[168:169], v[156:157], v[154:155]
	v_add_f64_e32 v[158:159], v[158:159], v[162:163]
	ds_load_b128 v[4:7], v2 offset:1936
	ds_load_b128 v[154:157], v2 offset:1952
	v_fmac_f64_e32 v[164:165], v[152:153], v[8:9]
	v_fma_f64 v[8:9], v[150:151], v[8:9], -v[10:11]
	s_wait_loadcnt_dscnt 0x201
	v_mul_f64_e32 v[162:163], v[4:5], v[14:15]
	v_mul_f64_e32 v[14:15], v[6:7], v[14:15]
	s_wait_loadcnt_dscnt 0x100
	v_mul_f64_e32 v[152:153], v[154:155], v[144:145]
	v_mul_f64_e32 v[144:145], v[156:157], v[144:145]
	v_add_f64_e32 v[10:11], v[168:169], v[166:167]
	v_add_f64_e32 v[150:151], v[158:159], v[160:161]
	v_fmac_f64_e32 v[162:163], v[6:7], v[12:13]
	v_fma_f64 v[12:13], v[4:5], v[12:13], -v[14:15]
	ds_load_b128 v[4:7], v2 offset:1968
	v_fmac_f64_e32 v[152:153], v[156:157], v[142:143]
	v_fma_f64 v[142:143], v[154:155], v[142:143], -v[144:145]
	v_add_f64_e32 v[8:9], v[10:11], v[8:9]
	v_add_f64_e32 v[10:11], v[150:151], v[164:165]
	s_wait_loadcnt_dscnt 0x0
	v_mul_f64_e32 v[14:15], v[4:5], v[148:149]
	v_mul_f64_e32 v[148:149], v[6:7], v[148:149]
	s_delay_alu instid0(VALU_DEP_4) | instskip(NEXT) | instid1(VALU_DEP_4)
	v_add_f64_e32 v[8:9], v[8:9], v[12:13]
	v_add_f64_e32 v[10:11], v[10:11], v[162:163]
	s_delay_alu instid0(VALU_DEP_4) | instskip(NEXT) | instid1(VALU_DEP_4)
	v_fmac_f64_e32 v[14:15], v[6:7], v[146:147]
	v_fma_f64 v[4:5], v[4:5], v[146:147], -v[148:149]
	s_delay_alu instid0(VALU_DEP_4) | instskip(NEXT) | instid1(VALU_DEP_4)
	v_add_f64_e32 v[6:7], v[8:9], v[142:143]
	v_add_f64_e32 v[8:9], v[10:11], v[152:153]
	s_delay_alu instid0(VALU_DEP_2) | instskip(NEXT) | instid1(VALU_DEP_2)
	v_add_f64_e32 v[4:5], v[6:7], v[4:5]
	v_add_f64_e32 v[6:7], v[8:9], v[14:15]
	s_delay_alu instid0(VALU_DEP_2) | instskip(NEXT) | instid1(VALU_DEP_2)
	v_add_f64_e64 v[4:5], v[178:179], -v[4:5]
	v_add_f64_e64 v[6:7], v[180:181], -v[6:7]
	scratch_store_b128 off, v[4:7], off offset:704
	s_wait_xcnt 0x0
	v_cmpx_lt_u32_e32 43, v1
	s_cbranch_execz .LBB125_311
; %bb.310:
	scratch_load_b128 v[6:9], off, s37
	v_dual_mov_b32 v3, v2 :: v_dual_mov_b32 v4, v2
	v_mov_b32_e32 v5, v2
	scratch_store_b128 off, v[2:5], off offset:688
	s_wait_loadcnt 0x0
	ds_store_b128 v16, v[6:9]
.LBB125_311:
	s_wait_xcnt 0x0
	s_or_b32 exec_lo, exec_lo, s2
	s_wait_storecnt_dscnt 0x0
	s_barrier_signal -1
	s_barrier_wait -1
	s_clause 0x9
	scratch_load_b128 v[4:7], off, off offset:704
	scratch_load_b128 v[8:11], off, off offset:720
	;; [unrolled: 1-line block ×10, first 2 shown]
	ds_load_b128 v[170:173], v2 offset:1696
	ds_load_b128 v[178:181], v2 offset:1712
	s_clause 0x2
	scratch_load_b128 v[174:177], off, off offset:864
	scratch_load_b128 v[182:185], off, off offset:688
	;; [unrolled: 1-line block ×3, first 2 shown]
	s_mov_b32 s2, exec_lo
	s_wait_loadcnt_dscnt 0xc01
	v_mul_f64_e32 v[190:191], v[172:173], v[6:7]
	v_mul_f64_e32 v[194:195], v[170:171], v[6:7]
	s_wait_loadcnt_dscnt 0xb00
	v_mul_f64_e32 v[196:197], v[178:179], v[10:11]
	v_mul_f64_e32 v[10:11], v[180:181], v[10:11]
	s_delay_alu instid0(VALU_DEP_4) | instskip(NEXT) | instid1(VALU_DEP_4)
	v_fma_f64 v[198:199], v[170:171], v[4:5], -v[190:191]
	v_fmac_f64_e32 v[194:195], v[172:173], v[4:5]
	ds_load_b128 v[4:7], v2 offset:1728
	ds_load_b128 v[170:173], v2 offset:1744
	scratch_load_b128 v[190:193], off, off offset:896
	v_fmac_f64_e32 v[196:197], v[180:181], v[8:9]
	v_fma_f64 v[178:179], v[178:179], v[8:9], -v[10:11]
	scratch_load_b128 v[8:11], off, off offset:912
	s_wait_loadcnt_dscnt 0xc01
	v_mul_f64_e32 v[200:201], v[4:5], v[14:15]
	v_mul_f64_e32 v[14:15], v[6:7], v[14:15]
	v_add_f64_e32 v[180:181], 0, v[198:199]
	v_add_f64_e32 v[194:195], 0, v[194:195]
	s_wait_loadcnt_dscnt 0xb00
	v_mul_f64_e32 v[198:199], v[170:171], v[144:145]
	v_mul_f64_e32 v[144:145], v[172:173], v[144:145]
	v_fmac_f64_e32 v[200:201], v[6:7], v[12:13]
	v_fma_f64 v[202:203], v[4:5], v[12:13], -v[14:15]
	ds_load_b128 v[4:7], v2 offset:1760
	ds_load_b128 v[12:15], v2 offset:1776
	v_add_f64_e32 v[204:205], v[180:181], v[178:179]
	v_add_f64_e32 v[194:195], v[194:195], v[196:197]
	scratch_load_b128 v[178:181], off, off offset:928
	v_fmac_f64_e32 v[198:199], v[172:173], v[142:143]
	v_fma_f64 v[170:171], v[170:171], v[142:143], -v[144:145]
	scratch_load_b128 v[142:145], off, off offset:944
	s_wait_loadcnt_dscnt 0xc01
	v_mul_f64_e32 v[196:197], v[4:5], v[148:149]
	v_mul_f64_e32 v[148:149], v[6:7], v[148:149]
	v_add_f64_e32 v[172:173], v[204:205], v[202:203]
	v_add_f64_e32 v[194:195], v[194:195], v[200:201]
	s_wait_loadcnt_dscnt 0xb00
	v_mul_f64_e32 v[200:201], v[12:13], v[152:153]
	v_mul_f64_e32 v[152:153], v[14:15], v[152:153]
	v_fmac_f64_e32 v[196:197], v[6:7], v[146:147]
	v_fma_f64 v[202:203], v[4:5], v[146:147], -v[148:149]
	ds_load_b128 v[4:7], v2 offset:1792
	ds_load_b128 v[146:149], v2 offset:1808
	v_add_f64_e32 v[204:205], v[172:173], v[170:171]
	v_add_f64_e32 v[194:195], v[194:195], v[198:199]
	scratch_load_b128 v[170:173], off, off offset:960
	s_wait_loadcnt_dscnt 0xb01
	v_mul_f64_e32 v[198:199], v[4:5], v[156:157]
	v_mul_f64_e32 v[156:157], v[6:7], v[156:157]
	v_fmac_f64_e32 v[200:201], v[14:15], v[150:151]
	v_fma_f64 v[150:151], v[12:13], v[150:151], -v[152:153]
	scratch_load_b128 v[12:15], off, off offset:976
	v_add_f64_e32 v[152:153], v[204:205], v[202:203]
	v_add_f64_e32 v[194:195], v[194:195], v[196:197]
	s_wait_loadcnt_dscnt 0xb00
	v_mul_f64_e32 v[196:197], v[146:147], v[160:161]
	v_mul_f64_e32 v[160:161], v[148:149], v[160:161]
	v_fmac_f64_e32 v[198:199], v[6:7], v[154:155]
	v_fma_f64 v[154:155], v[4:5], v[154:155], -v[156:157]
	v_add_f64_e32 v[156:157], v[152:153], v[150:151]
	v_add_f64_e32 v[194:195], v[194:195], v[200:201]
	ds_load_b128 v[4:7], v2 offset:1824
	ds_load_b128 v[150:153], v2 offset:1840
	v_fmac_f64_e32 v[196:197], v[148:149], v[158:159]
	v_fma_f64 v[146:147], v[146:147], v[158:159], -v[160:161]
	s_wait_loadcnt_dscnt 0xa01
	v_mul_f64_e32 v[200:201], v[4:5], v[164:165]
	v_mul_f64_e32 v[164:165], v[6:7], v[164:165]
	s_wait_loadcnt_dscnt 0x900
	v_mul_f64_e32 v[158:159], v[152:153], v[168:169]
	v_add_f64_e32 v[148:149], v[156:157], v[154:155]
	v_add_f64_e32 v[154:155], v[194:195], v[198:199]
	v_mul_f64_e32 v[156:157], v[150:151], v[168:169]
	v_fmac_f64_e32 v[200:201], v[6:7], v[162:163]
	v_fma_f64 v[160:161], v[4:5], v[162:163], -v[164:165]
	v_fma_f64 v[150:151], v[150:151], v[166:167], -v[158:159]
	v_add_f64_e32 v[162:163], v[148:149], v[146:147]
	v_add_f64_e32 v[154:155], v[154:155], v[196:197]
	ds_load_b128 v[4:7], v2 offset:1856
	ds_load_b128 v[146:149], v2 offset:1872
	v_fmac_f64_e32 v[156:157], v[152:153], v[166:167]
	s_wait_loadcnt_dscnt 0x801
	v_mul_f64_e32 v[164:165], v[4:5], v[176:177]
	v_mul_f64_e32 v[168:169], v[6:7], v[176:177]
	s_wait_loadcnt_dscnt 0x600
	v_mul_f64_e32 v[158:159], v[146:147], v[188:189]
	v_add_f64_e32 v[152:153], v[162:163], v[160:161]
	v_add_f64_e32 v[154:155], v[154:155], v[200:201]
	v_mul_f64_e32 v[160:161], v[148:149], v[188:189]
	v_fmac_f64_e32 v[164:165], v[6:7], v[174:175]
	v_fma_f64 v[162:163], v[4:5], v[174:175], -v[168:169]
	v_fmac_f64_e32 v[158:159], v[148:149], v[186:187]
	v_add_f64_e32 v[166:167], v[152:153], v[150:151]
	v_add_f64_e32 v[154:155], v[154:155], v[156:157]
	ds_load_b128 v[4:7], v2 offset:1888
	ds_load_b128 v[150:153], v2 offset:1904
	v_fma_f64 v[146:147], v[146:147], v[186:187], -v[160:161]
	s_wait_loadcnt_dscnt 0x501
	v_mul_f64_e32 v[156:157], v[4:5], v[192:193]
	v_mul_f64_e32 v[168:169], v[6:7], v[192:193]
	s_wait_loadcnt_dscnt 0x400
	v_mul_f64_e32 v[160:161], v[150:151], v[10:11]
	v_mul_f64_e32 v[10:11], v[152:153], v[10:11]
	v_add_f64_e32 v[148:149], v[166:167], v[162:163]
	v_add_f64_e32 v[154:155], v[154:155], v[164:165]
	v_fmac_f64_e32 v[156:157], v[6:7], v[190:191]
	v_fma_f64 v[162:163], v[4:5], v[190:191], -v[168:169]
	v_fmac_f64_e32 v[160:161], v[152:153], v[8:9]
	v_fma_f64 v[8:9], v[150:151], v[8:9], -v[10:11]
	v_add_f64_e32 v[164:165], v[148:149], v[146:147]
	v_add_f64_e32 v[154:155], v[154:155], v[158:159]
	ds_load_b128 v[4:7], v2 offset:1920
	ds_load_b128 v[146:149], v2 offset:1936
	s_wait_loadcnt_dscnt 0x301
	v_mul_f64_e32 v[158:159], v[4:5], v[180:181]
	v_mul_f64_e32 v[166:167], v[6:7], v[180:181]
	s_wait_loadcnt_dscnt 0x200
	v_mul_f64_e32 v[152:153], v[146:147], v[144:145]
	v_mul_f64_e32 v[144:145], v[148:149], v[144:145]
	v_add_f64_e32 v[10:11], v[164:165], v[162:163]
	v_add_f64_e32 v[150:151], v[154:155], v[156:157]
	v_fmac_f64_e32 v[158:159], v[6:7], v[178:179]
	v_fma_f64 v[154:155], v[4:5], v[178:179], -v[166:167]
	v_fmac_f64_e32 v[152:153], v[148:149], v[142:143]
	v_fma_f64 v[142:143], v[146:147], v[142:143], -v[144:145]
	v_add_f64_e32 v[156:157], v[10:11], v[8:9]
	v_add_f64_e32 v[150:151], v[150:151], v[160:161]
	ds_load_b128 v[4:7], v2 offset:1952
	ds_load_b128 v[8:11], v2 offset:1968
	s_wait_loadcnt_dscnt 0x101
	v_mul_f64_e32 v[2:3], v[4:5], v[172:173]
	v_mul_f64_e32 v[160:161], v[6:7], v[172:173]
	s_wait_loadcnt_dscnt 0x0
	v_mul_f64_e32 v[148:149], v[8:9], v[14:15]
	v_mul_f64_e32 v[14:15], v[10:11], v[14:15]
	v_add_f64_e32 v[144:145], v[156:157], v[154:155]
	v_add_f64_e32 v[146:147], v[150:151], v[158:159]
	v_fmac_f64_e32 v[2:3], v[6:7], v[170:171]
	v_fma_f64 v[4:5], v[4:5], v[170:171], -v[160:161]
	v_fmac_f64_e32 v[148:149], v[10:11], v[12:13]
	v_fma_f64 v[8:9], v[8:9], v[12:13], -v[14:15]
	v_add_f64_e32 v[6:7], v[144:145], v[142:143]
	v_add_f64_e32 v[142:143], v[146:147], v[152:153]
	s_delay_alu instid0(VALU_DEP_2) | instskip(NEXT) | instid1(VALU_DEP_2)
	v_add_f64_e32 v[4:5], v[6:7], v[4:5]
	v_add_f64_e32 v[2:3], v[142:143], v[2:3]
	s_delay_alu instid0(VALU_DEP_2) | instskip(NEXT) | instid1(VALU_DEP_2)
	;; [unrolled: 3-line block ×3, first 2 shown]
	v_add_f64_e64 v[2:3], v[182:183], -v[4:5]
	v_add_f64_e64 v[4:5], v[184:185], -v[6:7]
	scratch_store_b128 off, v[2:5], off offset:688
	s_wait_xcnt 0x0
	v_cmpx_lt_u32_e32 42, v1
	s_cbranch_execz .LBB125_313
; %bb.312:
	scratch_load_b128 v[2:5], off, s38
	v_mov_b32_e32 v6, 0
	s_delay_alu instid0(VALU_DEP_1)
	v_dual_mov_b32 v7, v6 :: v_dual_mov_b32 v8, v6
	v_mov_b32_e32 v9, v6
	scratch_store_b128 off, v[6:9], off offset:672
	s_wait_loadcnt 0x0
	ds_store_b128 v16, v[2:5]
.LBB125_313:
	s_wait_xcnt 0x0
	s_or_b32 exec_lo, exec_lo, s2
	s_wait_storecnt_dscnt 0x0
	s_barrier_signal -1
	s_barrier_wait -1
	s_clause 0x9
	scratch_load_b128 v[4:7], off, off offset:688
	scratch_load_b128 v[8:11], off, off offset:704
	;; [unrolled: 1-line block ×10, first 2 shown]
	v_mov_b32_e32 v2, 0
	s_mov_b32 s2, exec_lo
	ds_load_b128 v[170:173], v2 offset:1680
	s_clause 0x2
	scratch_load_b128 v[174:177], off, off offset:848
	scratch_load_b128 v[178:181], off, off offset:672
	;; [unrolled: 1-line block ×3, first 2 shown]
	s_wait_loadcnt_dscnt 0xc00
	v_mul_f64_e32 v[190:191], v[172:173], v[6:7]
	v_mul_f64_e32 v[194:195], v[170:171], v[6:7]
	ds_load_b128 v[182:185], v2 offset:1696
	v_fma_f64 v[198:199], v[170:171], v[4:5], -v[190:191]
	v_fmac_f64_e32 v[194:195], v[172:173], v[4:5]
	ds_load_b128 v[4:7], v2 offset:1712
	s_wait_loadcnt_dscnt 0xb01
	v_mul_f64_e32 v[196:197], v[182:183], v[10:11]
	v_mul_f64_e32 v[10:11], v[184:185], v[10:11]
	scratch_load_b128 v[170:173], off, off offset:880
	ds_load_b128 v[190:193], v2 offset:1728
	s_wait_loadcnt_dscnt 0xb01
	v_mul_f64_e32 v[200:201], v[4:5], v[14:15]
	v_mul_f64_e32 v[14:15], v[6:7], v[14:15]
	v_add_f64_e32 v[194:195], 0, v[194:195]
	v_fmac_f64_e32 v[196:197], v[184:185], v[8:9]
	v_fma_f64 v[182:183], v[182:183], v[8:9], -v[10:11]
	v_add_f64_e32 v[184:185], 0, v[198:199]
	scratch_load_b128 v[8:11], off, off offset:896
	v_fmac_f64_e32 v[200:201], v[6:7], v[12:13]
	v_fma_f64 v[202:203], v[4:5], v[12:13], -v[14:15]
	ds_load_b128 v[4:7], v2 offset:1744
	s_wait_loadcnt_dscnt 0xb01
	v_mul_f64_e32 v[198:199], v[190:191], v[144:145]
	v_mul_f64_e32 v[144:145], v[192:193], v[144:145]
	scratch_load_b128 v[12:15], off, off offset:912
	v_add_f64_e32 v[194:195], v[194:195], v[196:197]
	v_add_f64_e32 v[204:205], v[184:185], v[182:183]
	ds_load_b128 v[182:185], v2 offset:1760
	s_wait_loadcnt_dscnt 0xb01
	v_mul_f64_e32 v[196:197], v[4:5], v[148:149]
	v_mul_f64_e32 v[148:149], v[6:7], v[148:149]
	v_fmac_f64_e32 v[198:199], v[192:193], v[142:143]
	v_fma_f64 v[190:191], v[190:191], v[142:143], -v[144:145]
	scratch_load_b128 v[142:145], off, off offset:928
	v_add_f64_e32 v[194:195], v[194:195], v[200:201]
	v_add_f64_e32 v[192:193], v[204:205], v[202:203]
	v_fmac_f64_e32 v[196:197], v[6:7], v[146:147]
	v_fma_f64 v[202:203], v[4:5], v[146:147], -v[148:149]
	ds_load_b128 v[4:7], v2 offset:1776
	s_wait_loadcnt_dscnt 0xb01
	v_mul_f64_e32 v[200:201], v[182:183], v[152:153]
	v_mul_f64_e32 v[152:153], v[184:185], v[152:153]
	scratch_load_b128 v[146:149], off, off offset:944
	v_add_f64_e32 v[194:195], v[194:195], v[198:199]
	s_wait_loadcnt_dscnt 0xb00
	v_mul_f64_e32 v[198:199], v[4:5], v[156:157]
	v_add_f64_e32 v[204:205], v[192:193], v[190:191]
	v_mul_f64_e32 v[156:157], v[6:7], v[156:157]
	ds_load_b128 v[190:193], v2 offset:1792
	v_fmac_f64_e32 v[200:201], v[184:185], v[150:151]
	v_fma_f64 v[182:183], v[182:183], v[150:151], -v[152:153]
	scratch_load_b128 v[150:153], off, off offset:960
	v_add_f64_e32 v[194:195], v[194:195], v[196:197]
	v_fmac_f64_e32 v[198:199], v[6:7], v[154:155]
	v_add_f64_e32 v[184:185], v[204:205], v[202:203]
	v_fma_f64 v[202:203], v[4:5], v[154:155], -v[156:157]
	ds_load_b128 v[4:7], v2 offset:1808
	s_wait_loadcnt_dscnt 0xb01
	v_mul_f64_e32 v[196:197], v[190:191], v[160:161]
	v_mul_f64_e32 v[160:161], v[192:193], v[160:161]
	scratch_load_b128 v[154:157], off, off offset:976
	v_add_f64_e32 v[194:195], v[194:195], v[200:201]
	s_wait_loadcnt_dscnt 0xb00
	v_mul_f64_e32 v[200:201], v[4:5], v[164:165]
	v_add_f64_e32 v[204:205], v[184:185], v[182:183]
	v_mul_f64_e32 v[164:165], v[6:7], v[164:165]
	ds_load_b128 v[182:185], v2 offset:1824
	v_fmac_f64_e32 v[196:197], v[192:193], v[158:159]
	v_fma_f64 v[158:159], v[190:191], v[158:159], -v[160:161]
	s_wait_loadcnt_dscnt 0xa00
	v_mul_f64_e32 v[192:193], v[182:183], v[168:169]
	v_mul_f64_e32 v[168:169], v[184:185], v[168:169]
	v_add_f64_e32 v[190:191], v[194:195], v[198:199]
	v_fmac_f64_e32 v[200:201], v[6:7], v[162:163]
	v_add_f64_e32 v[160:161], v[204:205], v[202:203]
	v_fma_f64 v[162:163], v[4:5], v[162:163], -v[164:165]
	v_fmac_f64_e32 v[192:193], v[184:185], v[166:167]
	v_fma_f64 v[166:167], v[182:183], v[166:167], -v[168:169]
	v_add_f64_e32 v[190:191], v[190:191], v[196:197]
	v_add_f64_e32 v[164:165], v[160:161], v[158:159]
	ds_load_b128 v[4:7], v2 offset:1840
	ds_load_b128 v[158:161], v2 offset:1856
	s_wait_loadcnt_dscnt 0x901
	v_mul_f64_e32 v[194:195], v[4:5], v[176:177]
	v_mul_f64_e32 v[176:177], v[6:7], v[176:177]
	s_wait_loadcnt_dscnt 0x700
	v_mul_f64_e32 v[168:169], v[158:159], v[188:189]
	v_mul_f64_e32 v[182:183], v[160:161], v[188:189]
	v_add_f64_e32 v[162:163], v[164:165], v[162:163]
	v_add_f64_e32 v[164:165], v[190:191], v[200:201]
	v_fmac_f64_e32 v[194:195], v[6:7], v[174:175]
	v_fma_f64 v[174:175], v[4:5], v[174:175], -v[176:177]
	v_fmac_f64_e32 v[168:169], v[160:161], v[186:187]
	v_fma_f64 v[158:159], v[158:159], v[186:187], -v[182:183]
	v_add_f64_e32 v[166:167], v[162:163], v[166:167]
	v_add_f64_e32 v[176:177], v[164:165], v[192:193]
	ds_load_b128 v[4:7], v2 offset:1872
	ds_load_b128 v[162:165], v2 offset:1888
	s_wait_loadcnt_dscnt 0x601
	v_mul_f64_e32 v[184:185], v[4:5], v[172:173]
	v_mul_f64_e32 v[172:173], v[6:7], v[172:173]
	v_add_f64_e32 v[160:161], v[166:167], v[174:175]
	v_add_f64_e32 v[166:167], v[176:177], v[194:195]
	s_wait_loadcnt_dscnt 0x500
	v_mul_f64_e32 v[174:175], v[162:163], v[10:11]
	v_mul_f64_e32 v[10:11], v[164:165], v[10:11]
	v_fmac_f64_e32 v[184:185], v[6:7], v[170:171]
	v_fma_f64 v[170:171], v[4:5], v[170:171], -v[172:173]
	v_add_f64_e32 v[172:173], v[160:161], v[158:159]
	v_add_f64_e32 v[166:167], v[166:167], v[168:169]
	ds_load_b128 v[4:7], v2 offset:1904
	ds_load_b128 v[158:161], v2 offset:1920
	v_fmac_f64_e32 v[174:175], v[164:165], v[8:9]
	v_fma_f64 v[8:9], v[162:163], v[8:9], -v[10:11]
	s_wait_loadcnt_dscnt 0x401
	v_mul_f64_e32 v[168:169], v[4:5], v[14:15]
	v_mul_f64_e32 v[14:15], v[6:7], v[14:15]
	s_wait_loadcnt_dscnt 0x300
	v_mul_f64_e32 v[164:165], v[158:159], v[144:145]
	v_mul_f64_e32 v[144:145], v[160:161], v[144:145]
	v_add_f64_e32 v[10:11], v[172:173], v[170:171]
	v_add_f64_e32 v[162:163], v[166:167], v[184:185]
	v_fmac_f64_e32 v[168:169], v[6:7], v[12:13]
	v_fma_f64 v[12:13], v[4:5], v[12:13], -v[14:15]
	v_fmac_f64_e32 v[164:165], v[160:161], v[142:143]
	v_fma_f64 v[142:143], v[158:159], v[142:143], -v[144:145]
	v_add_f64_e32 v[14:15], v[10:11], v[8:9]
	v_add_f64_e32 v[162:163], v[162:163], v[174:175]
	ds_load_b128 v[4:7], v2 offset:1936
	ds_load_b128 v[8:11], v2 offset:1952
	s_wait_loadcnt_dscnt 0x201
	v_mul_f64_e32 v[166:167], v[4:5], v[148:149]
	v_mul_f64_e32 v[148:149], v[6:7], v[148:149]
	s_wait_loadcnt_dscnt 0x100
	v_mul_f64_e32 v[144:145], v[8:9], v[152:153]
	v_mul_f64_e32 v[152:153], v[10:11], v[152:153]
	v_add_f64_e32 v[12:13], v[14:15], v[12:13]
	v_add_f64_e32 v[14:15], v[162:163], v[168:169]
	v_fmac_f64_e32 v[166:167], v[6:7], v[146:147]
	v_fma_f64 v[146:147], v[4:5], v[146:147], -v[148:149]
	ds_load_b128 v[4:7], v2 offset:1968
	v_fmac_f64_e32 v[144:145], v[10:11], v[150:151]
	v_fma_f64 v[8:9], v[8:9], v[150:151], -v[152:153]
	v_add_f64_e32 v[12:13], v[12:13], v[142:143]
	v_add_f64_e32 v[14:15], v[14:15], v[164:165]
	s_wait_loadcnt_dscnt 0x0
	v_mul_f64_e32 v[142:143], v[4:5], v[156:157]
	v_mul_f64_e32 v[148:149], v[6:7], v[156:157]
	s_delay_alu instid0(VALU_DEP_4) | instskip(NEXT) | instid1(VALU_DEP_4)
	v_add_f64_e32 v[10:11], v[12:13], v[146:147]
	v_add_f64_e32 v[12:13], v[14:15], v[166:167]
	s_delay_alu instid0(VALU_DEP_4) | instskip(NEXT) | instid1(VALU_DEP_4)
	v_fmac_f64_e32 v[142:143], v[6:7], v[154:155]
	v_fma_f64 v[4:5], v[4:5], v[154:155], -v[148:149]
	s_delay_alu instid0(VALU_DEP_4) | instskip(NEXT) | instid1(VALU_DEP_4)
	v_add_f64_e32 v[6:7], v[10:11], v[8:9]
	v_add_f64_e32 v[8:9], v[12:13], v[144:145]
	s_delay_alu instid0(VALU_DEP_2) | instskip(NEXT) | instid1(VALU_DEP_2)
	v_add_f64_e32 v[4:5], v[6:7], v[4:5]
	v_add_f64_e32 v[6:7], v[8:9], v[142:143]
	s_delay_alu instid0(VALU_DEP_2) | instskip(NEXT) | instid1(VALU_DEP_2)
	v_add_f64_e64 v[4:5], v[178:179], -v[4:5]
	v_add_f64_e64 v[6:7], v[180:181], -v[6:7]
	scratch_store_b128 off, v[4:7], off offset:672
	s_wait_xcnt 0x0
	v_cmpx_lt_u32_e32 41, v1
	s_cbranch_execz .LBB125_315
; %bb.314:
	scratch_load_b128 v[6:9], off, s39
	v_dual_mov_b32 v3, v2 :: v_dual_mov_b32 v4, v2
	v_mov_b32_e32 v5, v2
	scratch_store_b128 off, v[2:5], off offset:656
	s_wait_loadcnt 0x0
	ds_store_b128 v16, v[6:9]
.LBB125_315:
	s_wait_xcnt 0x0
	s_or_b32 exec_lo, exec_lo, s2
	s_wait_storecnt_dscnt 0x0
	s_barrier_signal -1
	s_barrier_wait -1
	s_clause 0x9
	scratch_load_b128 v[4:7], off, off offset:672
	scratch_load_b128 v[8:11], off, off offset:688
	;; [unrolled: 1-line block ×10, first 2 shown]
	ds_load_b128 v[170:173], v2 offset:1664
	ds_load_b128 v[178:181], v2 offset:1680
	s_clause 0x2
	scratch_load_b128 v[174:177], off, off offset:832
	scratch_load_b128 v[182:185], off, off offset:656
	;; [unrolled: 1-line block ×3, first 2 shown]
	s_mov_b32 s2, exec_lo
	s_wait_loadcnt_dscnt 0xc01
	v_mul_f64_e32 v[190:191], v[172:173], v[6:7]
	v_mul_f64_e32 v[194:195], v[170:171], v[6:7]
	s_wait_loadcnt_dscnt 0xb00
	v_mul_f64_e32 v[196:197], v[178:179], v[10:11]
	v_mul_f64_e32 v[10:11], v[180:181], v[10:11]
	s_delay_alu instid0(VALU_DEP_4) | instskip(NEXT) | instid1(VALU_DEP_4)
	v_fma_f64 v[198:199], v[170:171], v[4:5], -v[190:191]
	v_fmac_f64_e32 v[194:195], v[172:173], v[4:5]
	ds_load_b128 v[4:7], v2 offset:1696
	ds_load_b128 v[170:173], v2 offset:1712
	scratch_load_b128 v[190:193], off, off offset:864
	v_fmac_f64_e32 v[196:197], v[180:181], v[8:9]
	v_fma_f64 v[178:179], v[178:179], v[8:9], -v[10:11]
	scratch_load_b128 v[8:11], off, off offset:880
	s_wait_loadcnt_dscnt 0xc01
	v_mul_f64_e32 v[200:201], v[4:5], v[14:15]
	v_mul_f64_e32 v[14:15], v[6:7], v[14:15]
	v_add_f64_e32 v[180:181], 0, v[198:199]
	v_add_f64_e32 v[194:195], 0, v[194:195]
	s_wait_loadcnt_dscnt 0xb00
	v_mul_f64_e32 v[198:199], v[170:171], v[144:145]
	v_mul_f64_e32 v[144:145], v[172:173], v[144:145]
	v_fmac_f64_e32 v[200:201], v[6:7], v[12:13]
	v_fma_f64 v[202:203], v[4:5], v[12:13], -v[14:15]
	ds_load_b128 v[4:7], v2 offset:1728
	ds_load_b128 v[12:15], v2 offset:1744
	v_add_f64_e32 v[204:205], v[180:181], v[178:179]
	v_add_f64_e32 v[194:195], v[194:195], v[196:197]
	scratch_load_b128 v[178:181], off, off offset:896
	v_fmac_f64_e32 v[198:199], v[172:173], v[142:143]
	v_fma_f64 v[170:171], v[170:171], v[142:143], -v[144:145]
	scratch_load_b128 v[142:145], off, off offset:912
	s_wait_loadcnt_dscnt 0xc01
	v_mul_f64_e32 v[196:197], v[4:5], v[148:149]
	v_mul_f64_e32 v[148:149], v[6:7], v[148:149]
	v_add_f64_e32 v[172:173], v[204:205], v[202:203]
	v_add_f64_e32 v[194:195], v[194:195], v[200:201]
	s_wait_loadcnt_dscnt 0xb00
	v_mul_f64_e32 v[200:201], v[12:13], v[152:153]
	v_mul_f64_e32 v[152:153], v[14:15], v[152:153]
	v_fmac_f64_e32 v[196:197], v[6:7], v[146:147]
	v_fma_f64 v[202:203], v[4:5], v[146:147], -v[148:149]
	ds_load_b128 v[4:7], v2 offset:1760
	ds_load_b128 v[146:149], v2 offset:1776
	v_add_f64_e32 v[204:205], v[172:173], v[170:171]
	v_add_f64_e32 v[194:195], v[194:195], v[198:199]
	scratch_load_b128 v[170:173], off, off offset:928
	s_wait_loadcnt_dscnt 0xb01
	v_mul_f64_e32 v[198:199], v[4:5], v[156:157]
	v_mul_f64_e32 v[156:157], v[6:7], v[156:157]
	v_fmac_f64_e32 v[200:201], v[14:15], v[150:151]
	v_fma_f64 v[150:151], v[12:13], v[150:151], -v[152:153]
	scratch_load_b128 v[12:15], off, off offset:944
	v_add_f64_e32 v[152:153], v[204:205], v[202:203]
	v_add_f64_e32 v[194:195], v[194:195], v[196:197]
	s_wait_loadcnt_dscnt 0xb00
	v_mul_f64_e32 v[196:197], v[146:147], v[160:161]
	v_mul_f64_e32 v[160:161], v[148:149], v[160:161]
	v_fmac_f64_e32 v[198:199], v[6:7], v[154:155]
	v_fma_f64 v[202:203], v[4:5], v[154:155], -v[156:157]
	v_add_f64_e32 v[204:205], v[152:153], v[150:151]
	v_add_f64_e32 v[194:195], v[194:195], v[200:201]
	ds_load_b128 v[4:7], v2 offset:1792
	ds_load_b128 v[150:153], v2 offset:1808
	scratch_load_b128 v[154:157], off, off offset:960
	v_fmac_f64_e32 v[196:197], v[148:149], v[158:159]
	v_fma_f64 v[158:159], v[146:147], v[158:159], -v[160:161]
	scratch_load_b128 v[146:149], off, off offset:976
	s_wait_loadcnt_dscnt 0xc01
	v_mul_f64_e32 v[200:201], v[4:5], v[164:165]
	v_mul_f64_e32 v[164:165], v[6:7], v[164:165]
	v_add_f64_e32 v[160:161], v[204:205], v[202:203]
	v_add_f64_e32 v[194:195], v[194:195], v[198:199]
	s_wait_loadcnt_dscnt 0xb00
	v_mul_f64_e32 v[198:199], v[150:151], v[168:169]
	v_mul_f64_e32 v[168:169], v[152:153], v[168:169]
	v_fmac_f64_e32 v[200:201], v[6:7], v[162:163]
	v_fma_f64 v[162:163], v[4:5], v[162:163], -v[164:165]
	v_add_f64_e32 v[164:165], v[160:161], v[158:159]
	v_add_f64_e32 v[194:195], v[194:195], v[196:197]
	ds_load_b128 v[4:7], v2 offset:1824
	ds_load_b128 v[158:161], v2 offset:1840
	v_fmac_f64_e32 v[198:199], v[152:153], v[166:167]
	v_fma_f64 v[150:151], v[150:151], v[166:167], -v[168:169]
	s_wait_loadcnt_dscnt 0xa01
	v_mul_f64_e32 v[196:197], v[4:5], v[176:177]
	v_mul_f64_e32 v[176:177], v[6:7], v[176:177]
	s_wait_loadcnt_dscnt 0x800
	v_mul_f64_e32 v[166:167], v[160:161], v[188:189]
	v_add_f64_e32 v[152:153], v[164:165], v[162:163]
	v_add_f64_e32 v[162:163], v[194:195], v[200:201]
	v_mul_f64_e32 v[164:165], v[158:159], v[188:189]
	v_fmac_f64_e32 v[196:197], v[6:7], v[174:175]
	v_fma_f64 v[168:169], v[4:5], v[174:175], -v[176:177]
	v_fma_f64 v[158:159], v[158:159], v[186:187], -v[166:167]
	v_add_f64_e32 v[174:175], v[152:153], v[150:151]
	v_add_f64_e32 v[162:163], v[162:163], v[198:199]
	ds_load_b128 v[4:7], v2 offset:1856
	ds_load_b128 v[150:153], v2 offset:1872
	v_fmac_f64_e32 v[164:165], v[160:161], v[186:187]
	s_wait_loadcnt_dscnt 0x701
	v_mul_f64_e32 v[176:177], v[4:5], v[192:193]
	v_mul_f64_e32 v[188:189], v[6:7], v[192:193]
	s_wait_loadcnt_dscnt 0x600
	v_mul_f64_e32 v[166:167], v[150:151], v[10:11]
	v_mul_f64_e32 v[10:11], v[152:153], v[10:11]
	v_add_f64_e32 v[160:161], v[174:175], v[168:169]
	v_add_f64_e32 v[162:163], v[162:163], v[196:197]
	v_fmac_f64_e32 v[176:177], v[6:7], v[190:191]
	v_fma_f64 v[168:169], v[4:5], v[190:191], -v[188:189]
	v_fmac_f64_e32 v[166:167], v[152:153], v[8:9]
	v_fma_f64 v[8:9], v[150:151], v[8:9], -v[10:11]
	v_add_f64_e32 v[174:175], v[160:161], v[158:159]
	v_add_f64_e32 v[162:163], v[162:163], v[164:165]
	ds_load_b128 v[4:7], v2 offset:1888
	ds_load_b128 v[158:161], v2 offset:1904
	s_wait_loadcnt_dscnt 0x501
	v_mul_f64_e32 v[164:165], v[4:5], v[180:181]
	v_mul_f64_e32 v[180:181], v[6:7], v[180:181]
	s_wait_loadcnt_dscnt 0x400
	v_mul_f64_e32 v[152:153], v[158:159], v[144:145]
	v_mul_f64_e32 v[144:145], v[160:161], v[144:145]
	v_add_f64_e32 v[10:11], v[174:175], v[168:169]
	v_add_f64_e32 v[150:151], v[162:163], v[176:177]
	v_fmac_f64_e32 v[164:165], v[6:7], v[178:179]
	v_fma_f64 v[162:163], v[4:5], v[178:179], -v[180:181]
	v_fmac_f64_e32 v[152:153], v[160:161], v[142:143]
	v_fma_f64 v[142:143], v[158:159], v[142:143], -v[144:145]
	v_add_f64_e32 v[168:169], v[10:11], v[8:9]
	v_add_f64_e32 v[150:151], v[150:151], v[166:167]
	ds_load_b128 v[4:7], v2 offset:1920
	ds_load_b128 v[8:11], v2 offset:1936
	;; [unrolled: 16-line block ×3, first 2 shown]
	s_wait_loadcnt_dscnt 0x101
	v_mul_f64_e32 v[2:3], v[4:5], v[156:157]
	v_mul_f64_e32 v[152:153], v[6:7], v[156:157]
	s_wait_loadcnt_dscnt 0x0
	v_mul_f64_e32 v[14:15], v[142:143], v[148:149]
	v_mul_f64_e32 v[148:149], v[144:145], v[148:149]
	v_add_f64_e32 v[10:11], v[162:163], v[160:161]
	v_add_f64_e32 v[12:13], v[150:151], v[166:167]
	v_fmac_f64_e32 v[2:3], v[6:7], v[154:155]
	v_fma_f64 v[4:5], v[4:5], v[154:155], -v[152:153]
	v_fmac_f64_e32 v[14:15], v[144:145], v[146:147]
	v_add_f64_e32 v[6:7], v[10:11], v[8:9]
	v_add_f64_e32 v[8:9], v[12:13], v[158:159]
	v_fma_f64 v[10:11], v[142:143], v[146:147], -v[148:149]
	s_delay_alu instid0(VALU_DEP_3) | instskip(NEXT) | instid1(VALU_DEP_3)
	v_add_f64_e32 v[4:5], v[6:7], v[4:5]
	v_add_f64_e32 v[2:3], v[8:9], v[2:3]
	s_delay_alu instid0(VALU_DEP_2) | instskip(NEXT) | instid1(VALU_DEP_2)
	v_add_f64_e32 v[4:5], v[4:5], v[10:11]
	v_add_f64_e32 v[6:7], v[2:3], v[14:15]
	s_delay_alu instid0(VALU_DEP_2) | instskip(NEXT) | instid1(VALU_DEP_2)
	v_add_f64_e64 v[2:3], v[182:183], -v[4:5]
	v_add_f64_e64 v[4:5], v[184:185], -v[6:7]
	scratch_store_b128 off, v[2:5], off offset:656
	s_wait_xcnt 0x0
	v_cmpx_lt_u32_e32 40, v1
	s_cbranch_execz .LBB125_317
; %bb.316:
	scratch_load_b128 v[2:5], off, s40
	v_mov_b32_e32 v6, 0
	s_delay_alu instid0(VALU_DEP_1)
	v_dual_mov_b32 v7, v6 :: v_dual_mov_b32 v8, v6
	v_mov_b32_e32 v9, v6
	scratch_store_b128 off, v[6:9], off offset:640
	s_wait_loadcnt 0x0
	ds_store_b128 v16, v[2:5]
.LBB125_317:
	s_wait_xcnt 0x0
	s_or_b32 exec_lo, exec_lo, s2
	s_wait_storecnt_dscnt 0x0
	s_barrier_signal -1
	s_barrier_wait -1
	s_clause 0x9
	scratch_load_b128 v[4:7], off, off offset:656
	scratch_load_b128 v[8:11], off, off offset:672
	;; [unrolled: 1-line block ×10, first 2 shown]
	v_mov_b32_e32 v2, 0
	s_mov_b32 s2, exec_lo
	ds_load_b128 v[170:173], v2 offset:1648
	s_clause 0x2
	scratch_load_b128 v[174:177], off, off offset:816
	scratch_load_b128 v[178:181], off, off offset:640
	;; [unrolled: 1-line block ×3, first 2 shown]
	s_wait_loadcnt_dscnt 0xc00
	v_mul_f64_e32 v[190:191], v[172:173], v[6:7]
	v_mul_f64_e32 v[194:195], v[170:171], v[6:7]
	ds_load_b128 v[182:185], v2 offset:1664
	v_fma_f64 v[198:199], v[170:171], v[4:5], -v[190:191]
	v_fmac_f64_e32 v[194:195], v[172:173], v[4:5]
	ds_load_b128 v[4:7], v2 offset:1680
	s_wait_loadcnt_dscnt 0xb01
	v_mul_f64_e32 v[196:197], v[182:183], v[10:11]
	v_mul_f64_e32 v[10:11], v[184:185], v[10:11]
	scratch_load_b128 v[170:173], off, off offset:848
	ds_load_b128 v[190:193], v2 offset:1696
	s_wait_loadcnt_dscnt 0xb01
	v_mul_f64_e32 v[200:201], v[4:5], v[14:15]
	v_mul_f64_e32 v[14:15], v[6:7], v[14:15]
	v_add_f64_e32 v[194:195], 0, v[194:195]
	v_fmac_f64_e32 v[196:197], v[184:185], v[8:9]
	v_fma_f64 v[182:183], v[182:183], v[8:9], -v[10:11]
	v_add_f64_e32 v[184:185], 0, v[198:199]
	scratch_load_b128 v[8:11], off, off offset:864
	v_fmac_f64_e32 v[200:201], v[6:7], v[12:13]
	v_fma_f64 v[202:203], v[4:5], v[12:13], -v[14:15]
	ds_load_b128 v[4:7], v2 offset:1712
	s_wait_loadcnt_dscnt 0xb01
	v_mul_f64_e32 v[198:199], v[190:191], v[144:145]
	v_mul_f64_e32 v[144:145], v[192:193], v[144:145]
	scratch_load_b128 v[12:15], off, off offset:880
	v_add_f64_e32 v[194:195], v[194:195], v[196:197]
	v_add_f64_e32 v[204:205], v[184:185], v[182:183]
	ds_load_b128 v[182:185], v2 offset:1728
	s_wait_loadcnt_dscnt 0xb01
	v_mul_f64_e32 v[196:197], v[4:5], v[148:149]
	v_mul_f64_e32 v[148:149], v[6:7], v[148:149]
	v_fmac_f64_e32 v[198:199], v[192:193], v[142:143]
	v_fma_f64 v[190:191], v[190:191], v[142:143], -v[144:145]
	scratch_load_b128 v[142:145], off, off offset:896
	v_add_f64_e32 v[194:195], v[194:195], v[200:201]
	v_add_f64_e32 v[192:193], v[204:205], v[202:203]
	v_fmac_f64_e32 v[196:197], v[6:7], v[146:147]
	v_fma_f64 v[202:203], v[4:5], v[146:147], -v[148:149]
	ds_load_b128 v[4:7], v2 offset:1744
	s_wait_loadcnt_dscnt 0xb01
	v_mul_f64_e32 v[200:201], v[182:183], v[152:153]
	v_mul_f64_e32 v[152:153], v[184:185], v[152:153]
	scratch_load_b128 v[146:149], off, off offset:912
	v_add_f64_e32 v[194:195], v[194:195], v[198:199]
	s_wait_loadcnt_dscnt 0xb00
	v_mul_f64_e32 v[198:199], v[4:5], v[156:157]
	v_add_f64_e32 v[204:205], v[192:193], v[190:191]
	v_mul_f64_e32 v[156:157], v[6:7], v[156:157]
	ds_load_b128 v[190:193], v2 offset:1760
	v_fmac_f64_e32 v[200:201], v[184:185], v[150:151]
	v_fma_f64 v[182:183], v[182:183], v[150:151], -v[152:153]
	scratch_load_b128 v[150:153], off, off offset:928
	v_add_f64_e32 v[194:195], v[194:195], v[196:197]
	v_fmac_f64_e32 v[198:199], v[6:7], v[154:155]
	v_add_f64_e32 v[184:185], v[204:205], v[202:203]
	v_fma_f64 v[202:203], v[4:5], v[154:155], -v[156:157]
	ds_load_b128 v[4:7], v2 offset:1776
	s_wait_loadcnt_dscnt 0xb01
	v_mul_f64_e32 v[196:197], v[190:191], v[160:161]
	v_mul_f64_e32 v[160:161], v[192:193], v[160:161]
	scratch_load_b128 v[154:157], off, off offset:944
	v_add_f64_e32 v[194:195], v[194:195], v[200:201]
	s_wait_loadcnt_dscnt 0xb00
	v_mul_f64_e32 v[200:201], v[4:5], v[164:165]
	v_add_f64_e32 v[204:205], v[184:185], v[182:183]
	v_mul_f64_e32 v[164:165], v[6:7], v[164:165]
	ds_load_b128 v[182:185], v2 offset:1792
	v_fmac_f64_e32 v[196:197], v[192:193], v[158:159]
	v_fma_f64 v[190:191], v[190:191], v[158:159], -v[160:161]
	scratch_load_b128 v[158:161], off, off offset:960
	v_add_f64_e32 v[194:195], v[194:195], v[198:199]
	v_fmac_f64_e32 v[200:201], v[6:7], v[162:163]
	v_add_f64_e32 v[192:193], v[204:205], v[202:203]
	v_fma_f64 v[202:203], v[4:5], v[162:163], -v[164:165]
	ds_load_b128 v[4:7], v2 offset:1808
	s_wait_loadcnt_dscnt 0xb01
	v_mul_f64_e32 v[198:199], v[182:183], v[168:169]
	v_mul_f64_e32 v[168:169], v[184:185], v[168:169]
	scratch_load_b128 v[162:165], off, off offset:976
	v_add_f64_e32 v[194:195], v[194:195], v[196:197]
	s_wait_loadcnt_dscnt 0xb00
	v_mul_f64_e32 v[196:197], v[4:5], v[176:177]
	v_add_f64_e32 v[204:205], v[192:193], v[190:191]
	v_mul_f64_e32 v[176:177], v[6:7], v[176:177]
	ds_load_b128 v[190:193], v2 offset:1824
	v_fmac_f64_e32 v[198:199], v[184:185], v[166:167]
	v_fma_f64 v[166:167], v[182:183], v[166:167], -v[168:169]
	s_wait_loadcnt_dscnt 0x900
	v_mul_f64_e32 v[184:185], v[190:191], v[188:189]
	v_mul_f64_e32 v[188:189], v[192:193], v[188:189]
	v_add_f64_e32 v[182:183], v[194:195], v[200:201]
	v_fmac_f64_e32 v[196:197], v[6:7], v[174:175]
	v_add_f64_e32 v[168:169], v[204:205], v[202:203]
	v_fma_f64 v[174:175], v[4:5], v[174:175], -v[176:177]
	v_fmac_f64_e32 v[184:185], v[192:193], v[186:187]
	v_fma_f64 v[186:187], v[190:191], v[186:187], -v[188:189]
	v_add_f64_e32 v[182:183], v[182:183], v[198:199]
	v_add_f64_e32 v[176:177], v[168:169], v[166:167]
	ds_load_b128 v[4:7], v2 offset:1840
	ds_load_b128 v[166:169], v2 offset:1856
	s_wait_loadcnt_dscnt 0x801
	v_mul_f64_e32 v[194:195], v[4:5], v[172:173]
	v_mul_f64_e32 v[172:173], v[6:7], v[172:173]
	v_add_f64_e32 v[174:175], v[176:177], v[174:175]
	v_add_f64_e32 v[176:177], v[182:183], v[196:197]
	s_wait_loadcnt_dscnt 0x700
	v_mul_f64_e32 v[182:183], v[166:167], v[10:11]
	v_mul_f64_e32 v[10:11], v[168:169], v[10:11]
	v_fmac_f64_e32 v[194:195], v[6:7], v[170:171]
	v_fma_f64 v[188:189], v[4:5], v[170:171], -v[172:173]
	ds_load_b128 v[4:7], v2 offset:1872
	ds_load_b128 v[170:173], v2 offset:1888
	v_add_f64_e32 v[174:175], v[174:175], v[186:187]
	v_add_f64_e32 v[176:177], v[176:177], v[184:185]
	v_fmac_f64_e32 v[182:183], v[168:169], v[8:9]
	v_fma_f64 v[8:9], v[166:167], v[8:9], -v[10:11]
	s_wait_loadcnt_dscnt 0x601
	v_mul_f64_e32 v[184:185], v[4:5], v[14:15]
	v_mul_f64_e32 v[14:15], v[6:7], v[14:15]
	s_wait_loadcnt_dscnt 0x500
	v_mul_f64_e32 v[168:169], v[170:171], v[144:145]
	v_mul_f64_e32 v[144:145], v[172:173], v[144:145]
	v_add_f64_e32 v[10:11], v[174:175], v[188:189]
	v_add_f64_e32 v[166:167], v[176:177], v[194:195]
	v_fmac_f64_e32 v[184:185], v[6:7], v[12:13]
	v_fma_f64 v[12:13], v[4:5], v[12:13], -v[14:15]
	v_fmac_f64_e32 v[168:169], v[172:173], v[142:143]
	v_fma_f64 v[142:143], v[170:171], v[142:143], -v[144:145]
	v_add_f64_e32 v[14:15], v[10:11], v[8:9]
	v_add_f64_e32 v[166:167], v[166:167], v[182:183]
	ds_load_b128 v[4:7], v2 offset:1904
	ds_load_b128 v[8:11], v2 offset:1920
	s_wait_loadcnt_dscnt 0x401
	v_mul_f64_e32 v[174:175], v[4:5], v[148:149]
	v_mul_f64_e32 v[148:149], v[6:7], v[148:149]
	s_wait_loadcnt_dscnt 0x300
	v_mul_f64_e32 v[144:145], v[8:9], v[152:153]
	v_mul_f64_e32 v[152:153], v[10:11], v[152:153]
	v_add_f64_e32 v[12:13], v[14:15], v[12:13]
	v_add_f64_e32 v[14:15], v[166:167], v[184:185]
	v_fmac_f64_e32 v[174:175], v[6:7], v[146:147]
	v_fma_f64 v[146:147], v[4:5], v[146:147], -v[148:149]
	v_fmac_f64_e32 v[144:145], v[10:11], v[150:151]
	v_fma_f64 v[8:9], v[8:9], v[150:151], -v[152:153]
	v_add_f64_e32 v[142:143], v[12:13], v[142:143]
	v_add_f64_e32 v[148:149], v[14:15], v[168:169]
	ds_load_b128 v[4:7], v2 offset:1936
	ds_load_b128 v[12:15], v2 offset:1952
	s_wait_loadcnt_dscnt 0x201
	v_mul_f64_e32 v[166:167], v[4:5], v[156:157]
	v_mul_f64_e32 v[156:157], v[6:7], v[156:157]
	v_add_f64_e32 v[10:11], v[142:143], v[146:147]
	v_add_f64_e32 v[142:143], v[148:149], v[174:175]
	s_wait_loadcnt_dscnt 0x100
	v_mul_f64_e32 v[146:147], v[12:13], v[160:161]
	v_mul_f64_e32 v[148:149], v[14:15], v[160:161]
	v_fmac_f64_e32 v[166:167], v[6:7], v[154:155]
	v_fma_f64 v[150:151], v[4:5], v[154:155], -v[156:157]
	ds_load_b128 v[4:7], v2 offset:1968
	v_add_f64_e32 v[8:9], v[10:11], v[8:9]
	v_add_f64_e32 v[10:11], v[142:143], v[144:145]
	v_fmac_f64_e32 v[146:147], v[14:15], v[158:159]
	v_fma_f64 v[12:13], v[12:13], v[158:159], -v[148:149]
	s_wait_loadcnt_dscnt 0x0
	v_mul_f64_e32 v[142:143], v[4:5], v[164:165]
	v_mul_f64_e32 v[144:145], v[6:7], v[164:165]
	v_add_f64_e32 v[8:9], v[8:9], v[150:151]
	v_add_f64_e32 v[10:11], v[10:11], v[166:167]
	s_delay_alu instid0(VALU_DEP_4) | instskip(NEXT) | instid1(VALU_DEP_4)
	v_fmac_f64_e32 v[142:143], v[6:7], v[162:163]
	v_fma_f64 v[4:5], v[4:5], v[162:163], -v[144:145]
	s_delay_alu instid0(VALU_DEP_4) | instskip(NEXT) | instid1(VALU_DEP_4)
	v_add_f64_e32 v[6:7], v[8:9], v[12:13]
	v_add_f64_e32 v[8:9], v[10:11], v[146:147]
	s_delay_alu instid0(VALU_DEP_2) | instskip(NEXT) | instid1(VALU_DEP_2)
	v_add_f64_e32 v[4:5], v[6:7], v[4:5]
	v_add_f64_e32 v[6:7], v[8:9], v[142:143]
	s_delay_alu instid0(VALU_DEP_2) | instskip(NEXT) | instid1(VALU_DEP_2)
	v_add_f64_e64 v[4:5], v[178:179], -v[4:5]
	v_add_f64_e64 v[6:7], v[180:181], -v[6:7]
	scratch_store_b128 off, v[4:7], off offset:640
	s_wait_xcnt 0x0
	v_cmpx_lt_u32_e32 39, v1
	s_cbranch_execz .LBB125_319
; %bb.318:
	scratch_load_b128 v[6:9], off, s41
	v_dual_mov_b32 v3, v2 :: v_dual_mov_b32 v4, v2
	v_mov_b32_e32 v5, v2
	scratch_store_b128 off, v[2:5], off offset:624
	s_wait_loadcnt 0x0
	ds_store_b128 v16, v[6:9]
.LBB125_319:
	s_wait_xcnt 0x0
	s_or_b32 exec_lo, exec_lo, s2
	s_wait_storecnt_dscnt 0x0
	s_barrier_signal -1
	s_barrier_wait -1
	s_clause 0x9
	scratch_load_b128 v[4:7], off, off offset:640
	scratch_load_b128 v[8:11], off, off offset:656
	;; [unrolled: 1-line block ×10, first 2 shown]
	ds_load_b128 v[170:173], v2 offset:1632
	ds_load_b128 v[178:181], v2 offset:1648
	s_clause 0x2
	scratch_load_b128 v[174:177], off, off offset:800
	scratch_load_b128 v[182:185], off, off offset:624
	;; [unrolled: 1-line block ×3, first 2 shown]
	s_mov_b32 s2, exec_lo
	s_wait_loadcnt_dscnt 0xc01
	v_mul_f64_e32 v[190:191], v[172:173], v[6:7]
	v_mul_f64_e32 v[194:195], v[170:171], v[6:7]
	s_wait_loadcnt_dscnt 0xb00
	v_mul_f64_e32 v[196:197], v[178:179], v[10:11]
	v_mul_f64_e32 v[10:11], v[180:181], v[10:11]
	s_delay_alu instid0(VALU_DEP_4) | instskip(NEXT) | instid1(VALU_DEP_4)
	v_fma_f64 v[198:199], v[170:171], v[4:5], -v[190:191]
	v_fmac_f64_e32 v[194:195], v[172:173], v[4:5]
	ds_load_b128 v[4:7], v2 offset:1664
	ds_load_b128 v[170:173], v2 offset:1680
	scratch_load_b128 v[190:193], off, off offset:832
	v_fmac_f64_e32 v[196:197], v[180:181], v[8:9]
	v_fma_f64 v[178:179], v[178:179], v[8:9], -v[10:11]
	scratch_load_b128 v[8:11], off, off offset:848
	s_wait_loadcnt_dscnt 0xc01
	v_mul_f64_e32 v[200:201], v[4:5], v[14:15]
	v_mul_f64_e32 v[14:15], v[6:7], v[14:15]
	v_add_f64_e32 v[180:181], 0, v[198:199]
	v_add_f64_e32 v[194:195], 0, v[194:195]
	s_wait_loadcnt_dscnt 0xb00
	v_mul_f64_e32 v[198:199], v[170:171], v[144:145]
	v_mul_f64_e32 v[144:145], v[172:173], v[144:145]
	v_fmac_f64_e32 v[200:201], v[6:7], v[12:13]
	v_fma_f64 v[202:203], v[4:5], v[12:13], -v[14:15]
	ds_load_b128 v[4:7], v2 offset:1696
	ds_load_b128 v[12:15], v2 offset:1712
	v_add_f64_e32 v[204:205], v[180:181], v[178:179]
	v_add_f64_e32 v[194:195], v[194:195], v[196:197]
	scratch_load_b128 v[178:181], off, off offset:864
	v_fmac_f64_e32 v[198:199], v[172:173], v[142:143]
	v_fma_f64 v[170:171], v[170:171], v[142:143], -v[144:145]
	scratch_load_b128 v[142:145], off, off offset:880
	s_wait_loadcnt_dscnt 0xc01
	v_mul_f64_e32 v[196:197], v[4:5], v[148:149]
	v_mul_f64_e32 v[148:149], v[6:7], v[148:149]
	v_add_f64_e32 v[172:173], v[204:205], v[202:203]
	v_add_f64_e32 v[194:195], v[194:195], v[200:201]
	s_wait_loadcnt_dscnt 0xb00
	v_mul_f64_e32 v[200:201], v[12:13], v[152:153]
	v_mul_f64_e32 v[152:153], v[14:15], v[152:153]
	v_fmac_f64_e32 v[196:197], v[6:7], v[146:147]
	v_fma_f64 v[202:203], v[4:5], v[146:147], -v[148:149]
	ds_load_b128 v[4:7], v2 offset:1728
	ds_load_b128 v[146:149], v2 offset:1744
	v_add_f64_e32 v[204:205], v[172:173], v[170:171]
	v_add_f64_e32 v[194:195], v[194:195], v[198:199]
	scratch_load_b128 v[170:173], off, off offset:896
	s_wait_loadcnt_dscnt 0xb01
	v_mul_f64_e32 v[198:199], v[4:5], v[156:157]
	v_mul_f64_e32 v[156:157], v[6:7], v[156:157]
	v_fmac_f64_e32 v[200:201], v[14:15], v[150:151]
	v_fma_f64 v[150:151], v[12:13], v[150:151], -v[152:153]
	scratch_load_b128 v[12:15], off, off offset:912
	v_add_f64_e32 v[152:153], v[204:205], v[202:203]
	v_add_f64_e32 v[194:195], v[194:195], v[196:197]
	s_wait_loadcnt_dscnt 0xb00
	v_mul_f64_e32 v[196:197], v[146:147], v[160:161]
	v_mul_f64_e32 v[160:161], v[148:149], v[160:161]
	v_fmac_f64_e32 v[198:199], v[6:7], v[154:155]
	v_fma_f64 v[202:203], v[4:5], v[154:155], -v[156:157]
	v_add_f64_e32 v[204:205], v[152:153], v[150:151]
	v_add_f64_e32 v[194:195], v[194:195], v[200:201]
	ds_load_b128 v[4:7], v2 offset:1760
	ds_load_b128 v[150:153], v2 offset:1776
	scratch_load_b128 v[154:157], off, off offset:928
	v_fmac_f64_e32 v[196:197], v[148:149], v[158:159]
	v_fma_f64 v[158:159], v[146:147], v[158:159], -v[160:161]
	scratch_load_b128 v[146:149], off, off offset:944
	s_wait_loadcnt_dscnt 0xc01
	v_mul_f64_e32 v[200:201], v[4:5], v[164:165]
	v_mul_f64_e32 v[164:165], v[6:7], v[164:165]
	v_add_f64_e32 v[160:161], v[204:205], v[202:203]
	v_add_f64_e32 v[194:195], v[194:195], v[198:199]
	s_wait_loadcnt_dscnt 0xb00
	v_mul_f64_e32 v[198:199], v[150:151], v[168:169]
	v_mul_f64_e32 v[168:169], v[152:153], v[168:169]
	v_fmac_f64_e32 v[200:201], v[6:7], v[162:163]
	v_fma_f64 v[202:203], v[4:5], v[162:163], -v[164:165]
	v_add_f64_e32 v[204:205], v[160:161], v[158:159]
	v_add_f64_e32 v[194:195], v[194:195], v[196:197]
	ds_load_b128 v[4:7], v2 offset:1792
	ds_load_b128 v[158:161], v2 offset:1808
	scratch_load_b128 v[162:165], off, off offset:960
	v_fmac_f64_e32 v[198:199], v[152:153], v[166:167]
	v_fma_f64 v[166:167], v[150:151], v[166:167], -v[168:169]
	scratch_load_b128 v[150:153], off, off offset:976
	s_wait_loadcnt_dscnt 0xc01
	v_mul_f64_e32 v[196:197], v[4:5], v[176:177]
	v_mul_f64_e32 v[176:177], v[6:7], v[176:177]
	v_add_f64_e32 v[168:169], v[204:205], v[202:203]
	v_add_f64_e32 v[194:195], v[194:195], v[200:201]
	s_wait_loadcnt_dscnt 0xa00
	v_mul_f64_e32 v[200:201], v[158:159], v[188:189]
	v_mul_f64_e32 v[188:189], v[160:161], v[188:189]
	v_fmac_f64_e32 v[196:197], v[6:7], v[174:175]
	v_fma_f64 v[174:175], v[4:5], v[174:175], -v[176:177]
	v_add_f64_e32 v[176:177], v[168:169], v[166:167]
	v_add_f64_e32 v[194:195], v[194:195], v[198:199]
	ds_load_b128 v[4:7], v2 offset:1824
	ds_load_b128 v[166:169], v2 offset:1840
	v_fmac_f64_e32 v[200:201], v[160:161], v[186:187]
	v_fma_f64 v[158:159], v[158:159], v[186:187], -v[188:189]
	s_wait_loadcnt_dscnt 0x901
	v_mul_f64_e32 v[198:199], v[4:5], v[192:193]
	v_mul_f64_e32 v[192:193], v[6:7], v[192:193]
	v_add_f64_e32 v[160:161], v[176:177], v[174:175]
	v_add_f64_e32 v[174:175], v[194:195], v[196:197]
	s_wait_loadcnt_dscnt 0x800
	v_mul_f64_e32 v[176:177], v[166:167], v[10:11]
	v_mul_f64_e32 v[10:11], v[168:169], v[10:11]
	v_fmac_f64_e32 v[198:199], v[6:7], v[190:191]
	v_fma_f64 v[186:187], v[4:5], v[190:191], -v[192:193]
	v_add_f64_e32 v[188:189], v[160:161], v[158:159]
	v_add_f64_e32 v[174:175], v[174:175], v[200:201]
	ds_load_b128 v[4:7], v2 offset:1856
	ds_load_b128 v[158:161], v2 offset:1872
	v_fmac_f64_e32 v[176:177], v[168:169], v[8:9]
	v_fma_f64 v[8:9], v[166:167], v[8:9], -v[10:11]
	s_wait_loadcnt_dscnt 0x701
	v_mul_f64_e32 v[190:191], v[4:5], v[180:181]
	v_mul_f64_e32 v[180:181], v[6:7], v[180:181]
	s_wait_loadcnt_dscnt 0x600
	v_mul_f64_e32 v[168:169], v[158:159], v[144:145]
	v_mul_f64_e32 v[144:145], v[160:161], v[144:145]
	v_add_f64_e32 v[10:11], v[188:189], v[186:187]
	v_add_f64_e32 v[166:167], v[174:175], v[198:199]
	v_fmac_f64_e32 v[190:191], v[6:7], v[178:179]
	v_fma_f64 v[174:175], v[4:5], v[178:179], -v[180:181]
	v_fmac_f64_e32 v[168:169], v[160:161], v[142:143]
	v_fma_f64 v[142:143], v[158:159], v[142:143], -v[144:145]
	v_add_f64_e32 v[178:179], v[10:11], v[8:9]
	v_add_f64_e32 v[166:167], v[166:167], v[176:177]
	ds_load_b128 v[4:7], v2 offset:1888
	ds_load_b128 v[8:11], v2 offset:1904
	s_wait_loadcnt_dscnt 0x501
	v_mul_f64_e32 v[176:177], v[4:5], v[172:173]
	v_mul_f64_e32 v[172:173], v[6:7], v[172:173]
	s_wait_loadcnt_dscnt 0x400
	v_mul_f64_e32 v[160:161], v[8:9], v[14:15]
	v_mul_f64_e32 v[14:15], v[10:11], v[14:15]
	v_add_f64_e32 v[144:145], v[178:179], v[174:175]
	v_add_f64_e32 v[158:159], v[166:167], v[190:191]
	v_fmac_f64_e32 v[176:177], v[6:7], v[170:171]
	v_fma_f64 v[166:167], v[4:5], v[170:171], -v[172:173]
	v_fmac_f64_e32 v[160:161], v[10:11], v[12:13]
	v_fma_f64 v[8:9], v[8:9], v[12:13], -v[14:15]
	v_add_f64_e32 v[170:171], v[144:145], v[142:143]
	v_add_f64_e32 v[158:159], v[158:159], v[168:169]
	ds_load_b128 v[4:7], v2 offset:1920
	ds_load_b128 v[142:145], v2 offset:1936
	s_wait_loadcnt_dscnt 0x301
	v_mul_f64_e32 v[168:169], v[4:5], v[156:157]
	v_mul_f64_e32 v[156:157], v[6:7], v[156:157]
	s_wait_loadcnt_dscnt 0x200
	v_mul_f64_e32 v[14:15], v[142:143], v[148:149]
	v_mul_f64_e32 v[148:149], v[144:145], v[148:149]
	v_add_f64_e32 v[10:11], v[170:171], v[166:167]
	v_add_f64_e32 v[12:13], v[158:159], v[176:177]
	v_fmac_f64_e32 v[168:169], v[6:7], v[154:155]
	v_fma_f64 v[154:155], v[4:5], v[154:155], -v[156:157]
	v_fmac_f64_e32 v[14:15], v[144:145], v[146:147]
	v_fma_f64 v[142:143], v[142:143], v[146:147], -v[148:149]
	v_add_f64_e32 v[156:157], v[10:11], v[8:9]
	v_add_f64_e32 v[12:13], v[12:13], v[160:161]
	ds_load_b128 v[4:7], v2 offset:1952
	ds_load_b128 v[8:11], v2 offset:1968
	s_wait_loadcnt_dscnt 0x101
	v_mul_f64_e32 v[2:3], v[4:5], v[164:165]
	v_mul_f64_e32 v[158:159], v[6:7], v[164:165]
	s_wait_loadcnt_dscnt 0x0
	v_mul_f64_e32 v[146:147], v[8:9], v[152:153]
	v_mul_f64_e32 v[148:149], v[10:11], v[152:153]
	v_add_f64_e32 v[144:145], v[156:157], v[154:155]
	v_add_f64_e32 v[12:13], v[12:13], v[168:169]
	v_fmac_f64_e32 v[2:3], v[6:7], v[162:163]
	v_fma_f64 v[4:5], v[4:5], v[162:163], -v[158:159]
	v_fmac_f64_e32 v[146:147], v[10:11], v[150:151]
	v_fma_f64 v[8:9], v[8:9], v[150:151], -v[148:149]
	v_add_f64_e32 v[6:7], v[144:145], v[142:143]
	v_add_f64_e32 v[12:13], v[12:13], v[14:15]
	s_delay_alu instid0(VALU_DEP_2) | instskip(NEXT) | instid1(VALU_DEP_2)
	v_add_f64_e32 v[4:5], v[6:7], v[4:5]
	v_add_f64_e32 v[2:3], v[12:13], v[2:3]
	s_delay_alu instid0(VALU_DEP_2) | instskip(NEXT) | instid1(VALU_DEP_2)
	;; [unrolled: 3-line block ×3, first 2 shown]
	v_add_f64_e64 v[2:3], v[182:183], -v[4:5]
	v_add_f64_e64 v[4:5], v[184:185], -v[6:7]
	scratch_store_b128 off, v[2:5], off offset:624
	s_wait_xcnt 0x0
	v_cmpx_lt_u32_e32 38, v1
	s_cbranch_execz .LBB125_321
; %bb.320:
	scratch_load_b128 v[2:5], off, s42
	v_mov_b32_e32 v6, 0
	s_delay_alu instid0(VALU_DEP_1)
	v_dual_mov_b32 v7, v6 :: v_dual_mov_b32 v8, v6
	v_mov_b32_e32 v9, v6
	scratch_store_b128 off, v[6:9], off offset:608
	s_wait_loadcnt 0x0
	ds_store_b128 v16, v[2:5]
.LBB125_321:
	s_wait_xcnt 0x0
	s_or_b32 exec_lo, exec_lo, s2
	s_wait_storecnt_dscnt 0x0
	s_barrier_signal -1
	s_barrier_wait -1
	s_clause 0x9
	scratch_load_b128 v[4:7], off, off offset:624
	scratch_load_b128 v[8:11], off, off offset:640
	;; [unrolled: 1-line block ×10, first 2 shown]
	v_mov_b32_e32 v2, 0
	s_mov_b32 s2, exec_lo
	ds_load_b128 v[170:173], v2 offset:1616
	s_clause 0x2
	scratch_load_b128 v[174:177], off, off offset:784
	scratch_load_b128 v[178:181], off, off offset:608
	;; [unrolled: 1-line block ×3, first 2 shown]
	s_wait_loadcnt_dscnt 0xc00
	v_mul_f64_e32 v[190:191], v[172:173], v[6:7]
	v_mul_f64_e32 v[194:195], v[170:171], v[6:7]
	ds_load_b128 v[182:185], v2 offset:1632
	v_fma_f64 v[198:199], v[170:171], v[4:5], -v[190:191]
	v_fmac_f64_e32 v[194:195], v[172:173], v[4:5]
	ds_load_b128 v[4:7], v2 offset:1648
	s_wait_loadcnt_dscnt 0xb01
	v_mul_f64_e32 v[196:197], v[182:183], v[10:11]
	v_mul_f64_e32 v[10:11], v[184:185], v[10:11]
	scratch_load_b128 v[170:173], off, off offset:816
	ds_load_b128 v[190:193], v2 offset:1664
	s_wait_loadcnt_dscnt 0xb01
	v_mul_f64_e32 v[200:201], v[4:5], v[14:15]
	v_mul_f64_e32 v[14:15], v[6:7], v[14:15]
	v_add_f64_e32 v[194:195], 0, v[194:195]
	v_fmac_f64_e32 v[196:197], v[184:185], v[8:9]
	v_fma_f64 v[182:183], v[182:183], v[8:9], -v[10:11]
	v_add_f64_e32 v[184:185], 0, v[198:199]
	scratch_load_b128 v[8:11], off, off offset:832
	v_fmac_f64_e32 v[200:201], v[6:7], v[12:13]
	v_fma_f64 v[202:203], v[4:5], v[12:13], -v[14:15]
	ds_load_b128 v[4:7], v2 offset:1680
	s_wait_loadcnt_dscnt 0xb01
	v_mul_f64_e32 v[198:199], v[190:191], v[144:145]
	v_mul_f64_e32 v[144:145], v[192:193], v[144:145]
	scratch_load_b128 v[12:15], off, off offset:848
	v_add_f64_e32 v[194:195], v[194:195], v[196:197]
	v_add_f64_e32 v[204:205], v[184:185], v[182:183]
	ds_load_b128 v[182:185], v2 offset:1696
	s_wait_loadcnt_dscnt 0xb01
	v_mul_f64_e32 v[196:197], v[4:5], v[148:149]
	v_mul_f64_e32 v[148:149], v[6:7], v[148:149]
	v_fmac_f64_e32 v[198:199], v[192:193], v[142:143]
	v_fma_f64 v[190:191], v[190:191], v[142:143], -v[144:145]
	scratch_load_b128 v[142:145], off, off offset:864
	v_add_f64_e32 v[194:195], v[194:195], v[200:201]
	v_add_f64_e32 v[192:193], v[204:205], v[202:203]
	v_fmac_f64_e32 v[196:197], v[6:7], v[146:147]
	v_fma_f64 v[202:203], v[4:5], v[146:147], -v[148:149]
	ds_load_b128 v[4:7], v2 offset:1712
	s_wait_loadcnt_dscnt 0xb01
	v_mul_f64_e32 v[200:201], v[182:183], v[152:153]
	v_mul_f64_e32 v[152:153], v[184:185], v[152:153]
	scratch_load_b128 v[146:149], off, off offset:880
	v_add_f64_e32 v[194:195], v[194:195], v[198:199]
	s_wait_loadcnt_dscnt 0xb00
	v_mul_f64_e32 v[198:199], v[4:5], v[156:157]
	v_add_f64_e32 v[204:205], v[192:193], v[190:191]
	v_mul_f64_e32 v[156:157], v[6:7], v[156:157]
	ds_load_b128 v[190:193], v2 offset:1728
	v_fmac_f64_e32 v[200:201], v[184:185], v[150:151]
	v_fma_f64 v[182:183], v[182:183], v[150:151], -v[152:153]
	scratch_load_b128 v[150:153], off, off offset:896
	v_add_f64_e32 v[194:195], v[194:195], v[196:197]
	v_fmac_f64_e32 v[198:199], v[6:7], v[154:155]
	v_add_f64_e32 v[184:185], v[204:205], v[202:203]
	v_fma_f64 v[202:203], v[4:5], v[154:155], -v[156:157]
	ds_load_b128 v[4:7], v2 offset:1744
	s_wait_loadcnt_dscnt 0xb01
	v_mul_f64_e32 v[196:197], v[190:191], v[160:161]
	v_mul_f64_e32 v[160:161], v[192:193], v[160:161]
	scratch_load_b128 v[154:157], off, off offset:912
	v_add_f64_e32 v[194:195], v[194:195], v[200:201]
	s_wait_loadcnt_dscnt 0xb00
	v_mul_f64_e32 v[200:201], v[4:5], v[164:165]
	v_add_f64_e32 v[204:205], v[184:185], v[182:183]
	v_mul_f64_e32 v[164:165], v[6:7], v[164:165]
	ds_load_b128 v[182:185], v2 offset:1760
	v_fmac_f64_e32 v[196:197], v[192:193], v[158:159]
	v_fma_f64 v[190:191], v[190:191], v[158:159], -v[160:161]
	scratch_load_b128 v[158:161], off, off offset:928
	v_add_f64_e32 v[194:195], v[194:195], v[198:199]
	v_fmac_f64_e32 v[200:201], v[6:7], v[162:163]
	v_add_f64_e32 v[192:193], v[204:205], v[202:203]
	;; [unrolled: 18-line block ×3, first 2 shown]
	v_fma_f64 v[202:203], v[4:5], v[174:175], -v[176:177]
	ds_load_b128 v[4:7], v2 offset:1808
	s_wait_loadcnt_dscnt 0xa01
	v_mul_f64_e32 v[200:201], v[190:191], v[188:189]
	v_mul_f64_e32 v[188:189], v[192:193], v[188:189]
	scratch_load_b128 v[174:177], off, off offset:976
	v_add_f64_e32 v[194:195], v[194:195], v[198:199]
	v_add_f64_e32 v[204:205], v[184:185], v[182:183]
	s_wait_loadcnt_dscnt 0xa00
	v_mul_f64_e32 v[198:199], v[4:5], v[172:173]
	v_mul_f64_e32 v[172:173], v[6:7], v[172:173]
	v_fmac_f64_e32 v[200:201], v[192:193], v[186:187]
	v_fma_f64 v[186:187], v[190:191], v[186:187], -v[188:189]
	ds_load_b128 v[182:185], v2 offset:1824
	v_add_f64_e32 v[190:191], v[194:195], v[196:197]
	v_add_f64_e32 v[188:189], v[204:205], v[202:203]
	s_wait_loadcnt_dscnt 0x900
	v_mul_f64_e32 v[192:193], v[182:183], v[10:11]
	v_mul_f64_e32 v[10:11], v[184:185], v[10:11]
	v_fmac_f64_e32 v[198:199], v[6:7], v[170:171]
	v_fma_f64 v[194:195], v[4:5], v[170:171], -v[172:173]
	ds_load_b128 v[4:7], v2 offset:1840
	ds_load_b128 v[170:173], v2 offset:1856
	v_add_f64_e32 v[186:187], v[188:189], v[186:187]
	v_add_f64_e32 v[188:189], v[190:191], v[200:201]
	s_wait_loadcnt_dscnt 0x801
	v_mul_f64_e32 v[190:191], v[4:5], v[14:15]
	v_mul_f64_e32 v[14:15], v[6:7], v[14:15]
	v_fmac_f64_e32 v[192:193], v[184:185], v[8:9]
	v_fma_f64 v[8:9], v[182:183], v[8:9], -v[10:11]
	s_wait_loadcnt_dscnt 0x700
	v_mul_f64_e32 v[184:185], v[170:171], v[144:145]
	v_mul_f64_e32 v[144:145], v[172:173], v[144:145]
	v_add_f64_e32 v[10:11], v[186:187], v[194:195]
	v_add_f64_e32 v[182:183], v[188:189], v[198:199]
	v_fmac_f64_e32 v[190:191], v[6:7], v[12:13]
	v_fma_f64 v[12:13], v[4:5], v[12:13], -v[14:15]
	v_fmac_f64_e32 v[184:185], v[172:173], v[142:143]
	v_fma_f64 v[142:143], v[170:171], v[142:143], -v[144:145]
	v_add_f64_e32 v[14:15], v[10:11], v[8:9]
	v_add_f64_e32 v[182:183], v[182:183], v[192:193]
	ds_load_b128 v[4:7], v2 offset:1872
	ds_load_b128 v[8:11], v2 offset:1888
	s_wait_loadcnt_dscnt 0x601
	v_mul_f64_e32 v[186:187], v[4:5], v[148:149]
	v_mul_f64_e32 v[148:149], v[6:7], v[148:149]
	s_wait_loadcnt_dscnt 0x500
	v_mul_f64_e32 v[144:145], v[8:9], v[152:153]
	v_mul_f64_e32 v[152:153], v[10:11], v[152:153]
	v_add_f64_e32 v[12:13], v[14:15], v[12:13]
	v_add_f64_e32 v[14:15], v[182:183], v[190:191]
	v_fmac_f64_e32 v[186:187], v[6:7], v[146:147]
	v_fma_f64 v[146:147], v[4:5], v[146:147], -v[148:149]
	v_fmac_f64_e32 v[144:145], v[10:11], v[150:151]
	v_fma_f64 v[8:9], v[8:9], v[150:151], -v[152:153]
	v_add_f64_e32 v[142:143], v[12:13], v[142:143]
	v_add_f64_e32 v[148:149], v[14:15], v[184:185]
	ds_load_b128 v[4:7], v2 offset:1904
	ds_load_b128 v[12:15], v2 offset:1920
	s_wait_loadcnt_dscnt 0x401
	v_mul_f64_e32 v[170:171], v[4:5], v[156:157]
	v_mul_f64_e32 v[156:157], v[6:7], v[156:157]
	v_add_f64_e32 v[10:11], v[142:143], v[146:147]
	v_add_f64_e32 v[142:143], v[148:149], v[186:187]
	s_wait_loadcnt_dscnt 0x300
	v_mul_f64_e32 v[146:147], v[12:13], v[160:161]
	v_mul_f64_e32 v[148:149], v[14:15], v[160:161]
	v_fmac_f64_e32 v[170:171], v[6:7], v[154:155]
	v_fma_f64 v[150:151], v[4:5], v[154:155], -v[156:157]
	v_add_f64_e32 v[152:153], v[10:11], v[8:9]
	v_add_f64_e32 v[142:143], v[142:143], v[144:145]
	ds_load_b128 v[4:7], v2 offset:1936
	ds_load_b128 v[8:11], v2 offset:1952
	v_fmac_f64_e32 v[146:147], v[14:15], v[158:159]
	v_fma_f64 v[12:13], v[12:13], v[158:159], -v[148:149]
	s_wait_loadcnt_dscnt 0x201
	v_mul_f64_e32 v[144:145], v[4:5], v[164:165]
	v_mul_f64_e32 v[154:155], v[6:7], v[164:165]
	s_wait_loadcnt_dscnt 0x100
	v_mul_f64_e32 v[148:149], v[8:9], v[168:169]
	v_add_f64_e32 v[14:15], v[152:153], v[150:151]
	v_add_f64_e32 v[142:143], v[142:143], v[170:171]
	v_mul_f64_e32 v[150:151], v[10:11], v[168:169]
	v_fmac_f64_e32 v[144:145], v[6:7], v[162:163]
	v_fma_f64 v[152:153], v[4:5], v[162:163], -v[154:155]
	ds_load_b128 v[4:7], v2 offset:1968
	v_fmac_f64_e32 v[148:149], v[10:11], v[166:167]
	v_add_f64_e32 v[12:13], v[14:15], v[12:13]
	v_add_f64_e32 v[14:15], v[142:143], v[146:147]
	v_fma_f64 v[8:9], v[8:9], v[166:167], -v[150:151]
	s_wait_loadcnt_dscnt 0x0
	v_mul_f64_e32 v[142:143], v[4:5], v[176:177]
	v_mul_f64_e32 v[146:147], v[6:7], v[176:177]
	v_add_f64_e32 v[10:11], v[12:13], v[152:153]
	v_add_f64_e32 v[12:13], v[14:15], v[144:145]
	s_delay_alu instid0(VALU_DEP_4) | instskip(NEXT) | instid1(VALU_DEP_4)
	v_fmac_f64_e32 v[142:143], v[6:7], v[174:175]
	v_fma_f64 v[4:5], v[4:5], v[174:175], -v[146:147]
	s_delay_alu instid0(VALU_DEP_4) | instskip(NEXT) | instid1(VALU_DEP_4)
	v_add_f64_e32 v[6:7], v[10:11], v[8:9]
	v_add_f64_e32 v[8:9], v[12:13], v[148:149]
	s_delay_alu instid0(VALU_DEP_2) | instskip(NEXT) | instid1(VALU_DEP_2)
	v_add_f64_e32 v[4:5], v[6:7], v[4:5]
	v_add_f64_e32 v[6:7], v[8:9], v[142:143]
	s_delay_alu instid0(VALU_DEP_2) | instskip(NEXT) | instid1(VALU_DEP_2)
	v_add_f64_e64 v[4:5], v[178:179], -v[4:5]
	v_add_f64_e64 v[6:7], v[180:181], -v[6:7]
	scratch_store_b128 off, v[4:7], off offset:608
	s_wait_xcnt 0x0
	v_cmpx_lt_u32_e32 37, v1
	s_cbranch_execz .LBB125_323
; %bb.322:
	scratch_load_b128 v[6:9], off, s43
	v_dual_mov_b32 v3, v2 :: v_dual_mov_b32 v4, v2
	v_mov_b32_e32 v5, v2
	scratch_store_b128 off, v[2:5], off offset:592
	s_wait_loadcnt 0x0
	ds_store_b128 v16, v[6:9]
.LBB125_323:
	s_wait_xcnt 0x0
	s_or_b32 exec_lo, exec_lo, s2
	s_wait_storecnt_dscnt 0x0
	s_barrier_signal -1
	s_barrier_wait -1
	s_clause 0x9
	scratch_load_b128 v[4:7], off, off offset:608
	scratch_load_b128 v[8:11], off, off offset:624
	;; [unrolled: 1-line block ×10, first 2 shown]
	ds_load_b128 v[170:173], v2 offset:1600
	ds_load_b128 v[178:181], v2 offset:1616
	s_clause 0x2
	scratch_load_b128 v[174:177], off, off offset:768
	scratch_load_b128 v[182:185], off, off offset:592
	;; [unrolled: 1-line block ×3, first 2 shown]
	s_mov_b32 s2, exec_lo
	s_wait_loadcnt_dscnt 0xc01
	v_mul_f64_e32 v[190:191], v[172:173], v[6:7]
	v_mul_f64_e32 v[194:195], v[170:171], v[6:7]
	s_wait_loadcnt_dscnt 0xb00
	v_mul_f64_e32 v[196:197], v[178:179], v[10:11]
	v_mul_f64_e32 v[10:11], v[180:181], v[10:11]
	s_delay_alu instid0(VALU_DEP_4) | instskip(NEXT) | instid1(VALU_DEP_4)
	v_fma_f64 v[198:199], v[170:171], v[4:5], -v[190:191]
	v_fmac_f64_e32 v[194:195], v[172:173], v[4:5]
	ds_load_b128 v[4:7], v2 offset:1632
	ds_load_b128 v[170:173], v2 offset:1648
	scratch_load_b128 v[190:193], off, off offset:800
	v_fmac_f64_e32 v[196:197], v[180:181], v[8:9]
	v_fma_f64 v[178:179], v[178:179], v[8:9], -v[10:11]
	scratch_load_b128 v[8:11], off, off offset:816
	s_wait_loadcnt_dscnt 0xc01
	v_mul_f64_e32 v[200:201], v[4:5], v[14:15]
	v_mul_f64_e32 v[14:15], v[6:7], v[14:15]
	v_add_f64_e32 v[180:181], 0, v[198:199]
	v_add_f64_e32 v[194:195], 0, v[194:195]
	s_wait_loadcnt_dscnt 0xb00
	v_mul_f64_e32 v[198:199], v[170:171], v[144:145]
	v_mul_f64_e32 v[144:145], v[172:173], v[144:145]
	v_fmac_f64_e32 v[200:201], v[6:7], v[12:13]
	v_fma_f64 v[202:203], v[4:5], v[12:13], -v[14:15]
	ds_load_b128 v[4:7], v2 offset:1664
	ds_load_b128 v[12:15], v2 offset:1680
	v_add_f64_e32 v[204:205], v[180:181], v[178:179]
	v_add_f64_e32 v[194:195], v[194:195], v[196:197]
	scratch_load_b128 v[178:181], off, off offset:832
	v_fmac_f64_e32 v[198:199], v[172:173], v[142:143]
	v_fma_f64 v[170:171], v[170:171], v[142:143], -v[144:145]
	scratch_load_b128 v[142:145], off, off offset:848
	s_wait_loadcnt_dscnt 0xc01
	v_mul_f64_e32 v[196:197], v[4:5], v[148:149]
	v_mul_f64_e32 v[148:149], v[6:7], v[148:149]
	v_add_f64_e32 v[172:173], v[204:205], v[202:203]
	v_add_f64_e32 v[194:195], v[194:195], v[200:201]
	s_wait_loadcnt_dscnt 0xb00
	v_mul_f64_e32 v[200:201], v[12:13], v[152:153]
	v_mul_f64_e32 v[152:153], v[14:15], v[152:153]
	v_fmac_f64_e32 v[196:197], v[6:7], v[146:147]
	v_fma_f64 v[202:203], v[4:5], v[146:147], -v[148:149]
	ds_load_b128 v[4:7], v2 offset:1696
	ds_load_b128 v[146:149], v2 offset:1712
	v_add_f64_e32 v[204:205], v[172:173], v[170:171]
	v_add_f64_e32 v[194:195], v[194:195], v[198:199]
	scratch_load_b128 v[170:173], off, off offset:864
	s_wait_loadcnt_dscnt 0xb01
	v_mul_f64_e32 v[198:199], v[4:5], v[156:157]
	v_mul_f64_e32 v[156:157], v[6:7], v[156:157]
	v_fmac_f64_e32 v[200:201], v[14:15], v[150:151]
	v_fma_f64 v[150:151], v[12:13], v[150:151], -v[152:153]
	scratch_load_b128 v[12:15], off, off offset:880
	v_add_f64_e32 v[152:153], v[204:205], v[202:203]
	v_add_f64_e32 v[194:195], v[194:195], v[196:197]
	s_wait_loadcnt_dscnt 0xb00
	v_mul_f64_e32 v[196:197], v[146:147], v[160:161]
	v_mul_f64_e32 v[160:161], v[148:149], v[160:161]
	v_fmac_f64_e32 v[198:199], v[6:7], v[154:155]
	v_fma_f64 v[202:203], v[4:5], v[154:155], -v[156:157]
	v_add_f64_e32 v[204:205], v[152:153], v[150:151]
	v_add_f64_e32 v[194:195], v[194:195], v[200:201]
	ds_load_b128 v[4:7], v2 offset:1728
	ds_load_b128 v[150:153], v2 offset:1744
	scratch_load_b128 v[154:157], off, off offset:896
	v_fmac_f64_e32 v[196:197], v[148:149], v[158:159]
	v_fma_f64 v[158:159], v[146:147], v[158:159], -v[160:161]
	scratch_load_b128 v[146:149], off, off offset:912
	s_wait_loadcnt_dscnt 0xc01
	v_mul_f64_e32 v[200:201], v[4:5], v[164:165]
	v_mul_f64_e32 v[164:165], v[6:7], v[164:165]
	v_add_f64_e32 v[160:161], v[204:205], v[202:203]
	v_add_f64_e32 v[194:195], v[194:195], v[198:199]
	s_wait_loadcnt_dscnt 0xb00
	v_mul_f64_e32 v[198:199], v[150:151], v[168:169]
	v_mul_f64_e32 v[168:169], v[152:153], v[168:169]
	v_fmac_f64_e32 v[200:201], v[6:7], v[162:163]
	v_fma_f64 v[202:203], v[4:5], v[162:163], -v[164:165]
	v_add_f64_e32 v[204:205], v[160:161], v[158:159]
	v_add_f64_e32 v[194:195], v[194:195], v[196:197]
	ds_load_b128 v[4:7], v2 offset:1760
	ds_load_b128 v[158:161], v2 offset:1776
	scratch_load_b128 v[162:165], off, off offset:928
	v_fmac_f64_e32 v[198:199], v[152:153], v[166:167]
	v_fma_f64 v[166:167], v[150:151], v[166:167], -v[168:169]
	scratch_load_b128 v[150:153], off, off offset:944
	s_wait_loadcnt_dscnt 0xc01
	v_mul_f64_e32 v[196:197], v[4:5], v[176:177]
	v_mul_f64_e32 v[176:177], v[6:7], v[176:177]
	;; [unrolled: 18-line block ×3, first 2 shown]
	v_add_f64_e32 v[188:189], v[204:205], v[202:203]
	v_add_f64_e32 v[194:195], v[194:195], v[196:197]
	s_wait_loadcnt_dscnt 0xa00
	v_mul_f64_e32 v[196:197], v[166:167], v[10:11]
	v_mul_f64_e32 v[10:11], v[168:169], v[10:11]
	v_fmac_f64_e32 v[198:199], v[6:7], v[190:191]
	v_fma_f64 v[190:191], v[4:5], v[190:191], -v[192:193]
	v_add_f64_e32 v[192:193], v[188:189], v[186:187]
	v_add_f64_e32 v[194:195], v[194:195], v[200:201]
	ds_load_b128 v[4:7], v2 offset:1824
	ds_load_b128 v[186:189], v2 offset:1840
	v_fmac_f64_e32 v[196:197], v[168:169], v[8:9]
	v_fma_f64 v[8:9], v[166:167], v[8:9], -v[10:11]
	s_wait_loadcnt_dscnt 0x901
	v_mul_f64_e32 v[200:201], v[4:5], v[180:181]
	v_mul_f64_e32 v[180:181], v[6:7], v[180:181]
	s_wait_loadcnt_dscnt 0x800
	v_mul_f64_e32 v[168:169], v[186:187], v[144:145]
	v_mul_f64_e32 v[144:145], v[188:189], v[144:145]
	v_add_f64_e32 v[10:11], v[192:193], v[190:191]
	v_add_f64_e32 v[166:167], v[194:195], v[198:199]
	v_fmac_f64_e32 v[200:201], v[6:7], v[178:179]
	v_fma_f64 v[178:179], v[4:5], v[178:179], -v[180:181]
	v_fmac_f64_e32 v[168:169], v[188:189], v[142:143]
	v_fma_f64 v[142:143], v[186:187], v[142:143], -v[144:145]
	v_add_f64_e32 v[180:181], v[10:11], v[8:9]
	v_add_f64_e32 v[166:167], v[166:167], v[196:197]
	ds_load_b128 v[4:7], v2 offset:1856
	ds_load_b128 v[8:11], v2 offset:1872
	s_wait_loadcnt_dscnt 0x701
	v_mul_f64_e32 v[190:191], v[4:5], v[172:173]
	v_mul_f64_e32 v[172:173], v[6:7], v[172:173]
	v_add_f64_e32 v[144:145], v[180:181], v[178:179]
	v_add_f64_e32 v[166:167], v[166:167], v[200:201]
	s_wait_loadcnt_dscnt 0x600
	v_mul_f64_e32 v[178:179], v[8:9], v[14:15]
	v_mul_f64_e32 v[14:15], v[10:11], v[14:15]
	v_fmac_f64_e32 v[190:191], v[6:7], v[170:171]
	v_fma_f64 v[170:171], v[4:5], v[170:171], -v[172:173]
	v_add_f64_e32 v[172:173], v[144:145], v[142:143]
	v_add_f64_e32 v[166:167], v[166:167], v[168:169]
	ds_load_b128 v[4:7], v2 offset:1888
	ds_load_b128 v[142:145], v2 offset:1904
	v_fmac_f64_e32 v[178:179], v[10:11], v[12:13]
	v_fma_f64 v[8:9], v[8:9], v[12:13], -v[14:15]
	s_wait_loadcnt_dscnt 0x501
	v_mul_f64_e32 v[168:169], v[4:5], v[156:157]
	v_mul_f64_e32 v[156:157], v[6:7], v[156:157]
	s_wait_loadcnt_dscnt 0x400
	v_mul_f64_e32 v[14:15], v[142:143], v[148:149]
	v_mul_f64_e32 v[148:149], v[144:145], v[148:149]
	v_add_f64_e32 v[10:11], v[172:173], v[170:171]
	v_add_f64_e32 v[12:13], v[166:167], v[190:191]
	v_fmac_f64_e32 v[168:169], v[6:7], v[154:155]
	v_fma_f64 v[154:155], v[4:5], v[154:155], -v[156:157]
	v_fmac_f64_e32 v[14:15], v[144:145], v[146:147]
	v_fma_f64 v[142:143], v[142:143], v[146:147], -v[148:149]
	v_add_f64_e32 v[156:157], v[10:11], v[8:9]
	v_add_f64_e32 v[12:13], v[12:13], v[178:179]
	ds_load_b128 v[4:7], v2 offset:1920
	ds_load_b128 v[8:11], v2 offset:1936
	s_wait_loadcnt_dscnt 0x301
	v_mul_f64_e32 v[166:167], v[4:5], v[164:165]
	v_mul_f64_e32 v[164:165], v[6:7], v[164:165]
	s_wait_loadcnt_dscnt 0x200
	v_mul_f64_e32 v[146:147], v[8:9], v[152:153]
	v_mul_f64_e32 v[148:149], v[10:11], v[152:153]
	v_add_f64_e32 v[144:145], v[156:157], v[154:155]
	v_add_f64_e32 v[12:13], v[12:13], v[168:169]
	v_fmac_f64_e32 v[166:167], v[6:7], v[162:163]
	v_fma_f64 v[152:153], v[4:5], v[162:163], -v[164:165]
	v_fmac_f64_e32 v[146:147], v[10:11], v[150:151]
	v_fma_f64 v[8:9], v[8:9], v[150:151], -v[148:149]
	v_add_f64_e32 v[142:143], v[144:145], v[142:143]
	v_add_f64_e32 v[144:145], v[12:13], v[14:15]
	ds_load_b128 v[4:7], v2 offset:1952
	ds_load_b128 v[12:15], v2 offset:1968
	s_wait_loadcnt_dscnt 0x101
	v_mul_f64_e32 v[2:3], v[4:5], v[176:177]
	v_mul_f64_e32 v[154:155], v[6:7], v[176:177]
	s_wait_loadcnt_dscnt 0x0
	v_mul_f64_e32 v[148:149], v[14:15], v[160:161]
	v_add_f64_e32 v[10:11], v[142:143], v[152:153]
	v_add_f64_e32 v[142:143], v[144:145], v[166:167]
	v_mul_f64_e32 v[144:145], v[12:13], v[160:161]
	v_fmac_f64_e32 v[2:3], v[6:7], v[174:175]
	v_fma_f64 v[4:5], v[4:5], v[174:175], -v[154:155]
	v_add_f64_e32 v[6:7], v[10:11], v[8:9]
	v_add_f64_e32 v[8:9], v[142:143], v[146:147]
	v_fmac_f64_e32 v[144:145], v[14:15], v[158:159]
	v_fma_f64 v[10:11], v[12:13], v[158:159], -v[148:149]
	s_delay_alu instid0(VALU_DEP_4) | instskip(NEXT) | instid1(VALU_DEP_4)
	v_add_f64_e32 v[4:5], v[6:7], v[4:5]
	v_add_f64_e32 v[2:3], v[8:9], v[2:3]
	s_delay_alu instid0(VALU_DEP_2) | instskip(NEXT) | instid1(VALU_DEP_2)
	v_add_f64_e32 v[4:5], v[4:5], v[10:11]
	v_add_f64_e32 v[6:7], v[2:3], v[144:145]
	s_delay_alu instid0(VALU_DEP_2) | instskip(NEXT) | instid1(VALU_DEP_2)
	v_add_f64_e64 v[2:3], v[182:183], -v[4:5]
	v_add_f64_e64 v[4:5], v[184:185], -v[6:7]
	scratch_store_b128 off, v[2:5], off offset:592
	s_wait_xcnt 0x0
	v_cmpx_lt_u32_e32 36, v1
	s_cbranch_execz .LBB125_325
; %bb.324:
	scratch_load_b128 v[2:5], off, s44
	v_mov_b32_e32 v6, 0
	s_delay_alu instid0(VALU_DEP_1)
	v_dual_mov_b32 v7, v6 :: v_dual_mov_b32 v8, v6
	v_mov_b32_e32 v9, v6
	scratch_store_b128 off, v[6:9], off offset:576
	s_wait_loadcnt 0x0
	ds_store_b128 v16, v[2:5]
.LBB125_325:
	s_wait_xcnt 0x0
	s_or_b32 exec_lo, exec_lo, s2
	s_wait_storecnt_dscnt 0x0
	s_barrier_signal -1
	s_barrier_wait -1
	s_clause 0x9
	scratch_load_b128 v[4:7], off, off offset:592
	scratch_load_b128 v[8:11], off, off offset:608
	;; [unrolled: 1-line block ×10, first 2 shown]
	v_mov_b32_e32 v2, 0
	s_mov_b32 s2, exec_lo
	ds_load_b128 v[170:173], v2 offset:1584
	s_clause 0x2
	scratch_load_b128 v[174:177], off, off offset:752
	scratch_load_b128 v[178:181], off, off offset:576
	;; [unrolled: 1-line block ×3, first 2 shown]
	s_wait_loadcnt_dscnt 0xc00
	v_mul_f64_e32 v[190:191], v[172:173], v[6:7]
	v_mul_f64_e32 v[194:195], v[170:171], v[6:7]
	ds_load_b128 v[182:185], v2 offset:1600
	v_fma_f64 v[198:199], v[170:171], v[4:5], -v[190:191]
	v_fmac_f64_e32 v[194:195], v[172:173], v[4:5]
	ds_load_b128 v[4:7], v2 offset:1616
	s_wait_loadcnt_dscnt 0xb01
	v_mul_f64_e32 v[196:197], v[182:183], v[10:11]
	v_mul_f64_e32 v[10:11], v[184:185], v[10:11]
	scratch_load_b128 v[170:173], off, off offset:784
	ds_load_b128 v[190:193], v2 offset:1632
	s_wait_loadcnt_dscnt 0xb01
	v_mul_f64_e32 v[200:201], v[4:5], v[14:15]
	v_mul_f64_e32 v[14:15], v[6:7], v[14:15]
	v_add_f64_e32 v[194:195], 0, v[194:195]
	v_fmac_f64_e32 v[196:197], v[184:185], v[8:9]
	v_fma_f64 v[182:183], v[182:183], v[8:9], -v[10:11]
	v_add_f64_e32 v[184:185], 0, v[198:199]
	scratch_load_b128 v[8:11], off, off offset:800
	v_fmac_f64_e32 v[200:201], v[6:7], v[12:13]
	v_fma_f64 v[202:203], v[4:5], v[12:13], -v[14:15]
	ds_load_b128 v[4:7], v2 offset:1648
	s_wait_loadcnt_dscnt 0xb01
	v_mul_f64_e32 v[198:199], v[190:191], v[144:145]
	v_mul_f64_e32 v[144:145], v[192:193], v[144:145]
	scratch_load_b128 v[12:15], off, off offset:816
	v_add_f64_e32 v[194:195], v[194:195], v[196:197]
	v_add_f64_e32 v[204:205], v[184:185], v[182:183]
	ds_load_b128 v[182:185], v2 offset:1664
	s_wait_loadcnt_dscnt 0xb01
	v_mul_f64_e32 v[196:197], v[4:5], v[148:149]
	v_mul_f64_e32 v[148:149], v[6:7], v[148:149]
	v_fmac_f64_e32 v[198:199], v[192:193], v[142:143]
	v_fma_f64 v[190:191], v[190:191], v[142:143], -v[144:145]
	scratch_load_b128 v[142:145], off, off offset:832
	v_add_f64_e32 v[194:195], v[194:195], v[200:201]
	v_add_f64_e32 v[192:193], v[204:205], v[202:203]
	v_fmac_f64_e32 v[196:197], v[6:7], v[146:147]
	v_fma_f64 v[202:203], v[4:5], v[146:147], -v[148:149]
	ds_load_b128 v[4:7], v2 offset:1680
	s_wait_loadcnt_dscnt 0xb01
	v_mul_f64_e32 v[200:201], v[182:183], v[152:153]
	v_mul_f64_e32 v[152:153], v[184:185], v[152:153]
	scratch_load_b128 v[146:149], off, off offset:848
	v_add_f64_e32 v[194:195], v[194:195], v[198:199]
	s_wait_loadcnt_dscnt 0xb00
	v_mul_f64_e32 v[198:199], v[4:5], v[156:157]
	v_add_f64_e32 v[204:205], v[192:193], v[190:191]
	v_mul_f64_e32 v[156:157], v[6:7], v[156:157]
	ds_load_b128 v[190:193], v2 offset:1696
	v_fmac_f64_e32 v[200:201], v[184:185], v[150:151]
	v_fma_f64 v[182:183], v[182:183], v[150:151], -v[152:153]
	scratch_load_b128 v[150:153], off, off offset:864
	v_add_f64_e32 v[194:195], v[194:195], v[196:197]
	v_fmac_f64_e32 v[198:199], v[6:7], v[154:155]
	v_add_f64_e32 v[184:185], v[204:205], v[202:203]
	v_fma_f64 v[202:203], v[4:5], v[154:155], -v[156:157]
	ds_load_b128 v[4:7], v2 offset:1712
	s_wait_loadcnt_dscnt 0xb01
	v_mul_f64_e32 v[196:197], v[190:191], v[160:161]
	v_mul_f64_e32 v[160:161], v[192:193], v[160:161]
	scratch_load_b128 v[154:157], off, off offset:880
	v_add_f64_e32 v[194:195], v[194:195], v[200:201]
	s_wait_loadcnt_dscnt 0xb00
	v_mul_f64_e32 v[200:201], v[4:5], v[164:165]
	v_add_f64_e32 v[204:205], v[184:185], v[182:183]
	v_mul_f64_e32 v[164:165], v[6:7], v[164:165]
	ds_load_b128 v[182:185], v2 offset:1728
	v_fmac_f64_e32 v[196:197], v[192:193], v[158:159]
	v_fma_f64 v[190:191], v[190:191], v[158:159], -v[160:161]
	scratch_load_b128 v[158:161], off, off offset:896
	v_add_f64_e32 v[194:195], v[194:195], v[198:199]
	v_fmac_f64_e32 v[200:201], v[6:7], v[162:163]
	v_add_f64_e32 v[192:193], v[204:205], v[202:203]
	;; [unrolled: 18-line block ×3, first 2 shown]
	v_fma_f64 v[202:203], v[4:5], v[174:175], -v[176:177]
	ds_load_b128 v[4:7], v2 offset:1776
	s_wait_loadcnt_dscnt 0xa01
	v_mul_f64_e32 v[200:201], v[190:191], v[188:189]
	v_mul_f64_e32 v[188:189], v[192:193], v[188:189]
	scratch_load_b128 v[174:177], off, off offset:944
	v_add_f64_e32 v[194:195], v[194:195], v[198:199]
	v_add_f64_e32 v[204:205], v[184:185], v[182:183]
	s_wait_loadcnt_dscnt 0xa00
	v_mul_f64_e32 v[198:199], v[4:5], v[172:173]
	v_mul_f64_e32 v[172:173], v[6:7], v[172:173]
	v_fmac_f64_e32 v[200:201], v[192:193], v[186:187]
	v_fma_f64 v[190:191], v[190:191], v[186:187], -v[188:189]
	ds_load_b128 v[182:185], v2 offset:1792
	scratch_load_b128 v[186:189], off, off offset:960
	v_add_f64_e32 v[194:195], v[194:195], v[196:197]
	v_add_f64_e32 v[192:193], v[204:205], v[202:203]
	v_fmac_f64_e32 v[198:199], v[6:7], v[170:171]
	v_fma_f64 v[202:203], v[4:5], v[170:171], -v[172:173]
	ds_load_b128 v[4:7], v2 offset:1808
	s_wait_loadcnt_dscnt 0xa01
	v_mul_f64_e32 v[196:197], v[182:183], v[10:11]
	v_mul_f64_e32 v[10:11], v[184:185], v[10:11]
	scratch_load_b128 v[170:173], off, off offset:976
	v_add_f64_e32 v[194:195], v[194:195], v[200:201]
	s_wait_loadcnt_dscnt 0xa00
	v_mul_f64_e32 v[200:201], v[4:5], v[14:15]
	v_add_f64_e32 v[204:205], v[192:193], v[190:191]
	v_mul_f64_e32 v[14:15], v[6:7], v[14:15]
	ds_load_b128 v[190:193], v2 offset:1824
	v_fmac_f64_e32 v[196:197], v[184:185], v[8:9]
	v_fma_f64 v[8:9], v[182:183], v[8:9], -v[10:11]
	s_wait_loadcnt_dscnt 0x900
	v_mul_f64_e32 v[184:185], v[190:191], v[144:145]
	v_mul_f64_e32 v[144:145], v[192:193], v[144:145]
	v_add_f64_e32 v[182:183], v[194:195], v[198:199]
	v_fmac_f64_e32 v[200:201], v[6:7], v[12:13]
	v_add_f64_e32 v[10:11], v[204:205], v[202:203]
	v_fma_f64 v[12:13], v[4:5], v[12:13], -v[14:15]
	v_fmac_f64_e32 v[184:185], v[192:193], v[142:143]
	v_fma_f64 v[142:143], v[190:191], v[142:143], -v[144:145]
	v_add_f64_e32 v[182:183], v[182:183], v[196:197]
	v_add_f64_e32 v[14:15], v[10:11], v[8:9]
	ds_load_b128 v[4:7], v2 offset:1840
	ds_load_b128 v[8:11], v2 offset:1856
	s_wait_loadcnt_dscnt 0x801
	v_mul_f64_e32 v[194:195], v[4:5], v[148:149]
	v_mul_f64_e32 v[148:149], v[6:7], v[148:149]
	s_wait_loadcnt_dscnt 0x700
	v_mul_f64_e32 v[144:145], v[8:9], v[152:153]
	v_mul_f64_e32 v[152:153], v[10:11], v[152:153]
	v_add_f64_e32 v[12:13], v[14:15], v[12:13]
	v_add_f64_e32 v[14:15], v[182:183], v[200:201]
	v_fmac_f64_e32 v[194:195], v[6:7], v[146:147]
	v_fma_f64 v[146:147], v[4:5], v[146:147], -v[148:149]
	v_fmac_f64_e32 v[144:145], v[10:11], v[150:151]
	v_fma_f64 v[8:9], v[8:9], v[150:151], -v[152:153]
	v_add_f64_e32 v[142:143], v[12:13], v[142:143]
	v_add_f64_e32 v[148:149], v[14:15], v[184:185]
	ds_load_b128 v[4:7], v2 offset:1872
	ds_load_b128 v[12:15], v2 offset:1888
	s_wait_loadcnt_dscnt 0x601
	v_mul_f64_e32 v[182:183], v[4:5], v[156:157]
	v_mul_f64_e32 v[156:157], v[6:7], v[156:157]
	v_add_f64_e32 v[10:11], v[142:143], v[146:147]
	v_add_f64_e32 v[142:143], v[148:149], v[194:195]
	s_wait_loadcnt_dscnt 0x500
	v_mul_f64_e32 v[146:147], v[12:13], v[160:161]
	v_mul_f64_e32 v[148:149], v[14:15], v[160:161]
	v_fmac_f64_e32 v[182:183], v[6:7], v[154:155]
	v_fma_f64 v[150:151], v[4:5], v[154:155], -v[156:157]
	v_add_f64_e32 v[152:153], v[10:11], v[8:9]
	v_add_f64_e32 v[142:143], v[142:143], v[144:145]
	ds_load_b128 v[4:7], v2 offset:1904
	ds_load_b128 v[8:11], v2 offset:1920
	v_fmac_f64_e32 v[146:147], v[14:15], v[158:159]
	v_fma_f64 v[12:13], v[12:13], v[158:159], -v[148:149]
	s_wait_loadcnt_dscnt 0x401
	v_mul_f64_e32 v[144:145], v[4:5], v[164:165]
	v_mul_f64_e32 v[154:155], v[6:7], v[164:165]
	s_wait_loadcnt_dscnt 0x300
	v_mul_f64_e32 v[148:149], v[8:9], v[168:169]
	v_add_f64_e32 v[14:15], v[152:153], v[150:151]
	v_add_f64_e32 v[142:143], v[142:143], v[182:183]
	v_mul_f64_e32 v[150:151], v[10:11], v[168:169]
	v_fmac_f64_e32 v[144:145], v[6:7], v[162:163]
	v_fma_f64 v[152:153], v[4:5], v[162:163], -v[154:155]
	v_fmac_f64_e32 v[148:149], v[10:11], v[166:167]
	v_add_f64_e32 v[154:155], v[14:15], v[12:13]
	v_add_f64_e32 v[142:143], v[142:143], v[146:147]
	ds_load_b128 v[4:7], v2 offset:1936
	ds_load_b128 v[12:15], v2 offset:1952
	v_fma_f64 v[8:9], v[8:9], v[166:167], -v[150:151]
	s_wait_loadcnt_dscnt 0x201
	v_mul_f64_e32 v[146:147], v[4:5], v[176:177]
	v_mul_f64_e32 v[156:157], v[6:7], v[176:177]
	s_wait_loadcnt_dscnt 0x100
	v_mul_f64_e32 v[150:151], v[14:15], v[188:189]
	v_add_f64_e32 v[10:11], v[154:155], v[152:153]
	v_add_f64_e32 v[142:143], v[142:143], v[144:145]
	v_mul_f64_e32 v[144:145], v[12:13], v[188:189]
	v_fmac_f64_e32 v[146:147], v[6:7], v[174:175]
	v_fma_f64 v[152:153], v[4:5], v[174:175], -v[156:157]
	ds_load_b128 v[4:7], v2 offset:1968
	v_fma_f64 v[12:13], v[12:13], v[186:187], -v[150:151]
	v_add_f64_e32 v[8:9], v[10:11], v[8:9]
	v_add_f64_e32 v[10:11], v[142:143], v[148:149]
	v_fmac_f64_e32 v[144:145], v[14:15], v[186:187]
	s_wait_loadcnt_dscnt 0x0
	v_mul_f64_e32 v[142:143], v[4:5], v[172:173]
	v_mul_f64_e32 v[148:149], v[6:7], v[172:173]
	v_add_f64_e32 v[8:9], v[8:9], v[152:153]
	v_add_f64_e32 v[10:11], v[10:11], v[146:147]
	s_delay_alu instid0(VALU_DEP_4) | instskip(NEXT) | instid1(VALU_DEP_4)
	v_fmac_f64_e32 v[142:143], v[6:7], v[170:171]
	v_fma_f64 v[4:5], v[4:5], v[170:171], -v[148:149]
	s_delay_alu instid0(VALU_DEP_4) | instskip(NEXT) | instid1(VALU_DEP_4)
	v_add_f64_e32 v[6:7], v[8:9], v[12:13]
	v_add_f64_e32 v[8:9], v[10:11], v[144:145]
	s_delay_alu instid0(VALU_DEP_2) | instskip(NEXT) | instid1(VALU_DEP_2)
	v_add_f64_e32 v[4:5], v[6:7], v[4:5]
	v_add_f64_e32 v[6:7], v[8:9], v[142:143]
	s_delay_alu instid0(VALU_DEP_2) | instskip(NEXT) | instid1(VALU_DEP_2)
	v_add_f64_e64 v[4:5], v[178:179], -v[4:5]
	v_add_f64_e64 v[6:7], v[180:181], -v[6:7]
	scratch_store_b128 off, v[4:7], off offset:576
	s_wait_xcnt 0x0
	v_cmpx_lt_u32_e32 35, v1
	s_cbranch_execz .LBB125_327
; %bb.326:
	scratch_load_b128 v[6:9], off, s45
	v_dual_mov_b32 v3, v2 :: v_dual_mov_b32 v4, v2
	v_mov_b32_e32 v5, v2
	scratch_store_b128 off, v[2:5], off offset:560
	s_wait_loadcnt 0x0
	ds_store_b128 v16, v[6:9]
.LBB125_327:
	s_wait_xcnt 0x0
	s_or_b32 exec_lo, exec_lo, s2
	s_wait_storecnt_dscnt 0x0
	s_barrier_signal -1
	s_barrier_wait -1
	s_clause 0x9
	scratch_load_b128 v[4:7], off, off offset:576
	scratch_load_b128 v[8:11], off, off offset:592
	;; [unrolled: 1-line block ×10, first 2 shown]
	ds_load_b128 v[170:173], v2 offset:1568
	ds_load_b128 v[178:181], v2 offset:1584
	s_clause 0x2
	scratch_load_b128 v[174:177], off, off offset:736
	scratch_load_b128 v[182:185], off, off offset:560
	;; [unrolled: 1-line block ×3, first 2 shown]
	s_mov_b32 s2, exec_lo
	s_wait_loadcnt_dscnt 0xc01
	v_mul_f64_e32 v[190:191], v[172:173], v[6:7]
	v_mul_f64_e32 v[194:195], v[170:171], v[6:7]
	s_wait_loadcnt_dscnt 0xb00
	v_mul_f64_e32 v[196:197], v[178:179], v[10:11]
	v_mul_f64_e32 v[10:11], v[180:181], v[10:11]
	s_delay_alu instid0(VALU_DEP_4) | instskip(NEXT) | instid1(VALU_DEP_4)
	v_fma_f64 v[198:199], v[170:171], v[4:5], -v[190:191]
	v_fmac_f64_e32 v[194:195], v[172:173], v[4:5]
	ds_load_b128 v[4:7], v2 offset:1600
	ds_load_b128 v[170:173], v2 offset:1616
	scratch_load_b128 v[190:193], off, off offset:768
	v_fmac_f64_e32 v[196:197], v[180:181], v[8:9]
	v_fma_f64 v[178:179], v[178:179], v[8:9], -v[10:11]
	scratch_load_b128 v[8:11], off, off offset:784
	s_wait_loadcnt_dscnt 0xc01
	v_mul_f64_e32 v[200:201], v[4:5], v[14:15]
	v_mul_f64_e32 v[14:15], v[6:7], v[14:15]
	v_add_f64_e32 v[180:181], 0, v[198:199]
	v_add_f64_e32 v[194:195], 0, v[194:195]
	s_wait_loadcnt_dscnt 0xb00
	v_mul_f64_e32 v[198:199], v[170:171], v[144:145]
	v_mul_f64_e32 v[144:145], v[172:173], v[144:145]
	v_fmac_f64_e32 v[200:201], v[6:7], v[12:13]
	v_fma_f64 v[202:203], v[4:5], v[12:13], -v[14:15]
	ds_load_b128 v[4:7], v2 offset:1632
	ds_load_b128 v[12:15], v2 offset:1648
	v_add_f64_e32 v[204:205], v[180:181], v[178:179]
	v_add_f64_e32 v[194:195], v[194:195], v[196:197]
	scratch_load_b128 v[178:181], off, off offset:800
	v_fmac_f64_e32 v[198:199], v[172:173], v[142:143]
	v_fma_f64 v[170:171], v[170:171], v[142:143], -v[144:145]
	scratch_load_b128 v[142:145], off, off offset:816
	s_wait_loadcnt_dscnt 0xc01
	v_mul_f64_e32 v[196:197], v[4:5], v[148:149]
	v_mul_f64_e32 v[148:149], v[6:7], v[148:149]
	v_add_f64_e32 v[172:173], v[204:205], v[202:203]
	v_add_f64_e32 v[194:195], v[194:195], v[200:201]
	s_wait_loadcnt_dscnt 0xb00
	v_mul_f64_e32 v[200:201], v[12:13], v[152:153]
	v_mul_f64_e32 v[152:153], v[14:15], v[152:153]
	v_fmac_f64_e32 v[196:197], v[6:7], v[146:147]
	v_fma_f64 v[202:203], v[4:5], v[146:147], -v[148:149]
	ds_load_b128 v[4:7], v2 offset:1664
	ds_load_b128 v[146:149], v2 offset:1680
	v_add_f64_e32 v[204:205], v[172:173], v[170:171]
	v_add_f64_e32 v[194:195], v[194:195], v[198:199]
	scratch_load_b128 v[170:173], off, off offset:832
	s_wait_loadcnt_dscnt 0xb01
	v_mul_f64_e32 v[198:199], v[4:5], v[156:157]
	v_mul_f64_e32 v[156:157], v[6:7], v[156:157]
	v_fmac_f64_e32 v[200:201], v[14:15], v[150:151]
	v_fma_f64 v[150:151], v[12:13], v[150:151], -v[152:153]
	scratch_load_b128 v[12:15], off, off offset:848
	v_add_f64_e32 v[152:153], v[204:205], v[202:203]
	v_add_f64_e32 v[194:195], v[194:195], v[196:197]
	s_wait_loadcnt_dscnt 0xb00
	v_mul_f64_e32 v[196:197], v[146:147], v[160:161]
	v_mul_f64_e32 v[160:161], v[148:149], v[160:161]
	v_fmac_f64_e32 v[198:199], v[6:7], v[154:155]
	v_fma_f64 v[202:203], v[4:5], v[154:155], -v[156:157]
	v_add_f64_e32 v[204:205], v[152:153], v[150:151]
	v_add_f64_e32 v[194:195], v[194:195], v[200:201]
	ds_load_b128 v[4:7], v2 offset:1696
	ds_load_b128 v[150:153], v2 offset:1712
	scratch_load_b128 v[154:157], off, off offset:864
	v_fmac_f64_e32 v[196:197], v[148:149], v[158:159]
	v_fma_f64 v[158:159], v[146:147], v[158:159], -v[160:161]
	scratch_load_b128 v[146:149], off, off offset:880
	s_wait_loadcnt_dscnt 0xc01
	v_mul_f64_e32 v[200:201], v[4:5], v[164:165]
	v_mul_f64_e32 v[164:165], v[6:7], v[164:165]
	v_add_f64_e32 v[160:161], v[204:205], v[202:203]
	v_add_f64_e32 v[194:195], v[194:195], v[198:199]
	s_wait_loadcnt_dscnt 0xb00
	v_mul_f64_e32 v[198:199], v[150:151], v[168:169]
	v_mul_f64_e32 v[168:169], v[152:153], v[168:169]
	v_fmac_f64_e32 v[200:201], v[6:7], v[162:163]
	v_fma_f64 v[202:203], v[4:5], v[162:163], -v[164:165]
	v_add_f64_e32 v[204:205], v[160:161], v[158:159]
	v_add_f64_e32 v[194:195], v[194:195], v[196:197]
	ds_load_b128 v[4:7], v2 offset:1728
	ds_load_b128 v[158:161], v2 offset:1744
	scratch_load_b128 v[162:165], off, off offset:896
	v_fmac_f64_e32 v[198:199], v[152:153], v[166:167]
	v_fma_f64 v[166:167], v[150:151], v[166:167], -v[168:169]
	scratch_load_b128 v[150:153], off, off offset:912
	s_wait_loadcnt_dscnt 0xc01
	v_mul_f64_e32 v[196:197], v[4:5], v[176:177]
	v_mul_f64_e32 v[176:177], v[6:7], v[176:177]
	v_add_f64_e32 v[168:169], v[204:205], v[202:203]
	v_add_f64_e32 v[194:195], v[194:195], v[200:201]
	s_wait_loadcnt_dscnt 0xa00
	v_mul_f64_e32 v[200:201], v[158:159], v[188:189]
	v_mul_f64_e32 v[188:189], v[160:161], v[188:189]
	v_fmac_f64_e32 v[196:197], v[6:7], v[174:175]
	v_fma_f64 v[202:203], v[4:5], v[174:175], -v[176:177]
	v_add_f64_e32 v[204:205], v[168:169], v[166:167]
	v_add_f64_e32 v[194:195], v[194:195], v[198:199]
	ds_load_b128 v[4:7], v2 offset:1760
	ds_load_b128 v[166:169], v2 offset:1776
	scratch_load_b128 v[174:177], off, off offset:928
	v_fmac_f64_e32 v[200:201], v[160:161], v[186:187]
	v_fma_f64 v[186:187], v[158:159], v[186:187], -v[188:189]
	scratch_load_b128 v[158:161], off, off offset:944
	s_wait_loadcnt_dscnt 0xb01
	v_mul_f64_e32 v[198:199], v[4:5], v[192:193]
	v_mul_f64_e32 v[192:193], v[6:7], v[192:193]
	v_add_f64_e32 v[188:189], v[204:205], v[202:203]
	v_add_f64_e32 v[194:195], v[194:195], v[196:197]
	s_wait_loadcnt_dscnt 0xa00
	v_mul_f64_e32 v[196:197], v[166:167], v[10:11]
	v_mul_f64_e32 v[10:11], v[168:169], v[10:11]
	v_fmac_f64_e32 v[198:199], v[6:7], v[190:191]
	v_fma_f64 v[202:203], v[4:5], v[190:191], -v[192:193]
	v_add_f64_e32 v[204:205], v[188:189], v[186:187]
	v_add_f64_e32 v[194:195], v[194:195], v[200:201]
	ds_load_b128 v[4:7], v2 offset:1792
	ds_load_b128 v[186:189], v2 offset:1808
	scratch_load_b128 v[190:193], off, off offset:960
	v_fmac_f64_e32 v[196:197], v[168:169], v[8:9]
	v_fma_f64 v[166:167], v[166:167], v[8:9], -v[10:11]
	scratch_load_b128 v[8:11], off, off offset:976
	s_wait_loadcnt_dscnt 0xb01
	v_mul_f64_e32 v[200:201], v[4:5], v[180:181]
	v_mul_f64_e32 v[180:181], v[6:7], v[180:181]
	v_add_f64_e32 v[168:169], v[204:205], v[202:203]
	v_add_f64_e32 v[194:195], v[194:195], v[198:199]
	s_wait_loadcnt_dscnt 0xa00
	v_mul_f64_e32 v[198:199], v[186:187], v[144:145]
	v_mul_f64_e32 v[144:145], v[188:189], v[144:145]
	v_fmac_f64_e32 v[200:201], v[6:7], v[178:179]
	v_fma_f64 v[178:179], v[4:5], v[178:179], -v[180:181]
	v_add_f64_e32 v[180:181], v[168:169], v[166:167]
	v_add_f64_e32 v[194:195], v[194:195], v[196:197]
	ds_load_b128 v[4:7], v2 offset:1824
	ds_load_b128 v[166:169], v2 offset:1840
	v_fmac_f64_e32 v[198:199], v[188:189], v[142:143]
	v_fma_f64 v[142:143], v[186:187], v[142:143], -v[144:145]
	s_wait_loadcnt_dscnt 0x901
	v_mul_f64_e32 v[196:197], v[4:5], v[172:173]
	v_mul_f64_e32 v[172:173], v[6:7], v[172:173]
	v_add_f64_e32 v[144:145], v[180:181], v[178:179]
	v_add_f64_e32 v[178:179], v[194:195], v[200:201]
	s_wait_loadcnt_dscnt 0x800
	v_mul_f64_e32 v[180:181], v[166:167], v[14:15]
	v_mul_f64_e32 v[14:15], v[168:169], v[14:15]
	v_fmac_f64_e32 v[196:197], v[6:7], v[170:171]
	v_fma_f64 v[170:171], v[4:5], v[170:171], -v[172:173]
	v_add_f64_e32 v[172:173], v[144:145], v[142:143]
	v_add_f64_e32 v[178:179], v[178:179], v[198:199]
	ds_load_b128 v[4:7], v2 offset:1856
	ds_load_b128 v[142:145], v2 offset:1872
	v_fmac_f64_e32 v[180:181], v[168:169], v[12:13]
	v_fma_f64 v[12:13], v[166:167], v[12:13], -v[14:15]
	s_wait_loadcnt_dscnt 0x701
	v_mul_f64_e32 v[186:187], v[4:5], v[156:157]
	v_mul_f64_e32 v[156:157], v[6:7], v[156:157]
	s_wait_loadcnt_dscnt 0x600
	v_mul_f64_e32 v[168:169], v[142:143], v[148:149]
	v_mul_f64_e32 v[148:149], v[144:145], v[148:149]
	v_add_f64_e32 v[14:15], v[172:173], v[170:171]
	v_add_f64_e32 v[166:167], v[178:179], v[196:197]
	v_fmac_f64_e32 v[186:187], v[6:7], v[154:155]
	v_fma_f64 v[154:155], v[4:5], v[154:155], -v[156:157]
	v_fmac_f64_e32 v[168:169], v[144:145], v[146:147]
	v_fma_f64 v[142:143], v[142:143], v[146:147], -v[148:149]
	v_add_f64_e32 v[156:157], v[14:15], v[12:13]
	v_add_f64_e32 v[166:167], v[166:167], v[180:181]
	ds_load_b128 v[4:7], v2 offset:1888
	ds_load_b128 v[12:15], v2 offset:1904
	s_wait_loadcnt_dscnt 0x501
	v_mul_f64_e32 v[170:171], v[4:5], v[164:165]
	v_mul_f64_e32 v[164:165], v[6:7], v[164:165]
	s_wait_loadcnt_dscnt 0x400
	v_mul_f64_e32 v[148:149], v[12:13], v[152:153]
	v_mul_f64_e32 v[152:153], v[14:15], v[152:153]
	v_add_f64_e32 v[144:145], v[156:157], v[154:155]
	v_add_f64_e32 v[146:147], v[166:167], v[186:187]
	v_fmac_f64_e32 v[170:171], v[6:7], v[162:163]
	v_fma_f64 v[154:155], v[4:5], v[162:163], -v[164:165]
	v_fmac_f64_e32 v[148:149], v[14:15], v[150:151]
	v_fma_f64 v[12:13], v[12:13], v[150:151], -v[152:153]
	v_add_f64_e32 v[156:157], v[144:145], v[142:143]
	v_add_f64_e32 v[146:147], v[146:147], v[168:169]
	ds_load_b128 v[4:7], v2 offset:1920
	ds_load_b128 v[142:145], v2 offset:1936
	s_wait_loadcnt_dscnt 0x301
	v_mul_f64_e32 v[162:163], v[4:5], v[176:177]
	v_mul_f64_e32 v[164:165], v[6:7], v[176:177]
	s_wait_loadcnt_dscnt 0x200
	v_mul_f64_e32 v[150:151], v[142:143], v[160:161]
	v_mul_f64_e32 v[152:153], v[144:145], v[160:161]
	v_add_f64_e32 v[14:15], v[156:157], v[154:155]
	v_add_f64_e32 v[146:147], v[146:147], v[170:171]
	v_fmac_f64_e32 v[162:163], v[6:7], v[174:175]
	v_fma_f64 v[154:155], v[4:5], v[174:175], -v[164:165]
	v_fmac_f64_e32 v[150:151], v[144:145], v[158:159]
	v_fma_f64 v[142:143], v[142:143], v[158:159], -v[152:153]
	v_add_f64_e32 v[156:157], v[14:15], v[12:13]
	v_add_f64_e32 v[146:147], v[146:147], v[148:149]
	ds_load_b128 v[4:7], v2 offset:1952
	ds_load_b128 v[12:15], v2 offset:1968
	s_wait_loadcnt_dscnt 0x101
	v_mul_f64_e32 v[2:3], v[4:5], v[192:193]
	v_mul_f64_e32 v[148:149], v[6:7], v[192:193]
	s_wait_loadcnt_dscnt 0x0
	v_mul_f64_e32 v[152:153], v[12:13], v[10:11]
	v_mul_f64_e32 v[10:11], v[14:15], v[10:11]
	v_add_f64_e32 v[144:145], v[156:157], v[154:155]
	v_add_f64_e32 v[146:147], v[146:147], v[162:163]
	v_fmac_f64_e32 v[2:3], v[6:7], v[190:191]
	v_fma_f64 v[4:5], v[4:5], v[190:191], -v[148:149]
	v_fmac_f64_e32 v[152:153], v[14:15], v[8:9]
	v_fma_f64 v[8:9], v[12:13], v[8:9], -v[10:11]
	v_add_f64_e32 v[6:7], v[144:145], v[142:143]
	v_add_f64_e32 v[142:143], v[146:147], v[150:151]
	s_delay_alu instid0(VALU_DEP_2) | instskip(NEXT) | instid1(VALU_DEP_2)
	v_add_f64_e32 v[4:5], v[6:7], v[4:5]
	v_add_f64_e32 v[2:3], v[142:143], v[2:3]
	s_delay_alu instid0(VALU_DEP_2) | instskip(NEXT) | instid1(VALU_DEP_2)
	;; [unrolled: 3-line block ×3, first 2 shown]
	v_add_f64_e64 v[2:3], v[182:183], -v[4:5]
	v_add_f64_e64 v[4:5], v[184:185], -v[6:7]
	scratch_store_b128 off, v[2:5], off offset:560
	s_wait_xcnt 0x0
	v_cmpx_lt_u32_e32 34, v1
	s_cbranch_execz .LBB125_329
; %bb.328:
	scratch_load_b128 v[2:5], off, s46
	v_mov_b32_e32 v6, 0
	s_delay_alu instid0(VALU_DEP_1)
	v_dual_mov_b32 v7, v6 :: v_dual_mov_b32 v8, v6
	v_mov_b32_e32 v9, v6
	scratch_store_b128 off, v[6:9], off offset:544
	s_wait_loadcnt 0x0
	ds_store_b128 v16, v[2:5]
.LBB125_329:
	s_wait_xcnt 0x0
	s_or_b32 exec_lo, exec_lo, s2
	s_wait_storecnt_dscnt 0x0
	s_barrier_signal -1
	s_barrier_wait -1
	s_clause 0x9
	scratch_load_b128 v[4:7], off, off offset:560
	scratch_load_b128 v[8:11], off, off offset:576
	;; [unrolled: 1-line block ×10, first 2 shown]
	v_mov_b32_e32 v2, 0
	s_mov_b32 s2, exec_lo
	ds_load_b128 v[170:173], v2 offset:1552
	s_clause 0x2
	scratch_load_b128 v[174:177], off, off offset:720
	scratch_load_b128 v[178:181], off, off offset:544
	;; [unrolled: 1-line block ×3, first 2 shown]
	s_wait_loadcnt_dscnt 0xc00
	v_mul_f64_e32 v[190:191], v[172:173], v[6:7]
	v_mul_f64_e32 v[194:195], v[170:171], v[6:7]
	ds_load_b128 v[182:185], v2 offset:1568
	v_fma_f64 v[198:199], v[170:171], v[4:5], -v[190:191]
	v_fmac_f64_e32 v[194:195], v[172:173], v[4:5]
	ds_load_b128 v[4:7], v2 offset:1584
	s_wait_loadcnt_dscnt 0xb01
	v_mul_f64_e32 v[196:197], v[182:183], v[10:11]
	v_mul_f64_e32 v[10:11], v[184:185], v[10:11]
	scratch_load_b128 v[170:173], off, off offset:752
	ds_load_b128 v[190:193], v2 offset:1600
	s_wait_loadcnt_dscnt 0xb01
	v_mul_f64_e32 v[200:201], v[4:5], v[14:15]
	v_mul_f64_e32 v[14:15], v[6:7], v[14:15]
	v_add_f64_e32 v[194:195], 0, v[194:195]
	v_fmac_f64_e32 v[196:197], v[184:185], v[8:9]
	v_fma_f64 v[182:183], v[182:183], v[8:9], -v[10:11]
	v_add_f64_e32 v[184:185], 0, v[198:199]
	scratch_load_b128 v[8:11], off, off offset:768
	v_fmac_f64_e32 v[200:201], v[6:7], v[12:13]
	v_fma_f64 v[202:203], v[4:5], v[12:13], -v[14:15]
	ds_load_b128 v[4:7], v2 offset:1616
	s_wait_loadcnt_dscnt 0xb01
	v_mul_f64_e32 v[198:199], v[190:191], v[144:145]
	v_mul_f64_e32 v[144:145], v[192:193], v[144:145]
	scratch_load_b128 v[12:15], off, off offset:784
	v_add_f64_e32 v[194:195], v[194:195], v[196:197]
	v_add_f64_e32 v[204:205], v[184:185], v[182:183]
	ds_load_b128 v[182:185], v2 offset:1632
	s_wait_loadcnt_dscnt 0xb01
	v_mul_f64_e32 v[196:197], v[4:5], v[148:149]
	v_mul_f64_e32 v[148:149], v[6:7], v[148:149]
	v_fmac_f64_e32 v[198:199], v[192:193], v[142:143]
	v_fma_f64 v[190:191], v[190:191], v[142:143], -v[144:145]
	scratch_load_b128 v[142:145], off, off offset:800
	v_add_f64_e32 v[194:195], v[194:195], v[200:201]
	v_add_f64_e32 v[192:193], v[204:205], v[202:203]
	v_fmac_f64_e32 v[196:197], v[6:7], v[146:147]
	v_fma_f64 v[202:203], v[4:5], v[146:147], -v[148:149]
	ds_load_b128 v[4:7], v2 offset:1648
	s_wait_loadcnt_dscnt 0xb01
	v_mul_f64_e32 v[200:201], v[182:183], v[152:153]
	v_mul_f64_e32 v[152:153], v[184:185], v[152:153]
	scratch_load_b128 v[146:149], off, off offset:816
	v_add_f64_e32 v[194:195], v[194:195], v[198:199]
	s_wait_loadcnt_dscnt 0xb00
	v_mul_f64_e32 v[198:199], v[4:5], v[156:157]
	v_add_f64_e32 v[204:205], v[192:193], v[190:191]
	v_mul_f64_e32 v[156:157], v[6:7], v[156:157]
	ds_load_b128 v[190:193], v2 offset:1664
	v_fmac_f64_e32 v[200:201], v[184:185], v[150:151]
	v_fma_f64 v[182:183], v[182:183], v[150:151], -v[152:153]
	scratch_load_b128 v[150:153], off, off offset:832
	v_add_f64_e32 v[194:195], v[194:195], v[196:197]
	v_fmac_f64_e32 v[198:199], v[6:7], v[154:155]
	v_add_f64_e32 v[184:185], v[204:205], v[202:203]
	v_fma_f64 v[202:203], v[4:5], v[154:155], -v[156:157]
	ds_load_b128 v[4:7], v2 offset:1680
	s_wait_loadcnt_dscnt 0xb01
	v_mul_f64_e32 v[196:197], v[190:191], v[160:161]
	v_mul_f64_e32 v[160:161], v[192:193], v[160:161]
	scratch_load_b128 v[154:157], off, off offset:848
	v_add_f64_e32 v[194:195], v[194:195], v[200:201]
	s_wait_loadcnt_dscnt 0xb00
	v_mul_f64_e32 v[200:201], v[4:5], v[164:165]
	v_add_f64_e32 v[204:205], v[184:185], v[182:183]
	v_mul_f64_e32 v[164:165], v[6:7], v[164:165]
	ds_load_b128 v[182:185], v2 offset:1696
	v_fmac_f64_e32 v[196:197], v[192:193], v[158:159]
	v_fma_f64 v[190:191], v[190:191], v[158:159], -v[160:161]
	scratch_load_b128 v[158:161], off, off offset:864
	v_add_f64_e32 v[194:195], v[194:195], v[198:199]
	v_fmac_f64_e32 v[200:201], v[6:7], v[162:163]
	v_add_f64_e32 v[192:193], v[204:205], v[202:203]
	;; [unrolled: 18-line block ×3, first 2 shown]
	v_fma_f64 v[202:203], v[4:5], v[174:175], -v[176:177]
	ds_load_b128 v[4:7], v2 offset:1744
	s_wait_loadcnt_dscnt 0xa01
	v_mul_f64_e32 v[200:201], v[190:191], v[188:189]
	v_mul_f64_e32 v[188:189], v[192:193], v[188:189]
	scratch_load_b128 v[174:177], off, off offset:912
	v_add_f64_e32 v[194:195], v[194:195], v[198:199]
	v_add_f64_e32 v[204:205], v[184:185], v[182:183]
	s_wait_loadcnt_dscnt 0xa00
	v_mul_f64_e32 v[198:199], v[4:5], v[172:173]
	v_mul_f64_e32 v[172:173], v[6:7], v[172:173]
	v_fmac_f64_e32 v[200:201], v[192:193], v[186:187]
	v_fma_f64 v[190:191], v[190:191], v[186:187], -v[188:189]
	ds_load_b128 v[182:185], v2 offset:1760
	scratch_load_b128 v[186:189], off, off offset:928
	v_add_f64_e32 v[194:195], v[194:195], v[196:197]
	v_add_f64_e32 v[192:193], v[204:205], v[202:203]
	v_fmac_f64_e32 v[198:199], v[6:7], v[170:171]
	v_fma_f64 v[202:203], v[4:5], v[170:171], -v[172:173]
	ds_load_b128 v[4:7], v2 offset:1776
	s_wait_loadcnt_dscnt 0xa01
	v_mul_f64_e32 v[196:197], v[182:183], v[10:11]
	v_mul_f64_e32 v[10:11], v[184:185], v[10:11]
	scratch_load_b128 v[170:173], off, off offset:944
	v_add_f64_e32 v[194:195], v[194:195], v[200:201]
	s_wait_loadcnt_dscnt 0xa00
	v_mul_f64_e32 v[200:201], v[4:5], v[14:15]
	v_add_f64_e32 v[204:205], v[192:193], v[190:191]
	v_mul_f64_e32 v[14:15], v[6:7], v[14:15]
	ds_load_b128 v[190:193], v2 offset:1792
	v_fmac_f64_e32 v[196:197], v[184:185], v[8:9]
	v_fma_f64 v[182:183], v[182:183], v[8:9], -v[10:11]
	scratch_load_b128 v[8:11], off, off offset:960
	v_add_f64_e32 v[194:195], v[194:195], v[198:199]
	v_fmac_f64_e32 v[200:201], v[6:7], v[12:13]
	v_add_f64_e32 v[184:185], v[204:205], v[202:203]
	v_fma_f64 v[202:203], v[4:5], v[12:13], -v[14:15]
	ds_load_b128 v[4:7], v2 offset:1808
	s_wait_loadcnt_dscnt 0xa01
	v_mul_f64_e32 v[198:199], v[190:191], v[144:145]
	v_mul_f64_e32 v[144:145], v[192:193], v[144:145]
	scratch_load_b128 v[12:15], off, off offset:976
	v_add_f64_e32 v[194:195], v[194:195], v[196:197]
	s_wait_loadcnt_dscnt 0xa00
	v_mul_f64_e32 v[196:197], v[4:5], v[148:149]
	v_add_f64_e32 v[204:205], v[184:185], v[182:183]
	v_mul_f64_e32 v[148:149], v[6:7], v[148:149]
	ds_load_b128 v[182:185], v2 offset:1824
	v_fmac_f64_e32 v[198:199], v[192:193], v[142:143]
	v_fma_f64 v[142:143], v[190:191], v[142:143], -v[144:145]
	s_wait_loadcnt_dscnt 0x900
	v_mul_f64_e32 v[192:193], v[182:183], v[152:153]
	v_mul_f64_e32 v[152:153], v[184:185], v[152:153]
	v_add_f64_e32 v[190:191], v[194:195], v[200:201]
	v_fmac_f64_e32 v[196:197], v[6:7], v[146:147]
	v_add_f64_e32 v[144:145], v[204:205], v[202:203]
	v_fma_f64 v[146:147], v[4:5], v[146:147], -v[148:149]
	v_fmac_f64_e32 v[192:193], v[184:185], v[150:151]
	v_fma_f64 v[150:151], v[182:183], v[150:151], -v[152:153]
	v_add_f64_e32 v[190:191], v[190:191], v[198:199]
	v_add_f64_e32 v[148:149], v[144:145], v[142:143]
	ds_load_b128 v[4:7], v2 offset:1840
	ds_load_b128 v[142:145], v2 offset:1856
	s_wait_loadcnt_dscnt 0x801
	v_mul_f64_e32 v[194:195], v[4:5], v[156:157]
	v_mul_f64_e32 v[156:157], v[6:7], v[156:157]
	s_wait_loadcnt_dscnt 0x700
	v_mul_f64_e32 v[152:153], v[142:143], v[160:161]
	v_mul_f64_e32 v[160:161], v[144:145], v[160:161]
	v_add_f64_e32 v[146:147], v[148:149], v[146:147]
	v_add_f64_e32 v[148:149], v[190:191], v[196:197]
	v_fmac_f64_e32 v[194:195], v[6:7], v[154:155]
	v_fma_f64 v[154:155], v[4:5], v[154:155], -v[156:157]
	v_fmac_f64_e32 v[152:153], v[144:145], v[158:159]
	v_fma_f64 v[142:143], v[142:143], v[158:159], -v[160:161]
	v_add_f64_e32 v[150:151], v[146:147], v[150:151]
	v_add_f64_e32 v[156:157], v[148:149], v[192:193]
	ds_load_b128 v[4:7], v2 offset:1872
	ds_load_b128 v[146:149], v2 offset:1888
	s_wait_loadcnt_dscnt 0x601
	v_mul_f64_e32 v[182:183], v[4:5], v[164:165]
	v_mul_f64_e32 v[164:165], v[6:7], v[164:165]
	v_add_f64_e32 v[144:145], v[150:151], v[154:155]
	v_add_f64_e32 v[150:151], v[156:157], v[194:195]
	s_wait_loadcnt_dscnt 0x500
	v_mul_f64_e32 v[154:155], v[146:147], v[168:169]
	v_mul_f64_e32 v[156:157], v[148:149], v[168:169]
	v_fmac_f64_e32 v[182:183], v[6:7], v[162:163]
	v_fma_f64 v[158:159], v[4:5], v[162:163], -v[164:165]
	v_add_f64_e32 v[160:161], v[144:145], v[142:143]
	v_add_f64_e32 v[150:151], v[150:151], v[152:153]
	ds_load_b128 v[4:7], v2 offset:1904
	ds_load_b128 v[142:145], v2 offset:1920
	v_fmac_f64_e32 v[154:155], v[148:149], v[166:167]
	v_fma_f64 v[146:147], v[146:147], v[166:167], -v[156:157]
	s_wait_loadcnt_dscnt 0x401
	v_mul_f64_e32 v[152:153], v[4:5], v[176:177]
	v_mul_f64_e32 v[162:163], v[6:7], v[176:177]
	s_wait_loadcnt_dscnt 0x300
	v_mul_f64_e32 v[156:157], v[142:143], v[188:189]
	v_add_f64_e32 v[148:149], v[160:161], v[158:159]
	v_add_f64_e32 v[150:151], v[150:151], v[182:183]
	v_mul_f64_e32 v[158:159], v[144:145], v[188:189]
	v_fmac_f64_e32 v[152:153], v[6:7], v[174:175]
	v_fma_f64 v[160:161], v[4:5], v[174:175], -v[162:163]
	v_fmac_f64_e32 v[156:157], v[144:145], v[186:187]
	v_add_f64_e32 v[162:163], v[148:149], v[146:147]
	v_add_f64_e32 v[150:151], v[150:151], v[154:155]
	ds_load_b128 v[4:7], v2 offset:1936
	ds_load_b128 v[146:149], v2 offset:1952
	v_fma_f64 v[142:143], v[142:143], v[186:187], -v[158:159]
	s_wait_loadcnt_dscnt 0x201
	v_mul_f64_e32 v[154:155], v[4:5], v[172:173]
	v_mul_f64_e32 v[164:165], v[6:7], v[172:173]
	v_add_f64_e32 v[144:145], v[162:163], v[160:161]
	v_add_f64_e32 v[150:151], v[150:151], v[152:153]
	s_wait_loadcnt_dscnt 0x100
	v_mul_f64_e32 v[152:153], v[146:147], v[10:11]
	v_mul_f64_e32 v[10:11], v[148:149], v[10:11]
	v_fmac_f64_e32 v[154:155], v[6:7], v[170:171]
	v_fma_f64 v[158:159], v[4:5], v[170:171], -v[164:165]
	ds_load_b128 v[4:7], v2 offset:1968
	v_add_f64_e32 v[142:143], v[144:145], v[142:143]
	v_add_f64_e32 v[144:145], v[150:151], v[156:157]
	v_fmac_f64_e32 v[152:153], v[148:149], v[8:9]
	v_fma_f64 v[8:9], v[146:147], v[8:9], -v[10:11]
	s_wait_loadcnt_dscnt 0x0
	v_mul_f64_e32 v[150:151], v[4:5], v[14:15]
	v_mul_f64_e32 v[14:15], v[6:7], v[14:15]
	v_add_f64_e32 v[10:11], v[142:143], v[158:159]
	v_add_f64_e32 v[142:143], v[144:145], v[154:155]
	s_delay_alu instid0(VALU_DEP_4) | instskip(NEXT) | instid1(VALU_DEP_4)
	v_fmac_f64_e32 v[150:151], v[6:7], v[12:13]
	v_fma_f64 v[4:5], v[4:5], v[12:13], -v[14:15]
	s_delay_alu instid0(VALU_DEP_4) | instskip(NEXT) | instid1(VALU_DEP_4)
	v_add_f64_e32 v[6:7], v[10:11], v[8:9]
	v_add_f64_e32 v[8:9], v[142:143], v[152:153]
	s_delay_alu instid0(VALU_DEP_2) | instskip(NEXT) | instid1(VALU_DEP_2)
	v_add_f64_e32 v[4:5], v[6:7], v[4:5]
	v_add_f64_e32 v[6:7], v[8:9], v[150:151]
	s_delay_alu instid0(VALU_DEP_2) | instskip(NEXT) | instid1(VALU_DEP_2)
	v_add_f64_e64 v[4:5], v[178:179], -v[4:5]
	v_add_f64_e64 v[6:7], v[180:181], -v[6:7]
	scratch_store_b128 off, v[4:7], off offset:544
	s_wait_xcnt 0x0
	v_cmpx_lt_u32_e32 33, v1
	s_cbranch_execz .LBB125_331
; %bb.330:
	scratch_load_b128 v[6:9], off, s47
	v_dual_mov_b32 v3, v2 :: v_dual_mov_b32 v4, v2
	v_mov_b32_e32 v5, v2
	scratch_store_b128 off, v[2:5], off offset:528
	s_wait_loadcnt 0x0
	ds_store_b128 v16, v[6:9]
.LBB125_331:
	s_wait_xcnt 0x0
	s_or_b32 exec_lo, exec_lo, s2
	s_wait_storecnt_dscnt 0x0
	s_barrier_signal -1
	s_barrier_wait -1
	s_clause 0x9
	scratch_load_b128 v[4:7], off, off offset:544
	scratch_load_b128 v[8:11], off, off offset:560
	;; [unrolled: 1-line block ×10, first 2 shown]
	ds_load_b128 v[170:173], v2 offset:1536
	ds_load_b128 v[178:181], v2 offset:1552
	s_clause 0x2
	scratch_load_b128 v[174:177], off, off offset:704
	scratch_load_b128 v[182:185], off, off offset:528
	;; [unrolled: 1-line block ×3, first 2 shown]
	s_mov_b32 s2, exec_lo
	s_wait_loadcnt_dscnt 0xc01
	v_mul_f64_e32 v[190:191], v[172:173], v[6:7]
	v_mul_f64_e32 v[194:195], v[170:171], v[6:7]
	s_wait_loadcnt_dscnt 0xb00
	v_mul_f64_e32 v[196:197], v[178:179], v[10:11]
	v_mul_f64_e32 v[10:11], v[180:181], v[10:11]
	s_delay_alu instid0(VALU_DEP_4) | instskip(NEXT) | instid1(VALU_DEP_4)
	v_fma_f64 v[198:199], v[170:171], v[4:5], -v[190:191]
	v_fmac_f64_e32 v[194:195], v[172:173], v[4:5]
	ds_load_b128 v[4:7], v2 offset:1568
	ds_load_b128 v[170:173], v2 offset:1584
	scratch_load_b128 v[190:193], off, off offset:736
	v_fmac_f64_e32 v[196:197], v[180:181], v[8:9]
	v_fma_f64 v[178:179], v[178:179], v[8:9], -v[10:11]
	scratch_load_b128 v[8:11], off, off offset:752
	s_wait_loadcnt_dscnt 0xc01
	v_mul_f64_e32 v[200:201], v[4:5], v[14:15]
	v_mul_f64_e32 v[14:15], v[6:7], v[14:15]
	v_add_f64_e32 v[180:181], 0, v[198:199]
	v_add_f64_e32 v[194:195], 0, v[194:195]
	s_wait_loadcnt_dscnt 0xb00
	v_mul_f64_e32 v[198:199], v[170:171], v[144:145]
	v_mul_f64_e32 v[144:145], v[172:173], v[144:145]
	v_fmac_f64_e32 v[200:201], v[6:7], v[12:13]
	v_fma_f64 v[202:203], v[4:5], v[12:13], -v[14:15]
	ds_load_b128 v[4:7], v2 offset:1600
	ds_load_b128 v[12:15], v2 offset:1616
	v_add_f64_e32 v[204:205], v[180:181], v[178:179]
	v_add_f64_e32 v[194:195], v[194:195], v[196:197]
	scratch_load_b128 v[178:181], off, off offset:768
	v_fmac_f64_e32 v[198:199], v[172:173], v[142:143]
	v_fma_f64 v[170:171], v[170:171], v[142:143], -v[144:145]
	scratch_load_b128 v[142:145], off, off offset:784
	s_wait_loadcnt_dscnt 0xc01
	v_mul_f64_e32 v[196:197], v[4:5], v[148:149]
	v_mul_f64_e32 v[148:149], v[6:7], v[148:149]
	v_add_f64_e32 v[172:173], v[204:205], v[202:203]
	v_add_f64_e32 v[194:195], v[194:195], v[200:201]
	s_wait_loadcnt_dscnt 0xb00
	v_mul_f64_e32 v[200:201], v[12:13], v[152:153]
	v_mul_f64_e32 v[152:153], v[14:15], v[152:153]
	v_fmac_f64_e32 v[196:197], v[6:7], v[146:147]
	v_fma_f64 v[202:203], v[4:5], v[146:147], -v[148:149]
	ds_load_b128 v[4:7], v2 offset:1632
	ds_load_b128 v[146:149], v2 offset:1648
	v_add_f64_e32 v[204:205], v[172:173], v[170:171]
	v_add_f64_e32 v[194:195], v[194:195], v[198:199]
	scratch_load_b128 v[170:173], off, off offset:800
	s_wait_loadcnt_dscnt 0xb01
	v_mul_f64_e32 v[198:199], v[4:5], v[156:157]
	v_mul_f64_e32 v[156:157], v[6:7], v[156:157]
	v_fmac_f64_e32 v[200:201], v[14:15], v[150:151]
	v_fma_f64 v[150:151], v[12:13], v[150:151], -v[152:153]
	scratch_load_b128 v[12:15], off, off offset:816
	v_add_f64_e32 v[152:153], v[204:205], v[202:203]
	v_add_f64_e32 v[194:195], v[194:195], v[196:197]
	s_wait_loadcnt_dscnt 0xb00
	v_mul_f64_e32 v[196:197], v[146:147], v[160:161]
	v_mul_f64_e32 v[160:161], v[148:149], v[160:161]
	v_fmac_f64_e32 v[198:199], v[6:7], v[154:155]
	v_fma_f64 v[202:203], v[4:5], v[154:155], -v[156:157]
	v_add_f64_e32 v[204:205], v[152:153], v[150:151]
	v_add_f64_e32 v[194:195], v[194:195], v[200:201]
	ds_load_b128 v[4:7], v2 offset:1664
	ds_load_b128 v[150:153], v2 offset:1680
	scratch_load_b128 v[154:157], off, off offset:832
	v_fmac_f64_e32 v[196:197], v[148:149], v[158:159]
	v_fma_f64 v[158:159], v[146:147], v[158:159], -v[160:161]
	scratch_load_b128 v[146:149], off, off offset:848
	s_wait_loadcnt_dscnt 0xc01
	v_mul_f64_e32 v[200:201], v[4:5], v[164:165]
	v_mul_f64_e32 v[164:165], v[6:7], v[164:165]
	v_add_f64_e32 v[160:161], v[204:205], v[202:203]
	v_add_f64_e32 v[194:195], v[194:195], v[198:199]
	s_wait_loadcnt_dscnt 0xb00
	v_mul_f64_e32 v[198:199], v[150:151], v[168:169]
	v_mul_f64_e32 v[168:169], v[152:153], v[168:169]
	v_fmac_f64_e32 v[200:201], v[6:7], v[162:163]
	v_fma_f64 v[202:203], v[4:5], v[162:163], -v[164:165]
	v_add_f64_e32 v[204:205], v[160:161], v[158:159]
	v_add_f64_e32 v[194:195], v[194:195], v[196:197]
	ds_load_b128 v[4:7], v2 offset:1696
	ds_load_b128 v[158:161], v2 offset:1712
	scratch_load_b128 v[162:165], off, off offset:864
	v_fmac_f64_e32 v[198:199], v[152:153], v[166:167]
	v_fma_f64 v[166:167], v[150:151], v[166:167], -v[168:169]
	scratch_load_b128 v[150:153], off, off offset:880
	s_wait_loadcnt_dscnt 0xc01
	v_mul_f64_e32 v[196:197], v[4:5], v[176:177]
	v_mul_f64_e32 v[176:177], v[6:7], v[176:177]
	v_add_f64_e32 v[168:169], v[204:205], v[202:203]
	v_add_f64_e32 v[194:195], v[194:195], v[200:201]
	s_wait_loadcnt_dscnt 0xa00
	v_mul_f64_e32 v[200:201], v[158:159], v[188:189]
	v_mul_f64_e32 v[188:189], v[160:161], v[188:189]
	v_fmac_f64_e32 v[196:197], v[6:7], v[174:175]
	v_fma_f64 v[202:203], v[4:5], v[174:175], -v[176:177]
	v_add_f64_e32 v[204:205], v[168:169], v[166:167]
	v_add_f64_e32 v[194:195], v[194:195], v[198:199]
	ds_load_b128 v[4:7], v2 offset:1728
	ds_load_b128 v[166:169], v2 offset:1744
	scratch_load_b128 v[174:177], off, off offset:896
	v_fmac_f64_e32 v[200:201], v[160:161], v[186:187]
	v_fma_f64 v[186:187], v[158:159], v[186:187], -v[188:189]
	scratch_load_b128 v[158:161], off, off offset:912
	s_wait_loadcnt_dscnt 0xb01
	v_mul_f64_e32 v[198:199], v[4:5], v[192:193]
	v_mul_f64_e32 v[192:193], v[6:7], v[192:193]
	v_add_f64_e32 v[188:189], v[204:205], v[202:203]
	v_add_f64_e32 v[194:195], v[194:195], v[196:197]
	s_wait_loadcnt_dscnt 0xa00
	v_mul_f64_e32 v[196:197], v[166:167], v[10:11]
	v_mul_f64_e32 v[10:11], v[168:169], v[10:11]
	v_fmac_f64_e32 v[198:199], v[6:7], v[190:191]
	v_fma_f64 v[202:203], v[4:5], v[190:191], -v[192:193]
	v_add_f64_e32 v[204:205], v[188:189], v[186:187]
	v_add_f64_e32 v[194:195], v[194:195], v[200:201]
	ds_load_b128 v[4:7], v2 offset:1760
	ds_load_b128 v[186:189], v2 offset:1776
	scratch_load_b128 v[190:193], off, off offset:928
	v_fmac_f64_e32 v[196:197], v[168:169], v[8:9]
	v_fma_f64 v[166:167], v[166:167], v[8:9], -v[10:11]
	scratch_load_b128 v[8:11], off, off offset:944
	s_wait_loadcnt_dscnt 0xb01
	v_mul_f64_e32 v[200:201], v[4:5], v[180:181]
	v_mul_f64_e32 v[180:181], v[6:7], v[180:181]
	v_add_f64_e32 v[168:169], v[204:205], v[202:203]
	v_add_f64_e32 v[194:195], v[194:195], v[198:199]
	s_wait_loadcnt_dscnt 0xa00
	v_mul_f64_e32 v[198:199], v[186:187], v[144:145]
	v_mul_f64_e32 v[144:145], v[188:189], v[144:145]
	v_fmac_f64_e32 v[200:201], v[6:7], v[178:179]
	v_fma_f64 v[202:203], v[4:5], v[178:179], -v[180:181]
	v_add_f64_e32 v[204:205], v[168:169], v[166:167]
	v_add_f64_e32 v[194:195], v[194:195], v[196:197]
	ds_load_b128 v[4:7], v2 offset:1792
	ds_load_b128 v[166:169], v2 offset:1808
	scratch_load_b128 v[178:181], off, off offset:960
	v_fmac_f64_e32 v[198:199], v[188:189], v[142:143]
	v_fma_f64 v[186:187], v[186:187], v[142:143], -v[144:145]
	scratch_load_b128 v[142:145], off, off offset:976
	s_wait_loadcnt_dscnt 0xb01
	v_mul_f64_e32 v[196:197], v[4:5], v[172:173]
	v_mul_f64_e32 v[172:173], v[6:7], v[172:173]
	v_add_f64_e32 v[188:189], v[204:205], v[202:203]
	v_add_f64_e32 v[194:195], v[194:195], v[200:201]
	s_wait_loadcnt_dscnt 0xa00
	v_mul_f64_e32 v[200:201], v[166:167], v[14:15]
	v_mul_f64_e32 v[14:15], v[168:169], v[14:15]
	v_fmac_f64_e32 v[196:197], v[6:7], v[170:171]
	v_fma_f64 v[202:203], v[4:5], v[170:171], -v[172:173]
	ds_load_b128 v[4:7], v2 offset:1824
	ds_load_b128 v[170:173], v2 offset:1840
	v_add_f64_e32 v[186:187], v[188:189], v[186:187]
	v_add_f64_e32 v[188:189], v[194:195], v[198:199]
	v_fmac_f64_e32 v[200:201], v[168:169], v[12:13]
	v_fma_f64 v[12:13], v[166:167], v[12:13], -v[14:15]
	s_wait_loadcnt_dscnt 0x901
	v_mul_f64_e32 v[194:195], v[4:5], v[156:157]
	v_mul_f64_e32 v[156:157], v[6:7], v[156:157]
	s_wait_loadcnt_dscnt 0x800
	v_mul_f64_e32 v[168:169], v[170:171], v[148:149]
	v_mul_f64_e32 v[148:149], v[172:173], v[148:149]
	v_add_f64_e32 v[14:15], v[186:187], v[202:203]
	v_add_f64_e32 v[166:167], v[188:189], v[196:197]
	v_fmac_f64_e32 v[194:195], v[6:7], v[154:155]
	v_fma_f64 v[154:155], v[4:5], v[154:155], -v[156:157]
	v_fmac_f64_e32 v[168:169], v[172:173], v[146:147]
	v_fma_f64 v[146:147], v[170:171], v[146:147], -v[148:149]
	v_add_f64_e32 v[156:157], v[14:15], v[12:13]
	v_add_f64_e32 v[166:167], v[166:167], v[200:201]
	ds_load_b128 v[4:7], v2 offset:1856
	ds_load_b128 v[12:15], v2 offset:1872
	s_wait_loadcnt_dscnt 0x701
	v_mul_f64_e32 v[186:187], v[4:5], v[164:165]
	v_mul_f64_e32 v[164:165], v[6:7], v[164:165]
	v_add_f64_e32 v[148:149], v[156:157], v[154:155]
	v_add_f64_e32 v[154:155], v[166:167], v[194:195]
	s_wait_loadcnt_dscnt 0x600
	v_mul_f64_e32 v[156:157], v[12:13], v[152:153]
	v_mul_f64_e32 v[152:153], v[14:15], v[152:153]
	v_fmac_f64_e32 v[186:187], v[6:7], v[162:163]
	v_fma_f64 v[162:163], v[4:5], v[162:163], -v[164:165]
	v_add_f64_e32 v[164:165], v[148:149], v[146:147]
	v_add_f64_e32 v[154:155], v[154:155], v[168:169]
	ds_load_b128 v[4:7], v2 offset:1888
	ds_load_b128 v[146:149], v2 offset:1904
	v_fmac_f64_e32 v[156:157], v[14:15], v[150:151]
	v_fma_f64 v[12:13], v[12:13], v[150:151], -v[152:153]
	s_wait_loadcnt_dscnt 0x501
	v_mul_f64_e32 v[166:167], v[4:5], v[176:177]
	v_mul_f64_e32 v[168:169], v[6:7], v[176:177]
	s_wait_loadcnt_dscnt 0x400
	v_mul_f64_e32 v[152:153], v[146:147], v[160:161]
	v_add_f64_e32 v[14:15], v[164:165], v[162:163]
	v_add_f64_e32 v[150:151], v[154:155], v[186:187]
	v_mul_f64_e32 v[154:155], v[148:149], v[160:161]
	v_fmac_f64_e32 v[166:167], v[6:7], v[174:175]
	v_fma_f64 v[160:161], v[4:5], v[174:175], -v[168:169]
	v_fmac_f64_e32 v[152:153], v[148:149], v[158:159]
	v_add_f64_e32 v[162:163], v[14:15], v[12:13]
	v_add_f64_e32 v[150:151], v[150:151], v[156:157]
	ds_load_b128 v[4:7], v2 offset:1920
	ds_load_b128 v[12:15], v2 offset:1936
	v_fma_f64 v[146:147], v[146:147], v[158:159], -v[154:155]
	s_wait_loadcnt_dscnt 0x301
	v_mul_f64_e32 v[156:157], v[4:5], v[192:193]
	v_mul_f64_e32 v[164:165], v[6:7], v[192:193]
	s_wait_loadcnt_dscnt 0x200
	v_mul_f64_e32 v[154:155], v[12:13], v[10:11]
	v_mul_f64_e32 v[10:11], v[14:15], v[10:11]
	v_add_f64_e32 v[148:149], v[162:163], v[160:161]
	v_add_f64_e32 v[150:151], v[150:151], v[166:167]
	v_fmac_f64_e32 v[156:157], v[6:7], v[190:191]
	v_fma_f64 v[158:159], v[4:5], v[190:191], -v[164:165]
	v_fmac_f64_e32 v[154:155], v[14:15], v[8:9]
	v_fma_f64 v[8:9], v[12:13], v[8:9], -v[10:11]
	v_add_f64_e32 v[160:161], v[148:149], v[146:147]
	v_add_f64_e32 v[150:151], v[150:151], v[152:153]
	ds_load_b128 v[4:7], v2 offset:1952
	ds_load_b128 v[146:149], v2 offset:1968
	s_wait_loadcnt_dscnt 0x101
	v_mul_f64_e32 v[2:3], v[4:5], v[180:181]
	v_mul_f64_e32 v[152:153], v[6:7], v[180:181]
	s_wait_loadcnt_dscnt 0x0
	v_mul_f64_e32 v[14:15], v[146:147], v[144:145]
	v_mul_f64_e32 v[144:145], v[148:149], v[144:145]
	v_add_f64_e32 v[10:11], v[160:161], v[158:159]
	v_add_f64_e32 v[12:13], v[150:151], v[156:157]
	v_fmac_f64_e32 v[2:3], v[6:7], v[178:179]
	v_fma_f64 v[4:5], v[4:5], v[178:179], -v[152:153]
	v_fmac_f64_e32 v[14:15], v[148:149], v[142:143]
	v_add_f64_e32 v[6:7], v[10:11], v[8:9]
	v_add_f64_e32 v[8:9], v[12:13], v[154:155]
	v_fma_f64 v[10:11], v[146:147], v[142:143], -v[144:145]
	s_delay_alu instid0(VALU_DEP_3) | instskip(NEXT) | instid1(VALU_DEP_3)
	v_add_f64_e32 v[4:5], v[6:7], v[4:5]
	v_add_f64_e32 v[2:3], v[8:9], v[2:3]
	s_delay_alu instid0(VALU_DEP_2) | instskip(NEXT) | instid1(VALU_DEP_2)
	v_add_f64_e32 v[4:5], v[4:5], v[10:11]
	v_add_f64_e32 v[6:7], v[2:3], v[14:15]
	s_delay_alu instid0(VALU_DEP_2) | instskip(NEXT) | instid1(VALU_DEP_2)
	v_add_f64_e64 v[2:3], v[182:183], -v[4:5]
	v_add_f64_e64 v[4:5], v[184:185], -v[6:7]
	scratch_store_b128 off, v[2:5], off offset:528
	s_wait_xcnt 0x0
	v_cmpx_lt_u32_e32 32, v1
	s_cbranch_execz .LBB125_333
; %bb.332:
	scratch_load_b128 v[2:5], off, s48
	v_mov_b32_e32 v6, 0
	s_delay_alu instid0(VALU_DEP_1)
	v_dual_mov_b32 v7, v6 :: v_dual_mov_b32 v8, v6
	v_mov_b32_e32 v9, v6
	scratch_store_b128 off, v[6:9], off offset:512
	s_wait_loadcnt 0x0
	ds_store_b128 v16, v[2:5]
.LBB125_333:
	s_wait_xcnt 0x0
	s_or_b32 exec_lo, exec_lo, s2
	s_wait_storecnt_dscnt 0x0
	s_barrier_signal -1
	s_barrier_wait -1
	s_clause 0x9
	scratch_load_b128 v[4:7], off, off offset:528
	scratch_load_b128 v[8:11], off, off offset:544
	;; [unrolled: 1-line block ×10, first 2 shown]
	v_mov_b32_e32 v2, 0
	s_mov_b32 s2, exec_lo
	ds_load_b128 v[170:173], v2 offset:1520
	s_clause 0x2
	scratch_load_b128 v[174:177], off, off offset:688
	scratch_load_b128 v[178:181], off, off offset:512
	;; [unrolled: 1-line block ×3, first 2 shown]
	s_wait_loadcnt_dscnt 0xc00
	v_mul_f64_e32 v[190:191], v[172:173], v[6:7]
	v_mul_f64_e32 v[194:195], v[170:171], v[6:7]
	ds_load_b128 v[182:185], v2 offset:1536
	v_fma_f64 v[198:199], v[170:171], v[4:5], -v[190:191]
	v_fmac_f64_e32 v[194:195], v[172:173], v[4:5]
	ds_load_b128 v[4:7], v2 offset:1552
	s_wait_loadcnt_dscnt 0xb01
	v_mul_f64_e32 v[196:197], v[182:183], v[10:11]
	v_mul_f64_e32 v[10:11], v[184:185], v[10:11]
	scratch_load_b128 v[170:173], off, off offset:720
	ds_load_b128 v[190:193], v2 offset:1568
	s_wait_loadcnt_dscnt 0xb01
	v_mul_f64_e32 v[200:201], v[4:5], v[14:15]
	v_mul_f64_e32 v[14:15], v[6:7], v[14:15]
	v_add_f64_e32 v[194:195], 0, v[194:195]
	v_fmac_f64_e32 v[196:197], v[184:185], v[8:9]
	v_fma_f64 v[182:183], v[182:183], v[8:9], -v[10:11]
	v_add_f64_e32 v[184:185], 0, v[198:199]
	scratch_load_b128 v[8:11], off, off offset:736
	v_fmac_f64_e32 v[200:201], v[6:7], v[12:13]
	v_fma_f64 v[202:203], v[4:5], v[12:13], -v[14:15]
	ds_load_b128 v[4:7], v2 offset:1584
	s_wait_loadcnt_dscnt 0xb01
	v_mul_f64_e32 v[198:199], v[190:191], v[144:145]
	v_mul_f64_e32 v[144:145], v[192:193], v[144:145]
	scratch_load_b128 v[12:15], off, off offset:752
	v_add_f64_e32 v[194:195], v[194:195], v[196:197]
	v_add_f64_e32 v[204:205], v[184:185], v[182:183]
	ds_load_b128 v[182:185], v2 offset:1600
	s_wait_loadcnt_dscnt 0xb01
	v_mul_f64_e32 v[196:197], v[4:5], v[148:149]
	v_mul_f64_e32 v[148:149], v[6:7], v[148:149]
	v_fmac_f64_e32 v[198:199], v[192:193], v[142:143]
	v_fma_f64 v[190:191], v[190:191], v[142:143], -v[144:145]
	scratch_load_b128 v[142:145], off, off offset:768
	v_add_f64_e32 v[194:195], v[194:195], v[200:201]
	v_add_f64_e32 v[192:193], v[204:205], v[202:203]
	v_fmac_f64_e32 v[196:197], v[6:7], v[146:147]
	v_fma_f64 v[202:203], v[4:5], v[146:147], -v[148:149]
	ds_load_b128 v[4:7], v2 offset:1616
	s_wait_loadcnt_dscnt 0xb01
	v_mul_f64_e32 v[200:201], v[182:183], v[152:153]
	v_mul_f64_e32 v[152:153], v[184:185], v[152:153]
	scratch_load_b128 v[146:149], off, off offset:784
	v_add_f64_e32 v[194:195], v[194:195], v[198:199]
	s_wait_loadcnt_dscnt 0xb00
	v_mul_f64_e32 v[198:199], v[4:5], v[156:157]
	v_add_f64_e32 v[204:205], v[192:193], v[190:191]
	v_mul_f64_e32 v[156:157], v[6:7], v[156:157]
	ds_load_b128 v[190:193], v2 offset:1632
	v_fmac_f64_e32 v[200:201], v[184:185], v[150:151]
	v_fma_f64 v[182:183], v[182:183], v[150:151], -v[152:153]
	scratch_load_b128 v[150:153], off, off offset:800
	v_add_f64_e32 v[194:195], v[194:195], v[196:197]
	v_fmac_f64_e32 v[198:199], v[6:7], v[154:155]
	v_add_f64_e32 v[184:185], v[204:205], v[202:203]
	v_fma_f64 v[202:203], v[4:5], v[154:155], -v[156:157]
	ds_load_b128 v[4:7], v2 offset:1648
	s_wait_loadcnt_dscnt 0xb01
	v_mul_f64_e32 v[196:197], v[190:191], v[160:161]
	v_mul_f64_e32 v[160:161], v[192:193], v[160:161]
	scratch_load_b128 v[154:157], off, off offset:816
	v_add_f64_e32 v[194:195], v[194:195], v[200:201]
	s_wait_loadcnt_dscnt 0xb00
	v_mul_f64_e32 v[200:201], v[4:5], v[164:165]
	v_add_f64_e32 v[204:205], v[184:185], v[182:183]
	v_mul_f64_e32 v[164:165], v[6:7], v[164:165]
	ds_load_b128 v[182:185], v2 offset:1664
	v_fmac_f64_e32 v[196:197], v[192:193], v[158:159]
	v_fma_f64 v[190:191], v[190:191], v[158:159], -v[160:161]
	scratch_load_b128 v[158:161], off, off offset:832
	v_add_f64_e32 v[194:195], v[194:195], v[198:199]
	v_fmac_f64_e32 v[200:201], v[6:7], v[162:163]
	v_add_f64_e32 v[192:193], v[204:205], v[202:203]
	;; [unrolled: 18-line block ×3, first 2 shown]
	v_fma_f64 v[202:203], v[4:5], v[174:175], -v[176:177]
	ds_load_b128 v[4:7], v2 offset:1712
	s_wait_loadcnt_dscnt 0xa01
	v_mul_f64_e32 v[200:201], v[190:191], v[188:189]
	v_mul_f64_e32 v[188:189], v[192:193], v[188:189]
	scratch_load_b128 v[174:177], off, off offset:880
	v_add_f64_e32 v[194:195], v[194:195], v[198:199]
	v_add_f64_e32 v[204:205], v[184:185], v[182:183]
	s_wait_loadcnt_dscnt 0xa00
	v_mul_f64_e32 v[198:199], v[4:5], v[172:173]
	v_mul_f64_e32 v[172:173], v[6:7], v[172:173]
	v_fmac_f64_e32 v[200:201], v[192:193], v[186:187]
	v_fma_f64 v[190:191], v[190:191], v[186:187], -v[188:189]
	ds_load_b128 v[182:185], v2 offset:1728
	scratch_load_b128 v[186:189], off, off offset:896
	v_add_f64_e32 v[194:195], v[194:195], v[196:197]
	v_add_f64_e32 v[192:193], v[204:205], v[202:203]
	v_fmac_f64_e32 v[198:199], v[6:7], v[170:171]
	v_fma_f64 v[202:203], v[4:5], v[170:171], -v[172:173]
	ds_load_b128 v[4:7], v2 offset:1744
	s_wait_loadcnt_dscnt 0xa01
	v_mul_f64_e32 v[196:197], v[182:183], v[10:11]
	v_mul_f64_e32 v[10:11], v[184:185], v[10:11]
	scratch_load_b128 v[170:173], off, off offset:912
	v_add_f64_e32 v[194:195], v[194:195], v[200:201]
	s_wait_loadcnt_dscnt 0xa00
	v_mul_f64_e32 v[200:201], v[4:5], v[14:15]
	v_add_f64_e32 v[204:205], v[192:193], v[190:191]
	v_mul_f64_e32 v[14:15], v[6:7], v[14:15]
	ds_load_b128 v[190:193], v2 offset:1760
	v_fmac_f64_e32 v[196:197], v[184:185], v[8:9]
	v_fma_f64 v[182:183], v[182:183], v[8:9], -v[10:11]
	scratch_load_b128 v[8:11], off, off offset:928
	v_add_f64_e32 v[194:195], v[194:195], v[198:199]
	v_fmac_f64_e32 v[200:201], v[6:7], v[12:13]
	v_add_f64_e32 v[184:185], v[204:205], v[202:203]
	v_fma_f64 v[202:203], v[4:5], v[12:13], -v[14:15]
	ds_load_b128 v[4:7], v2 offset:1776
	s_wait_loadcnt_dscnt 0xa01
	v_mul_f64_e32 v[198:199], v[190:191], v[144:145]
	v_mul_f64_e32 v[144:145], v[192:193], v[144:145]
	scratch_load_b128 v[12:15], off, off offset:944
	v_add_f64_e32 v[194:195], v[194:195], v[196:197]
	s_wait_loadcnt_dscnt 0xa00
	v_mul_f64_e32 v[196:197], v[4:5], v[148:149]
	v_add_f64_e32 v[204:205], v[184:185], v[182:183]
	v_mul_f64_e32 v[148:149], v[6:7], v[148:149]
	ds_load_b128 v[182:185], v2 offset:1792
	v_fmac_f64_e32 v[198:199], v[192:193], v[142:143]
	v_fma_f64 v[190:191], v[190:191], v[142:143], -v[144:145]
	scratch_load_b128 v[142:145], off, off offset:960
	v_add_f64_e32 v[194:195], v[194:195], v[200:201]
	v_fmac_f64_e32 v[196:197], v[6:7], v[146:147]
	v_add_f64_e32 v[192:193], v[204:205], v[202:203]
	v_fma_f64 v[202:203], v[4:5], v[146:147], -v[148:149]
	ds_load_b128 v[4:7], v2 offset:1808
	s_wait_loadcnt_dscnt 0xa01
	v_mul_f64_e32 v[200:201], v[182:183], v[152:153]
	v_mul_f64_e32 v[152:153], v[184:185], v[152:153]
	scratch_load_b128 v[146:149], off, off offset:976
	v_add_f64_e32 v[194:195], v[194:195], v[198:199]
	s_wait_loadcnt_dscnt 0xa00
	v_mul_f64_e32 v[198:199], v[4:5], v[156:157]
	v_add_f64_e32 v[204:205], v[192:193], v[190:191]
	v_mul_f64_e32 v[156:157], v[6:7], v[156:157]
	ds_load_b128 v[190:193], v2 offset:1824
	v_fmac_f64_e32 v[200:201], v[184:185], v[150:151]
	v_fma_f64 v[150:151], v[182:183], v[150:151], -v[152:153]
	s_wait_loadcnt_dscnt 0x900
	v_mul_f64_e32 v[184:185], v[190:191], v[160:161]
	v_mul_f64_e32 v[160:161], v[192:193], v[160:161]
	v_add_f64_e32 v[182:183], v[194:195], v[196:197]
	v_fmac_f64_e32 v[198:199], v[6:7], v[154:155]
	v_add_f64_e32 v[152:153], v[204:205], v[202:203]
	v_fma_f64 v[154:155], v[4:5], v[154:155], -v[156:157]
	v_fmac_f64_e32 v[184:185], v[192:193], v[158:159]
	v_fma_f64 v[158:159], v[190:191], v[158:159], -v[160:161]
	v_add_f64_e32 v[182:183], v[182:183], v[200:201]
	v_add_f64_e32 v[156:157], v[152:153], v[150:151]
	ds_load_b128 v[4:7], v2 offset:1840
	ds_load_b128 v[150:153], v2 offset:1856
	s_wait_loadcnt_dscnt 0x801
	v_mul_f64_e32 v[194:195], v[4:5], v[164:165]
	v_mul_f64_e32 v[164:165], v[6:7], v[164:165]
	s_wait_loadcnt_dscnt 0x700
	v_mul_f64_e32 v[160:161], v[150:151], v[168:169]
	v_mul_f64_e32 v[168:169], v[152:153], v[168:169]
	v_add_f64_e32 v[154:155], v[156:157], v[154:155]
	v_add_f64_e32 v[156:157], v[182:183], v[198:199]
	v_fmac_f64_e32 v[194:195], v[6:7], v[162:163]
	v_fma_f64 v[162:163], v[4:5], v[162:163], -v[164:165]
	v_fmac_f64_e32 v[160:161], v[152:153], v[166:167]
	v_fma_f64 v[150:151], v[150:151], v[166:167], -v[168:169]
	v_add_f64_e32 v[158:159], v[154:155], v[158:159]
	v_add_f64_e32 v[164:165], v[156:157], v[184:185]
	ds_load_b128 v[4:7], v2 offset:1872
	ds_load_b128 v[154:157], v2 offset:1888
	s_wait_loadcnt_dscnt 0x601
	v_mul_f64_e32 v[182:183], v[4:5], v[176:177]
	v_mul_f64_e32 v[176:177], v[6:7], v[176:177]
	v_add_f64_e32 v[152:153], v[158:159], v[162:163]
	v_add_f64_e32 v[158:159], v[164:165], v[194:195]
	s_wait_loadcnt_dscnt 0x500
	v_mul_f64_e32 v[162:163], v[154:155], v[188:189]
	v_mul_f64_e32 v[164:165], v[156:157], v[188:189]
	v_fmac_f64_e32 v[182:183], v[6:7], v[174:175]
	v_fma_f64 v[166:167], v[4:5], v[174:175], -v[176:177]
	v_add_f64_e32 v[168:169], v[152:153], v[150:151]
	v_add_f64_e32 v[158:159], v[158:159], v[160:161]
	ds_load_b128 v[4:7], v2 offset:1904
	ds_load_b128 v[150:153], v2 offset:1920
	v_fmac_f64_e32 v[162:163], v[156:157], v[186:187]
	v_fma_f64 v[154:155], v[154:155], v[186:187], -v[164:165]
	s_wait_loadcnt_dscnt 0x401
	v_mul_f64_e32 v[160:161], v[4:5], v[172:173]
	v_mul_f64_e32 v[172:173], v[6:7], v[172:173]
	s_wait_loadcnt_dscnt 0x300
	v_mul_f64_e32 v[164:165], v[150:151], v[10:11]
	v_mul_f64_e32 v[10:11], v[152:153], v[10:11]
	v_add_f64_e32 v[156:157], v[168:169], v[166:167]
	v_add_f64_e32 v[158:159], v[158:159], v[182:183]
	v_fmac_f64_e32 v[160:161], v[6:7], v[170:171]
	v_fma_f64 v[166:167], v[4:5], v[170:171], -v[172:173]
	v_fmac_f64_e32 v[164:165], v[152:153], v[8:9]
	v_fma_f64 v[8:9], v[150:151], v[8:9], -v[10:11]
	v_add_f64_e32 v[168:169], v[156:157], v[154:155]
	v_add_f64_e32 v[158:159], v[158:159], v[162:163]
	ds_load_b128 v[4:7], v2 offset:1936
	ds_load_b128 v[154:157], v2 offset:1952
	s_wait_loadcnt_dscnt 0x201
	v_mul_f64_e32 v[162:163], v[4:5], v[14:15]
	v_mul_f64_e32 v[14:15], v[6:7], v[14:15]
	s_wait_loadcnt_dscnt 0x100
	v_mul_f64_e32 v[152:153], v[154:155], v[144:145]
	v_mul_f64_e32 v[144:145], v[156:157], v[144:145]
	v_add_f64_e32 v[10:11], v[168:169], v[166:167]
	v_add_f64_e32 v[150:151], v[158:159], v[160:161]
	v_fmac_f64_e32 v[162:163], v[6:7], v[12:13]
	v_fma_f64 v[12:13], v[4:5], v[12:13], -v[14:15]
	ds_load_b128 v[4:7], v2 offset:1968
	v_fmac_f64_e32 v[152:153], v[156:157], v[142:143]
	v_fma_f64 v[142:143], v[154:155], v[142:143], -v[144:145]
	v_add_f64_e32 v[8:9], v[10:11], v[8:9]
	v_add_f64_e32 v[10:11], v[150:151], v[164:165]
	s_wait_loadcnt_dscnt 0x0
	v_mul_f64_e32 v[14:15], v[4:5], v[148:149]
	v_mul_f64_e32 v[148:149], v[6:7], v[148:149]
	s_delay_alu instid0(VALU_DEP_4) | instskip(NEXT) | instid1(VALU_DEP_4)
	v_add_f64_e32 v[8:9], v[8:9], v[12:13]
	v_add_f64_e32 v[10:11], v[10:11], v[162:163]
	s_delay_alu instid0(VALU_DEP_4) | instskip(NEXT) | instid1(VALU_DEP_4)
	v_fmac_f64_e32 v[14:15], v[6:7], v[146:147]
	v_fma_f64 v[4:5], v[4:5], v[146:147], -v[148:149]
	s_delay_alu instid0(VALU_DEP_4) | instskip(NEXT) | instid1(VALU_DEP_4)
	v_add_f64_e32 v[6:7], v[8:9], v[142:143]
	v_add_f64_e32 v[8:9], v[10:11], v[152:153]
	s_delay_alu instid0(VALU_DEP_2) | instskip(NEXT) | instid1(VALU_DEP_2)
	v_add_f64_e32 v[4:5], v[6:7], v[4:5]
	v_add_f64_e32 v[6:7], v[8:9], v[14:15]
	s_delay_alu instid0(VALU_DEP_2) | instskip(NEXT) | instid1(VALU_DEP_2)
	v_add_f64_e64 v[4:5], v[178:179], -v[4:5]
	v_add_f64_e64 v[6:7], v[180:181], -v[6:7]
	scratch_store_b128 off, v[4:7], off offset:512
	s_wait_xcnt 0x0
	v_cmpx_lt_u32_e32 31, v1
	s_cbranch_execz .LBB125_335
; %bb.334:
	scratch_load_b128 v[6:9], off, s49
	v_dual_mov_b32 v3, v2 :: v_dual_mov_b32 v4, v2
	v_mov_b32_e32 v5, v2
	scratch_store_b128 off, v[2:5], off offset:496
	s_wait_loadcnt 0x0
	ds_store_b128 v16, v[6:9]
.LBB125_335:
	s_wait_xcnt 0x0
	s_or_b32 exec_lo, exec_lo, s2
	s_wait_storecnt_dscnt 0x0
	s_barrier_signal -1
	s_barrier_wait -1
	s_clause 0x9
	scratch_load_b128 v[4:7], off, off offset:512
	scratch_load_b128 v[8:11], off, off offset:528
	scratch_load_b128 v[12:15], off, off offset:544
	scratch_load_b128 v[142:145], off, off offset:560
	scratch_load_b128 v[146:149], off, off offset:576
	scratch_load_b128 v[150:153], off, off offset:592
	scratch_load_b128 v[154:157], off, off offset:608
	scratch_load_b128 v[158:161], off, off offset:624
	scratch_load_b128 v[162:165], off, off offset:640
	scratch_load_b128 v[166:169], off, off offset:656
	ds_load_b128 v[170:173], v2 offset:1504
	ds_load_b128 v[178:181], v2 offset:1520
	s_clause 0x2
	scratch_load_b128 v[174:177], off, off offset:672
	scratch_load_b128 v[182:185], off, off offset:496
	;; [unrolled: 1-line block ×3, first 2 shown]
	s_mov_b32 s2, exec_lo
	s_wait_loadcnt_dscnt 0xc01
	v_mul_f64_e32 v[190:191], v[172:173], v[6:7]
	v_mul_f64_e32 v[194:195], v[170:171], v[6:7]
	s_wait_loadcnt_dscnt 0xb00
	v_mul_f64_e32 v[196:197], v[178:179], v[10:11]
	v_mul_f64_e32 v[10:11], v[180:181], v[10:11]
	s_delay_alu instid0(VALU_DEP_4) | instskip(NEXT) | instid1(VALU_DEP_4)
	v_fma_f64 v[198:199], v[170:171], v[4:5], -v[190:191]
	v_fmac_f64_e32 v[194:195], v[172:173], v[4:5]
	ds_load_b128 v[4:7], v2 offset:1536
	ds_load_b128 v[170:173], v2 offset:1552
	scratch_load_b128 v[190:193], off, off offset:704
	v_fmac_f64_e32 v[196:197], v[180:181], v[8:9]
	v_fma_f64 v[178:179], v[178:179], v[8:9], -v[10:11]
	scratch_load_b128 v[8:11], off, off offset:720
	s_wait_loadcnt_dscnt 0xc01
	v_mul_f64_e32 v[200:201], v[4:5], v[14:15]
	v_mul_f64_e32 v[14:15], v[6:7], v[14:15]
	v_add_f64_e32 v[180:181], 0, v[198:199]
	v_add_f64_e32 v[194:195], 0, v[194:195]
	s_wait_loadcnt_dscnt 0xb00
	v_mul_f64_e32 v[198:199], v[170:171], v[144:145]
	v_mul_f64_e32 v[144:145], v[172:173], v[144:145]
	v_fmac_f64_e32 v[200:201], v[6:7], v[12:13]
	v_fma_f64 v[202:203], v[4:5], v[12:13], -v[14:15]
	ds_load_b128 v[4:7], v2 offset:1568
	ds_load_b128 v[12:15], v2 offset:1584
	v_add_f64_e32 v[204:205], v[180:181], v[178:179]
	v_add_f64_e32 v[194:195], v[194:195], v[196:197]
	scratch_load_b128 v[178:181], off, off offset:736
	v_fmac_f64_e32 v[198:199], v[172:173], v[142:143]
	v_fma_f64 v[170:171], v[170:171], v[142:143], -v[144:145]
	scratch_load_b128 v[142:145], off, off offset:752
	s_wait_loadcnt_dscnt 0xc01
	v_mul_f64_e32 v[196:197], v[4:5], v[148:149]
	v_mul_f64_e32 v[148:149], v[6:7], v[148:149]
	v_add_f64_e32 v[172:173], v[204:205], v[202:203]
	v_add_f64_e32 v[194:195], v[194:195], v[200:201]
	s_wait_loadcnt_dscnt 0xb00
	v_mul_f64_e32 v[200:201], v[12:13], v[152:153]
	v_mul_f64_e32 v[152:153], v[14:15], v[152:153]
	v_fmac_f64_e32 v[196:197], v[6:7], v[146:147]
	v_fma_f64 v[202:203], v[4:5], v[146:147], -v[148:149]
	ds_load_b128 v[4:7], v2 offset:1600
	ds_load_b128 v[146:149], v2 offset:1616
	v_add_f64_e32 v[204:205], v[172:173], v[170:171]
	v_add_f64_e32 v[194:195], v[194:195], v[198:199]
	scratch_load_b128 v[170:173], off, off offset:768
	s_wait_loadcnt_dscnt 0xb01
	v_mul_f64_e32 v[198:199], v[4:5], v[156:157]
	v_mul_f64_e32 v[156:157], v[6:7], v[156:157]
	v_fmac_f64_e32 v[200:201], v[14:15], v[150:151]
	v_fma_f64 v[150:151], v[12:13], v[150:151], -v[152:153]
	scratch_load_b128 v[12:15], off, off offset:784
	v_add_f64_e32 v[152:153], v[204:205], v[202:203]
	v_add_f64_e32 v[194:195], v[194:195], v[196:197]
	s_wait_loadcnt_dscnt 0xb00
	v_mul_f64_e32 v[196:197], v[146:147], v[160:161]
	v_mul_f64_e32 v[160:161], v[148:149], v[160:161]
	v_fmac_f64_e32 v[198:199], v[6:7], v[154:155]
	v_fma_f64 v[202:203], v[4:5], v[154:155], -v[156:157]
	v_add_f64_e32 v[204:205], v[152:153], v[150:151]
	v_add_f64_e32 v[194:195], v[194:195], v[200:201]
	ds_load_b128 v[4:7], v2 offset:1632
	ds_load_b128 v[150:153], v2 offset:1648
	scratch_load_b128 v[154:157], off, off offset:800
	v_fmac_f64_e32 v[196:197], v[148:149], v[158:159]
	v_fma_f64 v[158:159], v[146:147], v[158:159], -v[160:161]
	scratch_load_b128 v[146:149], off, off offset:816
	s_wait_loadcnt_dscnt 0xc01
	v_mul_f64_e32 v[200:201], v[4:5], v[164:165]
	v_mul_f64_e32 v[164:165], v[6:7], v[164:165]
	v_add_f64_e32 v[160:161], v[204:205], v[202:203]
	v_add_f64_e32 v[194:195], v[194:195], v[198:199]
	s_wait_loadcnt_dscnt 0xb00
	v_mul_f64_e32 v[198:199], v[150:151], v[168:169]
	v_mul_f64_e32 v[168:169], v[152:153], v[168:169]
	v_fmac_f64_e32 v[200:201], v[6:7], v[162:163]
	v_fma_f64 v[202:203], v[4:5], v[162:163], -v[164:165]
	v_add_f64_e32 v[204:205], v[160:161], v[158:159]
	v_add_f64_e32 v[194:195], v[194:195], v[196:197]
	ds_load_b128 v[4:7], v2 offset:1664
	ds_load_b128 v[158:161], v2 offset:1680
	scratch_load_b128 v[162:165], off, off offset:832
	v_fmac_f64_e32 v[198:199], v[152:153], v[166:167]
	v_fma_f64 v[166:167], v[150:151], v[166:167], -v[168:169]
	scratch_load_b128 v[150:153], off, off offset:848
	s_wait_loadcnt_dscnt 0xc01
	v_mul_f64_e32 v[196:197], v[4:5], v[176:177]
	v_mul_f64_e32 v[176:177], v[6:7], v[176:177]
	;; [unrolled: 18-line block ×5, first 2 shown]
	v_add_f64_e32 v[188:189], v[204:205], v[202:203]
	v_add_f64_e32 v[194:195], v[194:195], v[200:201]
	s_wait_loadcnt_dscnt 0xa00
	v_mul_f64_e32 v[200:201], v[166:167], v[14:15]
	v_mul_f64_e32 v[14:15], v[168:169], v[14:15]
	v_fmac_f64_e32 v[196:197], v[6:7], v[170:171]
	v_fma_f64 v[202:203], v[4:5], v[170:171], -v[172:173]
	ds_load_b128 v[4:7], v2 offset:1792
	ds_load_b128 v[170:173], v2 offset:1808
	v_add_f64_e32 v[204:205], v[188:189], v[186:187]
	v_add_f64_e32 v[194:195], v[194:195], v[198:199]
	scratch_load_b128 v[186:189], off, off offset:960
	v_fmac_f64_e32 v[200:201], v[168:169], v[12:13]
	v_fma_f64 v[166:167], v[166:167], v[12:13], -v[14:15]
	scratch_load_b128 v[12:15], off, off offset:976
	s_wait_loadcnt_dscnt 0xb01
	v_mul_f64_e32 v[198:199], v[4:5], v[156:157]
	v_mul_f64_e32 v[156:157], v[6:7], v[156:157]
	v_add_f64_e32 v[168:169], v[204:205], v[202:203]
	v_add_f64_e32 v[194:195], v[194:195], v[196:197]
	s_wait_loadcnt_dscnt 0xa00
	v_mul_f64_e32 v[196:197], v[170:171], v[148:149]
	v_mul_f64_e32 v[148:149], v[172:173], v[148:149]
	v_fmac_f64_e32 v[198:199], v[6:7], v[154:155]
	v_fma_f64 v[202:203], v[4:5], v[154:155], -v[156:157]
	ds_load_b128 v[4:7], v2 offset:1824
	ds_load_b128 v[154:157], v2 offset:1840
	v_add_f64_e32 v[166:167], v[168:169], v[166:167]
	v_add_f64_e32 v[168:169], v[194:195], v[200:201]
	v_fmac_f64_e32 v[196:197], v[172:173], v[146:147]
	s_wait_loadcnt_dscnt 0x901
	v_mul_f64_e32 v[194:195], v[4:5], v[164:165]
	v_mul_f64_e32 v[164:165], v[6:7], v[164:165]
	v_fma_f64 v[146:147], v[170:171], v[146:147], -v[148:149]
	v_add_f64_e32 v[148:149], v[166:167], v[202:203]
	v_add_f64_e32 v[166:167], v[168:169], v[198:199]
	s_wait_loadcnt_dscnt 0x800
	v_mul_f64_e32 v[168:169], v[154:155], v[152:153]
	v_mul_f64_e32 v[152:153], v[156:157], v[152:153]
	v_fmac_f64_e32 v[194:195], v[6:7], v[162:163]
	v_fma_f64 v[162:163], v[4:5], v[162:163], -v[164:165]
	v_add_f64_e32 v[164:165], v[148:149], v[146:147]
	v_add_f64_e32 v[166:167], v[166:167], v[196:197]
	ds_load_b128 v[4:7], v2 offset:1856
	ds_load_b128 v[146:149], v2 offset:1872
	v_fmac_f64_e32 v[168:169], v[156:157], v[150:151]
	v_fma_f64 v[150:151], v[154:155], v[150:151], -v[152:153]
	s_wait_loadcnt_dscnt 0x701
	v_mul_f64_e32 v[170:171], v[4:5], v[176:177]
	v_mul_f64_e32 v[172:173], v[6:7], v[176:177]
	s_wait_loadcnt_dscnt 0x600
	v_mul_f64_e32 v[156:157], v[146:147], v[160:161]
	v_mul_f64_e32 v[160:161], v[148:149], v[160:161]
	v_add_f64_e32 v[152:153], v[164:165], v[162:163]
	v_add_f64_e32 v[154:155], v[166:167], v[194:195]
	v_fmac_f64_e32 v[170:171], v[6:7], v[174:175]
	v_fma_f64 v[162:163], v[4:5], v[174:175], -v[172:173]
	v_fmac_f64_e32 v[156:157], v[148:149], v[158:159]
	v_fma_f64 v[146:147], v[146:147], v[158:159], -v[160:161]
	v_add_f64_e32 v[164:165], v[152:153], v[150:151]
	v_add_f64_e32 v[154:155], v[154:155], v[168:169]
	ds_load_b128 v[4:7], v2 offset:1888
	ds_load_b128 v[150:153], v2 offset:1904
	s_wait_loadcnt_dscnt 0x501
	v_mul_f64_e32 v[166:167], v[4:5], v[192:193]
	v_mul_f64_e32 v[168:169], v[6:7], v[192:193]
	s_wait_loadcnt_dscnt 0x400
	v_mul_f64_e32 v[158:159], v[150:151], v[10:11]
	v_mul_f64_e32 v[10:11], v[152:153], v[10:11]
	v_add_f64_e32 v[148:149], v[164:165], v[162:163]
	v_add_f64_e32 v[154:155], v[154:155], v[170:171]
	v_fmac_f64_e32 v[166:167], v[6:7], v[190:191]
	v_fma_f64 v[160:161], v[4:5], v[190:191], -v[168:169]
	v_fmac_f64_e32 v[158:159], v[152:153], v[8:9]
	v_fma_f64 v[8:9], v[150:151], v[8:9], -v[10:11]
	v_add_f64_e32 v[162:163], v[148:149], v[146:147]
	v_add_f64_e32 v[154:155], v[154:155], v[156:157]
	ds_load_b128 v[4:7], v2 offset:1920
	ds_load_b128 v[146:149], v2 offset:1936
	;; [unrolled: 16-line block ×3, first 2 shown]
	s_wait_loadcnt_dscnt 0x101
	v_mul_f64_e32 v[2:3], v[4:5], v[188:189]
	v_mul_f64_e32 v[158:159], v[6:7], v[188:189]
	s_wait_loadcnt_dscnt 0x0
	v_mul_f64_e32 v[148:149], v[8:9], v[14:15]
	v_mul_f64_e32 v[14:15], v[10:11], v[14:15]
	v_add_f64_e32 v[144:145], v[160:161], v[154:155]
	v_add_f64_e32 v[146:147], v[150:151], v[156:157]
	v_fmac_f64_e32 v[2:3], v[6:7], v[186:187]
	v_fma_f64 v[4:5], v[4:5], v[186:187], -v[158:159]
	v_fmac_f64_e32 v[148:149], v[10:11], v[12:13]
	v_fma_f64 v[8:9], v[8:9], v[12:13], -v[14:15]
	v_add_f64_e32 v[6:7], v[144:145], v[142:143]
	v_add_f64_e32 v[142:143], v[146:147], v[152:153]
	s_delay_alu instid0(VALU_DEP_2) | instskip(NEXT) | instid1(VALU_DEP_2)
	v_add_f64_e32 v[4:5], v[6:7], v[4:5]
	v_add_f64_e32 v[2:3], v[142:143], v[2:3]
	s_delay_alu instid0(VALU_DEP_2) | instskip(NEXT) | instid1(VALU_DEP_2)
	v_add_f64_e32 v[4:5], v[4:5], v[8:9]
	v_add_f64_e32 v[6:7], v[2:3], v[148:149]
	s_delay_alu instid0(VALU_DEP_2) | instskip(NEXT) | instid1(VALU_DEP_2)
	v_add_f64_e64 v[2:3], v[182:183], -v[4:5]
	v_add_f64_e64 v[4:5], v[184:185], -v[6:7]
	scratch_store_b128 off, v[2:5], off offset:496
	s_wait_xcnt 0x0
	v_cmpx_lt_u32_e32 30, v1
	s_cbranch_execz .LBB125_337
; %bb.336:
	scratch_load_b128 v[2:5], off, s50
	v_mov_b32_e32 v6, 0
	s_delay_alu instid0(VALU_DEP_1)
	v_dual_mov_b32 v7, v6 :: v_dual_mov_b32 v8, v6
	v_mov_b32_e32 v9, v6
	scratch_store_b128 off, v[6:9], off offset:480
	s_wait_loadcnt 0x0
	ds_store_b128 v16, v[2:5]
.LBB125_337:
	s_wait_xcnt 0x0
	s_or_b32 exec_lo, exec_lo, s2
	s_wait_storecnt_dscnt 0x0
	s_barrier_signal -1
	s_barrier_wait -1
	s_clause 0x9
	scratch_load_b128 v[4:7], off, off offset:496
	scratch_load_b128 v[8:11], off, off offset:512
	;; [unrolled: 1-line block ×10, first 2 shown]
	v_mov_b32_e32 v2, 0
	s_mov_b32 s2, exec_lo
	ds_load_b128 v[170:173], v2 offset:1488
	s_clause 0x2
	scratch_load_b128 v[174:177], off, off offset:656
	scratch_load_b128 v[178:181], off, off offset:480
	;; [unrolled: 1-line block ×3, first 2 shown]
	s_wait_loadcnt_dscnt 0xc00
	v_mul_f64_e32 v[190:191], v[172:173], v[6:7]
	v_mul_f64_e32 v[194:195], v[170:171], v[6:7]
	ds_load_b128 v[182:185], v2 offset:1504
	v_fma_f64 v[198:199], v[170:171], v[4:5], -v[190:191]
	v_fmac_f64_e32 v[194:195], v[172:173], v[4:5]
	ds_load_b128 v[4:7], v2 offset:1520
	s_wait_loadcnt_dscnt 0xb01
	v_mul_f64_e32 v[196:197], v[182:183], v[10:11]
	v_mul_f64_e32 v[10:11], v[184:185], v[10:11]
	scratch_load_b128 v[170:173], off, off offset:688
	ds_load_b128 v[190:193], v2 offset:1536
	s_wait_loadcnt_dscnt 0xb01
	v_mul_f64_e32 v[200:201], v[4:5], v[14:15]
	v_mul_f64_e32 v[14:15], v[6:7], v[14:15]
	v_add_f64_e32 v[194:195], 0, v[194:195]
	v_fmac_f64_e32 v[196:197], v[184:185], v[8:9]
	v_fma_f64 v[182:183], v[182:183], v[8:9], -v[10:11]
	v_add_f64_e32 v[184:185], 0, v[198:199]
	scratch_load_b128 v[8:11], off, off offset:704
	v_fmac_f64_e32 v[200:201], v[6:7], v[12:13]
	v_fma_f64 v[202:203], v[4:5], v[12:13], -v[14:15]
	ds_load_b128 v[4:7], v2 offset:1552
	s_wait_loadcnt_dscnt 0xb01
	v_mul_f64_e32 v[198:199], v[190:191], v[144:145]
	v_mul_f64_e32 v[144:145], v[192:193], v[144:145]
	scratch_load_b128 v[12:15], off, off offset:720
	v_add_f64_e32 v[194:195], v[194:195], v[196:197]
	v_add_f64_e32 v[204:205], v[184:185], v[182:183]
	ds_load_b128 v[182:185], v2 offset:1568
	s_wait_loadcnt_dscnt 0xb01
	v_mul_f64_e32 v[196:197], v[4:5], v[148:149]
	v_mul_f64_e32 v[148:149], v[6:7], v[148:149]
	v_fmac_f64_e32 v[198:199], v[192:193], v[142:143]
	v_fma_f64 v[190:191], v[190:191], v[142:143], -v[144:145]
	scratch_load_b128 v[142:145], off, off offset:736
	v_add_f64_e32 v[194:195], v[194:195], v[200:201]
	v_add_f64_e32 v[192:193], v[204:205], v[202:203]
	v_fmac_f64_e32 v[196:197], v[6:7], v[146:147]
	v_fma_f64 v[202:203], v[4:5], v[146:147], -v[148:149]
	ds_load_b128 v[4:7], v2 offset:1584
	s_wait_loadcnt_dscnt 0xb01
	v_mul_f64_e32 v[200:201], v[182:183], v[152:153]
	v_mul_f64_e32 v[152:153], v[184:185], v[152:153]
	scratch_load_b128 v[146:149], off, off offset:752
	v_add_f64_e32 v[194:195], v[194:195], v[198:199]
	s_wait_loadcnt_dscnt 0xb00
	v_mul_f64_e32 v[198:199], v[4:5], v[156:157]
	v_add_f64_e32 v[204:205], v[192:193], v[190:191]
	v_mul_f64_e32 v[156:157], v[6:7], v[156:157]
	ds_load_b128 v[190:193], v2 offset:1600
	v_fmac_f64_e32 v[200:201], v[184:185], v[150:151]
	v_fma_f64 v[182:183], v[182:183], v[150:151], -v[152:153]
	scratch_load_b128 v[150:153], off, off offset:768
	v_add_f64_e32 v[194:195], v[194:195], v[196:197]
	v_fmac_f64_e32 v[198:199], v[6:7], v[154:155]
	v_add_f64_e32 v[184:185], v[204:205], v[202:203]
	v_fma_f64 v[202:203], v[4:5], v[154:155], -v[156:157]
	ds_load_b128 v[4:7], v2 offset:1616
	s_wait_loadcnt_dscnt 0xb01
	v_mul_f64_e32 v[196:197], v[190:191], v[160:161]
	v_mul_f64_e32 v[160:161], v[192:193], v[160:161]
	scratch_load_b128 v[154:157], off, off offset:784
	v_add_f64_e32 v[194:195], v[194:195], v[200:201]
	s_wait_loadcnt_dscnt 0xb00
	v_mul_f64_e32 v[200:201], v[4:5], v[164:165]
	v_add_f64_e32 v[204:205], v[184:185], v[182:183]
	v_mul_f64_e32 v[164:165], v[6:7], v[164:165]
	ds_load_b128 v[182:185], v2 offset:1632
	v_fmac_f64_e32 v[196:197], v[192:193], v[158:159]
	v_fma_f64 v[190:191], v[190:191], v[158:159], -v[160:161]
	scratch_load_b128 v[158:161], off, off offset:800
	v_add_f64_e32 v[194:195], v[194:195], v[198:199]
	v_fmac_f64_e32 v[200:201], v[6:7], v[162:163]
	v_add_f64_e32 v[192:193], v[204:205], v[202:203]
	;; [unrolled: 18-line block ×3, first 2 shown]
	v_fma_f64 v[202:203], v[4:5], v[174:175], -v[176:177]
	ds_load_b128 v[4:7], v2 offset:1680
	s_wait_loadcnt_dscnt 0xa01
	v_mul_f64_e32 v[200:201], v[190:191], v[188:189]
	v_mul_f64_e32 v[188:189], v[192:193], v[188:189]
	scratch_load_b128 v[174:177], off, off offset:848
	v_add_f64_e32 v[194:195], v[194:195], v[198:199]
	v_add_f64_e32 v[204:205], v[184:185], v[182:183]
	s_wait_loadcnt_dscnt 0xa00
	v_mul_f64_e32 v[198:199], v[4:5], v[172:173]
	v_mul_f64_e32 v[172:173], v[6:7], v[172:173]
	v_fmac_f64_e32 v[200:201], v[192:193], v[186:187]
	v_fma_f64 v[190:191], v[190:191], v[186:187], -v[188:189]
	ds_load_b128 v[182:185], v2 offset:1696
	scratch_load_b128 v[186:189], off, off offset:864
	v_add_f64_e32 v[194:195], v[194:195], v[196:197]
	v_add_f64_e32 v[192:193], v[204:205], v[202:203]
	v_fmac_f64_e32 v[198:199], v[6:7], v[170:171]
	v_fma_f64 v[202:203], v[4:5], v[170:171], -v[172:173]
	ds_load_b128 v[4:7], v2 offset:1712
	s_wait_loadcnt_dscnt 0xa01
	v_mul_f64_e32 v[196:197], v[182:183], v[10:11]
	v_mul_f64_e32 v[10:11], v[184:185], v[10:11]
	scratch_load_b128 v[170:173], off, off offset:880
	v_add_f64_e32 v[194:195], v[194:195], v[200:201]
	s_wait_loadcnt_dscnt 0xa00
	v_mul_f64_e32 v[200:201], v[4:5], v[14:15]
	v_add_f64_e32 v[204:205], v[192:193], v[190:191]
	v_mul_f64_e32 v[14:15], v[6:7], v[14:15]
	ds_load_b128 v[190:193], v2 offset:1728
	v_fmac_f64_e32 v[196:197], v[184:185], v[8:9]
	v_fma_f64 v[182:183], v[182:183], v[8:9], -v[10:11]
	scratch_load_b128 v[8:11], off, off offset:896
	v_add_f64_e32 v[194:195], v[194:195], v[198:199]
	v_fmac_f64_e32 v[200:201], v[6:7], v[12:13]
	v_add_f64_e32 v[184:185], v[204:205], v[202:203]
	v_fma_f64 v[202:203], v[4:5], v[12:13], -v[14:15]
	ds_load_b128 v[4:7], v2 offset:1744
	s_wait_loadcnt_dscnt 0xa01
	v_mul_f64_e32 v[198:199], v[190:191], v[144:145]
	v_mul_f64_e32 v[144:145], v[192:193], v[144:145]
	scratch_load_b128 v[12:15], off, off offset:912
	v_add_f64_e32 v[194:195], v[194:195], v[196:197]
	s_wait_loadcnt_dscnt 0xa00
	v_mul_f64_e32 v[196:197], v[4:5], v[148:149]
	v_add_f64_e32 v[204:205], v[184:185], v[182:183]
	v_mul_f64_e32 v[148:149], v[6:7], v[148:149]
	ds_load_b128 v[182:185], v2 offset:1760
	v_fmac_f64_e32 v[198:199], v[192:193], v[142:143]
	v_fma_f64 v[190:191], v[190:191], v[142:143], -v[144:145]
	scratch_load_b128 v[142:145], off, off offset:928
	v_add_f64_e32 v[194:195], v[194:195], v[200:201]
	v_fmac_f64_e32 v[196:197], v[6:7], v[146:147]
	v_add_f64_e32 v[192:193], v[204:205], v[202:203]
	;; [unrolled: 18-line block ×3, first 2 shown]
	v_fma_f64 v[202:203], v[4:5], v[154:155], -v[156:157]
	ds_load_b128 v[4:7], v2 offset:1808
	s_wait_loadcnt_dscnt 0xa01
	v_mul_f64_e32 v[196:197], v[190:191], v[160:161]
	v_mul_f64_e32 v[160:161], v[192:193], v[160:161]
	scratch_load_b128 v[154:157], off, off offset:976
	v_add_f64_e32 v[194:195], v[194:195], v[200:201]
	s_wait_loadcnt_dscnt 0xa00
	v_mul_f64_e32 v[200:201], v[4:5], v[164:165]
	v_add_f64_e32 v[204:205], v[184:185], v[182:183]
	v_mul_f64_e32 v[164:165], v[6:7], v[164:165]
	ds_load_b128 v[182:185], v2 offset:1824
	v_fmac_f64_e32 v[196:197], v[192:193], v[158:159]
	v_fma_f64 v[158:159], v[190:191], v[158:159], -v[160:161]
	s_wait_loadcnt_dscnt 0x900
	v_mul_f64_e32 v[192:193], v[182:183], v[168:169]
	v_mul_f64_e32 v[168:169], v[184:185], v[168:169]
	v_add_f64_e32 v[190:191], v[194:195], v[198:199]
	v_fmac_f64_e32 v[200:201], v[6:7], v[162:163]
	v_add_f64_e32 v[160:161], v[204:205], v[202:203]
	v_fma_f64 v[162:163], v[4:5], v[162:163], -v[164:165]
	v_fmac_f64_e32 v[192:193], v[184:185], v[166:167]
	v_fma_f64 v[166:167], v[182:183], v[166:167], -v[168:169]
	v_add_f64_e32 v[190:191], v[190:191], v[196:197]
	v_add_f64_e32 v[164:165], v[160:161], v[158:159]
	ds_load_b128 v[4:7], v2 offset:1840
	ds_load_b128 v[158:161], v2 offset:1856
	s_wait_loadcnt_dscnt 0x801
	v_mul_f64_e32 v[194:195], v[4:5], v[176:177]
	v_mul_f64_e32 v[176:177], v[6:7], v[176:177]
	s_wait_loadcnt_dscnt 0x700
	v_mul_f64_e32 v[168:169], v[158:159], v[188:189]
	v_mul_f64_e32 v[182:183], v[160:161], v[188:189]
	v_add_f64_e32 v[162:163], v[164:165], v[162:163]
	v_add_f64_e32 v[164:165], v[190:191], v[200:201]
	v_fmac_f64_e32 v[194:195], v[6:7], v[174:175]
	v_fma_f64 v[174:175], v[4:5], v[174:175], -v[176:177]
	v_fmac_f64_e32 v[168:169], v[160:161], v[186:187]
	v_fma_f64 v[158:159], v[158:159], v[186:187], -v[182:183]
	v_add_f64_e32 v[166:167], v[162:163], v[166:167]
	v_add_f64_e32 v[176:177], v[164:165], v[192:193]
	ds_load_b128 v[4:7], v2 offset:1872
	ds_load_b128 v[162:165], v2 offset:1888
	s_wait_loadcnt_dscnt 0x601
	v_mul_f64_e32 v[184:185], v[4:5], v[172:173]
	v_mul_f64_e32 v[172:173], v[6:7], v[172:173]
	v_add_f64_e32 v[160:161], v[166:167], v[174:175]
	v_add_f64_e32 v[166:167], v[176:177], v[194:195]
	s_wait_loadcnt_dscnt 0x500
	v_mul_f64_e32 v[174:175], v[162:163], v[10:11]
	v_mul_f64_e32 v[10:11], v[164:165], v[10:11]
	v_fmac_f64_e32 v[184:185], v[6:7], v[170:171]
	v_fma_f64 v[170:171], v[4:5], v[170:171], -v[172:173]
	v_add_f64_e32 v[172:173], v[160:161], v[158:159]
	v_add_f64_e32 v[166:167], v[166:167], v[168:169]
	ds_load_b128 v[4:7], v2 offset:1904
	ds_load_b128 v[158:161], v2 offset:1920
	v_fmac_f64_e32 v[174:175], v[164:165], v[8:9]
	v_fma_f64 v[8:9], v[162:163], v[8:9], -v[10:11]
	s_wait_loadcnt_dscnt 0x401
	v_mul_f64_e32 v[168:169], v[4:5], v[14:15]
	v_mul_f64_e32 v[14:15], v[6:7], v[14:15]
	s_wait_loadcnt_dscnt 0x300
	v_mul_f64_e32 v[164:165], v[158:159], v[144:145]
	v_mul_f64_e32 v[144:145], v[160:161], v[144:145]
	v_add_f64_e32 v[10:11], v[172:173], v[170:171]
	v_add_f64_e32 v[162:163], v[166:167], v[184:185]
	v_fmac_f64_e32 v[168:169], v[6:7], v[12:13]
	v_fma_f64 v[12:13], v[4:5], v[12:13], -v[14:15]
	v_fmac_f64_e32 v[164:165], v[160:161], v[142:143]
	v_fma_f64 v[142:143], v[158:159], v[142:143], -v[144:145]
	v_add_f64_e32 v[14:15], v[10:11], v[8:9]
	v_add_f64_e32 v[162:163], v[162:163], v[174:175]
	ds_load_b128 v[4:7], v2 offset:1936
	ds_load_b128 v[8:11], v2 offset:1952
	s_wait_loadcnt_dscnt 0x201
	v_mul_f64_e32 v[166:167], v[4:5], v[148:149]
	v_mul_f64_e32 v[148:149], v[6:7], v[148:149]
	s_wait_loadcnt_dscnt 0x100
	v_mul_f64_e32 v[144:145], v[8:9], v[152:153]
	v_mul_f64_e32 v[152:153], v[10:11], v[152:153]
	v_add_f64_e32 v[12:13], v[14:15], v[12:13]
	v_add_f64_e32 v[14:15], v[162:163], v[168:169]
	v_fmac_f64_e32 v[166:167], v[6:7], v[146:147]
	v_fma_f64 v[146:147], v[4:5], v[146:147], -v[148:149]
	ds_load_b128 v[4:7], v2 offset:1968
	v_fmac_f64_e32 v[144:145], v[10:11], v[150:151]
	v_fma_f64 v[8:9], v[8:9], v[150:151], -v[152:153]
	v_add_f64_e32 v[12:13], v[12:13], v[142:143]
	v_add_f64_e32 v[14:15], v[14:15], v[164:165]
	s_wait_loadcnt_dscnt 0x0
	v_mul_f64_e32 v[142:143], v[4:5], v[156:157]
	v_mul_f64_e32 v[148:149], v[6:7], v[156:157]
	s_delay_alu instid0(VALU_DEP_4) | instskip(NEXT) | instid1(VALU_DEP_4)
	v_add_f64_e32 v[10:11], v[12:13], v[146:147]
	v_add_f64_e32 v[12:13], v[14:15], v[166:167]
	s_delay_alu instid0(VALU_DEP_4) | instskip(NEXT) | instid1(VALU_DEP_4)
	v_fmac_f64_e32 v[142:143], v[6:7], v[154:155]
	v_fma_f64 v[4:5], v[4:5], v[154:155], -v[148:149]
	s_delay_alu instid0(VALU_DEP_4) | instskip(NEXT) | instid1(VALU_DEP_4)
	v_add_f64_e32 v[6:7], v[10:11], v[8:9]
	v_add_f64_e32 v[8:9], v[12:13], v[144:145]
	s_delay_alu instid0(VALU_DEP_2) | instskip(NEXT) | instid1(VALU_DEP_2)
	v_add_f64_e32 v[4:5], v[6:7], v[4:5]
	v_add_f64_e32 v[6:7], v[8:9], v[142:143]
	s_delay_alu instid0(VALU_DEP_2) | instskip(NEXT) | instid1(VALU_DEP_2)
	v_add_f64_e64 v[4:5], v[178:179], -v[4:5]
	v_add_f64_e64 v[6:7], v[180:181], -v[6:7]
	scratch_store_b128 off, v[4:7], off offset:480
	s_wait_xcnt 0x0
	v_cmpx_lt_u32_e32 29, v1
	s_cbranch_execz .LBB125_339
; %bb.338:
	scratch_load_b128 v[6:9], off, s51
	v_dual_mov_b32 v3, v2 :: v_dual_mov_b32 v4, v2
	v_mov_b32_e32 v5, v2
	scratch_store_b128 off, v[2:5], off offset:464
	s_wait_loadcnt 0x0
	ds_store_b128 v16, v[6:9]
.LBB125_339:
	s_wait_xcnt 0x0
	s_or_b32 exec_lo, exec_lo, s2
	s_wait_storecnt_dscnt 0x0
	s_barrier_signal -1
	s_barrier_wait -1
	s_clause 0x9
	scratch_load_b128 v[4:7], off, off offset:480
	scratch_load_b128 v[8:11], off, off offset:496
	;; [unrolled: 1-line block ×10, first 2 shown]
	ds_load_b128 v[170:173], v2 offset:1472
	ds_load_b128 v[178:181], v2 offset:1488
	s_clause 0x2
	scratch_load_b128 v[174:177], off, off offset:640
	scratch_load_b128 v[182:185], off, off offset:464
	;; [unrolled: 1-line block ×3, first 2 shown]
	s_mov_b32 s2, exec_lo
	s_wait_loadcnt_dscnt 0xc01
	v_mul_f64_e32 v[190:191], v[172:173], v[6:7]
	v_mul_f64_e32 v[194:195], v[170:171], v[6:7]
	s_wait_loadcnt_dscnt 0xb00
	v_mul_f64_e32 v[196:197], v[178:179], v[10:11]
	v_mul_f64_e32 v[10:11], v[180:181], v[10:11]
	s_delay_alu instid0(VALU_DEP_4) | instskip(NEXT) | instid1(VALU_DEP_4)
	v_fma_f64 v[198:199], v[170:171], v[4:5], -v[190:191]
	v_fmac_f64_e32 v[194:195], v[172:173], v[4:5]
	ds_load_b128 v[4:7], v2 offset:1504
	ds_load_b128 v[170:173], v2 offset:1520
	scratch_load_b128 v[190:193], off, off offset:672
	v_fmac_f64_e32 v[196:197], v[180:181], v[8:9]
	v_fma_f64 v[178:179], v[178:179], v[8:9], -v[10:11]
	scratch_load_b128 v[8:11], off, off offset:688
	s_wait_loadcnt_dscnt 0xc01
	v_mul_f64_e32 v[200:201], v[4:5], v[14:15]
	v_mul_f64_e32 v[14:15], v[6:7], v[14:15]
	v_add_f64_e32 v[180:181], 0, v[198:199]
	v_add_f64_e32 v[194:195], 0, v[194:195]
	s_wait_loadcnt_dscnt 0xb00
	v_mul_f64_e32 v[198:199], v[170:171], v[144:145]
	v_mul_f64_e32 v[144:145], v[172:173], v[144:145]
	v_fmac_f64_e32 v[200:201], v[6:7], v[12:13]
	v_fma_f64 v[202:203], v[4:5], v[12:13], -v[14:15]
	ds_load_b128 v[4:7], v2 offset:1536
	ds_load_b128 v[12:15], v2 offset:1552
	v_add_f64_e32 v[204:205], v[180:181], v[178:179]
	v_add_f64_e32 v[194:195], v[194:195], v[196:197]
	scratch_load_b128 v[178:181], off, off offset:704
	v_fmac_f64_e32 v[198:199], v[172:173], v[142:143]
	v_fma_f64 v[170:171], v[170:171], v[142:143], -v[144:145]
	scratch_load_b128 v[142:145], off, off offset:720
	s_wait_loadcnt_dscnt 0xc01
	v_mul_f64_e32 v[196:197], v[4:5], v[148:149]
	v_mul_f64_e32 v[148:149], v[6:7], v[148:149]
	v_add_f64_e32 v[172:173], v[204:205], v[202:203]
	v_add_f64_e32 v[194:195], v[194:195], v[200:201]
	s_wait_loadcnt_dscnt 0xb00
	v_mul_f64_e32 v[200:201], v[12:13], v[152:153]
	v_mul_f64_e32 v[152:153], v[14:15], v[152:153]
	v_fmac_f64_e32 v[196:197], v[6:7], v[146:147]
	v_fma_f64 v[202:203], v[4:5], v[146:147], -v[148:149]
	ds_load_b128 v[4:7], v2 offset:1568
	ds_load_b128 v[146:149], v2 offset:1584
	v_add_f64_e32 v[204:205], v[172:173], v[170:171]
	v_add_f64_e32 v[194:195], v[194:195], v[198:199]
	scratch_load_b128 v[170:173], off, off offset:736
	s_wait_loadcnt_dscnt 0xb01
	v_mul_f64_e32 v[198:199], v[4:5], v[156:157]
	v_mul_f64_e32 v[156:157], v[6:7], v[156:157]
	v_fmac_f64_e32 v[200:201], v[14:15], v[150:151]
	v_fma_f64 v[150:151], v[12:13], v[150:151], -v[152:153]
	scratch_load_b128 v[12:15], off, off offset:752
	v_add_f64_e32 v[152:153], v[204:205], v[202:203]
	v_add_f64_e32 v[194:195], v[194:195], v[196:197]
	s_wait_loadcnt_dscnt 0xb00
	v_mul_f64_e32 v[196:197], v[146:147], v[160:161]
	v_mul_f64_e32 v[160:161], v[148:149], v[160:161]
	v_fmac_f64_e32 v[198:199], v[6:7], v[154:155]
	v_fma_f64 v[202:203], v[4:5], v[154:155], -v[156:157]
	v_add_f64_e32 v[204:205], v[152:153], v[150:151]
	v_add_f64_e32 v[194:195], v[194:195], v[200:201]
	ds_load_b128 v[4:7], v2 offset:1600
	ds_load_b128 v[150:153], v2 offset:1616
	scratch_load_b128 v[154:157], off, off offset:768
	v_fmac_f64_e32 v[196:197], v[148:149], v[158:159]
	v_fma_f64 v[158:159], v[146:147], v[158:159], -v[160:161]
	scratch_load_b128 v[146:149], off, off offset:784
	s_wait_loadcnt_dscnt 0xc01
	v_mul_f64_e32 v[200:201], v[4:5], v[164:165]
	v_mul_f64_e32 v[164:165], v[6:7], v[164:165]
	v_add_f64_e32 v[160:161], v[204:205], v[202:203]
	v_add_f64_e32 v[194:195], v[194:195], v[198:199]
	s_wait_loadcnt_dscnt 0xb00
	v_mul_f64_e32 v[198:199], v[150:151], v[168:169]
	v_mul_f64_e32 v[168:169], v[152:153], v[168:169]
	v_fmac_f64_e32 v[200:201], v[6:7], v[162:163]
	v_fma_f64 v[202:203], v[4:5], v[162:163], -v[164:165]
	v_add_f64_e32 v[204:205], v[160:161], v[158:159]
	v_add_f64_e32 v[194:195], v[194:195], v[196:197]
	ds_load_b128 v[4:7], v2 offset:1632
	ds_load_b128 v[158:161], v2 offset:1648
	scratch_load_b128 v[162:165], off, off offset:800
	v_fmac_f64_e32 v[198:199], v[152:153], v[166:167]
	v_fma_f64 v[166:167], v[150:151], v[166:167], -v[168:169]
	scratch_load_b128 v[150:153], off, off offset:816
	s_wait_loadcnt_dscnt 0xc01
	v_mul_f64_e32 v[196:197], v[4:5], v[176:177]
	v_mul_f64_e32 v[176:177], v[6:7], v[176:177]
	;; [unrolled: 18-line block ×5, first 2 shown]
	v_add_f64_e32 v[188:189], v[204:205], v[202:203]
	v_add_f64_e32 v[194:195], v[194:195], v[200:201]
	s_wait_loadcnt_dscnt 0xa00
	v_mul_f64_e32 v[200:201], v[166:167], v[14:15]
	v_mul_f64_e32 v[14:15], v[168:169], v[14:15]
	v_fmac_f64_e32 v[196:197], v[6:7], v[170:171]
	v_fma_f64 v[202:203], v[4:5], v[170:171], -v[172:173]
	ds_load_b128 v[4:7], v2 offset:1760
	ds_load_b128 v[170:173], v2 offset:1776
	v_add_f64_e32 v[204:205], v[188:189], v[186:187]
	v_add_f64_e32 v[194:195], v[194:195], v[198:199]
	scratch_load_b128 v[186:189], off, off offset:928
	v_fmac_f64_e32 v[200:201], v[168:169], v[12:13]
	v_fma_f64 v[166:167], v[166:167], v[12:13], -v[14:15]
	scratch_load_b128 v[12:15], off, off offset:944
	s_wait_loadcnt_dscnt 0xb01
	v_mul_f64_e32 v[198:199], v[4:5], v[156:157]
	v_mul_f64_e32 v[156:157], v[6:7], v[156:157]
	v_add_f64_e32 v[168:169], v[204:205], v[202:203]
	v_add_f64_e32 v[194:195], v[194:195], v[196:197]
	s_wait_loadcnt_dscnt 0xa00
	v_mul_f64_e32 v[196:197], v[170:171], v[148:149]
	v_mul_f64_e32 v[148:149], v[172:173], v[148:149]
	v_fmac_f64_e32 v[198:199], v[6:7], v[154:155]
	v_fma_f64 v[202:203], v[4:5], v[154:155], -v[156:157]
	ds_load_b128 v[4:7], v2 offset:1792
	ds_load_b128 v[154:157], v2 offset:1808
	v_add_f64_e32 v[204:205], v[168:169], v[166:167]
	v_add_f64_e32 v[194:195], v[194:195], v[200:201]
	scratch_load_b128 v[166:169], off, off offset:960
	s_wait_loadcnt_dscnt 0xa01
	v_mul_f64_e32 v[200:201], v[4:5], v[164:165]
	v_mul_f64_e32 v[164:165], v[6:7], v[164:165]
	v_fmac_f64_e32 v[196:197], v[172:173], v[146:147]
	v_fma_f64 v[170:171], v[170:171], v[146:147], -v[148:149]
	scratch_load_b128 v[146:149], off, off offset:976
	v_add_f64_e32 v[172:173], v[204:205], v[202:203]
	v_add_f64_e32 v[194:195], v[194:195], v[198:199]
	s_wait_loadcnt_dscnt 0xa00
	v_mul_f64_e32 v[198:199], v[154:155], v[152:153]
	v_mul_f64_e32 v[152:153], v[156:157], v[152:153]
	v_fmac_f64_e32 v[200:201], v[6:7], v[162:163]
	v_fma_f64 v[202:203], v[4:5], v[162:163], -v[164:165]
	ds_load_b128 v[4:7], v2 offset:1824
	ds_load_b128 v[162:165], v2 offset:1840
	v_add_f64_e32 v[170:171], v[172:173], v[170:171]
	v_add_f64_e32 v[172:173], v[194:195], v[196:197]
	v_fmac_f64_e32 v[198:199], v[156:157], v[150:151]
	s_wait_loadcnt_dscnt 0x901
	v_mul_f64_e32 v[194:195], v[4:5], v[176:177]
	v_mul_f64_e32 v[176:177], v[6:7], v[176:177]
	v_fma_f64 v[150:151], v[154:155], v[150:151], -v[152:153]
	s_wait_loadcnt_dscnt 0x800
	v_mul_f64_e32 v[156:157], v[162:163], v[160:161]
	v_mul_f64_e32 v[160:161], v[164:165], v[160:161]
	v_add_f64_e32 v[152:153], v[170:171], v[202:203]
	v_add_f64_e32 v[154:155], v[172:173], v[200:201]
	v_fmac_f64_e32 v[194:195], v[6:7], v[174:175]
	v_fma_f64 v[170:171], v[4:5], v[174:175], -v[176:177]
	v_fmac_f64_e32 v[156:157], v[164:165], v[158:159]
	v_fma_f64 v[158:159], v[162:163], v[158:159], -v[160:161]
	v_add_f64_e32 v[172:173], v[152:153], v[150:151]
	v_add_f64_e32 v[154:155], v[154:155], v[198:199]
	ds_load_b128 v[4:7], v2 offset:1856
	ds_load_b128 v[150:153], v2 offset:1872
	s_wait_loadcnt_dscnt 0x701
	v_mul_f64_e32 v[174:175], v[4:5], v[192:193]
	v_mul_f64_e32 v[176:177], v[6:7], v[192:193]
	s_wait_loadcnt_dscnt 0x600
	v_mul_f64_e32 v[162:163], v[150:151], v[10:11]
	v_mul_f64_e32 v[10:11], v[152:153], v[10:11]
	v_add_f64_e32 v[160:161], v[172:173], v[170:171]
	v_add_f64_e32 v[154:155], v[154:155], v[194:195]
	v_fmac_f64_e32 v[174:175], v[6:7], v[190:191]
	v_fma_f64 v[164:165], v[4:5], v[190:191], -v[176:177]
	v_fmac_f64_e32 v[162:163], v[152:153], v[8:9]
	v_fma_f64 v[8:9], v[150:151], v[8:9], -v[10:11]
	v_add_f64_e32 v[158:159], v[160:161], v[158:159]
	v_add_f64_e32 v[160:161], v[154:155], v[156:157]
	ds_load_b128 v[4:7], v2 offset:1888
	ds_load_b128 v[154:157], v2 offset:1904
	s_wait_loadcnt_dscnt 0x501
	v_mul_f64_e32 v[170:171], v[4:5], v[180:181]
	v_mul_f64_e32 v[172:173], v[6:7], v[180:181]
	;; [unrolled: 16-line block ×4, first 2 shown]
	s_wait_loadcnt_dscnt 0x0
	v_mul_f64_e32 v[14:15], v[142:143], v[148:149]
	v_mul_f64_e32 v[148:149], v[144:145], v[148:149]
	v_add_f64_e32 v[10:11], v[158:159], v[156:157]
	v_add_f64_e32 v[12:13], v[150:151], v[162:163]
	v_fmac_f64_e32 v[2:3], v[6:7], v[166:167]
	v_fma_f64 v[4:5], v[4:5], v[166:167], -v[152:153]
	v_fmac_f64_e32 v[14:15], v[144:145], v[146:147]
	v_add_f64_e32 v[6:7], v[10:11], v[8:9]
	v_add_f64_e32 v[8:9], v[12:13], v[154:155]
	v_fma_f64 v[10:11], v[142:143], v[146:147], -v[148:149]
	s_delay_alu instid0(VALU_DEP_3) | instskip(NEXT) | instid1(VALU_DEP_3)
	v_add_f64_e32 v[4:5], v[6:7], v[4:5]
	v_add_f64_e32 v[2:3], v[8:9], v[2:3]
	s_delay_alu instid0(VALU_DEP_2) | instskip(NEXT) | instid1(VALU_DEP_2)
	v_add_f64_e32 v[4:5], v[4:5], v[10:11]
	v_add_f64_e32 v[6:7], v[2:3], v[14:15]
	s_delay_alu instid0(VALU_DEP_2) | instskip(NEXT) | instid1(VALU_DEP_2)
	v_add_f64_e64 v[2:3], v[182:183], -v[4:5]
	v_add_f64_e64 v[4:5], v[184:185], -v[6:7]
	scratch_store_b128 off, v[2:5], off offset:464
	s_wait_xcnt 0x0
	v_cmpx_lt_u32_e32 28, v1
	s_cbranch_execz .LBB125_341
; %bb.340:
	scratch_load_b128 v[2:5], off, s52
	v_mov_b32_e32 v6, 0
	s_delay_alu instid0(VALU_DEP_1)
	v_dual_mov_b32 v7, v6 :: v_dual_mov_b32 v8, v6
	v_mov_b32_e32 v9, v6
	scratch_store_b128 off, v[6:9], off offset:448
	s_wait_loadcnt 0x0
	ds_store_b128 v16, v[2:5]
.LBB125_341:
	s_wait_xcnt 0x0
	s_or_b32 exec_lo, exec_lo, s2
	s_wait_storecnt_dscnt 0x0
	s_barrier_signal -1
	s_barrier_wait -1
	s_clause 0x9
	scratch_load_b128 v[4:7], off, off offset:464
	scratch_load_b128 v[8:11], off, off offset:480
	;; [unrolled: 1-line block ×10, first 2 shown]
	v_mov_b32_e32 v2, 0
	s_mov_b32 s2, exec_lo
	ds_load_b128 v[170:173], v2 offset:1456
	s_clause 0x2
	scratch_load_b128 v[174:177], off, off offset:624
	scratch_load_b128 v[178:181], off, off offset:448
	;; [unrolled: 1-line block ×3, first 2 shown]
	s_wait_loadcnt_dscnt 0xc00
	v_mul_f64_e32 v[190:191], v[172:173], v[6:7]
	v_mul_f64_e32 v[194:195], v[170:171], v[6:7]
	ds_load_b128 v[182:185], v2 offset:1472
	v_fma_f64 v[198:199], v[170:171], v[4:5], -v[190:191]
	v_fmac_f64_e32 v[194:195], v[172:173], v[4:5]
	ds_load_b128 v[4:7], v2 offset:1488
	s_wait_loadcnt_dscnt 0xb01
	v_mul_f64_e32 v[196:197], v[182:183], v[10:11]
	v_mul_f64_e32 v[10:11], v[184:185], v[10:11]
	scratch_load_b128 v[170:173], off, off offset:656
	ds_load_b128 v[190:193], v2 offset:1504
	s_wait_loadcnt_dscnt 0xb01
	v_mul_f64_e32 v[200:201], v[4:5], v[14:15]
	v_mul_f64_e32 v[14:15], v[6:7], v[14:15]
	v_add_f64_e32 v[194:195], 0, v[194:195]
	v_fmac_f64_e32 v[196:197], v[184:185], v[8:9]
	v_fma_f64 v[182:183], v[182:183], v[8:9], -v[10:11]
	v_add_f64_e32 v[184:185], 0, v[198:199]
	scratch_load_b128 v[8:11], off, off offset:672
	v_fmac_f64_e32 v[200:201], v[6:7], v[12:13]
	v_fma_f64 v[202:203], v[4:5], v[12:13], -v[14:15]
	ds_load_b128 v[4:7], v2 offset:1520
	s_wait_loadcnt_dscnt 0xb01
	v_mul_f64_e32 v[198:199], v[190:191], v[144:145]
	v_mul_f64_e32 v[144:145], v[192:193], v[144:145]
	scratch_load_b128 v[12:15], off, off offset:688
	v_add_f64_e32 v[194:195], v[194:195], v[196:197]
	v_add_f64_e32 v[204:205], v[184:185], v[182:183]
	ds_load_b128 v[182:185], v2 offset:1536
	s_wait_loadcnt_dscnt 0xb01
	v_mul_f64_e32 v[196:197], v[4:5], v[148:149]
	v_mul_f64_e32 v[148:149], v[6:7], v[148:149]
	v_fmac_f64_e32 v[198:199], v[192:193], v[142:143]
	v_fma_f64 v[190:191], v[190:191], v[142:143], -v[144:145]
	scratch_load_b128 v[142:145], off, off offset:704
	v_add_f64_e32 v[194:195], v[194:195], v[200:201]
	v_add_f64_e32 v[192:193], v[204:205], v[202:203]
	v_fmac_f64_e32 v[196:197], v[6:7], v[146:147]
	v_fma_f64 v[202:203], v[4:5], v[146:147], -v[148:149]
	ds_load_b128 v[4:7], v2 offset:1552
	s_wait_loadcnt_dscnt 0xb01
	v_mul_f64_e32 v[200:201], v[182:183], v[152:153]
	v_mul_f64_e32 v[152:153], v[184:185], v[152:153]
	scratch_load_b128 v[146:149], off, off offset:720
	v_add_f64_e32 v[194:195], v[194:195], v[198:199]
	s_wait_loadcnt_dscnt 0xb00
	v_mul_f64_e32 v[198:199], v[4:5], v[156:157]
	v_add_f64_e32 v[204:205], v[192:193], v[190:191]
	v_mul_f64_e32 v[156:157], v[6:7], v[156:157]
	ds_load_b128 v[190:193], v2 offset:1568
	v_fmac_f64_e32 v[200:201], v[184:185], v[150:151]
	v_fma_f64 v[182:183], v[182:183], v[150:151], -v[152:153]
	scratch_load_b128 v[150:153], off, off offset:736
	v_add_f64_e32 v[194:195], v[194:195], v[196:197]
	v_fmac_f64_e32 v[198:199], v[6:7], v[154:155]
	v_add_f64_e32 v[184:185], v[204:205], v[202:203]
	v_fma_f64 v[202:203], v[4:5], v[154:155], -v[156:157]
	ds_load_b128 v[4:7], v2 offset:1584
	s_wait_loadcnt_dscnt 0xb01
	v_mul_f64_e32 v[196:197], v[190:191], v[160:161]
	v_mul_f64_e32 v[160:161], v[192:193], v[160:161]
	scratch_load_b128 v[154:157], off, off offset:752
	v_add_f64_e32 v[194:195], v[194:195], v[200:201]
	s_wait_loadcnt_dscnt 0xb00
	v_mul_f64_e32 v[200:201], v[4:5], v[164:165]
	v_add_f64_e32 v[204:205], v[184:185], v[182:183]
	v_mul_f64_e32 v[164:165], v[6:7], v[164:165]
	ds_load_b128 v[182:185], v2 offset:1600
	v_fmac_f64_e32 v[196:197], v[192:193], v[158:159]
	v_fma_f64 v[190:191], v[190:191], v[158:159], -v[160:161]
	scratch_load_b128 v[158:161], off, off offset:768
	v_add_f64_e32 v[194:195], v[194:195], v[198:199]
	v_fmac_f64_e32 v[200:201], v[6:7], v[162:163]
	v_add_f64_e32 v[192:193], v[204:205], v[202:203]
	;; [unrolled: 18-line block ×3, first 2 shown]
	v_fma_f64 v[202:203], v[4:5], v[174:175], -v[176:177]
	ds_load_b128 v[4:7], v2 offset:1648
	s_wait_loadcnt_dscnt 0xa01
	v_mul_f64_e32 v[200:201], v[190:191], v[188:189]
	v_mul_f64_e32 v[188:189], v[192:193], v[188:189]
	scratch_load_b128 v[174:177], off, off offset:816
	v_add_f64_e32 v[194:195], v[194:195], v[198:199]
	v_add_f64_e32 v[204:205], v[184:185], v[182:183]
	s_wait_loadcnt_dscnt 0xa00
	v_mul_f64_e32 v[198:199], v[4:5], v[172:173]
	v_mul_f64_e32 v[172:173], v[6:7], v[172:173]
	v_fmac_f64_e32 v[200:201], v[192:193], v[186:187]
	v_fma_f64 v[190:191], v[190:191], v[186:187], -v[188:189]
	ds_load_b128 v[182:185], v2 offset:1664
	scratch_load_b128 v[186:189], off, off offset:832
	v_add_f64_e32 v[194:195], v[194:195], v[196:197]
	v_add_f64_e32 v[192:193], v[204:205], v[202:203]
	v_fmac_f64_e32 v[198:199], v[6:7], v[170:171]
	v_fma_f64 v[202:203], v[4:5], v[170:171], -v[172:173]
	ds_load_b128 v[4:7], v2 offset:1680
	s_wait_loadcnt_dscnt 0xa01
	v_mul_f64_e32 v[196:197], v[182:183], v[10:11]
	v_mul_f64_e32 v[10:11], v[184:185], v[10:11]
	scratch_load_b128 v[170:173], off, off offset:848
	v_add_f64_e32 v[194:195], v[194:195], v[200:201]
	s_wait_loadcnt_dscnt 0xa00
	v_mul_f64_e32 v[200:201], v[4:5], v[14:15]
	v_add_f64_e32 v[204:205], v[192:193], v[190:191]
	v_mul_f64_e32 v[14:15], v[6:7], v[14:15]
	ds_load_b128 v[190:193], v2 offset:1696
	v_fmac_f64_e32 v[196:197], v[184:185], v[8:9]
	v_fma_f64 v[182:183], v[182:183], v[8:9], -v[10:11]
	scratch_load_b128 v[8:11], off, off offset:864
	v_add_f64_e32 v[194:195], v[194:195], v[198:199]
	v_fmac_f64_e32 v[200:201], v[6:7], v[12:13]
	v_add_f64_e32 v[184:185], v[204:205], v[202:203]
	v_fma_f64 v[202:203], v[4:5], v[12:13], -v[14:15]
	ds_load_b128 v[4:7], v2 offset:1712
	s_wait_loadcnt_dscnt 0xa01
	v_mul_f64_e32 v[198:199], v[190:191], v[144:145]
	v_mul_f64_e32 v[144:145], v[192:193], v[144:145]
	scratch_load_b128 v[12:15], off, off offset:880
	v_add_f64_e32 v[194:195], v[194:195], v[196:197]
	s_wait_loadcnt_dscnt 0xa00
	v_mul_f64_e32 v[196:197], v[4:5], v[148:149]
	v_add_f64_e32 v[204:205], v[184:185], v[182:183]
	v_mul_f64_e32 v[148:149], v[6:7], v[148:149]
	ds_load_b128 v[182:185], v2 offset:1728
	v_fmac_f64_e32 v[198:199], v[192:193], v[142:143]
	v_fma_f64 v[190:191], v[190:191], v[142:143], -v[144:145]
	scratch_load_b128 v[142:145], off, off offset:896
	v_add_f64_e32 v[194:195], v[194:195], v[200:201]
	v_fmac_f64_e32 v[196:197], v[6:7], v[146:147]
	v_add_f64_e32 v[192:193], v[204:205], v[202:203]
	;; [unrolled: 18-line block ×4, first 2 shown]
	v_fma_f64 v[202:203], v[4:5], v[162:163], -v[164:165]
	ds_load_b128 v[4:7], v2 offset:1808
	s_wait_loadcnt_dscnt 0xa01
	v_mul_f64_e32 v[198:199], v[182:183], v[168:169]
	v_mul_f64_e32 v[168:169], v[184:185], v[168:169]
	scratch_load_b128 v[162:165], off, off offset:976
	v_add_f64_e32 v[194:195], v[194:195], v[196:197]
	s_wait_loadcnt_dscnt 0xa00
	v_mul_f64_e32 v[196:197], v[4:5], v[176:177]
	v_add_f64_e32 v[204:205], v[192:193], v[190:191]
	v_mul_f64_e32 v[176:177], v[6:7], v[176:177]
	ds_load_b128 v[190:193], v2 offset:1824
	v_fmac_f64_e32 v[198:199], v[184:185], v[166:167]
	v_fma_f64 v[166:167], v[182:183], v[166:167], -v[168:169]
	s_wait_loadcnt_dscnt 0x900
	v_mul_f64_e32 v[184:185], v[190:191], v[188:189]
	v_mul_f64_e32 v[188:189], v[192:193], v[188:189]
	v_add_f64_e32 v[182:183], v[194:195], v[200:201]
	v_fmac_f64_e32 v[196:197], v[6:7], v[174:175]
	v_add_f64_e32 v[168:169], v[204:205], v[202:203]
	v_fma_f64 v[174:175], v[4:5], v[174:175], -v[176:177]
	v_fmac_f64_e32 v[184:185], v[192:193], v[186:187]
	v_fma_f64 v[186:187], v[190:191], v[186:187], -v[188:189]
	v_add_f64_e32 v[182:183], v[182:183], v[198:199]
	v_add_f64_e32 v[176:177], v[168:169], v[166:167]
	ds_load_b128 v[4:7], v2 offset:1840
	ds_load_b128 v[166:169], v2 offset:1856
	s_wait_loadcnt_dscnt 0x801
	v_mul_f64_e32 v[194:195], v[4:5], v[172:173]
	v_mul_f64_e32 v[172:173], v[6:7], v[172:173]
	v_add_f64_e32 v[174:175], v[176:177], v[174:175]
	v_add_f64_e32 v[176:177], v[182:183], v[196:197]
	s_wait_loadcnt_dscnt 0x700
	v_mul_f64_e32 v[182:183], v[166:167], v[10:11]
	v_mul_f64_e32 v[10:11], v[168:169], v[10:11]
	v_fmac_f64_e32 v[194:195], v[6:7], v[170:171]
	v_fma_f64 v[188:189], v[4:5], v[170:171], -v[172:173]
	ds_load_b128 v[4:7], v2 offset:1872
	ds_load_b128 v[170:173], v2 offset:1888
	v_add_f64_e32 v[174:175], v[174:175], v[186:187]
	v_add_f64_e32 v[176:177], v[176:177], v[184:185]
	v_fmac_f64_e32 v[182:183], v[168:169], v[8:9]
	v_fma_f64 v[8:9], v[166:167], v[8:9], -v[10:11]
	s_wait_loadcnt_dscnt 0x601
	v_mul_f64_e32 v[184:185], v[4:5], v[14:15]
	v_mul_f64_e32 v[14:15], v[6:7], v[14:15]
	s_wait_loadcnt_dscnt 0x500
	v_mul_f64_e32 v[168:169], v[170:171], v[144:145]
	v_mul_f64_e32 v[144:145], v[172:173], v[144:145]
	v_add_f64_e32 v[10:11], v[174:175], v[188:189]
	v_add_f64_e32 v[166:167], v[176:177], v[194:195]
	v_fmac_f64_e32 v[184:185], v[6:7], v[12:13]
	v_fma_f64 v[12:13], v[4:5], v[12:13], -v[14:15]
	v_fmac_f64_e32 v[168:169], v[172:173], v[142:143]
	v_fma_f64 v[142:143], v[170:171], v[142:143], -v[144:145]
	v_add_f64_e32 v[14:15], v[10:11], v[8:9]
	v_add_f64_e32 v[166:167], v[166:167], v[182:183]
	ds_load_b128 v[4:7], v2 offset:1904
	ds_load_b128 v[8:11], v2 offset:1920
	s_wait_loadcnt_dscnt 0x401
	v_mul_f64_e32 v[174:175], v[4:5], v[148:149]
	v_mul_f64_e32 v[148:149], v[6:7], v[148:149]
	s_wait_loadcnt_dscnt 0x300
	v_mul_f64_e32 v[144:145], v[8:9], v[152:153]
	v_mul_f64_e32 v[152:153], v[10:11], v[152:153]
	v_add_f64_e32 v[12:13], v[14:15], v[12:13]
	v_add_f64_e32 v[14:15], v[166:167], v[184:185]
	v_fmac_f64_e32 v[174:175], v[6:7], v[146:147]
	v_fma_f64 v[146:147], v[4:5], v[146:147], -v[148:149]
	v_fmac_f64_e32 v[144:145], v[10:11], v[150:151]
	v_fma_f64 v[8:9], v[8:9], v[150:151], -v[152:153]
	v_add_f64_e32 v[142:143], v[12:13], v[142:143]
	v_add_f64_e32 v[148:149], v[14:15], v[168:169]
	ds_load_b128 v[4:7], v2 offset:1936
	ds_load_b128 v[12:15], v2 offset:1952
	s_wait_loadcnt_dscnt 0x201
	v_mul_f64_e32 v[166:167], v[4:5], v[156:157]
	v_mul_f64_e32 v[156:157], v[6:7], v[156:157]
	v_add_f64_e32 v[10:11], v[142:143], v[146:147]
	v_add_f64_e32 v[142:143], v[148:149], v[174:175]
	s_wait_loadcnt_dscnt 0x100
	v_mul_f64_e32 v[146:147], v[12:13], v[160:161]
	v_mul_f64_e32 v[148:149], v[14:15], v[160:161]
	v_fmac_f64_e32 v[166:167], v[6:7], v[154:155]
	v_fma_f64 v[150:151], v[4:5], v[154:155], -v[156:157]
	ds_load_b128 v[4:7], v2 offset:1968
	v_add_f64_e32 v[8:9], v[10:11], v[8:9]
	v_add_f64_e32 v[10:11], v[142:143], v[144:145]
	v_fmac_f64_e32 v[146:147], v[14:15], v[158:159]
	v_fma_f64 v[12:13], v[12:13], v[158:159], -v[148:149]
	s_wait_loadcnt_dscnt 0x0
	v_mul_f64_e32 v[142:143], v[4:5], v[164:165]
	v_mul_f64_e32 v[144:145], v[6:7], v[164:165]
	v_add_f64_e32 v[8:9], v[8:9], v[150:151]
	v_add_f64_e32 v[10:11], v[10:11], v[166:167]
	s_delay_alu instid0(VALU_DEP_4) | instskip(NEXT) | instid1(VALU_DEP_4)
	v_fmac_f64_e32 v[142:143], v[6:7], v[162:163]
	v_fma_f64 v[4:5], v[4:5], v[162:163], -v[144:145]
	s_delay_alu instid0(VALU_DEP_4) | instskip(NEXT) | instid1(VALU_DEP_4)
	v_add_f64_e32 v[6:7], v[8:9], v[12:13]
	v_add_f64_e32 v[8:9], v[10:11], v[146:147]
	s_delay_alu instid0(VALU_DEP_2) | instskip(NEXT) | instid1(VALU_DEP_2)
	v_add_f64_e32 v[4:5], v[6:7], v[4:5]
	v_add_f64_e32 v[6:7], v[8:9], v[142:143]
	s_delay_alu instid0(VALU_DEP_2) | instskip(NEXT) | instid1(VALU_DEP_2)
	v_add_f64_e64 v[4:5], v[178:179], -v[4:5]
	v_add_f64_e64 v[6:7], v[180:181], -v[6:7]
	scratch_store_b128 off, v[4:7], off offset:448
	s_wait_xcnt 0x0
	v_cmpx_lt_u32_e32 27, v1
	s_cbranch_execz .LBB125_343
; %bb.342:
	scratch_load_b128 v[6:9], off, s53
	v_dual_mov_b32 v3, v2 :: v_dual_mov_b32 v4, v2
	v_mov_b32_e32 v5, v2
	scratch_store_b128 off, v[2:5], off offset:432
	s_wait_loadcnt 0x0
	ds_store_b128 v16, v[6:9]
.LBB125_343:
	s_wait_xcnt 0x0
	s_or_b32 exec_lo, exec_lo, s2
	s_wait_storecnt_dscnt 0x0
	s_barrier_signal -1
	s_barrier_wait -1
	s_clause 0x9
	scratch_load_b128 v[4:7], off, off offset:448
	scratch_load_b128 v[8:11], off, off offset:464
	;; [unrolled: 1-line block ×10, first 2 shown]
	ds_load_b128 v[170:173], v2 offset:1440
	ds_load_b128 v[178:181], v2 offset:1456
	s_clause 0x2
	scratch_load_b128 v[174:177], off, off offset:608
	scratch_load_b128 v[182:185], off, off offset:432
	;; [unrolled: 1-line block ×3, first 2 shown]
	s_mov_b32 s2, exec_lo
	s_wait_loadcnt_dscnt 0xc01
	v_mul_f64_e32 v[190:191], v[172:173], v[6:7]
	v_mul_f64_e32 v[194:195], v[170:171], v[6:7]
	s_wait_loadcnt_dscnt 0xb00
	v_mul_f64_e32 v[196:197], v[178:179], v[10:11]
	v_mul_f64_e32 v[10:11], v[180:181], v[10:11]
	s_delay_alu instid0(VALU_DEP_4) | instskip(NEXT) | instid1(VALU_DEP_4)
	v_fma_f64 v[198:199], v[170:171], v[4:5], -v[190:191]
	v_fmac_f64_e32 v[194:195], v[172:173], v[4:5]
	ds_load_b128 v[4:7], v2 offset:1472
	ds_load_b128 v[170:173], v2 offset:1488
	scratch_load_b128 v[190:193], off, off offset:640
	v_fmac_f64_e32 v[196:197], v[180:181], v[8:9]
	v_fma_f64 v[178:179], v[178:179], v[8:9], -v[10:11]
	scratch_load_b128 v[8:11], off, off offset:656
	s_wait_loadcnt_dscnt 0xc01
	v_mul_f64_e32 v[200:201], v[4:5], v[14:15]
	v_mul_f64_e32 v[14:15], v[6:7], v[14:15]
	v_add_f64_e32 v[180:181], 0, v[198:199]
	v_add_f64_e32 v[194:195], 0, v[194:195]
	s_wait_loadcnt_dscnt 0xb00
	v_mul_f64_e32 v[198:199], v[170:171], v[144:145]
	v_mul_f64_e32 v[144:145], v[172:173], v[144:145]
	v_fmac_f64_e32 v[200:201], v[6:7], v[12:13]
	v_fma_f64 v[202:203], v[4:5], v[12:13], -v[14:15]
	ds_load_b128 v[4:7], v2 offset:1504
	ds_load_b128 v[12:15], v2 offset:1520
	v_add_f64_e32 v[204:205], v[180:181], v[178:179]
	v_add_f64_e32 v[194:195], v[194:195], v[196:197]
	scratch_load_b128 v[178:181], off, off offset:672
	v_fmac_f64_e32 v[198:199], v[172:173], v[142:143]
	v_fma_f64 v[170:171], v[170:171], v[142:143], -v[144:145]
	scratch_load_b128 v[142:145], off, off offset:688
	s_wait_loadcnt_dscnt 0xc01
	v_mul_f64_e32 v[196:197], v[4:5], v[148:149]
	v_mul_f64_e32 v[148:149], v[6:7], v[148:149]
	v_add_f64_e32 v[172:173], v[204:205], v[202:203]
	v_add_f64_e32 v[194:195], v[194:195], v[200:201]
	s_wait_loadcnt_dscnt 0xb00
	v_mul_f64_e32 v[200:201], v[12:13], v[152:153]
	v_mul_f64_e32 v[152:153], v[14:15], v[152:153]
	v_fmac_f64_e32 v[196:197], v[6:7], v[146:147]
	v_fma_f64 v[202:203], v[4:5], v[146:147], -v[148:149]
	ds_load_b128 v[4:7], v2 offset:1536
	ds_load_b128 v[146:149], v2 offset:1552
	v_add_f64_e32 v[204:205], v[172:173], v[170:171]
	v_add_f64_e32 v[194:195], v[194:195], v[198:199]
	scratch_load_b128 v[170:173], off, off offset:704
	s_wait_loadcnt_dscnt 0xb01
	v_mul_f64_e32 v[198:199], v[4:5], v[156:157]
	v_mul_f64_e32 v[156:157], v[6:7], v[156:157]
	v_fmac_f64_e32 v[200:201], v[14:15], v[150:151]
	v_fma_f64 v[150:151], v[12:13], v[150:151], -v[152:153]
	scratch_load_b128 v[12:15], off, off offset:720
	v_add_f64_e32 v[152:153], v[204:205], v[202:203]
	v_add_f64_e32 v[194:195], v[194:195], v[196:197]
	s_wait_loadcnt_dscnt 0xb00
	v_mul_f64_e32 v[196:197], v[146:147], v[160:161]
	v_mul_f64_e32 v[160:161], v[148:149], v[160:161]
	v_fmac_f64_e32 v[198:199], v[6:7], v[154:155]
	v_fma_f64 v[202:203], v[4:5], v[154:155], -v[156:157]
	v_add_f64_e32 v[204:205], v[152:153], v[150:151]
	v_add_f64_e32 v[194:195], v[194:195], v[200:201]
	ds_load_b128 v[4:7], v2 offset:1568
	ds_load_b128 v[150:153], v2 offset:1584
	scratch_load_b128 v[154:157], off, off offset:736
	v_fmac_f64_e32 v[196:197], v[148:149], v[158:159]
	v_fma_f64 v[158:159], v[146:147], v[158:159], -v[160:161]
	scratch_load_b128 v[146:149], off, off offset:752
	s_wait_loadcnt_dscnt 0xc01
	v_mul_f64_e32 v[200:201], v[4:5], v[164:165]
	v_mul_f64_e32 v[164:165], v[6:7], v[164:165]
	v_add_f64_e32 v[160:161], v[204:205], v[202:203]
	v_add_f64_e32 v[194:195], v[194:195], v[198:199]
	s_wait_loadcnt_dscnt 0xb00
	v_mul_f64_e32 v[198:199], v[150:151], v[168:169]
	v_mul_f64_e32 v[168:169], v[152:153], v[168:169]
	v_fmac_f64_e32 v[200:201], v[6:7], v[162:163]
	v_fma_f64 v[202:203], v[4:5], v[162:163], -v[164:165]
	v_add_f64_e32 v[204:205], v[160:161], v[158:159]
	v_add_f64_e32 v[194:195], v[194:195], v[196:197]
	ds_load_b128 v[4:7], v2 offset:1600
	ds_load_b128 v[158:161], v2 offset:1616
	scratch_load_b128 v[162:165], off, off offset:768
	v_fmac_f64_e32 v[198:199], v[152:153], v[166:167]
	v_fma_f64 v[166:167], v[150:151], v[166:167], -v[168:169]
	scratch_load_b128 v[150:153], off, off offset:784
	s_wait_loadcnt_dscnt 0xc01
	v_mul_f64_e32 v[196:197], v[4:5], v[176:177]
	v_mul_f64_e32 v[176:177], v[6:7], v[176:177]
	;; [unrolled: 18-line block ×5, first 2 shown]
	v_add_f64_e32 v[188:189], v[204:205], v[202:203]
	v_add_f64_e32 v[194:195], v[194:195], v[200:201]
	s_wait_loadcnt_dscnt 0xa00
	v_mul_f64_e32 v[200:201], v[166:167], v[14:15]
	v_mul_f64_e32 v[14:15], v[168:169], v[14:15]
	v_fmac_f64_e32 v[196:197], v[6:7], v[170:171]
	v_fma_f64 v[202:203], v[4:5], v[170:171], -v[172:173]
	ds_load_b128 v[4:7], v2 offset:1728
	ds_load_b128 v[170:173], v2 offset:1744
	v_add_f64_e32 v[204:205], v[188:189], v[186:187]
	v_add_f64_e32 v[194:195], v[194:195], v[198:199]
	scratch_load_b128 v[186:189], off, off offset:896
	v_fmac_f64_e32 v[200:201], v[168:169], v[12:13]
	v_fma_f64 v[166:167], v[166:167], v[12:13], -v[14:15]
	scratch_load_b128 v[12:15], off, off offset:912
	s_wait_loadcnt_dscnt 0xb01
	v_mul_f64_e32 v[198:199], v[4:5], v[156:157]
	v_mul_f64_e32 v[156:157], v[6:7], v[156:157]
	v_add_f64_e32 v[168:169], v[204:205], v[202:203]
	v_add_f64_e32 v[194:195], v[194:195], v[196:197]
	s_wait_loadcnt_dscnt 0xa00
	v_mul_f64_e32 v[196:197], v[170:171], v[148:149]
	v_mul_f64_e32 v[148:149], v[172:173], v[148:149]
	v_fmac_f64_e32 v[198:199], v[6:7], v[154:155]
	v_fma_f64 v[202:203], v[4:5], v[154:155], -v[156:157]
	ds_load_b128 v[4:7], v2 offset:1760
	ds_load_b128 v[154:157], v2 offset:1776
	v_add_f64_e32 v[204:205], v[168:169], v[166:167]
	v_add_f64_e32 v[194:195], v[194:195], v[200:201]
	scratch_load_b128 v[166:169], off, off offset:928
	s_wait_loadcnt_dscnt 0xa01
	v_mul_f64_e32 v[200:201], v[4:5], v[164:165]
	v_mul_f64_e32 v[164:165], v[6:7], v[164:165]
	v_fmac_f64_e32 v[196:197], v[172:173], v[146:147]
	v_fma_f64 v[170:171], v[170:171], v[146:147], -v[148:149]
	scratch_load_b128 v[146:149], off, off offset:944
	v_add_f64_e32 v[172:173], v[204:205], v[202:203]
	v_add_f64_e32 v[194:195], v[194:195], v[198:199]
	s_wait_loadcnt_dscnt 0xa00
	v_mul_f64_e32 v[198:199], v[154:155], v[152:153]
	v_mul_f64_e32 v[152:153], v[156:157], v[152:153]
	v_fmac_f64_e32 v[200:201], v[6:7], v[162:163]
	v_fma_f64 v[202:203], v[4:5], v[162:163], -v[164:165]
	ds_load_b128 v[4:7], v2 offset:1792
	ds_load_b128 v[162:165], v2 offset:1808
	v_add_f64_e32 v[204:205], v[172:173], v[170:171]
	v_add_f64_e32 v[194:195], v[194:195], v[196:197]
	scratch_load_b128 v[170:173], off, off offset:960
	s_wait_loadcnt_dscnt 0xa01
	v_mul_f64_e32 v[196:197], v[4:5], v[176:177]
	v_mul_f64_e32 v[176:177], v[6:7], v[176:177]
	v_fmac_f64_e32 v[198:199], v[156:157], v[150:151]
	v_fma_f64 v[154:155], v[154:155], v[150:151], -v[152:153]
	scratch_load_b128 v[150:153], off, off offset:976
	v_add_f64_e32 v[156:157], v[204:205], v[202:203]
	v_add_f64_e32 v[194:195], v[194:195], v[200:201]
	s_wait_loadcnt_dscnt 0xa00
	v_mul_f64_e32 v[200:201], v[162:163], v[160:161]
	v_mul_f64_e32 v[160:161], v[164:165], v[160:161]
	v_fmac_f64_e32 v[196:197], v[6:7], v[174:175]
	v_fma_f64 v[174:175], v[4:5], v[174:175], -v[176:177]
	v_add_f64_e32 v[176:177], v[156:157], v[154:155]
	v_add_f64_e32 v[194:195], v[194:195], v[198:199]
	ds_load_b128 v[4:7], v2 offset:1824
	ds_load_b128 v[154:157], v2 offset:1840
	v_fmac_f64_e32 v[200:201], v[164:165], v[158:159]
	v_fma_f64 v[158:159], v[162:163], v[158:159], -v[160:161]
	s_wait_loadcnt_dscnt 0x901
	v_mul_f64_e32 v[198:199], v[4:5], v[192:193]
	v_mul_f64_e32 v[192:193], v[6:7], v[192:193]
	s_wait_loadcnt_dscnt 0x800
	v_mul_f64_e32 v[164:165], v[154:155], v[10:11]
	v_mul_f64_e32 v[10:11], v[156:157], v[10:11]
	v_add_f64_e32 v[160:161], v[176:177], v[174:175]
	v_add_f64_e32 v[162:163], v[194:195], v[196:197]
	v_fmac_f64_e32 v[198:199], v[6:7], v[190:191]
	v_fma_f64 v[174:175], v[4:5], v[190:191], -v[192:193]
	v_fmac_f64_e32 v[164:165], v[156:157], v[8:9]
	v_fma_f64 v[8:9], v[154:155], v[8:9], -v[10:11]
	v_add_f64_e32 v[176:177], v[160:161], v[158:159]
	v_add_f64_e32 v[162:163], v[162:163], v[200:201]
	ds_load_b128 v[4:7], v2 offset:1856
	ds_load_b128 v[158:161], v2 offset:1872
	s_wait_loadcnt_dscnt 0x701
	v_mul_f64_e32 v[190:191], v[4:5], v[180:181]
	v_mul_f64_e32 v[180:181], v[6:7], v[180:181]
	s_wait_loadcnt_dscnt 0x600
	v_mul_f64_e32 v[156:157], v[158:159], v[144:145]
	v_mul_f64_e32 v[144:145], v[160:161], v[144:145]
	v_add_f64_e32 v[10:11], v[176:177], v[174:175]
	v_add_f64_e32 v[154:155], v[162:163], v[198:199]
	v_fmac_f64_e32 v[190:191], v[6:7], v[178:179]
	v_fma_f64 v[162:163], v[4:5], v[178:179], -v[180:181]
	v_fmac_f64_e32 v[156:157], v[160:161], v[142:143]
	v_fma_f64 v[142:143], v[158:159], v[142:143], -v[144:145]
	v_add_f64_e32 v[174:175], v[10:11], v[8:9]
	v_add_f64_e32 v[154:155], v[154:155], v[164:165]
	ds_load_b128 v[4:7], v2 offset:1888
	ds_load_b128 v[8:11], v2 offset:1904
	s_wait_loadcnt_dscnt 0x501
	v_mul_f64_e32 v[164:165], v[4:5], v[188:189]
	v_mul_f64_e32 v[176:177], v[6:7], v[188:189]
	s_wait_loadcnt_dscnt 0x400
	v_mul_f64_e32 v[158:159], v[8:9], v[14:15]
	v_mul_f64_e32 v[14:15], v[10:11], v[14:15]
	v_add_f64_e32 v[144:145], v[174:175], v[162:163]
	v_add_f64_e32 v[154:155], v[154:155], v[190:191]
	v_fmac_f64_e32 v[164:165], v[6:7], v[186:187]
	v_fma_f64 v[160:161], v[4:5], v[186:187], -v[176:177]
	v_fmac_f64_e32 v[158:159], v[10:11], v[12:13]
	v_fma_f64 v[8:9], v[8:9], v[12:13], -v[14:15]
	v_add_f64_e32 v[162:163], v[144:145], v[142:143]
	v_add_f64_e32 v[154:155], v[154:155], v[156:157]
	ds_load_b128 v[4:7], v2 offset:1920
	ds_load_b128 v[142:145], v2 offset:1936
	s_wait_loadcnt_dscnt 0x301
	v_mul_f64_e32 v[156:157], v[4:5], v[168:169]
	v_mul_f64_e32 v[168:169], v[6:7], v[168:169]
	s_wait_loadcnt_dscnt 0x200
	v_mul_f64_e32 v[14:15], v[142:143], v[148:149]
	v_mul_f64_e32 v[148:149], v[144:145], v[148:149]
	v_add_f64_e32 v[10:11], v[162:163], v[160:161]
	v_add_f64_e32 v[12:13], v[154:155], v[164:165]
	v_fmac_f64_e32 v[156:157], v[6:7], v[166:167]
	v_fma_f64 v[154:155], v[4:5], v[166:167], -v[168:169]
	v_fmac_f64_e32 v[14:15], v[144:145], v[146:147]
	v_fma_f64 v[142:143], v[142:143], v[146:147], -v[148:149]
	v_add_f64_e32 v[160:161], v[10:11], v[8:9]
	v_add_f64_e32 v[12:13], v[12:13], v[158:159]
	ds_load_b128 v[4:7], v2 offset:1952
	ds_load_b128 v[8:11], v2 offset:1968
	s_wait_loadcnt_dscnt 0x101
	v_mul_f64_e32 v[2:3], v[4:5], v[172:173]
	v_mul_f64_e32 v[158:159], v[6:7], v[172:173]
	s_wait_loadcnt_dscnt 0x0
	v_mul_f64_e32 v[146:147], v[8:9], v[152:153]
	v_mul_f64_e32 v[148:149], v[10:11], v[152:153]
	v_add_f64_e32 v[144:145], v[160:161], v[154:155]
	v_add_f64_e32 v[12:13], v[12:13], v[156:157]
	v_fmac_f64_e32 v[2:3], v[6:7], v[170:171]
	v_fma_f64 v[4:5], v[4:5], v[170:171], -v[158:159]
	v_fmac_f64_e32 v[146:147], v[10:11], v[150:151]
	v_fma_f64 v[8:9], v[8:9], v[150:151], -v[148:149]
	v_add_f64_e32 v[6:7], v[144:145], v[142:143]
	v_add_f64_e32 v[12:13], v[12:13], v[14:15]
	s_delay_alu instid0(VALU_DEP_2) | instskip(NEXT) | instid1(VALU_DEP_2)
	v_add_f64_e32 v[4:5], v[6:7], v[4:5]
	v_add_f64_e32 v[2:3], v[12:13], v[2:3]
	s_delay_alu instid0(VALU_DEP_2) | instskip(NEXT) | instid1(VALU_DEP_2)
	;; [unrolled: 3-line block ×3, first 2 shown]
	v_add_f64_e64 v[2:3], v[182:183], -v[4:5]
	v_add_f64_e64 v[4:5], v[184:185], -v[6:7]
	scratch_store_b128 off, v[2:5], off offset:432
	s_wait_xcnt 0x0
	v_cmpx_lt_u32_e32 26, v1
	s_cbranch_execz .LBB125_345
; %bb.344:
	scratch_load_b128 v[2:5], off, s54
	v_mov_b32_e32 v6, 0
	s_delay_alu instid0(VALU_DEP_1)
	v_dual_mov_b32 v7, v6 :: v_dual_mov_b32 v8, v6
	v_mov_b32_e32 v9, v6
	scratch_store_b128 off, v[6:9], off offset:416
	s_wait_loadcnt 0x0
	ds_store_b128 v16, v[2:5]
.LBB125_345:
	s_wait_xcnt 0x0
	s_or_b32 exec_lo, exec_lo, s2
	s_wait_storecnt_dscnt 0x0
	s_barrier_signal -1
	s_barrier_wait -1
	s_clause 0x9
	scratch_load_b128 v[4:7], off, off offset:432
	scratch_load_b128 v[8:11], off, off offset:448
	;; [unrolled: 1-line block ×10, first 2 shown]
	v_mov_b32_e32 v2, 0
	s_mov_b32 s2, exec_lo
	ds_load_b128 v[170:173], v2 offset:1424
	s_clause 0x2
	scratch_load_b128 v[174:177], off, off offset:592
	scratch_load_b128 v[178:181], off, off offset:416
	;; [unrolled: 1-line block ×3, first 2 shown]
	s_wait_loadcnt_dscnt 0xc00
	v_mul_f64_e32 v[190:191], v[172:173], v[6:7]
	v_mul_f64_e32 v[194:195], v[170:171], v[6:7]
	ds_load_b128 v[182:185], v2 offset:1440
	v_fma_f64 v[198:199], v[170:171], v[4:5], -v[190:191]
	v_fmac_f64_e32 v[194:195], v[172:173], v[4:5]
	ds_load_b128 v[4:7], v2 offset:1456
	s_wait_loadcnt_dscnt 0xb01
	v_mul_f64_e32 v[196:197], v[182:183], v[10:11]
	v_mul_f64_e32 v[10:11], v[184:185], v[10:11]
	scratch_load_b128 v[170:173], off, off offset:624
	ds_load_b128 v[190:193], v2 offset:1472
	s_wait_loadcnt_dscnt 0xb01
	v_mul_f64_e32 v[200:201], v[4:5], v[14:15]
	v_mul_f64_e32 v[14:15], v[6:7], v[14:15]
	v_add_f64_e32 v[194:195], 0, v[194:195]
	v_fmac_f64_e32 v[196:197], v[184:185], v[8:9]
	v_fma_f64 v[182:183], v[182:183], v[8:9], -v[10:11]
	v_add_f64_e32 v[184:185], 0, v[198:199]
	scratch_load_b128 v[8:11], off, off offset:640
	v_fmac_f64_e32 v[200:201], v[6:7], v[12:13]
	v_fma_f64 v[202:203], v[4:5], v[12:13], -v[14:15]
	ds_load_b128 v[4:7], v2 offset:1488
	s_wait_loadcnt_dscnt 0xb01
	v_mul_f64_e32 v[198:199], v[190:191], v[144:145]
	v_mul_f64_e32 v[144:145], v[192:193], v[144:145]
	scratch_load_b128 v[12:15], off, off offset:656
	v_add_f64_e32 v[194:195], v[194:195], v[196:197]
	v_add_f64_e32 v[204:205], v[184:185], v[182:183]
	ds_load_b128 v[182:185], v2 offset:1504
	s_wait_loadcnt_dscnt 0xb01
	v_mul_f64_e32 v[196:197], v[4:5], v[148:149]
	v_mul_f64_e32 v[148:149], v[6:7], v[148:149]
	v_fmac_f64_e32 v[198:199], v[192:193], v[142:143]
	v_fma_f64 v[190:191], v[190:191], v[142:143], -v[144:145]
	scratch_load_b128 v[142:145], off, off offset:672
	v_add_f64_e32 v[194:195], v[194:195], v[200:201]
	v_add_f64_e32 v[192:193], v[204:205], v[202:203]
	v_fmac_f64_e32 v[196:197], v[6:7], v[146:147]
	v_fma_f64 v[202:203], v[4:5], v[146:147], -v[148:149]
	ds_load_b128 v[4:7], v2 offset:1520
	s_wait_loadcnt_dscnt 0xb01
	v_mul_f64_e32 v[200:201], v[182:183], v[152:153]
	v_mul_f64_e32 v[152:153], v[184:185], v[152:153]
	scratch_load_b128 v[146:149], off, off offset:688
	v_add_f64_e32 v[194:195], v[194:195], v[198:199]
	s_wait_loadcnt_dscnt 0xb00
	v_mul_f64_e32 v[198:199], v[4:5], v[156:157]
	v_add_f64_e32 v[204:205], v[192:193], v[190:191]
	v_mul_f64_e32 v[156:157], v[6:7], v[156:157]
	ds_load_b128 v[190:193], v2 offset:1536
	v_fmac_f64_e32 v[200:201], v[184:185], v[150:151]
	v_fma_f64 v[182:183], v[182:183], v[150:151], -v[152:153]
	scratch_load_b128 v[150:153], off, off offset:704
	v_add_f64_e32 v[194:195], v[194:195], v[196:197]
	v_fmac_f64_e32 v[198:199], v[6:7], v[154:155]
	v_add_f64_e32 v[184:185], v[204:205], v[202:203]
	v_fma_f64 v[202:203], v[4:5], v[154:155], -v[156:157]
	ds_load_b128 v[4:7], v2 offset:1552
	s_wait_loadcnt_dscnt 0xb01
	v_mul_f64_e32 v[196:197], v[190:191], v[160:161]
	v_mul_f64_e32 v[160:161], v[192:193], v[160:161]
	scratch_load_b128 v[154:157], off, off offset:720
	v_add_f64_e32 v[194:195], v[194:195], v[200:201]
	s_wait_loadcnt_dscnt 0xb00
	v_mul_f64_e32 v[200:201], v[4:5], v[164:165]
	v_add_f64_e32 v[204:205], v[184:185], v[182:183]
	v_mul_f64_e32 v[164:165], v[6:7], v[164:165]
	ds_load_b128 v[182:185], v2 offset:1568
	v_fmac_f64_e32 v[196:197], v[192:193], v[158:159]
	v_fma_f64 v[190:191], v[190:191], v[158:159], -v[160:161]
	scratch_load_b128 v[158:161], off, off offset:736
	v_add_f64_e32 v[194:195], v[194:195], v[198:199]
	v_fmac_f64_e32 v[200:201], v[6:7], v[162:163]
	v_add_f64_e32 v[192:193], v[204:205], v[202:203]
	;; [unrolled: 18-line block ×3, first 2 shown]
	v_fma_f64 v[202:203], v[4:5], v[174:175], -v[176:177]
	ds_load_b128 v[4:7], v2 offset:1616
	s_wait_loadcnt_dscnt 0xa01
	v_mul_f64_e32 v[200:201], v[190:191], v[188:189]
	v_mul_f64_e32 v[188:189], v[192:193], v[188:189]
	scratch_load_b128 v[174:177], off, off offset:784
	v_add_f64_e32 v[194:195], v[194:195], v[198:199]
	v_add_f64_e32 v[204:205], v[184:185], v[182:183]
	s_wait_loadcnt_dscnt 0xa00
	v_mul_f64_e32 v[198:199], v[4:5], v[172:173]
	v_mul_f64_e32 v[172:173], v[6:7], v[172:173]
	v_fmac_f64_e32 v[200:201], v[192:193], v[186:187]
	v_fma_f64 v[190:191], v[190:191], v[186:187], -v[188:189]
	ds_load_b128 v[182:185], v2 offset:1632
	scratch_load_b128 v[186:189], off, off offset:800
	v_add_f64_e32 v[194:195], v[194:195], v[196:197]
	v_add_f64_e32 v[192:193], v[204:205], v[202:203]
	v_fmac_f64_e32 v[198:199], v[6:7], v[170:171]
	v_fma_f64 v[202:203], v[4:5], v[170:171], -v[172:173]
	ds_load_b128 v[4:7], v2 offset:1648
	s_wait_loadcnt_dscnt 0xa01
	v_mul_f64_e32 v[196:197], v[182:183], v[10:11]
	v_mul_f64_e32 v[10:11], v[184:185], v[10:11]
	scratch_load_b128 v[170:173], off, off offset:816
	v_add_f64_e32 v[194:195], v[194:195], v[200:201]
	s_wait_loadcnt_dscnt 0xa00
	v_mul_f64_e32 v[200:201], v[4:5], v[14:15]
	v_add_f64_e32 v[204:205], v[192:193], v[190:191]
	v_mul_f64_e32 v[14:15], v[6:7], v[14:15]
	ds_load_b128 v[190:193], v2 offset:1664
	v_fmac_f64_e32 v[196:197], v[184:185], v[8:9]
	v_fma_f64 v[182:183], v[182:183], v[8:9], -v[10:11]
	scratch_load_b128 v[8:11], off, off offset:832
	v_add_f64_e32 v[194:195], v[194:195], v[198:199]
	v_fmac_f64_e32 v[200:201], v[6:7], v[12:13]
	v_add_f64_e32 v[184:185], v[204:205], v[202:203]
	v_fma_f64 v[202:203], v[4:5], v[12:13], -v[14:15]
	ds_load_b128 v[4:7], v2 offset:1680
	s_wait_loadcnt_dscnt 0xa01
	v_mul_f64_e32 v[198:199], v[190:191], v[144:145]
	v_mul_f64_e32 v[144:145], v[192:193], v[144:145]
	scratch_load_b128 v[12:15], off, off offset:848
	v_add_f64_e32 v[194:195], v[194:195], v[196:197]
	s_wait_loadcnt_dscnt 0xa00
	v_mul_f64_e32 v[196:197], v[4:5], v[148:149]
	v_add_f64_e32 v[204:205], v[184:185], v[182:183]
	v_mul_f64_e32 v[148:149], v[6:7], v[148:149]
	ds_load_b128 v[182:185], v2 offset:1696
	v_fmac_f64_e32 v[198:199], v[192:193], v[142:143]
	v_fma_f64 v[190:191], v[190:191], v[142:143], -v[144:145]
	scratch_load_b128 v[142:145], off, off offset:864
	v_add_f64_e32 v[194:195], v[194:195], v[200:201]
	v_fmac_f64_e32 v[196:197], v[6:7], v[146:147]
	v_add_f64_e32 v[192:193], v[204:205], v[202:203]
	;; [unrolled: 18-line block ×5, first 2 shown]
	v_fma_f64 v[202:203], v[4:5], v[174:175], -v[176:177]
	ds_load_b128 v[4:7], v2 offset:1808
	s_wait_loadcnt_dscnt 0xa01
	v_mul_f64_e32 v[200:201], v[190:191], v[188:189]
	v_mul_f64_e32 v[188:189], v[192:193], v[188:189]
	scratch_load_b128 v[174:177], off, off offset:976
	v_add_f64_e32 v[194:195], v[194:195], v[198:199]
	s_wait_loadcnt_dscnt 0xa00
	v_mul_f64_e32 v[198:199], v[4:5], v[172:173]
	v_add_f64_e32 v[204:205], v[184:185], v[182:183]
	v_mul_f64_e32 v[172:173], v[6:7], v[172:173]
	ds_load_b128 v[182:185], v2 offset:1824
	v_fmac_f64_e32 v[200:201], v[192:193], v[186:187]
	v_fma_f64 v[186:187], v[190:191], v[186:187], -v[188:189]
	s_wait_loadcnt_dscnt 0x900
	v_mul_f64_e32 v[192:193], v[182:183], v[10:11]
	v_mul_f64_e32 v[10:11], v[184:185], v[10:11]
	v_add_f64_e32 v[190:191], v[194:195], v[196:197]
	v_fmac_f64_e32 v[198:199], v[6:7], v[170:171]
	v_add_f64_e32 v[188:189], v[204:205], v[202:203]
	v_fma_f64 v[194:195], v[4:5], v[170:171], -v[172:173]
	ds_load_b128 v[4:7], v2 offset:1840
	ds_load_b128 v[170:173], v2 offset:1856
	v_fmac_f64_e32 v[192:193], v[184:185], v[8:9]
	v_fma_f64 v[8:9], v[182:183], v[8:9], -v[10:11]
	v_add_f64_e32 v[186:187], v[188:189], v[186:187]
	v_add_f64_e32 v[188:189], v[190:191], v[200:201]
	s_wait_loadcnt_dscnt 0x801
	v_mul_f64_e32 v[190:191], v[4:5], v[14:15]
	v_mul_f64_e32 v[14:15], v[6:7], v[14:15]
	s_wait_loadcnt_dscnt 0x700
	v_mul_f64_e32 v[184:185], v[170:171], v[144:145]
	v_mul_f64_e32 v[144:145], v[172:173], v[144:145]
	v_add_f64_e32 v[10:11], v[186:187], v[194:195]
	v_add_f64_e32 v[182:183], v[188:189], v[198:199]
	v_fmac_f64_e32 v[190:191], v[6:7], v[12:13]
	v_fma_f64 v[12:13], v[4:5], v[12:13], -v[14:15]
	v_fmac_f64_e32 v[184:185], v[172:173], v[142:143]
	v_fma_f64 v[142:143], v[170:171], v[142:143], -v[144:145]
	v_add_f64_e32 v[14:15], v[10:11], v[8:9]
	v_add_f64_e32 v[182:183], v[182:183], v[192:193]
	ds_load_b128 v[4:7], v2 offset:1872
	ds_load_b128 v[8:11], v2 offset:1888
	s_wait_loadcnt_dscnt 0x601
	v_mul_f64_e32 v[186:187], v[4:5], v[148:149]
	v_mul_f64_e32 v[148:149], v[6:7], v[148:149]
	s_wait_loadcnt_dscnt 0x500
	v_mul_f64_e32 v[144:145], v[8:9], v[152:153]
	v_mul_f64_e32 v[152:153], v[10:11], v[152:153]
	v_add_f64_e32 v[12:13], v[14:15], v[12:13]
	v_add_f64_e32 v[14:15], v[182:183], v[190:191]
	v_fmac_f64_e32 v[186:187], v[6:7], v[146:147]
	v_fma_f64 v[146:147], v[4:5], v[146:147], -v[148:149]
	v_fmac_f64_e32 v[144:145], v[10:11], v[150:151]
	v_fma_f64 v[8:9], v[8:9], v[150:151], -v[152:153]
	v_add_f64_e32 v[142:143], v[12:13], v[142:143]
	v_add_f64_e32 v[148:149], v[14:15], v[184:185]
	ds_load_b128 v[4:7], v2 offset:1904
	ds_load_b128 v[12:15], v2 offset:1920
	s_wait_loadcnt_dscnt 0x401
	v_mul_f64_e32 v[170:171], v[4:5], v[156:157]
	v_mul_f64_e32 v[156:157], v[6:7], v[156:157]
	v_add_f64_e32 v[10:11], v[142:143], v[146:147]
	v_add_f64_e32 v[142:143], v[148:149], v[186:187]
	s_wait_loadcnt_dscnt 0x300
	v_mul_f64_e32 v[146:147], v[12:13], v[160:161]
	v_mul_f64_e32 v[148:149], v[14:15], v[160:161]
	v_fmac_f64_e32 v[170:171], v[6:7], v[154:155]
	v_fma_f64 v[150:151], v[4:5], v[154:155], -v[156:157]
	v_add_f64_e32 v[152:153], v[10:11], v[8:9]
	v_add_f64_e32 v[142:143], v[142:143], v[144:145]
	ds_load_b128 v[4:7], v2 offset:1936
	ds_load_b128 v[8:11], v2 offset:1952
	v_fmac_f64_e32 v[146:147], v[14:15], v[158:159]
	v_fma_f64 v[12:13], v[12:13], v[158:159], -v[148:149]
	s_wait_loadcnt_dscnt 0x201
	v_mul_f64_e32 v[144:145], v[4:5], v[164:165]
	v_mul_f64_e32 v[154:155], v[6:7], v[164:165]
	s_wait_loadcnt_dscnt 0x100
	v_mul_f64_e32 v[148:149], v[8:9], v[168:169]
	v_add_f64_e32 v[14:15], v[152:153], v[150:151]
	v_add_f64_e32 v[142:143], v[142:143], v[170:171]
	v_mul_f64_e32 v[150:151], v[10:11], v[168:169]
	v_fmac_f64_e32 v[144:145], v[6:7], v[162:163]
	v_fma_f64 v[152:153], v[4:5], v[162:163], -v[154:155]
	ds_load_b128 v[4:7], v2 offset:1968
	v_fmac_f64_e32 v[148:149], v[10:11], v[166:167]
	v_add_f64_e32 v[12:13], v[14:15], v[12:13]
	v_add_f64_e32 v[14:15], v[142:143], v[146:147]
	v_fma_f64 v[8:9], v[8:9], v[166:167], -v[150:151]
	s_wait_loadcnt_dscnt 0x0
	v_mul_f64_e32 v[142:143], v[4:5], v[176:177]
	v_mul_f64_e32 v[146:147], v[6:7], v[176:177]
	v_add_f64_e32 v[10:11], v[12:13], v[152:153]
	v_add_f64_e32 v[12:13], v[14:15], v[144:145]
	s_delay_alu instid0(VALU_DEP_4) | instskip(NEXT) | instid1(VALU_DEP_4)
	v_fmac_f64_e32 v[142:143], v[6:7], v[174:175]
	v_fma_f64 v[4:5], v[4:5], v[174:175], -v[146:147]
	s_delay_alu instid0(VALU_DEP_4) | instskip(NEXT) | instid1(VALU_DEP_4)
	v_add_f64_e32 v[6:7], v[10:11], v[8:9]
	v_add_f64_e32 v[8:9], v[12:13], v[148:149]
	s_delay_alu instid0(VALU_DEP_2) | instskip(NEXT) | instid1(VALU_DEP_2)
	v_add_f64_e32 v[4:5], v[6:7], v[4:5]
	v_add_f64_e32 v[6:7], v[8:9], v[142:143]
	s_delay_alu instid0(VALU_DEP_2) | instskip(NEXT) | instid1(VALU_DEP_2)
	v_add_f64_e64 v[4:5], v[178:179], -v[4:5]
	v_add_f64_e64 v[6:7], v[180:181], -v[6:7]
	scratch_store_b128 off, v[4:7], off offset:416
	s_wait_xcnt 0x0
	v_cmpx_lt_u32_e32 25, v1
	s_cbranch_execz .LBB125_347
; %bb.346:
	scratch_load_b128 v[6:9], off, s55
	v_dual_mov_b32 v3, v2 :: v_dual_mov_b32 v4, v2
	v_mov_b32_e32 v5, v2
	scratch_store_b128 off, v[2:5], off offset:400
	s_wait_loadcnt 0x0
	ds_store_b128 v16, v[6:9]
.LBB125_347:
	s_wait_xcnt 0x0
	s_or_b32 exec_lo, exec_lo, s2
	s_wait_storecnt_dscnt 0x0
	s_barrier_signal -1
	s_barrier_wait -1
	s_clause 0x9
	scratch_load_b128 v[4:7], off, off offset:416
	scratch_load_b128 v[8:11], off, off offset:432
	;; [unrolled: 1-line block ×10, first 2 shown]
	ds_load_b128 v[170:173], v2 offset:1408
	ds_load_b128 v[178:181], v2 offset:1424
	s_clause 0x2
	scratch_load_b128 v[174:177], off, off offset:576
	scratch_load_b128 v[182:185], off, off offset:400
	scratch_load_b128 v[186:189], off, off offset:592
	s_mov_b32 s2, exec_lo
	s_wait_loadcnt_dscnt 0xc01
	v_mul_f64_e32 v[190:191], v[172:173], v[6:7]
	v_mul_f64_e32 v[194:195], v[170:171], v[6:7]
	s_wait_loadcnt_dscnt 0xb00
	v_mul_f64_e32 v[196:197], v[178:179], v[10:11]
	v_mul_f64_e32 v[10:11], v[180:181], v[10:11]
	s_delay_alu instid0(VALU_DEP_4) | instskip(NEXT) | instid1(VALU_DEP_4)
	v_fma_f64 v[198:199], v[170:171], v[4:5], -v[190:191]
	v_fmac_f64_e32 v[194:195], v[172:173], v[4:5]
	ds_load_b128 v[4:7], v2 offset:1440
	ds_load_b128 v[170:173], v2 offset:1456
	scratch_load_b128 v[190:193], off, off offset:608
	v_fmac_f64_e32 v[196:197], v[180:181], v[8:9]
	v_fma_f64 v[178:179], v[178:179], v[8:9], -v[10:11]
	scratch_load_b128 v[8:11], off, off offset:624
	s_wait_loadcnt_dscnt 0xc01
	v_mul_f64_e32 v[200:201], v[4:5], v[14:15]
	v_mul_f64_e32 v[14:15], v[6:7], v[14:15]
	v_add_f64_e32 v[180:181], 0, v[198:199]
	v_add_f64_e32 v[194:195], 0, v[194:195]
	s_wait_loadcnt_dscnt 0xb00
	v_mul_f64_e32 v[198:199], v[170:171], v[144:145]
	v_mul_f64_e32 v[144:145], v[172:173], v[144:145]
	v_fmac_f64_e32 v[200:201], v[6:7], v[12:13]
	v_fma_f64 v[202:203], v[4:5], v[12:13], -v[14:15]
	ds_load_b128 v[4:7], v2 offset:1472
	ds_load_b128 v[12:15], v2 offset:1488
	v_add_f64_e32 v[204:205], v[180:181], v[178:179]
	v_add_f64_e32 v[194:195], v[194:195], v[196:197]
	scratch_load_b128 v[178:181], off, off offset:640
	v_fmac_f64_e32 v[198:199], v[172:173], v[142:143]
	v_fma_f64 v[170:171], v[170:171], v[142:143], -v[144:145]
	scratch_load_b128 v[142:145], off, off offset:656
	s_wait_loadcnt_dscnt 0xc01
	v_mul_f64_e32 v[196:197], v[4:5], v[148:149]
	v_mul_f64_e32 v[148:149], v[6:7], v[148:149]
	v_add_f64_e32 v[172:173], v[204:205], v[202:203]
	v_add_f64_e32 v[194:195], v[194:195], v[200:201]
	s_wait_loadcnt_dscnt 0xb00
	v_mul_f64_e32 v[200:201], v[12:13], v[152:153]
	v_mul_f64_e32 v[152:153], v[14:15], v[152:153]
	v_fmac_f64_e32 v[196:197], v[6:7], v[146:147]
	v_fma_f64 v[202:203], v[4:5], v[146:147], -v[148:149]
	ds_load_b128 v[4:7], v2 offset:1504
	ds_load_b128 v[146:149], v2 offset:1520
	v_add_f64_e32 v[204:205], v[172:173], v[170:171]
	v_add_f64_e32 v[194:195], v[194:195], v[198:199]
	scratch_load_b128 v[170:173], off, off offset:672
	s_wait_loadcnt_dscnt 0xb01
	v_mul_f64_e32 v[198:199], v[4:5], v[156:157]
	v_mul_f64_e32 v[156:157], v[6:7], v[156:157]
	v_fmac_f64_e32 v[200:201], v[14:15], v[150:151]
	v_fma_f64 v[150:151], v[12:13], v[150:151], -v[152:153]
	scratch_load_b128 v[12:15], off, off offset:688
	v_add_f64_e32 v[152:153], v[204:205], v[202:203]
	v_add_f64_e32 v[194:195], v[194:195], v[196:197]
	s_wait_loadcnt_dscnt 0xb00
	v_mul_f64_e32 v[196:197], v[146:147], v[160:161]
	v_mul_f64_e32 v[160:161], v[148:149], v[160:161]
	v_fmac_f64_e32 v[198:199], v[6:7], v[154:155]
	v_fma_f64 v[202:203], v[4:5], v[154:155], -v[156:157]
	v_add_f64_e32 v[204:205], v[152:153], v[150:151]
	v_add_f64_e32 v[194:195], v[194:195], v[200:201]
	ds_load_b128 v[4:7], v2 offset:1536
	ds_load_b128 v[150:153], v2 offset:1552
	scratch_load_b128 v[154:157], off, off offset:704
	v_fmac_f64_e32 v[196:197], v[148:149], v[158:159]
	v_fma_f64 v[158:159], v[146:147], v[158:159], -v[160:161]
	scratch_load_b128 v[146:149], off, off offset:720
	s_wait_loadcnt_dscnt 0xc01
	v_mul_f64_e32 v[200:201], v[4:5], v[164:165]
	v_mul_f64_e32 v[164:165], v[6:7], v[164:165]
	v_add_f64_e32 v[160:161], v[204:205], v[202:203]
	v_add_f64_e32 v[194:195], v[194:195], v[198:199]
	s_wait_loadcnt_dscnt 0xb00
	v_mul_f64_e32 v[198:199], v[150:151], v[168:169]
	v_mul_f64_e32 v[168:169], v[152:153], v[168:169]
	v_fmac_f64_e32 v[200:201], v[6:7], v[162:163]
	v_fma_f64 v[202:203], v[4:5], v[162:163], -v[164:165]
	v_add_f64_e32 v[204:205], v[160:161], v[158:159]
	v_add_f64_e32 v[194:195], v[194:195], v[196:197]
	ds_load_b128 v[4:7], v2 offset:1568
	ds_load_b128 v[158:161], v2 offset:1584
	scratch_load_b128 v[162:165], off, off offset:736
	v_fmac_f64_e32 v[198:199], v[152:153], v[166:167]
	v_fma_f64 v[166:167], v[150:151], v[166:167], -v[168:169]
	scratch_load_b128 v[150:153], off, off offset:752
	s_wait_loadcnt_dscnt 0xc01
	v_mul_f64_e32 v[196:197], v[4:5], v[176:177]
	v_mul_f64_e32 v[176:177], v[6:7], v[176:177]
	;; [unrolled: 18-line block ×5, first 2 shown]
	v_add_f64_e32 v[188:189], v[204:205], v[202:203]
	v_add_f64_e32 v[194:195], v[194:195], v[200:201]
	s_wait_loadcnt_dscnt 0xa00
	v_mul_f64_e32 v[200:201], v[166:167], v[14:15]
	v_mul_f64_e32 v[14:15], v[168:169], v[14:15]
	v_fmac_f64_e32 v[196:197], v[6:7], v[170:171]
	v_fma_f64 v[202:203], v[4:5], v[170:171], -v[172:173]
	ds_load_b128 v[4:7], v2 offset:1696
	ds_load_b128 v[170:173], v2 offset:1712
	v_add_f64_e32 v[204:205], v[188:189], v[186:187]
	v_add_f64_e32 v[194:195], v[194:195], v[198:199]
	scratch_load_b128 v[186:189], off, off offset:864
	v_fmac_f64_e32 v[200:201], v[168:169], v[12:13]
	v_fma_f64 v[166:167], v[166:167], v[12:13], -v[14:15]
	scratch_load_b128 v[12:15], off, off offset:880
	s_wait_loadcnt_dscnt 0xb01
	v_mul_f64_e32 v[198:199], v[4:5], v[156:157]
	v_mul_f64_e32 v[156:157], v[6:7], v[156:157]
	v_add_f64_e32 v[168:169], v[204:205], v[202:203]
	v_add_f64_e32 v[194:195], v[194:195], v[196:197]
	s_wait_loadcnt_dscnt 0xa00
	v_mul_f64_e32 v[196:197], v[170:171], v[148:149]
	v_mul_f64_e32 v[148:149], v[172:173], v[148:149]
	v_fmac_f64_e32 v[198:199], v[6:7], v[154:155]
	v_fma_f64 v[202:203], v[4:5], v[154:155], -v[156:157]
	ds_load_b128 v[4:7], v2 offset:1728
	ds_load_b128 v[154:157], v2 offset:1744
	v_add_f64_e32 v[204:205], v[168:169], v[166:167]
	v_add_f64_e32 v[194:195], v[194:195], v[200:201]
	scratch_load_b128 v[166:169], off, off offset:896
	s_wait_loadcnt_dscnt 0xa01
	v_mul_f64_e32 v[200:201], v[4:5], v[164:165]
	v_mul_f64_e32 v[164:165], v[6:7], v[164:165]
	v_fmac_f64_e32 v[196:197], v[172:173], v[146:147]
	v_fma_f64 v[170:171], v[170:171], v[146:147], -v[148:149]
	scratch_load_b128 v[146:149], off, off offset:912
	v_add_f64_e32 v[172:173], v[204:205], v[202:203]
	v_add_f64_e32 v[194:195], v[194:195], v[198:199]
	s_wait_loadcnt_dscnt 0xa00
	v_mul_f64_e32 v[198:199], v[154:155], v[152:153]
	v_mul_f64_e32 v[152:153], v[156:157], v[152:153]
	v_fmac_f64_e32 v[200:201], v[6:7], v[162:163]
	v_fma_f64 v[202:203], v[4:5], v[162:163], -v[164:165]
	ds_load_b128 v[4:7], v2 offset:1760
	ds_load_b128 v[162:165], v2 offset:1776
	v_add_f64_e32 v[204:205], v[172:173], v[170:171]
	v_add_f64_e32 v[194:195], v[194:195], v[196:197]
	scratch_load_b128 v[170:173], off, off offset:928
	s_wait_loadcnt_dscnt 0xa01
	v_mul_f64_e32 v[196:197], v[4:5], v[176:177]
	v_mul_f64_e32 v[176:177], v[6:7], v[176:177]
	v_fmac_f64_e32 v[198:199], v[156:157], v[150:151]
	v_fma_f64 v[154:155], v[154:155], v[150:151], -v[152:153]
	scratch_load_b128 v[150:153], off, off offset:944
	v_add_f64_e32 v[156:157], v[204:205], v[202:203]
	v_add_f64_e32 v[194:195], v[194:195], v[200:201]
	s_wait_loadcnt_dscnt 0xa00
	v_mul_f64_e32 v[200:201], v[162:163], v[160:161]
	v_mul_f64_e32 v[160:161], v[164:165], v[160:161]
	v_fmac_f64_e32 v[196:197], v[6:7], v[174:175]
	v_fma_f64 v[202:203], v[4:5], v[174:175], -v[176:177]
	v_add_f64_e32 v[204:205], v[156:157], v[154:155]
	v_add_f64_e32 v[194:195], v[194:195], v[198:199]
	ds_load_b128 v[4:7], v2 offset:1792
	ds_load_b128 v[154:157], v2 offset:1808
	scratch_load_b128 v[174:177], off, off offset:960
	v_fmac_f64_e32 v[200:201], v[164:165], v[158:159]
	v_fma_f64 v[162:163], v[162:163], v[158:159], -v[160:161]
	scratch_load_b128 v[158:161], off, off offset:976
	s_wait_loadcnt_dscnt 0xb01
	v_mul_f64_e32 v[198:199], v[4:5], v[192:193]
	v_mul_f64_e32 v[192:193], v[6:7], v[192:193]
	v_add_f64_e32 v[164:165], v[204:205], v[202:203]
	v_add_f64_e32 v[194:195], v[194:195], v[196:197]
	s_wait_loadcnt_dscnt 0xa00
	v_mul_f64_e32 v[196:197], v[154:155], v[10:11]
	v_mul_f64_e32 v[10:11], v[156:157], v[10:11]
	v_fmac_f64_e32 v[198:199], v[6:7], v[190:191]
	v_fma_f64 v[190:191], v[4:5], v[190:191], -v[192:193]
	v_add_f64_e32 v[192:193], v[164:165], v[162:163]
	v_add_f64_e32 v[194:195], v[194:195], v[200:201]
	ds_load_b128 v[4:7], v2 offset:1824
	ds_load_b128 v[162:165], v2 offset:1840
	v_fmac_f64_e32 v[196:197], v[156:157], v[8:9]
	v_fma_f64 v[8:9], v[154:155], v[8:9], -v[10:11]
	s_wait_loadcnt_dscnt 0x901
	v_mul_f64_e32 v[200:201], v[4:5], v[180:181]
	v_mul_f64_e32 v[180:181], v[6:7], v[180:181]
	s_wait_loadcnt_dscnt 0x800
	v_mul_f64_e32 v[156:157], v[162:163], v[144:145]
	v_mul_f64_e32 v[144:145], v[164:165], v[144:145]
	v_add_f64_e32 v[10:11], v[192:193], v[190:191]
	v_add_f64_e32 v[154:155], v[194:195], v[198:199]
	v_fmac_f64_e32 v[200:201], v[6:7], v[178:179]
	v_fma_f64 v[178:179], v[4:5], v[178:179], -v[180:181]
	v_fmac_f64_e32 v[156:157], v[164:165], v[142:143]
	v_fma_f64 v[142:143], v[162:163], v[142:143], -v[144:145]
	v_add_f64_e32 v[180:181], v[10:11], v[8:9]
	v_add_f64_e32 v[154:155], v[154:155], v[196:197]
	ds_load_b128 v[4:7], v2 offset:1856
	ds_load_b128 v[8:11], v2 offset:1872
	s_wait_loadcnt_dscnt 0x701
	v_mul_f64_e32 v[190:191], v[4:5], v[188:189]
	v_mul_f64_e32 v[188:189], v[6:7], v[188:189]
	s_wait_loadcnt_dscnt 0x600
	v_mul_f64_e32 v[162:163], v[8:9], v[14:15]
	v_mul_f64_e32 v[14:15], v[10:11], v[14:15]
	v_add_f64_e32 v[144:145], v[180:181], v[178:179]
	v_add_f64_e32 v[154:155], v[154:155], v[200:201]
	v_fmac_f64_e32 v[190:191], v[6:7], v[186:187]
	v_fma_f64 v[164:165], v[4:5], v[186:187], -v[188:189]
	v_fmac_f64_e32 v[162:163], v[10:11], v[12:13]
	v_fma_f64 v[8:9], v[8:9], v[12:13], -v[14:15]
	v_add_f64_e32 v[178:179], v[144:145], v[142:143]
	v_add_f64_e32 v[154:155], v[154:155], v[156:157]
	ds_load_b128 v[4:7], v2 offset:1888
	ds_load_b128 v[142:145], v2 offset:1904
	;; [unrolled: 16-line block ×4, first 2 shown]
	s_wait_loadcnt_dscnt 0x101
	v_mul_f64_e32 v[2:3], v[4:5], v[176:177]
	v_mul_f64_e32 v[154:155], v[6:7], v[176:177]
	s_wait_loadcnt_dscnt 0x0
	v_mul_f64_e32 v[148:149], v[14:15], v[160:161]
	v_add_f64_e32 v[10:11], v[142:143], v[152:153]
	v_add_f64_e32 v[142:143], v[144:145], v[162:163]
	v_mul_f64_e32 v[144:145], v[12:13], v[160:161]
	v_fmac_f64_e32 v[2:3], v[6:7], v[174:175]
	v_fma_f64 v[4:5], v[4:5], v[174:175], -v[154:155]
	v_add_f64_e32 v[6:7], v[10:11], v[8:9]
	v_add_f64_e32 v[8:9], v[142:143], v[146:147]
	v_fmac_f64_e32 v[144:145], v[14:15], v[158:159]
	v_fma_f64 v[10:11], v[12:13], v[158:159], -v[148:149]
	s_delay_alu instid0(VALU_DEP_4) | instskip(NEXT) | instid1(VALU_DEP_4)
	v_add_f64_e32 v[4:5], v[6:7], v[4:5]
	v_add_f64_e32 v[2:3], v[8:9], v[2:3]
	s_delay_alu instid0(VALU_DEP_2) | instskip(NEXT) | instid1(VALU_DEP_2)
	v_add_f64_e32 v[4:5], v[4:5], v[10:11]
	v_add_f64_e32 v[6:7], v[2:3], v[144:145]
	s_delay_alu instid0(VALU_DEP_2) | instskip(NEXT) | instid1(VALU_DEP_2)
	v_add_f64_e64 v[2:3], v[182:183], -v[4:5]
	v_add_f64_e64 v[4:5], v[184:185], -v[6:7]
	scratch_store_b128 off, v[2:5], off offset:400
	s_wait_xcnt 0x0
	v_cmpx_lt_u32_e32 24, v1
	s_cbranch_execz .LBB125_349
; %bb.348:
	scratch_load_b128 v[2:5], off, s56
	v_mov_b32_e32 v6, 0
	s_delay_alu instid0(VALU_DEP_1)
	v_dual_mov_b32 v7, v6 :: v_dual_mov_b32 v8, v6
	v_mov_b32_e32 v9, v6
	scratch_store_b128 off, v[6:9], off offset:384
	s_wait_loadcnt 0x0
	ds_store_b128 v16, v[2:5]
.LBB125_349:
	s_wait_xcnt 0x0
	s_or_b32 exec_lo, exec_lo, s2
	s_wait_storecnt_dscnt 0x0
	s_barrier_signal -1
	s_barrier_wait -1
	s_clause 0x9
	scratch_load_b128 v[4:7], off, off offset:400
	scratch_load_b128 v[8:11], off, off offset:416
	;; [unrolled: 1-line block ×10, first 2 shown]
	v_mov_b32_e32 v2, 0
	s_mov_b32 s2, exec_lo
	ds_load_b128 v[170:173], v2 offset:1392
	s_clause 0x2
	scratch_load_b128 v[174:177], off, off offset:560
	scratch_load_b128 v[178:181], off, off offset:384
	;; [unrolled: 1-line block ×3, first 2 shown]
	s_wait_loadcnt_dscnt 0xc00
	v_mul_f64_e32 v[190:191], v[172:173], v[6:7]
	v_mul_f64_e32 v[194:195], v[170:171], v[6:7]
	ds_load_b128 v[182:185], v2 offset:1408
	v_fma_f64 v[198:199], v[170:171], v[4:5], -v[190:191]
	v_fmac_f64_e32 v[194:195], v[172:173], v[4:5]
	ds_load_b128 v[4:7], v2 offset:1424
	s_wait_loadcnt_dscnt 0xb01
	v_mul_f64_e32 v[196:197], v[182:183], v[10:11]
	v_mul_f64_e32 v[10:11], v[184:185], v[10:11]
	scratch_load_b128 v[170:173], off, off offset:592
	ds_load_b128 v[190:193], v2 offset:1440
	s_wait_loadcnt_dscnt 0xb01
	v_mul_f64_e32 v[200:201], v[4:5], v[14:15]
	v_mul_f64_e32 v[14:15], v[6:7], v[14:15]
	v_add_f64_e32 v[194:195], 0, v[194:195]
	v_fmac_f64_e32 v[196:197], v[184:185], v[8:9]
	v_fma_f64 v[182:183], v[182:183], v[8:9], -v[10:11]
	v_add_f64_e32 v[184:185], 0, v[198:199]
	scratch_load_b128 v[8:11], off, off offset:608
	v_fmac_f64_e32 v[200:201], v[6:7], v[12:13]
	v_fma_f64 v[202:203], v[4:5], v[12:13], -v[14:15]
	ds_load_b128 v[4:7], v2 offset:1456
	s_wait_loadcnt_dscnt 0xb01
	v_mul_f64_e32 v[198:199], v[190:191], v[144:145]
	v_mul_f64_e32 v[144:145], v[192:193], v[144:145]
	scratch_load_b128 v[12:15], off, off offset:624
	v_add_f64_e32 v[194:195], v[194:195], v[196:197]
	v_add_f64_e32 v[204:205], v[184:185], v[182:183]
	ds_load_b128 v[182:185], v2 offset:1472
	s_wait_loadcnt_dscnt 0xb01
	v_mul_f64_e32 v[196:197], v[4:5], v[148:149]
	v_mul_f64_e32 v[148:149], v[6:7], v[148:149]
	v_fmac_f64_e32 v[198:199], v[192:193], v[142:143]
	v_fma_f64 v[190:191], v[190:191], v[142:143], -v[144:145]
	scratch_load_b128 v[142:145], off, off offset:640
	v_add_f64_e32 v[194:195], v[194:195], v[200:201]
	v_add_f64_e32 v[192:193], v[204:205], v[202:203]
	v_fmac_f64_e32 v[196:197], v[6:7], v[146:147]
	v_fma_f64 v[202:203], v[4:5], v[146:147], -v[148:149]
	ds_load_b128 v[4:7], v2 offset:1488
	s_wait_loadcnt_dscnt 0xb01
	v_mul_f64_e32 v[200:201], v[182:183], v[152:153]
	v_mul_f64_e32 v[152:153], v[184:185], v[152:153]
	scratch_load_b128 v[146:149], off, off offset:656
	v_add_f64_e32 v[194:195], v[194:195], v[198:199]
	s_wait_loadcnt_dscnt 0xb00
	v_mul_f64_e32 v[198:199], v[4:5], v[156:157]
	v_add_f64_e32 v[204:205], v[192:193], v[190:191]
	v_mul_f64_e32 v[156:157], v[6:7], v[156:157]
	ds_load_b128 v[190:193], v2 offset:1504
	v_fmac_f64_e32 v[200:201], v[184:185], v[150:151]
	v_fma_f64 v[182:183], v[182:183], v[150:151], -v[152:153]
	scratch_load_b128 v[150:153], off, off offset:672
	v_add_f64_e32 v[194:195], v[194:195], v[196:197]
	v_fmac_f64_e32 v[198:199], v[6:7], v[154:155]
	v_add_f64_e32 v[184:185], v[204:205], v[202:203]
	v_fma_f64 v[202:203], v[4:5], v[154:155], -v[156:157]
	ds_load_b128 v[4:7], v2 offset:1520
	s_wait_loadcnt_dscnt 0xb01
	v_mul_f64_e32 v[196:197], v[190:191], v[160:161]
	v_mul_f64_e32 v[160:161], v[192:193], v[160:161]
	scratch_load_b128 v[154:157], off, off offset:688
	v_add_f64_e32 v[194:195], v[194:195], v[200:201]
	s_wait_loadcnt_dscnt 0xb00
	v_mul_f64_e32 v[200:201], v[4:5], v[164:165]
	v_add_f64_e32 v[204:205], v[184:185], v[182:183]
	v_mul_f64_e32 v[164:165], v[6:7], v[164:165]
	ds_load_b128 v[182:185], v2 offset:1536
	v_fmac_f64_e32 v[196:197], v[192:193], v[158:159]
	v_fma_f64 v[190:191], v[190:191], v[158:159], -v[160:161]
	scratch_load_b128 v[158:161], off, off offset:704
	v_add_f64_e32 v[194:195], v[194:195], v[198:199]
	v_fmac_f64_e32 v[200:201], v[6:7], v[162:163]
	v_add_f64_e32 v[192:193], v[204:205], v[202:203]
	;; [unrolled: 18-line block ×3, first 2 shown]
	v_fma_f64 v[202:203], v[4:5], v[174:175], -v[176:177]
	ds_load_b128 v[4:7], v2 offset:1584
	s_wait_loadcnt_dscnt 0xa01
	v_mul_f64_e32 v[200:201], v[190:191], v[188:189]
	v_mul_f64_e32 v[188:189], v[192:193], v[188:189]
	scratch_load_b128 v[174:177], off, off offset:752
	v_add_f64_e32 v[194:195], v[194:195], v[198:199]
	v_add_f64_e32 v[204:205], v[184:185], v[182:183]
	s_wait_loadcnt_dscnt 0xa00
	v_mul_f64_e32 v[198:199], v[4:5], v[172:173]
	v_mul_f64_e32 v[172:173], v[6:7], v[172:173]
	v_fmac_f64_e32 v[200:201], v[192:193], v[186:187]
	v_fma_f64 v[190:191], v[190:191], v[186:187], -v[188:189]
	ds_load_b128 v[182:185], v2 offset:1600
	scratch_load_b128 v[186:189], off, off offset:768
	v_add_f64_e32 v[194:195], v[194:195], v[196:197]
	v_add_f64_e32 v[192:193], v[204:205], v[202:203]
	v_fmac_f64_e32 v[198:199], v[6:7], v[170:171]
	v_fma_f64 v[202:203], v[4:5], v[170:171], -v[172:173]
	ds_load_b128 v[4:7], v2 offset:1616
	s_wait_loadcnt_dscnt 0xa01
	v_mul_f64_e32 v[196:197], v[182:183], v[10:11]
	v_mul_f64_e32 v[10:11], v[184:185], v[10:11]
	scratch_load_b128 v[170:173], off, off offset:784
	v_add_f64_e32 v[194:195], v[194:195], v[200:201]
	s_wait_loadcnt_dscnt 0xa00
	v_mul_f64_e32 v[200:201], v[4:5], v[14:15]
	v_add_f64_e32 v[204:205], v[192:193], v[190:191]
	v_mul_f64_e32 v[14:15], v[6:7], v[14:15]
	ds_load_b128 v[190:193], v2 offset:1632
	v_fmac_f64_e32 v[196:197], v[184:185], v[8:9]
	v_fma_f64 v[182:183], v[182:183], v[8:9], -v[10:11]
	scratch_load_b128 v[8:11], off, off offset:800
	v_add_f64_e32 v[194:195], v[194:195], v[198:199]
	v_fmac_f64_e32 v[200:201], v[6:7], v[12:13]
	v_add_f64_e32 v[184:185], v[204:205], v[202:203]
	v_fma_f64 v[202:203], v[4:5], v[12:13], -v[14:15]
	ds_load_b128 v[4:7], v2 offset:1648
	s_wait_loadcnt_dscnt 0xa01
	v_mul_f64_e32 v[198:199], v[190:191], v[144:145]
	v_mul_f64_e32 v[144:145], v[192:193], v[144:145]
	scratch_load_b128 v[12:15], off, off offset:816
	v_add_f64_e32 v[194:195], v[194:195], v[196:197]
	s_wait_loadcnt_dscnt 0xa00
	v_mul_f64_e32 v[196:197], v[4:5], v[148:149]
	v_add_f64_e32 v[204:205], v[184:185], v[182:183]
	v_mul_f64_e32 v[148:149], v[6:7], v[148:149]
	ds_load_b128 v[182:185], v2 offset:1664
	v_fmac_f64_e32 v[198:199], v[192:193], v[142:143]
	v_fma_f64 v[190:191], v[190:191], v[142:143], -v[144:145]
	scratch_load_b128 v[142:145], off, off offset:832
	v_add_f64_e32 v[194:195], v[194:195], v[200:201]
	v_fmac_f64_e32 v[196:197], v[6:7], v[146:147]
	v_add_f64_e32 v[192:193], v[204:205], v[202:203]
	;; [unrolled: 18-line block ×6, first 2 shown]
	v_fma_f64 v[202:203], v[4:5], v[170:171], -v[172:173]
	ds_load_b128 v[4:7], v2 offset:1808
	s_wait_loadcnt_dscnt 0xa01
	v_mul_f64_e32 v[196:197], v[182:183], v[10:11]
	v_mul_f64_e32 v[10:11], v[184:185], v[10:11]
	scratch_load_b128 v[170:173], off, off offset:976
	v_add_f64_e32 v[194:195], v[194:195], v[200:201]
	s_wait_loadcnt_dscnt 0xa00
	v_mul_f64_e32 v[200:201], v[4:5], v[14:15]
	v_add_f64_e32 v[204:205], v[192:193], v[190:191]
	v_mul_f64_e32 v[14:15], v[6:7], v[14:15]
	ds_load_b128 v[190:193], v2 offset:1824
	v_fmac_f64_e32 v[196:197], v[184:185], v[8:9]
	v_fma_f64 v[8:9], v[182:183], v[8:9], -v[10:11]
	s_wait_loadcnt_dscnt 0x900
	v_mul_f64_e32 v[184:185], v[190:191], v[144:145]
	v_mul_f64_e32 v[144:145], v[192:193], v[144:145]
	v_add_f64_e32 v[182:183], v[194:195], v[198:199]
	v_fmac_f64_e32 v[200:201], v[6:7], v[12:13]
	v_add_f64_e32 v[10:11], v[204:205], v[202:203]
	v_fma_f64 v[12:13], v[4:5], v[12:13], -v[14:15]
	v_fmac_f64_e32 v[184:185], v[192:193], v[142:143]
	v_fma_f64 v[142:143], v[190:191], v[142:143], -v[144:145]
	v_add_f64_e32 v[182:183], v[182:183], v[196:197]
	v_add_f64_e32 v[14:15], v[10:11], v[8:9]
	ds_load_b128 v[4:7], v2 offset:1840
	ds_load_b128 v[8:11], v2 offset:1856
	s_wait_loadcnt_dscnt 0x801
	v_mul_f64_e32 v[194:195], v[4:5], v[148:149]
	v_mul_f64_e32 v[148:149], v[6:7], v[148:149]
	s_wait_loadcnt_dscnt 0x700
	v_mul_f64_e32 v[144:145], v[8:9], v[152:153]
	v_mul_f64_e32 v[152:153], v[10:11], v[152:153]
	v_add_f64_e32 v[12:13], v[14:15], v[12:13]
	v_add_f64_e32 v[14:15], v[182:183], v[200:201]
	v_fmac_f64_e32 v[194:195], v[6:7], v[146:147]
	v_fma_f64 v[146:147], v[4:5], v[146:147], -v[148:149]
	v_fmac_f64_e32 v[144:145], v[10:11], v[150:151]
	v_fma_f64 v[8:9], v[8:9], v[150:151], -v[152:153]
	v_add_f64_e32 v[142:143], v[12:13], v[142:143]
	v_add_f64_e32 v[148:149], v[14:15], v[184:185]
	ds_load_b128 v[4:7], v2 offset:1872
	ds_load_b128 v[12:15], v2 offset:1888
	s_wait_loadcnt_dscnt 0x601
	v_mul_f64_e32 v[182:183], v[4:5], v[156:157]
	v_mul_f64_e32 v[156:157], v[6:7], v[156:157]
	v_add_f64_e32 v[10:11], v[142:143], v[146:147]
	v_add_f64_e32 v[142:143], v[148:149], v[194:195]
	s_wait_loadcnt_dscnt 0x500
	v_mul_f64_e32 v[146:147], v[12:13], v[160:161]
	v_mul_f64_e32 v[148:149], v[14:15], v[160:161]
	v_fmac_f64_e32 v[182:183], v[6:7], v[154:155]
	v_fma_f64 v[150:151], v[4:5], v[154:155], -v[156:157]
	v_add_f64_e32 v[152:153], v[10:11], v[8:9]
	v_add_f64_e32 v[142:143], v[142:143], v[144:145]
	ds_load_b128 v[4:7], v2 offset:1904
	ds_load_b128 v[8:11], v2 offset:1920
	v_fmac_f64_e32 v[146:147], v[14:15], v[158:159]
	v_fma_f64 v[12:13], v[12:13], v[158:159], -v[148:149]
	s_wait_loadcnt_dscnt 0x401
	v_mul_f64_e32 v[144:145], v[4:5], v[164:165]
	v_mul_f64_e32 v[154:155], v[6:7], v[164:165]
	s_wait_loadcnt_dscnt 0x300
	v_mul_f64_e32 v[148:149], v[8:9], v[168:169]
	v_add_f64_e32 v[14:15], v[152:153], v[150:151]
	v_add_f64_e32 v[142:143], v[142:143], v[182:183]
	v_mul_f64_e32 v[150:151], v[10:11], v[168:169]
	v_fmac_f64_e32 v[144:145], v[6:7], v[162:163]
	v_fma_f64 v[152:153], v[4:5], v[162:163], -v[154:155]
	v_fmac_f64_e32 v[148:149], v[10:11], v[166:167]
	v_add_f64_e32 v[154:155], v[14:15], v[12:13]
	v_add_f64_e32 v[142:143], v[142:143], v[146:147]
	ds_load_b128 v[4:7], v2 offset:1936
	ds_load_b128 v[12:15], v2 offset:1952
	v_fma_f64 v[8:9], v[8:9], v[166:167], -v[150:151]
	s_wait_loadcnt_dscnt 0x201
	v_mul_f64_e32 v[146:147], v[4:5], v[176:177]
	v_mul_f64_e32 v[156:157], v[6:7], v[176:177]
	s_wait_loadcnt_dscnt 0x100
	v_mul_f64_e32 v[150:151], v[14:15], v[188:189]
	v_add_f64_e32 v[10:11], v[154:155], v[152:153]
	v_add_f64_e32 v[142:143], v[142:143], v[144:145]
	v_mul_f64_e32 v[144:145], v[12:13], v[188:189]
	v_fmac_f64_e32 v[146:147], v[6:7], v[174:175]
	v_fma_f64 v[152:153], v[4:5], v[174:175], -v[156:157]
	ds_load_b128 v[4:7], v2 offset:1968
	v_fma_f64 v[12:13], v[12:13], v[186:187], -v[150:151]
	v_add_f64_e32 v[8:9], v[10:11], v[8:9]
	v_add_f64_e32 v[10:11], v[142:143], v[148:149]
	v_fmac_f64_e32 v[144:145], v[14:15], v[186:187]
	s_wait_loadcnt_dscnt 0x0
	v_mul_f64_e32 v[142:143], v[4:5], v[172:173]
	v_mul_f64_e32 v[148:149], v[6:7], v[172:173]
	v_add_f64_e32 v[8:9], v[8:9], v[152:153]
	v_add_f64_e32 v[10:11], v[10:11], v[146:147]
	s_delay_alu instid0(VALU_DEP_4) | instskip(NEXT) | instid1(VALU_DEP_4)
	v_fmac_f64_e32 v[142:143], v[6:7], v[170:171]
	v_fma_f64 v[4:5], v[4:5], v[170:171], -v[148:149]
	s_delay_alu instid0(VALU_DEP_4) | instskip(NEXT) | instid1(VALU_DEP_4)
	v_add_f64_e32 v[6:7], v[8:9], v[12:13]
	v_add_f64_e32 v[8:9], v[10:11], v[144:145]
	s_delay_alu instid0(VALU_DEP_2) | instskip(NEXT) | instid1(VALU_DEP_2)
	v_add_f64_e32 v[4:5], v[6:7], v[4:5]
	v_add_f64_e32 v[6:7], v[8:9], v[142:143]
	s_delay_alu instid0(VALU_DEP_2) | instskip(NEXT) | instid1(VALU_DEP_2)
	v_add_f64_e64 v[4:5], v[178:179], -v[4:5]
	v_add_f64_e64 v[6:7], v[180:181], -v[6:7]
	scratch_store_b128 off, v[4:7], off offset:384
	s_wait_xcnt 0x0
	v_cmpx_lt_u32_e32 23, v1
	s_cbranch_execz .LBB125_351
; %bb.350:
	scratch_load_b128 v[6:9], off, s57
	v_dual_mov_b32 v3, v2 :: v_dual_mov_b32 v4, v2
	v_mov_b32_e32 v5, v2
	scratch_store_b128 off, v[2:5], off offset:368
	s_wait_loadcnt 0x0
	ds_store_b128 v16, v[6:9]
.LBB125_351:
	s_wait_xcnt 0x0
	s_or_b32 exec_lo, exec_lo, s2
	s_wait_storecnt_dscnt 0x0
	s_barrier_signal -1
	s_barrier_wait -1
	s_clause 0x9
	scratch_load_b128 v[4:7], off, off offset:384
	scratch_load_b128 v[8:11], off, off offset:400
	;; [unrolled: 1-line block ×10, first 2 shown]
	ds_load_b128 v[170:173], v2 offset:1376
	ds_load_b128 v[178:181], v2 offset:1392
	s_clause 0x2
	scratch_load_b128 v[174:177], off, off offset:544
	scratch_load_b128 v[182:185], off, off offset:368
	;; [unrolled: 1-line block ×3, first 2 shown]
	s_mov_b32 s2, exec_lo
	s_wait_loadcnt_dscnt 0xc01
	v_mul_f64_e32 v[190:191], v[172:173], v[6:7]
	v_mul_f64_e32 v[194:195], v[170:171], v[6:7]
	s_wait_loadcnt_dscnt 0xb00
	v_mul_f64_e32 v[196:197], v[178:179], v[10:11]
	v_mul_f64_e32 v[10:11], v[180:181], v[10:11]
	s_delay_alu instid0(VALU_DEP_4) | instskip(NEXT) | instid1(VALU_DEP_4)
	v_fma_f64 v[198:199], v[170:171], v[4:5], -v[190:191]
	v_fmac_f64_e32 v[194:195], v[172:173], v[4:5]
	ds_load_b128 v[4:7], v2 offset:1408
	ds_load_b128 v[170:173], v2 offset:1424
	scratch_load_b128 v[190:193], off, off offset:576
	v_fmac_f64_e32 v[196:197], v[180:181], v[8:9]
	v_fma_f64 v[178:179], v[178:179], v[8:9], -v[10:11]
	scratch_load_b128 v[8:11], off, off offset:592
	s_wait_loadcnt_dscnt 0xc01
	v_mul_f64_e32 v[200:201], v[4:5], v[14:15]
	v_mul_f64_e32 v[14:15], v[6:7], v[14:15]
	v_add_f64_e32 v[180:181], 0, v[198:199]
	v_add_f64_e32 v[194:195], 0, v[194:195]
	s_wait_loadcnt_dscnt 0xb00
	v_mul_f64_e32 v[198:199], v[170:171], v[144:145]
	v_mul_f64_e32 v[144:145], v[172:173], v[144:145]
	v_fmac_f64_e32 v[200:201], v[6:7], v[12:13]
	v_fma_f64 v[202:203], v[4:5], v[12:13], -v[14:15]
	ds_load_b128 v[4:7], v2 offset:1440
	ds_load_b128 v[12:15], v2 offset:1456
	v_add_f64_e32 v[204:205], v[180:181], v[178:179]
	v_add_f64_e32 v[194:195], v[194:195], v[196:197]
	scratch_load_b128 v[178:181], off, off offset:608
	v_fmac_f64_e32 v[198:199], v[172:173], v[142:143]
	v_fma_f64 v[170:171], v[170:171], v[142:143], -v[144:145]
	scratch_load_b128 v[142:145], off, off offset:624
	s_wait_loadcnt_dscnt 0xc01
	v_mul_f64_e32 v[196:197], v[4:5], v[148:149]
	v_mul_f64_e32 v[148:149], v[6:7], v[148:149]
	v_add_f64_e32 v[172:173], v[204:205], v[202:203]
	v_add_f64_e32 v[194:195], v[194:195], v[200:201]
	s_wait_loadcnt_dscnt 0xb00
	v_mul_f64_e32 v[200:201], v[12:13], v[152:153]
	v_mul_f64_e32 v[152:153], v[14:15], v[152:153]
	v_fmac_f64_e32 v[196:197], v[6:7], v[146:147]
	v_fma_f64 v[202:203], v[4:5], v[146:147], -v[148:149]
	ds_load_b128 v[4:7], v2 offset:1472
	ds_load_b128 v[146:149], v2 offset:1488
	v_add_f64_e32 v[204:205], v[172:173], v[170:171]
	v_add_f64_e32 v[194:195], v[194:195], v[198:199]
	scratch_load_b128 v[170:173], off, off offset:640
	s_wait_loadcnt_dscnt 0xb01
	v_mul_f64_e32 v[198:199], v[4:5], v[156:157]
	v_mul_f64_e32 v[156:157], v[6:7], v[156:157]
	v_fmac_f64_e32 v[200:201], v[14:15], v[150:151]
	v_fma_f64 v[150:151], v[12:13], v[150:151], -v[152:153]
	scratch_load_b128 v[12:15], off, off offset:656
	v_add_f64_e32 v[152:153], v[204:205], v[202:203]
	v_add_f64_e32 v[194:195], v[194:195], v[196:197]
	s_wait_loadcnt_dscnt 0xb00
	v_mul_f64_e32 v[196:197], v[146:147], v[160:161]
	v_mul_f64_e32 v[160:161], v[148:149], v[160:161]
	v_fmac_f64_e32 v[198:199], v[6:7], v[154:155]
	v_fma_f64 v[202:203], v[4:5], v[154:155], -v[156:157]
	v_add_f64_e32 v[204:205], v[152:153], v[150:151]
	v_add_f64_e32 v[194:195], v[194:195], v[200:201]
	ds_load_b128 v[4:7], v2 offset:1504
	ds_load_b128 v[150:153], v2 offset:1520
	scratch_load_b128 v[154:157], off, off offset:672
	v_fmac_f64_e32 v[196:197], v[148:149], v[158:159]
	v_fma_f64 v[158:159], v[146:147], v[158:159], -v[160:161]
	scratch_load_b128 v[146:149], off, off offset:688
	s_wait_loadcnt_dscnt 0xc01
	v_mul_f64_e32 v[200:201], v[4:5], v[164:165]
	v_mul_f64_e32 v[164:165], v[6:7], v[164:165]
	v_add_f64_e32 v[160:161], v[204:205], v[202:203]
	v_add_f64_e32 v[194:195], v[194:195], v[198:199]
	s_wait_loadcnt_dscnt 0xb00
	v_mul_f64_e32 v[198:199], v[150:151], v[168:169]
	v_mul_f64_e32 v[168:169], v[152:153], v[168:169]
	v_fmac_f64_e32 v[200:201], v[6:7], v[162:163]
	v_fma_f64 v[202:203], v[4:5], v[162:163], -v[164:165]
	v_add_f64_e32 v[204:205], v[160:161], v[158:159]
	v_add_f64_e32 v[194:195], v[194:195], v[196:197]
	ds_load_b128 v[4:7], v2 offset:1536
	ds_load_b128 v[158:161], v2 offset:1552
	scratch_load_b128 v[162:165], off, off offset:704
	v_fmac_f64_e32 v[198:199], v[152:153], v[166:167]
	v_fma_f64 v[166:167], v[150:151], v[166:167], -v[168:169]
	scratch_load_b128 v[150:153], off, off offset:720
	s_wait_loadcnt_dscnt 0xc01
	v_mul_f64_e32 v[196:197], v[4:5], v[176:177]
	v_mul_f64_e32 v[176:177], v[6:7], v[176:177]
	;; [unrolled: 18-line block ×5, first 2 shown]
	v_add_f64_e32 v[188:189], v[204:205], v[202:203]
	v_add_f64_e32 v[194:195], v[194:195], v[200:201]
	s_wait_loadcnt_dscnt 0xa00
	v_mul_f64_e32 v[200:201], v[166:167], v[14:15]
	v_mul_f64_e32 v[14:15], v[168:169], v[14:15]
	v_fmac_f64_e32 v[196:197], v[6:7], v[170:171]
	v_fma_f64 v[202:203], v[4:5], v[170:171], -v[172:173]
	ds_load_b128 v[4:7], v2 offset:1664
	ds_load_b128 v[170:173], v2 offset:1680
	v_add_f64_e32 v[204:205], v[188:189], v[186:187]
	v_add_f64_e32 v[194:195], v[194:195], v[198:199]
	scratch_load_b128 v[186:189], off, off offset:832
	v_fmac_f64_e32 v[200:201], v[168:169], v[12:13]
	v_fma_f64 v[166:167], v[166:167], v[12:13], -v[14:15]
	scratch_load_b128 v[12:15], off, off offset:848
	s_wait_loadcnt_dscnt 0xb01
	v_mul_f64_e32 v[198:199], v[4:5], v[156:157]
	v_mul_f64_e32 v[156:157], v[6:7], v[156:157]
	v_add_f64_e32 v[168:169], v[204:205], v[202:203]
	v_add_f64_e32 v[194:195], v[194:195], v[196:197]
	s_wait_loadcnt_dscnt 0xa00
	v_mul_f64_e32 v[196:197], v[170:171], v[148:149]
	v_mul_f64_e32 v[148:149], v[172:173], v[148:149]
	v_fmac_f64_e32 v[198:199], v[6:7], v[154:155]
	v_fma_f64 v[202:203], v[4:5], v[154:155], -v[156:157]
	ds_load_b128 v[4:7], v2 offset:1696
	ds_load_b128 v[154:157], v2 offset:1712
	v_add_f64_e32 v[204:205], v[168:169], v[166:167]
	v_add_f64_e32 v[194:195], v[194:195], v[200:201]
	scratch_load_b128 v[166:169], off, off offset:864
	s_wait_loadcnt_dscnt 0xa01
	v_mul_f64_e32 v[200:201], v[4:5], v[164:165]
	v_mul_f64_e32 v[164:165], v[6:7], v[164:165]
	v_fmac_f64_e32 v[196:197], v[172:173], v[146:147]
	v_fma_f64 v[170:171], v[170:171], v[146:147], -v[148:149]
	scratch_load_b128 v[146:149], off, off offset:880
	v_add_f64_e32 v[172:173], v[204:205], v[202:203]
	v_add_f64_e32 v[194:195], v[194:195], v[198:199]
	s_wait_loadcnt_dscnt 0xa00
	v_mul_f64_e32 v[198:199], v[154:155], v[152:153]
	v_mul_f64_e32 v[152:153], v[156:157], v[152:153]
	v_fmac_f64_e32 v[200:201], v[6:7], v[162:163]
	v_fma_f64 v[202:203], v[4:5], v[162:163], -v[164:165]
	ds_load_b128 v[4:7], v2 offset:1728
	ds_load_b128 v[162:165], v2 offset:1744
	v_add_f64_e32 v[204:205], v[172:173], v[170:171]
	v_add_f64_e32 v[194:195], v[194:195], v[196:197]
	scratch_load_b128 v[170:173], off, off offset:896
	s_wait_loadcnt_dscnt 0xa01
	v_mul_f64_e32 v[196:197], v[4:5], v[176:177]
	v_mul_f64_e32 v[176:177], v[6:7], v[176:177]
	v_fmac_f64_e32 v[198:199], v[156:157], v[150:151]
	v_fma_f64 v[154:155], v[154:155], v[150:151], -v[152:153]
	scratch_load_b128 v[150:153], off, off offset:912
	v_add_f64_e32 v[156:157], v[204:205], v[202:203]
	v_add_f64_e32 v[194:195], v[194:195], v[200:201]
	s_wait_loadcnt_dscnt 0xa00
	v_mul_f64_e32 v[200:201], v[162:163], v[160:161]
	v_mul_f64_e32 v[160:161], v[164:165], v[160:161]
	v_fmac_f64_e32 v[196:197], v[6:7], v[174:175]
	v_fma_f64 v[202:203], v[4:5], v[174:175], -v[176:177]
	v_add_f64_e32 v[204:205], v[156:157], v[154:155]
	v_add_f64_e32 v[194:195], v[194:195], v[198:199]
	ds_load_b128 v[4:7], v2 offset:1760
	ds_load_b128 v[154:157], v2 offset:1776
	scratch_load_b128 v[174:177], off, off offset:928
	v_fmac_f64_e32 v[200:201], v[164:165], v[158:159]
	v_fma_f64 v[162:163], v[162:163], v[158:159], -v[160:161]
	scratch_load_b128 v[158:161], off, off offset:944
	s_wait_loadcnt_dscnt 0xb01
	v_mul_f64_e32 v[198:199], v[4:5], v[192:193]
	v_mul_f64_e32 v[192:193], v[6:7], v[192:193]
	v_add_f64_e32 v[164:165], v[204:205], v[202:203]
	v_add_f64_e32 v[194:195], v[194:195], v[196:197]
	s_wait_loadcnt_dscnt 0xa00
	v_mul_f64_e32 v[196:197], v[154:155], v[10:11]
	v_mul_f64_e32 v[10:11], v[156:157], v[10:11]
	v_fmac_f64_e32 v[198:199], v[6:7], v[190:191]
	v_fma_f64 v[202:203], v[4:5], v[190:191], -v[192:193]
	v_add_f64_e32 v[204:205], v[164:165], v[162:163]
	v_add_f64_e32 v[194:195], v[194:195], v[200:201]
	ds_load_b128 v[4:7], v2 offset:1792
	ds_load_b128 v[162:165], v2 offset:1808
	scratch_load_b128 v[190:193], off, off offset:960
	v_fmac_f64_e32 v[196:197], v[156:157], v[8:9]
	v_fma_f64 v[154:155], v[154:155], v[8:9], -v[10:11]
	scratch_load_b128 v[8:11], off, off offset:976
	s_wait_loadcnt_dscnt 0xb01
	v_mul_f64_e32 v[200:201], v[4:5], v[180:181]
	v_mul_f64_e32 v[180:181], v[6:7], v[180:181]
	v_add_f64_e32 v[156:157], v[204:205], v[202:203]
	v_add_f64_e32 v[194:195], v[194:195], v[198:199]
	s_wait_loadcnt_dscnt 0xa00
	v_mul_f64_e32 v[198:199], v[162:163], v[144:145]
	v_mul_f64_e32 v[144:145], v[164:165], v[144:145]
	v_fmac_f64_e32 v[200:201], v[6:7], v[178:179]
	v_fma_f64 v[178:179], v[4:5], v[178:179], -v[180:181]
	v_add_f64_e32 v[180:181], v[156:157], v[154:155]
	v_add_f64_e32 v[194:195], v[194:195], v[196:197]
	ds_load_b128 v[4:7], v2 offset:1824
	ds_load_b128 v[154:157], v2 offset:1840
	v_fmac_f64_e32 v[198:199], v[164:165], v[142:143]
	v_fma_f64 v[142:143], v[162:163], v[142:143], -v[144:145]
	s_wait_loadcnt_dscnt 0x901
	v_mul_f64_e32 v[196:197], v[4:5], v[188:189]
	v_mul_f64_e32 v[188:189], v[6:7], v[188:189]
	s_wait_loadcnt_dscnt 0x800
	v_mul_f64_e32 v[164:165], v[154:155], v[14:15]
	v_mul_f64_e32 v[14:15], v[156:157], v[14:15]
	v_add_f64_e32 v[144:145], v[180:181], v[178:179]
	v_add_f64_e32 v[162:163], v[194:195], v[200:201]
	v_fmac_f64_e32 v[196:197], v[6:7], v[186:187]
	v_fma_f64 v[178:179], v[4:5], v[186:187], -v[188:189]
	v_fmac_f64_e32 v[164:165], v[156:157], v[12:13]
	v_fma_f64 v[12:13], v[154:155], v[12:13], -v[14:15]
	v_add_f64_e32 v[180:181], v[144:145], v[142:143]
	v_add_f64_e32 v[162:163], v[162:163], v[198:199]
	ds_load_b128 v[4:7], v2 offset:1856
	ds_load_b128 v[142:145], v2 offset:1872
	s_wait_loadcnt_dscnt 0x701
	v_mul_f64_e32 v[186:187], v[4:5], v[168:169]
	v_mul_f64_e32 v[168:169], v[6:7], v[168:169]
	s_wait_loadcnt_dscnt 0x600
	v_mul_f64_e32 v[156:157], v[142:143], v[148:149]
	v_mul_f64_e32 v[148:149], v[144:145], v[148:149]
	v_add_f64_e32 v[14:15], v[180:181], v[178:179]
	v_add_f64_e32 v[154:155], v[162:163], v[196:197]
	v_fmac_f64_e32 v[186:187], v[6:7], v[166:167]
	v_fma_f64 v[162:163], v[4:5], v[166:167], -v[168:169]
	v_fmac_f64_e32 v[156:157], v[144:145], v[146:147]
	v_fma_f64 v[142:143], v[142:143], v[146:147], -v[148:149]
	v_add_f64_e32 v[166:167], v[14:15], v[12:13]
	v_add_f64_e32 v[154:155], v[154:155], v[164:165]
	ds_load_b128 v[4:7], v2 offset:1888
	ds_load_b128 v[12:15], v2 offset:1904
	;; [unrolled: 16-line block ×4, first 2 shown]
	s_wait_loadcnt_dscnt 0x101
	v_mul_f64_e32 v[2:3], v[4:5], v[192:193]
	v_mul_f64_e32 v[148:149], v[6:7], v[192:193]
	s_wait_loadcnt_dscnt 0x0
	v_mul_f64_e32 v[152:153], v[12:13], v[10:11]
	v_mul_f64_e32 v[10:11], v[14:15], v[10:11]
	v_add_f64_e32 v[144:145], v[160:161], v[154:155]
	v_add_f64_e32 v[146:147], v[146:147], v[156:157]
	v_fmac_f64_e32 v[2:3], v[6:7], v[190:191]
	v_fma_f64 v[4:5], v[4:5], v[190:191], -v[148:149]
	v_fmac_f64_e32 v[152:153], v[14:15], v[8:9]
	v_fma_f64 v[8:9], v[12:13], v[8:9], -v[10:11]
	v_add_f64_e32 v[6:7], v[144:145], v[142:143]
	v_add_f64_e32 v[142:143], v[146:147], v[150:151]
	s_delay_alu instid0(VALU_DEP_2) | instskip(NEXT) | instid1(VALU_DEP_2)
	v_add_f64_e32 v[4:5], v[6:7], v[4:5]
	v_add_f64_e32 v[2:3], v[142:143], v[2:3]
	s_delay_alu instid0(VALU_DEP_2) | instskip(NEXT) | instid1(VALU_DEP_2)
	;; [unrolled: 3-line block ×3, first 2 shown]
	v_add_f64_e64 v[2:3], v[182:183], -v[4:5]
	v_add_f64_e64 v[4:5], v[184:185], -v[6:7]
	scratch_store_b128 off, v[2:5], off offset:368
	s_wait_xcnt 0x0
	v_cmpx_lt_u32_e32 22, v1
	s_cbranch_execz .LBB125_353
; %bb.352:
	scratch_load_b128 v[2:5], off, s58
	v_mov_b32_e32 v6, 0
	s_delay_alu instid0(VALU_DEP_1)
	v_dual_mov_b32 v7, v6 :: v_dual_mov_b32 v8, v6
	v_mov_b32_e32 v9, v6
	scratch_store_b128 off, v[6:9], off offset:352
	s_wait_loadcnt 0x0
	ds_store_b128 v16, v[2:5]
.LBB125_353:
	s_wait_xcnt 0x0
	s_or_b32 exec_lo, exec_lo, s2
	s_wait_storecnt_dscnt 0x0
	s_barrier_signal -1
	s_barrier_wait -1
	s_clause 0x9
	scratch_load_b128 v[4:7], off, off offset:368
	scratch_load_b128 v[8:11], off, off offset:384
	;; [unrolled: 1-line block ×10, first 2 shown]
	v_mov_b32_e32 v2, 0
	s_mov_b32 s2, exec_lo
	ds_load_b128 v[170:173], v2 offset:1360
	s_clause 0x2
	scratch_load_b128 v[174:177], off, off offset:528
	scratch_load_b128 v[178:181], off, off offset:352
	;; [unrolled: 1-line block ×3, first 2 shown]
	s_wait_loadcnt_dscnt 0xc00
	v_mul_f64_e32 v[190:191], v[172:173], v[6:7]
	v_mul_f64_e32 v[194:195], v[170:171], v[6:7]
	ds_load_b128 v[182:185], v2 offset:1376
	v_fma_f64 v[198:199], v[170:171], v[4:5], -v[190:191]
	v_fmac_f64_e32 v[194:195], v[172:173], v[4:5]
	ds_load_b128 v[4:7], v2 offset:1392
	s_wait_loadcnt_dscnt 0xb01
	v_mul_f64_e32 v[196:197], v[182:183], v[10:11]
	v_mul_f64_e32 v[10:11], v[184:185], v[10:11]
	scratch_load_b128 v[170:173], off, off offset:560
	ds_load_b128 v[190:193], v2 offset:1408
	s_wait_loadcnt_dscnt 0xb01
	v_mul_f64_e32 v[200:201], v[4:5], v[14:15]
	v_mul_f64_e32 v[14:15], v[6:7], v[14:15]
	v_add_f64_e32 v[194:195], 0, v[194:195]
	v_fmac_f64_e32 v[196:197], v[184:185], v[8:9]
	v_fma_f64 v[182:183], v[182:183], v[8:9], -v[10:11]
	v_add_f64_e32 v[184:185], 0, v[198:199]
	scratch_load_b128 v[8:11], off, off offset:576
	v_fmac_f64_e32 v[200:201], v[6:7], v[12:13]
	v_fma_f64 v[202:203], v[4:5], v[12:13], -v[14:15]
	ds_load_b128 v[4:7], v2 offset:1424
	s_wait_loadcnt_dscnt 0xb01
	v_mul_f64_e32 v[198:199], v[190:191], v[144:145]
	v_mul_f64_e32 v[144:145], v[192:193], v[144:145]
	scratch_load_b128 v[12:15], off, off offset:592
	v_add_f64_e32 v[194:195], v[194:195], v[196:197]
	v_add_f64_e32 v[204:205], v[184:185], v[182:183]
	ds_load_b128 v[182:185], v2 offset:1440
	s_wait_loadcnt_dscnt 0xb01
	v_mul_f64_e32 v[196:197], v[4:5], v[148:149]
	v_mul_f64_e32 v[148:149], v[6:7], v[148:149]
	v_fmac_f64_e32 v[198:199], v[192:193], v[142:143]
	v_fma_f64 v[190:191], v[190:191], v[142:143], -v[144:145]
	scratch_load_b128 v[142:145], off, off offset:608
	v_add_f64_e32 v[194:195], v[194:195], v[200:201]
	v_add_f64_e32 v[192:193], v[204:205], v[202:203]
	v_fmac_f64_e32 v[196:197], v[6:7], v[146:147]
	v_fma_f64 v[202:203], v[4:5], v[146:147], -v[148:149]
	ds_load_b128 v[4:7], v2 offset:1456
	s_wait_loadcnt_dscnt 0xb01
	v_mul_f64_e32 v[200:201], v[182:183], v[152:153]
	v_mul_f64_e32 v[152:153], v[184:185], v[152:153]
	scratch_load_b128 v[146:149], off, off offset:624
	v_add_f64_e32 v[194:195], v[194:195], v[198:199]
	s_wait_loadcnt_dscnt 0xb00
	v_mul_f64_e32 v[198:199], v[4:5], v[156:157]
	v_add_f64_e32 v[204:205], v[192:193], v[190:191]
	v_mul_f64_e32 v[156:157], v[6:7], v[156:157]
	ds_load_b128 v[190:193], v2 offset:1472
	v_fmac_f64_e32 v[200:201], v[184:185], v[150:151]
	v_fma_f64 v[182:183], v[182:183], v[150:151], -v[152:153]
	scratch_load_b128 v[150:153], off, off offset:640
	v_add_f64_e32 v[194:195], v[194:195], v[196:197]
	v_fmac_f64_e32 v[198:199], v[6:7], v[154:155]
	v_add_f64_e32 v[184:185], v[204:205], v[202:203]
	v_fma_f64 v[202:203], v[4:5], v[154:155], -v[156:157]
	ds_load_b128 v[4:7], v2 offset:1488
	s_wait_loadcnt_dscnt 0xb01
	v_mul_f64_e32 v[196:197], v[190:191], v[160:161]
	v_mul_f64_e32 v[160:161], v[192:193], v[160:161]
	scratch_load_b128 v[154:157], off, off offset:656
	v_add_f64_e32 v[194:195], v[194:195], v[200:201]
	s_wait_loadcnt_dscnt 0xb00
	v_mul_f64_e32 v[200:201], v[4:5], v[164:165]
	v_add_f64_e32 v[204:205], v[184:185], v[182:183]
	v_mul_f64_e32 v[164:165], v[6:7], v[164:165]
	ds_load_b128 v[182:185], v2 offset:1504
	v_fmac_f64_e32 v[196:197], v[192:193], v[158:159]
	v_fma_f64 v[190:191], v[190:191], v[158:159], -v[160:161]
	scratch_load_b128 v[158:161], off, off offset:672
	v_add_f64_e32 v[194:195], v[194:195], v[198:199]
	v_fmac_f64_e32 v[200:201], v[6:7], v[162:163]
	v_add_f64_e32 v[192:193], v[204:205], v[202:203]
	;; [unrolled: 18-line block ×3, first 2 shown]
	v_fma_f64 v[202:203], v[4:5], v[174:175], -v[176:177]
	ds_load_b128 v[4:7], v2 offset:1552
	s_wait_loadcnt_dscnt 0xa01
	v_mul_f64_e32 v[200:201], v[190:191], v[188:189]
	v_mul_f64_e32 v[188:189], v[192:193], v[188:189]
	scratch_load_b128 v[174:177], off, off offset:720
	v_add_f64_e32 v[194:195], v[194:195], v[198:199]
	v_add_f64_e32 v[204:205], v[184:185], v[182:183]
	s_wait_loadcnt_dscnt 0xa00
	v_mul_f64_e32 v[198:199], v[4:5], v[172:173]
	v_mul_f64_e32 v[172:173], v[6:7], v[172:173]
	v_fmac_f64_e32 v[200:201], v[192:193], v[186:187]
	v_fma_f64 v[190:191], v[190:191], v[186:187], -v[188:189]
	ds_load_b128 v[182:185], v2 offset:1568
	scratch_load_b128 v[186:189], off, off offset:736
	v_add_f64_e32 v[194:195], v[194:195], v[196:197]
	v_add_f64_e32 v[192:193], v[204:205], v[202:203]
	v_fmac_f64_e32 v[198:199], v[6:7], v[170:171]
	v_fma_f64 v[202:203], v[4:5], v[170:171], -v[172:173]
	ds_load_b128 v[4:7], v2 offset:1584
	s_wait_loadcnt_dscnt 0xa01
	v_mul_f64_e32 v[196:197], v[182:183], v[10:11]
	v_mul_f64_e32 v[10:11], v[184:185], v[10:11]
	scratch_load_b128 v[170:173], off, off offset:752
	v_add_f64_e32 v[194:195], v[194:195], v[200:201]
	s_wait_loadcnt_dscnt 0xa00
	v_mul_f64_e32 v[200:201], v[4:5], v[14:15]
	v_add_f64_e32 v[204:205], v[192:193], v[190:191]
	v_mul_f64_e32 v[14:15], v[6:7], v[14:15]
	ds_load_b128 v[190:193], v2 offset:1600
	v_fmac_f64_e32 v[196:197], v[184:185], v[8:9]
	v_fma_f64 v[182:183], v[182:183], v[8:9], -v[10:11]
	scratch_load_b128 v[8:11], off, off offset:768
	v_add_f64_e32 v[194:195], v[194:195], v[198:199]
	v_fmac_f64_e32 v[200:201], v[6:7], v[12:13]
	v_add_f64_e32 v[184:185], v[204:205], v[202:203]
	v_fma_f64 v[202:203], v[4:5], v[12:13], -v[14:15]
	ds_load_b128 v[4:7], v2 offset:1616
	s_wait_loadcnt_dscnt 0xa01
	v_mul_f64_e32 v[198:199], v[190:191], v[144:145]
	v_mul_f64_e32 v[144:145], v[192:193], v[144:145]
	scratch_load_b128 v[12:15], off, off offset:784
	v_add_f64_e32 v[194:195], v[194:195], v[196:197]
	s_wait_loadcnt_dscnt 0xa00
	v_mul_f64_e32 v[196:197], v[4:5], v[148:149]
	v_add_f64_e32 v[204:205], v[184:185], v[182:183]
	v_mul_f64_e32 v[148:149], v[6:7], v[148:149]
	ds_load_b128 v[182:185], v2 offset:1632
	v_fmac_f64_e32 v[198:199], v[192:193], v[142:143]
	v_fma_f64 v[190:191], v[190:191], v[142:143], -v[144:145]
	scratch_load_b128 v[142:145], off, off offset:800
	v_add_f64_e32 v[194:195], v[194:195], v[200:201]
	v_fmac_f64_e32 v[196:197], v[6:7], v[146:147]
	v_add_f64_e32 v[192:193], v[204:205], v[202:203]
	;; [unrolled: 18-line block ×7, first 2 shown]
	v_fma_f64 v[202:203], v[4:5], v[12:13], -v[14:15]
	ds_load_b128 v[4:7], v2 offset:1808
	s_wait_loadcnt_dscnt 0xa01
	v_mul_f64_e32 v[198:199], v[190:191], v[144:145]
	v_mul_f64_e32 v[144:145], v[192:193], v[144:145]
	scratch_load_b128 v[12:15], off, off offset:976
	v_add_f64_e32 v[194:195], v[194:195], v[196:197]
	s_wait_loadcnt_dscnt 0xa00
	v_mul_f64_e32 v[196:197], v[4:5], v[148:149]
	v_add_f64_e32 v[204:205], v[184:185], v[182:183]
	v_mul_f64_e32 v[148:149], v[6:7], v[148:149]
	ds_load_b128 v[182:185], v2 offset:1824
	v_fmac_f64_e32 v[198:199], v[192:193], v[142:143]
	v_fma_f64 v[142:143], v[190:191], v[142:143], -v[144:145]
	s_wait_loadcnt_dscnt 0x900
	v_mul_f64_e32 v[192:193], v[182:183], v[152:153]
	v_mul_f64_e32 v[152:153], v[184:185], v[152:153]
	v_add_f64_e32 v[190:191], v[194:195], v[200:201]
	v_fmac_f64_e32 v[196:197], v[6:7], v[146:147]
	v_add_f64_e32 v[144:145], v[204:205], v[202:203]
	v_fma_f64 v[146:147], v[4:5], v[146:147], -v[148:149]
	v_fmac_f64_e32 v[192:193], v[184:185], v[150:151]
	v_fma_f64 v[150:151], v[182:183], v[150:151], -v[152:153]
	v_add_f64_e32 v[190:191], v[190:191], v[198:199]
	v_add_f64_e32 v[148:149], v[144:145], v[142:143]
	ds_load_b128 v[4:7], v2 offset:1840
	ds_load_b128 v[142:145], v2 offset:1856
	s_wait_loadcnt_dscnt 0x801
	v_mul_f64_e32 v[194:195], v[4:5], v[156:157]
	v_mul_f64_e32 v[156:157], v[6:7], v[156:157]
	s_wait_loadcnt_dscnt 0x700
	v_mul_f64_e32 v[152:153], v[142:143], v[160:161]
	v_mul_f64_e32 v[160:161], v[144:145], v[160:161]
	v_add_f64_e32 v[146:147], v[148:149], v[146:147]
	v_add_f64_e32 v[148:149], v[190:191], v[196:197]
	v_fmac_f64_e32 v[194:195], v[6:7], v[154:155]
	v_fma_f64 v[154:155], v[4:5], v[154:155], -v[156:157]
	v_fmac_f64_e32 v[152:153], v[144:145], v[158:159]
	v_fma_f64 v[142:143], v[142:143], v[158:159], -v[160:161]
	v_add_f64_e32 v[150:151], v[146:147], v[150:151]
	v_add_f64_e32 v[156:157], v[148:149], v[192:193]
	ds_load_b128 v[4:7], v2 offset:1872
	ds_load_b128 v[146:149], v2 offset:1888
	s_wait_loadcnt_dscnt 0x601
	v_mul_f64_e32 v[182:183], v[4:5], v[164:165]
	v_mul_f64_e32 v[164:165], v[6:7], v[164:165]
	v_add_f64_e32 v[144:145], v[150:151], v[154:155]
	v_add_f64_e32 v[150:151], v[156:157], v[194:195]
	s_wait_loadcnt_dscnt 0x500
	v_mul_f64_e32 v[154:155], v[146:147], v[168:169]
	v_mul_f64_e32 v[156:157], v[148:149], v[168:169]
	v_fmac_f64_e32 v[182:183], v[6:7], v[162:163]
	v_fma_f64 v[158:159], v[4:5], v[162:163], -v[164:165]
	v_add_f64_e32 v[160:161], v[144:145], v[142:143]
	v_add_f64_e32 v[150:151], v[150:151], v[152:153]
	ds_load_b128 v[4:7], v2 offset:1904
	ds_load_b128 v[142:145], v2 offset:1920
	v_fmac_f64_e32 v[154:155], v[148:149], v[166:167]
	v_fma_f64 v[146:147], v[146:147], v[166:167], -v[156:157]
	s_wait_loadcnt_dscnt 0x401
	v_mul_f64_e32 v[152:153], v[4:5], v[176:177]
	v_mul_f64_e32 v[162:163], v[6:7], v[176:177]
	s_wait_loadcnt_dscnt 0x300
	v_mul_f64_e32 v[156:157], v[142:143], v[188:189]
	v_add_f64_e32 v[148:149], v[160:161], v[158:159]
	v_add_f64_e32 v[150:151], v[150:151], v[182:183]
	v_mul_f64_e32 v[158:159], v[144:145], v[188:189]
	v_fmac_f64_e32 v[152:153], v[6:7], v[174:175]
	v_fma_f64 v[160:161], v[4:5], v[174:175], -v[162:163]
	v_fmac_f64_e32 v[156:157], v[144:145], v[186:187]
	v_add_f64_e32 v[162:163], v[148:149], v[146:147]
	v_add_f64_e32 v[150:151], v[150:151], v[154:155]
	ds_load_b128 v[4:7], v2 offset:1936
	ds_load_b128 v[146:149], v2 offset:1952
	v_fma_f64 v[142:143], v[142:143], v[186:187], -v[158:159]
	s_wait_loadcnt_dscnt 0x201
	v_mul_f64_e32 v[154:155], v[4:5], v[172:173]
	v_mul_f64_e32 v[164:165], v[6:7], v[172:173]
	v_add_f64_e32 v[144:145], v[162:163], v[160:161]
	v_add_f64_e32 v[150:151], v[150:151], v[152:153]
	s_wait_loadcnt_dscnt 0x100
	v_mul_f64_e32 v[152:153], v[146:147], v[10:11]
	v_mul_f64_e32 v[10:11], v[148:149], v[10:11]
	v_fmac_f64_e32 v[154:155], v[6:7], v[170:171]
	v_fma_f64 v[158:159], v[4:5], v[170:171], -v[164:165]
	ds_load_b128 v[4:7], v2 offset:1968
	v_add_f64_e32 v[142:143], v[144:145], v[142:143]
	v_add_f64_e32 v[144:145], v[150:151], v[156:157]
	v_fmac_f64_e32 v[152:153], v[148:149], v[8:9]
	v_fma_f64 v[8:9], v[146:147], v[8:9], -v[10:11]
	s_wait_loadcnt_dscnt 0x0
	v_mul_f64_e32 v[150:151], v[4:5], v[14:15]
	v_mul_f64_e32 v[14:15], v[6:7], v[14:15]
	v_add_f64_e32 v[10:11], v[142:143], v[158:159]
	v_add_f64_e32 v[142:143], v[144:145], v[154:155]
	s_delay_alu instid0(VALU_DEP_4) | instskip(NEXT) | instid1(VALU_DEP_4)
	v_fmac_f64_e32 v[150:151], v[6:7], v[12:13]
	v_fma_f64 v[4:5], v[4:5], v[12:13], -v[14:15]
	s_delay_alu instid0(VALU_DEP_4) | instskip(NEXT) | instid1(VALU_DEP_4)
	v_add_f64_e32 v[6:7], v[10:11], v[8:9]
	v_add_f64_e32 v[8:9], v[142:143], v[152:153]
	s_delay_alu instid0(VALU_DEP_2) | instskip(NEXT) | instid1(VALU_DEP_2)
	v_add_f64_e32 v[4:5], v[6:7], v[4:5]
	v_add_f64_e32 v[6:7], v[8:9], v[150:151]
	s_delay_alu instid0(VALU_DEP_2) | instskip(NEXT) | instid1(VALU_DEP_2)
	v_add_f64_e64 v[4:5], v[178:179], -v[4:5]
	v_add_f64_e64 v[6:7], v[180:181], -v[6:7]
	scratch_store_b128 off, v[4:7], off offset:352
	s_wait_xcnt 0x0
	v_cmpx_lt_u32_e32 21, v1
	s_cbranch_execz .LBB125_355
; %bb.354:
	scratch_load_b128 v[6:9], off, s59
	v_dual_mov_b32 v3, v2 :: v_dual_mov_b32 v4, v2
	v_mov_b32_e32 v5, v2
	scratch_store_b128 off, v[2:5], off offset:336
	s_wait_loadcnt 0x0
	ds_store_b128 v16, v[6:9]
.LBB125_355:
	s_wait_xcnt 0x0
	s_or_b32 exec_lo, exec_lo, s2
	s_wait_storecnt_dscnt 0x0
	s_barrier_signal -1
	s_barrier_wait -1
	s_clause 0x9
	scratch_load_b128 v[4:7], off, off offset:352
	scratch_load_b128 v[8:11], off, off offset:368
	;; [unrolled: 1-line block ×10, first 2 shown]
	ds_load_b128 v[170:173], v2 offset:1344
	ds_load_b128 v[178:181], v2 offset:1360
	s_clause 0x2
	scratch_load_b128 v[174:177], off, off offset:512
	scratch_load_b128 v[182:185], off, off offset:336
	;; [unrolled: 1-line block ×3, first 2 shown]
	s_mov_b32 s2, exec_lo
	s_wait_loadcnt_dscnt 0xc01
	v_mul_f64_e32 v[190:191], v[172:173], v[6:7]
	v_mul_f64_e32 v[194:195], v[170:171], v[6:7]
	s_wait_loadcnt_dscnt 0xb00
	v_mul_f64_e32 v[196:197], v[178:179], v[10:11]
	v_mul_f64_e32 v[10:11], v[180:181], v[10:11]
	s_delay_alu instid0(VALU_DEP_4) | instskip(NEXT) | instid1(VALU_DEP_4)
	v_fma_f64 v[198:199], v[170:171], v[4:5], -v[190:191]
	v_fmac_f64_e32 v[194:195], v[172:173], v[4:5]
	ds_load_b128 v[4:7], v2 offset:1376
	ds_load_b128 v[170:173], v2 offset:1392
	scratch_load_b128 v[190:193], off, off offset:544
	v_fmac_f64_e32 v[196:197], v[180:181], v[8:9]
	v_fma_f64 v[178:179], v[178:179], v[8:9], -v[10:11]
	scratch_load_b128 v[8:11], off, off offset:560
	s_wait_loadcnt_dscnt 0xc01
	v_mul_f64_e32 v[200:201], v[4:5], v[14:15]
	v_mul_f64_e32 v[14:15], v[6:7], v[14:15]
	v_add_f64_e32 v[180:181], 0, v[198:199]
	v_add_f64_e32 v[194:195], 0, v[194:195]
	s_wait_loadcnt_dscnt 0xb00
	v_mul_f64_e32 v[198:199], v[170:171], v[144:145]
	v_mul_f64_e32 v[144:145], v[172:173], v[144:145]
	v_fmac_f64_e32 v[200:201], v[6:7], v[12:13]
	v_fma_f64 v[202:203], v[4:5], v[12:13], -v[14:15]
	ds_load_b128 v[4:7], v2 offset:1408
	ds_load_b128 v[12:15], v2 offset:1424
	v_add_f64_e32 v[204:205], v[180:181], v[178:179]
	v_add_f64_e32 v[194:195], v[194:195], v[196:197]
	scratch_load_b128 v[178:181], off, off offset:576
	v_fmac_f64_e32 v[198:199], v[172:173], v[142:143]
	v_fma_f64 v[170:171], v[170:171], v[142:143], -v[144:145]
	scratch_load_b128 v[142:145], off, off offset:592
	s_wait_loadcnt_dscnt 0xc01
	v_mul_f64_e32 v[196:197], v[4:5], v[148:149]
	v_mul_f64_e32 v[148:149], v[6:7], v[148:149]
	v_add_f64_e32 v[172:173], v[204:205], v[202:203]
	v_add_f64_e32 v[194:195], v[194:195], v[200:201]
	s_wait_loadcnt_dscnt 0xb00
	v_mul_f64_e32 v[200:201], v[12:13], v[152:153]
	v_mul_f64_e32 v[152:153], v[14:15], v[152:153]
	v_fmac_f64_e32 v[196:197], v[6:7], v[146:147]
	v_fma_f64 v[202:203], v[4:5], v[146:147], -v[148:149]
	ds_load_b128 v[4:7], v2 offset:1440
	ds_load_b128 v[146:149], v2 offset:1456
	v_add_f64_e32 v[204:205], v[172:173], v[170:171]
	v_add_f64_e32 v[194:195], v[194:195], v[198:199]
	scratch_load_b128 v[170:173], off, off offset:608
	s_wait_loadcnt_dscnt 0xb01
	v_mul_f64_e32 v[198:199], v[4:5], v[156:157]
	v_mul_f64_e32 v[156:157], v[6:7], v[156:157]
	v_fmac_f64_e32 v[200:201], v[14:15], v[150:151]
	v_fma_f64 v[150:151], v[12:13], v[150:151], -v[152:153]
	scratch_load_b128 v[12:15], off, off offset:624
	v_add_f64_e32 v[152:153], v[204:205], v[202:203]
	v_add_f64_e32 v[194:195], v[194:195], v[196:197]
	s_wait_loadcnt_dscnt 0xb00
	v_mul_f64_e32 v[196:197], v[146:147], v[160:161]
	v_mul_f64_e32 v[160:161], v[148:149], v[160:161]
	v_fmac_f64_e32 v[198:199], v[6:7], v[154:155]
	v_fma_f64 v[202:203], v[4:5], v[154:155], -v[156:157]
	v_add_f64_e32 v[204:205], v[152:153], v[150:151]
	v_add_f64_e32 v[194:195], v[194:195], v[200:201]
	ds_load_b128 v[4:7], v2 offset:1472
	ds_load_b128 v[150:153], v2 offset:1488
	scratch_load_b128 v[154:157], off, off offset:640
	v_fmac_f64_e32 v[196:197], v[148:149], v[158:159]
	v_fma_f64 v[158:159], v[146:147], v[158:159], -v[160:161]
	scratch_load_b128 v[146:149], off, off offset:656
	s_wait_loadcnt_dscnt 0xc01
	v_mul_f64_e32 v[200:201], v[4:5], v[164:165]
	v_mul_f64_e32 v[164:165], v[6:7], v[164:165]
	v_add_f64_e32 v[160:161], v[204:205], v[202:203]
	v_add_f64_e32 v[194:195], v[194:195], v[198:199]
	s_wait_loadcnt_dscnt 0xb00
	v_mul_f64_e32 v[198:199], v[150:151], v[168:169]
	v_mul_f64_e32 v[168:169], v[152:153], v[168:169]
	v_fmac_f64_e32 v[200:201], v[6:7], v[162:163]
	v_fma_f64 v[202:203], v[4:5], v[162:163], -v[164:165]
	v_add_f64_e32 v[204:205], v[160:161], v[158:159]
	v_add_f64_e32 v[194:195], v[194:195], v[196:197]
	ds_load_b128 v[4:7], v2 offset:1504
	ds_load_b128 v[158:161], v2 offset:1520
	scratch_load_b128 v[162:165], off, off offset:672
	v_fmac_f64_e32 v[198:199], v[152:153], v[166:167]
	v_fma_f64 v[166:167], v[150:151], v[166:167], -v[168:169]
	scratch_load_b128 v[150:153], off, off offset:688
	s_wait_loadcnt_dscnt 0xc01
	v_mul_f64_e32 v[196:197], v[4:5], v[176:177]
	v_mul_f64_e32 v[176:177], v[6:7], v[176:177]
	;; [unrolled: 18-line block ×5, first 2 shown]
	v_add_f64_e32 v[188:189], v[204:205], v[202:203]
	v_add_f64_e32 v[194:195], v[194:195], v[200:201]
	s_wait_loadcnt_dscnt 0xa00
	v_mul_f64_e32 v[200:201], v[166:167], v[14:15]
	v_mul_f64_e32 v[14:15], v[168:169], v[14:15]
	v_fmac_f64_e32 v[196:197], v[6:7], v[170:171]
	v_fma_f64 v[202:203], v[4:5], v[170:171], -v[172:173]
	ds_load_b128 v[4:7], v2 offset:1632
	ds_load_b128 v[170:173], v2 offset:1648
	v_add_f64_e32 v[204:205], v[188:189], v[186:187]
	v_add_f64_e32 v[194:195], v[194:195], v[198:199]
	scratch_load_b128 v[186:189], off, off offset:800
	v_fmac_f64_e32 v[200:201], v[168:169], v[12:13]
	v_fma_f64 v[166:167], v[166:167], v[12:13], -v[14:15]
	scratch_load_b128 v[12:15], off, off offset:816
	s_wait_loadcnt_dscnt 0xb01
	v_mul_f64_e32 v[198:199], v[4:5], v[156:157]
	v_mul_f64_e32 v[156:157], v[6:7], v[156:157]
	v_add_f64_e32 v[168:169], v[204:205], v[202:203]
	v_add_f64_e32 v[194:195], v[194:195], v[196:197]
	s_wait_loadcnt_dscnt 0xa00
	v_mul_f64_e32 v[196:197], v[170:171], v[148:149]
	v_mul_f64_e32 v[148:149], v[172:173], v[148:149]
	v_fmac_f64_e32 v[198:199], v[6:7], v[154:155]
	v_fma_f64 v[202:203], v[4:5], v[154:155], -v[156:157]
	ds_load_b128 v[4:7], v2 offset:1664
	ds_load_b128 v[154:157], v2 offset:1680
	v_add_f64_e32 v[204:205], v[168:169], v[166:167]
	v_add_f64_e32 v[194:195], v[194:195], v[200:201]
	scratch_load_b128 v[166:169], off, off offset:832
	s_wait_loadcnt_dscnt 0xa01
	v_mul_f64_e32 v[200:201], v[4:5], v[164:165]
	v_mul_f64_e32 v[164:165], v[6:7], v[164:165]
	v_fmac_f64_e32 v[196:197], v[172:173], v[146:147]
	v_fma_f64 v[170:171], v[170:171], v[146:147], -v[148:149]
	scratch_load_b128 v[146:149], off, off offset:848
	v_add_f64_e32 v[172:173], v[204:205], v[202:203]
	v_add_f64_e32 v[194:195], v[194:195], v[198:199]
	s_wait_loadcnt_dscnt 0xa00
	v_mul_f64_e32 v[198:199], v[154:155], v[152:153]
	v_mul_f64_e32 v[152:153], v[156:157], v[152:153]
	v_fmac_f64_e32 v[200:201], v[6:7], v[162:163]
	v_fma_f64 v[202:203], v[4:5], v[162:163], -v[164:165]
	ds_load_b128 v[4:7], v2 offset:1696
	ds_load_b128 v[162:165], v2 offset:1712
	v_add_f64_e32 v[204:205], v[172:173], v[170:171]
	v_add_f64_e32 v[194:195], v[194:195], v[196:197]
	scratch_load_b128 v[170:173], off, off offset:864
	s_wait_loadcnt_dscnt 0xa01
	v_mul_f64_e32 v[196:197], v[4:5], v[176:177]
	v_mul_f64_e32 v[176:177], v[6:7], v[176:177]
	v_fmac_f64_e32 v[198:199], v[156:157], v[150:151]
	v_fma_f64 v[154:155], v[154:155], v[150:151], -v[152:153]
	scratch_load_b128 v[150:153], off, off offset:880
	v_add_f64_e32 v[156:157], v[204:205], v[202:203]
	v_add_f64_e32 v[194:195], v[194:195], v[200:201]
	s_wait_loadcnt_dscnt 0xa00
	v_mul_f64_e32 v[200:201], v[162:163], v[160:161]
	v_mul_f64_e32 v[160:161], v[164:165], v[160:161]
	v_fmac_f64_e32 v[196:197], v[6:7], v[174:175]
	v_fma_f64 v[202:203], v[4:5], v[174:175], -v[176:177]
	v_add_f64_e32 v[204:205], v[156:157], v[154:155]
	v_add_f64_e32 v[194:195], v[194:195], v[198:199]
	ds_load_b128 v[4:7], v2 offset:1728
	ds_load_b128 v[154:157], v2 offset:1744
	scratch_load_b128 v[174:177], off, off offset:896
	v_fmac_f64_e32 v[200:201], v[164:165], v[158:159]
	v_fma_f64 v[162:163], v[162:163], v[158:159], -v[160:161]
	scratch_load_b128 v[158:161], off, off offset:912
	s_wait_loadcnt_dscnt 0xb01
	v_mul_f64_e32 v[198:199], v[4:5], v[192:193]
	v_mul_f64_e32 v[192:193], v[6:7], v[192:193]
	v_add_f64_e32 v[164:165], v[204:205], v[202:203]
	v_add_f64_e32 v[194:195], v[194:195], v[196:197]
	s_wait_loadcnt_dscnt 0xa00
	v_mul_f64_e32 v[196:197], v[154:155], v[10:11]
	v_mul_f64_e32 v[10:11], v[156:157], v[10:11]
	v_fmac_f64_e32 v[198:199], v[6:7], v[190:191]
	v_fma_f64 v[202:203], v[4:5], v[190:191], -v[192:193]
	v_add_f64_e32 v[204:205], v[164:165], v[162:163]
	v_add_f64_e32 v[194:195], v[194:195], v[200:201]
	ds_load_b128 v[4:7], v2 offset:1760
	ds_load_b128 v[162:165], v2 offset:1776
	scratch_load_b128 v[190:193], off, off offset:928
	v_fmac_f64_e32 v[196:197], v[156:157], v[8:9]
	v_fma_f64 v[154:155], v[154:155], v[8:9], -v[10:11]
	scratch_load_b128 v[8:11], off, off offset:944
	s_wait_loadcnt_dscnt 0xb01
	v_mul_f64_e32 v[200:201], v[4:5], v[180:181]
	v_mul_f64_e32 v[180:181], v[6:7], v[180:181]
	;; [unrolled: 18-line block ×3, first 2 shown]
	v_add_f64_e32 v[164:165], v[204:205], v[202:203]
	v_add_f64_e32 v[194:195], v[194:195], v[200:201]
	s_wait_loadcnt_dscnt 0xa00
	v_mul_f64_e32 v[200:201], v[154:155], v[14:15]
	v_mul_f64_e32 v[14:15], v[156:157], v[14:15]
	v_fmac_f64_e32 v[196:197], v[6:7], v[186:187]
	v_fma_f64 v[186:187], v[4:5], v[186:187], -v[188:189]
	v_add_f64_e32 v[188:189], v[164:165], v[162:163]
	v_add_f64_e32 v[194:195], v[194:195], v[198:199]
	ds_load_b128 v[4:7], v2 offset:1824
	ds_load_b128 v[162:165], v2 offset:1840
	v_fmac_f64_e32 v[200:201], v[156:157], v[12:13]
	v_fma_f64 v[12:13], v[154:155], v[12:13], -v[14:15]
	s_wait_loadcnt_dscnt 0x901
	v_mul_f64_e32 v[198:199], v[4:5], v[168:169]
	v_mul_f64_e32 v[168:169], v[6:7], v[168:169]
	s_wait_loadcnt_dscnt 0x800
	v_mul_f64_e32 v[156:157], v[162:163], v[148:149]
	v_mul_f64_e32 v[148:149], v[164:165], v[148:149]
	v_add_f64_e32 v[14:15], v[188:189], v[186:187]
	v_add_f64_e32 v[154:155], v[194:195], v[196:197]
	v_fmac_f64_e32 v[198:199], v[6:7], v[166:167]
	v_fma_f64 v[166:167], v[4:5], v[166:167], -v[168:169]
	v_fmac_f64_e32 v[156:157], v[164:165], v[146:147]
	v_fma_f64 v[146:147], v[162:163], v[146:147], -v[148:149]
	v_add_f64_e32 v[168:169], v[14:15], v[12:13]
	v_add_f64_e32 v[154:155], v[154:155], v[200:201]
	ds_load_b128 v[4:7], v2 offset:1856
	ds_load_b128 v[12:15], v2 offset:1872
	s_wait_loadcnt_dscnt 0x701
	v_mul_f64_e32 v[186:187], v[4:5], v[172:173]
	v_mul_f64_e32 v[172:173], v[6:7], v[172:173]
	s_wait_loadcnt_dscnt 0x600
	v_mul_f64_e32 v[162:163], v[12:13], v[152:153]
	v_mul_f64_e32 v[152:153], v[14:15], v[152:153]
	v_add_f64_e32 v[148:149], v[168:169], v[166:167]
	v_add_f64_e32 v[154:155], v[154:155], v[198:199]
	v_fmac_f64_e32 v[186:187], v[6:7], v[170:171]
	v_fma_f64 v[164:165], v[4:5], v[170:171], -v[172:173]
	v_fmac_f64_e32 v[162:163], v[14:15], v[150:151]
	v_fma_f64 v[12:13], v[12:13], v[150:151], -v[152:153]
	v_add_f64_e32 v[166:167], v[148:149], v[146:147]
	v_add_f64_e32 v[154:155], v[154:155], v[156:157]
	ds_load_b128 v[4:7], v2 offset:1888
	ds_load_b128 v[146:149], v2 offset:1904
	s_wait_loadcnt_dscnt 0x501
	v_mul_f64_e32 v[156:157], v[4:5], v[176:177]
	v_mul_f64_e32 v[168:169], v[6:7], v[176:177]
	s_wait_loadcnt_dscnt 0x400
	v_mul_f64_e32 v[152:153], v[146:147], v[160:161]
	v_add_f64_e32 v[14:15], v[166:167], v[164:165]
	v_add_f64_e32 v[150:151], v[154:155], v[186:187]
	v_mul_f64_e32 v[154:155], v[148:149], v[160:161]
	v_fmac_f64_e32 v[156:157], v[6:7], v[174:175]
	v_fma_f64 v[160:161], v[4:5], v[174:175], -v[168:169]
	v_fmac_f64_e32 v[152:153], v[148:149], v[158:159]
	v_add_f64_e32 v[164:165], v[14:15], v[12:13]
	v_add_f64_e32 v[150:151], v[150:151], v[162:163]
	ds_load_b128 v[4:7], v2 offset:1920
	ds_load_b128 v[12:15], v2 offset:1936
	v_fma_f64 v[146:147], v[146:147], v[158:159], -v[154:155]
	s_wait_loadcnt_dscnt 0x301
	v_mul_f64_e32 v[162:163], v[4:5], v[192:193]
	v_mul_f64_e32 v[166:167], v[6:7], v[192:193]
	s_wait_loadcnt_dscnt 0x200
	v_mul_f64_e32 v[154:155], v[12:13], v[10:11]
	v_mul_f64_e32 v[10:11], v[14:15], v[10:11]
	v_add_f64_e32 v[148:149], v[164:165], v[160:161]
	v_add_f64_e32 v[150:151], v[150:151], v[156:157]
	v_fmac_f64_e32 v[162:163], v[6:7], v[190:191]
	v_fma_f64 v[156:157], v[4:5], v[190:191], -v[166:167]
	v_fmac_f64_e32 v[154:155], v[14:15], v[8:9]
	v_fma_f64 v[8:9], v[12:13], v[8:9], -v[10:11]
	v_add_f64_e32 v[158:159], v[148:149], v[146:147]
	v_add_f64_e32 v[150:151], v[150:151], v[152:153]
	ds_load_b128 v[4:7], v2 offset:1952
	ds_load_b128 v[146:149], v2 offset:1968
	s_wait_loadcnt_dscnt 0x101
	v_mul_f64_e32 v[2:3], v[4:5], v[180:181]
	v_mul_f64_e32 v[152:153], v[6:7], v[180:181]
	s_wait_loadcnt_dscnt 0x0
	v_mul_f64_e32 v[14:15], v[146:147], v[144:145]
	v_mul_f64_e32 v[144:145], v[148:149], v[144:145]
	v_add_f64_e32 v[10:11], v[158:159], v[156:157]
	v_add_f64_e32 v[12:13], v[150:151], v[162:163]
	v_fmac_f64_e32 v[2:3], v[6:7], v[178:179]
	v_fma_f64 v[4:5], v[4:5], v[178:179], -v[152:153]
	v_fmac_f64_e32 v[14:15], v[148:149], v[142:143]
	v_add_f64_e32 v[6:7], v[10:11], v[8:9]
	v_add_f64_e32 v[8:9], v[12:13], v[154:155]
	v_fma_f64 v[10:11], v[146:147], v[142:143], -v[144:145]
	s_delay_alu instid0(VALU_DEP_3) | instskip(NEXT) | instid1(VALU_DEP_3)
	v_add_f64_e32 v[4:5], v[6:7], v[4:5]
	v_add_f64_e32 v[2:3], v[8:9], v[2:3]
	s_delay_alu instid0(VALU_DEP_2) | instskip(NEXT) | instid1(VALU_DEP_2)
	v_add_f64_e32 v[4:5], v[4:5], v[10:11]
	v_add_f64_e32 v[6:7], v[2:3], v[14:15]
	s_delay_alu instid0(VALU_DEP_2) | instskip(NEXT) | instid1(VALU_DEP_2)
	v_add_f64_e64 v[2:3], v[182:183], -v[4:5]
	v_add_f64_e64 v[4:5], v[184:185], -v[6:7]
	scratch_store_b128 off, v[2:5], off offset:336
	s_wait_xcnt 0x0
	v_cmpx_lt_u32_e32 20, v1
	s_cbranch_execz .LBB125_357
; %bb.356:
	scratch_load_b128 v[2:5], off, s60
	v_mov_b32_e32 v6, 0
	s_delay_alu instid0(VALU_DEP_1)
	v_dual_mov_b32 v7, v6 :: v_dual_mov_b32 v8, v6
	v_mov_b32_e32 v9, v6
	scratch_store_b128 off, v[6:9], off offset:320
	s_wait_loadcnt 0x0
	ds_store_b128 v16, v[2:5]
.LBB125_357:
	s_wait_xcnt 0x0
	s_or_b32 exec_lo, exec_lo, s2
	s_wait_storecnt_dscnt 0x0
	s_barrier_signal -1
	s_barrier_wait -1
	s_clause 0x9
	scratch_load_b128 v[4:7], off, off offset:336
	scratch_load_b128 v[8:11], off, off offset:352
	;; [unrolled: 1-line block ×10, first 2 shown]
	v_mov_b32_e32 v2, 0
	s_mov_b32 s2, exec_lo
	ds_load_b128 v[170:173], v2 offset:1328
	s_clause 0x2
	scratch_load_b128 v[174:177], off, off offset:496
	scratch_load_b128 v[178:181], off, off offset:320
	;; [unrolled: 1-line block ×3, first 2 shown]
	s_wait_loadcnt_dscnt 0xc00
	v_mul_f64_e32 v[190:191], v[172:173], v[6:7]
	v_mul_f64_e32 v[194:195], v[170:171], v[6:7]
	ds_load_b128 v[182:185], v2 offset:1344
	v_fma_f64 v[198:199], v[170:171], v[4:5], -v[190:191]
	v_fmac_f64_e32 v[194:195], v[172:173], v[4:5]
	ds_load_b128 v[4:7], v2 offset:1360
	s_wait_loadcnt_dscnt 0xb01
	v_mul_f64_e32 v[196:197], v[182:183], v[10:11]
	v_mul_f64_e32 v[10:11], v[184:185], v[10:11]
	scratch_load_b128 v[170:173], off, off offset:528
	ds_load_b128 v[190:193], v2 offset:1376
	s_wait_loadcnt_dscnt 0xb01
	v_mul_f64_e32 v[200:201], v[4:5], v[14:15]
	v_mul_f64_e32 v[14:15], v[6:7], v[14:15]
	v_add_f64_e32 v[194:195], 0, v[194:195]
	v_fmac_f64_e32 v[196:197], v[184:185], v[8:9]
	v_fma_f64 v[182:183], v[182:183], v[8:9], -v[10:11]
	v_add_f64_e32 v[184:185], 0, v[198:199]
	scratch_load_b128 v[8:11], off, off offset:544
	v_fmac_f64_e32 v[200:201], v[6:7], v[12:13]
	v_fma_f64 v[202:203], v[4:5], v[12:13], -v[14:15]
	ds_load_b128 v[4:7], v2 offset:1392
	s_wait_loadcnt_dscnt 0xb01
	v_mul_f64_e32 v[198:199], v[190:191], v[144:145]
	v_mul_f64_e32 v[144:145], v[192:193], v[144:145]
	scratch_load_b128 v[12:15], off, off offset:560
	v_add_f64_e32 v[194:195], v[194:195], v[196:197]
	v_add_f64_e32 v[204:205], v[184:185], v[182:183]
	ds_load_b128 v[182:185], v2 offset:1408
	s_wait_loadcnt_dscnt 0xb01
	v_mul_f64_e32 v[196:197], v[4:5], v[148:149]
	v_mul_f64_e32 v[148:149], v[6:7], v[148:149]
	v_fmac_f64_e32 v[198:199], v[192:193], v[142:143]
	v_fma_f64 v[190:191], v[190:191], v[142:143], -v[144:145]
	scratch_load_b128 v[142:145], off, off offset:576
	v_add_f64_e32 v[194:195], v[194:195], v[200:201]
	v_add_f64_e32 v[192:193], v[204:205], v[202:203]
	v_fmac_f64_e32 v[196:197], v[6:7], v[146:147]
	v_fma_f64 v[202:203], v[4:5], v[146:147], -v[148:149]
	ds_load_b128 v[4:7], v2 offset:1424
	s_wait_loadcnt_dscnt 0xb01
	v_mul_f64_e32 v[200:201], v[182:183], v[152:153]
	v_mul_f64_e32 v[152:153], v[184:185], v[152:153]
	scratch_load_b128 v[146:149], off, off offset:592
	v_add_f64_e32 v[194:195], v[194:195], v[198:199]
	s_wait_loadcnt_dscnt 0xb00
	v_mul_f64_e32 v[198:199], v[4:5], v[156:157]
	v_add_f64_e32 v[204:205], v[192:193], v[190:191]
	v_mul_f64_e32 v[156:157], v[6:7], v[156:157]
	ds_load_b128 v[190:193], v2 offset:1440
	v_fmac_f64_e32 v[200:201], v[184:185], v[150:151]
	v_fma_f64 v[182:183], v[182:183], v[150:151], -v[152:153]
	scratch_load_b128 v[150:153], off, off offset:608
	v_add_f64_e32 v[194:195], v[194:195], v[196:197]
	v_fmac_f64_e32 v[198:199], v[6:7], v[154:155]
	v_add_f64_e32 v[184:185], v[204:205], v[202:203]
	v_fma_f64 v[202:203], v[4:5], v[154:155], -v[156:157]
	ds_load_b128 v[4:7], v2 offset:1456
	s_wait_loadcnt_dscnt 0xb01
	v_mul_f64_e32 v[196:197], v[190:191], v[160:161]
	v_mul_f64_e32 v[160:161], v[192:193], v[160:161]
	scratch_load_b128 v[154:157], off, off offset:624
	v_add_f64_e32 v[194:195], v[194:195], v[200:201]
	s_wait_loadcnt_dscnt 0xb00
	v_mul_f64_e32 v[200:201], v[4:5], v[164:165]
	v_add_f64_e32 v[204:205], v[184:185], v[182:183]
	v_mul_f64_e32 v[164:165], v[6:7], v[164:165]
	ds_load_b128 v[182:185], v2 offset:1472
	v_fmac_f64_e32 v[196:197], v[192:193], v[158:159]
	v_fma_f64 v[190:191], v[190:191], v[158:159], -v[160:161]
	scratch_load_b128 v[158:161], off, off offset:640
	v_add_f64_e32 v[194:195], v[194:195], v[198:199]
	v_fmac_f64_e32 v[200:201], v[6:7], v[162:163]
	v_add_f64_e32 v[192:193], v[204:205], v[202:203]
	;; [unrolled: 18-line block ×3, first 2 shown]
	v_fma_f64 v[202:203], v[4:5], v[174:175], -v[176:177]
	ds_load_b128 v[4:7], v2 offset:1520
	s_wait_loadcnt_dscnt 0xa01
	v_mul_f64_e32 v[200:201], v[190:191], v[188:189]
	v_mul_f64_e32 v[188:189], v[192:193], v[188:189]
	scratch_load_b128 v[174:177], off, off offset:688
	v_add_f64_e32 v[194:195], v[194:195], v[198:199]
	v_add_f64_e32 v[204:205], v[184:185], v[182:183]
	s_wait_loadcnt_dscnt 0xa00
	v_mul_f64_e32 v[198:199], v[4:5], v[172:173]
	v_mul_f64_e32 v[172:173], v[6:7], v[172:173]
	v_fmac_f64_e32 v[200:201], v[192:193], v[186:187]
	v_fma_f64 v[190:191], v[190:191], v[186:187], -v[188:189]
	ds_load_b128 v[182:185], v2 offset:1536
	scratch_load_b128 v[186:189], off, off offset:704
	v_add_f64_e32 v[194:195], v[194:195], v[196:197]
	v_add_f64_e32 v[192:193], v[204:205], v[202:203]
	v_fmac_f64_e32 v[198:199], v[6:7], v[170:171]
	v_fma_f64 v[202:203], v[4:5], v[170:171], -v[172:173]
	ds_load_b128 v[4:7], v2 offset:1552
	s_wait_loadcnt_dscnt 0xa01
	v_mul_f64_e32 v[196:197], v[182:183], v[10:11]
	v_mul_f64_e32 v[10:11], v[184:185], v[10:11]
	scratch_load_b128 v[170:173], off, off offset:720
	v_add_f64_e32 v[194:195], v[194:195], v[200:201]
	s_wait_loadcnt_dscnt 0xa00
	v_mul_f64_e32 v[200:201], v[4:5], v[14:15]
	v_add_f64_e32 v[204:205], v[192:193], v[190:191]
	v_mul_f64_e32 v[14:15], v[6:7], v[14:15]
	ds_load_b128 v[190:193], v2 offset:1568
	v_fmac_f64_e32 v[196:197], v[184:185], v[8:9]
	v_fma_f64 v[182:183], v[182:183], v[8:9], -v[10:11]
	scratch_load_b128 v[8:11], off, off offset:736
	v_add_f64_e32 v[194:195], v[194:195], v[198:199]
	v_fmac_f64_e32 v[200:201], v[6:7], v[12:13]
	v_add_f64_e32 v[184:185], v[204:205], v[202:203]
	v_fma_f64 v[202:203], v[4:5], v[12:13], -v[14:15]
	ds_load_b128 v[4:7], v2 offset:1584
	s_wait_loadcnt_dscnt 0xa01
	v_mul_f64_e32 v[198:199], v[190:191], v[144:145]
	v_mul_f64_e32 v[144:145], v[192:193], v[144:145]
	scratch_load_b128 v[12:15], off, off offset:752
	v_add_f64_e32 v[194:195], v[194:195], v[196:197]
	s_wait_loadcnt_dscnt 0xa00
	v_mul_f64_e32 v[196:197], v[4:5], v[148:149]
	v_add_f64_e32 v[204:205], v[184:185], v[182:183]
	v_mul_f64_e32 v[148:149], v[6:7], v[148:149]
	ds_load_b128 v[182:185], v2 offset:1600
	v_fmac_f64_e32 v[198:199], v[192:193], v[142:143]
	v_fma_f64 v[190:191], v[190:191], v[142:143], -v[144:145]
	scratch_load_b128 v[142:145], off, off offset:768
	v_add_f64_e32 v[194:195], v[194:195], v[200:201]
	v_fmac_f64_e32 v[196:197], v[6:7], v[146:147]
	v_add_f64_e32 v[192:193], v[204:205], v[202:203]
	;; [unrolled: 18-line block ×8, first 2 shown]
	v_fma_f64 v[202:203], v[4:5], v[146:147], -v[148:149]
	ds_load_b128 v[4:7], v2 offset:1808
	s_wait_loadcnt_dscnt 0xa01
	v_mul_f64_e32 v[200:201], v[182:183], v[152:153]
	v_mul_f64_e32 v[152:153], v[184:185], v[152:153]
	scratch_load_b128 v[146:149], off, off offset:976
	v_add_f64_e32 v[194:195], v[194:195], v[198:199]
	s_wait_loadcnt_dscnt 0xa00
	v_mul_f64_e32 v[198:199], v[4:5], v[156:157]
	v_add_f64_e32 v[204:205], v[192:193], v[190:191]
	v_mul_f64_e32 v[156:157], v[6:7], v[156:157]
	ds_load_b128 v[190:193], v2 offset:1824
	v_fmac_f64_e32 v[200:201], v[184:185], v[150:151]
	v_fma_f64 v[150:151], v[182:183], v[150:151], -v[152:153]
	s_wait_loadcnt_dscnt 0x900
	v_mul_f64_e32 v[184:185], v[190:191], v[160:161]
	v_mul_f64_e32 v[160:161], v[192:193], v[160:161]
	v_add_f64_e32 v[182:183], v[194:195], v[196:197]
	v_fmac_f64_e32 v[198:199], v[6:7], v[154:155]
	v_add_f64_e32 v[152:153], v[204:205], v[202:203]
	v_fma_f64 v[154:155], v[4:5], v[154:155], -v[156:157]
	v_fmac_f64_e32 v[184:185], v[192:193], v[158:159]
	v_fma_f64 v[158:159], v[190:191], v[158:159], -v[160:161]
	v_add_f64_e32 v[182:183], v[182:183], v[200:201]
	v_add_f64_e32 v[156:157], v[152:153], v[150:151]
	ds_load_b128 v[4:7], v2 offset:1840
	ds_load_b128 v[150:153], v2 offset:1856
	s_wait_loadcnt_dscnt 0x801
	v_mul_f64_e32 v[194:195], v[4:5], v[164:165]
	v_mul_f64_e32 v[164:165], v[6:7], v[164:165]
	s_wait_loadcnt_dscnt 0x700
	v_mul_f64_e32 v[160:161], v[150:151], v[168:169]
	v_mul_f64_e32 v[168:169], v[152:153], v[168:169]
	v_add_f64_e32 v[154:155], v[156:157], v[154:155]
	v_add_f64_e32 v[156:157], v[182:183], v[198:199]
	v_fmac_f64_e32 v[194:195], v[6:7], v[162:163]
	v_fma_f64 v[162:163], v[4:5], v[162:163], -v[164:165]
	v_fmac_f64_e32 v[160:161], v[152:153], v[166:167]
	v_fma_f64 v[150:151], v[150:151], v[166:167], -v[168:169]
	v_add_f64_e32 v[158:159], v[154:155], v[158:159]
	v_add_f64_e32 v[164:165], v[156:157], v[184:185]
	ds_load_b128 v[4:7], v2 offset:1872
	ds_load_b128 v[154:157], v2 offset:1888
	s_wait_loadcnt_dscnt 0x601
	v_mul_f64_e32 v[182:183], v[4:5], v[176:177]
	v_mul_f64_e32 v[176:177], v[6:7], v[176:177]
	v_add_f64_e32 v[152:153], v[158:159], v[162:163]
	v_add_f64_e32 v[158:159], v[164:165], v[194:195]
	s_wait_loadcnt_dscnt 0x500
	v_mul_f64_e32 v[162:163], v[154:155], v[188:189]
	v_mul_f64_e32 v[164:165], v[156:157], v[188:189]
	v_fmac_f64_e32 v[182:183], v[6:7], v[174:175]
	v_fma_f64 v[166:167], v[4:5], v[174:175], -v[176:177]
	v_add_f64_e32 v[168:169], v[152:153], v[150:151]
	v_add_f64_e32 v[158:159], v[158:159], v[160:161]
	ds_load_b128 v[4:7], v2 offset:1904
	ds_load_b128 v[150:153], v2 offset:1920
	v_fmac_f64_e32 v[162:163], v[156:157], v[186:187]
	v_fma_f64 v[154:155], v[154:155], v[186:187], -v[164:165]
	s_wait_loadcnt_dscnt 0x401
	v_mul_f64_e32 v[160:161], v[4:5], v[172:173]
	v_mul_f64_e32 v[172:173], v[6:7], v[172:173]
	s_wait_loadcnt_dscnt 0x300
	v_mul_f64_e32 v[164:165], v[150:151], v[10:11]
	v_mul_f64_e32 v[10:11], v[152:153], v[10:11]
	v_add_f64_e32 v[156:157], v[168:169], v[166:167]
	v_add_f64_e32 v[158:159], v[158:159], v[182:183]
	v_fmac_f64_e32 v[160:161], v[6:7], v[170:171]
	v_fma_f64 v[166:167], v[4:5], v[170:171], -v[172:173]
	v_fmac_f64_e32 v[164:165], v[152:153], v[8:9]
	v_fma_f64 v[8:9], v[150:151], v[8:9], -v[10:11]
	v_add_f64_e32 v[168:169], v[156:157], v[154:155]
	v_add_f64_e32 v[158:159], v[158:159], v[162:163]
	ds_load_b128 v[4:7], v2 offset:1936
	ds_load_b128 v[154:157], v2 offset:1952
	s_wait_loadcnt_dscnt 0x201
	v_mul_f64_e32 v[162:163], v[4:5], v[14:15]
	v_mul_f64_e32 v[14:15], v[6:7], v[14:15]
	s_wait_loadcnt_dscnt 0x100
	v_mul_f64_e32 v[152:153], v[154:155], v[144:145]
	v_mul_f64_e32 v[144:145], v[156:157], v[144:145]
	v_add_f64_e32 v[10:11], v[168:169], v[166:167]
	v_add_f64_e32 v[150:151], v[158:159], v[160:161]
	v_fmac_f64_e32 v[162:163], v[6:7], v[12:13]
	v_fma_f64 v[12:13], v[4:5], v[12:13], -v[14:15]
	ds_load_b128 v[4:7], v2 offset:1968
	v_fmac_f64_e32 v[152:153], v[156:157], v[142:143]
	v_fma_f64 v[142:143], v[154:155], v[142:143], -v[144:145]
	v_add_f64_e32 v[8:9], v[10:11], v[8:9]
	v_add_f64_e32 v[10:11], v[150:151], v[164:165]
	s_wait_loadcnt_dscnt 0x0
	v_mul_f64_e32 v[14:15], v[4:5], v[148:149]
	v_mul_f64_e32 v[148:149], v[6:7], v[148:149]
	s_delay_alu instid0(VALU_DEP_4) | instskip(NEXT) | instid1(VALU_DEP_4)
	v_add_f64_e32 v[8:9], v[8:9], v[12:13]
	v_add_f64_e32 v[10:11], v[10:11], v[162:163]
	s_delay_alu instid0(VALU_DEP_4) | instskip(NEXT) | instid1(VALU_DEP_4)
	v_fmac_f64_e32 v[14:15], v[6:7], v[146:147]
	v_fma_f64 v[4:5], v[4:5], v[146:147], -v[148:149]
	s_delay_alu instid0(VALU_DEP_4) | instskip(NEXT) | instid1(VALU_DEP_4)
	v_add_f64_e32 v[6:7], v[8:9], v[142:143]
	v_add_f64_e32 v[8:9], v[10:11], v[152:153]
	s_delay_alu instid0(VALU_DEP_2) | instskip(NEXT) | instid1(VALU_DEP_2)
	v_add_f64_e32 v[4:5], v[6:7], v[4:5]
	v_add_f64_e32 v[6:7], v[8:9], v[14:15]
	s_delay_alu instid0(VALU_DEP_2) | instskip(NEXT) | instid1(VALU_DEP_2)
	v_add_f64_e64 v[4:5], v[178:179], -v[4:5]
	v_add_f64_e64 v[6:7], v[180:181], -v[6:7]
	scratch_store_b128 off, v[4:7], off offset:320
	s_wait_xcnt 0x0
	v_cmpx_lt_u32_e32 19, v1
	s_cbranch_execz .LBB125_359
; %bb.358:
	scratch_load_b128 v[6:9], off, s61
	v_dual_mov_b32 v3, v2 :: v_dual_mov_b32 v4, v2
	v_mov_b32_e32 v5, v2
	scratch_store_b128 off, v[2:5], off offset:304
	s_wait_loadcnt 0x0
	ds_store_b128 v16, v[6:9]
.LBB125_359:
	s_wait_xcnt 0x0
	s_or_b32 exec_lo, exec_lo, s2
	s_wait_storecnt_dscnt 0x0
	s_barrier_signal -1
	s_barrier_wait -1
	s_clause 0x9
	scratch_load_b128 v[4:7], off, off offset:320
	scratch_load_b128 v[8:11], off, off offset:336
	;; [unrolled: 1-line block ×10, first 2 shown]
	ds_load_b128 v[170:173], v2 offset:1312
	ds_load_b128 v[178:181], v2 offset:1328
	s_clause 0x2
	scratch_load_b128 v[174:177], off, off offset:480
	scratch_load_b128 v[182:185], off, off offset:304
	;; [unrolled: 1-line block ×3, first 2 shown]
	s_mov_b32 s2, exec_lo
	s_wait_loadcnt_dscnt 0xc01
	v_mul_f64_e32 v[190:191], v[172:173], v[6:7]
	v_mul_f64_e32 v[194:195], v[170:171], v[6:7]
	s_wait_loadcnt_dscnt 0xb00
	v_mul_f64_e32 v[196:197], v[178:179], v[10:11]
	v_mul_f64_e32 v[10:11], v[180:181], v[10:11]
	s_delay_alu instid0(VALU_DEP_4) | instskip(NEXT) | instid1(VALU_DEP_4)
	v_fma_f64 v[198:199], v[170:171], v[4:5], -v[190:191]
	v_fmac_f64_e32 v[194:195], v[172:173], v[4:5]
	ds_load_b128 v[4:7], v2 offset:1344
	ds_load_b128 v[170:173], v2 offset:1360
	scratch_load_b128 v[190:193], off, off offset:512
	v_fmac_f64_e32 v[196:197], v[180:181], v[8:9]
	v_fma_f64 v[178:179], v[178:179], v[8:9], -v[10:11]
	scratch_load_b128 v[8:11], off, off offset:528
	s_wait_loadcnt_dscnt 0xc01
	v_mul_f64_e32 v[200:201], v[4:5], v[14:15]
	v_mul_f64_e32 v[14:15], v[6:7], v[14:15]
	v_add_f64_e32 v[180:181], 0, v[198:199]
	v_add_f64_e32 v[194:195], 0, v[194:195]
	s_wait_loadcnt_dscnt 0xb00
	v_mul_f64_e32 v[198:199], v[170:171], v[144:145]
	v_mul_f64_e32 v[144:145], v[172:173], v[144:145]
	v_fmac_f64_e32 v[200:201], v[6:7], v[12:13]
	v_fma_f64 v[202:203], v[4:5], v[12:13], -v[14:15]
	ds_load_b128 v[4:7], v2 offset:1376
	ds_load_b128 v[12:15], v2 offset:1392
	v_add_f64_e32 v[204:205], v[180:181], v[178:179]
	v_add_f64_e32 v[194:195], v[194:195], v[196:197]
	scratch_load_b128 v[178:181], off, off offset:544
	v_fmac_f64_e32 v[198:199], v[172:173], v[142:143]
	v_fma_f64 v[170:171], v[170:171], v[142:143], -v[144:145]
	scratch_load_b128 v[142:145], off, off offset:560
	s_wait_loadcnt_dscnt 0xc01
	v_mul_f64_e32 v[196:197], v[4:5], v[148:149]
	v_mul_f64_e32 v[148:149], v[6:7], v[148:149]
	v_add_f64_e32 v[172:173], v[204:205], v[202:203]
	v_add_f64_e32 v[194:195], v[194:195], v[200:201]
	s_wait_loadcnt_dscnt 0xb00
	v_mul_f64_e32 v[200:201], v[12:13], v[152:153]
	v_mul_f64_e32 v[152:153], v[14:15], v[152:153]
	v_fmac_f64_e32 v[196:197], v[6:7], v[146:147]
	v_fma_f64 v[202:203], v[4:5], v[146:147], -v[148:149]
	ds_load_b128 v[4:7], v2 offset:1408
	ds_load_b128 v[146:149], v2 offset:1424
	v_add_f64_e32 v[204:205], v[172:173], v[170:171]
	v_add_f64_e32 v[194:195], v[194:195], v[198:199]
	scratch_load_b128 v[170:173], off, off offset:576
	s_wait_loadcnt_dscnt 0xb01
	v_mul_f64_e32 v[198:199], v[4:5], v[156:157]
	v_mul_f64_e32 v[156:157], v[6:7], v[156:157]
	v_fmac_f64_e32 v[200:201], v[14:15], v[150:151]
	v_fma_f64 v[150:151], v[12:13], v[150:151], -v[152:153]
	scratch_load_b128 v[12:15], off, off offset:592
	v_add_f64_e32 v[152:153], v[204:205], v[202:203]
	v_add_f64_e32 v[194:195], v[194:195], v[196:197]
	s_wait_loadcnt_dscnt 0xb00
	v_mul_f64_e32 v[196:197], v[146:147], v[160:161]
	v_mul_f64_e32 v[160:161], v[148:149], v[160:161]
	v_fmac_f64_e32 v[198:199], v[6:7], v[154:155]
	v_fma_f64 v[202:203], v[4:5], v[154:155], -v[156:157]
	v_add_f64_e32 v[204:205], v[152:153], v[150:151]
	v_add_f64_e32 v[194:195], v[194:195], v[200:201]
	ds_load_b128 v[4:7], v2 offset:1440
	ds_load_b128 v[150:153], v2 offset:1456
	scratch_load_b128 v[154:157], off, off offset:608
	v_fmac_f64_e32 v[196:197], v[148:149], v[158:159]
	v_fma_f64 v[158:159], v[146:147], v[158:159], -v[160:161]
	scratch_load_b128 v[146:149], off, off offset:624
	s_wait_loadcnt_dscnt 0xc01
	v_mul_f64_e32 v[200:201], v[4:5], v[164:165]
	v_mul_f64_e32 v[164:165], v[6:7], v[164:165]
	v_add_f64_e32 v[160:161], v[204:205], v[202:203]
	v_add_f64_e32 v[194:195], v[194:195], v[198:199]
	s_wait_loadcnt_dscnt 0xb00
	v_mul_f64_e32 v[198:199], v[150:151], v[168:169]
	v_mul_f64_e32 v[168:169], v[152:153], v[168:169]
	v_fmac_f64_e32 v[200:201], v[6:7], v[162:163]
	v_fma_f64 v[202:203], v[4:5], v[162:163], -v[164:165]
	v_add_f64_e32 v[204:205], v[160:161], v[158:159]
	v_add_f64_e32 v[194:195], v[194:195], v[196:197]
	ds_load_b128 v[4:7], v2 offset:1472
	ds_load_b128 v[158:161], v2 offset:1488
	scratch_load_b128 v[162:165], off, off offset:640
	v_fmac_f64_e32 v[198:199], v[152:153], v[166:167]
	v_fma_f64 v[166:167], v[150:151], v[166:167], -v[168:169]
	scratch_load_b128 v[150:153], off, off offset:656
	s_wait_loadcnt_dscnt 0xc01
	v_mul_f64_e32 v[196:197], v[4:5], v[176:177]
	v_mul_f64_e32 v[176:177], v[6:7], v[176:177]
	;; [unrolled: 18-line block ×5, first 2 shown]
	v_add_f64_e32 v[188:189], v[204:205], v[202:203]
	v_add_f64_e32 v[194:195], v[194:195], v[200:201]
	s_wait_loadcnt_dscnt 0xa00
	v_mul_f64_e32 v[200:201], v[166:167], v[14:15]
	v_mul_f64_e32 v[14:15], v[168:169], v[14:15]
	v_fmac_f64_e32 v[196:197], v[6:7], v[170:171]
	v_fma_f64 v[202:203], v[4:5], v[170:171], -v[172:173]
	ds_load_b128 v[4:7], v2 offset:1600
	ds_load_b128 v[170:173], v2 offset:1616
	v_add_f64_e32 v[204:205], v[188:189], v[186:187]
	v_add_f64_e32 v[194:195], v[194:195], v[198:199]
	scratch_load_b128 v[186:189], off, off offset:768
	v_fmac_f64_e32 v[200:201], v[168:169], v[12:13]
	v_fma_f64 v[166:167], v[166:167], v[12:13], -v[14:15]
	scratch_load_b128 v[12:15], off, off offset:784
	s_wait_loadcnt_dscnt 0xb01
	v_mul_f64_e32 v[198:199], v[4:5], v[156:157]
	v_mul_f64_e32 v[156:157], v[6:7], v[156:157]
	v_add_f64_e32 v[168:169], v[204:205], v[202:203]
	v_add_f64_e32 v[194:195], v[194:195], v[196:197]
	s_wait_loadcnt_dscnt 0xa00
	v_mul_f64_e32 v[196:197], v[170:171], v[148:149]
	v_mul_f64_e32 v[148:149], v[172:173], v[148:149]
	v_fmac_f64_e32 v[198:199], v[6:7], v[154:155]
	v_fma_f64 v[202:203], v[4:5], v[154:155], -v[156:157]
	ds_load_b128 v[4:7], v2 offset:1632
	ds_load_b128 v[154:157], v2 offset:1648
	v_add_f64_e32 v[204:205], v[168:169], v[166:167]
	v_add_f64_e32 v[194:195], v[194:195], v[200:201]
	scratch_load_b128 v[166:169], off, off offset:800
	s_wait_loadcnt_dscnt 0xa01
	v_mul_f64_e32 v[200:201], v[4:5], v[164:165]
	v_mul_f64_e32 v[164:165], v[6:7], v[164:165]
	v_fmac_f64_e32 v[196:197], v[172:173], v[146:147]
	v_fma_f64 v[170:171], v[170:171], v[146:147], -v[148:149]
	scratch_load_b128 v[146:149], off, off offset:816
	v_add_f64_e32 v[172:173], v[204:205], v[202:203]
	v_add_f64_e32 v[194:195], v[194:195], v[198:199]
	s_wait_loadcnt_dscnt 0xa00
	v_mul_f64_e32 v[198:199], v[154:155], v[152:153]
	v_mul_f64_e32 v[152:153], v[156:157], v[152:153]
	v_fmac_f64_e32 v[200:201], v[6:7], v[162:163]
	v_fma_f64 v[202:203], v[4:5], v[162:163], -v[164:165]
	ds_load_b128 v[4:7], v2 offset:1664
	ds_load_b128 v[162:165], v2 offset:1680
	v_add_f64_e32 v[204:205], v[172:173], v[170:171]
	v_add_f64_e32 v[194:195], v[194:195], v[196:197]
	scratch_load_b128 v[170:173], off, off offset:832
	s_wait_loadcnt_dscnt 0xa01
	v_mul_f64_e32 v[196:197], v[4:5], v[176:177]
	v_mul_f64_e32 v[176:177], v[6:7], v[176:177]
	v_fmac_f64_e32 v[198:199], v[156:157], v[150:151]
	v_fma_f64 v[154:155], v[154:155], v[150:151], -v[152:153]
	scratch_load_b128 v[150:153], off, off offset:848
	v_add_f64_e32 v[156:157], v[204:205], v[202:203]
	v_add_f64_e32 v[194:195], v[194:195], v[200:201]
	s_wait_loadcnt_dscnt 0xa00
	v_mul_f64_e32 v[200:201], v[162:163], v[160:161]
	v_mul_f64_e32 v[160:161], v[164:165], v[160:161]
	v_fmac_f64_e32 v[196:197], v[6:7], v[174:175]
	v_fma_f64 v[202:203], v[4:5], v[174:175], -v[176:177]
	v_add_f64_e32 v[204:205], v[156:157], v[154:155]
	v_add_f64_e32 v[194:195], v[194:195], v[198:199]
	ds_load_b128 v[4:7], v2 offset:1696
	ds_load_b128 v[154:157], v2 offset:1712
	scratch_load_b128 v[174:177], off, off offset:864
	v_fmac_f64_e32 v[200:201], v[164:165], v[158:159]
	v_fma_f64 v[162:163], v[162:163], v[158:159], -v[160:161]
	scratch_load_b128 v[158:161], off, off offset:880
	s_wait_loadcnt_dscnt 0xb01
	v_mul_f64_e32 v[198:199], v[4:5], v[192:193]
	v_mul_f64_e32 v[192:193], v[6:7], v[192:193]
	v_add_f64_e32 v[164:165], v[204:205], v[202:203]
	v_add_f64_e32 v[194:195], v[194:195], v[196:197]
	s_wait_loadcnt_dscnt 0xa00
	v_mul_f64_e32 v[196:197], v[154:155], v[10:11]
	v_mul_f64_e32 v[10:11], v[156:157], v[10:11]
	v_fmac_f64_e32 v[198:199], v[6:7], v[190:191]
	v_fma_f64 v[202:203], v[4:5], v[190:191], -v[192:193]
	v_add_f64_e32 v[204:205], v[164:165], v[162:163]
	v_add_f64_e32 v[194:195], v[194:195], v[200:201]
	ds_load_b128 v[4:7], v2 offset:1728
	ds_load_b128 v[162:165], v2 offset:1744
	scratch_load_b128 v[190:193], off, off offset:896
	v_fmac_f64_e32 v[196:197], v[156:157], v[8:9]
	v_fma_f64 v[154:155], v[154:155], v[8:9], -v[10:11]
	scratch_load_b128 v[8:11], off, off offset:912
	s_wait_loadcnt_dscnt 0xb01
	v_mul_f64_e32 v[200:201], v[4:5], v[180:181]
	v_mul_f64_e32 v[180:181], v[6:7], v[180:181]
	;; [unrolled: 18-line block ×4, first 2 shown]
	v_add_f64_e32 v[156:157], v[204:205], v[202:203]
	v_add_f64_e32 v[194:195], v[194:195], v[196:197]
	s_wait_loadcnt_dscnt 0xa00
	v_mul_f64_e32 v[196:197], v[162:163], v[148:149]
	v_mul_f64_e32 v[148:149], v[164:165], v[148:149]
	v_fmac_f64_e32 v[198:199], v[6:7], v[166:167]
	v_fma_f64 v[166:167], v[4:5], v[166:167], -v[168:169]
	v_add_f64_e32 v[168:169], v[156:157], v[154:155]
	v_add_f64_e32 v[194:195], v[194:195], v[200:201]
	ds_load_b128 v[4:7], v2 offset:1824
	ds_load_b128 v[154:157], v2 offset:1840
	v_fmac_f64_e32 v[196:197], v[164:165], v[146:147]
	v_fma_f64 v[146:147], v[162:163], v[146:147], -v[148:149]
	s_wait_loadcnt_dscnt 0x901
	v_mul_f64_e32 v[200:201], v[4:5], v[172:173]
	v_mul_f64_e32 v[172:173], v[6:7], v[172:173]
	s_wait_loadcnt_dscnt 0x800
	v_mul_f64_e32 v[164:165], v[154:155], v[152:153]
	v_mul_f64_e32 v[152:153], v[156:157], v[152:153]
	v_add_f64_e32 v[148:149], v[168:169], v[166:167]
	v_add_f64_e32 v[162:163], v[194:195], v[198:199]
	v_fmac_f64_e32 v[200:201], v[6:7], v[170:171]
	v_fma_f64 v[166:167], v[4:5], v[170:171], -v[172:173]
	v_fmac_f64_e32 v[164:165], v[156:157], v[150:151]
	v_fma_f64 v[150:151], v[154:155], v[150:151], -v[152:153]
	v_add_f64_e32 v[168:169], v[148:149], v[146:147]
	v_add_f64_e32 v[162:163], v[162:163], v[196:197]
	ds_load_b128 v[4:7], v2 offset:1856
	ds_load_b128 v[146:149], v2 offset:1872
	s_wait_loadcnt_dscnt 0x701
	v_mul_f64_e32 v[170:171], v[4:5], v[176:177]
	v_mul_f64_e32 v[172:173], v[6:7], v[176:177]
	s_wait_loadcnt_dscnt 0x600
	v_mul_f64_e32 v[156:157], v[146:147], v[160:161]
	v_mul_f64_e32 v[160:161], v[148:149], v[160:161]
	v_add_f64_e32 v[152:153], v[168:169], v[166:167]
	v_add_f64_e32 v[154:155], v[162:163], v[200:201]
	v_fmac_f64_e32 v[170:171], v[6:7], v[174:175]
	v_fma_f64 v[162:163], v[4:5], v[174:175], -v[172:173]
	v_fmac_f64_e32 v[156:157], v[148:149], v[158:159]
	v_fma_f64 v[146:147], v[146:147], v[158:159], -v[160:161]
	v_add_f64_e32 v[166:167], v[152:153], v[150:151]
	v_add_f64_e32 v[154:155], v[154:155], v[164:165]
	ds_load_b128 v[4:7], v2 offset:1888
	ds_load_b128 v[150:153], v2 offset:1904
	;; [unrolled: 16-line block ×4, first 2 shown]
	s_wait_loadcnt_dscnt 0x101
	v_mul_f64_e32 v[2:3], v[4:5], v[188:189]
	v_mul_f64_e32 v[158:159], v[6:7], v[188:189]
	s_wait_loadcnt_dscnt 0x0
	v_mul_f64_e32 v[148:149], v[8:9], v[14:15]
	v_mul_f64_e32 v[14:15], v[10:11], v[14:15]
	v_add_f64_e32 v[144:145], v[160:161], v[154:155]
	v_add_f64_e32 v[146:147], v[150:151], v[156:157]
	v_fmac_f64_e32 v[2:3], v[6:7], v[186:187]
	v_fma_f64 v[4:5], v[4:5], v[186:187], -v[158:159]
	v_fmac_f64_e32 v[148:149], v[10:11], v[12:13]
	v_fma_f64 v[8:9], v[8:9], v[12:13], -v[14:15]
	v_add_f64_e32 v[6:7], v[144:145], v[142:143]
	v_add_f64_e32 v[142:143], v[146:147], v[152:153]
	s_delay_alu instid0(VALU_DEP_2) | instskip(NEXT) | instid1(VALU_DEP_2)
	v_add_f64_e32 v[4:5], v[6:7], v[4:5]
	v_add_f64_e32 v[2:3], v[142:143], v[2:3]
	s_delay_alu instid0(VALU_DEP_2) | instskip(NEXT) | instid1(VALU_DEP_2)
	v_add_f64_e32 v[4:5], v[4:5], v[8:9]
	v_add_f64_e32 v[6:7], v[2:3], v[148:149]
	s_delay_alu instid0(VALU_DEP_2) | instskip(NEXT) | instid1(VALU_DEP_2)
	v_add_f64_e64 v[2:3], v[182:183], -v[4:5]
	v_add_f64_e64 v[4:5], v[184:185], -v[6:7]
	scratch_store_b128 off, v[2:5], off offset:304
	s_wait_xcnt 0x0
	v_cmpx_lt_u32_e32 18, v1
	s_cbranch_execz .LBB125_361
; %bb.360:
	scratch_load_b128 v[2:5], off, s62
	v_mov_b32_e32 v6, 0
	s_delay_alu instid0(VALU_DEP_1)
	v_dual_mov_b32 v7, v6 :: v_dual_mov_b32 v8, v6
	v_mov_b32_e32 v9, v6
	scratch_store_b128 off, v[6:9], off offset:288
	s_wait_loadcnt 0x0
	ds_store_b128 v16, v[2:5]
.LBB125_361:
	s_wait_xcnt 0x0
	s_or_b32 exec_lo, exec_lo, s2
	s_wait_storecnt_dscnt 0x0
	s_barrier_signal -1
	s_barrier_wait -1
	s_clause 0x9
	scratch_load_b128 v[4:7], off, off offset:304
	scratch_load_b128 v[8:11], off, off offset:320
	scratch_load_b128 v[12:15], off, off offset:336
	scratch_load_b128 v[142:145], off, off offset:352
	scratch_load_b128 v[146:149], off, off offset:368
	scratch_load_b128 v[150:153], off, off offset:384
	scratch_load_b128 v[154:157], off, off offset:400
	scratch_load_b128 v[158:161], off, off offset:416
	scratch_load_b128 v[162:165], off, off offset:432
	scratch_load_b128 v[166:169], off, off offset:448
	v_mov_b32_e32 v2, 0
	s_mov_b32 s2, exec_lo
	ds_load_b128 v[170:173], v2 offset:1296
	s_clause 0x2
	scratch_load_b128 v[174:177], off, off offset:464
	scratch_load_b128 v[178:181], off, off offset:288
	;; [unrolled: 1-line block ×3, first 2 shown]
	s_wait_loadcnt_dscnt 0xc00
	v_mul_f64_e32 v[190:191], v[172:173], v[6:7]
	v_mul_f64_e32 v[194:195], v[170:171], v[6:7]
	ds_load_b128 v[182:185], v2 offset:1312
	v_fma_f64 v[198:199], v[170:171], v[4:5], -v[190:191]
	v_fmac_f64_e32 v[194:195], v[172:173], v[4:5]
	ds_load_b128 v[4:7], v2 offset:1328
	s_wait_loadcnt_dscnt 0xb01
	v_mul_f64_e32 v[196:197], v[182:183], v[10:11]
	v_mul_f64_e32 v[10:11], v[184:185], v[10:11]
	scratch_load_b128 v[170:173], off, off offset:496
	ds_load_b128 v[190:193], v2 offset:1344
	s_wait_loadcnt_dscnt 0xb01
	v_mul_f64_e32 v[200:201], v[4:5], v[14:15]
	v_mul_f64_e32 v[14:15], v[6:7], v[14:15]
	v_add_f64_e32 v[194:195], 0, v[194:195]
	v_fmac_f64_e32 v[196:197], v[184:185], v[8:9]
	v_fma_f64 v[182:183], v[182:183], v[8:9], -v[10:11]
	v_add_f64_e32 v[184:185], 0, v[198:199]
	scratch_load_b128 v[8:11], off, off offset:512
	v_fmac_f64_e32 v[200:201], v[6:7], v[12:13]
	v_fma_f64 v[202:203], v[4:5], v[12:13], -v[14:15]
	ds_load_b128 v[4:7], v2 offset:1360
	s_wait_loadcnt_dscnt 0xb01
	v_mul_f64_e32 v[198:199], v[190:191], v[144:145]
	v_mul_f64_e32 v[144:145], v[192:193], v[144:145]
	scratch_load_b128 v[12:15], off, off offset:528
	v_add_f64_e32 v[194:195], v[194:195], v[196:197]
	v_add_f64_e32 v[204:205], v[184:185], v[182:183]
	ds_load_b128 v[182:185], v2 offset:1376
	s_wait_loadcnt_dscnt 0xb01
	v_mul_f64_e32 v[196:197], v[4:5], v[148:149]
	v_mul_f64_e32 v[148:149], v[6:7], v[148:149]
	v_fmac_f64_e32 v[198:199], v[192:193], v[142:143]
	v_fma_f64 v[190:191], v[190:191], v[142:143], -v[144:145]
	scratch_load_b128 v[142:145], off, off offset:544
	v_add_f64_e32 v[194:195], v[194:195], v[200:201]
	v_add_f64_e32 v[192:193], v[204:205], v[202:203]
	v_fmac_f64_e32 v[196:197], v[6:7], v[146:147]
	v_fma_f64 v[202:203], v[4:5], v[146:147], -v[148:149]
	ds_load_b128 v[4:7], v2 offset:1392
	s_wait_loadcnt_dscnt 0xb01
	v_mul_f64_e32 v[200:201], v[182:183], v[152:153]
	v_mul_f64_e32 v[152:153], v[184:185], v[152:153]
	scratch_load_b128 v[146:149], off, off offset:560
	v_add_f64_e32 v[194:195], v[194:195], v[198:199]
	s_wait_loadcnt_dscnt 0xb00
	v_mul_f64_e32 v[198:199], v[4:5], v[156:157]
	v_add_f64_e32 v[204:205], v[192:193], v[190:191]
	v_mul_f64_e32 v[156:157], v[6:7], v[156:157]
	ds_load_b128 v[190:193], v2 offset:1408
	v_fmac_f64_e32 v[200:201], v[184:185], v[150:151]
	v_fma_f64 v[182:183], v[182:183], v[150:151], -v[152:153]
	scratch_load_b128 v[150:153], off, off offset:576
	v_add_f64_e32 v[194:195], v[194:195], v[196:197]
	v_fmac_f64_e32 v[198:199], v[6:7], v[154:155]
	v_add_f64_e32 v[184:185], v[204:205], v[202:203]
	v_fma_f64 v[202:203], v[4:5], v[154:155], -v[156:157]
	ds_load_b128 v[4:7], v2 offset:1424
	s_wait_loadcnt_dscnt 0xb01
	v_mul_f64_e32 v[196:197], v[190:191], v[160:161]
	v_mul_f64_e32 v[160:161], v[192:193], v[160:161]
	scratch_load_b128 v[154:157], off, off offset:592
	v_add_f64_e32 v[194:195], v[194:195], v[200:201]
	s_wait_loadcnt_dscnt 0xb00
	v_mul_f64_e32 v[200:201], v[4:5], v[164:165]
	v_add_f64_e32 v[204:205], v[184:185], v[182:183]
	v_mul_f64_e32 v[164:165], v[6:7], v[164:165]
	ds_load_b128 v[182:185], v2 offset:1440
	v_fmac_f64_e32 v[196:197], v[192:193], v[158:159]
	v_fma_f64 v[190:191], v[190:191], v[158:159], -v[160:161]
	scratch_load_b128 v[158:161], off, off offset:608
	v_add_f64_e32 v[194:195], v[194:195], v[198:199]
	v_fmac_f64_e32 v[200:201], v[6:7], v[162:163]
	v_add_f64_e32 v[192:193], v[204:205], v[202:203]
	;; [unrolled: 18-line block ×3, first 2 shown]
	v_fma_f64 v[202:203], v[4:5], v[174:175], -v[176:177]
	ds_load_b128 v[4:7], v2 offset:1488
	s_wait_loadcnt_dscnt 0xa01
	v_mul_f64_e32 v[200:201], v[190:191], v[188:189]
	v_mul_f64_e32 v[188:189], v[192:193], v[188:189]
	scratch_load_b128 v[174:177], off, off offset:656
	v_add_f64_e32 v[194:195], v[194:195], v[198:199]
	v_add_f64_e32 v[204:205], v[184:185], v[182:183]
	s_wait_loadcnt_dscnt 0xa00
	v_mul_f64_e32 v[198:199], v[4:5], v[172:173]
	v_mul_f64_e32 v[172:173], v[6:7], v[172:173]
	v_fmac_f64_e32 v[200:201], v[192:193], v[186:187]
	v_fma_f64 v[190:191], v[190:191], v[186:187], -v[188:189]
	ds_load_b128 v[182:185], v2 offset:1504
	scratch_load_b128 v[186:189], off, off offset:672
	v_add_f64_e32 v[194:195], v[194:195], v[196:197]
	v_add_f64_e32 v[192:193], v[204:205], v[202:203]
	v_fmac_f64_e32 v[198:199], v[6:7], v[170:171]
	v_fma_f64 v[202:203], v[4:5], v[170:171], -v[172:173]
	ds_load_b128 v[4:7], v2 offset:1520
	s_wait_loadcnt_dscnt 0xa01
	v_mul_f64_e32 v[196:197], v[182:183], v[10:11]
	v_mul_f64_e32 v[10:11], v[184:185], v[10:11]
	scratch_load_b128 v[170:173], off, off offset:688
	v_add_f64_e32 v[194:195], v[194:195], v[200:201]
	s_wait_loadcnt_dscnt 0xa00
	v_mul_f64_e32 v[200:201], v[4:5], v[14:15]
	v_add_f64_e32 v[204:205], v[192:193], v[190:191]
	v_mul_f64_e32 v[14:15], v[6:7], v[14:15]
	ds_load_b128 v[190:193], v2 offset:1536
	v_fmac_f64_e32 v[196:197], v[184:185], v[8:9]
	v_fma_f64 v[182:183], v[182:183], v[8:9], -v[10:11]
	scratch_load_b128 v[8:11], off, off offset:704
	v_add_f64_e32 v[194:195], v[194:195], v[198:199]
	v_fmac_f64_e32 v[200:201], v[6:7], v[12:13]
	v_add_f64_e32 v[184:185], v[204:205], v[202:203]
	v_fma_f64 v[202:203], v[4:5], v[12:13], -v[14:15]
	ds_load_b128 v[4:7], v2 offset:1552
	s_wait_loadcnt_dscnt 0xa01
	v_mul_f64_e32 v[198:199], v[190:191], v[144:145]
	v_mul_f64_e32 v[144:145], v[192:193], v[144:145]
	scratch_load_b128 v[12:15], off, off offset:720
	v_add_f64_e32 v[194:195], v[194:195], v[196:197]
	s_wait_loadcnt_dscnt 0xa00
	v_mul_f64_e32 v[196:197], v[4:5], v[148:149]
	v_add_f64_e32 v[204:205], v[184:185], v[182:183]
	v_mul_f64_e32 v[148:149], v[6:7], v[148:149]
	ds_load_b128 v[182:185], v2 offset:1568
	v_fmac_f64_e32 v[198:199], v[192:193], v[142:143]
	v_fma_f64 v[190:191], v[190:191], v[142:143], -v[144:145]
	scratch_load_b128 v[142:145], off, off offset:736
	v_add_f64_e32 v[194:195], v[194:195], v[200:201]
	v_fmac_f64_e32 v[196:197], v[6:7], v[146:147]
	v_add_f64_e32 v[192:193], v[204:205], v[202:203]
	;; [unrolled: 18-line block ×9, first 2 shown]
	v_fma_f64 v[202:203], v[4:5], v[154:155], -v[156:157]
	ds_load_b128 v[4:7], v2 offset:1808
	s_wait_loadcnt_dscnt 0xa01
	v_mul_f64_e32 v[196:197], v[190:191], v[160:161]
	v_mul_f64_e32 v[160:161], v[192:193], v[160:161]
	scratch_load_b128 v[154:157], off, off offset:976
	v_add_f64_e32 v[194:195], v[194:195], v[200:201]
	s_wait_loadcnt_dscnt 0xa00
	v_mul_f64_e32 v[200:201], v[4:5], v[164:165]
	v_add_f64_e32 v[204:205], v[184:185], v[182:183]
	v_mul_f64_e32 v[164:165], v[6:7], v[164:165]
	ds_load_b128 v[182:185], v2 offset:1824
	v_fmac_f64_e32 v[196:197], v[192:193], v[158:159]
	v_fma_f64 v[158:159], v[190:191], v[158:159], -v[160:161]
	s_wait_loadcnt_dscnt 0x900
	v_mul_f64_e32 v[192:193], v[182:183], v[168:169]
	v_mul_f64_e32 v[168:169], v[184:185], v[168:169]
	v_add_f64_e32 v[190:191], v[194:195], v[198:199]
	v_fmac_f64_e32 v[200:201], v[6:7], v[162:163]
	v_add_f64_e32 v[160:161], v[204:205], v[202:203]
	v_fma_f64 v[162:163], v[4:5], v[162:163], -v[164:165]
	v_fmac_f64_e32 v[192:193], v[184:185], v[166:167]
	v_fma_f64 v[166:167], v[182:183], v[166:167], -v[168:169]
	v_add_f64_e32 v[190:191], v[190:191], v[196:197]
	v_add_f64_e32 v[164:165], v[160:161], v[158:159]
	ds_load_b128 v[4:7], v2 offset:1840
	ds_load_b128 v[158:161], v2 offset:1856
	s_wait_loadcnt_dscnt 0x801
	v_mul_f64_e32 v[194:195], v[4:5], v[176:177]
	v_mul_f64_e32 v[176:177], v[6:7], v[176:177]
	s_wait_loadcnt_dscnt 0x700
	v_mul_f64_e32 v[168:169], v[158:159], v[188:189]
	v_mul_f64_e32 v[182:183], v[160:161], v[188:189]
	v_add_f64_e32 v[162:163], v[164:165], v[162:163]
	v_add_f64_e32 v[164:165], v[190:191], v[200:201]
	v_fmac_f64_e32 v[194:195], v[6:7], v[174:175]
	v_fma_f64 v[174:175], v[4:5], v[174:175], -v[176:177]
	v_fmac_f64_e32 v[168:169], v[160:161], v[186:187]
	v_fma_f64 v[158:159], v[158:159], v[186:187], -v[182:183]
	v_add_f64_e32 v[166:167], v[162:163], v[166:167]
	v_add_f64_e32 v[176:177], v[164:165], v[192:193]
	ds_load_b128 v[4:7], v2 offset:1872
	ds_load_b128 v[162:165], v2 offset:1888
	s_wait_loadcnt_dscnt 0x601
	v_mul_f64_e32 v[184:185], v[4:5], v[172:173]
	v_mul_f64_e32 v[172:173], v[6:7], v[172:173]
	v_add_f64_e32 v[160:161], v[166:167], v[174:175]
	v_add_f64_e32 v[166:167], v[176:177], v[194:195]
	s_wait_loadcnt_dscnt 0x500
	v_mul_f64_e32 v[174:175], v[162:163], v[10:11]
	v_mul_f64_e32 v[10:11], v[164:165], v[10:11]
	v_fmac_f64_e32 v[184:185], v[6:7], v[170:171]
	v_fma_f64 v[170:171], v[4:5], v[170:171], -v[172:173]
	v_add_f64_e32 v[172:173], v[160:161], v[158:159]
	v_add_f64_e32 v[166:167], v[166:167], v[168:169]
	ds_load_b128 v[4:7], v2 offset:1904
	ds_load_b128 v[158:161], v2 offset:1920
	v_fmac_f64_e32 v[174:175], v[164:165], v[8:9]
	v_fma_f64 v[8:9], v[162:163], v[8:9], -v[10:11]
	s_wait_loadcnt_dscnt 0x401
	v_mul_f64_e32 v[168:169], v[4:5], v[14:15]
	v_mul_f64_e32 v[14:15], v[6:7], v[14:15]
	s_wait_loadcnt_dscnt 0x300
	v_mul_f64_e32 v[164:165], v[158:159], v[144:145]
	v_mul_f64_e32 v[144:145], v[160:161], v[144:145]
	v_add_f64_e32 v[10:11], v[172:173], v[170:171]
	v_add_f64_e32 v[162:163], v[166:167], v[184:185]
	v_fmac_f64_e32 v[168:169], v[6:7], v[12:13]
	v_fma_f64 v[12:13], v[4:5], v[12:13], -v[14:15]
	v_fmac_f64_e32 v[164:165], v[160:161], v[142:143]
	v_fma_f64 v[142:143], v[158:159], v[142:143], -v[144:145]
	v_add_f64_e32 v[14:15], v[10:11], v[8:9]
	v_add_f64_e32 v[162:163], v[162:163], v[174:175]
	ds_load_b128 v[4:7], v2 offset:1936
	ds_load_b128 v[8:11], v2 offset:1952
	s_wait_loadcnt_dscnt 0x201
	v_mul_f64_e32 v[166:167], v[4:5], v[148:149]
	v_mul_f64_e32 v[148:149], v[6:7], v[148:149]
	s_wait_loadcnt_dscnt 0x100
	v_mul_f64_e32 v[144:145], v[8:9], v[152:153]
	v_mul_f64_e32 v[152:153], v[10:11], v[152:153]
	v_add_f64_e32 v[12:13], v[14:15], v[12:13]
	v_add_f64_e32 v[14:15], v[162:163], v[168:169]
	v_fmac_f64_e32 v[166:167], v[6:7], v[146:147]
	v_fma_f64 v[146:147], v[4:5], v[146:147], -v[148:149]
	ds_load_b128 v[4:7], v2 offset:1968
	v_fmac_f64_e32 v[144:145], v[10:11], v[150:151]
	v_fma_f64 v[8:9], v[8:9], v[150:151], -v[152:153]
	v_add_f64_e32 v[12:13], v[12:13], v[142:143]
	v_add_f64_e32 v[14:15], v[14:15], v[164:165]
	s_wait_loadcnt_dscnt 0x0
	v_mul_f64_e32 v[142:143], v[4:5], v[156:157]
	v_mul_f64_e32 v[148:149], v[6:7], v[156:157]
	s_delay_alu instid0(VALU_DEP_4) | instskip(NEXT) | instid1(VALU_DEP_4)
	v_add_f64_e32 v[10:11], v[12:13], v[146:147]
	v_add_f64_e32 v[12:13], v[14:15], v[166:167]
	s_delay_alu instid0(VALU_DEP_4) | instskip(NEXT) | instid1(VALU_DEP_4)
	v_fmac_f64_e32 v[142:143], v[6:7], v[154:155]
	v_fma_f64 v[4:5], v[4:5], v[154:155], -v[148:149]
	s_delay_alu instid0(VALU_DEP_4) | instskip(NEXT) | instid1(VALU_DEP_4)
	v_add_f64_e32 v[6:7], v[10:11], v[8:9]
	v_add_f64_e32 v[8:9], v[12:13], v[144:145]
	s_delay_alu instid0(VALU_DEP_2) | instskip(NEXT) | instid1(VALU_DEP_2)
	v_add_f64_e32 v[4:5], v[6:7], v[4:5]
	v_add_f64_e32 v[6:7], v[8:9], v[142:143]
	s_delay_alu instid0(VALU_DEP_2) | instskip(NEXT) | instid1(VALU_DEP_2)
	v_add_f64_e64 v[4:5], v[178:179], -v[4:5]
	v_add_f64_e64 v[6:7], v[180:181], -v[6:7]
	scratch_store_b128 off, v[4:7], off offset:288
	s_wait_xcnt 0x0
	v_cmpx_lt_u32_e32 17, v1
	s_cbranch_execz .LBB125_363
; %bb.362:
	scratch_load_b128 v[6:9], off, s63
	v_dual_mov_b32 v3, v2 :: v_dual_mov_b32 v4, v2
	v_mov_b32_e32 v5, v2
	scratch_store_b128 off, v[2:5], off offset:272
	s_wait_loadcnt 0x0
	ds_store_b128 v16, v[6:9]
.LBB125_363:
	s_wait_xcnt 0x0
	s_or_b32 exec_lo, exec_lo, s2
	s_wait_storecnt_dscnt 0x0
	s_barrier_signal -1
	s_barrier_wait -1
	s_clause 0x9
	scratch_load_b128 v[4:7], off, off offset:288
	scratch_load_b128 v[8:11], off, off offset:304
	scratch_load_b128 v[12:15], off, off offset:320
	scratch_load_b128 v[142:145], off, off offset:336
	scratch_load_b128 v[146:149], off, off offset:352
	scratch_load_b128 v[150:153], off, off offset:368
	scratch_load_b128 v[154:157], off, off offset:384
	scratch_load_b128 v[158:161], off, off offset:400
	scratch_load_b128 v[162:165], off, off offset:416
	scratch_load_b128 v[166:169], off, off offset:432
	ds_load_b128 v[170:173], v2 offset:1280
	ds_load_b128 v[178:181], v2 offset:1296
	s_clause 0x2
	scratch_load_b128 v[174:177], off, off offset:448
	scratch_load_b128 v[182:185], off, off offset:272
	;; [unrolled: 1-line block ×3, first 2 shown]
	s_mov_b32 s2, exec_lo
	s_wait_loadcnt_dscnt 0xc01
	v_mul_f64_e32 v[190:191], v[172:173], v[6:7]
	v_mul_f64_e32 v[194:195], v[170:171], v[6:7]
	s_wait_loadcnt_dscnt 0xb00
	v_mul_f64_e32 v[196:197], v[178:179], v[10:11]
	v_mul_f64_e32 v[10:11], v[180:181], v[10:11]
	s_delay_alu instid0(VALU_DEP_4) | instskip(NEXT) | instid1(VALU_DEP_4)
	v_fma_f64 v[198:199], v[170:171], v[4:5], -v[190:191]
	v_fmac_f64_e32 v[194:195], v[172:173], v[4:5]
	ds_load_b128 v[4:7], v2 offset:1312
	ds_load_b128 v[170:173], v2 offset:1328
	scratch_load_b128 v[190:193], off, off offset:480
	v_fmac_f64_e32 v[196:197], v[180:181], v[8:9]
	v_fma_f64 v[178:179], v[178:179], v[8:9], -v[10:11]
	scratch_load_b128 v[8:11], off, off offset:496
	s_wait_loadcnt_dscnt 0xc01
	v_mul_f64_e32 v[200:201], v[4:5], v[14:15]
	v_mul_f64_e32 v[14:15], v[6:7], v[14:15]
	v_add_f64_e32 v[180:181], 0, v[198:199]
	v_add_f64_e32 v[194:195], 0, v[194:195]
	s_wait_loadcnt_dscnt 0xb00
	v_mul_f64_e32 v[198:199], v[170:171], v[144:145]
	v_mul_f64_e32 v[144:145], v[172:173], v[144:145]
	v_fmac_f64_e32 v[200:201], v[6:7], v[12:13]
	v_fma_f64 v[202:203], v[4:5], v[12:13], -v[14:15]
	ds_load_b128 v[4:7], v2 offset:1344
	ds_load_b128 v[12:15], v2 offset:1360
	v_add_f64_e32 v[204:205], v[180:181], v[178:179]
	v_add_f64_e32 v[194:195], v[194:195], v[196:197]
	scratch_load_b128 v[178:181], off, off offset:512
	v_fmac_f64_e32 v[198:199], v[172:173], v[142:143]
	v_fma_f64 v[170:171], v[170:171], v[142:143], -v[144:145]
	scratch_load_b128 v[142:145], off, off offset:528
	s_wait_loadcnt_dscnt 0xc01
	v_mul_f64_e32 v[196:197], v[4:5], v[148:149]
	v_mul_f64_e32 v[148:149], v[6:7], v[148:149]
	v_add_f64_e32 v[172:173], v[204:205], v[202:203]
	v_add_f64_e32 v[194:195], v[194:195], v[200:201]
	s_wait_loadcnt_dscnt 0xb00
	v_mul_f64_e32 v[200:201], v[12:13], v[152:153]
	v_mul_f64_e32 v[152:153], v[14:15], v[152:153]
	v_fmac_f64_e32 v[196:197], v[6:7], v[146:147]
	v_fma_f64 v[202:203], v[4:5], v[146:147], -v[148:149]
	ds_load_b128 v[4:7], v2 offset:1376
	ds_load_b128 v[146:149], v2 offset:1392
	v_add_f64_e32 v[204:205], v[172:173], v[170:171]
	v_add_f64_e32 v[194:195], v[194:195], v[198:199]
	scratch_load_b128 v[170:173], off, off offset:544
	s_wait_loadcnt_dscnt 0xb01
	v_mul_f64_e32 v[198:199], v[4:5], v[156:157]
	v_mul_f64_e32 v[156:157], v[6:7], v[156:157]
	v_fmac_f64_e32 v[200:201], v[14:15], v[150:151]
	v_fma_f64 v[150:151], v[12:13], v[150:151], -v[152:153]
	scratch_load_b128 v[12:15], off, off offset:560
	v_add_f64_e32 v[152:153], v[204:205], v[202:203]
	v_add_f64_e32 v[194:195], v[194:195], v[196:197]
	s_wait_loadcnt_dscnt 0xb00
	v_mul_f64_e32 v[196:197], v[146:147], v[160:161]
	v_mul_f64_e32 v[160:161], v[148:149], v[160:161]
	v_fmac_f64_e32 v[198:199], v[6:7], v[154:155]
	v_fma_f64 v[202:203], v[4:5], v[154:155], -v[156:157]
	v_add_f64_e32 v[204:205], v[152:153], v[150:151]
	v_add_f64_e32 v[194:195], v[194:195], v[200:201]
	ds_load_b128 v[4:7], v2 offset:1408
	ds_load_b128 v[150:153], v2 offset:1424
	scratch_load_b128 v[154:157], off, off offset:576
	v_fmac_f64_e32 v[196:197], v[148:149], v[158:159]
	v_fma_f64 v[158:159], v[146:147], v[158:159], -v[160:161]
	scratch_load_b128 v[146:149], off, off offset:592
	s_wait_loadcnt_dscnt 0xc01
	v_mul_f64_e32 v[200:201], v[4:5], v[164:165]
	v_mul_f64_e32 v[164:165], v[6:7], v[164:165]
	v_add_f64_e32 v[160:161], v[204:205], v[202:203]
	v_add_f64_e32 v[194:195], v[194:195], v[198:199]
	s_wait_loadcnt_dscnt 0xb00
	v_mul_f64_e32 v[198:199], v[150:151], v[168:169]
	v_mul_f64_e32 v[168:169], v[152:153], v[168:169]
	v_fmac_f64_e32 v[200:201], v[6:7], v[162:163]
	v_fma_f64 v[202:203], v[4:5], v[162:163], -v[164:165]
	v_add_f64_e32 v[204:205], v[160:161], v[158:159]
	v_add_f64_e32 v[194:195], v[194:195], v[196:197]
	ds_load_b128 v[4:7], v2 offset:1440
	ds_load_b128 v[158:161], v2 offset:1456
	scratch_load_b128 v[162:165], off, off offset:608
	v_fmac_f64_e32 v[198:199], v[152:153], v[166:167]
	v_fma_f64 v[166:167], v[150:151], v[166:167], -v[168:169]
	scratch_load_b128 v[150:153], off, off offset:624
	s_wait_loadcnt_dscnt 0xc01
	v_mul_f64_e32 v[196:197], v[4:5], v[176:177]
	v_mul_f64_e32 v[176:177], v[6:7], v[176:177]
	;; [unrolled: 18-line block ×5, first 2 shown]
	v_add_f64_e32 v[188:189], v[204:205], v[202:203]
	v_add_f64_e32 v[194:195], v[194:195], v[200:201]
	s_wait_loadcnt_dscnt 0xa00
	v_mul_f64_e32 v[200:201], v[166:167], v[14:15]
	v_mul_f64_e32 v[14:15], v[168:169], v[14:15]
	v_fmac_f64_e32 v[196:197], v[6:7], v[170:171]
	v_fma_f64 v[202:203], v[4:5], v[170:171], -v[172:173]
	ds_load_b128 v[4:7], v2 offset:1568
	ds_load_b128 v[170:173], v2 offset:1584
	v_add_f64_e32 v[204:205], v[188:189], v[186:187]
	v_add_f64_e32 v[194:195], v[194:195], v[198:199]
	scratch_load_b128 v[186:189], off, off offset:736
	v_fmac_f64_e32 v[200:201], v[168:169], v[12:13]
	v_fma_f64 v[166:167], v[166:167], v[12:13], -v[14:15]
	scratch_load_b128 v[12:15], off, off offset:752
	s_wait_loadcnt_dscnt 0xb01
	v_mul_f64_e32 v[198:199], v[4:5], v[156:157]
	v_mul_f64_e32 v[156:157], v[6:7], v[156:157]
	v_add_f64_e32 v[168:169], v[204:205], v[202:203]
	v_add_f64_e32 v[194:195], v[194:195], v[196:197]
	s_wait_loadcnt_dscnt 0xa00
	v_mul_f64_e32 v[196:197], v[170:171], v[148:149]
	v_mul_f64_e32 v[148:149], v[172:173], v[148:149]
	v_fmac_f64_e32 v[198:199], v[6:7], v[154:155]
	v_fma_f64 v[202:203], v[4:5], v[154:155], -v[156:157]
	ds_load_b128 v[4:7], v2 offset:1600
	ds_load_b128 v[154:157], v2 offset:1616
	v_add_f64_e32 v[204:205], v[168:169], v[166:167]
	v_add_f64_e32 v[194:195], v[194:195], v[200:201]
	scratch_load_b128 v[166:169], off, off offset:768
	s_wait_loadcnt_dscnt 0xa01
	v_mul_f64_e32 v[200:201], v[4:5], v[164:165]
	v_mul_f64_e32 v[164:165], v[6:7], v[164:165]
	v_fmac_f64_e32 v[196:197], v[172:173], v[146:147]
	v_fma_f64 v[170:171], v[170:171], v[146:147], -v[148:149]
	scratch_load_b128 v[146:149], off, off offset:784
	v_add_f64_e32 v[172:173], v[204:205], v[202:203]
	v_add_f64_e32 v[194:195], v[194:195], v[198:199]
	s_wait_loadcnt_dscnt 0xa00
	v_mul_f64_e32 v[198:199], v[154:155], v[152:153]
	v_mul_f64_e32 v[152:153], v[156:157], v[152:153]
	v_fmac_f64_e32 v[200:201], v[6:7], v[162:163]
	v_fma_f64 v[202:203], v[4:5], v[162:163], -v[164:165]
	ds_load_b128 v[4:7], v2 offset:1632
	ds_load_b128 v[162:165], v2 offset:1648
	v_add_f64_e32 v[204:205], v[172:173], v[170:171]
	v_add_f64_e32 v[194:195], v[194:195], v[196:197]
	scratch_load_b128 v[170:173], off, off offset:800
	s_wait_loadcnt_dscnt 0xa01
	v_mul_f64_e32 v[196:197], v[4:5], v[176:177]
	v_mul_f64_e32 v[176:177], v[6:7], v[176:177]
	v_fmac_f64_e32 v[198:199], v[156:157], v[150:151]
	v_fma_f64 v[154:155], v[154:155], v[150:151], -v[152:153]
	scratch_load_b128 v[150:153], off, off offset:816
	v_add_f64_e32 v[156:157], v[204:205], v[202:203]
	v_add_f64_e32 v[194:195], v[194:195], v[200:201]
	s_wait_loadcnt_dscnt 0xa00
	v_mul_f64_e32 v[200:201], v[162:163], v[160:161]
	v_mul_f64_e32 v[160:161], v[164:165], v[160:161]
	v_fmac_f64_e32 v[196:197], v[6:7], v[174:175]
	v_fma_f64 v[202:203], v[4:5], v[174:175], -v[176:177]
	v_add_f64_e32 v[204:205], v[156:157], v[154:155]
	v_add_f64_e32 v[194:195], v[194:195], v[198:199]
	ds_load_b128 v[4:7], v2 offset:1664
	ds_load_b128 v[154:157], v2 offset:1680
	scratch_load_b128 v[174:177], off, off offset:832
	v_fmac_f64_e32 v[200:201], v[164:165], v[158:159]
	v_fma_f64 v[162:163], v[162:163], v[158:159], -v[160:161]
	scratch_load_b128 v[158:161], off, off offset:848
	s_wait_loadcnt_dscnt 0xb01
	v_mul_f64_e32 v[198:199], v[4:5], v[192:193]
	v_mul_f64_e32 v[192:193], v[6:7], v[192:193]
	v_add_f64_e32 v[164:165], v[204:205], v[202:203]
	v_add_f64_e32 v[194:195], v[194:195], v[196:197]
	s_wait_loadcnt_dscnt 0xa00
	v_mul_f64_e32 v[196:197], v[154:155], v[10:11]
	v_mul_f64_e32 v[10:11], v[156:157], v[10:11]
	v_fmac_f64_e32 v[198:199], v[6:7], v[190:191]
	v_fma_f64 v[202:203], v[4:5], v[190:191], -v[192:193]
	v_add_f64_e32 v[204:205], v[164:165], v[162:163]
	v_add_f64_e32 v[194:195], v[194:195], v[200:201]
	ds_load_b128 v[4:7], v2 offset:1696
	ds_load_b128 v[162:165], v2 offset:1712
	scratch_load_b128 v[190:193], off, off offset:864
	v_fmac_f64_e32 v[196:197], v[156:157], v[8:9]
	v_fma_f64 v[154:155], v[154:155], v[8:9], -v[10:11]
	scratch_load_b128 v[8:11], off, off offset:880
	s_wait_loadcnt_dscnt 0xb01
	v_mul_f64_e32 v[200:201], v[4:5], v[180:181]
	v_mul_f64_e32 v[180:181], v[6:7], v[180:181]
	;; [unrolled: 18-line block ×5, first 2 shown]
	v_add_f64_e32 v[164:165], v[204:205], v[202:203]
	v_add_f64_e32 v[194:195], v[194:195], v[198:199]
	s_wait_loadcnt_dscnt 0xa00
	v_mul_f64_e32 v[198:199], v[154:155], v[152:153]
	v_mul_f64_e32 v[152:153], v[156:157], v[152:153]
	v_fmac_f64_e32 v[200:201], v[6:7], v[170:171]
	v_fma_f64 v[170:171], v[4:5], v[170:171], -v[172:173]
	v_add_f64_e32 v[172:173], v[164:165], v[162:163]
	v_add_f64_e32 v[194:195], v[194:195], v[196:197]
	ds_load_b128 v[4:7], v2 offset:1824
	ds_load_b128 v[162:165], v2 offset:1840
	v_fmac_f64_e32 v[198:199], v[156:157], v[150:151]
	v_fma_f64 v[150:151], v[154:155], v[150:151], -v[152:153]
	s_wait_loadcnt_dscnt 0x901
	v_mul_f64_e32 v[196:197], v[4:5], v[176:177]
	v_mul_f64_e32 v[176:177], v[6:7], v[176:177]
	s_wait_loadcnt_dscnt 0x800
	v_mul_f64_e32 v[156:157], v[162:163], v[160:161]
	v_mul_f64_e32 v[160:161], v[164:165], v[160:161]
	v_add_f64_e32 v[152:153], v[172:173], v[170:171]
	v_add_f64_e32 v[154:155], v[194:195], v[200:201]
	v_fmac_f64_e32 v[196:197], v[6:7], v[174:175]
	v_fma_f64 v[170:171], v[4:5], v[174:175], -v[176:177]
	v_fmac_f64_e32 v[156:157], v[164:165], v[158:159]
	v_fma_f64 v[158:159], v[162:163], v[158:159], -v[160:161]
	v_add_f64_e32 v[172:173], v[152:153], v[150:151]
	v_add_f64_e32 v[154:155], v[154:155], v[198:199]
	ds_load_b128 v[4:7], v2 offset:1856
	ds_load_b128 v[150:153], v2 offset:1872
	s_wait_loadcnt_dscnt 0x701
	v_mul_f64_e32 v[174:175], v[4:5], v[192:193]
	v_mul_f64_e32 v[176:177], v[6:7], v[192:193]
	s_wait_loadcnt_dscnt 0x600
	v_mul_f64_e32 v[162:163], v[150:151], v[10:11]
	v_mul_f64_e32 v[10:11], v[152:153], v[10:11]
	v_add_f64_e32 v[160:161], v[172:173], v[170:171]
	v_add_f64_e32 v[154:155], v[154:155], v[196:197]
	v_fmac_f64_e32 v[174:175], v[6:7], v[190:191]
	v_fma_f64 v[164:165], v[4:5], v[190:191], -v[176:177]
	v_fmac_f64_e32 v[162:163], v[152:153], v[8:9]
	v_fma_f64 v[8:9], v[150:151], v[8:9], -v[10:11]
	v_add_f64_e32 v[158:159], v[160:161], v[158:159]
	v_add_f64_e32 v[160:161], v[154:155], v[156:157]
	ds_load_b128 v[4:7], v2 offset:1888
	ds_load_b128 v[154:157], v2 offset:1904
	;; [unrolled: 16-line block ×4, first 2 shown]
	s_wait_loadcnt_dscnt 0x101
	v_mul_f64_e32 v[2:3], v[4:5], v[168:169]
	v_mul_f64_e32 v[152:153], v[6:7], v[168:169]
	s_wait_loadcnt_dscnt 0x0
	v_mul_f64_e32 v[14:15], v[142:143], v[148:149]
	v_mul_f64_e32 v[148:149], v[144:145], v[148:149]
	v_add_f64_e32 v[10:11], v[158:159], v[156:157]
	v_add_f64_e32 v[12:13], v[150:151], v[162:163]
	v_fmac_f64_e32 v[2:3], v[6:7], v[166:167]
	v_fma_f64 v[4:5], v[4:5], v[166:167], -v[152:153]
	v_fmac_f64_e32 v[14:15], v[144:145], v[146:147]
	v_add_f64_e32 v[6:7], v[10:11], v[8:9]
	v_add_f64_e32 v[8:9], v[12:13], v[154:155]
	v_fma_f64 v[10:11], v[142:143], v[146:147], -v[148:149]
	s_delay_alu instid0(VALU_DEP_3) | instskip(NEXT) | instid1(VALU_DEP_3)
	v_add_f64_e32 v[4:5], v[6:7], v[4:5]
	v_add_f64_e32 v[2:3], v[8:9], v[2:3]
	s_delay_alu instid0(VALU_DEP_2) | instskip(NEXT) | instid1(VALU_DEP_2)
	v_add_f64_e32 v[4:5], v[4:5], v[10:11]
	v_add_f64_e32 v[6:7], v[2:3], v[14:15]
	s_delay_alu instid0(VALU_DEP_2) | instskip(NEXT) | instid1(VALU_DEP_2)
	v_add_f64_e64 v[2:3], v[182:183], -v[4:5]
	v_add_f64_e64 v[4:5], v[184:185], -v[6:7]
	scratch_store_b128 off, v[2:5], off offset:272
	s_wait_xcnt 0x0
	v_cmpx_lt_u32_e32 16, v1
	s_cbranch_execz .LBB125_365
; %bb.364:
	scratch_load_b128 v[2:5], off, s64
	v_mov_b32_e32 v6, 0
	s_delay_alu instid0(VALU_DEP_1)
	v_dual_mov_b32 v7, v6 :: v_dual_mov_b32 v8, v6
	v_mov_b32_e32 v9, v6
	scratch_store_b128 off, v[6:9], off offset:256
	s_wait_loadcnt 0x0
	ds_store_b128 v16, v[2:5]
.LBB125_365:
	s_wait_xcnt 0x0
	s_or_b32 exec_lo, exec_lo, s2
	s_wait_storecnt_dscnt 0x0
	s_barrier_signal -1
	s_barrier_wait -1
	s_clause 0x9
	scratch_load_b128 v[4:7], off, off offset:272
	scratch_load_b128 v[8:11], off, off offset:288
	;; [unrolled: 1-line block ×10, first 2 shown]
	v_mov_b32_e32 v2, 0
	s_mov_b32 s2, exec_lo
	ds_load_b128 v[170:173], v2 offset:1264
	s_clause 0x2
	scratch_load_b128 v[174:177], off, off offset:432
	scratch_load_b128 v[178:181], off, off offset:256
	;; [unrolled: 1-line block ×3, first 2 shown]
	s_wait_loadcnt_dscnt 0xc00
	v_mul_f64_e32 v[190:191], v[172:173], v[6:7]
	v_mul_f64_e32 v[194:195], v[170:171], v[6:7]
	ds_load_b128 v[182:185], v2 offset:1280
	v_fma_f64 v[198:199], v[170:171], v[4:5], -v[190:191]
	v_fmac_f64_e32 v[194:195], v[172:173], v[4:5]
	ds_load_b128 v[4:7], v2 offset:1296
	s_wait_loadcnt_dscnt 0xb01
	v_mul_f64_e32 v[196:197], v[182:183], v[10:11]
	v_mul_f64_e32 v[10:11], v[184:185], v[10:11]
	scratch_load_b128 v[170:173], off, off offset:464
	ds_load_b128 v[190:193], v2 offset:1312
	s_wait_loadcnt_dscnt 0xb01
	v_mul_f64_e32 v[200:201], v[4:5], v[14:15]
	v_mul_f64_e32 v[14:15], v[6:7], v[14:15]
	v_add_f64_e32 v[194:195], 0, v[194:195]
	v_fmac_f64_e32 v[196:197], v[184:185], v[8:9]
	v_fma_f64 v[182:183], v[182:183], v[8:9], -v[10:11]
	v_add_f64_e32 v[184:185], 0, v[198:199]
	scratch_load_b128 v[8:11], off, off offset:480
	v_fmac_f64_e32 v[200:201], v[6:7], v[12:13]
	v_fma_f64 v[202:203], v[4:5], v[12:13], -v[14:15]
	ds_load_b128 v[4:7], v2 offset:1328
	s_wait_loadcnt_dscnt 0xb01
	v_mul_f64_e32 v[198:199], v[190:191], v[144:145]
	v_mul_f64_e32 v[144:145], v[192:193], v[144:145]
	scratch_load_b128 v[12:15], off, off offset:496
	v_add_f64_e32 v[194:195], v[194:195], v[196:197]
	v_add_f64_e32 v[204:205], v[184:185], v[182:183]
	ds_load_b128 v[182:185], v2 offset:1344
	s_wait_loadcnt_dscnt 0xb01
	v_mul_f64_e32 v[196:197], v[4:5], v[148:149]
	v_mul_f64_e32 v[148:149], v[6:7], v[148:149]
	v_fmac_f64_e32 v[198:199], v[192:193], v[142:143]
	v_fma_f64 v[190:191], v[190:191], v[142:143], -v[144:145]
	scratch_load_b128 v[142:145], off, off offset:512
	v_add_f64_e32 v[194:195], v[194:195], v[200:201]
	v_add_f64_e32 v[192:193], v[204:205], v[202:203]
	v_fmac_f64_e32 v[196:197], v[6:7], v[146:147]
	v_fma_f64 v[202:203], v[4:5], v[146:147], -v[148:149]
	ds_load_b128 v[4:7], v2 offset:1360
	s_wait_loadcnt_dscnt 0xb01
	v_mul_f64_e32 v[200:201], v[182:183], v[152:153]
	v_mul_f64_e32 v[152:153], v[184:185], v[152:153]
	scratch_load_b128 v[146:149], off, off offset:528
	v_add_f64_e32 v[194:195], v[194:195], v[198:199]
	s_wait_loadcnt_dscnt 0xb00
	v_mul_f64_e32 v[198:199], v[4:5], v[156:157]
	v_add_f64_e32 v[204:205], v[192:193], v[190:191]
	v_mul_f64_e32 v[156:157], v[6:7], v[156:157]
	ds_load_b128 v[190:193], v2 offset:1376
	v_fmac_f64_e32 v[200:201], v[184:185], v[150:151]
	v_fma_f64 v[182:183], v[182:183], v[150:151], -v[152:153]
	scratch_load_b128 v[150:153], off, off offset:544
	v_add_f64_e32 v[194:195], v[194:195], v[196:197]
	v_fmac_f64_e32 v[198:199], v[6:7], v[154:155]
	v_add_f64_e32 v[184:185], v[204:205], v[202:203]
	v_fma_f64 v[202:203], v[4:5], v[154:155], -v[156:157]
	ds_load_b128 v[4:7], v2 offset:1392
	s_wait_loadcnt_dscnt 0xb01
	v_mul_f64_e32 v[196:197], v[190:191], v[160:161]
	v_mul_f64_e32 v[160:161], v[192:193], v[160:161]
	scratch_load_b128 v[154:157], off, off offset:560
	v_add_f64_e32 v[194:195], v[194:195], v[200:201]
	s_wait_loadcnt_dscnt 0xb00
	v_mul_f64_e32 v[200:201], v[4:5], v[164:165]
	v_add_f64_e32 v[204:205], v[184:185], v[182:183]
	v_mul_f64_e32 v[164:165], v[6:7], v[164:165]
	ds_load_b128 v[182:185], v2 offset:1408
	v_fmac_f64_e32 v[196:197], v[192:193], v[158:159]
	v_fma_f64 v[190:191], v[190:191], v[158:159], -v[160:161]
	scratch_load_b128 v[158:161], off, off offset:576
	v_add_f64_e32 v[194:195], v[194:195], v[198:199]
	v_fmac_f64_e32 v[200:201], v[6:7], v[162:163]
	v_add_f64_e32 v[192:193], v[204:205], v[202:203]
	;; [unrolled: 18-line block ×3, first 2 shown]
	v_fma_f64 v[202:203], v[4:5], v[174:175], -v[176:177]
	ds_load_b128 v[4:7], v2 offset:1456
	s_wait_loadcnt_dscnt 0xa01
	v_mul_f64_e32 v[200:201], v[190:191], v[188:189]
	v_mul_f64_e32 v[188:189], v[192:193], v[188:189]
	scratch_load_b128 v[174:177], off, off offset:624
	v_add_f64_e32 v[194:195], v[194:195], v[198:199]
	v_add_f64_e32 v[204:205], v[184:185], v[182:183]
	s_wait_loadcnt_dscnt 0xa00
	v_mul_f64_e32 v[198:199], v[4:5], v[172:173]
	v_mul_f64_e32 v[172:173], v[6:7], v[172:173]
	v_fmac_f64_e32 v[200:201], v[192:193], v[186:187]
	v_fma_f64 v[190:191], v[190:191], v[186:187], -v[188:189]
	ds_load_b128 v[182:185], v2 offset:1472
	scratch_load_b128 v[186:189], off, off offset:640
	v_add_f64_e32 v[194:195], v[194:195], v[196:197]
	v_add_f64_e32 v[192:193], v[204:205], v[202:203]
	v_fmac_f64_e32 v[198:199], v[6:7], v[170:171]
	v_fma_f64 v[202:203], v[4:5], v[170:171], -v[172:173]
	ds_load_b128 v[4:7], v2 offset:1488
	s_wait_loadcnt_dscnt 0xa01
	v_mul_f64_e32 v[196:197], v[182:183], v[10:11]
	v_mul_f64_e32 v[10:11], v[184:185], v[10:11]
	scratch_load_b128 v[170:173], off, off offset:656
	v_add_f64_e32 v[194:195], v[194:195], v[200:201]
	s_wait_loadcnt_dscnt 0xa00
	v_mul_f64_e32 v[200:201], v[4:5], v[14:15]
	v_add_f64_e32 v[204:205], v[192:193], v[190:191]
	v_mul_f64_e32 v[14:15], v[6:7], v[14:15]
	ds_load_b128 v[190:193], v2 offset:1504
	v_fmac_f64_e32 v[196:197], v[184:185], v[8:9]
	v_fma_f64 v[182:183], v[182:183], v[8:9], -v[10:11]
	scratch_load_b128 v[8:11], off, off offset:672
	v_add_f64_e32 v[194:195], v[194:195], v[198:199]
	v_fmac_f64_e32 v[200:201], v[6:7], v[12:13]
	v_add_f64_e32 v[184:185], v[204:205], v[202:203]
	v_fma_f64 v[202:203], v[4:5], v[12:13], -v[14:15]
	ds_load_b128 v[4:7], v2 offset:1520
	s_wait_loadcnt_dscnt 0xa01
	v_mul_f64_e32 v[198:199], v[190:191], v[144:145]
	v_mul_f64_e32 v[144:145], v[192:193], v[144:145]
	scratch_load_b128 v[12:15], off, off offset:688
	v_add_f64_e32 v[194:195], v[194:195], v[196:197]
	s_wait_loadcnt_dscnt 0xa00
	v_mul_f64_e32 v[196:197], v[4:5], v[148:149]
	v_add_f64_e32 v[204:205], v[184:185], v[182:183]
	v_mul_f64_e32 v[148:149], v[6:7], v[148:149]
	ds_load_b128 v[182:185], v2 offset:1536
	v_fmac_f64_e32 v[198:199], v[192:193], v[142:143]
	v_fma_f64 v[190:191], v[190:191], v[142:143], -v[144:145]
	scratch_load_b128 v[142:145], off, off offset:704
	v_add_f64_e32 v[194:195], v[194:195], v[200:201]
	v_fmac_f64_e32 v[196:197], v[6:7], v[146:147]
	v_add_f64_e32 v[192:193], v[204:205], v[202:203]
	;; [unrolled: 18-line block ×10, first 2 shown]
	v_fma_f64 v[202:203], v[4:5], v[162:163], -v[164:165]
	ds_load_b128 v[4:7], v2 offset:1808
	s_wait_loadcnt_dscnt 0xa01
	v_mul_f64_e32 v[198:199], v[182:183], v[168:169]
	v_mul_f64_e32 v[168:169], v[184:185], v[168:169]
	scratch_load_b128 v[162:165], off, off offset:976
	v_add_f64_e32 v[194:195], v[194:195], v[196:197]
	s_wait_loadcnt_dscnt 0xa00
	v_mul_f64_e32 v[196:197], v[4:5], v[176:177]
	v_add_f64_e32 v[204:205], v[192:193], v[190:191]
	v_mul_f64_e32 v[176:177], v[6:7], v[176:177]
	ds_load_b128 v[190:193], v2 offset:1824
	v_fmac_f64_e32 v[198:199], v[184:185], v[166:167]
	v_fma_f64 v[166:167], v[182:183], v[166:167], -v[168:169]
	s_wait_loadcnt_dscnt 0x900
	v_mul_f64_e32 v[184:185], v[190:191], v[188:189]
	v_mul_f64_e32 v[188:189], v[192:193], v[188:189]
	v_add_f64_e32 v[182:183], v[194:195], v[200:201]
	v_fmac_f64_e32 v[196:197], v[6:7], v[174:175]
	v_add_f64_e32 v[168:169], v[204:205], v[202:203]
	v_fma_f64 v[174:175], v[4:5], v[174:175], -v[176:177]
	v_fmac_f64_e32 v[184:185], v[192:193], v[186:187]
	v_fma_f64 v[186:187], v[190:191], v[186:187], -v[188:189]
	v_add_f64_e32 v[182:183], v[182:183], v[198:199]
	v_add_f64_e32 v[176:177], v[168:169], v[166:167]
	ds_load_b128 v[4:7], v2 offset:1840
	ds_load_b128 v[166:169], v2 offset:1856
	s_wait_loadcnt_dscnt 0x801
	v_mul_f64_e32 v[194:195], v[4:5], v[172:173]
	v_mul_f64_e32 v[172:173], v[6:7], v[172:173]
	v_add_f64_e32 v[174:175], v[176:177], v[174:175]
	v_add_f64_e32 v[176:177], v[182:183], v[196:197]
	s_wait_loadcnt_dscnt 0x700
	v_mul_f64_e32 v[182:183], v[166:167], v[10:11]
	v_mul_f64_e32 v[10:11], v[168:169], v[10:11]
	v_fmac_f64_e32 v[194:195], v[6:7], v[170:171]
	v_fma_f64 v[188:189], v[4:5], v[170:171], -v[172:173]
	ds_load_b128 v[4:7], v2 offset:1872
	ds_load_b128 v[170:173], v2 offset:1888
	v_add_f64_e32 v[174:175], v[174:175], v[186:187]
	v_add_f64_e32 v[176:177], v[176:177], v[184:185]
	v_fmac_f64_e32 v[182:183], v[168:169], v[8:9]
	v_fma_f64 v[8:9], v[166:167], v[8:9], -v[10:11]
	s_wait_loadcnt_dscnt 0x601
	v_mul_f64_e32 v[184:185], v[4:5], v[14:15]
	v_mul_f64_e32 v[14:15], v[6:7], v[14:15]
	s_wait_loadcnt_dscnt 0x500
	v_mul_f64_e32 v[168:169], v[170:171], v[144:145]
	v_mul_f64_e32 v[144:145], v[172:173], v[144:145]
	v_add_f64_e32 v[10:11], v[174:175], v[188:189]
	v_add_f64_e32 v[166:167], v[176:177], v[194:195]
	v_fmac_f64_e32 v[184:185], v[6:7], v[12:13]
	v_fma_f64 v[12:13], v[4:5], v[12:13], -v[14:15]
	v_fmac_f64_e32 v[168:169], v[172:173], v[142:143]
	v_fma_f64 v[142:143], v[170:171], v[142:143], -v[144:145]
	v_add_f64_e32 v[14:15], v[10:11], v[8:9]
	v_add_f64_e32 v[166:167], v[166:167], v[182:183]
	ds_load_b128 v[4:7], v2 offset:1904
	ds_load_b128 v[8:11], v2 offset:1920
	s_wait_loadcnt_dscnt 0x401
	v_mul_f64_e32 v[174:175], v[4:5], v[148:149]
	v_mul_f64_e32 v[148:149], v[6:7], v[148:149]
	s_wait_loadcnt_dscnt 0x300
	v_mul_f64_e32 v[144:145], v[8:9], v[152:153]
	v_mul_f64_e32 v[152:153], v[10:11], v[152:153]
	v_add_f64_e32 v[12:13], v[14:15], v[12:13]
	v_add_f64_e32 v[14:15], v[166:167], v[184:185]
	v_fmac_f64_e32 v[174:175], v[6:7], v[146:147]
	v_fma_f64 v[146:147], v[4:5], v[146:147], -v[148:149]
	v_fmac_f64_e32 v[144:145], v[10:11], v[150:151]
	v_fma_f64 v[8:9], v[8:9], v[150:151], -v[152:153]
	v_add_f64_e32 v[142:143], v[12:13], v[142:143]
	v_add_f64_e32 v[148:149], v[14:15], v[168:169]
	ds_load_b128 v[4:7], v2 offset:1936
	ds_load_b128 v[12:15], v2 offset:1952
	s_wait_loadcnt_dscnt 0x201
	v_mul_f64_e32 v[166:167], v[4:5], v[156:157]
	v_mul_f64_e32 v[156:157], v[6:7], v[156:157]
	v_add_f64_e32 v[10:11], v[142:143], v[146:147]
	v_add_f64_e32 v[142:143], v[148:149], v[174:175]
	s_wait_loadcnt_dscnt 0x100
	v_mul_f64_e32 v[146:147], v[12:13], v[160:161]
	v_mul_f64_e32 v[148:149], v[14:15], v[160:161]
	v_fmac_f64_e32 v[166:167], v[6:7], v[154:155]
	v_fma_f64 v[150:151], v[4:5], v[154:155], -v[156:157]
	ds_load_b128 v[4:7], v2 offset:1968
	v_add_f64_e32 v[8:9], v[10:11], v[8:9]
	v_add_f64_e32 v[10:11], v[142:143], v[144:145]
	v_fmac_f64_e32 v[146:147], v[14:15], v[158:159]
	v_fma_f64 v[12:13], v[12:13], v[158:159], -v[148:149]
	s_wait_loadcnt_dscnt 0x0
	v_mul_f64_e32 v[142:143], v[4:5], v[164:165]
	v_mul_f64_e32 v[144:145], v[6:7], v[164:165]
	v_add_f64_e32 v[8:9], v[8:9], v[150:151]
	v_add_f64_e32 v[10:11], v[10:11], v[166:167]
	s_delay_alu instid0(VALU_DEP_4) | instskip(NEXT) | instid1(VALU_DEP_4)
	v_fmac_f64_e32 v[142:143], v[6:7], v[162:163]
	v_fma_f64 v[4:5], v[4:5], v[162:163], -v[144:145]
	s_delay_alu instid0(VALU_DEP_4) | instskip(NEXT) | instid1(VALU_DEP_4)
	v_add_f64_e32 v[6:7], v[8:9], v[12:13]
	v_add_f64_e32 v[8:9], v[10:11], v[146:147]
	s_delay_alu instid0(VALU_DEP_2) | instskip(NEXT) | instid1(VALU_DEP_2)
	v_add_f64_e32 v[4:5], v[6:7], v[4:5]
	v_add_f64_e32 v[6:7], v[8:9], v[142:143]
	s_delay_alu instid0(VALU_DEP_2) | instskip(NEXT) | instid1(VALU_DEP_2)
	v_add_f64_e64 v[4:5], v[178:179], -v[4:5]
	v_add_f64_e64 v[6:7], v[180:181], -v[6:7]
	scratch_store_b128 off, v[4:7], off offset:256
	s_wait_xcnt 0x0
	v_cmpx_lt_u32_e32 15, v1
	s_cbranch_execz .LBB125_367
; %bb.366:
	scratch_load_b128 v[6:9], off, s65
	v_dual_mov_b32 v3, v2 :: v_dual_mov_b32 v4, v2
	v_mov_b32_e32 v5, v2
	scratch_store_b128 off, v[2:5], off offset:240
	s_wait_loadcnt 0x0
	ds_store_b128 v16, v[6:9]
.LBB125_367:
	s_wait_xcnt 0x0
	s_or_b32 exec_lo, exec_lo, s2
	s_wait_storecnt_dscnt 0x0
	s_barrier_signal -1
	s_barrier_wait -1
	s_clause 0x9
	scratch_load_b128 v[4:7], off, off offset:256
	scratch_load_b128 v[8:11], off, off offset:272
	;; [unrolled: 1-line block ×10, first 2 shown]
	ds_load_b128 v[170:173], v2 offset:1248
	ds_load_b128 v[178:181], v2 offset:1264
	s_clause 0x2
	scratch_load_b128 v[174:177], off, off offset:416
	scratch_load_b128 v[182:185], off, off offset:240
	;; [unrolled: 1-line block ×3, first 2 shown]
	s_mov_b32 s2, exec_lo
	s_wait_loadcnt_dscnt 0xc01
	v_mul_f64_e32 v[190:191], v[172:173], v[6:7]
	v_mul_f64_e32 v[194:195], v[170:171], v[6:7]
	s_wait_loadcnt_dscnt 0xb00
	v_mul_f64_e32 v[196:197], v[178:179], v[10:11]
	v_mul_f64_e32 v[10:11], v[180:181], v[10:11]
	s_delay_alu instid0(VALU_DEP_4) | instskip(NEXT) | instid1(VALU_DEP_4)
	v_fma_f64 v[198:199], v[170:171], v[4:5], -v[190:191]
	v_fmac_f64_e32 v[194:195], v[172:173], v[4:5]
	ds_load_b128 v[4:7], v2 offset:1280
	ds_load_b128 v[170:173], v2 offset:1296
	scratch_load_b128 v[190:193], off, off offset:448
	v_fmac_f64_e32 v[196:197], v[180:181], v[8:9]
	v_fma_f64 v[178:179], v[178:179], v[8:9], -v[10:11]
	scratch_load_b128 v[8:11], off, off offset:464
	s_wait_loadcnt_dscnt 0xc01
	v_mul_f64_e32 v[200:201], v[4:5], v[14:15]
	v_mul_f64_e32 v[14:15], v[6:7], v[14:15]
	v_add_f64_e32 v[180:181], 0, v[198:199]
	v_add_f64_e32 v[194:195], 0, v[194:195]
	s_wait_loadcnt_dscnt 0xb00
	v_mul_f64_e32 v[198:199], v[170:171], v[144:145]
	v_mul_f64_e32 v[144:145], v[172:173], v[144:145]
	v_fmac_f64_e32 v[200:201], v[6:7], v[12:13]
	v_fma_f64 v[202:203], v[4:5], v[12:13], -v[14:15]
	ds_load_b128 v[4:7], v2 offset:1312
	ds_load_b128 v[12:15], v2 offset:1328
	v_add_f64_e32 v[204:205], v[180:181], v[178:179]
	v_add_f64_e32 v[194:195], v[194:195], v[196:197]
	scratch_load_b128 v[178:181], off, off offset:480
	v_fmac_f64_e32 v[198:199], v[172:173], v[142:143]
	v_fma_f64 v[170:171], v[170:171], v[142:143], -v[144:145]
	scratch_load_b128 v[142:145], off, off offset:496
	s_wait_loadcnt_dscnt 0xc01
	v_mul_f64_e32 v[196:197], v[4:5], v[148:149]
	v_mul_f64_e32 v[148:149], v[6:7], v[148:149]
	v_add_f64_e32 v[172:173], v[204:205], v[202:203]
	v_add_f64_e32 v[194:195], v[194:195], v[200:201]
	s_wait_loadcnt_dscnt 0xb00
	v_mul_f64_e32 v[200:201], v[12:13], v[152:153]
	v_mul_f64_e32 v[152:153], v[14:15], v[152:153]
	v_fmac_f64_e32 v[196:197], v[6:7], v[146:147]
	v_fma_f64 v[202:203], v[4:5], v[146:147], -v[148:149]
	ds_load_b128 v[4:7], v2 offset:1344
	ds_load_b128 v[146:149], v2 offset:1360
	v_add_f64_e32 v[204:205], v[172:173], v[170:171]
	v_add_f64_e32 v[194:195], v[194:195], v[198:199]
	scratch_load_b128 v[170:173], off, off offset:512
	s_wait_loadcnt_dscnt 0xb01
	v_mul_f64_e32 v[198:199], v[4:5], v[156:157]
	v_mul_f64_e32 v[156:157], v[6:7], v[156:157]
	v_fmac_f64_e32 v[200:201], v[14:15], v[150:151]
	v_fma_f64 v[150:151], v[12:13], v[150:151], -v[152:153]
	scratch_load_b128 v[12:15], off, off offset:528
	v_add_f64_e32 v[152:153], v[204:205], v[202:203]
	v_add_f64_e32 v[194:195], v[194:195], v[196:197]
	s_wait_loadcnt_dscnt 0xb00
	v_mul_f64_e32 v[196:197], v[146:147], v[160:161]
	v_mul_f64_e32 v[160:161], v[148:149], v[160:161]
	v_fmac_f64_e32 v[198:199], v[6:7], v[154:155]
	v_fma_f64 v[202:203], v[4:5], v[154:155], -v[156:157]
	v_add_f64_e32 v[204:205], v[152:153], v[150:151]
	v_add_f64_e32 v[194:195], v[194:195], v[200:201]
	ds_load_b128 v[4:7], v2 offset:1376
	ds_load_b128 v[150:153], v2 offset:1392
	scratch_load_b128 v[154:157], off, off offset:544
	v_fmac_f64_e32 v[196:197], v[148:149], v[158:159]
	v_fma_f64 v[158:159], v[146:147], v[158:159], -v[160:161]
	scratch_load_b128 v[146:149], off, off offset:560
	s_wait_loadcnt_dscnt 0xc01
	v_mul_f64_e32 v[200:201], v[4:5], v[164:165]
	v_mul_f64_e32 v[164:165], v[6:7], v[164:165]
	v_add_f64_e32 v[160:161], v[204:205], v[202:203]
	v_add_f64_e32 v[194:195], v[194:195], v[198:199]
	s_wait_loadcnt_dscnt 0xb00
	v_mul_f64_e32 v[198:199], v[150:151], v[168:169]
	v_mul_f64_e32 v[168:169], v[152:153], v[168:169]
	v_fmac_f64_e32 v[200:201], v[6:7], v[162:163]
	v_fma_f64 v[202:203], v[4:5], v[162:163], -v[164:165]
	v_add_f64_e32 v[204:205], v[160:161], v[158:159]
	v_add_f64_e32 v[194:195], v[194:195], v[196:197]
	ds_load_b128 v[4:7], v2 offset:1408
	ds_load_b128 v[158:161], v2 offset:1424
	scratch_load_b128 v[162:165], off, off offset:576
	v_fmac_f64_e32 v[198:199], v[152:153], v[166:167]
	v_fma_f64 v[166:167], v[150:151], v[166:167], -v[168:169]
	scratch_load_b128 v[150:153], off, off offset:592
	s_wait_loadcnt_dscnt 0xc01
	v_mul_f64_e32 v[196:197], v[4:5], v[176:177]
	v_mul_f64_e32 v[176:177], v[6:7], v[176:177]
	v_add_f64_e32 v[168:169], v[204:205], v[202:203]
	v_add_f64_e32 v[194:195], v[194:195], v[200:201]
	s_wait_loadcnt_dscnt 0xa00
	v_mul_f64_e32 v[200:201], v[158:159], v[188:189]
	v_mul_f64_e32 v[188:189], v[160:161], v[188:189]
	v_fmac_f64_e32 v[196:197], v[6:7], v[174:175]
	v_fma_f64 v[202:203], v[4:5], v[174:175], -v[176:177]
	v_add_f64_e32 v[204:205], v[168:169], v[166:167]
	v_add_f64_e32 v[194:195], v[194:195], v[198:199]
	ds_load_b128 v[4:7], v2 offset:1440
	ds_load_b128 v[166:169], v2 offset:1456
	scratch_load_b128 v[174:177], off, off offset:608
	v_fmac_f64_e32 v[200:201], v[160:161], v[186:187]
	v_fma_f64 v[186:187], v[158:159], v[186:187], -v[188:189]
	scratch_load_b128 v[158:161], off, off offset:624
	s_wait_loadcnt_dscnt 0xb01
	v_mul_f64_e32 v[198:199], v[4:5], v[192:193]
	v_mul_f64_e32 v[192:193], v[6:7], v[192:193]
	v_add_f64_e32 v[188:189], v[204:205], v[202:203]
	v_add_f64_e32 v[194:195], v[194:195], v[196:197]
	s_wait_loadcnt_dscnt 0xa00
	v_mul_f64_e32 v[196:197], v[166:167], v[10:11]
	v_mul_f64_e32 v[10:11], v[168:169], v[10:11]
	v_fmac_f64_e32 v[198:199], v[6:7], v[190:191]
	v_fma_f64 v[202:203], v[4:5], v[190:191], -v[192:193]
	v_add_f64_e32 v[204:205], v[188:189], v[186:187]
	v_add_f64_e32 v[194:195], v[194:195], v[200:201]
	ds_load_b128 v[4:7], v2 offset:1472
	ds_load_b128 v[186:189], v2 offset:1488
	scratch_load_b128 v[190:193], off, off offset:640
	v_fmac_f64_e32 v[196:197], v[168:169], v[8:9]
	v_fma_f64 v[166:167], v[166:167], v[8:9], -v[10:11]
	scratch_load_b128 v[8:11], off, off offset:656
	s_wait_loadcnt_dscnt 0xb01
	v_mul_f64_e32 v[200:201], v[4:5], v[180:181]
	v_mul_f64_e32 v[180:181], v[6:7], v[180:181]
	v_add_f64_e32 v[168:169], v[204:205], v[202:203]
	v_add_f64_e32 v[194:195], v[194:195], v[198:199]
	s_wait_loadcnt_dscnt 0xa00
	v_mul_f64_e32 v[198:199], v[186:187], v[144:145]
	v_mul_f64_e32 v[144:145], v[188:189], v[144:145]
	v_fmac_f64_e32 v[200:201], v[6:7], v[178:179]
	v_fma_f64 v[202:203], v[4:5], v[178:179], -v[180:181]
	v_add_f64_e32 v[204:205], v[168:169], v[166:167]
	v_add_f64_e32 v[194:195], v[194:195], v[196:197]
	ds_load_b128 v[4:7], v2 offset:1504
	ds_load_b128 v[166:169], v2 offset:1520
	scratch_load_b128 v[178:181], off, off offset:672
	v_fmac_f64_e32 v[198:199], v[188:189], v[142:143]
	v_fma_f64 v[186:187], v[186:187], v[142:143], -v[144:145]
	scratch_load_b128 v[142:145], off, off offset:688
	s_wait_loadcnt_dscnt 0xb01
	v_mul_f64_e32 v[196:197], v[4:5], v[172:173]
	v_mul_f64_e32 v[172:173], v[6:7], v[172:173]
	v_add_f64_e32 v[188:189], v[204:205], v[202:203]
	v_add_f64_e32 v[194:195], v[194:195], v[200:201]
	s_wait_loadcnt_dscnt 0xa00
	v_mul_f64_e32 v[200:201], v[166:167], v[14:15]
	v_mul_f64_e32 v[14:15], v[168:169], v[14:15]
	v_fmac_f64_e32 v[196:197], v[6:7], v[170:171]
	v_fma_f64 v[202:203], v[4:5], v[170:171], -v[172:173]
	ds_load_b128 v[4:7], v2 offset:1536
	ds_load_b128 v[170:173], v2 offset:1552
	v_add_f64_e32 v[204:205], v[188:189], v[186:187]
	v_add_f64_e32 v[194:195], v[194:195], v[198:199]
	scratch_load_b128 v[186:189], off, off offset:704
	v_fmac_f64_e32 v[200:201], v[168:169], v[12:13]
	v_fma_f64 v[166:167], v[166:167], v[12:13], -v[14:15]
	scratch_load_b128 v[12:15], off, off offset:720
	s_wait_loadcnt_dscnt 0xb01
	v_mul_f64_e32 v[198:199], v[4:5], v[156:157]
	v_mul_f64_e32 v[156:157], v[6:7], v[156:157]
	v_add_f64_e32 v[168:169], v[204:205], v[202:203]
	v_add_f64_e32 v[194:195], v[194:195], v[196:197]
	s_wait_loadcnt_dscnt 0xa00
	v_mul_f64_e32 v[196:197], v[170:171], v[148:149]
	v_mul_f64_e32 v[148:149], v[172:173], v[148:149]
	v_fmac_f64_e32 v[198:199], v[6:7], v[154:155]
	v_fma_f64 v[202:203], v[4:5], v[154:155], -v[156:157]
	ds_load_b128 v[4:7], v2 offset:1568
	ds_load_b128 v[154:157], v2 offset:1584
	v_add_f64_e32 v[204:205], v[168:169], v[166:167]
	v_add_f64_e32 v[194:195], v[194:195], v[200:201]
	scratch_load_b128 v[166:169], off, off offset:736
	s_wait_loadcnt_dscnt 0xa01
	v_mul_f64_e32 v[200:201], v[4:5], v[164:165]
	v_mul_f64_e32 v[164:165], v[6:7], v[164:165]
	v_fmac_f64_e32 v[196:197], v[172:173], v[146:147]
	v_fma_f64 v[170:171], v[170:171], v[146:147], -v[148:149]
	scratch_load_b128 v[146:149], off, off offset:752
	v_add_f64_e32 v[172:173], v[204:205], v[202:203]
	v_add_f64_e32 v[194:195], v[194:195], v[198:199]
	s_wait_loadcnt_dscnt 0xa00
	v_mul_f64_e32 v[198:199], v[154:155], v[152:153]
	v_mul_f64_e32 v[152:153], v[156:157], v[152:153]
	v_fmac_f64_e32 v[200:201], v[6:7], v[162:163]
	v_fma_f64 v[202:203], v[4:5], v[162:163], -v[164:165]
	ds_load_b128 v[4:7], v2 offset:1600
	ds_load_b128 v[162:165], v2 offset:1616
	v_add_f64_e32 v[204:205], v[172:173], v[170:171]
	v_add_f64_e32 v[194:195], v[194:195], v[196:197]
	scratch_load_b128 v[170:173], off, off offset:768
	s_wait_loadcnt_dscnt 0xa01
	v_mul_f64_e32 v[196:197], v[4:5], v[176:177]
	v_mul_f64_e32 v[176:177], v[6:7], v[176:177]
	v_fmac_f64_e32 v[198:199], v[156:157], v[150:151]
	v_fma_f64 v[154:155], v[154:155], v[150:151], -v[152:153]
	scratch_load_b128 v[150:153], off, off offset:784
	v_add_f64_e32 v[156:157], v[204:205], v[202:203]
	v_add_f64_e32 v[194:195], v[194:195], v[200:201]
	s_wait_loadcnt_dscnt 0xa00
	v_mul_f64_e32 v[200:201], v[162:163], v[160:161]
	v_mul_f64_e32 v[160:161], v[164:165], v[160:161]
	v_fmac_f64_e32 v[196:197], v[6:7], v[174:175]
	v_fma_f64 v[202:203], v[4:5], v[174:175], -v[176:177]
	v_add_f64_e32 v[204:205], v[156:157], v[154:155]
	v_add_f64_e32 v[194:195], v[194:195], v[198:199]
	ds_load_b128 v[4:7], v2 offset:1632
	ds_load_b128 v[154:157], v2 offset:1648
	scratch_load_b128 v[174:177], off, off offset:800
	v_fmac_f64_e32 v[200:201], v[164:165], v[158:159]
	v_fma_f64 v[162:163], v[162:163], v[158:159], -v[160:161]
	scratch_load_b128 v[158:161], off, off offset:816
	s_wait_loadcnt_dscnt 0xb01
	v_mul_f64_e32 v[198:199], v[4:5], v[192:193]
	v_mul_f64_e32 v[192:193], v[6:7], v[192:193]
	v_add_f64_e32 v[164:165], v[204:205], v[202:203]
	v_add_f64_e32 v[194:195], v[194:195], v[196:197]
	s_wait_loadcnt_dscnt 0xa00
	v_mul_f64_e32 v[196:197], v[154:155], v[10:11]
	v_mul_f64_e32 v[10:11], v[156:157], v[10:11]
	v_fmac_f64_e32 v[198:199], v[6:7], v[190:191]
	v_fma_f64 v[202:203], v[4:5], v[190:191], -v[192:193]
	v_add_f64_e32 v[204:205], v[164:165], v[162:163]
	v_add_f64_e32 v[194:195], v[194:195], v[200:201]
	ds_load_b128 v[4:7], v2 offset:1664
	ds_load_b128 v[162:165], v2 offset:1680
	scratch_load_b128 v[190:193], off, off offset:832
	v_fmac_f64_e32 v[196:197], v[156:157], v[8:9]
	v_fma_f64 v[154:155], v[154:155], v[8:9], -v[10:11]
	scratch_load_b128 v[8:11], off, off offset:848
	s_wait_loadcnt_dscnt 0xb01
	v_mul_f64_e32 v[200:201], v[4:5], v[180:181]
	v_mul_f64_e32 v[180:181], v[6:7], v[180:181]
	v_add_f64_e32 v[156:157], v[204:205], v[202:203]
	v_add_f64_e32 v[194:195], v[194:195], v[198:199]
	s_wait_loadcnt_dscnt 0xa00
	v_mul_f64_e32 v[198:199], v[162:163], v[144:145]
	v_mul_f64_e32 v[144:145], v[164:165], v[144:145]
	v_fmac_f64_e32 v[200:201], v[6:7], v[178:179]
	v_fma_f64 v[202:203], v[4:5], v[178:179], -v[180:181]
	v_add_f64_e32 v[204:205], v[156:157], v[154:155]
	v_add_f64_e32 v[194:195], v[194:195], v[196:197]
	ds_load_b128 v[4:7], v2 offset:1696
	ds_load_b128 v[154:157], v2 offset:1712
	scratch_load_b128 v[178:181], off, off offset:864
	v_fmac_f64_e32 v[198:199], v[164:165], v[142:143]
	v_fma_f64 v[162:163], v[162:163], v[142:143], -v[144:145]
	scratch_load_b128 v[142:145], off, off offset:880
	s_wait_loadcnt_dscnt 0xb01
	v_mul_f64_e32 v[196:197], v[4:5], v[188:189]
	v_mul_f64_e32 v[188:189], v[6:7], v[188:189]
	v_add_f64_e32 v[164:165], v[204:205], v[202:203]
	v_add_f64_e32 v[194:195], v[194:195], v[200:201]
	s_wait_loadcnt_dscnt 0xa00
	v_mul_f64_e32 v[200:201], v[154:155], v[14:15]
	v_mul_f64_e32 v[14:15], v[156:157], v[14:15]
	v_fmac_f64_e32 v[196:197], v[6:7], v[186:187]
	v_fma_f64 v[202:203], v[4:5], v[186:187], -v[188:189]
	v_add_f64_e32 v[204:205], v[164:165], v[162:163]
	v_add_f64_e32 v[194:195], v[194:195], v[198:199]
	ds_load_b128 v[4:7], v2 offset:1728
	ds_load_b128 v[162:165], v2 offset:1744
	scratch_load_b128 v[186:189], off, off offset:896
	v_fmac_f64_e32 v[200:201], v[156:157], v[12:13]
	v_fma_f64 v[154:155], v[154:155], v[12:13], -v[14:15]
	scratch_load_b128 v[12:15], off, off offset:912
	s_wait_loadcnt_dscnt 0xb01
	v_mul_f64_e32 v[198:199], v[4:5], v[168:169]
	v_mul_f64_e32 v[168:169], v[6:7], v[168:169]
	v_add_f64_e32 v[156:157], v[204:205], v[202:203]
	v_add_f64_e32 v[194:195], v[194:195], v[196:197]
	s_wait_loadcnt_dscnt 0xa00
	v_mul_f64_e32 v[196:197], v[162:163], v[148:149]
	v_mul_f64_e32 v[148:149], v[164:165], v[148:149]
	v_fmac_f64_e32 v[198:199], v[6:7], v[166:167]
	v_fma_f64 v[202:203], v[4:5], v[166:167], -v[168:169]
	v_add_f64_e32 v[204:205], v[156:157], v[154:155]
	v_add_f64_e32 v[194:195], v[194:195], v[200:201]
	ds_load_b128 v[4:7], v2 offset:1760
	ds_load_b128 v[154:157], v2 offset:1776
	scratch_load_b128 v[166:169], off, off offset:928
	v_fmac_f64_e32 v[196:197], v[164:165], v[146:147]
	v_fma_f64 v[162:163], v[162:163], v[146:147], -v[148:149]
	scratch_load_b128 v[146:149], off, off offset:944
	s_wait_loadcnt_dscnt 0xb01
	v_mul_f64_e32 v[200:201], v[4:5], v[172:173]
	v_mul_f64_e32 v[172:173], v[6:7], v[172:173]
	v_add_f64_e32 v[164:165], v[204:205], v[202:203]
	v_add_f64_e32 v[194:195], v[194:195], v[198:199]
	s_wait_loadcnt_dscnt 0xa00
	v_mul_f64_e32 v[198:199], v[154:155], v[152:153]
	v_mul_f64_e32 v[152:153], v[156:157], v[152:153]
	v_fmac_f64_e32 v[200:201], v[6:7], v[170:171]
	v_fma_f64 v[202:203], v[4:5], v[170:171], -v[172:173]
	v_add_f64_e32 v[204:205], v[164:165], v[162:163]
	v_add_f64_e32 v[194:195], v[194:195], v[196:197]
	ds_load_b128 v[4:7], v2 offset:1792
	ds_load_b128 v[162:165], v2 offset:1808
	scratch_load_b128 v[170:173], off, off offset:960
	v_fmac_f64_e32 v[198:199], v[156:157], v[150:151]
	v_fma_f64 v[154:155], v[154:155], v[150:151], -v[152:153]
	scratch_load_b128 v[150:153], off, off offset:976
	s_wait_loadcnt_dscnt 0xb01
	v_mul_f64_e32 v[196:197], v[4:5], v[176:177]
	v_mul_f64_e32 v[176:177], v[6:7], v[176:177]
	v_add_f64_e32 v[156:157], v[204:205], v[202:203]
	v_add_f64_e32 v[194:195], v[194:195], v[200:201]
	s_wait_loadcnt_dscnt 0xa00
	v_mul_f64_e32 v[200:201], v[162:163], v[160:161]
	v_mul_f64_e32 v[160:161], v[164:165], v[160:161]
	v_fmac_f64_e32 v[196:197], v[6:7], v[174:175]
	v_fma_f64 v[174:175], v[4:5], v[174:175], -v[176:177]
	v_add_f64_e32 v[176:177], v[156:157], v[154:155]
	v_add_f64_e32 v[194:195], v[194:195], v[198:199]
	ds_load_b128 v[4:7], v2 offset:1824
	ds_load_b128 v[154:157], v2 offset:1840
	v_fmac_f64_e32 v[200:201], v[164:165], v[158:159]
	v_fma_f64 v[158:159], v[162:163], v[158:159], -v[160:161]
	s_wait_loadcnt_dscnt 0x901
	v_mul_f64_e32 v[198:199], v[4:5], v[192:193]
	v_mul_f64_e32 v[192:193], v[6:7], v[192:193]
	s_wait_loadcnt_dscnt 0x800
	v_mul_f64_e32 v[164:165], v[154:155], v[10:11]
	v_mul_f64_e32 v[10:11], v[156:157], v[10:11]
	v_add_f64_e32 v[160:161], v[176:177], v[174:175]
	v_add_f64_e32 v[162:163], v[194:195], v[196:197]
	v_fmac_f64_e32 v[198:199], v[6:7], v[190:191]
	v_fma_f64 v[174:175], v[4:5], v[190:191], -v[192:193]
	v_fmac_f64_e32 v[164:165], v[156:157], v[8:9]
	v_fma_f64 v[8:9], v[154:155], v[8:9], -v[10:11]
	v_add_f64_e32 v[176:177], v[160:161], v[158:159]
	v_add_f64_e32 v[162:163], v[162:163], v[200:201]
	ds_load_b128 v[4:7], v2 offset:1856
	ds_load_b128 v[158:161], v2 offset:1872
	s_wait_loadcnt_dscnt 0x701
	v_mul_f64_e32 v[190:191], v[4:5], v[180:181]
	v_mul_f64_e32 v[180:181], v[6:7], v[180:181]
	s_wait_loadcnt_dscnt 0x600
	v_mul_f64_e32 v[156:157], v[158:159], v[144:145]
	v_mul_f64_e32 v[144:145], v[160:161], v[144:145]
	v_add_f64_e32 v[10:11], v[176:177], v[174:175]
	v_add_f64_e32 v[154:155], v[162:163], v[198:199]
	v_fmac_f64_e32 v[190:191], v[6:7], v[178:179]
	v_fma_f64 v[162:163], v[4:5], v[178:179], -v[180:181]
	v_fmac_f64_e32 v[156:157], v[160:161], v[142:143]
	v_fma_f64 v[142:143], v[158:159], v[142:143], -v[144:145]
	v_add_f64_e32 v[174:175], v[10:11], v[8:9]
	v_add_f64_e32 v[154:155], v[154:155], v[164:165]
	ds_load_b128 v[4:7], v2 offset:1888
	ds_load_b128 v[8:11], v2 offset:1904
	;; [unrolled: 16-line block ×4, first 2 shown]
	s_wait_loadcnt_dscnt 0x101
	v_mul_f64_e32 v[2:3], v[4:5], v[172:173]
	v_mul_f64_e32 v[158:159], v[6:7], v[172:173]
	s_wait_loadcnt_dscnt 0x0
	v_mul_f64_e32 v[146:147], v[8:9], v[152:153]
	v_mul_f64_e32 v[148:149], v[10:11], v[152:153]
	v_add_f64_e32 v[144:145], v[160:161], v[154:155]
	v_add_f64_e32 v[12:13], v[12:13], v[156:157]
	v_fmac_f64_e32 v[2:3], v[6:7], v[170:171]
	v_fma_f64 v[4:5], v[4:5], v[170:171], -v[158:159]
	v_fmac_f64_e32 v[146:147], v[10:11], v[150:151]
	v_fma_f64 v[8:9], v[8:9], v[150:151], -v[148:149]
	v_add_f64_e32 v[6:7], v[144:145], v[142:143]
	v_add_f64_e32 v[12:13], v[12:13], v[14:15]
	s_delay_alu instid0(VALU_DEP_2) | instskip(NEXT) | instid1(VALU_DEP_2)
	v_add_f64_e32 v[4:5], v[6:7], v[4:5]
	v_add_f64_e32 v[2:3], v[12:13], v[2:3]
	s_delay_alu instid0(VALU_DEP_2) | instskip(NEXT) | instid1(VALU_DEP_2)
	;; [unrolled: 3-line block ×3, first 2 shown]
	v_add_f64_e64 v[2:3], v[182:183], -v[4:5]
	v_add_f64_e64 v[4:5], v[184:185], -v[6:7]
	scratch_store_b128 off, v[2:5], off offset:240
	s_wait_xcnt 0x0
	v_cmpx_lt_u32_e32 14, v1
	s_cbranch_execz .LBB125_369
; %bb.368:
	scratch_load_b128 v[2:5], off, s66
	v_mov_b32_e32 v6, 0
	s_delay_alu instid0(VALU_DEP_1)
	v_dual_mov_b32 v7, v6 :: v_dual_mov_b32 v8, v6
	v_mov_b32_e32 v9, v6
	scratch_store_b128 off, v[6:9], off offset:224
	s_wait_loadcnt 0x0
	ds_store_b128 v16, v[2:5]
.LBB125_369:
	s_wait_xcnt 0x0
	s_or_b32 exec_lo, exec_lo, s2
	s_wait_storecnt_dscnt 0x0
	s_barrier_signal -1
	s_barrier_wait -1
	s_clause 0x9
	scratch_load_b128 v[4:7], off, off offset:240
	scratch_load_b128 v[8:11], off, off offset:256
	;; [unrolled: 1-line block ×10, first 2 shown]
	v_mov_b32_e32 v2, 0
	s_mov_b32 s2, exec_lo
	ds_load_b128 v[170:173], v2 offset:1232
	s_clause 0x2
	scratch_load_b128 v[174:177], off, off offset:400
	scratch_load_b128 v[178:181], off, off offset:224
	scratch_load_b128 v[186:189], off, off offset:416
	s_wait_loadcnt_dscnt 0xc00
	v_mul_f64_e32 v[190:191], v[172:173], v[6:7]
	v_mul_f64_e32 v[194:195], v[170:171], v[6:7]
	ds_load_b128 v[182:185], v2 offset:1248
	v_fma_f64 v[198:199], v[170:171], v[4:5], -v[190:191]
	v_fmac_f64_e32 v[194:195], v[172:173], v[4:5]
	ds_load_b128 v[4:7], v2 offset:1264
	s_wait_loadcnt_dscnt 0xb01
	v_mul_f64_e32 v[196:197], v[182:183], v[10:11]
	v_mul_f64_e32 v[10:11], v[184:185], v[10:11]
	scratch_load_b128 v[170:173], off, off offset:432
	ds_load_b128 v[190:193], v2 offset:1280
	s_wait_loadcnt_dscnt 0xb01
	v_mul_f64_e32 v[200:201], v[4:5], v[14:15]
	v_mul_f64_e32 v[14:15], v[6:7], v[14:15]
	v_add_f64_e32 v[194:195], 0, v[194:195]
	v_fmac_f64_e32 v[196:197], v[184:185], v[8:9]
	v_fma_f64 v[182:183], v[182:183], v[8:9], -v[10:11]
	v_add_f64_e32 v[184:185], 0, v[198:199]
	scratch_load_b128 v[8:11], off, off offset:448
	v_fmac_f64_e32 v[200:201], v[6:7], v[12:13]
	v_fma_f64 v[202:203], v[4:5], v[12:13], -v[14:15]
	ds_load_b128 v[4:7], v2 offset:1296
	s_wait_loadcnt_dscnt 0xb01
	v_mul_f64_e32 v[198:199], v[190:191], v[144:145]
	v_mul_f64_e32 v[144:145], v[192:193], v[144:145]
	scratch_load_b128 v[12:15], off, off offset:464
	v_add_f64_e32 v[194:195], v[194:195], v[196:197]
	v_add_f64_e32 v[204:205], v[184:185], v[182:183]
	ds_load_b128 v[182:185], v2 offset:1312
	s_wait_loadcnt_dscnt 0xb01
	v_mul_f64_e32 v[196:197], v[4:5], v[148:149]
	v_mul_f64_e32 v[148:149], v[6:7], v[148:149]
	v_fmac_f64_e32 v[198:199], v[192:193], v[142:143]
	v_fma_f64 v[190:191], v[190:191], v[142:143], -v[144:145]
	scratch_load_b128 v[142:145], off, off offset:480
	v_add_f64_e32 v[194:195], v[194:195], v[200:201]
	v_add_f64_e32 v[192:193], v[204:205], v[202:203]
	v_fmac_f64_e32 v[196:197], v[6:7], v[146:147]
	v_fma_f64 v[202:203], v[4:5], v[146:147], -v[148:149]
	ds_load_b128 v[4:7], v2 offset:1328
	s_wait_loadcnt_dscnt 0xb01
	v_mul_f64_e32 v[200:201], v[182:183], v[152:153]
	v_mul_f64_e32 v[152:153], v[184:185], v[152:153]
	scratch_load_b128 v[146:149], off, off offset:496
	v_add_f64_e32 v[194:195], v[194:195], v[198:199]
	s_wait_loadcnt_dscnt 0xb00
	v_mul_f64_e32 v[198:199], v[4:5], v[156:157]
	v_add_f64_e32 v[204:205], v[192:193], v[190:191]
	v_mul_f64_e32 v[156:157], v[6:7], v[156:157]
	ds_load_b128 v[190:193], v2 offset:1344
	v_fmac_f64_e32 v[200:201], v[184:185], v[150:151]
	v_fma_f64 v[182:183], v[182:183], v[150:151], -v[152:153]
	scratch_load_b128 v[150:153], off, off offset:512
	v_add_f64_e32 v[194:195], v[194:195], v[196:197]
	v_fmac_f64_e32 v[198:199], v[6:7], v[154:155]
	v_add_f64_e32 v[184:185], v[204:205], v[202:203]
	v_fma_f64 v[202:203], v[4:5], v[154:155], -v[156:157]
	ds_load_b128 v[4:7], v2 offset:1360
	s_wait_loadcnt_dscnt 0xb01
	v_mul_f64_e32 v[196:197], v[190:191], v[160:161]
	v_mul_f64_e32 v[160:161], v[192:193], v[160:161]
	scratch_load_b128 v[154:157], off, off offset:528
	v_add_f64_e32 v[194:195], v[194:195], v[200:201]
	s_wait_loadcnt_dscnt 0xb00
	v_mul_f64_e32 v[200:201], v[4:5], v[164:165]
	v_add_f64_e32 v[204:205], v[184:185], v[182:183]
	v_mul_f64_e32 v[164:165], v[6:7], v[164:165]
	ds_load_b128 v[182:185], v2 offset:1376
	v_fmac_f64_e32 v[196:197], v[192:193], v[158:159]
	v_fma_f64 v[190:191], v[190:191], v[158:159], -v[160:161]
	scratch_load_b128 v[158:161], off, off offset:544
	v_add_f64_e32 v[194:195], v[194:195], v[198:199]
	v_fmac_f64_e32 v[200:201], v[6:7], v[162:163]
	v_add_f64_e32 v[192:193], v[204:205], v[202:203]
	;; [unrolled: 18-line block ×3, first 2 shown]
	v_fma_f64 v[202:203], v[4:5], v[174:175], -v[176:177]
	ds_load_b128 v[4:7], v2 offset:1424
	s_wait_loadcnt_dscnt 0xa01
	v_mul_f64_e32 v[200:201], v[190:191], v[188:189]
	v_mul_f64_e32 v[188:189], v[192:193], v[188:189]
	scratch_load_b128 v[174:177], off, off offset:592
	v_add_f64_e32 v[194:195], v[194:195], v[198:199]
	v_add_f64_e32 v[204:205], v[184:185], v[182:183]
	s_wait_loadcnt_dscnt 0xa00
	v_mul_f64_e32 v[198:199], v[4:5], v[172:173]
	v_mul_f64_e32 v[172:173], v[6:7], v[172:173]
	v_fmac_f64_e32 v[200:201], v[192:193], v[186:187]
	v_fma_f64 v[190:191], v[190:191], v[186:187], -v[188:189]
	ds_load_b128 v[182:185], v2 offset:1440
	scratch_load_b128 v[186:189], off, off offset:608
	v_add_f64_e32 v[194:195], v[194:195], v[196:197]
	v_add_f64_e32 v[192:193], v[204:205], v[202:203]
	v_fmac_f64_e32 v[198:199], v[6:7], v[170:171]
	v_fma_f64 v[202:203], v[4:5], v[170:171], -v[172:173]
	ds_load_b128 v[4:7], v2 offset:1456
	s_wait_loadcnt_dscnt 0xa01
	v_mul_f64_e32 v[196:197], v[182:183], v[10:11]
	v_mul_f64_e32 v[10:11], v[184:185], v[10:11]
	scratch_load_b128 v[170:173], off, off offset:624
	v_add_f64_e32 v[194:195], v[194:195], v[200:201]
	s_wait_loadcnt_dscnt 0xa00
	v_mul_f64_e32 v[200:201], v[4:5], v[14:15]
	v_add_f64_e32 v[204:205], v[192:193], v[190:191]
	v_mul_f64_e32 v[14:15], v[6:7], v[14:15]
	ds_load_b128 v[190:193], v2 offset:1472
	v_fmac_f64_e32 v[196:197], v[184:185], v[8:9]
	v_fma_f64 v[182:183], v[182:183], v[8:9], -v[10:11]
	scratch_load_b128 v[8:11], off, off offset:640
	v_add_f64_e32 v[194:195], v[194:195], v[198:199]
	v_fmac_f64_e32 v[200:201], v[6:7], v[12:13]
	v_add_f64_e32 v[184:185], v[204:205], v[202:203]
	v_fma_f64 v[202:203], v[4:5], v[12:13], -v[14:15]
	ds_load_b128 v[4:7], v2 offset:1488
	s_wait_loadcnt_dscnt 0xa01
	v_mul_f64_e32 v[198:199], v[190:191], v[144:145]
	v_mul_f64_e32 v[144:145], v[192:193], v[144:145]
	scratch_load_b128 v[12:15], off, off offset:656
	v_add_f64_e32 v[194:195], v[194:195], v[196:197]
	s_wait_loadcnt_dscnt 0xa00
	v_mul_f64_e32 v[196:197], v[4:5], v[148:149]
	v_add_f64_e32 v[204:205], v[184:185], v[182:183]
	v_mul_f64_e32 v[148:149], v[6:7], v[148:149]
	ds_load_b128 v[182:185], v2 offset:1504
	v_fmac_f64_e32 v[198:199], v[192:193], v[142:143]
	v_fma_f64 v[190:191], v[190:191], v[142:143], -v[144:145]
	scratch_load_b128 v[142:145], off, off offset:672
	v_add_f64_e32 v[194:195], v[194:195], v[200:201]
	v_fmac_f64_e32 v[196:197], v[6:7], v[146:147]
	v_add_f64_e32 v[192:193], v[204:205], v[202:203]
	;; [unrolled: 18-line block ×11, first 2 shown]
	v_fma_f64 v[202:203], v[4:5], v[174:175], -v[176:177]
	ds_load_b128 v[4:7], v2 offset:1808
	s_wait_loadcnt_dscnt 0xa01
	v_mul_f64_e32 v[200:201], v[190:191], v[188:189]
	v_mul_f64_e32 v[188:189], v[192:193], v[188:189]
	scratch_load_b128 v[174:177], off, off offset:976
	v_add_f64_e32 v[194:195], v[194:195], v[198:199]
	s_wait_loadcnt_dscnt 0xa00
	v_mul_f64_e32 v[198:199], v[4:5], v[172:173]
	v_add_f64_e32 v[204:205], v[184:185], v[182:183]
	v_mul_f64_e32 v[172:173], v[6:7], v[172:173]
	ds_load_b128 v[182:185], v2 offset:1824
	v_fmac_f64_e32 v[200:201], v[192:193], v[186:187]
	v_fma_f64 v[186:187], v[190:191], v[186:187], -v[188:189]
	s_wait_loadcnt_dscnt 0x900
	v_mul_f64_e32 v[192:193], v[182:183], v[10:11]
	v_mul_f64_e32 v[10:11], v[184:185], v[10:11]
	v_add_f64_e32 v[190:191], v[194:195], v[196:197]
	v_fmac_f64_e32 v[198:199], v[6:7], v[170:171]
	v_add_f64_e32 v[188:189], v[204:205], v[202:203]
	v_fma_f64 v[194:195], v[4:5], v[170:171], -v[172:173]
	ds_load_b128 v[4:7], v2 offset:1840
	ds_load_b128 v[170:173], v2 offset:1856
	v_fmac_f64_e32 v[192:193], v[184:185], v[8:9]
	v_fma_f64 v[8:9], v[182:183], v[8:9], -v[10:11]
	v_add_f64_e32 v[186:187], v[188:189], v[186:187]
	v_add_f64_e32 v[188:189], v[190:191], v[200:201]
	s_wait_loadcnt_dscnt 0x801
	v_mul_f64_e32 v[190:191], v[4:5], v[14:15]
	v_mul_f64_e32 v[14:15], v[6:7], v[14:15]
	s_wait_loadcnt_dscnt 0x700
	v_mul_f64_e32 v[184:185], v[170:171], v[144:145]
	v_mul_f64_e32 v[144:145], v[172:173], v[144:145]
	v_add_f64_e32 v[10:11], v[186:187], v[194:195]
	v_add_f64_e32 v[182:183], v[188:189], v[198:199]
	v_fmac_f64_e32 v[190:191], v[6:7], v[12:13]
	v_fma_f64 v[12:13], v[4:5], v[12:13], -v[14:15]
	v_fmac_f64_e32 v[184:185], v[172:173], v[142:143]
	v_fma_f64 v[142:143], v[170:171], v[142:143], -v[144:145]
	v_add_f64_e32 v[14:15], v[10:11], v[8:9]
	v_add_f64_e32 v[182:183], v[182:183], v[192:193]
	ds_load_b128 v[4:7], v2 offset:1872
	ds_load_b128 v[8:11], v2 offset:1888
	s_wait_loadcnt_dscnt 0x601
	v_mul_f64_e32 v[186:187], v[4:5], v[148:149]
	v_mul_f64_e32 v[148:149], v[6:7], v[148:149]
	s_wait_loadcnt_dscnt 0x500
	v_mul_f64_e32 v[144:145], v[8:9], v[152:153]
	v_mul_f64_e32 v[152:153], v[10:11], v[152:153]
	v_add_f64_e32 v[12:13], v[14:15], v[12:13]
	v_add_f64_e32 v[14:15], v[182:183], v[190:191]
	v_fmac_f64_e32 v[186:187], v[6:7], v[146:147]
	v_fma_f64 v[146:147], v[4:5], v[146:147], -v[148:149]
	v_fmac_f64_e32 v[144:145], v[10:11], v[150:151]
	v_fma_f64 v[8:9], v[8:9], v[150:151], -v[152:153]
	v_add_f64_e32 v[142:143], v[12:13], v[142:143]
	v_add_f64_e32 v[148:149], v[14:15], v[184:185]
	ds_load_b128 v[4:7], v2 offset:1904
	ds_load_b128 v[12:15], v2 offset:1920
	s_wait_loadcnt_dscnt 0x401
	v_mul_f64_e32 v[170:171], v[4:5], v[156:157]
	v_mul_f64_e32 v[156:157], v[6:7], v[156:157]
	v_add_f64_e32 v[10:11], v[142:143], v[146:147]
	v_add_f64_e32 v[142:143], v[148:149], v[186:187]
	s_wait_loadcnt_dscnt 0x300
	v_mul_f64_e32 v[146:147], v[12:13], v[160:161]
	v_mul_f64_e32 v[148:149], v[14:15], v[160:161]
	v_fmac_f64_e32 v[170:171], v[6:7], v[154:155]
	v_fma_f64 v[150:151], v[4:5], v[154:155], -v[156:157]
	v_add_f64_e32 v[152:153], v[10:11], v[8:9]
	v_add_f64_e32 v[142:143], v[142:143], v[144:145]
	ds_load_b128 v[4:7], v2 offset:1936
	ds_load_b128 v[8:11], v2 offset:1952
	v_fmac_f64_e32 v[146:147], v[14:15], v[158:159]
	v_fma_f64 v[12:13], v[12:13], v[158:159], -v[148:149]
	s_wait_loadcnt_dscnt 0x201
	v_mul_f64_e32 v[144:145], v[4:5], v[164:165]
	v_mul_f64_e32 v[154:155], v[6:7], v[164:165]
	s_wait_loadcnt_dscnt 0x100
	v_mul_f64_e32 v[148:149], v[8:9], v[168:169]
	v_add_f64_e32 v[14:15], v[152:153], v[150:151]
	v_add_f64_e32 v[142:143], v[142:143], v[170:171]
	v_mul_f64_e32 v[150:151], v[10:11], v[168:169]
	v_fmac_f64_e32 v[144:145], v[6:7], v[162:163]
	v_fma_f64 v[152:153], v[4:5], v[162:163], -v[154:155]
	ds_load_b128 v[4:7], v2 offset:1968
	v_fmac_f64_e32 v[148:149], v[10:11], v[166:167]
	v_add_f64_e32 v[12:13], v[14:15], v[12:13]
	v_add_f64_e32 v[14:15], v[142:143], v[146:147]
	v_fma_f64 v[8:9], v[8:9], v[166:167], -v[150:151]
	s_wait_loadcnt_dscnt 0x0
	v_mul_f64_e32 v[142:143], v[4:5], v[176:177]
	v_mul_f64_e32 v[146:147], v[6:7], v[176:177]
	v_add_f64_e32 v[10:11], v[12:13], v[152:153]
	v_add_f64_e32 v[12:13], v[14:15], v[144:145]
	s_delay_alu instid0(VALU_DEP_4) | instskip(NEXT) | instid1(VALU_DEP_4)
	v_fmac_f64_e32 v[142:143], v[6:7], v[174:175]
	v_fma_f64 v[4:5], v[4:5], v[174:175], -v[146:147]
	s_delay_alu instid0(VALU_DEP_4) | instskip(NEXT) | instid1(VALU_DEP_4)
	v_add_f64_e32 v[6:7], v[10:11], v[8:9]
	v_add_f64_e32 v[8:9], v[12:13], v[148:149]
	s_delay_alu instid0(VALU_DEP_2) | instskip(NEXT) | instid1(VALU_DEP_2)
	v_add_f64_e32 v[4:5], v[6:7], v[4:5]
	v_add_f64_e32 v[6:7], v[8:9], v[142:143]
	s_delay_alu instid0(VALU_DEP_2) | instskip(NEXT) | instid1(VALU_DEP_2)
	v_add_f64_e64 v[4:5], v[178:179], -v[4:5]
	v_add_f64_e64 v[6:7], v[180:181], -v[6:7]
	scratch_store_b128 off, v[4:7], off offset:224
	s_wait_xcnt 0x0
	v_cmpx_lt_u32_e32 13, v1
	s_cbranch_execz .LBB125_371
; %bb.370:
	scratch_load_b128 v[6:9], off, s67
	v_dual_mov_b32 v3, v2 :: v_dual_mov_b32 v4, v2
	v_mov_b32_e32 v5, v2
	scratch_store_b128 off, v[2:5], off offset:208
	s_wait_loadcnt 0x0
	ds_store_b128 v16, v[6:9]
.LBB125_371:
	s_wait_xcnt 0x0
	s_or_b32 exec_lo, exec_lo, s2
	s_wait_storecnt_dscnt 0x0
	s_barrier_signal -1
	s_barrier_wait -1
	s_clause 0x9
	scratch_load_b128 v[4:7], off, off offset:224
	scratch_load_b128 v[8:11], off, off offset:240
	;; [unrolled: 1-line block ×10, first 2 shown]
	ds_load_b128 v[170:173], v2 offset:1216
	ds_load_b128 v[178:181], v2 offset:1232
	s_clause 0x2
	scratch_load_b128 v[174:177], off, off offset:384
	scratch_load_b128 v[182:185], off, off offset:208
	scratch_load_b128 v[186:189], off, off offset:400
	s_mov_b32 s2, exec_lo
	s_wait_loadcnt_dscnt 0xc01
	v_mul_f64_e32 v[190:191], v[172:173], v[6:7]
	v_mul_f64_e32 v[194:195], v[170:171], v[6:7]
	s_wait_loadcnt_dscnt 0xb00
	v_mul_f64_e32 v[196:197], v[178:179], v[10:11]
	v_mul_f64_e32 v[10:11], v[180:181], v[10:11]
	s_delay_alu instid0(VALU_DEP_4) | instskip(NEXT) | instid1(VALU_DEP_4)
	v_fma_f64 v[198:199], v[170:171], v[4:5], -v[190:191]
	v_fmac_f64_e32 v[194:195], v[172:173], v[4:5]
	ds_load_b128 v[4:7], v2 offset:1248
	ds_load_b128 v[170:173], v2 offset:1264
	scratch_load_b128 v[190:193], off, off offset:416
	v_fmac_f64_e32 v[196:197], v[180:181], v[8:9]
	v_fma_f64 v[178:179], v[178:179], v[8:9], -v[10:11]
	scratch_load_b128 v[8:11], off, off offset:432
	s_wait_loadcnt_dscnt 0xc01
	v_mul_f64_e32 v[200:201], v[4:5], v[14:15]
	v_mul_f64_e32 v[14:15], v[6:7], v[14:15]
	v_add_f64_e32 v[180:181], 0, v[198:199]
	v_add_f64_e32 v[194:195], 0, v[194:195]
	s_wait_loadcnt_dscnt 0xb00
	v_mul_f64_e32 v[198:199], v[170:171], v[144:145]
	v_mul_f64_e32 v[144:145], v[172:173], v[144:145]
	v_fmac_f64_e32 v[200:201], v[6:7], v[12:13]
	v_fma_f64 v[202:203], v[4:5], v[12:13], -v[14:15]
	ds_load_b128 v[4:7], v2 offset:1280
	ds_load_b128 v[12:15], v2 offset:1296
	v_add_f64_e32 v[204:205], v[180:181], v[178:179]
	v_add_f64_e32 v[194:195], v[194:195], v[196:197]
	scratch_load_b128 v[178:181], off, off offset:448
	v_fmac_f64_e32 v[198:199], v[172:173], v[142:143]
	v_fma_f64 v[170:171], v[170:171], v[142:143], -v[144:145]
	scratch_load_b128 v[142:145], off, off offset:464
	s_wait_loadcnt_dscnt 0xc01
	v_mul_f64_e32 v[196:197], v[4:5], v[148:149]
	v_mul_f64_e32 v[148:149], v[6:7], v[148:149]
	v_add_f64_e32 v[172:173], v[204:205], v[202:203]
	v_add_f64_e32 v[194:195], v[194:195], v[200:201]
	s_wait_loadcnt_dscnt 0xb00
	v_mul_f64_e32 v[200:201], v[12:13], v[152:153]
	v_mul_f64_e32 v[152:153], v[14:15], v[152:153]
	v_fmac_f64_e32 v[196:197], v[6:7], v[146:147]
	v_fma_f64 v[202:203], v[4:5], v[146:147], -v[148:149]
	ds_load_b128 v[4:7], v2 offset:1312
	ds_load_b128 v[146:149], v2 offset:1328
	v_add_f64_e32 v[204:205], v[172:173], v[170:171]
	v_add_f64_e32 v[194:195], v[194:195], v[198:199]
	scratch_load_b128 v[170:173], off, off offset:480
	s_wait_loadcnt_dscnt 0xb01
	v_mul_f64_e32 v[198:199], v[4:5], v[156:157]
	v_mul_f64_e32 v[156:157], v[6:7], v[156:157]
	v_fmac_f64_e32 v[200:201], v[14:15], v[150:151]
	v_fma_f64 v[150:151], v[12:13], v[150:151], -v[152:153]
	scratch_load_b128 v[12:15], off, off offset:496
	v_add_f64_e32 v[152:153], v[204:205], v[202:203]
	v_add_f64_e32 v[194:195], v[194:195], v[196:197]
	s_wait_loadcnt_dscnt 0xb00
	v_mul_f64_e32 v[196:197], v[146:147], v[160:161]
	v_mul_f64_e32 v[160:161], v[148:149], v[160:161]
	v_fmac_f64_e32 v[198:199], v[6:7], v[154:155]
	v_fma_f64 v[202:203], v[4:5], v[154:155], -v[156:157]
	v_add_f64_e32 v[204:205], v[152:153], v[150:151]
	v_add_f64_e32 v[194:195], v[194:195], v[200:201]
	ds_load_b128 v[4:7], v2 offset:1344
	ds_load_b128 v[150:153], v2 offset:1360
	scratch_load_b128 v[154:157], off, off offset:512
	v_fmac_f64_e32 v[196:197], v[148:149], v[158:159]
	v_fma_f64 v[158:159], v[146:147], v[158:159], -v[160:161]
	scratch_load_b128 v[146:149], off, off offset:528
	s_wait_loadcnt_dscnt 0xc01
	v_mul_f64_e32 v[200:201], v[4:5], v[164:165]
	v_mul_f64_e32 v[164:165], v[6:7], v[164:165]
	v_add_f64_e32 v[160:161], v[204:205], v[202:203]
	v_add_f64_e32 v[194:195], v[194:195], v[198:199]
	s_wait_loadcnt_dscnt 0xb00
	v_mul_f64_e32 v[198:199], v[150:151], v[168:169]
	v_mul_f64_e32 v[168:169], v[152:153], v[168:169]
	v_fmac_f64_e32 v[200:201], v[6:7], v[162:163]
	v_fma_f64 v[202:203], v[4:5], v[162:163], -v[164:165]
	v_add_f64_e32 v[204:205], v[160:161], v[158:159]
	v_add_f64_e32 v[194:195], v[194:195], v[196:197]
	ds_load_b128 v[4:7], v2 offset:1376
	ds_load_b128 v[158:161], v2 offset:1392
	scratch_load_b128 v[162:165], off, off offset:544
	v_fmac_f64_e32 v[198:199], v[152:153], v[166:167]
	v_fma_f64 v[166:167], v[150:151], v[166:167], -v[168:169]
	scratch_load_b128 v[150:153], off, off offset:560
	s_wait_loadcnt_dscnt 0xc01
	v_mul_f64_e32 v[196:197], v[4:5], v[176:177]
	v_mul_f64_e32 v[176:177], v[6:7], v[176:177]
	;; [unrolled: 18-line block ×5, first 2 shown]
	v_add_f64_e32 v[188:189], v[204:205], v[202:203]
	v_add_f64_e32 v[194:195], v[194:195], v[200:201]
	s_wait_loadcnt_dscnt 0xa00
	v_mul_f64_e32 v[200:201], v[166:167], v[14:15]
	v_mul_f64_e32 v[14:15], v[168:169], v[14:15]
	v_fmac_f64_e32 v[196:197], v[6:7], v[170:171]
	v_fma_f64 v[202:203], v[4:5], v[170:171], -v[172:173]
	ds_load_b128 v[4:7], v2 offset:1504
	ds_load_b128 v[170:173], v2 offset:1520
	v_add_f64_e32 v[204:205], v[188:189], v[186:187]
	v_add_f64_e32 v[194:195], v[194:195], v[198:199]
	scratch_load_b128 v[186:189], off, off offset:672
	v_fmac_f64_e32 v[200:201], v[168:169], v[12:13]
	v_fma_f64 v[166:167], v[166:167], v[12:13], -v[14:15]
	scratch_load_b128 v[12:15], off, off offset:688
	s_wait_loadcnt_dscnt 0xb01
	v_mul_f64_e32 v[198:199], v[4:5], v[156:157]
	v_mul_f64_e32 v[156:157], v[6:7], v[156:157]
	v_add_f64_e32 v[168:169], v[204:205], v[202:203]
	v_add_f64_e32 v[194:195], v[194:195], v[196:197]
	s_wait_loadcnt_dscnt 0xa00
	v_mul_f64_e32 v[196:197], v[170:171], v[148:149]
	v_mul_f64_e32 v[148:149], v[172:173], v[148:149]
	v_fmac_f64_e32 v[198:199], v[6:7], v[154:155]
	v_fma_f64 v[202:203], v[4:5], v[154:155], -v[156:157]
	ds_load_b128 v[4:7], v2 offset:1536
	ds_load_b128 v[154:157], v2 offset:1552
	v_add_f64_e32 v[204:205], v[168:169], v[166:167]
	v_add_f64_e32 v[194:195], v[194:195], v[200:201]
	scratch_load_b128 v[166:169], off, off offset:704
	s_wait_loadcnt_dscnt 0xa01
	v_mul_f64_e32 v[200:201], v[4:5], v[164:165]
	v_mul_f64_e32 v[164:165], v[6:7], v[164:165]
	v_fmac_f64_e32 v[196:197], v[172:173], v[146:147]
	v_fma_f64 v[170:171], v[170:171], v[146:147], -v[148:149]
	scratch_load_b128 v[146:149], off, off offset:720
	v_add_f64_e32 v[172:173], v[204:205], v[202:203]
	v_add_f64_e32 v[194:195], v[194:195], v[198:199]
	s_wait_loadcnt_dscnt 0xa00
	v_mul_f64_e32 v[198:199], v[154:155], v[152:153]
	v_mul_f64_e32 v[152:153], v[156:157], v[152:153]
	v_fmac_f64_e32 v[200:201], v[6:7], v[162:163]
	v_fma_f64 v[202:203], v[4:5], v[162:163], -v[164:165]
	ds_load_b128 v[4:7], v2 offset:1568
	ds_load_b128 v[162:165], v2 offset:1584
	v_add_f64_e32 v[204:205], v[172:173], v[170:171]
	v_add_f64_e32 v[194:195], v[194:195], v[196:197]
	scratch_load_b128 v[170:173], off, off offset:736
	s_wait_loadcnt_dscnt 0xa01
	v_mul_f64_e32 v[196:197], v[4:5], v[176:177]
	v_mul_f64_e32 v[176:177], v[6:7], v[176:177]
	v_fmac_f64_e32 v[198:199], v[156:157], v[150:151]
	v_fma_f64 v[154:155], v[154:155], v[150:151], -v[152:153]
	scratch_load_b128 v[150:153], off, off offset:752
	v_add_f64_e32 v[156:157], v[204:205], v[202:203]
	v_add_f64_e32 v[194:195], v[194:195], v[200:201]
	s_wait_loadcnt_dscnt 0xa00
	v_mul_f64_e32 v[200:201], v[162:163], v[160:161]
	v_mul_f64_e32 v[160:161], v[164:165], v[160:161]
	v_fmac_f64_e32 v[196:197], v[6:7], v[174:175]
	v_fma_f64 v[202:203], v[4:5], v[174:175], -v[176:177]
	v_add_f64_e32 v[204:205], v[156:157], v[154:155]
	v_add_f64_e32 v[194:195], v[194:195], v[198:199]
	ds_load_b128 v[4:7], v2 offset:1600
	ds_load_b128 v[154:157], v2 offset:1616
	scratch_load_b128 v[174:177], off, off offset:768
	v_fmac_f64_e32 v[200:201], v[164:165], v[158:159]
	v_fma_f64 v[162:163], v[162:163], v[158:159], -v[160:161]
	scratch_load_b128 v[158:161], off, off offset:784
	s_wait_loadcnt_dscnt 0xb01
	v_mul_f64_e32 v[198:199], v[4:5], v[192:193]
	v_mul_f64_e32 v[192:193], v[6:7], v[192:193]
	v_add_f64_e32 v[164:165], v[204:205], v[202:203]
	v_add_f64_e32 v[194:195], v[194:195], v[196:197]
	s_wait_loadcnt_dscnt 0xa00
	v_mul_f64_e32 v[196:197], v[154:155], v[10:11]
	v_mul_f64_e32 v[10:11], v[156:157], v[10:11]
	v_fmac_f64_e32 v[198:199], v[6:7], v[190:191]
	v_fma_f64 v[202:203], v[4:5], v[190:191], -v[192:193]
	v_add_f64_e32 v[204:205], v[164:165], v[162:163]
	v_add_f64_e32 v[194:195], v[194:195], v[200:201]
	ds_load_b128 v[4:7], v2 offset:1632
	ds_load_b128 v[162:165], v2 offset:1648
	scratch_load_b128 v[190:193], off, off offset:800
	v_fmac_f64_e32 v[196:197], v[156:157], v[8:9]
	v_fma_f64 v[154:155], v[154:155], v[8:9], -v[10:11]
	scratch_load_b128 v[8:11], off, off offset:816
	s_wait_loadcnt_dscnt 0xb01
	v_mul_f64_e32 v[200:201], v[4:5], v[180:181]
	v_mul_f64_e32 v[180:181], v[6:7], v[180:181]
	;; [unrolled: 18-line block ×7, first 2 shown]
	v_add_f64_e32 v[164:165], v[204:205], v[202:203]
	v_add_f64_e32 v[194:195], v[194:195], v[196:197]
	s_wait_loadcnt_dscnt 0xa00
	v_mul_f64_e32 v[196:197], v[154:155], v[10:11]
	v_mul_f64_e32 v[10:11], v[156:157], v[10:11]
	v_fmac_f64_e32 v[198:199], v[6:7], v[190:191]
	v_fma_f64 v[190:191], v[4:5], v[190:191], -v[192:193]
	v_add_f64_e32 v[192:193], v[164:165], v[162:163]
	v_add_f64_e32 v[194:195], v[194:195], v[200:201]
	ds_load_b128 v[4:7], v2 offset:1824
	ds_load_b128 v[162:165], v2 offset:1840
	v_fmac_f64_e32 v[196:197], v[156:157], v[8:9]
	v_fma_f64 v[8:9], v[154:155], v[8:9], -v[10:11]
	s_wait_loadcnt_dscnt 0x901
	v_mul_f64_e32 v[200:201], v[4:5], v[180:181]
	v_mul_f64_e32 v[180:181], v[6:7], v[180:181]
	s_wait_loadcnt_dscnt 0x800
	v_mul_f64_e32 v[156:157], v[162:163], v[144:145]
	v_mul_f64_e32 v[144:145], v[164:165], v[144:145]
	v_add_f64_e32 v[10:11], v[192:193], v[190:191]
	v_add_f64_e32 v[154:155], v[194:195], v[198:199]
	v_fmac_f64_e32 v[200:201], v[6:7], v[178:179]
	v_fma_f64 v[178:179], v[4:5], v[178:179], -v[180:181]
	v_fmac_f64_e32 v[156:157], v[164:165], v[142:143]
	v_fma_f64 v[142:143], v[162:163], v[142:143], -v[144:145]
	v_add_f64_e32 v[180:181], v[10:11], v[8:9]
	v_add_f64_e32 v[154:155], v[154:155], v[196:197]
	ds_load_b128 v[4:7], v2 offset:1856
	ds_load_b128 v[8:11], v2 offset:1872
	s_wait_loadcnt_dscnt 0x701
	v_mul_f64_e32 v[190:191], v[4:5], v[188:189]
	v_mul_f64_e32 v[188:189], v[6:7], v[188:189]
	s_wait_loadcnt_dscnt 0x600
	v_mul_f64_e32 v[162:163], v[8:9], v[14:15]
	v_mul_f64_e32 v[14:15], v[10:11], v[14:15]
	v_add_f64_e32 v[144:145], v[180:181], v[178:179]
	v_add_f64_e32 v[154:155], v[154:155], v[200:201]
	v_fmac_f64_e32 v[190:191], v[6:7], v[186:187]
	v_fma_f64 v[164:165], v[4:5], v[186:187], -v[188:189]
	v_fmac_f64_e32 v[162:163], v[10:11], v[12:13]
	v_fma_f64 v[8:9], v[8:9], v[12:13], -v[14:15]
	v_add_f64_e32 v[178:179], v[144:145], v[142:143]
	v_add_f64_e32 v[154:155], v[154:155], v[156:157]
	ds_load_b128 v[4:7], v2 offset:1888
	ds_load_b128 v[142:145], v2 offset:1904
	s_wait_loadcnt_dscnt 0x501
	v_mul_f64_e32 v[156:157], v[4:5], v[168:169]
	v_mul_f64_e32 v[168:169], v[6:7], v[168:169]
	s_wait_loadcnt_dscnt 0x400
	v_mul_f64_e32 v[14:15], v[142:143], v[148:149]
	v_mul_f64_e32 v[148:149], v[144:145], v[148:149]
	v_add_f64_e32 v[10:11], v[178:179], v[164:165]
	v_add_f64_e32 v[12:13], v[154:155], v[190:191]
	v_fmac_f64_e32 v[156:157], v[6:7], v[166:167]
	v_fma_f64 v[154:155], v[4:5], v[166:167], -v[168:169]
	v_fmac_f64_e32 v[14:15], v[144:145], v[146:147]
	v_fma_f64 v[142:143], v[142:143], v[146:147], -v[148:149]
	v_add_f64_e32 v[164:165], v[10:11], v[8:9]
	v_add_f64_e32 v[12:13], v[12:13], v[162:163]
	ds_load_b128 v[4:7], v2 offset:1920
	ds_load_b128 v[8:11], v2 offset:1936
	s_wait_loadcnt_dscnt 0x301
	v_mul_f64_e32 v[162:163], v[4:5], v[172:173]
	v_mul_f64_e32 v[166:167], v[6:7], v[172:173]
	s_wait_loadcnt_dscnt 0x200
	v_mul_f64_e32 v[146:147], v[8:9], v[152:153]
	v_mul_f64_e32 v[148:149], v[10:11], v[152:153]
	v_add_f64_e32 v[144:145], v[164:165], v[154:155]
	v_add_f64_e32 v[12:13], v[12:13], v[156:157]
	v_fmac_f64_e32 v[162:163], v[6:7], v[170:171]
	v_fma_f64 v[152:153], v[4:5], v[170:171], -v[166:167]
	v_fmac_f64_e32 v[146:147], v[10:11], v[150:151]
	v_fma_f64 v[8:9], v[8:9], v[150:151], -v[148:149]
	v_add_f64_e32 v[142:143], v[144:145], v[142:143]
	v_add_f64_e32 v[144:145], v[12:13], v[14:15]
	ds_load_b128 v[4:7], v2 offset:1952
	ds_load_b128 v[12:15], v2 offset:1968
	s_wait_loadcnt_dscnt 0x101
	v_mul_f64_e32 v[2:3], v[4:5], v[176:177]
	v_mul_f64_e32 v[154:155], v[6:7], v[176:177]
	s_wait_loadcnt_dscnt 0x0
	v_mul_f64_e32 v[148:149], v[14:15], v[160:161]
	v_add_f64_e32 v[10:11], v[142:143], v[152:153]
	v_add_f64_e32 v[142:143], v[144:145], v[162:163]
	v_mul_f64_e32 v[144:145], v[12:13], v[160:161]
	v_fmac_f64_e32 v[2:3], v[6:7], v[174:175]
	v_fma_f64 v[4:5], v[4:5], v[174:175], -v[154:155]
	v_add_f64_e32 v[6:7], v[10:11], v[8:9]
	v_add_f64_e32 v[8:9], v[142:143], v[146:147]
	v_fmac_f64_e32 v[144:145], v[14:15], v[158:159]
	v_fma_f64 v[10:11], v[12:13], v[158:159], -v[148:149]
	s_delay_alu instid0(VALU_DEP_4) | instskip(NEXT) | instid1(VALU_DEP_4)
	v_add_f64_e32 v[4:5], v[6:7], v[4:5]
	v_add_f64_e32 v[2:3], v[8:9], v[2:3]
	s_delay_alu instid0(VALU_DEP_2) | instskip(NEXT) | instid1(VALU_DEP_2)
	v_add_f64_e32 v[4:5], v[4:5], v[10:11]
	v_add_f64_e32 v[6:7], v[2:3], v[144:145]
	s_delay_alu instid0(VALU_DEP_2) | instskip(NEXT) | instid1(VALU_DEP_2)
	v_add_f64_e64 v[2:3], v[182:183], -v[4:5]
	v_add_f64_e64 v[4:5], v[184:185], -v[6:7]
	scratch_store_b128 off, v[2:5], off offset:208
	s_wait_xcnt 0x0
	v_cmpx_lt_u32_e32 12, v1
	s_cbranch_execz .LBB125_373
; %bb.372:
	scratch_load_b128 v[2:5], off, s68
	v_mov_b32_e32 v6, 0
	s_delay_alu instid0(VALU_DEP_1)
	v_dual_mov_b32 v7, v6 :: v_dual_mov_b32 v8, v6
	v_mov_b32_e32 v9, v6
	scratch_store_b128 off, v[6:9], off offset:192
	s_wait_loadcnt 0x0
	ds_store_b128 v16, v[2:5]
.LBB125_373:
	s_wait_xcnt 0x0
	s_or_b32 exec_lo, exec_lo, s2
	s_wait_storecnt_dscnt 0x0
	s_barrier_signal -1
	s_barrier_wait -1
	s_clause 0x9
	scratch_load_b128 v[4:7], off, off offset:208
	scratch_load_b128 v[8:11], off, off offset:224
	;; [unrolled: 1-line block ×10, first 2 shown]
	v_mov_b32_e32 v2, 0
	s_mov_b32 s2, exec_lo
	ds_load_b128 v[170:173], v2 offset:1200
	s_clause 0x2
	scratch_load_b128 v[174:177], off, off offset:368
	scratch_load_b128 v[178:181], off, off offset:192
	;; [unrolled: 1-line block ×3, first 2 shown]
	s_wait_loadcnt_dscnt 0xc00
	v_mul_f64_e32 v[190:191], v[172:173], v[6:7]
	v_mul_f64_e32 v[194:195], v[170:171], v[6:7]
	ds_load_b128 v[182:185], v2 offset:1216
	v_fma_f64 v[198:199], v[170:171], v[4:5], -v[190:191]
	v_fmac_f64_e32 v[194:195], v[172:173], v[4:5]
	ds_load_b128 v[4:7], v2 offset:1232
	s_wait_loadcnt_dscnt 0xb01
	v_mul_f64_e32 v[196:197], v[182:183], v[10:11]
	v_mul_f64_e32 v[10:11], v[184:185], v[10:11]
	scratch_load_b128 v[170:173], off, off offset:400
	ds_load_b128 v[190:193], v2 offset:1248
	s_wait_loadcnt_dscnt 0xb01
	v_mul_f64_e32 v[200:201], v[4:5], v[14:15]
	v_mul_f64_e32 v[14:15], v[6:7], v[14:15]
	v_add_f64_e32 v[194:195], 0, v[194:195]
	v_fmac_f64_e32 v[196:197], v[184:185], v[8:9]
	v_fma_f64 v[182:183], v[182:183], v[8:9], -v[10:11]
	v_add_f64_e32 v[184:185], 0, v[198:199]
	scratch_load_b128 v[8:11], off, off offset:416
	v_fmac_f64_e32 v[200:201], v[6:7], v[12:13]
	v_fma_f64 v[202:203], v[4:5], v[12:13], -v[14:15]
	ds_load_b128 v[4:7], v2 offset:1264
	s_wait_loadcnt_dscnt 0xb01
	v_mul_f64_e32 v[198:199], v[190:191], v[144:145]
	v_mul_f64_e32 v[144:145], v[192:193], v[144:145]
	scratch_load_b128 v[12:15], off, off offset:432
	v_add_f64_e32 v[194:195], v[194:195], v[196:197]
	v_add_f64_e32 v[204:205], v[184:185], v[182:183]
	ds_load_b128 v[182:185], v2 offset:1280
	s_wait_loadcnt_dscnt 0xb01
	v_mul_f64_e32 v[196:197], v[4:5], v[148:149]
	v_mul_f64_e32 v[148:149], v[6:7], v[148:149]
	v_fmac_f64_e32 v[198:199], v[192:193], v[142:143]
	v_fma_f64 v[190:191], v[190:191], v[142:143], -v[144:145]
	scratch_load_b128 v[142:145], off, off offset:448
	v_add_f64_e32 v[194:195], v[194:195], v[200:201]
	v_add_f64_e32 v[192:193], v[204:205], v[202:203]
	v_fmac_f64_e32 v[196:197], v[6:7], v[146:147]
	v_fma_f64 v[202:203], v[4:5], v[146:147], -v[148:149]
	ds_load_b128 v[4:7], v2 offset:1296
	s_wait_loadcnt_dscnt 0xb01
	v_mul_f64_e32 v[200:201], v[182:183], v[152:153]
	v_mul_f64_e32 v[152:153], v[184:185], v[152:153]
	scratch_load_b128 v[146:149], off, off offset:464
	v_add_f64_e32 v[194:195], v[194:195], v[198:199]
	s_wait_loadcnt_dscnt 0xb00
	v_mul_f64_e32 v[198:199], v[4:5], v[156:157]
	v_add_f64_e32 v[204:205], v[192:193], v[190:191]
	v_mul_f64_e32 v[156:157], v[6:7], v[156:157]
	ds_load_b128 v[190:193], v2 offset:1312
	v_fmac_f64_e32 v[200:201], v[184:185], v[150:151]
	v_fma_f64 v[182:183], v[182:183], v[150:151], -v[152:153]
	scratch_load_b128 v[150:153], off, off offset:480
	v_add_f64_e32 v[194:195], v[194:195], v[196:197]
	v_fmac_f64_e32 v[198:199], v[6:7], v[154:155]
	v_add_f64_e32 v[184:185], v[204:205], v[202:203]
	v_fma_f64 v[202:203], v[4:5], v[154:155], -v[156:157]
	ds_load_b128 v[4:7], v2 offset:1328
	s_wait_loadcnt_dscnt 0xb01
	v_mul_f64_e32 v[196:197], v[190:191], v[160:161]
	v_mul_f64_e32 v[160:161], v[192:193], v[160:161]
	scratch_load_b128 v[154:157], off, off offset:496
	v_add_f64_e32 v[194:195], v[194:195], v[200:201]
	s_wait_loadcnt_dscnt 0xb00
	v_mul_f64_e32 v[200:201], v[4:5], v[164:165]
	v_add_f64_e32 v[204:205], v[184:185], v[182:183]
	v_mul_f64_e32 v[164:165], v[6:7], v[164:165]
	ds_load_b128 v[182:185], v2 offset:1344
	v_fmac_f64_e32 v[196:197], v[192:193], v[158:159]
	v_fma_f64 v[190:191], v[190:191], v[158:159], -v[160:161]
	scratch_load_b128 v[158:161], off, off offset:512
	v_add_f64_e32 v[194:195], v[194:195], v[198:199]
	v_fmac_f64_e32 v[200:201], v[6:7], v[162:163]
	v_add_f64_e32 v[192:193], v[204:205], v[202:203]
	;; [unrolled: 18-line block ×3, first 2 shown]
	v_fma_f64 v[202:203], v[4:5], v[174:175], -v[176:177]
	ds_load_b128 v[4:7], v2 offset:1392
	s_wait_loadcnt_dscnt 0xa01
	v_mul_f64_e32 v[200:201], v[190:191], v[188:189]
	v_mul_f64_e32 v[188:189], v[192:193], v[188:189]
	scratch_load_b128 v[174:177], off, off offset:560
	v_add_f64_e32 v[194:195], v[194:195], v[198:199]
	v_add_f64_e32 v[204:205], v[184:185], v[182:183]
	s_wait_loadcnt_dscnt 0xa00
	v_mul_f64_e32 v[198:199], v[4:5], v[172:173]
	v_mul_f64_e32 v[172:173], v[6:7], v[172:173]
	v_fmac_f64_e32 v[200:201], v[192:193], v[186:187]
	v_fma_f64 v[190:191], v[190:191], v[186:187], -v[188:189]
	ds_load_b128 v[182:185], v2 offset:1408
	scratch_load_b128 v[186:189], off, off offset:576
	v_add_f64_e32 v[194:195], v[194:195], v[196:197]
	v_add_f64_e32 v[192:193], v[204:205], v[202:203]
	v_fmac_f64_e32 v[198:199], v[6:7], v[170:171]
	v_fma_f64 v[202:203], v[4:5], v[170:171], -v[172:173]
	ds_load_b128 v[4:7], v2 offset:1424
	s_wait_loadcnt_dscnt 0xa01
	v_mul_f64_e32 v[196:197], v[182:183], v[10:11]
	v_mul_f64_e32 v[10:11], v[184:185], v[10:11]
	scratch_load_b128 v[170:173], off, off offset:592
	v_add_f64_e32 v[194:195], v[194:195], v[200:201]
	s_wait_loadcnt_dscnt 0xa00
	v_mul_f64_e32 v[200:201], v[4:5], v[14:15]
	v_add_f64_e32 v[204:205], v[192:193], v[190:191]
	v_mul_f64_e32 v[14:15], v[6:7], v[14:15]
	ds_load_b128 v[190:193], v2 offset:1440
	v_fmac_f64_e32 v[196:197], v[184:185], v[8:9]
	v_fma_f64 v[182:183], v[182:183], v[8:9], -v[10:11]
	scratch_load_b128 v[8:11], off, off offset:608
	v_add_f64_e32 v[194:195], v[194:195], v[198:199]
	v_fmac_f64_e32 v[200:201], v[6:7], v[12:13]
	v_add_f64_e32 v[184:185], v[204:205], v[202:203]
	v_fma_f64 v[202:203], v[4:5], v[12:13], -v[14:15]
	ds_load_b128 v[4:7], v2 offset:1456
	s_wait_loadcnt_dscnt 0xa01
	v_mul_f64_e32 v[198:199], v[190:191], v[144:145]
	v_mul_f64_e32 v[144:145], v[192:193], v[144:145]
	scratch_load_b128 v[12:15], off, off offset:624
	v_add_f64_e32 v[194:195], v[194:195], v[196:197]
	s_wait_loadcnt_dscnt 0xa00
	v_mul_f64_e32 v[196:197], v[4:5], v[148:149]
	v_add_f64_e32 v[204:205], v[184:185], v[182:183]
	v_mul_f64_e32 v[148:149], v[6:7], v[148:149]
	ds_load_b128 v[182:185], v2 offset:1472
	v_fmac_f64_e32 v[198:199], v[192:193], v[142:143]
	v_fma_f64 v[190:191], v[190:191], v[142:143], -v[144:145]
	scratch_load_b128 v[142:145], off, off offset:640
	v_add_f64_e32 v[194:195], v[194:195], v[200:201]
	v_fmac_f64_e32 v[196:197], v[6:7], v[146:147]
	v_add_f64_e32 v[192:193], v[204:205], v[202:203]
	;; [unrolled: 18-line block ×12, first 2 shown]
	v_fma_f64 v[202:203], v[4:5], v[170:171], -v[172:173]
	ds_load_b128 v[4:7], v2 offset:1808
	s_wait_loadcnt_dscnt 0xa01
	v_mul_f64_e32 v[196:197], v[182:183], v[10:11]
	v_mul_f64_e32 v[10:11], v[184:185], v[10:11]
	scratch_load_b128 v[170:173], off, off offset:976
	v_add_f64_e32 v[194:195], v[194:195], v[200:201]
	s_wait_loadcnt_dscnt 0xa00
	v_mul_f64_e32 v[200:201], v[4:5], v[14:15]
	v_add_f64_e32 v[204:205], v[192:193], v[190:191]
	v_mul_f64_e32 v[14:15], v[6:7], v[14:15]
	ds_load_b128 v[190:193], v2 offset:1824
	v_fmac_f64_e32 v[196:197], v[184:185], v[8:9]
	v_fma_f64 v[8:9], v[182:183], v[8:9], -v[10:11]
	s_wait_loadcnt_dscnt 0x900
	v_mul_f64_e32 v[184:185], v[190:191], v[144:145]
	v_mul_f64_e32 v[144:145], v[192:193], v[144:145]
	v_add_f64_e32 v[182:183], v[194:195], v[198:199]
	v_fmac_f64_e32 v[200:201], v[6:7], v[12:13]
	v_add_f64_e32 v[10:11], v[204:205], v[202:203]
	v_fma_f64 v[12:13], v[4:5], v[12:13], -v[14:15]
	v_fmac_f64_e32 v[184:185], v[192:193], v[142:143]
	v_fma_f64 v[142:143], v[190:191], v[142:143], -v[144:145]
	v_add_f64_e32 v[182:183], v[182:183], v[196:197]
	v_add_f64_e32 v[14:15], v[10:11], v[8:9]
	ds_load_b128 v[4:7], v2 offset:1840
	ds_load_b128 v[8:11], v2 offset:1856
	s_wait_loadcnt_dscnt 0x801
	v_mul_f64_e32 v[194:195], v[4:5], v[148:149]
	v_mul_f64_e32 v[148:149], v[6:7], v[148:149]
	s_wait_loadcnt_dscnt 0x700
	v_mul_f64_e32 v[144:145], v[8:9], v[152:153]
	v_mul_f64_e32 v[152:153], v[10:11], v[152:153]
	v_add_f64_e32 v[12:13], v[14:15], v[12:13]
	v_add_f64_e32 v[14:15], v[182:183], v[200:201]
	v_fmac_f64_e32 v[194:195], v[6:7], v[146:147]
	v_fma_f64 v[146:147], v[4:5], v[146:147], -v[148:149]
	v_fmac_f64_e32 v[144:145], v[10:11], v[150:151]
	v_fma_f64 v[8:9], v[8:9], v[150:151], -v[152:153]
	v_add_f64_e32 v[142:143], v[12:13], v[142:143]
	v_add_f64_e32 v[148:149], v[14:15], v[184:185]
	ds_load_b128 v[4:7], v2 offset:1872
	ds_load_b128 v[12:15], v2 offset:1888
	s_wait_loadcnt_dscnt 0x601
	v_mul_f64_e32 v[182:183], v[4:5], v[156:157]
	v_mul_f64_e32 v[156:157], v[6:7], v[156:157]
	v_add_f64_e32 v[10:11], v[142:143], v[146:147]
	v_add_f64_e32 v[142:143], v[148:149], v[194:195]
	s_wait_loadcnt_dscnt 0x500
	v_mul_f64_e32 v[146:147], v[12:13], v[160:161]
	v_mul_f64_e32 v[148:149], v[14:15], v[160:161]
	v_fmac_f64_e32 v[182:183], v[6:7], v[154:155]
	v_fma_f64 v[150:151], v[4:5], v[154:155], -v[156:157]
	v_add_f64_e32 v[152:153], v[10:11], v[8:9]
	v_add_f64_e32 v[142:143], v[142:143], v[144:145]
	ds_load_b128 v[4:7], v2 offset:1904
	ds_load_b128 v[8:11], v2 offset:1920
	v_fmac_f64_e32 v[146:147], v[14:15], v[158:159]
	v_fma_f64 v[12:13], v[12:13], v[158:159], -v[148:149]
	s_wait_loadcnt_dscnt 0x401
	v_mul_f64_e32 v[144:145], v[4:5], v[164:165]
	v_mul_f64_e32 v[154:155], v[6:7], v[164:165]
	s_wait_loadcnt_dscnt 0x300
	v_mul_f64_e32 v[148:149], v[8:9], v[168:169]
	v_add_f64_e32 v[14:15], v[152:153], v[150:151]
	v_add_f64_e32 v[142:143], v[142:143], v[182:183]
	v_mul_f64_e32 v[150:151], v[10:11], v[168:169]
	v_fmac_f64_e32 v[144:145], v[6:7], v[162:163]
	v_fma_f64 v[152:153], v[4:5], v[162:163], -v[154:155]
	v_fmac_f64_e32 v[148:149], v[10:11], v[166:167]
	v_add_f64_e32 v[154:155], v[14:15], v[12:13]
	v_add_f64_e32 v[142:143], v[142:143], v[146:147]
	ds_load_b128 v[4:7], v2 offset:1936
	ds_load_b128 v[12:15], v2 offset:1952
	v_fma_f64 v[8:9], v[8:9], v[166:167], -v[150:151]
	s_wait_loadcnt_dscnt 0x201
	v_mul_f64_e32 v[146:147], v[4:5], v[176:177]
	v_mul_f64_e32 v[156:157], v[6:7], v[176:177]
	s_wait_loadcnt_dscnt 0x100
	v_mul_f64_e32 v[150:151], v[14:15], v[188:189]
	v_add_f64_e32 v[10:11], v[154:155], v[152:153]
	v_add_f64_e32 v[142:143], v[142:143], v[144:145]
	v_mul_f64_e32 v[144:145], v[12:13], v[188:189]
	v_fmac_f64_e32 v[146:147], v[6:7], v[174:175]
	v_fma_f64 v[152:153], v[4:5], v[174:175], -v[156:157]
	ds_load_b128 v[4:7], v2 offset:1968
	v_fma_f64 v[12:13], v[12:13], v[186:187], -v[150:151]
	v_add_f64_e32 v[8:9], v[10:11], v[8:9]
	v_add_f64_e32 v[10:11], v[142:143], v[148:149]
	v_fmac_f64_e32 v[144:145], v[14:15], v[186:187]
	s_wait_loadcnt_dscnt 0x0
	v_mul_f64_e32 v[142:143], v[4:5], v[172:173]
	v_mul_f64_e32 v[148:149], v[6:7], v[172:173]
	v_add_f64_e32 v[8:9], v[8:9], v[152:153]
	v_add_f64_e32 v[10:11], v[10:11], v[146:147]
	s_delay_alu instid0(VALU_DEP_4) | instskip(NEXT) | instid1(VALU_DEP_4)
	v_fmac_f64_e32 v[142:143], v[6:7], v[170:171]
	v_fma_f64 v[4:5], v[4:5], v[170:171], -v[148:149]
	s_delay_alu instid0(VALU_DEP_4) | instskip(NEXT) | instid1(VALU_DEP_4)
	v_add_f64_e32 v[6:7], v[8:9], v[12:13]
	v_add_f64_e32 v[8:9], v[10:11], v[144:145]
	s_delay_alu instid0(VALU_DEP_2) | instskip(NEXT) | instid1(VALU_DEP_2)
	v_add_f64_e32 v[4:5], v[6:7], v[4:5]
	v_add_f64_e32 v[6:7], v[8:9], v[142:143]
	s_delay_alu instid0(VALU_DEP_2) | instskip(NEXT) | instid1(VALU_DEP_2)
	v_add_f64_e64 v[4:5], v[178:179], -v[4:5]
	v_add_f64_e64 v[6:7], v[180:181], -v[6:7]
	scratch_store_b128 off, v[4:7], off offset:192
	s_wait_xcnt 0x0
	v_cmpx_lt_u32_e32 11, v1
	s_cbranch_execz .LBB125_375
; %bb.374:
	scratch_load_b128 v[6:9], off, s69
	v_dual_mov_b32 v3, v2 :: v_dual_mov_b32 v4, v2
	v_mov_b32_e32 v5, v2
	scratch_store_b128 off, v[2:5], off offset:176
	s_wait_loadcnt 0x0
	ds_store_b128 v16, v[6:9]
.LBB125_375:
	s_wait_xcnt 0x0
	s_or_b32 exec_lo, exec_lo, s2
	s_wait_storecnt_dscnt 0x0
	s_barrier_signal -1
	s_barrier_wait -1
	s_clause 0x9
	scratch_load_b128 v[4:7], off, off offset:192
	scratch_load_b128 v[8:11], off, off offset:208
	;; [unrolled: 1-line block ×10, first 2 shown]
	ds_load_b128 v[170:173], v2 offset:1184
	ds_load_b128 v[178:181], v2 offset:1200
	s_clause 0x2
	scratch_load_b128 v[174:177], off, off offset:352
	scratch_load_b128 v[182:185], off, off offset:176
	;; [unrolled: 1-line block ×3, first 2 shown]
	s_mov_b32 s2, exec_lo
	s_wait_loadcnt_dscnt 0xc01
	v_mul_f64_e32 v[190:191], v[172:173], v[6:7]
	v_mul_f64_e32 v[194:195], v[170:171], v[6:7]
	s_wait_loadcnt_dscnt 0xb00
	v_mul_f64_e32 v[196:197], v[178:179], v[10:11]
	v_mul_f64_e32 v[10:11], v[180:181], v[10:11]
	s_delay_alu instid0(VALU_DEP_4) | instskip(NEXT) | instid1(VALU_DEP_4)
	v_fma_f64 v[198:199], v[170:171], v[4:5], -v[190:191]
	v_fmac_f64_e32 v[194:195], v[172:173], v[4:5]
	ds_load_b128 v[4:7], v2 offset:1216
	ds_load_b128 v[170:173], v2 offset:1232
	scratch_load_b128 v[190:193], off, off offset:384
	v_fmac_f64_e32 v[196:197], v[180:181], v[8:9]
	v_fma_f64 v[178:179], v[178:179], v[8:9], -v[10:11]
	scratch_load_b128 v[8:11], off, off offset:400
	s_wait_loadcnt_dscnt 0xc01
	v_mul_f64_e32 v[200:201], v[4:5], v[14:15]
	v_mul_f64_e32 v[14:15], v[6:7], v[14:15]
	v_add_f64_e32 v[180:181], 0, v[198:199]
	v_add_f64_e32 v[194:195], 0, v[194:195]
	s_wait_loadcnt_dscnt 0xb00
	v_mul_f64_e32 v[198:199], v[170:171], v[144:145]
	v_mul_f64_e32 v[144:145], v[172:173], v[144:145]
	v_fmac_f64_e32 v[200:201], v[6:7], v[12:13]
	v_fma_f64 v[202:203], v[4:5], v[12:13], -v[14:15]
	ds_load_b128 v[4:7], v2 offset:1248
	ds_load_b128 v[12:15], v2 offset:1264
	v_add_f64_e32 v[204:205], v[180:181], v[178:179]
	v_add_f64_e32 v[194:195], v[194:195], v[196:197]
	scratch_load_b128 v[178:181], off, off offset:416
	v_fmac_f64_e32 v[198:199], v[172:173], v[142:143]
	v_fma_f64 v[170:171], v[170:171], v[142:143], -v[144:145]
	scratch_load_b128 v[142:145], off, off offset:432
	s_wait_loadcnt_dscnt 0xc01
	v_mul_f64_e32 v[196:197], v[4:5], v[148:149]
	v_mul_f64_e32 v[148:149], v[6:7], v[148:149]
	v_add_f64_e32 v[172:173], v[204:205], v[202:203]
	v_add_f64_e32 v[194:195], v[194:195], v[200:201]
	s_wait_loadcnt_dscnt 0xb00
	v_mul_f64_e32 v[200:201], v[12:13], v[152:153]
	v_mul_f64_e32 v[152:153], v[14:15], v[152:153]
	v_fmac_f64_e32 v[196:197], v[6:7], v[146:147]
	v_fma_f64 v[202:203], v[4:5], v[146:147], -v[148:149]
	ds_load_b128 v[4:7], v2 offset:1280
	ds_load_b128 v[146:149], v2 offset:1296
	v_add_f64_e32 v[204:205], v[172:173], v[170:171]
	v_add_f64_e32 v[194:195], v[194:195], v[198:199]
	scratch_load_b128 v[170:173], off, off offset:448
	s_wait_loadcnt_dscnt 0xb01
	v_mul_f64_e32 v[198:199], v[4:5], v[156:157]
	v_mul_f64_e32 v[156:157], v[6:7], v[156:157]
	v_fmac_f64_e32 v[200:201], v[14:15], v[150:151]
	v_fma_f64 v[150:151], v[12:13], v[150:151], -v[152:153]
	scratch_load_b128 v[12:15], off, off offset:464
	v_add_f64_e32 v[152:153], v[204:205], v[202:203]
	v_add_f64_e32 v[194:195], v[194:195], v[196:197]
	s_wait_loadcnt_dscnt 0xb00
	v_mul_f64_e32 v[196:197], v[146:147], v[160:161]
	v_mul_f64_e32 v[160:161], v[148:149], v[160:161]
	v_fmac_f64_e32 v[198:199], v[6:7], v[154:155]
	v_fma_f64 v[202:203], v[4:5], v[154:155], -v[156:157]
	v_add_f64_e32 v[204:205], v[152:153], v[150:151]
	v_add_f64_e32 v[194:195], v[194:195], v[200:201]
	ds_load_b128 v[4:7], v2 offset:1312
	ds_load_b128 v[150:153], v2 offset:1328
	scratch_load_b128 v[154:157], off, off offset:480
	v_fmac_f64_e32 v[196:197], v[148:149], v[158:159]
	v_fma_f64 v[158:159], v[146:147], v[158:159], -v[160:161]
	scratch_load_b128 v[146:149], off, off offset:496
	s_wait_loadcnt_dscnt 0xc01
	v_mul_f64_e32 v[200:201], v[4:5], v[164:165]
	v_mul_f64_e32 v[164:165], v[6:7], v[164:165]
	v_add_f64_e32 v[160:161], v[204:205], v[202:203]
	v_add_f64_e32 v[194:195], v[194:195], v[198:199]
	s_wait_loadcnt_dscnt 0xb00
	v_mul_f64_e32 v[198:199], v[150:151], v[168:169]
	v_mul_f64_e32 v[168:169], v[152:153], v[168:169]
	v_fmac_f64_e32 v[200:201], v[6:7], v[162:163]
	v_fma_f64 v[202:203], v[4:5], v[162:163], -v[164:165]
	v_add_f64_e32 v[204:205], v[160:161], v[158:159]
	v_add_f64_e32 v[194:195], v[194:195], v[196:197]
	ds_load_b128 v[4:7], v2 offset:1344
	ds_load_b128 v[158:161], v2 offset:1360
	scratch_load_b128 v[162:165], off, off offset:512
	v_fmac_f64_e32 v[198:199], v[152:153], v[166:167]
	v_fma_f64 v[166:167], v[150:151], v[166:167], -v[168:169]
	scratch_load_b128 v[150:153], off, off offset:528
	s_wait_loadcnt_dscnt 0xc01
	v_mul_f64_e32 v[196:197], v[4:5], v[176:177]
	v_mul_f64_e32 v[176:177], v[6:7], v[176:177]
	v_add_f64_e32 v[168:169], v[204:205], v[202:203]
	v_add_f64_e32 v[194:195], v[194:195], v[200:201]
	s_wait_loadcnt_dscnt 0xa00
	v_mul_f64_e32 v[200:201], v[158:159], v[188:189]
	v_mul_f64_e32 v[188:189], v[160:161], v[188:189]
	v_fmac_f64_e32 v[196:197], v[6:7], v[174:175]
	v_fma_f64 v[202:203], v[4:5], v[174:175], -v[176:177]
	v_add_f64_e32 v[204:205], v[168:169], v[166:167]
	v_add_f64_e32 v[194:195], v[194:195], v[198:199]
	ds_load_b128 v[4:7], v2 offset:1376
	ds_load_b128 v[166:169], v2 offset:1392
	scratch_load_b128 v[174:177], off, off offset:544
	v_fmac_f64_e32 v[200:201], v[160:161], v[186:187]
	v_fma_f64 v[186:187], v[158:159], v[186:187], -v[188:189]
	scratch_load_b128 v[158:161], off, off offset:560
	s_wait_loadcnt_dscnt 0xb01
	v_mul_f64_e32 v[198:199], v[4:5], v[192:193]
	v_mul_f64_e32 v[192:193], v[6:7], v[192:193]
	v_add_f64_e32 v[188:189], v[204:205], v[202:203]
	v_add_f64_e32 v[194:195], v[194:195], v[196:197]
	s_wait_loadcnt_dscnt 0xa00
	v_mul_f64_e32 v[196:197], v[166:167], v[10:11]
	v_mul_f64_e32 v[10:11], v[168:169], v[10:11]
	v_fmac_f64_e32 v[198:199], v[6:7], v[190:191]
	v_fma_f64 v[202:203], v[4:5], v[190:191], -v[192:193]
	v_add_f64_e32 v[204:205], v[188:189], v[186:187]
	v_add_f64_e32 v[194:195], v[194:195], v[200:201]
	ds_load_b128 v[4:7], v2 offset:1408
	ds_load_b128 v[186:189], v2 offset:1424
	scratch_load_b128 v[190:193], off, off offset:576
	v_fmac_f64_e32 v[196:197], v[168:169], v[8:9]
	v_fma_f64 v[166:167], v[166:167], v[8:9], -v[10:11]
	scratch_load_b128 v[8:11], off, off offset:592
	s_wait_loadcnt_dscnt 0xb01
	v_mul_f64_e32 v[200:201], v[4:5], v[180:181]
	v_mul_f64_e32 v[180:181], v[6:7], v[180:181]
	v_add_f64_e32 v[168:169], v[204:205], v[202:203]
	v_add_f64_e32 v[194:195], v[194:195], v[198:199]
	s_wait_loadcnt_dscnt 0xa00
	v_mul_f64_e32 v[198:199], v[186:187], v[144:145]
	v_mul_f64_e32 v[144:145], v[188:189], v[144:145]
	v_fmac_f64_e32 v[200:201], v[6:7], v[178:179]
	v_fma_f64 v[202:203], v[4:5], v[178:179], -v[180:181]
	v_add_f64_e32 v[204:205], v[168:169], v[166:167]
	v_add_f64_e32 v[194:195], v[194:195], v[196:197]
	ds_load_b128 v[4:7], v2 offset:1440
	ds_load_b128 v[166:169], v2 offset:1456
	scratch_load_b128 v[178:181], off, off offset:608
	v_fmac_f64_e32 v[198:199], v[188:189], v[142:143]
	v_fma_f64 v[186:187], v[186:187], v[142:143], -v[144:145]
	scratch_load_b128 v[142:145], off, off offset:624
	s_wait_loadcnt_dscnt 0xb01
	v_mul_f64_e32 v[196:197], v[4:5], v[172:173]
	v_mul_f64_e32 v[172:173], v[6:7], v[172:173]
	v_add_f64_e32 v[188:189], v[204:205], v[202:203]
	v_add_f64_e32 v[194:195], v[194:195], v[200:201]
	s_wait_loadcnt_dscnt 0xa00
	v_mul_f64_e32 v[200:201], v[166:167], v[14:15]
	v_mul_f64_e32 v[14:15], v[168:169], v[14:15]
	v_fmac_f64_e32 v[196:197], v[6:7], v[170:171]
	v_fma_f64 v[202:203], v[4:5], v[170:171], -v[172:173]
	ds_load_b128 v[4:7], v2 offset:1472
	ds_load_b128 v[170:173], v2 offset:1488
	v_add_f64_e32 v[204:205], v[188:189], v[186:187]
	v_add_f64_e32 v[194:195], v[194:195], v[198:199]
	scratch_load_b128 v[186:189], off, off offset:640
	v_fmac_f64_e32 v[200:201], v[168:169], v[12:13]
	v_fma_f64 v[166:167], v[166:167], v[12:13], -v[14:15]
	scratch_load_b128 v[12:15], off, off offset:656
	s_wait_loadcnt_dscnt 0xb01
	v_mul_f64_e32 v[198:199], v[4:5], v[156:157]
	v_mul_f64_e32 v[156:157], v[6:7], v[156:157]
	v_add_f64_e32 v[168:169], v[204:205], v[202:203]
	v_add_f64_e32 v[194:195], v[194:195], v[196:197]
	s_wait_loadcnt_dscnt 0xa00
	v_mul_f64_e32 v[196:197], v[170:171], v[148:149]
	v_mul_f64_e32 v[148:149], v[172:173], v[148:149]
	v_fmac_f64_e32 v[198:199], v[6:7], v[154:155]
	v_fma_f64 v[202:203], v[4:5], v[154:155], -v[156:157]
	ds_load_b128 v[4:7], v2 offset:1504
	ds_load_b128 v[154:157], v2 offset:1520
	v_add_f64_e32 v[204:205], v[168:169], v[166:167]
	v_add_f64_e32 v[194:195], v[194:195], v[200:201]
	scratch_load_b128 v[166:169], off, off offset:672
	s_wait_loadcnt_dscnt 0xa01
	v_mul_f64_e32 v[200:201], v[4:5], v[164:165]
	v_mul_f64_e32 v[164:165], v[6:7], v[164:165]
	v_fmac_f64_e32 v[196:197], v[172:173], v[146:147]
	v_fma_f64 v[170:171], v[170:171], v[146:147], -v[148:149]
	scratch_load_b128 v[146:149], off, off offset:688
	v_add_f64_e32 v[172:173], v[204:205], v[202:203]
	v_add_f64_e32 v[194:195], v[194:195], v[198:199]
	s_wait_loadcnt_dscnt 0xa00
	v_mul_f64_e32 v[198:199], v[154:155], v[152:153]
	v_mul_f64_e32 v[152:153], v[156:157], v[152:153]
	v_fmac_f64_e32 v[200:201], v[6:7], v[162:163]
	v_fma_f64 v[202:203], v[4:5], v[162:163], -v[164:165]
	ds_load_b128 v[4:7], v2 offset:1536
	ds_load_b128 v[162:165], v2 offset:1552
	v_add_f64_e32 v[204:205], v[172:173], v[170:171]
	v_add_f64_e32 v[194:195], v[194:195], v[196:197]
	scratch_load_b128 v[170:173], off, off offset:704
	s_wait_loadcnt_dscnt 0xa01
	v_mul_f64_e32 v[196:197], v[4:5], v[176:177]
	v_mul_f64_e32 v[176:177], v[6:7], v[176:177]
	v_fmac_f64_e32 v[198:199], v[156:157], v[150:151]
	v_fma_f64 v[154:155], v[154:155], v[150:151], -v[152:153]
	scratch_load_b128 v[150:153], off, off offset:720
	v_add_f64_e32 v[156:157], v[204:205], v[202:203]
	v_add_f64_e32 v[194:195], v[194:195], v[200:201]
	s_wait_loadcnt_dscnt 0xa00
	v_mul_f64_e32 v[200:201], v[162:163], v[160:161]
	v_mul_f64_e32 v[160:161], v[164:165], v[160:161]
	v_fmac_f64_e32 v[196:197], v[6:7], v[174:175]
	v_fma_f64 v[202:203], v[4:5], v[174:175], -v[176:177]
	v_add_f64_e32 v[204:205], v[156:157], v[154:155]
	v_add_f64_e32 v[194:195], v[194:195], v[198:199]
	ds_load_b128 v[4:7], v2 offset:1568
	ds_load_b128 v[154:157], v2 offset:1584
	scratch_load_b128 v[174:177], off, off offset:736
	v_fmac_f64_e32 v[200:201], v[164:165], v[158:159]
	v_fma_f64 v[162:163], v[162:163], v[158:159], -v[160:161]
	scratch_load_b128 v[158:161], off, off offset:752
	s_wait_loadcnt_dscnt 0xb01
	v_mul_f64_e32 v[198:199], v[4:5], v[192:193]
	v_mul_f64_e32 v[192:193], v[6:7], v[192:193]
	v_add_f64_e32 v[164:165], v[204:205], v[202:203]
	v_add_f64_e32 v[194:195], v[194:195], v[196:197]
	s_wait_loadcnt_dscnt 0xa00
	v_mul_f64_e32 v[196:197], v[154:155], v[10:11]
	v_mul_f64_e32 v[10:11], v[156:157], v[10:11]
	v_fmac_f64_e32 v[198:199], v[6:7], v[190:191]
	v_fma_f64 v[202:203], v[4:5], v[190:191], -v[192:193]
	v_add_f64_e32 v[204:205], v[164:165], v[162:163]
	v_add_f64_e32 v[194:195], v[194:195], v[200:201]
	ds_load_b128 v[4:7], v2 offset:1600
	ds_load_b128 v[162:165], v2 offset:1616
	scratch_load_b128 v[190:193], off, off offset:768
	v_fmac_f64_e32 v[196:197], v[156:157], v[8:9]
	v_fma_f64 v[154:155], v[154:155], v[8:9], -v[10:11]
	scratch_load_b128 v[8:11], off, off offset:784
	s_wait_loadcnt_dscnt 0xb01
	v_mul_f64_e32 v[200:201], v[4:5], v[180:181]
	v_mul_f64_e32 v[180:181], v[6:7], v[180:181]
	;; [unrolled: 18-line block ×8, first 2 shown]
	v_add_f64_e32 v[156:157], v[204:205], v[202:203]
	v_add_f64_e32 v[194:195], v[194:195], v[198:199]
	s_wait_loadcnt_dscnt 0xa00
	v_mul_f64_e32 v[198:199], v[162:163], v[144:145]
	v_mul_f64_e32 v[144:145], v[164:165], v[144:145]
	v_fmac_f64_e32 v[200:201], v[6:7], v[178:179]
	v_fma_f64 v[178:179], v[4:5], v[178:179], -v[180:181]
	v_add_f64_e32 v[180:181], v[156:157], v[154:155]
	v_add_f64_e32 v[194:195], v[194:195], v[196:197]
	ds_load_b128 v[4:7], v2 offset:1824
	ds_load_b128 v[154:157], v2 offset:1840
	v_fmac_f64_e32 v[198:199], v[164:165], v[142:143]
	v_fma_f64 v[142:143], v[162:163], v[142:143], -v[144:145]
	s_wait_loadcnt_dscnt 0x901
	v_mul_f64_e32 v[196:197], v[4:5], v[188:189]
	v_mul_f64_e32 v[188:189], v[6:7], v[188:189]
	s_wait_loadcnt_dscnt 0x800
	v_mul_f64_e32 v[164:165], v[154:155], v[14:15]
	v_mul_f64_e32 v[14:15], v[156:157], v[14:15]
	v_add_f64_e32 v[144:145], v[180:181], v[178:179]
	v_add_f64_e32 v[162:163], v[194:195], v[200:201]
	v_fmac_f64_e32 v[196:197], v[6:7], v[186:187]
	v_fma_f64 v[178:179], v[4:5], v[186:187], -v[188:189]
	v_fmac_f64_e32 v[164:165], v[156:157], v[12:13]
	v_fma_f64 v[12:13], v[154:155], v[12:13], -v[14:15]
	v_add_f64_e32 v[180:181], v[144:145], v[142:143]
	v_add_f64_e32 v[162:163], v[162:163], v[198:199]
	ds_load_b128 v[4:7], v2 offset:1856
	ds_load_b128 v[142:145], v2 offset:1872
	s_wait_loadcnt_dscnt 0x701
	v_mul_f64_e32 v[186:187], v[4:5], v[168:169]
	v_mul_f64_e32 v[168:169], v[6:7], v[168:169]
	s_wait_loadcnt_dscnt 0x600
	v_mul_f64_e32 v[156:157], v[142:143], v[148:149]
	v_mul_f64_e32 v[148:149], v[144:145], v[148:149]
	v_add_f64_e32 v[14:15], v[180:181], v[178:179]
	v_add_f64_e32 v[154:155], v[162:163], v[196:197]
	v_fmac_f64_e32 v[186:187], v[6:7], v[166:167]
	v_fma_f64 v[162:163], v[4:5], v[166:167], -v[168:169]
	v_fmac_f64_e32 v[156:157], v[144:145], v[146:147]
	v_fma_f64 v[142:143], v[142:143], v[146:147], -v[148:149]
	v_add_f64_e32 v[166:167], v[14:15], v[12:13]
	v_add_f64_e32 v[154:155], v[154:155], v[164:165]
	ds_load_b128 v[4:7], v2 offset:1888
	ds_load_b128 v[12:15], v2 offset:1904
	;; [unrolled: 16-line block ×4, first 2 shown]
	s_wait_loadcnt_dscnt 0x101
	v_mul_f64_e32 v[2:3], v[4:5], v[192:193]
	v_mul_f64_e32 v[148:149], v[6:7], v[192:193]
	s_wait_loadcnt_dscnt 0x0
	v_mul_f64_e32 v[152:153], v[12:13], v[10:11]
	v_mul_f64_e32 v[10:11], v[14:15], v[10:11]
	v_add_f64_e32 v[144:145], v[160:161], v[154:155]
	v_add_f64_e32 v[146:147], v[146:147], v[156:157]
	v_fmac_f64_e32 v[2:3], v[6:7], v[190:191]
	v_fma_f64 v[4:5], v[4:5], v[190:191], -v[148:149]
	v_fmac_f64_e32 v[152:153], v[14:15], v[8:9]
	v_fma_f64 v[8:9], v[12:13], v[8:9], -v[10:11]
	v_add_f64_e32 v[6:7], v[144:145], v[142:143]
	v_add_f64_e32 v[142:143], v[146:147], v[150:151]
	s_delay_alu instid0(VALU_DEP_2) | instskip(NEXT) | instid1(VALU_DEP_2)
	v_add_f64_e32 v[4:5], v[6:7], v[4:5]
	v_add_f64_e32 v[2:3], v[142:143], v[2:3]
	s_delay_alu instid0(VALU_DEP_2) | instskip(NEXT) | instid1(VALU_DEP_2)
	;; [unrolled: 3-line block ×3, first 2 shown]
	v_add_f64_e64 v[2:3], v[182:183], -v[4:5]
	v_add_f64_e64 v[4:5], v[184:185], -v[6:7]
	scratch_store_b128 off, v[2:5], off offset:176
	s_wait_xcnt 0x0
	v_cmpx_lt_u32_e32 10, v1
	s_cbranch_execz .LBB125_377
; %bb.376:
	scratch_load_b128 v[2:5], off, s70
	v_mov_b32_e32 v6, 0
	s_delay_alu instid0(VALU_DEP_1)
	v_dual_mov_b32 v7, v6 :: v_dual_mov_b32 v8, v6
	v_mov_b32_e32 v9, v6
	scratch_store_b128 off, v[6:9], off offset:160
	s_wait_loadcnt 0x0
	ds_store_b128 v16, v[2:5]
.LBB125_377:
	s_wait_xcnt 0x0
	s_or_b32 exec_lo, exec_lo, s2
	s_wait_storecnt_dscnt 0x0
	s_barrier_signal -1
	s_barrier_wait -1
	s_clause 0x9
	scratch_load_b128 v[4:7], off, off offset:176
	scratch_load_b128 v[8:11], off, off offset:192
	;; [unrolled: 1-line block ×10, first 2 shown]
	v_mov_b32_e32 v2, 0
	s_mov_b32 s2, exec_lo
	ds_load_b128 v[170:173], v2 offset:1168
	s_clause 0x2
	scratch_load_b128 v[174:177], off, off offset:336
	scratch_load_b128 v[178:181], off, off offset:160
	;; [unrolled: 1-line block ×3, first 2 shown]
	s_wait_loadcnt_dscnt 0xc00
	v_mul_f64_e32 v[190:191], v[172:173], v[6:7]
	v_mul_f64_e32 v[194:195], v[170:171], v[6:7]
	ds_load_b128 v[182:185], v2 offset:1184
	v_fma_f64 v[198:199], v[170:171], v[4:5], -v[190:191]
	v_fmac_f64_e32 v[194:195], v[172:173], v[4:5]
	ds_load_b128 v[4:7], v2 offset:1200
	s_wait_loadcnt_dscnt 0xb01
	v_mul_f64_e32 v[196:197], v[182:183], v[10:11]
	v_mul_f64_e32 v[10:11], v[184:185], v[10:11]
	scratch_load_b128 v[170:173], off, off offset:368
	ds_load_b128 v[190:193], v2 offset:1216
	s_wait_loadcnt_dscnt 0xb01
	v_mul_f64_e32 v[200:201], v[4:5], v[14:15]
	v_mul_f64_e32 v[14:15], v[6:7], v[14:15]
	v_add_f64_e32 v[194:195], 0, v[194:195]
	v_fmac_f64_e32 v[196:197], v[184:185], v[8:9]
	v_fma_f64 v[182:183], v[182:183], v[8:9], -v[10:11]
	v_add_f64_e32 v[184:185], 0, v[198:199]
	scratch_load_b128 v[8:11], off, off offset:384
	v_fmac_f64_e32 v[200:201], v[6:7], v[12:13]
	v_fma_f64 v[202:203], v[4:5], v[12:13], -v[14:15]
	ds_load_b128 v[4:7], v2 offset:1232
	s_wait_loadcnt_dscnt 0xb01
	v_mul_f64_e32 v[198:199], v[190:191], v[144:145]
	v_mul_f64_e32 v[144:145], v[192:193], v[144:145]
	scratch_load_b128 v[12:15], off, off offset:400
	v_add_f64_e32 v[194:195], v[194:195], v[196:197]
	v_add_f64_e32 v[204:205], v[184:185], v[182:183]
	ds_load_b128 v[182:185], v2 offset:1248
	s_wait_loadcnt_dscnt 0xb01
	v_mul_f64_e32 v[196:197], v[4:5], v[148:149]
	v_mul_f64_e32 v[148:149], v[6:7], v[148:149]
	v_fmac_f64_e32 v[198:199], v[192:193], v[142:143]
	v_fma_f64 v[190:191], v[190:191], v[142:143], -v[144:145]
	scratch_load_b128 v[142:145], off, off offset:416
	v_add_f64_e32 v[194:195], v[194:195], v[200:201]
	v_add_f64_e32 v[192:193], v[204:205], v[202:203]
	v_fmac_f64_e32 v[196:197], v[6:7], v[146:147]
	v_fma_f64 v[202:203], v[4:5], v[146:147], -v[148:149]
	ds_load_b128 v[4:7], v2 offset:1264
	s_wait_loadcnt_dscnt 0xb01
	v_mul_f64_e32 v[200:201], v[182:183], v[152:153]
	v_mul_f64_e32 v[152:153], v[184:185], v[152:153]
	scratch_load_b128 v[146:149], off, off offset:432
	v_add_f64_e32 v[194:195], v[194:195], v[198:199]
	s_wait_loadcnt_dscnt 0xb00
	v_mul_f64_e32 v[198:199], v[4:5], v[156:157]
	v_add_f64_e32 v[204:205], v[192:193], v[190:191]
	v_mul_f64_e32 v[156:157], v[6:7], v[156:157]
	ds_load_b128 v[190:193], v2 offset:1280
	v_fmac_f64_e32 v[200:201], v[184:185], v[150:151]
	v_fma_f64 v[182:183], v[182:183], v[150:151], -v[152:153]
	scratch_load_b128 v[150:153], off, off offset:448
	v_add_f64_e32 v[194:195], v[194:195], v[196:197]
	v_fmac_f64_e32 v[198:199], v[6:7], v[154:155]
	v_add_f64_e32 v[184:185], v[204:205], v[202:203]
	v_fma_f64 v[202:203], v[4:5], v[154:155], -v[156:157]
	ds_load_b128 v[4:7], v2 offset:1296
	s_wait_loadcnt_dscnt 0xb01
	v_mul_f64_e32 v[196:197], v[190:191], v[160:161]
	v_mul_f64_e32 v[160:161], v[192:193], v[160:161]
	scratch_load_b128 v[154:157], off, off offset:464
	v_add_f64_e32 v[194:195], v[194:195], v[200:201]
	s_wait_loadcnt_dscnt 0xb00
	v_mul_f64_e32 v[200:201], v[4:5], v[164:165]
	v_add_f64_e32 v[204:205], v[184:185], v[182:183]
	v_mul_f64_e32 v[164:165], v[6:7], v[164:165]
	ds_load_b128 v[182:185], v2 offset:1312
	v_fmac_f64_e32 v[196:197], v[192:193], v[158:159]
	v_fma_f64 v[190:191], v[190:191], v[158:159], -v[160:161]
	scratch_load_b128 v[158:161], off, off offset:480
	v_add_f64_e32 v[194:195], v[194:195], v[198:199]
	v_fmac_f64_e32 v[200:201], v[6:7], v[162:163]
	v_add_f64_e32 v[192:193], v[204:205], v[202:203]
	v_fma_f64 v[202:203], v[4:5], v[162:163], -v[164:165]
	ds_load_b128 v[4:7], v2 offset:1328
	s_wait_loadcnt_dscnt 0xb01
	v_mul_f64_e32 v[198:199], v[182:183], v[168:169]
	v_mul_f64_e32 v[168:169], v[184:185], v[168:169]
	scratch_load_b128 v[162:165], off, off offset:496
	v_add_f64_e32 v[194:195], v[194:195], v[196:197]
	s_wait_loadcnt_dscnt 0xb00
	v_mul_f64_e32 v[196:197], v[4:5], v[176:177]
	v_add_f64_e32 v[204:205], v[192:193], v[190:191]
	v_mul_f64_e32 v[176:177], v[6:7], v[176:177]
	ds_load_b128 v[190:193], v2 offset:1344
	v_fmac_f64_e32 v[198:199], v[184:185], v[166:167]
	v_fma_f64 v[182:183], v[182:183], v[166:167], -v[168:169]
	scratch_load_b128 v[166:169], off, off offset:512
	v_add_f64_e32 v[194:195], v[194:195], v[200:201]
	v_fmac_f64_e32 v[196:197], v[6:7], v[174:175]
	v_add_f64_e32 v[184:185], v[204:205], v[202:203]
	v_fma_f64 v[202:203], v[4:5], v[174:175], -v[176:177]
	ds_load_b128 v[4:7], v2 offset:1360
	s_wait_loadcnt_dscnt 0xa01
	v_mul_f64_e32 v[200:201], v[190:191], v[188:189]
	v_mul_f64_e32 v[188:189], v[192:193], v[188:189]
	scratch_load_b128 v[174:177], off, off offset:528
	v_add_f64_e32 v[194:195], v[194:195], v[198:199]
	v_add_f64_e32 v[204:205], v[184:185], v[182:183]
	s_wait_loadcnt_dscnt 0xa00
	v_mul_f64_e32 v[198:199], v[4:5], v[172:173]
	v_mul_f64_e32 v[172:173], v[6:7], v[172:173]
	v_fmac_f64_e32 v[200:201], v[192:193], v[186:187]
	v_fma_f64 v[190:191], v[190:191], v[186:187], -v[188:189]
	ds_load_b128 v[182:185], v2 offset:1376
	scratch_load_b128 v[186:189], off, off offset:544
	v_add_f64_e32 v[194:195], v[194:195], v[196:197]
	v_add_f64_e32 v[192:193], v[204:205], v[202:203]
	v_fmac_f64_e32 v[198:199], v[6:7], v[170:171]
	v_fma_f64 v[202:203], v[4:5], v[170:171], -v[172:173]
	ds_load_b128 v[4:7], v2 offset:1392
	s_wait_loadcnt_dscnt 0xa01
	v_mul_f64_e32 v[196:197], v[182:183], v[10:11]
	v_mul_f64_e32 v[10:11], v[184:185], v[10:11]
	scratch_load_b128 v[170:173], off, off offset:560
	v_add_f64_e32 v[194:195], v[194:195], v[200:201]
	s_wait_loadcnt_dscnt 0xa00
	v_mul_f64_e32 v[200:201], v[4:5], v[14:15]
	v_add_f64_e32 v[204:205], v[192:193], v[190:191]
	v_mul_f64_e32 v[14:15], v[6:7], v[14:15]
	ds_load_b128 v[190:193], v2 offset:1408
	v_fmac_f64_e32 v[196:197], v[184:185], v[8:9]
	v_fma_f64 v[182:183], v[182:183], v[8:9], -v[10:11]
	scratch_load_b128 v[8:11], off, off offset:576
	v_add_f64_e32 v[194:195], v[194:195], v[198:199]
	v_fmac_f64_e32 v[200:201], v[6:7], v[12:13]
	v_add_f64_e32 v[184:185], v[204:205], v[202:203]
	v_fma_f64 v[202:203], v[4:5], v[12:13], -v[14:15]
	ds_load_b128 v[4:7], v2 offset:1424
	s_wait_loadcnt_dscnt 0xa01
	v_mul_f64_e32 v[198:199], v[190:191], v[144:145]
	v_mul_f64_e32 v[144:145], v[192:193], v[144:145]
	scratch_load_b128 v[12:15], off, off offset:592
	v_add_f64_e32 v[194:195], v[194:195], v[196:197]
	s_wait_loadcnt_dscnt 0xa00
	v_mul_f64_e32 v[196:197], v[4:5], v[148:149]
	v_add_f64_e32 v[204:205], v[184:185], v[182:183]
	v_mul_f64_e32 v[148:149], v[6:7], v[148:149]
	ds_load_b128 v[182:185], v2 offset:1440
	v_fmac_f64_e32 v[198:199], v[192:193], v[142:143]
	v_fma_f64 v[190:191], v[190:191], v[142:143], -v[144:145]
	scratch_load_b128 v[142:145], off, off offset:608
	v_add_f64_e32 v[194:195], v[194:195], v[200:201]
	v_fmac_f64_e32 v[196:197], v[6:7], v[146:147]
	v_add_f64_e32 v[192:193], v[204:205], v[202:203]
	v_fma_f64 v[202:203], v[4:5], v[146:147], -v[148:149]
	ds_load_b128 v[4:7], v2 offset:1456
	s_wait_loadcnt_dscnt 0xa01
	v_mul_f64_e32 v[200:201], v[182:183], v[152:153]
	v_mul_f64_e32 v[152:153], v[184:185], v[152:153]
	scratch_load_b128 v[146:149], off, off offset:624
	v_add_f64_e32 v[194:195], v[194:195], v[198:199]
	s_wait_loadcnt_dscnt 0xa00
	v_mul_f64_e32 v[198:199], v[4:5], v[156:157]
	v_add_f64_e32 v[204:205], v[192:193], v[190:191]
	v_mul_f64_e32 v[156:157], v[6:7], v[156:157]
	ds_load_b128 v[190:193], v2 offset:1472
	v_fmac_f64_e32 v[200:201], v[184:185], v[150:151]
	v_fma_f64 v[182:183], v[182:183], v[150:151], -v[152:153]
	scratch_load_b128 v[150:153], off, off offset:640
	v_add_f64_e32 v[194:195], v[194:195], v[196:197]
	v_fmac_f64_e32 v[198:199], v[6:7], v[154:155]
	v_add_f64_e32 v[184:185], v[204:205], v[202:203]
	v_fma_f64 v[202:203], v[4:5], v[154:155], -v[156:157]
	ds_load_b128 v[4:7], v2 offset:1488
	s_wait_loadcnt_dscnt 0xa01
	v_mul_f64_e32 v[196:197], v[190:191], v[160:161]
	v_mul_f64_e32 v[160:161], v[192:193], v[160:161]
	scratch_load_b128 v[154:157], off, off offset:656
	v_add_f64_e32 v[194:195], v[194:195], v[200:201]
	s_wait_loadcnt_dscnt 0xa00
	v_mul_f64_e32 v[200:201], v[4:5], v[164:165]
	v_add_f64_e32 v[204:205], v[184:185], v[182:183]
	v_mul_f64_e32 v[164:165], v[6:7], v[164:165]
	ds_load_b128 v[182:185], v2 offset:1504
	v_fmac_f64_e32 v[196:197], v[192:193], v[158:159]
	v_fma_f64 v[190:191], v[190:191], v[158:159], -v[160:161]
	scratch_load_b128 v[158:161], off, off offset:672
	v_add_f64_e32 v[194:195], v[194:195], v[198:199]
	v_fmac_f64_e32 v[200:201], v[6:7], v[162:163]
	v_add_f64_e32 v[192:193], v[204:205], v[202:203]
	v_fma_f64 v[202:203], v[4:5], v[162:163], -v[164:165]
	ds_load_b128 v[4:7], v2 offset:1520
	s_wait_loadcnt_dscnt 0xa01
	v_mul_f64_e32 v[198:199], v[182:183], v[168:169]
	v_mul_f64_e32 v[168:169], v[184:185], v[168:169]
	scratch_load_b128 v[162:165], off, off offset:688
	v_add_f64_e32 v[194:195], v[194:195], v[196:197]
	s_wait_loadcnt_dscnt 0xa00
	v_mul_f64_e32 v[196:197], v[4:5], v[176:177]
	v_add_f64_e32 v[204:205], v[192:193], v[190:191]
	v_mul_f64_e32 v[176:177], v[6:7], v[176:177]
	ds_load_b128 v[190:193], v2 offset:1536
	v_fmac_f64_e32 v[198:199], v[184:185], v[166:167]
	v_fma_f64 v[182:183], v[182:183], v[166:167], -v[168:169]
	scratch_load_b128 v[166:169], off, off offset:704
	v_add_f64_e32 v[194:195], v[194:195], v[200:201]
	v_fmac_f64_e32 v[196:197], v[6:7], v[174:175]
	v_add_f64_e32 v[184:185], v[204:205], v[202:203]
	v_fma_f64 v[202:203], v[4:5], v[174:175], -v[176:177]
	ds_load_b128 v[4:7], v2 offset:1552
	s_wait_loadcnt_dscnt 0xa01
	v_mul_f64_e32 v[200:201], v[190:191], v[188:189]
	v_mul_f64_e32 v[188:189], v[192:193], v[188:189]
	scratch_load_b128 v[174:177], off, off offset:720
	v_add_f64_e32 v[194:195], v[194:195], v[198:199]
	s_wait_loadcnt_dscnt 0xa00
	v_mul_f64_e32 v[198:199], v[4:5], v[172:173]
	v_add_f64_e32 v[204:205], v[184:185], v[182:183]
	v_mul_f64_e32 v[172:173], v[6:7], v[172:173]
	ds_load_b128 v[182:185], v2 offset:1568
	v_fmac_f64_e32 v[200:201], v[192:193], v[186:187]
	v_fma_f64 v[190:191], v[190:191], v[186:187], -v[188:189]
	scratch_load_b128 v[186:189], off, off offset:736
	v_add_f64_e32 v[194:195], v[194:195], v[196:197]
	v_fmac_f64_e32 v[198:199], v[6:7], v[170:171]
	v_add_f64_e32 v[192:193], v[204:205], v[202:203]
	v_fma_f64 v[202:203], v[4:5], v[170:171], -v[172:173]
	ds_load_b128 v[4:7], v2 offset:1584
	s_wait_loadcnt_dscnt 0xa01
	v_mul_f64_e32 v[196:197], v[182:183], v[10:11]
	v_mul_f64_e32 v[10:11], v[184:185], v[10:11]
	scratch_load_b128 v[170:173], off, off offset:752
	v_add_f64_e32 v[194:195], v[194:195], v[200:201]
	s_wait_loadcnt_dscnt 0xa00
	v_mul_f64_e32 v[200:201], v[4:5], v[14:15]
	v_add_f64_e32 v[204:205], v[192:193], v[190:191]
	v_mul_f64_e32 v[14:15], v[6:7], v[14:15]
	ds_load_b128 v[190:193], v2 offset:1600
	v_fmac_f64_e32 v[196:197], v[184:185], v[8:9]
	v_fma_f64 v[182:183], v[182:183], v[8:9], -v[10:11]
	scratch_load_b128 v[8:11], off, off offset:768
	v_add_f64_e32 v[194:195], v[194:195], v[198:199]
	v_fmac_f64_e32 v[200:201], v[6:7], v[12:13]
	v_add_f64_e32 v[184:185], v[204:205], v[202:203]
	v_fma_f64 v[202:203], v[4:5], v[12:13], -v[14:15]
	ds_load_b128 v[4:7], v2 offset:1616
	s_wait_loadcnt_dscnt 0xa01
	v_mul_f64_e32 v[198:199], v[190:191], v[144:145]
	v_mul_f64_e32 v[144:145], v[192:193], v[144:145]
	scratch_load_b128 v[12:15], off, off offset:784
	v_add_f64_e32 v[194:195], v[194:195], v[196:197]
	s_wait_loadcnt_dscnt 0xa00
	v_mul_f64_e32 v[196:197], v[4:5], v[148:149]
	v_add_f64_e32 v[204:205], v[184:185], v[182:183]
	v_mul_f64_e32 v[148:149], v[6:7], v[148:149]
	ds_load_b128 v[182:185], v2 offset:1632
	v_fmac_f64_e32 v[198:199], v[192:193], v[142:143]
	v_fma_f64 v[190:191], v[190:191], v[142:143], -v[144:145]
	scratch_load_b128 v[142:145], off, off offset:800
	v_add_f64_e32 v[194:195], v[194:195], v[200:201]
	v_fmac_f64_e32 v[196:197], v[6:7], v[146:147]
	v_add_f64_e32 v[192:193], v[204:205], v[202:203]
	v_fma_f64 v[202:203], v[4:5], v[146:147], -v[148:149]
	ds_load_b128 v[4:7], v2 offset:1648
	s_wait_loadcnt_dscnt 0xa01
	v_mul_f64_e32 v[200:201], v[182:183], v[152:153]
	v_mul_f64_e32 v[152:153], v[184:185], v[152:153]
	scratch_load_b128 v[146:149], off, off offset:816
	v_add_f64_e32 v[194:195], v[194:195], v[198:199]
	s_wait_loadcnt_dscnt 0xa00
	v_mul_f64_e32 v[198:199], v[4:5], v[156:157]
	v_add_f64_e32 v[204:205], v[192:193], v[190:191]
	v_mul_f64_e32 v[156:157], v[6:7], v[156:157]
	ds_load_b128 v[190:193], v2 offset:1664
	v_fmac_f64_e32 v[200:201], v[184:185], v[150:151]
	v_fma_f64 v[182:183], v[182:183], v[150:151], -v[152:153]
	scratch_load_b128 v[150:153], off, off offset:832
	v_add_f64_e32 v[194:195], v[194:195], v[196:197]
	v_fmac_f64_e32 v[198:199], v[6:7], v[154:155]
	v_add_f64_e32 v[184:185], v[204:205], v[202:203]
	v_fma_f64 v[202:203], v[4:5], v[154:155], -v[156:157]
	ds_load_b128 v[4:7], v2 offset:1680
	s_wait_loadcnt_dscnt 0xa01
	v_mul_f64_e32 v[196:197], v[190:191], v[160:161]
	v_mul_f64_e32 v[160:161], v[192:193], v[160:161]
	scratch_load_b128 v[154:157], off, off offset:848
	v_add_f64_e32 v[194:195], v[194:195], v[200:201]
	s_wait_loadcnt_dscnt 0xa00
	v_mul_f64_e32 v[200:201], v[4:5], v[164:165]
	v_add_f64_e32 v[204:205], v[184:185], v[182:183]
	v_mul_f64_e32 v[164:165], v[6:7], v[164:165]
	ds_load_b128 v[182:185], v2 offset:1696
	v_fmac_f64_e32 v[196:197], v[192:193], v[158:159]
	v_fma_f64 v[190:191], v[190:191], v[158:159], -v[160:161]
	scratch_load_b128 v[158:161], off, off offset:864
	v_add_f64_e32 v[194:195], v[194:195], v[198:199]
	v_fmac_f64_e32 v[200:201], v[6:7], v[162:163]
	v_add_f64_e32 v[192:193], v[204:205], v[202:203]
	v_fma_f64 v[202:203], v[4:5], v[162:163], -v[164:165]
	ds_load_b128 v[4:7], v2 offset:1712
	s_wait_loadcnt_dscnt 0xa01
	v_mul_f64_e32 v[198:199], v[182:183], v[168:169]
	v_mul_f64_e32 v[168:169], v[184:185], v[168:169]
	scratch_load_b128 v[162:165], off, off offset:880
	v_add_f64_e32 v[194:195], v[194:195], v[196:197]
	s_wait_loadcnt_dscnt 0xa00
	v_mul_f64_e32 v[196:197], v[4:5], v[176:177]
	v_add_f64_e32 v[204:205], v[192:193], v[190:191]
	v_mul_f64_e32 v[176:177], v[6:7], v[176:177]
	ds_load_b128 v[190:193], v2 offset:1728
	v_fmac_f64_e32 v[198:199], v[184:185], v[166:167]
	v_fma_f64 v[182:183], v[182:183], v[166:167], -v[168:169]
	scratch_load_b128 v[166:169], off, off offset:896
	v_add_f64_e32 v[194:195], v[194:195], v[200:201]
	v_fmac_f64_e32 v[196:197], v[6:7], v[174:175]
	v_add_f64_e32 v[184:185], v[204:205], v[202:203]
	v_fma_f64 v[202:203], v[4:5], v[174:175], -v[176:177]
	ds_load_b128 v[4:7], v2 offset:1744
	s_wait_loadcnt_dscnt 0xa01
	v_mul_f64_e32 v[200:201], v[190:191], v[188:189]
	v_mul_f64_e32 v[188:189], v[192:193], v[188:189]
	scratch_load_b128 v[174:177], off, off offset:912
	v_add_f64_e32 v[194:195], v[194:195], v[198:199]
	s_wait_loadcnt_dscnt 0xa00
	v_mul_f64_e32 v[198:199], v[4:5], v[172:173]
	v_add_f64_e32 v[204:205], v[184:185], v[182:183]
	v_mul_f64_e32 v[172:173], v[6:7], v[172:173]
	ds_load_b128 v[182:185], v2 offset:1760
	v_fmac_f64_e32 v[200:201], v[192:193], v[186:187]
	v_fma_f64 v[190:191], v[190:191], v[186:187], -v[188:189]
	scratch_load_b128 v[186:189], off, off offset:928
	v_add_f64_e32 v[194:195], v[194:195], v[196:197]
	v_fmac_f64_e32 v[198:199], v[6:7], v[170:171]
	v_add_f64_e32 v[192:193], v[204:205], v[202:203]
	v_fma_f64 v[202:203], v[4:5], v[170:171], -v[172:173]
	ds_load_b128 v[4:7], v2 offset:1776
	s_wait_loadcnt_dscnt 0xa01
	v_mul_f64_e32 v[196:197], v[182:183], v[10:11]
	v_mul_f64_e32 v[10:11], v[184:185], v[10:11]
	scratch_load_b128 v[170:173], off, off offset:944
	v_add_f64_e32 v[194:195], v[194:195], v[200:201]
	s_wait_loadcnt_dscnt 0xa00
	v_mul_f64_e32 v[200:201], v[4:5], v[14:15]
	v_add_f64_e32 v[204:205], v[192:193], v[190:191]
	v_mul_f64_e32 v[14:15], v[6:7], v[14:15]
	ds_load_b128 v[190:193], v2 offset:1792
	v_fmac_f64_e32 v[196:197], v[184:185], v[8:9]
	v_fma_f64 v[182:183], v[182:183], v[8:9], -v[10:11]
	scratch_load_b128 v[8:11], off, off offset:960
	v_add_f64_e32 v[194:195], v[194:195], v[198:199]
	v_fmac_f64_e32 v[200:201], v[6:7], v[12:13]
	v_add_f64_e32 v[184:185], v[204:205], v[202:203]
	v_fma_f64 v[202:203], v[4:5], v[12:13], -v[14:15]
	ds_load_b128 v[4:7], v2 offset:1808
	s_wait_loadcnt_dscnt 0xa01
	v_mul_f64_e32 v[198:199], v[190:191], v[144:145]
	v_mul_f64_e32 v[144:145], v[192:193], v[144:145]
	scratch_load_b128 v[12:15], off, off offset:976
	v_add_f64_e32 v[194:195], v[194:195], v[196:197]
	s_wait_loadcnt_dscnt 0xa00
	v_mul_f64_e32 v[196:197], v[4:5], v[148:149]
	v_add_f64_e32 v[204:205], v[184:185], v[182:183]
	v_mul_f64_e32 v[148:149], v[6:7], v[148:149]
	ds_load_b128 v[182:185], v2 offset:1824
	v_fmac_f64_e32 v[198:199], v[192:193], v[142:143]
	v_fma_f64 v[142:143], v[190:191], v[142:143], -v[144:145]
	s_wait_loadcnt_dscnt 0x900
	v_mul_f64_e32 v[192:193], v[182:183], v[152:153]
	v_mul_f64_e32 v[152:153], v[184:185], v[152:153]
	v_add_f64_e32 v[190:191], v[194:195], v[200:201]
	v_fmac_f64_e32 v[196:197], v[6:7], v[146:147]
	v_add_f64_e32 v[144:145], v[204:205], v[202:203]
	v_fma_f64 v[146:147], v[4:5], v[146:147], -v[148:149]
	v_fmac_f64_e32 v[192:193], v[184:185], v[150:151]
	v_fma_f64 v[150:151], v[182:183], v[150:151], -v[152:153]
	v_add_f64_e32 v[190:191], v[190:191], v[198:199]
	v_add_f64_e32 v[148:149], v[144:145], v[142:143]
	ds_load_b128 v[4:7], v2 offset:1840
	ds_load_b128 v[142:145], v2 offset:1856
	s_wait_loadcnt_dscnt 0x801
	v_mul_f64_e32 v[194:195], v[4:5], v[156:157]
	v_mul_f64_e32 v[156:157], v[6:7], v[156:157]
	s_wait_loadcnt_dscnt 0x700
	v_mul_f64_e32 v[152:153], v[142:143], v[160:161]
	v_mul_f64_e32 v[160:161], v[144:145], v[160:161]
	v_add_f64_e32 v[146:147], v[148:149], v[146:147]
	v_add_f64_e32 v[148:149], v[190:191], v[196:197]
	v_fmac_f64_e32 v[194:195], v[6:7], v[154:155]
	v_fma_f64 v[154:155], v[4:5], v[154:155], -v[156:157]
	v_fmac_f64_e32 v[152:153], v[144:145], v[158:159]
	v_fma_f64 v[142:143], v[142:143], v[158:159], -v[160:161]
	v_add_f64_e32 v[150:151], v[146:147], v[150:151]
	v_add_f64_e32 v[156:157], v[148:149], v[192:193]
	ds_load_b128 v[4:7], v2 offset:1872
	ds_load_b128 v[146:149], v2 offset:1888
	s_wait_loadcnt_dscnt 0x601
	v_mul_f64_e32 v[182:183], v[4:5], v[164:165]
	v_mul_f64_e32 v[164:165], v[6:7], v[164:165]
	v_add_f64_e32 v[144:145], v[150:151], v[154:155]
	v_add_f64_e32 v[150:151], v[156:157], v[194:195]
	s_wait_loadcnt_dscnt 0x500
	v_mul_f64_e32 v[154:155], v[146:147], v[168:169]
	v_mul_f64_e32 v[156:157], v[148:149], v[168:169]
	v_fmac_f64_e32 v[182:183], v[6:7], v[162:163]
	v_fma_f64 v[158:159], v[4:5], v[162:163], -v[164:165]
	v_add_f64_e32 v[160:161], v[144:145], v[142:143]
	v_add_f64_e32 v[150:151], v[150:151], v[152:153]
	ds_load_b128 v[4:7], v2 offset:1904
	ds_load_b128 v[142:145], v2 offset:1920
	v_fmac_f64_e32 v[154:155], v[148:149], v[166:167]
	v_fma_f64 v[146:147], v[146:147], v[166:167], -v[156:157]
	s_wait_loadcnt_dscnt 0x401
	v_mul_f64_e32 v[152:153], v[4:5], v[176:177]
	v_mul_f64_e32 v[162:163], v[6:7], v[176:177]
	s_wait_loadcnt_dscnt 0x300
	v_mul_f64_e32 v[156:157], v[142:143], v[188:189]
	v_add_f64_e32 v[148:149], v[160:161], v[158:159]
	v_add_f64_e32 v[150:151], v[150:151], v[182:183]
	v_mul_f64_e32 v[158:159], v[144:145], v[188:189]
	v_fmac_f64_e32 v[152:153], v[6:7], v[174:175]
	v_fma_f64 v[160:161], v[4:5], v[174:175], -v[162:163]
	v_fmac_f64_e32 v[156:157], v[144:145], v[186:187]
	v_add_f64_e32 v[162:163], v[148:149], v[146:147]
	v_add_f64_e32 v[150:151], v[150:151], v[154:155]
	ds_load_b128 v[4:7], v2 offset:1936
	ds_load_b128 v[146:149], v2 offset:1952
	v_fma_f64 v[142:143], v[142:143], v[186:187], -v[158:159]
	s_wait_loadcnt_dscnt 0x201
	v_mul_f64_e32 v[154:155], v[4:5], v[172:173]
	v_mul_f64_e32 v[164:165], v[6:7], v[172:173]
	v_add_f64_e32 v[144:145], v[162:163], v[160:161]
	v_add_f64_e32 v[150:151], v[150:151], v[152:153]
	s_wait_loadcnt_dscnt 0x100
	v_mul_f64_e32 v[152:153], v[146:147], v[10:11]
	v_mul_f64_e32 v[10:11], v[148:149], v[10:11]
	v_fmac_f64_e32 v[154:155], v[6:7], v[170:171]
	v_fma_f64 v[158:159], v[4:5], v[170:171], -v[164:165]
	ds_load_b128 v[4:7], v2 offset:1968
	v_add_f64_e32 v[142:143], v[144:145], v[142:143]
	v_add_f64_e32 v[144:145], v[150:151], v[156:157]
	v_fmac_f64_e32 v[152:153], v[148:149], v[8:9]
	v_fma_f64 v[8:9], v[146:147], v[8:9], -v[10:11]
	s_wait_loadcnt_dscnt 0x0
	v_mul_f64_e32 v[150:151], v[4:5], v[14:15]
	v_mul_f64_e32 v[14:15], v[6:7], v[14:15]
	v_add_f64_e32 v[10:11], v[142:143], v[158:159]
	v_add_f64_e32 v[142:143], v[144:145], v[154:155]
	s_delay_alu instid0(VALU_DEP_4) | instskip(NEXT) | instid1(VALU_DEP_4)
	v_fmac_f64_e32 v[150:151], v[6:7], v[12:13]
	v_fma_f64 v[4:5], v[4:5], v[12:13], -v[14:15]
	s_delay_alu instid0(VALU_DEP_4) | instskip(NEXT) | instid1(VALU_DEP_4)
	v_add_f64_e32 v[6:7], v[10:11], v[8:9]
	v_add_f64_e32 v[8:9], v[142:143], v[152:153]
	s_delay_alu instid0(VALU_DEP_2) | instskip(NEXT) | instid1(VALU_DEP_2)
	v_add_f64_e32 v[4:5], v[6:7], v[4:5]
	v_add_f64_e32 v[6:7], v[8:9], v[150:151]
	s_delay_alu instid0(VALU_DEP_2) | instskip(NEXT) | instid1(VALU_DEP_2)
	v_add_f64_e64 v[4:5], v[178:179], -v[4:5]
	v_add_f64_e64 v[6:7], v[180:181], -v[6:7]
	scratch_store_b128 off, v[4:7], off offset:160
	s_wait_xcnt 0x0
	v_cmpx_lt_u32_e32 9, v1
	s_cbranch_execz .LBB125_379
; %bb.378:
	scratch_load_b128 v[6:9], off, s71
	v_dual_mov_b32 v3, v2 :: v_dual_mov_b32 v4, v2
	v_mov_b32_e32 v5, v2
	scratch_store_b128 off, v[2:5], off offset:144
	s_wait_loadcnt 0x0
	ds_store_b128 v16, v[6:9]
.LBB125_379:
	s_wait_xcnt 0x0
	s_or_b32 exec_lo, exec_lo, s2
	s_wait_storecnt_dscnt 0x0
	s_barrier_signal -1
	s_barrier_wait -1
	s_clause 0x9
	scratch_load_b128 v[4:7], off, off offset:160
	scratch_load_b128 v[8:11], off, off offset:176
	scratch_load_b128 v[12:15], off, off offset:192
	scratch_load_b128 v[142:145], off, off offset:208
	scratch_load_b128 v[146:149], off, off offset:224
	scratch_load_b128 v[150:153], off, off offset:240
	scratch_load_b128 v[154:157], off, off offset:256
	scratch_load_b128 v[158:161], off, off offset:272
	scratch_load_b128 v[162:165], off, off offset:288
	scratch_load_b128 v[166:169], off, off offset:304
	ds_load_b128 v[170:173], v2 offset:1152
	ds_load_b128 v[178:181], v2 offset:1168
	s_clause 0x2
	scratch_load_b128 v[174:177], off, off offset:320
	scratch_load_b128 v[182:185], off, off offset:144
	;; [unrolled: 1-line block ×3, first 2 shown]
	s_mov_b32 s2, exec_lo
	s_wait_loadcnt_dscnt 0xc01
	v_mul_f64_e32 v[190:191], v[172:173], v[6:7]
	v_mul_f64_e32 v[194:195], v[170:171], v[6:7]
	s_wait_loadcnt_dscnt 0xb00
	v_mul_f64_e32 v[196:197], v[178:179], v[10:11]
	v_mul_f64_e32 v[10:11], v[180:181], v[10:11]
	s_delay_alu instid0(VALU_DEP_4) | instskip(NEXT) | instid1(VALU_DEP_4)
	v_fma_f64 v[198:199], v[170:171], v[4:5], -v[190:191]
	v_fmac_f64_e32 v[194:195], v[172:173], v[4:5]
	ds_load_b128 v[4:7], v2 offset:1184
	ds_load_b128 v[170:173], v2 offset:1200
	scratch_load_b128 v[190:193], off, off offset:352
	v_fmac_f64_e32 v[196:197], v[180:181], v[8:9]
	v_fma_f64 v[178:179], v[178:179], v[8:9], -v[10:11]
	scratch_load_b128 v[8:11], off, off offset:368
	s_wait_loadcnt_dscnt 0xc01
	v_mul_f64_e32 v[200:201], v[4:5], v[14:15]
	v_mul_f64_e32 v[14:15], v[6:7], v[14:15]
	v_add_f64_e32 v[180:181], 0, v[198:199]
	v_add_f64_e32 v[194:195], 0, v[194:195]
	s_wait_loadcnt_dscnt 0xb00
	v_mul_f64_e32 v[198:199], v[170:171], v[144:145]
	v_mul_f64_e32 v[144:145], v[172:173], v[144:145]
	v_fmac_f64_e32 v[200:201], v[6:7], v[12:13]
	v_fma_f64 v[202:203], v[4:5], v[12:13], -v[14:15]
	ds_load_b128 v[4:7], v2 offset:1216
	ds_load_b128 v[12:15], v2 offset:1232
	v_add_f64_e32 v[204:205], v[180:181], v[178:179]
	v_add_f64_e32 v[194:195], v[194:195], v[196:197]
	scratch_load_b128 v[178:181], off, off offset:384
	v_fmac_f64_e32 v[198:199], v[172:173], v[142:143]
	v_fma_f64 v[170:171], v[170:171], v[142:143], -v[144:145]
	scratch_load_b128 v[142:145], off, off offset:400
	s_wait_loadcnt_dscnt 0xc01
	v_mul_f64_e32 v[196:197], v[4:5], v[148:149]
	v_mul_f64_e32 v[148:149], v[6:7], v[148:149]
	v_add_f64_e32 v[172:173], v[204:205], v[202:203]
	v_add_f64_e32 v[194:195], v[194:195], v[200:201]
	s_wait_loadcnt_dscnt 0xb00
	v_mul_f64_e32 v[200:201], v[12:13], v[152:153]
	v_mul_f64_e32 v[152:153], v[14:15], v[152:153]
	v_fmac_f64_e32 v[196:197], v[6:7], v[146:147]
	v_fma_f64 v[202:203], v[4:5], v[146:147], -v[148:149]
	ds_load_b128 v[4:7], v2 offset:1248
	ds_load_b128 v[146:149], v2 offset:1264
	v_add_f64_e32 v[204:205], v[172:173], v[170:171]
	v_add_f64_e32 v[194:195], v[194:195], v[198:199]
	scratch_load_b128 v[170:173], off, off offset:416
	s_wait_loadcnt_dscnt 0xb01
	v_mul_f64_e32 v[198:199], v[4:5], v[156:157]
	v_mul_f64_e32 v[156:157], v[6:7], v[156:157]
	v_fmac_f64_e32 v[200:201], v[14:15], v[150:151]
	v_fma_f64 v[150:151], v[12:13], v[150:151], -v[152:153]
	scratch_load_b128 v[12:15], off, off offset:432
	v_add_f64_e32 v[152:153], v[204:205], v[202:203]
	v_add_f64_e32 v[194:195], v[194:195], v[196:197]
	s_wait_loadcnt_dscnt 0xb00
	v_mul_f64_e32 v[196:197], v[146:147], v[160:161]
	v_mul_f64_e32 v[160:161], v[148:149], v[160:161]
	v_fmac_f64_e32 v[198:199], v[6:7], v[154:155]
	v_fma_f64 v[202:203], v[4:5], v[154:155], -v[156:157]
	v_add_f64_e32 v[204:205], v[152:153], v[150:151]
	v_add_f64_e32 v[194:195], v[194:195], v[200:201]
	ds_load_b128 v[4:7], v2 offset:1280
	ds_load_b128 v[150:153], v2 offset:1296
	scratch_load_b128 v[154:157], off, off offset:448
	v_fmac_f64_e32 v[196:197], v[148:149], v[158:159]
	v_fma_f64 v[158:159], v[146:147], v[158:159], -v[160:161]
	scratch_load_b128 v[146:149], off, off offset:464
	s_wait_loadcnt_dscnt 0xc01
	v_mul_f64_e32 v[200:201], v[4:5], v[164:165]
	v_mul_f64_e32 v[164:165], v[6:7], v[164:165]
	v_add_f64_e32 v[160:161], v[204:205], v[202:203]
	v_add_f64_e32 v[194:195], v[194:195], v[198:199]
	s_wait_loadcnt_dscnt 0xb00
	v_mul_f64_e32 v[198:199], v[150:151], v[168:169]
	v_mul_f64_e32 v[168:169], v[152:153], v[168:169]
	v_fmac_f64_e32 v[200:201], v[6:7], v[162:163]
	v_fma_f64 v[202:203], v[4:5], v[162:163], -v[164:165]
	v_add_f64_e32 v[204:205], v[160:161], v[158:159]
	v_add_f64_e32 v[194:195], v[194:195], v[196:197]
	ds_load_b128 v[4:7], v2 offset:1312
	ds_load_b128 v[158:161], v2 offset:1328
	scratch_load_b128 v[162:165], off, off offset:480
	v_fmac_f64_e32 v[198:199], v[152:153], v[166:167]
	v_fma_f64 v[166:167], v[150:151], v[166:167], -v[168:169]
	scratch_load_b128 v[150:153], off, off offset:496
	s_wait_loadcnt_dscnt 0xc01
	v_mul_f64_e32 v[196:197], v[4:5], v[176:177]
	v_mul_f64_e32 v[176:177], v[6:7], v[176:177]
	;; [unrolled: 18-line block ×5, first 2 shown]
	v_add_f64_e32 v[188:189], v[204:205], v[202:203]
	v_add_f64_e32 v[194:195], v[194:195], v[200:201]
	s_wait_loadcnt_dscnt 0xa00
	v_mul_f64_e32 v[200:201], v[166:167], v[14:15]
	v_mul_f64_e32 v[14:15], v[168:169], v[14:15]
	v_fmac_f64_e32 v[196:197], v[6:7], v[170:171]
	v_fma_f64 v[202:203], v[4:5], v[170:171], -v[172:173]
	ds_load_b128 v[4:7], v2 offset:1440
	ds_load_b128 v[170:173], v2 offset:1456
	v_add_f64_e32 v[204:205], v[188:189], v[186:187]
	v_add_f64_e32 v[194:195], v[194:195], v[198:199]
	scratch_load_b128 v[186:189], off, off offset:608
	v_fmac_f64_e32 v[200:201], v[168:169], v[12:13]
	v_fma_f64 v[166:167], v[166:167], v[12:13], -v[14:15]
	scratch_load_b128 v[12:15], off, off offset:624
	s_wait_loadcnt_dscnt 0xb01
	v_mul_f64_e32 v[198:199], v[4:5], v[156:157]
	v_mul_f64_e32 v[156:157], v[6:7], v[156:157]
	v_add_f64_e32 v[168:169], v[204:205], v[202:203]
	v_add_f64_e32 v[194:195], v[194:195], v[196:197]
	s_wait_loadcnt_dscnt 0xa00
	v_mul_f64_e32 v[196:197], v[170:171], v[148:149]
	v_mul_f64_e32 v[148:149], v[172:173], v[148:149]
	v_fmac_f64_e32 v[198:199], v[6:7], v[154:155]
	v_fma_f64 v[202:203], v[4:5], v[154:155], -v[156:157]
	ds_load_b128 v[4:7], v2 offset:1472
	ds_load_b128 v[154:157], v2 offset:1488
	v_add_f64_e32 v[204:205], v[168:169], v[166:167]
	v_add_f64_e32 v[194:195], v[194:195], v[200:201]
	scratch_load_b128 v[166:169], off, off offset:640
	s_wait_loadcnt_dscnt 0xa01
	v_mul_f64_e32 v[200:201], v[4:5], v[164:165]
	v_mul_f64_e32 v[164:165], v[6:7], v[164:165]
	v_fmac_f64_e32 v[196:197], v[172:173], v[146:147]
	v_fma_f64 v[170:171], v[170:171], v[146:147], -v[148:149]
	scratch_load_b128 v[146:149], off, off offset:656
	v_add_f64_e32 v[172:173], v[204:205], v[202:203]
	v_add_f64_e32 v[194:195], v[194:195], v[198:199]
	s_wait_loadcnt_dscnt 0xa00
	v_mul_f64_e32 v[198:199], v[154:155], v[152:153]
	v_mul_f64_e32 v[152:153], v[156:157], v[152:153]
	v_fmac_f64_e32 v[200:201], v[6:7], v[162:163]
	v_fma_f64 v[202:203], v[4:5], v[162:163], -v[164:165]
	ds_load_b128 v[4:7], v2 offset:1504
	ds_load_b128 v[162:165], v2 offset:1520
	v_add_f64_e32 v[204:205], v[172:173], v[170:171]
	v_add_f64_e32 v[194:195], v[194:195], v[196:197]
	scratch_load_b128 v[170:173], off, off offset:672
	s_wait_loadcnt_dscnt 0xa01
	v_mul_f64_e32 v[196:197], v[4:5], v[176:177]
	v_mul_f64_e32 v[176:177], v[6:7], v[176:177]
	v_fmac_f64_e32 v[198:199], v[156:157], v[150:151]
	v_fma_f64 v[154:155], v[154:155], v[150:151], -v[152:153]
	scratch_load_b128 v[150:153], off, off offset:688
	v_add_f64_e32 v[156:157], v[204:205], v[202:203]
	v_add_f64_e32 v[194:195], v[194:195], v[200:201]
	s_wait_loadcnt_dscnt 0xa00
	v_mul_f64_e32 v[200:201], v[162:163], v[160:161]
	v_mul_f64_e32 v[160:161], v[164:165], v[160:161]
	v_fmac_f64_e32 v[196:197], v[6:7], v[174:175]
	v_fma_f64 v[202:203], v[4:5], v[174:175], -v[176:177]
	v_add_f64_e32 v[204:205], v[156:157], v[154:155]
	v_add_f64_e32 v[194:195], v[194:195], v[198:199]
	ds_load_b128 v[4:7], v2 offset:1536
	ds_load_b128 v[154:157], v2 offset:1552
	scratch_load_b128 v[174:177], off, off offset:704
	v_fmac_f64_e32 v[200:201], v[164:165], v[158:159]
	v_fma_f64 v[162:163], v[162:163], v[158:159], -v[160:161]
	scratch_load_b128 v[158:161], off, off offset:720
	s_wait_loadcnt_dscnt 0xb01
	v_mul_f64_e32 v[198:199], v[4:5], v[192:193]
	v_mul_f64_e32 v[192:193], v[6:7], v[192:193]
	v_add_f64_e32 v[164:165], v[204:205], v[202:203]
	v_add_f64_e32 v[194:195], v[194:195], v[196:197]
	s_wait_loadcnt_dscnt 0xa00
	v_mul_f64_e32 v[196:197], v[154:155], v[10:11]
	v_mul_f64_e32 v[10:11], v[156:157], v[10:11]
	v_fmac_f64_e32 v[198:199], v[6:7], v[190:191]
	v_fma_f64 v[202:203], v[4:5], v[190:191], -v[192:193]
	v_add_f64_e32 v[204:205], v[164:165], v[162:163]
	v_add_f64_e32 v[194:195], v[194:195], v[200:201]
	ds_load_b128 v[4:7], v2 offset:1568
	ds_load_b128 v[162:165], v2 offset:1584
	scratch_load_b128 v[190:193], off, off offset:736
	v_fmac_f64_e32 v[196:197], v[156:157], v[8:9]
	v_fma_f64 v[154:155], v[154:155], v[8:9], -v[10:11]
	scratch_load_b128 v[8:11], off, off offset:752
	s_wait_loadcnt_dscnt 0xb01
	v_mul_f64_e32 v[200:201], v[4:5], v[180:181]
	v_mul_f64_e32 v[180:181], v[6:7], v[180:181]
	;; [unrolled: 18-line block ×9, first 2 shown]
	v_add_f64_e32 v[164:165], v[204:205], v[202:203]
	v_add_f64_e32 v[194:195], v[194:195], v[200:201]
	s_wait_loadcnt_dscnt 0xa00
	v_mul_f64_e32 v[200:201], v[154:155], v[14:15]
	v_mul_f64_e32 v[14:15], v[156:157], v[14:15]
	v_fmac_f64_e32 v[196:197], v[6:7], v[186:187]
	v_fma_f64 v[186:187], v[4:5], v[186:187], -v[188:189]
	v_add_f64_e32 v[188:189], v[164:165], v[162:163]
	v_add_f64_e32 v[194:195], v[194:195], v[198:199]
	ds_load_b128 v[4:7], v2 offset:1824
	ds_load_b128 v[162:165], v2 offset:1840
	v_fmac_f64_e32 v[200:201], v[156:157], v[12:13]
	v_fma_f64 v[12:13], v[154:155], v[12:13], -v[14:15]
	s_wait_loadcnt_dscnt 0x901
	v_mul_f64_e32 v[198:199], v[4:5], v[168:169]
	v_mul_f64_e32 v[168:169], v[6:7], v[168:169]
	s_wait_loadcnt_dscnt 0x800
	v_mul_f64_e32 v[156:157], v[162:163], v[148:149]
	v_mul_f64_e32 v[148:149], v[164:165], v[148:149]
	v_add_f64_e32 v[14:15], v[188:189], v[186:187]
	v_add_f64_e32 v[154:155], v[194:195], v[196:197]
	v_fmac_f64_e32 v[198:199], v[6:7], v[166:167]
	v_fma_f64 v[166:167], v[4:5], v[166:167], -v[168:169]
	v_fmac_f64_e32 v[156:157], v[164:165], v[146:147]
	v_fma_f64 v[146:147], v[162:163], v[146:147], -v[148:149]
	v_add_f64_e32 v[168:169], v[14:15], v[12:13]
	v_add_f64_e32 v[154:155], v[154:155], v[200:201]
	ds_load_b128 v[4:7], v2 offset:1856
	ds_load_b128 v[12:15], v2 offset:1872
	s_wait_loadcnt_dscnt 0x701
	v_mul_f64_e32 v[186:187], v[4:5], v[172:173]
	v_mul_f64_e32 v[172:173], v[6:7], v[172:173]
	s_wait_loadcnt_dscnt 0x600
	v_mul_f64_e32 v[162:163], v[12:13], v[152:153]
	v_mul_f64_e32 v[152:153], v[14:15], v[152:153]
	v_add_f64_e32 v[148:149], v[168:169], v[166:167]
	v_add_f64_e32 v[154:155], v[154:155], v[198:199]
	v_fmac_f64_e32 v[186:187], v[6:7], v[170:171]
	v_fma_f64 v[164:165], v[4:5], v[170:171], -v[172:173]
	v_fmac_f64_e32 v[162:163], v[14:15], v[150:151]
	v_fma_f64 v[12:13], v[12:13], v[150:151], -v[152:153]
	v_add_f64_e32 v[166:167], v[148:149], v[146:147]
	v_add_f64_e32 v[154:155], v[154:155], v[156:157]
	ds_load_b128 v[4:7], v2 offset:1888
	ds_load_b128 v[146:149], v2 offset:1904
	s_wait_loadcnt_dscnt 0x501
	v_mul_f64_e32 v[156:157], v[4:5], v[176:177]
	v_mul_f64_e32 v[168:169], v[6:7], v[176:177]
	s_wait_loadcnt_dscnt 0x400
	v_mul_f64_e32 v[152:153], v[146:147], v[160:161]
	v_add_f64_e32 v[14:15], v[166:167], v[164:165]
	v_add_f64_e32 v[150:151], v[154:155], v[186:187]
	v_mul_f64_e32 v[154:155], v[148:149], v[160:161]
	v_fmac_f64_e32 v[156:157], v[6:7], v[174:175]
	v_fma_f64 v[160:161], v[4:5], v[174:175], -v[168:169]
	v_fmac_f64_e32 v[152:153], v[148:149], v[158:159]
	v_add_f64_e32 v[164:165], v[14:15], v[12:13]
	v_add_f64_e32 v[150:151], v[150:151], v[162:163]
	ds_load_b128 v[4:7], v2 offset:1920
	ds_load_b128 v[12:15], v2 offset:1936
	v_fma_f64 v[146:147], v[146:147], v[158:159], -v[154:155]
	s_wait_loadcnt_dscnt 0x301
	v_mul_f64_e32 v[162:163], v[4:5], v[192:193]
	v_mul_f64_e32 v[166:167], v[6:7], v[192:193]
	s_wait_loadcnt_dscnt 0x200
	v_mul_f64_e32 v[154:155], v[12:13], v[10:11]
	v_mul_f64_e32 v[10:11], v[14:15], v[10:11]
	v_add_f64_e32 v[148:149], v[164:165], v[160:161]
	v_add_f64_e32 v[150:151], v[150:151], v[156:157]
	v_fmac_f64_e32 v[162:163], v[6:7], v[190:191]
	v_fma_f64 v[156:157], v[4:5], v[190:191], -v[166:167]
	v_fmac_f64_e32 v[154:155], v[14:15], v[8:9]
	v_fma_f64 v[8:9], v[12:13], v[8:9], -v[10:11]
	v_add_f64_e32 v[158:159], v[148:149], v[146:147]
	v_add_f64_e32 v[150:151], v[150:151], v[152:153]
	ds_load_b128 v[4:7], v2 offset:1952
	ds_load_b128 v[146:149], v2 offset:1968
	s_wait_loadcnt_dscnt 0x101
	v_mul_f64_e32 v[2:3], v[4:5], v[180:181]
	v_mul_f64_e32 v[152:153], v[6:7], v[180:181]
	s_wait_loadcnt_dscnt 0x0
	v_mul_f64_e32 v[14:15], v[146:147], v[144:145]
	v_mul_f64_e32 v[144:145], v[148:149], v[144:145]
	v_add_f64_e32 v[10:11], v[158:159], v[156:157]
	v_add_f64_e32 v[12:13], v[150:151], v[162:163]
	v_fmac_f64_e32 v[2:3], v[6:7], v[178:179]
	v_fma_f64 v[4:5], v[4:5], v[178:179], -v[152:153]
	v_fmac_f64_e32 v[14:15], v[148:149], v[142:143]
	v_add_f64_e32 v[6:7], v[10:11], v[8:9]
	v_add_f64_e32 v[8:9], v[12:13], v[154:155]
	v_fma_f64 v[10:11], v[146:147], v[142:143], -v[144:145]
	s_delay_alu instid0(VALU_DEP_3) | instskip(NEXT) | instid1(VALU_DEP_3)
	v_add_f64_e32 v[4:5], v[6:7], v[4:5]
	v_add_f64_e32 v[2:3], v[8:9], v[2:3]
	s_delay_alu instid0(VALU_DEP_2) | instskip(NEXT) | instid1(VALU_DEP_2)
	v_add_f64_e32 v[4:5], v[4:5], v[10:11]
	v_add_f64_e32 v[6:7], v[2:3], v[14:15]
	s_delay_alu instid0(VALU_DEP_2) | instskip(NEXT) | instid1(VALU_DEP_2)
	v_add_f64_e64 v[2:3], v[182:183], -v[4:5]
	v_add_f64_e64 v[4:5], v[184:185], -v[6:7]
	scratch_store_b128 off, v[2:5], off offset:144
	s_wait_xcnt 0x0
	v_cmpx_lt_u32_e32 8, v1
	s_cbranch_execz .LBB125_381
; %bb.380:
	scratch_load_b128 v[2:5], off, s72
	v_mov_b32_e32 v6, 0
	s_delay_alu instid0(VALU_DEP_1)
	v_dual_mov_b32 v7, v6 :: v_dual_mov_b32 v8, v6
	v_mov_b32_e32 v9, v6
	scratch_store_b128 off, v[6:9], off offset:128
	s_wait_loadcnt 0x0
	ds_store_b128 v16, v[2:5]
.LBB125_381:
	s_wait_xcnt 0x0
	s_or_b32 exec_lo, exec_lo, s2
	s_wait_storecnt_dscnt 0x0
	s_barrier_signal -1
	s_barrier_wait -1
	s_clause 0x9
	scratch_load_b128 v[4:7], off, off offset:144
	scratch_load_b128 v[8:11], off, off offset:160
	;; [unrolled: 1-line block ×10, first 2 shown]
	v_mov_b32_e32 v2, 0
	s_mov_b32 s2, exec_lo
	ds_load_b128 v[170:173], v2 offset:1136
	s_clause 0x2
	scratch_load_b128 v[174:177], off, off offset:304
	scratch_load_b128 v[178:181], off, off offset:128
	;; [unrolled: 1-line block ×3, first 2 shown]
	s_wait_loadcnt_dscnt 0xc00
	v_mul_f64_e32 v[190:191], v[172:173], v[6:7]
	v_mul_f64_e32 v[194:195], v[170:171], v[6:7]
	ds_load_b128 v[182:185], v2 offset:1152
	v_fma_f64 v[198:199], v[170:171], v[4:5], -v[190:191]
	v_fmac_f64_e32 v[194:195], v[172:173], v[4:5]
	ds_load_b128 v[4:7], v2 offset:1168
	s_wait_loadcnt_dscnt 0xb01
	v_mul_f64_e32 v[196:197], v[182:183], v[10:11]
	v_mul_f64_e32 v[10:11], v[184:185], v[10:11]
	scratch_load_b128 v[170:173], off, off offset:336
	ds_load_b128 v[190:193], v2 offset:1184
	s_wait_loadcnt_dscnt 0xb01
	v_mul_f64_e32 v[200:201], v[4:5], v[14:15]
	v_mul_f64_e32 v[14:15], v[6:7], v[14:15]
	v_add_f64_e32 v[194:195], 0, v[194:195]
	v_fmac_f64_e32 v[196:197], v[184:185], v[8:9]
	v_fma_f64 v[182:183], v[182:183], v[8:9], -v[10:11]
	v_add_f64_e32 v[184:185], 0, v[198:199]
	scratch_load_b128 v[8:11], off, off offset:352
	v_fmac_f64_e32 v[200:201], v[6:7], v[12:13]
	v_fma_f64 v[202:203], v[4:5], v[12:13], -v[14:15]
	ds_load_b128 v[4:7], v2 offset:1200
	s_wait_loadcnt_dscnt 0xb01
	v_mul_f64_e32 v[198:199], v[190:191], v[144:145]
	v_mul_f64_e32 v[144:145], v[192:193], v[144:145]
	scratch_load_b128 v[12:15], off, off offset:368
	v_add_f64_e32 v[194:195], v[194:195], v[196:197]
	v_add_f64_e32 v[204:205], v[184:185], v[182:183]
	ds_load_b128 v[182:185], v2 offset:1216
	s_wait_loadcnt_dscnt 0xb01
	v_mul_f64_e32 v[196:197], v[4:5], v[148:149]
	v_mul_f64_e32 v[148:149], v[6:7], v[148:149]
	v_fmac_f64_e32 v[198:199], v[192:193], v[142:143]
	v_fma_f64 v[190:191], v[190:191], v[142:143], -v[144:145]
	scratch_load_b128 v[142:145], off, off offset:384
	v_add_f64_e32 v[194:195], v[194:195], v[200:201]
	v_add_f64_e32 v[192:193], v[204:205], v[202:203]
	v_fmac_f64_e32 v[196:197], v[6:7], v[146:147]
	v_fma_f64 v[202:203], v[4:5], v[146:147], -v[148:149]
	ds_load_b128 v[4:7], v2 offset:1232
	s_wait_loadcnt_dscnt 0xb01
	v_mul_f64_e32 v[200:201], v[182:183], v[152:153]
	v_mul_f64_e32 v[152:153], v[184:185], v[152:153]
	scratch_load_b128 v[146:149], off, off offset:400
	v_add_f64_e32 v[194:195], v[194:195], v[198:199]
	s_wait_loadcnt_dscnt 0xb00
	v_mul_f64_e32 v[198:199], v[4:5], v[156:157]
	v_add_f64_e32 v[204:205], v[192:193], v[190:191]
	v_mul_f64_e32 v[156:157], v[6:7], v[156:157]
	ds_load_b128 v[190:193], v2 offset:1248
	v_fmac_f64_e32 v[200:201], v[184:185], v[150:151]
	v_fma_f64 v[182:183], v[182:183], v[150:151], -v[152:153]
	scratch_load_b128 v[150:153], off, off offset:416
	v_add_f64_e32 v[194:195], v[194:195], v[196:197]
	v_fmac_f64_e32 v[198:199], v[6:7], v[154:155]
	v_add_f64_e32 v[184:185], v[204:205], v[202:203]
	v_fma_f64 v[202:203], v[4:5], v[154:155], -v[156:157]
	ds_load_b128 v[4:7], v2 offset:1264
	s_wait_loadcnt_dscnt 0xb01
	v_mul_f64_e32 v[196:197], v[190:191], v[160:161]
	v_mul_f64_e32 v[160:161], v[192:193], v[160:161]
	scratch_load_b128 v[154:157], off, off offset:432
	v_add_f64_e32 v[194:195], v[194:195], v[200:201]
	s_wait_loadcnt_dscnt 0xb00
	v_mul_f64_e32 v[200:201], v[4:5], v[164:165]
	v_add_f64_e32 v[204:205], v[184:185], v[182:183]
	v_mul_f64_e32 v[164:165], v[6:7], v[164:165]
	ds_load_b128 v[182:185], v2 offset:1280
	v_fmac_f64_e32 v[196:197], v[192:193], v[158:159]
	v_fma_f64 v[190:191], v[190:191], v[158:159], -v[160:161]
	scratch_load_b128 v[158:161], off, off offset:448
	v_add_f64_e32 v[194:195], v[194:195], v[198:199]
	v_fmac_f64_e32 v[200:201], v[6:7], v[162:163]
	v_add_f64_e32 v[192:193], v[204:205], v[202:203]
	;; [unrolled: 18-line block ×3, first 2 shown]
	v_fma_f64 v[202:203], v[4:5], v[174:175], -v[176:177]
	ds_load_b128 v[4:7], v2 offset:1328
	s_wait_loadcnt_dscnt 0xa01
	v_mul_f64_e32 v[200:201], v[190:191], v[188:189]
	v_mul_f64_e32 v[188:189], v[192:193], v[188:189]
	scratch_load_b128 v[174:177], off, off offset:496
	v_add_f64_e32 v[194:195], v[194:195], v[198:199]
	v_add_f64_e32 v[204:205], v[184:185], v[182:183]
	s_wait_loadcnt_dscnt 0xa00
	v_mul_f64_e32 v[198:199], v[4:5], v[172:173]
	v_mul_f64_e32 v[172:173], v[6:7], v[172:173]
	v_fmac_f64_e32 v[200:201], v[192:193], v[186:187]
	v_fma_f64 v[190:191], v[190:191], v[186:187], -v[188:189]
	ds_load_b128 v[182:185], v2 offset:1344
	scratch_load_b128 v[186:189], off, off offset:512
	v_add_f64_e32 v[194:195], v[194:195], v[196:197]
	v_add_f64_e32 v[192:193], v[204:205], v[202:203]
	v_fmac_f64_e32 v[198:199], v[6:7], v[170:171]
	v_fma_f64 v[202:203], v[4:5], v[170:171], -v[172:173]
	ds_load_b128 v[4:7], v2 offset:1360
	s_wait_loadcnt_dscnt 0xa01
	v_mul_f64_e32 v[196:197], v[182:183], v[10:11]
	v_mul_f64_e32 v[10:11], v[184:185], v[10:11]
	scratch_load_b128 v[170:173], off, off offset:528
	v_add_f64_e32 v[194:195], v[194:195], v[200:201]
	s_wait_loadcnt_dscnt 0xa00
	v_mul_f64_e32 v[200:201], v[4:5], v[14:15]
	v_add_f64_e32 v[204:205], v[192:193], v[190:191]
	v_mul_f64_e32 v[14:15], v[6:7], v[14:15]
	ds_load_b128 v[190:193], v2 offset:1376
	v_fmac_f64_e32 v[196:197], v[184:185], v[8:9]
	v_fma_f64 v[182:183], v[182:183], v[8:9], -v[10:11]
	scratch_load_b128 v[8:11], off, off offset:544
	v_add_f64_e32 v[194:195], v[194:195], v[198:199]
	v_fmac_f64_e32 v[200:201], v[6:7], v[12:13]
	v_add_f64_e32 v[184:185], v[204:205], v[202:203]
	v_fma_f64 v[202:203], v[4:5], v[12:13], -v[14:15]
	ds_load_b128 v[4:7], v2 offset:1392
	s_wait_loadcnt_dscnt 0xa01
	v_mul_f64_e32 v[198:199], v[190:191], v[144:145]
	v_mul_f64_e32 v[144:145], v[192:193], v[144:145]
	scratch_load_b128 v[12:15], off, off offset:560
	v_add_f64_e32 v[194:195], v[194:195], v[196:197]
	s_wait_loadcnt_dscnt 0xa00
	v_mul_f64_e32 v[196:197], v[4:5], v[148:149]
	v_add_f64_e32 v[204:205], v[184:185], v[182:183]
	v_mul_f64_e32 v[148:149], v[6:7], v[148:149]
	ds_load_b128 v[182:185], v2 offset:1408
	v_fmac_f64_e32 v[198:199], v[192:193], v[142:143]
	v_fma_f64 v[190:191], v[190:191], v[142:143], -v[144:145]
	scratch_load_b128 v[142:145], off, off offset:576
	v_add_f64_e32 v[194:195], v[194:195], v[200:201]
	v_fmac_f64_e32 v[196:197], v[6:7], v[146:147]
	v_add_f64_e32 v[192:193], v[204:205], v[202:203]
	;; [unrolled: 18-line block ×14, first 2 shown]
	v_fma_f64 v[202:203], v[4:5], v[146:147], -v[148:149]
	ds_load_b128 v[4:7], v2 offset:1808
	s_wait_loadcnt_dscnt 0xa01
	v_mul_f64_e32 v[200:201], v[182:183], v[152:153]
	v_mul_f64_e32 v[152:153], v[184:185], v[152:153]
	scratch_load_b128 v[146:149], off, off offset:976
	v_add_f64_e32 v[194:195], v[194:195], v[198:199]
	s_wait_loadcnt_dscnt 0xa00
	v_mul_f64_e32 v[198:199], v[4:5], v[156:157]
	v_add_f64_e32 v[204:205], v[192:193], v[190:191]
	v_mul_f64_e32 v[156:157], v[6:7], v[156:157]
	ds_load_b128 v[190:193], v2 offset:1824
	v_fmac_f64_e32 v[200:201], v[184:185], v[150:151]
	v_fma_f64 v[150:151], v[182:183], v[150:151], -v[152:153]
	s_wait_loadcnt_dscnt 0x900
	v_mul_f64_e32 v[184:185], v[190:191], v[160:161]
	v_mul_f64_e32 v[160:161], v[192:193], v[160:161]
	v_add_f64_e32 v[182:183], v[194:195], v[196:197]
	v_fmac_f64_e32 v[198:199], v[6:7], v[154:155]
	v_add_f64_e32 v[152:153], v[204:205], v[202:203]
	v_fma_f64 v[154:155], v[4:5], v[154:155], -v[156:157]
	v_fmac_f64_e32 v[184:185], v[192:193], v[158:159]
	v_fma_f64 v[158:159], v[190:191], v[158:159], -v[160:161]
	v_add_f64_e32 v[182:183], v[182:183], v[200:201]
	v_add_f64_e32 v[156:157], v[152:153], v[150:151]
	ds_load_b128 v[4:7], v2 offset:1840
	ds_load_b128 v[150:153], v2 offset:1856
	s_wait_loadcnt_dscnt 0x801
	v_mul_f64_e32 v[194:195], v[4:5], v[164:165]
	v_mul_f64_e32 v[164:165], v[6:7], v[164:165]
	s_wait_loadcnt_dscnt 0x700
	v_mul_f64_e32 v[160:161], v[150:151], v[168:169]
	v_mul_f64_e32 v[168:169], v[152:153], v[168:169]
	v_add_f64_e32 v[154:155], v[156:157], v[154:155]
	v_add_f64_e32 v[156:157], v[182:183], v[198:199]
	v_fmac_f64_e32 v[194:195], v[6:7], v[162:163]
	v_fma_f64 v[162:163], v[4:5], v[162:163], -v[164:165]
	v_fmac_f64_e32 v[160:161], v[152:153], v[166:167]
	v_fma_f64 v[150:151], v[150:151], v[166:167], -v[168:169]
	v_add_f64_e32 v[158:159], v[154:155], v[158:159]
	v_add_f64_e32 v[164:165], v[156:157], v[184:185]
	ds_load_b128 v[4:7], v2 offset:1872
	ds_load_b128 v[154:157], v2 offset:1888
	s_wait_loadcnt_dscnt 0x601
	v_mul_f64_e32 v[182:183], v[4:5], v[176:177]
	v_mul_f64_e32 v[176:177], v[6:7], v[176:177]
	v_add_f64_e32 v[152:153], v[158:159], v[162:163]
	v_add_f64_e32 v[158:159], v[164:165], v[194:195]
	s_wait_loadcnt_dscnt 0x500
	v_mul_f64_e32 v[162:163], v[154:155], v[188:189]
	v_mul_f64_e32 v[164:165], v[156:157], v[188:189]
	v_fmac_f64_e32 v[182:183], v[6:7], v[174:175]
	v_fma_f64 v[166:167], v[4:5], v[174:175], -v[176:177]
	v_add_f64_e32 v[168:169], v[152:153], v[150:151]
	v_add_f64_e32 v[158:159], v[158:159], v[160:161]
	ds_load_b128 v[4:7], v2 offset:1904
	ds_load_b128 v[150:153], v2 offset:1920
	v_fmac_f64_e32 v[162:163], v[156:157], v[186:187]
	v_fma_f64 v[154:155], v[154:155], v[186:187], -v[164:165]
	s_wait_loadcnt_dscnt 0x401
	v_mul_f64_e32 v[160:161], v[4:5], v[172:173]
	v_mul_f64_e32 v[172:173], v[6:7], v[172:173]
	s_wait_loadcnt_dscnt 0x300
	v_mul_f64_e32 v[164:165], v[150:151], v[10:11]
	v_mul_f64_e32 v[10:11], v[152:153], v[10:11]
	v_add_f64_e32 v[156:157], v[168:169], v[166:167]
	v_add_f64_e32 v[158:159], v[158:159], v[182:183]
	v_fmac_f64_e32 v[160:161], v[6:7], v[170:171]
	v_fma_f64 v[166:167], v[4:5], v[170:171], -v[172:173]
	v_fmac_f64_e32 v[164:165], v[152:153], v[8:9]
	v_fma_f64 v[8:9], v[150:151], v[8:9], -v[10:11]
	v_add_f64_e32 v[168:169], v[156:157], v[154:155]
	v_add_f64_e32 v[158:159], v[158:159], v[162:163]
	ds_load_b128 v[4:7], v2 offset:1936
	ds_load_b128 v[154:157], v2 offset:1952
	s_wait_loadcnt_dscnt 0x201
	v_mul_f64_e32 v[162:163], v[4:5], v[14:15]
	v_mul_f64_e32 v[14:15], v[6:7], v[14:15]
	s_wait_loadcnt_dscnt 0x100
	v_mul_f64_e32 v[152:153], v[154:155], v[144:145]
	v_mul_f64_e32 v[144:145], v[156:157], v[144:145]
	v_add_f64_e32 v[10:11], v[168:169], v[166:167]
	v_add_f64_e32 v[150:151], v[158:159], v[160:161]
	v_fmac_f64_e32 v[162:163], v[6:7], v[12:13]
	v_fma_f64 v[12:13], v[4:5], v[12:13], -v[14:15]
	ds_load_b128 v[4:7], v2 offset:1968
	v_fmac_f64_e32 v[152:153], v[156:157], v[142:143]
	v_fma_f64 v[142:143], v[154:155], v[142:143], -v[144:145]
	v_add_f64_e32 v[8:9], v[10:11], v[8:9]
	v_add_f64_e32 v[10:11], v[150:151], v[164:165]
	s_wait_loadcnt_dscnt 0x0
	v_mul_f64_e32 v[14:15], v[4:5], v[148:149]
	v_mul_f64_e32 v[148:149], v[6:7], v[148:149]
	s_delay_alu instid0(VALU_DEP_4) | instskip(NEXT) | instid1(VALU_DEP_4)
	v_add_f64_e32 v[8:9], v[8:9], v[12:13]
	v_add_f64_e32 v[10:11], v[10:11], v[162:163]
	s_delay_alu instid0(VALU_DEP_4) | instskip(NEXT) | instid1(VALU_DEP_4)
	v_fmac_f64_e32 v[14:15], v[6:7], v[146:147]
	v_fma_f64 v[4:5], v[4:5], v[146:147], -v[148:149]
	s_delay_alu instid0(VALU_DEP_4) | instskip(NEXT) | instid1(VALU_DEP_4)
	v_add_f64_e32 v[6:7], v[8:9], v[142:143]
	v_add_f64_e32 v[8:9], v[10:11], v[152:153]
	s_delay_alu instid0(VALU_DEP_2) | instskip(NEXT) | instid1(VALU_DEP_2)
	v_add_f64_e32 v[4:5], v[6:7], v[4:5]
	v_add_f64_e32 v[6:7], v[8:9], v[14:15]
	s_delay_alu instid0(VALU_DEP_2) | instskip(NEXT) | instid1(VALU_DEP_2)
	v_add_f64_e64 v[4:5], v[178:179], -v[4:5]
	v_add_f64_e64 v[6:7], v[180:181], -v[6:7]
	scratch_store_b128 off, v[4:7], off offset:128
	s_wait_xcnt 0x0
	v_cmpx_lt_u32_e32 7, v1
	s_cbranch_execz .LBB125_383
; %bb.382:
	scratch_load_b128 v[6:9], off, s73
	v_dual_mov_b32 v3, v2 :: v_dual_mov_b32 v4, v2
	v_mov_b32_e32 v5, v2
	scratch_store_b128 off, v[2:5], off offset:112
	s_wait_loadcnt 0x0
	ds_store_b128 v16, v[6:9]
.LBB125_383:
	s_wait_xcnt 0x0
	s_or_b32 exec_lo, exec_lo, s2
	s_wait_storecnt_dscnt 0x0
	s_barrier_signal -1
	s_barrier_wait -1
	s_clause 0x9
	scratch_load_b128 v[4:7], off, off offset:128
	scratch_load_b128 v[8:11], off, off offset:144
	scratch_load_b128 v[12:15], off, off offset:160
	scratch_load_b128 v[142:145], off, off offset:176
	scratch_load_b128 v[146:149], off, off offset:192
	scratch_load_b128 v[150:153], off, off offset:208
	scratch_load_b128 v[154:157], off, off offset:224
	scratch_load_b128 v[158:161], off, off offset:240
	scratch_load_b128 v[162:165], off, off offset:256
	scratch_load_b128 v[166:169], off, off offset:272
	ds_load_b128 v[170:173], v2 offset:1120
	ds_load_b128 v[178:181], v2 offset:1136
	s_clause 0x2
	scratch_load_b128 v[174:177], off, off offset:288
	scratch_load_b128 v[182:185], off, off offset:112
	;; [unrolled: 1-line block ×3, first 2 shown]
	s_mov_b32 s2, exec_lo
	s_wait_loadcnt_dscnt 0xc01
	v_mul_f64_e32 v[190:191], v[172:173], v[6:7]
	v_mul_f64_e32 v[194:195], v[170:171], v[6:7]
	s_wait_loadcnt_dscnt 0xb00
	v_mul_f64_e32 v[196:197], v[178:179], v[10:11]
	v_mul_f64_e32 v[10:11], v[180:181], v[10:11]
	s_delay_alu instid0(VALU_DEP_4) | instskip(NEXT) | instid1(VALU_DEP_4)
	v_fma_f64 v[198:199], v[170:171], v[4:5], -v[190:191]
	v_fmac_f64_e32 v[194:195], v[172:173], v[4:5]
	ds_load_b128 v[4:7], v2 offset:1152
	ds_load_b128 v[170:173], v2 offset:1168
	scratch_load_b128 v[190:193], off, off offset:320
	v_fmac_f64_e32 v[196:197], v[180:181], v[8:9]
	v_fma_f64 v[178:179], v[178:179], v[8:9], -v[10:11]
	scratch_load_b128 v[8:11], off, off offset:336
	s_wait_loadcnt_dscnt 0xc01
	v_mul_f64_e32 v[200:201], v[4:5], v[14:15]
	v_mul_f64_e32 v[14:15], v[6:7], v[14:15]
	v_add_f64_e32 v[180:181], 0, v[198:199]
	v_add_f64_e32 v[194:195], 0, v[194:195]
	s_wait_loadcnt_dscnt 0xb00
	v_mul_f64_e32 v[198:199], v[170:171], v[144:145]
	v_mul_f64_e32 v[144:145], v[172:173], v[144:145]
	v_fmac_f64_e32 v[200:201], v[6:7], v[12:13]
	v_fma_f64 v[202:203], v[4:5], v[12:13], -v[14:15]
	ds_load_b128 v[4:7], v2 offset:1184
	ds_load_b128 v[12:15], v2 offset:1200
	v_add_f64_e32 v[204:205], v[180:181], v[178:179]
	v_add_f64_e32 v[194:195], v[194:195], v[196:197]
	scratch_load_b128 v[178:181], off, off offset:352
	v_fmac_f64_e32 v[198:199], v[172:173], v[142:143]
	v_fma_f64 v[170:171], v[170:171], v[142:143], -v[144:145]
	scratch_load_b128 v[142:145], off, off offset:368
	s_wait_loadcnt_dscnt 0xc01
	v_mul_f64_e32 v[196:197], v[4:5], v[148:149]
	v_mul_f64_e32 v[148:149], v[6:7], v[148:149]
	v_add_f64_e32 v[172:173], v[204:205], v[202:203]
	v_add_f64_e32 v[194:195], v[194:195], v[200:201]
	s_wait_loadcnt_dscnt 0xb00
	v_mul_f64_e32 v[200:201], v[12:13], v[152:153]
	v_mul_f64_e32 v[152:153], v[14:15], v[152:153]
	v_fmac_f64_e32 v[196:197], v[6:7], v[146:147]
	v_fma_f64 v[202:203], v[4:5], v[146:147], -v[148:149]
	ds_load_b128 v[4:7], v2 offset:1216
	ds_load_b128 v[146:149], v2 offset:1232
	v_add_f64_e32 v[204:205], v[172:173], v[170:171]
	v_add_f64_e32 v[194:195], v[194:195], v[198:199]
	scratch_load_b128 v[170:173], off, off offset:384
	s_wait_loadcnt_dscnt 0xb01
	v_mul_f64_e32 v[198:199], v[4:5], v[156:157]
	v_mul_f64_e32 v[156:157], v[6:7], v[156:157]
	v_fmac_f64_e32 v[200:201], v[14:15], v[150:151]
	v_fma_f64 v[150:151], v[12:13], v[150:151], -v[152:153]
	scratch_load_b128 v[12:15], off, off offset:400
	v_add_f64_e32 v[152:153], v[204:205], v[202:203]
	v_add_f64_e32 v[194:195], v[194:195], v[196:197]
	s_wait_loadcnt_dscnt 0xb00
	v_mul_f64_e32 v[196:197], v[146:147], v[160:161]
	v_mul_f64_e32 v[160:161], v[148:149], v[160:161]
	v_fmac_f64_e32 v[198:199], v[6:7], v[154:155]
	v_fma_f64 v[202:203], v[4:5], v[154:155], -v[156:157]
	v_add_f64_e32 v[204:205], v[152:153], v[150:151]
	v_add_f64_e32 v[194:195], v[194:195], v[200:201]
	ds_load_b128 v[4:7], v2 offset:1248
	ds_load_b128 v[150:153], v2 offset:1264
	scratch_load_b128 v[154:157], off, off offset:416
	v_fmac_f64_e32 v[196:197], v[148:149], v[158:159]
	v_fma_f64 v[158:159], v[146:147], v[158:159], -v[160:161]
	scratch_load_b128 v[146:149], off, off offset:432
	s_wait_loadcnt_dscnt 0xc01
	v_mul_f64_e32 v[200:201], v[4:5], v[164:165]
	v_mul_f64_e32 v[164:165], v[6:7], v[164:165]
	v_add_f64_e32 v[160:161], v[204:205], v[202:203]
	v_add_f64_e32 v[194:195], v[194:195], v[198:199]
	s_wait_loadcnt_dscnt 0xb00
	v_mul_f64_e32 v[198:199], v[150:151], v[168:169]
	v_mul_f64_e32 v[168:169], v[152:153], v[168:169]
	v_fmac_f64_e32 v[200:201], v[6:7], v[162:163]
	v_fma_f64 v[202:203], v[4:5], v[162:163], -v[164:165]
	v_add_f64_e32 v[204:205], v[160:161], v[158:159]
	v_add_f64_e32 v[194:195], v[194:195], v[196:197]
	ds_load_b128 v[4:7], v2 offset:1280
	ds_load_b128 v[158:161], v2 offset:1296
	scratch_load_b128 v[162:165], off, off offset:448
	v_fmac_f64_e32 v[198:199], v[152:153], v[166:167]
	v_fma_f64 v[166:167], v[150:151], v[166:167], -v[168:169]
	scratch_load_b128 v[150:153], off, off offset:464
	s_wait_loadcnt_dscnt 0xc01
	v_mul_f64_e32 v[196:197], v[4:5], v[176:177]
	v_mul_f64_e32 v[176:177], v[6:7], v[176:177]
	;; [unrolled: 18-line block ×5, first 2 shown]
	v_add_f64_e32 v[188:189], v[204:205], v[202:203]
	v_add_f64_e32 v[194:195], v[194:195], v[200:201]
	s_wait_loadcnt_dscnt 0xa00
	v_mul_f64_e32 v[200:201], v[166:167], v[14:15]
	v_mul_f64_e32 v[14:15], v[168:169], v[14:15]
	v_fmac_f64_e32 v[196:197], v[6:7], v[170:171]
	v_fma_f64 v[202:203], v[4:5], v[170:171], -v[172:173]
	ds_load_b128 v[4:7], v2 offset:1408
	ds_load_b128 v[170:173], v2 offset:1424
	v_add_f64_e32 v[204:205], v[188:189], v[186:187]
	v_add_f64_e32 v[194:195], v[194:195], v[198:199]
	scratch_load_b128 v[186:189], off, off offset:576
	v_fmac_f64_e32 v[200:201], v[168:169], v[12:13]
	v_fma_f64 v[166:167], v[166:167], v[12:13], -v[14:15]
	scratch_load_b128 v[12:15], off, off offset:592
	s_wait_loadcnt_dscnt 0xb01
	v_mul_f64_e32 v[198:199], v[4:5], v[156:157]
	v_mul_f64_e32 v[156:157], v[6:7], v[156:157]
	v_add_f64_e32 v[168:169], v[204:205], v[202:203]
	v_add_f64_e32 v[194:195], v[194:195], v[196:197]
	s_wait_loadcnt_dscnt 0xa00
	v_mul_f64_e32 v[196:197], v[170:171], v[148:149]
	v_mul_f64_e32 v[148:149], v[172:173], v[148:149]
	v_fmac_f64_e32 v[198:199], v[6:7], v[154:155]
	v_fma_f64 v[202:203], v[4:5], v[154:155], -v[156:157]
	ds_load_b128 v[4:7], v2 offset:1440
	ds_load_b128 v[154:157], v2 offset:1456
	v_add_f64_e32 v[204:205], v[168:169], v[166:167]
	v_add_f64_e32 v[194:195], v[194:195], v[200:201]
	scratch_load_b128 v[166:169], off, off offset:608
	s_wait_loadcnt_dscnt 0xa01
	v_mul_f64_e32 v[200:201], v[4:5], v[164:165]
	v_mul_f64_e32 v[164:165], v[6:7], v[164:165]
	v_fmac_f64_e32 v[196:197], v[172:173], v[146:147]
	v_fma_f64 v[170:171], v[170:171], v[146:147], -v[148:149]
	scratch_load_b128 v[146:149], off, off offset:624
	v_add_f64_e32 v[172:173], v[204:205], v[202:203]
	v_add_f64_e32 v[194:195], v[194:195], v[198:199]
	s_wait_loadcnt_dscnt 0xa00
	v_mul_f64_e32 v[198:199], v[154:155], v[152:153]
	v_mul_f64_e32 v[152:153], v[156:157], v[152:153]
	v_fmac_f64_e32 v[200:201], v[6:7], v[162:163]
	v_fma_f64 v[202:203], v[4:5], v[162:163], -v[164:165]
	ds_load_b128 v[4:7], v2 offset:1472
	ds_load_b128 v[162:165], v2 offset:1488
	v_add_f64_e32 v[204:205], v[172:173], v[170:171]
	v_add_f64_e32 v[194:195], v[194:195], v[196:197]
	scratch_load_b128 v[170:173], off, off offset:640
	s_wait_loadcnt_dscnt 0xa01
	v_mul_f64_e32 v[196:197], v[4:5], v[176:177]
	v_mul_f64_e32 v[176:177], v[6:7], v[176:177]
	v_fmac_f64_e32 v[198:199], v[156:157], v[150:151]
	v_fma_f64 v[154:155], v[154:155], v[150:151], -v[152:153]
	scratch_load_b128 v[150:153], off, off offset:656
	v_add_f64_e32 v[156:157], v[204:205], v[202:203]
	v_add_f64_e32 v[194:195], v[194:195], v[200:201]
	s_wait_loadcnt_dscnt 0xa00
	v_mul_f64_e32 v[200:201], v[162:163], v[160:161]
	v_mul_f64_e32 v[160:161], v[164:165], v[160:161]
	v_fmac_f64_e32 v[196:197], v[6:7], v[174:175]
	v_fma_f64 v[202:203], v[4:5], v[174:175], -v[176:177]
	v_add_f64_e32 v[204:205], v[156:157], v[154:155]
	v_add_f64_e32 v[194:195], v[194:195], v[198:199]
	ds_load_b128 v[4:7], v2 offset:1504
	ds_load_b128 v[154:157], v2 offset:1520
	scratch_load_b128 v[174:177], off, off offset:672
	v_fmac_f64_e32 v[200:201], v[164:165], v[158:159]
	v_fma_f64 v[162:163], v[162:163], v[158:159], -v[160:161]
	scratch_load_b128 v[158:161], off, off offset:688
	s_wait_loadcnt_dscnt 0xb01
	v_mul_f64_e32 v[198:199], v[4:5], v[192:193]
	v_mul_f64_e32 v[192:193], v[6:7], v[192:193]
	v_add_f64_e32 v[164:165], v[204:205], v[202:203]
	v_add_f64_e32 v[194:195], v[194:195], v[196:197]
	s_wait_loadcnt_dscnt 0xa00
	v_mul_f64_e32 v[196:197], v[154:155], v[10:11]
	v_mul_f64_e32 v[10:11], v[156:157], v[10:11]
	v_fmac_f64_e32 v[198:199], v[6:7], v[190:191]
	v_fma_f64 v[202:203], v[4:5], v[190:191], -v[192:193]
	v_add_f64_e32 v[204:205], v[164:165], v[162:163]
	v_add_f64_e32 v[194:195], v[194:195], v[200:201]
	ds_load_b128 v[4:7], v2 offset:1536
	ds_load_b128 v[162:165], v2 offset:1552
	scratch_load_b128 v[190:193], off, off offset:704
	v_fmac_f64_e32 v[196:197], v[156:157], v[8:9]
	v_fma_f64 v[154:155], v[154:155], v[8:9], -v[10:11]
	scratch_load_b128 v[8:11], off, off offset:720
	s_wait_loadcnt_dscnt 0xb01
	v_mul_f64_e32 v[200:201], v[4:5], v[180:181]
	v_mul_f64_e32 v[180:181], v[6:7], v[180:181]
	v_add_f64_e32 v[156:157], v[204:205], v[202:203]
	v_add_f64_e32 v[194:195], v[194:195], v[198:199]
	s_wait_loadcnt_dscnt 0xa00
	v_mul_f64_e32 v[198:199], v[162:163], v[144:145]
	v_mul_f64_e32 v[144:145], v[164:165], v[144:145]
	v_fmac_f64_e32 v[200:201], v[6:7], v[178:179]
	v_fma_f64 v[202:203], v[4:5], v[178:179], -v[180:181]
	v_add_f64_e32 v[204:205], v[156:157], v[154:155]
	v_add_f64_e32 v[194:195], v[194:195], v[196:197]
	ds_load_b128 v[4:7], v2 offset:1568
	ds_load_b128 v[154:157], v2 offset:1584
	scratch_load_b128 v[178:181], off, off offset:736
	v_fmac_f64_e32 v[198:199], v[164:165], v[142:143]
	v_fma_f64 v[162:163], v[162:163], v[142:143], -v[144:145]
	scratch_load_b128 v[142:145], off, off offset:752
	s_wait_loadcnt_dscnt 0xb01
	v_mul_f64_e32 v[196:197], v[4:5], v[188:189]
	v_mul_f64_e32 v[188:189], v[6:7], v[188:189]
	v_add_f64_e32 v[164:165], v[204:205], v[202:203]
	v_add_f64_e32 v[194:195], v[194:195], v[200:201]
	s_wait_loadcnt_dscnt 0xa00
	v_mul_f64_e32 v[200:201], v[154:155], v[14:15]
	v_mul_f64_e32 v[14:15], v[156:157], v[14:15]
	v_fmac_f64_e32 v[196:197], v[6:7], v[186:187]
	v_fma_f64 v[202:203], v[4:5], v[186:187], -v[188:189]
	v_add_f64_e32 v[204:205], v[164:165], v[162:163]
	v_add_f64_e32 v[194:195], v[194:195], v[198:199]
	ds_load_b128 v[4:7], v2 offset:1600
	ds_load_b128 v[162:165], v2 offset:1616
	scratch_load_b128 v[186:189], off, off offset:768
	v_fmac_f64_e32 v[200:201], v[156:157], v[12:13]
	v_fma_f64 v[154:155], v[154:155], v[12:13], -v[14:15]
	scratch_load_b128 v[12:15], off, off offset:784
	s_wait_loadcnt_dscnt 0xb01
	v_mul_f64_e32 v[198:199], v[4:5], v[168:169]
	v_mul_f64_e32 v[168:169], v[6:7], v[168:169]
	v_add_f64_e32 v[156:157], v[204:205], v[202:203]
	v_add_f64_e32 v[194:195], v[194:195], v[196:197]
	s_wait_loadcnt_dscnt 0xa00
	v_mul_f64_e32 v[196:197], v[162:163], v[148:149]
	v_mul_f64_e32 v[148:149], v[164:165], v[148:149]
	v_fmac_f64_e32 v[198:199], v[6:7], v[166:167]
	v_fma_f64 v[202:203], v[4:5], v[166:167], -v[168:169]
	v_add_f64_e32 v[204:205], v[156:157], v[154:155]
	v_add_f64_e32 v[194:195], v[194:195], v[200:201]
	ds_load_b128 v[4:7], v2 offset:1632
	ds_load_b128 v[154:157], v2 offset:1648
	scratch_load_b128 v[166:169], off, off offset:800
	v_fmac_f64_e32 v[196:197], v[164:165], v[146:147]
	v_fma_f64 v[162:163], v[162:163], v[146:147], -v[148:149]
	scratch_load_b128 v[146:149], off, off offset:816
	s_wait_loadcnt_dscnt 0xb01
	v_mul_f64_e32 v[200:201], v[4:5], v[172:173]
	v_mul_f64_e32 v[172:173], v[6:7], v[172:173]
	v_add_f64_e32 v[164:165], v[204:205], v[202:203]
	v_add_f64_e32 v[194:195], v[194:195], v[198:199]
	s_wait_loadcnt_dscnt 0xa00
	v_mul_f64_e32 v[198:199], v[154:155], v[152:153]
	v_mul_f64_e32 v[152:153], v[156:157], v[152:153]
	v_fmac_f64_e32 v[200:201], v[6:7], v[170:171]
	v_fma_f64 v[202:203], v[4:5], v[170:171], -v[172:173]
	v_add_f64_e32 v[204:205], v[164:165], v[162:163]
	v_add_f64_e32 v[194:195], v[194:195], v[196:197]
	ds_load_b128 v[4:7], v2 offset:1664
	ds_load_b128 v[162:165], v2 offset:1680
	scratch_load_b128 v[170:173], off, off offset:832
	v_fmac_f64_e32 v[198:199], v[156:157], v[150:151]
	v_fma_f64 v[154:155], v[154:155], v[150:151], -v[152:153]
	scratch_load_b128 v[150:153], off, off offset:848
	s_wait_loadcnt_dscnt 0xb01
	v_mul_f64_e32 v[196:197], v[4:5], v[176:177]
	v_mul_f64_e32 v[176:177], v[6:7], v[176:177]
	v_add_f64_e32 v[156:157], v[204:205], v[202:203]
	v_add_f64_e32 v[194:195], v[194:195], v[200:201]
	s_wait_loadcnt_dscnt 0xa00
	v_mul_f64_e32 v[200:201], v[162:163], v[160:161]
	v_mul_f64_e32 v[160:161], v[164:165], v[160:161]
	v_fmac_f64_e32 v[196:197], v[6:7], v[174:175]
	v_fma_f64 v[202:203], v[4:5], v[174:175], -v[176:177]
	v_add_f64_e32 v[204:205], v[156:157], v[154:155]
	v_add_f64_e32 v[194:195], v[194:195], v[198:199]
	ds_load_b128 v[4:7], v2 offset:1696
	ds_load_b128 v[154:157], v2 offset:1712
	scratch_load_b128 v[174:177], off, off offset:864
	v_fmac_f64_e32 v[200:201], v[164:165], v[158:159]
	v_fma_f64 v[162:163], v[162:163], v[158:159], -v[160:161]
	scratch_load_b128 v[158:161], off, off offset:880
	s_wait_loadcnt_dscnt 0xb01
	v_mul_f64_e32 v[198:199], v[4:5], v[192:193]
	v_mul_f64_e32 v[192:193], v[6:7], v[192:193]
	v_add_f64_e32 v[164:165], v[204:205], v[202:203]
	v_add_f64_e32 v[194:195], v[194:195], v[196:197]
	s_wait_loadcnt_dscnt 0xa00
	v_mul_f64_e32 v[196:197], v[154:155], v[10:11]
	v_mul_f64_e32 v[10:11], v[156:157], v[10:11]
	v_fmac_f64_e32 v[198:199], v[6:7], v[190:191]
	v_fma_f64 v[202:203], v[4:5], v[190:191], -v[192:193]
	v_add_f64_e32 v[204:205], v[164:165], v[162:163]
	v_add_f64_e32 v[194:195], v[194:195], v[200:201]
	ds_load_b128 v[4:7], v2 offset:1728
	ds_load_b128 v[162:165], v2 offset:1744
	scratch_load_b128 v[190:193], off, off offset:896
	v_fmac_f64_e32 v[196:197], v[156:157], v[8:9]
	v_fma_f64 v[154:155], v[154:155], v[8:9], -v[10:11]
	scratch_load_b128 v[8:11], off, off offset:912
	s_wait_loadcnt_dscnt 0xb01
	v_mul_f64_e32 v[200:201], v[4:5], v[180:181]
	v_mul_f64_e32 v[180:181], v[6:7], v[180:181]
	v_add_f64_e32 v[156:157], v[204:205], v[202:203]
	v_add_f64_e32 v[194:195], v[194:195], v[198:199]
	s_wait_loadcnt_dscnt 0xa00
	v_mul_f64_e32 v[198:199], v[162:163], v[144:145]
	v_mul_f64_e32 v[144:145], v[164:165], v[144:145]
	v_fmac_f64_e32 v[200:201], v[6:7], v[178:179]
	v_fma_f64 v[202:203], v[4:5], v[178:179], -v[180:181]
	v_add_f64_e32 v[204:205], v[156:157], v[154:155]
	v_add_f64_e32 v[194:195], v[194:195], v[196:197]
	ds_load_b128 v[4:7], v2 offset:1760
	ds_load_b128 v[154:157], v2 offset:1776
	scratch_load_b128 v[178:181], off, off offset:928
	v_fmac_f64_e32 v[198:199], v[164:165], v[142:143]
	v_fma_f64 v[162:163], v[162:163], v[142:143], -v[144:145]
	scratch_load_b128 v[142:145], off, off offset:944
	s_wait_loadcnt_dscnt 0xb01
	v_mul_f64_e32 v[196:197], v[4:5], v[188:189]
	v_mul_f64_e32 v[188:189], v[6:7], v[188:189]
	v_add_f64_e32 v[164:165], v[204:205], v[202:203]
	v_add_f64_e32 v[194:195], v[194:195], v[200:201]
	s_wait_loadcnt_dscnt 0xa00
	v_mul_f64_e32 v[200:201], v[154:155], v[14:15]
	v_mul_f64_e32 v[14:15], v[156:157], v[14:15]
	v_fmac_f64_e32 v[196:197], v[6:7], v[186:187]
	v_fma_f64 v[202:203], v[4:5], v[186:187], -v[188:189]
	v_add_f64_e32 v[204:205], v[164:165], v[162:163]
	v_add_f64_e32 v[194:195], v[194:195], v[198:199]
	ds_load_b128 v[4:7], v2 offset:1792
	ds_load_b128 v[162:165], v2 offset:1808
	scratch_load_b128 v[186:189], off, off offset:960
	v_fmac_f64_e32 v[200:201], v[156:157], v[12:13]
	v_fma_f64 v[154:155], v[154:155], v[12:13], -v[14:15]
	scratch_load_b128 v[12:15], off, off offset:976
	s_wait_loadcnt_dscnt 0xb01
	v_mul_f64_e32 v[198:199], v[4:5], v[168:169]
	v_mul_f64_e32 v[168:169], v[6:7], v[168:169]
	v_add_f64_e32 v[156:157], v[204:205], v[202:203]
	v_add_f64_e32 v[194:195], v[194:195], v[196:197]
	s_wait_loadcnt_dscnt 0xa00
	v_mul_f64_e32 v[196:197], v[162:163], v[148:149]
	v_mul_f64_e32 v[148:149], v[164:165], v[148:149]
	v_fmac_f64_e32 v[198:199], v[6:7], v[166:167]
	v_fma_f64 v[166:167], v[4:5], v[166:167], -v[168:169]
	v_add_f64_e32 v[168:169], v[156:157], v[154:155]
	v_add_f64_e32 v[194:195], v[194:195], v[200:201]
	ds_load_b128 v[4:7], v2 offset:1824
	ds_load_b128 v[154:157], v2 offset:1840
	v_fmac_f64_e32 v[196:197], v[164:165], v[146:147]
	v_fma_f64 v[146:147], v[162:163], v[146:147], -v[148:149]
	s_wait_loadcnt_dscnt 0x901
	v_mul_f64_e32 v[200:201], v[4:5], v[172:173]
	v_mul_f64_e32 v[172:173], v[6:7], v[172:173]
	s_wait_loadcnt_dscnt 0x800
	v_mul_f64_e32 v[164:165], v[154:155], v[152:153]
	v_mul_f64_e32 v[152:153], v[156:157], v[152:153]
	v_add_f64_e32 v[148:149], v[168:169], v[166:167]
	v_add_f64_e32 v[162:163], v[194:195], v[198:199]
	v_fmac_f64_e32 v[200:201], v[6:7], v[170:171]
	v_fma_f64 v[166:167], v[4:5], v[170:171], -v[172:173]
	v_fmac_f64_e32 v[164:165], v[156:157], v[150:151]
	v_fma_f64 v[150:151], v[154:155], v[150:151], -v[152:153]
	v_add_f64_e32 v[168:169], v[148:149], v[146:147]
	v_add_f64_e32 v[162:163], v[162:163], v[196:197]
	ds_load_b128 v[4:7], v2 offset:1856
	ds_load_b128 v[146:149], v2 offset:1872
	s_wait_loadcnt_dscnt 0x701
	v_mul_f64_e32 v[170:171], v[4:5], v[176:177]
	v_mul_f64_e32 v[172:173], v[6:7], v[176:177]
	s_wait_loadcnt_dscnt 0x600
	v_mul_f64_e32 v[156:157], v[146:147], v[160:161]
	v_mul_f64_e32 v[160:161], v[148:149], v[160:161]
	v_add_f64_e32 v[152:153], v[168:169], v[166:167]
	v_add_f64_e32 v[154:155], v[162:163], v[200:201]
	v_fmac_f64_e32 v[170:171], v[6:7], v[174:175]
	v_fma_f64 v[162:163], v[4:5], v[174:175], -v[172:173]
	v_fmac_f64_e32 v[156:157], v[148:149], v[158:159]
	v_fma_f64 v[146:147], v[146:147], v[158:159], -v[160:161]
	v_add_f64_e32 v[166:167], v[152:153], v[150:151]
	v_add_f64_e32 v[154:155], v[154:155], v[164:165]
	ds_load_b128 v[4:7], v2 offset:1888
	ds_load_b128 v[150:153], v2 offset:1904
	;; [unrolled: 16-line block ×4, first 2 shown]
	s_wait_loadcnt_dscnt 0x101
	v_mul_f64_e32 v[2:3], v[4:5], v[188:189]
	v_mul_f64_e32 v[158:159], v[6:7], v[188:189]
	s_wait_loadcnt_dscnt 0x0
	v_mul_f64_e32 v[148:149], v[8:9], v[14:15]
	v_mul_f64_e32 v[14:15], v[10:11], v[14:15]
	v_add_f64_e32 v[144:145], v[160:161], v[154:155]
	v_add_f64_e32 v[146:147], v[150:151], v[156:157]
	v_fmac_f64_e32 v[2:3], v[6:7], v[186:187]
	v_fma_f64 v[4:5], v[4:5], v[186:187], -v[158:159]
	v_fmac_f64_e32 v[148:149], v[10:11], v[12:13]
	v_fma_f64 v[8:9], v[8:9], v[12:13], -v[14:15]
	v_add_f64_e32 v[6:7], v[144:145], v[142:143]
	v_add_f64_e32 v[142:143], v[146:147], v[152:153]
	s_delay_alu instid0(VALU_DEP_2) | instskip(NEXT) | instid1(VALU_DEP_2)
	v_add_f64_e32 v[4:5], v[6:7], v[4:5]
	v_add_f64_e32 v[2:3], v[142:143], v[2:3]
	s_delay_alu instid0(VALU_DEP_2) | instskip(NEXT) | instid1(VALU_DEP_2)
	;; [unrolled: 3-line block ×3, first 2 shown]
	v_add_f64_e64 v[2:3], v[182:183], -v[4:5]
	v_add_f64_e64 v[4:5], v[184:185], -v[6:7]
	scratch_store_b128 off, v[2:5], off offset:112
	s_wait_xcnt 0x0
	v_cmpx_lt_u32_e32 6, v1
	s_cbranch_execz .LBB125_385
; %bb.384:
	scratch_load_b128 v[2:5], off, s74
	v_mov_b32_e32 v6, 0
	s_delay_alu instid0(VALU_DEP_1)
	v_dual_mov_b32 v7, v6 :: v_dual_mov_b32 v8, v6
	v_mov_b32_e32 v9, v6
	scratch_store_b128 off, v[6:9], off offset:96
	s_wait_loadcnt 0x0
	ds_store_b128 v16, v[2:5]
.LBB125_385:
	s_wait_xcnt 0x0
	s_or_b32 exec_lo, exec_lo, s2
	s_wait_storecnt_dscnt 0x0
	s_barrier_signal -1
	s_barrier_wait -1
	s_clause 0x9
	scratch_load_b128 v[4:7], off, off offset:112
	scratch_load_b128 v[8:11], off, off offset:128
	scratch_load_b128 v[12:15], off, off offset:144
	scratch_load_b128 v[142:145], off, off offset:160
	scratch_load_b128 v[146:149], off, off offset:176
	scratch_load_b128 v[150:153], off, off offset:192
	scratch_load_b128 v[154:157], off, off offset:208
	scratch_load_b128 v[158:161], off, off offset:224
	scratch_load_b128 v[162:165], off, off offset:240
	scratch_load_b128 v[166:169], off, off offset:256
	v_mov_b32_e32 v2, 0
	s_mov_b32 s2, exec_lo
	ds_load_b128 v[170:173], v2 offset:1104
	s_clause 0x2
	scratch_load_b128 v[174:177], off, off offset:272
	scratch_load_b128 v[178:181], off, off offset:96
	;; [unrolled: 1-line block ×3, first 2 shown]
	s_wait_loadcnt_dscnt 0xc00
	v_mul_f64_e32 v[190:191], v[172:173], v[6:7]
	v_mul_f64_e32 v[194:195], v[170:171], v[6:7]
	ds_load_b128 v[182:185], v2 offset:1120
	v_fma_f64 v[198:199], v[170:171], v[4:5], -v[190:191]
	v_fmac_f64_e32 v[194:195], v[172:173], v[4:5]
	ds_load_b128 v[4:7], v2 offset:1136
	s_wait_loadcnt_dscnt 0xb01
	v_mul_f64_e32 v[196:197], v[182:183], v[10:11]
	v_mul_f64_e32 v[10:11], v[184:185], v[10:11]
	scratch_load_b128 v[170:173], off, off offset:304
	ds_load_b128 v[190:193], v2 offset:1152
	s_wait_loadcnt_dscnt 0xb01
	v_mul_f64_e32 v[200:201], v[4:5], v[14:15]
	v_mul_f64_e32 v[14:15], v[6:7], v[14:15]
	v_add_f64_e32 v[194:195], 0, v[194:195]
	v_fmac_f64_e32 v[196:197], v[184:185], v[8:9]
	v_fma_f64 v[182:183], v[182:183], v[8:9], -v[10:11]
	v_add_f64_e32 v[184:185], 0, v[198:199]
	scratch_load_b128 v[8:11], off, off offset:320
	v_fmac_f64_e32 v[200:201], v[6:7], v[12:13]
	v_fma_f64 v[202:203], v[4:5], v[12:13], -v[14:15]
	ds_load_b128 v[4:7], v2 offset:1168
	s_wait_loadcnt_dscnt 0xb01
	v_mul_f64_e32 v[198:199], v[190:191], v[144:145]
	v_mul_f64_e32 v[144:145], v[192:193], v[144:145]
	scratch_load_b128 v[12:15], off, off offset:336
	v_add_f64_e32 v[194:195], v[194:195], v[196:197]
	v_add_f64_e32 v[204:205], v[184:185], v[182:183]
	ds_load_b128 v[182:185], v2 offset:1184
	s_wait_loadcnt_dscnt 0xb01
	v_mul_f64_e32 v[196:197], v[4:5], v[148:149]
	v_mul_f64_e32 v[148:149], v[6:7], v[148:149]
	v_fmac_f64_e32 v[198:199], v[192:193], v[142:143]
	v_fma_f64 v[190:191], v[190:191], v[142:143], -v[144:145]
	scratch_load_b128 v[142:145], off, off offset:352
	v_add_f64_e32 v[194:195], v[194:195], v[200:201]
	v_add_f64_e32 v[192:193], v[204:205], v[202:203]
	v_fmac_f64_e32 v[196:197], v[6:7], v[146:147]
	v_fma_f64 v[202:203], v[4:5], v[146:147], -v[148:149]
	ds_load_b128 v[4:7], v2 offset:1200
	s_wait_loadcnt_dscnt 0xb01
	v_mul_f64_e32 v[200:201], v[182:183], v[152:153]
	v_mul_f64_e32 v[152:153], v[184:185], v[152:153]
	scratch_load_b128 v[146:149], off, off offset:368
	v_add_f64_e32 v[194:195], v[194:195], v[198:199]
	s_wait_loadcnt_dscnt 0xb00
	v_mul_f64_e32 v[198:199], v[4:5], v[156:157]
	v_add_f64_e32 v[204:205], v[192:193], v[190:191]
	v_mul_f64_e32 v[156:157], v[6:7], v[156:157]
	ds_load_b128 v[190:193], v2 offset:1216
	v_fmac_f64_e32 v[200:201], v[184:185], v[150:151]
	v_fma_f64 v[182:183], v[182:183], v[150:151], -v[152:153]
	scratch_load_b128 v[150:153], off, off offset:384
	v_add_f64_e32 v[194:195], v[194:195], v[196:197]
	v_fmac_f64_e32 v[198:199], v[6:7], v[154:155]
	v_add_f64_e32 v[184:185], v[204:205], v[202:203]
	v_fma_f64 v[202:203], v[4:5], v[154:155], -v[156:157]
	ds_load_b128 v[4:7], v2 offset:1232
	s_wait_loadcnt_dscnt 0xb01
	v_mul_f64_e32 v[196:197], v[190:191], v[160:161]
	v_mul_f64_e32 v[160:161], v[192:193], v[160:161]
	scratch_load_b128 v[154:157], off, off offset:400
	v_add_f64_e32 v[194:195], v[194:195], v[200:201]
	s_wait_loadcnt_dscnt 0xb00
	v_mul_f64_e32 v[200:201], v[4:5], v[164:165]
	v_add_f64_e32 v[204:205], v[184:185], v[182:183]
	v_mul_f64_e32 v[164:165], v[6:7], v[164:165]
	ds_load_b128 v[182:185], v2 offset:1248
	v_fmac_f64_e32 v[196:197], v[192:193], v[158:159]
	v_fma_f64 v[190:191], v[190:191], v[158:159], -v[160:161]
	scratch_load_b128 v[158:161], off, off offset:416
	v_add_f64_e32 v[194:195], v[194:195], v[198:199]
	v_fmac_f64_e32 v[200:201], v[6:7], v[162:163]
	v_add_f64_e32 v[192:193], v[204:205], v[202:203]
	;; [unrolled: 18-line block ×3, first 2 shown]
	v_fma_f64 v[202:203], v[4:5], v[174:175], -v[176:177]
	ds_load_b128 v[4:7], v2 offset:1296
	s_wait_loadcnt_dscnt 0xa01
	v_mul_f64_e32 v[200:201], v[190:191], v[188:189]
	v_mul_f64_e32 v[188:189], v[192:193], v[188:189]
	scratch_load_b128 v[174:177], off, off offset:464
	v_add_f64_e32 v[194:195], v[194:195], v[198:199]
	v_add_f64_e32 v[204:205], v[184:185], v[182:183]
	s_wait_loadcnt_dscnt 0xa00
	v_mul_f64_e32 v[198:199], v[4:5], v[172:173]
	v_mul_f64_e32 v[172:173], v[6:7], v[172:173]
	v_fmac_f64_e32 v[200:201], v[192:193], v[186:187]
	v_fma_f64 v[190:191], v[190:191], v[186:187], -v[188:189]
	ds_load_b128 v[182:185], v2 offset:1312
	scratch_load_b128 v[186:189], off, off offset:480
	v_add_f64_e32 v[194:195], v[194:195], v[196:197]
	v_add_f64_e32 v[192:193], v[204:205], v[202:203]
	v_fmac_f64_e32 v[198:199], v[6:7], v[170:171]
	v_fma_f64 v[202:203], v[4:5], v[170:171], -v[172:173]
	ds_load_b128 v[4:7], v2 offset:1328
	s_wait_loadcnt_dscnt 0xa01
	v_mul_f64_e32 v[196:197], v[182:183], v[10:11]
	v_mul_f64_e32 v[10:11], v[184:185], v[10:11]
	scratch_load_b128 v[170:173], off, off offset:496
	v_add_f64_e32 v[194:195], v[194:195], v[200:201]
	s_wait_loadcnt_dscnt 0xa00
	v_mul_f64_e32 v[200:201], v[4:5], v[14:15]
	v_add_f64_e32 v[204:205], v[192:193], v[190:191]
	v_mul_f64_e32 v[14:15], v[6:7], v[14:15]
	ds_load_b128 v[190:193], v2 offset:1344
	v_fmac_f64_e32 v[196:197], v[184:185], v[8:9]
	v_fma_f64 v[182:183], v[182:183], v[8:9], -v[10:11]
	scratch_load_b128 v[8:11], off, off offset:512
	v_add_f64_e32 v[194:195], v[194:195], v[198:199]
	v_fmac_f64_e32 v[200:201], v[6:7], v[12:13]
	v_add_f64_e32 v[184:185], v[204:205], v[202:203]
	v_fma_f64 v[202:203], v[4:5], v[12:13], -v[14:15]
	ds_load_b128 v[4:7], v2 offset:1360
	s_wait_loadcnt_dscnt 0xa01
	v_mul_f64_e32 v[198:199], v[190:191], v[144:145]
	v_mul_f64_e32 v[144:145], v[192:193], v[144:145]
	scratch_load_b128 v[12:15], off, off offset:528
	v_add_f64_e32 v[194:195], v[194:195], v[196:197]
	s_wait_loadcnt_dscnt 0xa00
	v_mul_f64_e32 v[196:197], v[4:5], v[148:149]
	v_add_f64_e32 v[204:205], v[184:185], v[182:183]
	v_mul_f64_e32 v[148:149], v[6:7], v[148:149]
	ds_load_b128 v[182:185], v2 offset:1376
	v_fmac_f64_e32 v[198:199], v[192:193], v[142:143]
	v_fma_f64 v[190:191], v[190:191], v[142:143], -v[144:145]
	scratch_load_b128 v[142:145], off, off offset:544
	v_add_f64_e32 v[194:195], v[194:195], v[200:201]
	v_fmac_f64_e32 v[196:197], v[6:7], v[146:147]
	v_add_f64_e32 v[192:193], v[204:205], v[202:203]
	;; [unrolled: 18-line block ×15, first 2 shown]
	v_fma_f64 v[202:203], v[4:5], v[154:155], -v[156:157]
	ds_load_b128 v[4:7], v2 offset:1808
	s_wait_loadcnt_dscnt 0xa01
	v_mul_f64_e32 v[196:197], v[190:191], v[160:161]
	v_mul_f64_e32 v[160:161], v[192:193], v[160:161]
	scratch_load_b128 v[154:157], off, off offset:976
	v_add_f64_e32 v[194:195], v[194:195], v[200:201]
	s_wait_loadcnt_dscnt 0xa00
	v_mul_f64_e32 v[200:201], v[4:5], v[164:165]
	v_add_f64_e32 v[204:205], v[184:185], v[182:183]
	v_mul_f64_e32 v[164:165], v[6:7], v[164:165]
	ds_load_b128 v[182:185], v2 offset:1824
	v_fmac_f64_e32 v[196:197], v[192:193], v[158:159]
	v_fma_f64 v[158:159], v[190:191], v[158:159], -v[160:161]
	s_wait_loadcnt_dscnt 0x900
	v_mul_f64_e32 v[192:193], v[182:183], v[168:169]
	v_mul_f64_e32 v[168:169], v[184:185], v[168:169]
	v_add_f64_e32 v[190:191], v[194:195], v[198:199]
	v_fmac_f64_e32 v[200:201], v[6:7], v[162:163]
	v_add_f64_e32 v[160:161], v[204:205], v[202:203]
	v_fma_f64 v[162:163], v[4:5], v[162:163], -v[164:165]
	v_fmac_f64_e32 v[192:193], v[184:185], v[166:167]
	v_fma_f64 v[166:167], v[182:183], v[166:167], -v[168:169]
	v_add_f64_e32 v[190:191], v[190:191], v[196:197]
	v_add_f64_e32 v[164:165], v[160:161], v[158:159]
	ds_load_b128 v[4:7], v2 offset:1840
	ds_load_b128 v[158:161], v2 offset:1856
	s_wait_loadcnt_dscnt 0x801
	v_mul_f64_e32 v[194:195], v[4:5], v[176:177]
	v_mul_f64_e32 v[176:177], v[6:7], v[176:177]
	s_wait_loadcnt_dscnt 0x700
	v_mul_f64_e32 v[168:169], v[158:159], v[188:189]
	v_mul_f64_e32 v[182:183], v[160:161], v[188:189]
	v_add_f64_e32 v[162:163], v[164:165], v[162:163]
	v_add_f64_e32 v[164:165], v[190:191], v[200:201]
	v_fmac_f64_e32 v[194:195], v[6:7], v[174:175]
	v_fma_f64 v[174:175], v[4:5], v[174:175], -v[176:177]
	v_fmac_f64_e32 v[168:169], v[160:161], v[186:187]
	v_fma_f64 v[158:159], v[158:159], v[186:187], -v[182:183]
	v_add_f64_e32 v[166:167], v[162:163], v[166:167]
	v_add_f64_e32 v[176:177], v[164:165], v[192:193]
	ds_load_b128 v[4:7], v2 offset:1872
	ds_load_b128 v[162:165], v2 offset:1888
	s_wait_loadcnt_dscnt 0x601
	v_mul_f64_e32 v[184:185], v[4:5], v[172:173]
	v_mul_f64_e32 v[172:173], v[6:7], v[172:173]
	v_add_f64_e32 v[160:161], v[166:167], v[174:175]
	v_add_f64_e32 v[166:167], v[176:177], v[194:195]
	s_wait_loadcnt_dscnt 0x500
	v_mul_f64_e32 v[174:175], v[162:163], v[10:11]
	v_mul_f64_e32 v[10:11], v[164:165], v[10:11]
	v_fmac_f64_e32 v[184:185], v[6:7], v[170:171]
	v_fma_f64 v[170:171], v[4:5], v[170:171], -v[172:173]
	v_add_f64_e32 v[172:173], v[160:161], v[158:159]
	v_add_f64_e32 v[166:167], v[166:167], v[168:169]
	ds_load_b128 v[4:7], v2 offset:1904
	ds_load_b128 v[158:161], v2 offset:1920
	v_fmac_f64_e32 v[174:175], v[164:165], v[8:9]
	v_fma_f64 v[8:9], v[162:163], v[8:9], -v[10:11]
	s_wait_loadcnt_dscnt 0x401
	v_mul_f64_e32 v[168:169], v[4:5], v[14:15]
	v_mul_f64_e32 v[14:15], v[6:7], v[14:15]
	s_wait_loadcnt_dscnt 0x300
	v_mul_f64_e32 v[164:165], v[158:159], v[144:145]
	v_mul_f64_e32 v[144:145], v[160:161], v[144:145]
	v_add_f64_e32 v[10:11], v[172:173], v[170:171]
	v_add_f64_e32 v[162:163], v[166:167], v[184:185]
	v_fmac_f64_e32 v[168:169], v[6:7], v[12:13]
	v_fma_f64 v[12:13], v[4:5], v[12:13], -v[14:15]
	v_fmac_f64_e32 v[164:165], v[160:161], v[142:143]
	v_fma_f64 v[142:143], v[158:159], v[142:143], -v[144:145]
	v_add_f64_e32 v[14:15], v[10:11], v[8:9]
	v_add_f64_e32 v[162:163], v[162:163], v[174:175]
	ds_load_b128 v[4:7], v2 offset:1936
	ds_load_b128 v[8:11], v2 offset:1952
	s_wait_loadcnt_dscnt 0x201
	v_mul_f64_e32 v[166:167], v[4:5], v[148:149]
	v_mul_f64_e32 v[148:149], v[6:7], v[148:149]
	s_wait_loadcnt_dscnt 0x100
	v_mul_f64_e32 v[144:145], v[8:9], v[152:153]
	v_mul_f64_e32 v[152:153], v[10:11], v[152:153]
	v_add_f64_e32 v[12:13], v[14:15], v[12:13]
	v_add_f64_e32 v[14:15], v[162:163], v[168:169]
	v_fmac_f64_e32 v[166:167], v[6:7], v[146:147]
	v_fma_f64 v[146:147], v[4:5], v[146:147], -v[148:149]
	ds_load_b128 v[4:7], v2 offset:1968
	v_fmac_f64_e32 v[144:145], v[10:11], v[150:151]
	v_fma_f64 v[8:9], v[8:9], v[150:151], -v[152:153]
	v_add_f64_e32 v[12:13], v[12:13], v[142:143]
	v_add_f64_e32 v[14:15], v[14:15], v[164:165]
	s_wait_loadcnt_dscnt 0x0
	v_mul_f64_e32 v[142:143], v[4:5], v[156:157]
	v_mul_f64_e32 v[148:149], v[6:7], v[156:157]
	s_delay_alu instid0(VALU_DEP_4) | instskip(NEXT) | instid1(VALU_DEP_4)
	v_add_f64_e32 v[10:11], v[12:13], v[146:147]
	v_add_f64_e32 v[12:13], v[14:15], v[166:167]
	s_delay_alu instid0(VALU_DEP_4) | instskip(NEXT) | instid1(VALU_DEP_4)
	v_fmac_f64_e32 v[142:143], v[6:7], v[154:155]
	v_fma_f64 v[4:5], v[4:5], v[154:155], -v[148:149]
	s_delay_alu instid0(VALU_DEP_4) | instskip(NEXT) | instid1(VALU_DEP_4)
	v_add_f64_e32 v[6:7], v[10:11], v[8:9]
	v_add_f64_e32 v[8:9], v[12:13], v[144:145]
	s_delay_alu instid0(VALU_DEP_2) | instskip(NEXT) | instid1(VALU_DEP_2)
	v_add_f64_e32 v[4:5], v[6:7], v[4:5]
	v_add_f64_e32 v[6:7], v[8:9], v[142:143]
	s_delay_alu instid0(VALU_DEP_2) | instskip(NEXT) | instid1(VALU_DEP_2)
	v_add_f64_e64 v[4:5], v[178:179], -v[4:5]
	v_add_f64_e64 v[6:7], v[180:181], -v[6:7]
	scratch_store_b128 off, v[4:7], off offset:96
	s_wait_xcnt 0x0
	v_cmpx_lt_u32_e32 5, v1
	s_cbranch_execz .LBB125_387
; %bb.386:
	scratch_load_b128 v[6:9], off, s75
	v_dual_mov_b32 v3, v2 :: v_dual_mov_b32 v4, v2
	v_mov_b32_e32 v5, v2
	scratch_store_b128 off, v[2:5], off offset:80
	s_wait_loadcnt 0x0
	ds_store_b128 v16, v[6:9]
.LBB125_387:
	s_wait_xcnt 0x0
	s_or_b32 exec_lo, exec_lo, s2
	s_wait_storecnt_dscnt 0x0
	s_barrier_signal -1
	s_barrier_wait -1
	s_clause 0x9
	scratch_load_b128 v[4:7], off, off offset:96
	scratch_load_b128 v[8:11], off, off offset:112
	;; [unrolled: 1-line block ×10, first 2 shown]
	ds_load_b128 v[170:173], v2 offset:1088
	ds_load_b128 v[178:181], v2 offset:1104
	s_clause 0x2
	scratch_load_b128 v[174:177], off, off offset:256
	scratch_load_b128 v[182:185], off, off offset:80
	scratch_load_b128 v[186:189], off, off offset:272
	s_mov_b32 s2, exec_lo
	s_wait_loadcnt_dscnt 0xc01
	v_mul_f64_e32 v[190:191], v[172:173], v[6:7]
	v_mul_f64_e32 v[194:195], v[170:171], v[6:7]
	s_wait_loadcnt_dscnt 0xb00
	v_mul_f64_e32 v[196:197], v[178:179], v[10:11]
	v_mul_f64_e32 v[10:11], v[180:181], v[10:11]
	s_delay_alu instid0(VALU_DEP_4) | instskip(NEXT) | instid1(VALU_DEP_4)
	v_fma_f64 v[198:199], v[170:171], v[4:5], -v[190:191]
	v_fmac_f64_e32 v[194:195], v[172:173], v[4:5]
	ds_load_b128 v[4:7], v2 offset:1120
	ds_load_b128 v[170:173], v2 offset:1136
	scratch_load_b128 v[190:193], off, off offset:288
	v_fmac_f64_e32 v[196:197], v[180:181], v[8:9]
	v_fma_f64 v[178:179], v[178:179], v[8:9], -v[10:11]
	scratch_load_b128 v[8:11], off, off offset:304
	s_wait_loadcnt_dscnt 0xc01
	v_mul_f64_e32 v[200:201], v[4:5], v[14:15]
	v_mul_f64_e32 v[14:15], v[6:7], v[14:15]
	v_add_f64_e32 v[180:181], 0, v[198:199]
	v_add_f64_e32 v[194:195], 0, v[194:195]
	s_wait_loadcnt_dscnt 0xb00
	v_mul_f64_e32 v[198:199], v[170:171], v[144:145]
	v_mul_f64_e32 v[144:145], v[172:173], v[144:145]
	v_fmac_f64_e32 v[200:201], v[6:7], v[12:13]
	v_fma_f64 v[202:203], v[4:5], v[12:13], -v[14:15]
	ds_load_b128 v[4:7], v2 offset:1152
	ds_load_b128 v[12:15], v2 offset:1168
	v_add_f64_e32 v[204:205], v[180:181], v[178:179]
	v_add_f64_e32 v[194:195], v[194:195], v[196:197]
	scratch_load_b128 v[178:181], off, off offset:320
	v_fmac_f64_e32 v[198:199], v[172:173], v[142:143]
	v_fma_f64 v[170:171], v[170:171], v[142:143], -v[144:145]
	scratch_load_b128 v[142:145], off, off offset:336
	s_wait_loadcnt_dscnt 0xc01
	v_mul_f64_e32 v[196:197], v[4:5], v[148:149]
	v_mul_f64_e32 v[148:149], v[6:7], v[148:149]
	v_add_f64_e32 v[172:173], v[204:205], v[202:203]
	v_add_f64_e32 v[194:195], v[194:195], v[200:201]
	s_wait_loadcnt_dscnt 0xb00
	v_mul_f64_e32 v[200:201], v[12:13], v[152:153]
	v_mul_f64_e32 v[152:153], v[14:15], v[152:153]
	v_fmac_f64_e32 v[196:197], v[6:7], v[146:147]
	v_fma_f64 v[202:203], v[4:5], v[146:147], -v[148:149]
	ds_load_b128 v[4:7], v2 offset:1184
	ds_load_b128 v[146:149], v2 offset:1200
	v_add_f64_e32 v[204:205], v[172:173], v[170:171]
	v_add_f64_e32 v[194:195], v[194:195], v[198:199]
	scratch_load_b128 v[170:173], off, off offset:352
	s_wait_loadcnt_dscnt 0xb01
	v_mul_f64_e32 v[198:199], v[4:5], v[156:157]
	v_mul_f64_e32 v[156:157], v[6:7], v[156:157]
	v_fmac_f64_e32 v[200:201], v[14:15], v[150:151]
	v_fma_f64 v[150:151], v[12:13], v[150:151], -v[152:153]
	scratch_load_b128 v[12:15], off, off offset:368
	v_add_f64_e32 v[152:153], v[204:205], v[202:203]
	v_add_f64_e32 v[194:195], v[194:195], v[196:197]
	s_wait_loadcnt_dscnt 0xb00
	v_mul_f64_e32 v[196:197], v[146:147], v[160:161]
	v_mul_f64_e32 v[160:161], v[148:149], v[160:161]
	v_fmac_f64_e32 v[198:199], v[6:7], v[154:155]
	v_fma_f64 v[202:203], v[4:5], v[154:155], -v[156:157]
	v_add_f64_e32 v[204:205], v[152:153], v[150:151]
	v_add_f64_e32 v[194:195], v[194:195], v[200:201]
	ds_load_b128 v[4:7], v2 offset:1216
	ds_load_b128 v[150:153], v2 offset:1232
	scratch_load_b128 v[154:157], off, off offset:384
	v_fmac_f64_e32 v[196:197], v[148:149], v[158:159]
	v_fma_f64 v[158:159], v[146:147], v[158:159], -v[160:161]
	scratch_load_b128 v[146:149], off, off offset:400
	s_wait_loadcnt_dscnt 0xc01
	v_mul_f64_e32 v[200:201], v[4:5], v[164:165]
	v_mul_f64_e32 v[164:165], v[6:7], v[164:165]
	v_add_f64_e32 v[160:161], v[204:205], v[202:203]
	v_add_f64_e32 v[194:195], v[194:195], v[198:199]
	s_wait_loadcnt_dscnt 0xb00
	v_mul_f64_e32 v[198:199], v[150:151], v[168:169]
	v_mul_f64_e32 v[168:169], v[152:153], v[168:169]
	v_fmac_f64_e32 v[200:201], v[6:7], v[162:163]
	v_fma_f64 v[202:203], v[4:5], v[162:163], -v[164:165]
	v_add_f64_e32 v[204:205], v[160:161], v[158:159]
	v_add_f64_e32 v[194:195], v[194:195], v[196:197]
	ds_load_b128 v[4:7], v2 offset:1248
	ds_load_b128 v[158:161], v2 offset:1264
	scratch_load_b128 v[162:165], off, off offset:416
	v_fmac_f64_e32 v[198:199], v[152:153], v[166:167]
	v_fma_f64 v[166:167], v[150:151], v[166:167], -v[168:169]
	scratch_load_b128 v[150:153], off, off offset:432
	s_wait_loadcnt_dscnt 0xc01
	v_mul_f64_e32 v[196:197], v[4:5], v[176:177]
	v_mul_f64_e32 v[176:177], v[6:7], v[176:177]
	v_add_f64_e32 v[168:169], v[204:205], v[202:203]
	v_add_f64_e32 v[194:195], v[194:195], v[200:201]
	s_wait_loadcnt_dscnt 0xa00
	v_mul_f64_e32 v[200:201], v[158:159], v[188:189]
	v_mul_f64_e32 v[188:189], v[160:161], v[188:189]
	v_fmac_f64_e32 v[196:197], v[6:7], v[174:175]
	v_fma_f64 v[202:203], v[4:5], v[174:175], -v[176:177]
	v_add_f64_e32 v[204:205], v[168:169], v[166:167]
	v_add_f64_e32 v[194:195], v[194:195], v[198:199]
	ds_load_b128 v[4:7], v2 offset:1280
	ds_load_b128 v[166:169], v2 offset:1296
	scratch_load_b128 v[174:177], off, off offset:448
	v_fmac_f64_e32 v[200:201], v[160:161], v[186:187]
	v_fma_f64 v[186:187], v[158:159], v[186:187], -v[188:189]
	scratch_load_b128 v[158:161], off, off offset:464
	s_wait_loadcnt_dscnt 0xb01
	v_mul_f64_e32 v[198:199], v[4:5], v[192:193]
	v_mul_f64_e32 v[192:193], v[6:7], v[192:193]
	v_add_f64_e32 v[188:189], v[204:205], v[202:203]
	v_add_f64_e32 v[194:195], v[194:195], v[196:197]
	s_wait_loadcnt_dscnt 0xa00
	v_mul_f64_e32 v[196:197], v[166:167], v[10:11]
	v_mul_f64_e32 v[10:11], v[168:169], v[10:11]
	v_fmac_f64_e32 v[198:199], v[6:7], v[190:191]
	v_fma_f64 v[202:203], v[4:5], v[190:191], -v[192:193]
	v_add_f64_e32 v[204:205], v[188:189], v[186:187]
	v_add_f64_e32 v[194:195], v[194:195], v[200:201]
	ds_load_b128 v[4:7], v2 offset:1312
	ds_load_b128 v[186:189], v2 offset:1328
	scratch_load_b128 v[190:193], off, off offset:480
	v_fmac_f64_e32 v[196:197], v[168:169], v[8:9]
	v_fma_f64 v[166:167], v[166:167], v[8:9], -v[10:11]
	scratch_load_b128 v[8:11], off, off offset:496
	s_wait_loadcnt_dscnt 0xb01
	v_mul_f64_e32 v[200:201], v[4:5], v[180:181]
	v_mul_f64_e32 v[180:181], v[6:7], v[180:181]
	v_add_f64_e32 v[168:169], v[204:205], v[202:203]
	v_add_f64_e32 v[194:195], v[194:195], v[198:199]
	s_wait_loadcnt_dscnt 0xa00
	v_mul_f64_e32 v[198:199], v[186:187], v[144:145]
	v_mul_f64_e32 v[144:145], v[188:189], v[144:145]
	v_fmac_f64_e32 v[200:201], v[6:7], v[178:179]
	v_fma_f64 v[202:203], v[4:5], v[178:179], -v[180:181]
	v_add_f64_e32 v[204:205], v[168:169], v[166:167]
	v_add_f64_e32 v[194:195], v[194:195], v[196:197]
	ds_load_b128 v[4:7], v2 offset:1344
	ds_load_b128 v[166:169], v2 offset:1360
	scratch_load_b128 v[178:181], off, off offset:512
	v_fmac_f64_e32 v[198:199], v[188:189], v[142:143]
	v_fma_f64 v[186:187], v[186:187], v[142:143], -v[144:145]
	scratch_load_b128 v[142:145], off, off offset:528
	s_wait_loadcnt_dscnt 0xb01
	v_mul_f64_e32 v[196:197], v[4:5], v[172:173]
	v_mul_f64_e32 v[172:173], v[6:7], v[172:173]
	v_add_f64_e32 v[188:189], v[204:205], v[202:203]
	v_add_f64_e32 v[194:195], v[194:195], v[200:201]
	s_wait_loadcnt_dscnt 0xa00
	v_mul_f64_e32 v[200:201], v[166:167], v[14:15]
	v_mul_f64_e32 v[14:15], v[168:169], v[14:15]
	v_fmac_f64_e32 v[196:197], v[6:7], v[170:171]
	v_fma_f64 v[202:203], v[4:5], v[170:171], -v[172:173]
	ds_load_b128 v[4:7], v2 offset:1376
	ds_load_b128 v[170:173], v2 offset:1392
	v_add_f64_e32 v[204:205], v[188:189], v[186:187]
	v_add_f64_e32 v[194:195], v[194:195], v[198:199]
	scratch_load_b128 v[186:189], off, off offset:544
	v_fmac_f64_e32 v[200:201], v[168:169], v[12:13]
	v_fma_f64 v[166:167], v[166:167], v[12:13], -v[14:15]
	scratch_load_b128 v[12:15], off, off offset:560
	s_wait_loadcnt_dscnt 0xb01
	v_mul_f64_e32 v[198:199], v[4:5], v[156:157]
	v_mul_f64_e32 v[156:157], v[6:7], v[156:157]
	v_add_f64_e32 v[168:169], v[204:205], v[202:203]
	v_add_f64_e32 v[194:195], v[194:195], v[196:197]
	s_wait_loadcnt_dscnt 0xa00
	v_mul_f64_e32 v[196:197], v[170:171], v[148:149]
	v_mul_f64_e32 v[148:149], v[172:173], v[148:149]
	v_fmac_f64_e32 v[198:199], v[6:7], v[154:155]
	v_fma_f64 v[202:203], v[4:5], v[154:155], -v[156:157]
	ds_load_b128 v[4:7], v2 offset:1408
	ds_load_b128 v[154:157], v2 offset:1424
	v_add_f64_e32 v[204:205], v[168:169], v[166:167]
	v_add_f64_e32 v[194:195], v[194:195], v[200:201]
	scratch_load_b128 v[166:169], off, off offset:576
	s_wait_loadcnt_dscnt 0xa01
	v_mul_f64_e32 v[200:201], v[4:5], v[164:165]
	v_mul_f64_e32 v[164:165], v[6:7], v[164:165]
	v_fmac_f64_e32 v[196:197], v[172:173], v[146:147]
	v_fma_f64 v[170:171], v[170:171], v[146:147], -v[148:149]
	scratch_load_b128 v[146:149], off, off offset:592
	v_add_f64_e32 v[172:173], v[204:205], v[202:203]
	v_add_f64_e32 v[194:195], v[194:195], v[198:199]
	s_wait_loadcnt_dscnt 0xa00
	v_mul_f64_e32 v[198:199], v[154:155], v[152:153]
	v_mul_f64_e32 v[152:153], v[156:157], v[152:153]
	v_fmac_f64_e32 v[200:201], v[6:7], v[162:163]
	v_fma_f64 v[202:203], v[4:5], v[162:163], -v[164:165]
	ds_load_b128 v[4:7], v2 offset:1440
	ds_load_b128 v[162:165], v2 offset:1456
	v_add_f64_e32 v[204:205], v[172:173], v[170:171]
	v_add_f64_e32 v[194:195], v[194:195], v[196:197]
	scratch_load_b128 v[170:173], off, off offset:608
	s_wait_loadcnt_dscnt 0xa01
	v_mul_f64_e32 v[196:197], v[4:5], v[176:177]
	v_mul_f64_e32 v[176:177], v[6:7], v[176:177]
	v_fmac_f64_e32 v[198:199], v[156:157], v[150:151]
	v_fma_f64 v[154:155], v[154:155], v[150:151], -v[152:153]
	scratch_load_b128 v[150:153], off, off offset:624
	v_add_f64_e32 v[156:157], v[204:205], v[202:203]
	v_add_f64_e32 v[194:195], v[194:195], v[200:201]
	s_wait_loadcnt_dscnt 0xa00
	v_mul_f64_e32 v[200:201], v[162:163], v[160:161]
	v_mul_f64_e32 v[160:161], v[164:165], v[160:161]
	v_fmac_f64_e32 v[196:197], v[6:7], v[174:175]
	v_fma_f64 v[202:203], v[4:5], v[174:175], -v[176:177]
	v_add_f64_e32 v[204:205], v[156:157], v[154:155]
	v_add_f64_e32 v[194:195], v[194:195], v[198:199]
	ds_load_b128 v[4:7], v2 offset:1472
	ds_load_b128 v[154:157], v2 offset:1488
	scratch_load_b128 v[174:177], off, off offset:640
	v_fmac_f64_e32 v[200:201], v[164:165], v[158:159]
	v_fma_f64 v[162:163], v[162:163], v[158:159], -v[160:161]
	scratch_load_b128 v[158:161], off, off offset:656
	s_wait_loadcnt_dscnt 0xb01
	v_mul_f64_e32 v[198:199], v[4:5], v[192:193]
	v_mul_f64_e32 v[192:193], v[6:7], v[192:193]
	v_add_f64_e32 v[164:165], v[204:205], v[202:203]
	v_add_f64_e32 v[194:195], v[194:195], v[196:197]
	s_wait_loadcnt_dscnt 0xa00
	v_mul_f64_e32 v[196:197], v[154:155], v[10:11]
	v_mul_f64_e32 v[10:11], v[156:157], v[10:11]
	v_fmac_f64_e32 v[198:199], v[6:7], v[190:191]
	v_fma_f64 v[202:203], v[4:5], v[190:191], -v[192:193]
	v_add_f64_e32 v[204:205], v[164:165], v[162:163]
	v_add_f64_e32 v[194:195], v[194:195], v[200:201]
	ds_load_b128 v[4:7], v2 offset:1504
	ds_load_b128 v[162:165], v2 offset:1520
	scratch_load_b128 v[190:193], off, off offset:672
	v_fmac_f64_e32 v[196:197], v[156:157], v[8:9]
	v_fma_f64 v[154:155], v[154:155], v[8:9], -v[10:11]
	scratch_load_b128 v[8:11], off, off offset:688
	s_wait_loadcnt_dscnt 0xb01
	v_mul_f64_e32 v[200:201], v[4:5], v[180:181]
	v_mul_f64_e32 v[180:181], v[6:7], v[180:181]
	;; [unrolled: 18-line block ×11, first 2 shown]
	v_add_f64_e32 v[164:165], v[204:205], v[202:203]
	v_add_f64_e32 v[194:195], v[194:195], v[198:199]
	s_wait_loadcnt_dscnt 0xa00
	v_mul_f64_e32 v[198:199], v[154:155], v[152:153]
	v_mul_f64_e32 v[152:153], v[156:157], v[152:153]
	v_fmac_f64_e32 v[200:201], v[6:7], v[170:171]
	v_fma_f64 v[170:171], v[4:5], v[170:171], -v[172:173]
	v_add_f64_e32 v[172:173], v[164:165], v[162:163]
	v_add_f64_e32 v[194:195], v[194:195], v[196:197]
	ds_load_b128 v[4:7], v2 offset:1824
	ds_load_b128 v[162:165], v2 offset:1840
	v_fmac_f64_e32 v[198:199], v[156:157], v[150:151]
	v_fma_f64 v[150:151], v[154:155], v[150:151], -v[152:153]
	s_wait_loadcnt_dscnt 0x901
	v_mul_f64_e32 v[196:197], v[4:5], v[176:177]
	v_mul_f64_e32 v[176:177], v[6:7], v[176:177]
	s_wait_loadcnt_dscnt 0x800
	v_mul_f64_e32 v[156:157], v[162:163], v[160:161]
	v_mul_f64_e32 v[160:161], v[164:165], v[160:161]
	v_add_f64_e32 v[152:153], v[172:173], v[170:171]
	v_add_f64_e32 v[154:155], v[194:195], v[200:201]
	v_fmac_f64_e32 v[196:197], v[6:7], v[174:175]
	v_fma_f64 v[170:171], v[4:5], v[174:175], -v[176:177]
	v_fmac_f64_e32 v[156:157], v[164:165], v[158:159]
	v_fma_f64 v[158:159], v[162:163], v[158:159], -v[160:161]
	v_add_f64_e32 v[172:173], v[152:153], v[150:151]
	v_add_f64_e32 v[154:155], v[154:155], v[198:199]
	ds_load_b128 v[4:7], v2 offset:1856
	ds_load_b128 v[150:153], v2 offset:1872
	s_wait_loadcnt_dscnt 0x701
	v_mul_f64_e32 v[174:175], v[4:5], v[192:193]
	v_mul_f64_e32 v[176:177], v[6:7], v[192:193]
	s_wait_loadcnt_dscnt 0x600
	v_mul_f64_e32 v[162:163], v[150:151], v[10:11]
	v_mul_f64_e32 v[10:11], v[152:153], v[10:11]
	v_add_f64_e32 v[160:161], v[172:173], v[170:171]
	v_add_f64_e32 v[154:155], v[154:155], v[196:197]
	v_fmac_f64_e32 v[174:175], v[6:7], v[190:191]
	v_fma_f64 v[164:165], v[4:5], v[190:191], -v[176:177]
	v_fmac_f64_e32 v[162:163], v[152:153], v[8:9]
	v_fma_f64 v[8:9], v[150:151], v[8:9], -v[10:11]
	v_add_f64_e32 v[158:159], v[160:161], v[158:159]
	v_add_f64_e32 v[160:161], v[154:155], v[156:157]
	ds_load_b128 v[4:7], v2 offset:1888
	ds_load_b128 v[154:157], v2 offset:1904
	;; [unrolled: 16-line block ×4, first 2 shown]
	s_wait_loadcnt_dscnt 0x101
	v_mul_f64_e32 v[2:3], v[4:5], v[168:169]
	v_mul_f64_e32 v[152:153], v[6:7], v[168:169]
	s_wait_loadcnt_dscnt 0x0
	v_mul_f64_e32 v[14:15], v[142:143], v[148:149]
	v_mul_f64_e32 v[148:149], v[144:145], v[148:149]
	v_add_f64_e32 v[10:11], v[158:159], v[156:157]
	v_add_f64_e32 v[12:13], v[150:151], v[162:163]
	v_fmac_f64_e32 v[2:3], v[6:7], v[166:167]
	v_fma_f64 v[4:5], v[4:5], v[166:167], -v[152:153]
	v_fmac_f64_e32 v[14:15], v[144:145], v[146:147]
	v_add_f64_e32 v[6:7], v[10:11], v[8:9]
	v_add_f64_e32 v[8:9], v[12:13], v[154:155]
	v_fma_f64 v[10:11], v[142:143], v[146:147], -v[148:149]
	s_delay_alu instid0(VALU_DEP_3) | instskip(NEXT) | instid1(VALU_DEP_3)
	v_add_f64_e32 v[4:5], v[6:7], v[4:5]
	v_add_f64_e32 v[2:3], v[8:9], v[2:3]
	s_delay_alu instid0(VALU_DEP_2) | instskip(NEXT) | instid1(VALU_DEP_2)
	v_add_f64_e32 v[4:5], v[4:5], v[10:11]
	v_add_f64_e32 v[6:7], v[2:3], v[14:15]
	s_delay_alu instid0(VALU_DEP_2) | instskip(NEXT) | instid1(VALU_DEP_2)
	v_add_f64_e64 v[2:3], v[182:183], -v[4:5]
	v_add_f64_e64 v[4:5], v[184:185], -v[6:7]
	scratch_store_b128 off, v[2:5], off offset:80
	s_wait_xcnt 0x0
	v_cmpx_lt_u32_e32 4, v1
	s_cbranch_execz .LBB125_389
; %bb.388:
	scratch_load_b128 v[2:5], off, s14
	v_mov_b32_e32 v6, 0
	s_delay_alu instid0(VALU_DEP_1)
	v_dual_mov_b32 v7, v6 :: v_dual_mov_b32 v8, v6
	v_mov_b32_e32 v9, v6
	scratch_store_b128 off, v[6:9], off offset:64
	s_wait_loadcnt 0x0
	ds_store_b128 v16, v[2:5]
.LBB125_389:
	s_wait_xcnt 0x0
	s_or_b32 exec_lo, exec_lo, s2
	s_wait_storecnt_dscnt 0x0
	s_barrier_signal -1
	s_barrier_wait -1
	s_clause 0x9
	scratch_load_b128 v[4:7], off, off offset:80
	scratch_load_b128 v[8:11], off, off offset:96
	;; [unrolled: 1-line block ×10, first 2 shown]
	v_mov_b32_e32 v2, 0
	s_mov_b32 s2, exec_lo
	ds_load_b128 v[170:173], v2 offset:1072
	s_clause 0x2
	scratch_load_b128 v[174:177], off, off offset:240
	scratch_load_b128 v[178:181], off, off offset:64
	scratch_load_b128 v[186:189], off, off offset:256
	s_wait_loadcnt_dscnt 0xc00
	v_mul_f64_e32 v[190:191], v[172:173], v[6:7]
	v_mul_f64_e32 v[194:195], v[170:171], v[6:7]
	ds_load_b128 v[182:185], v2 offset:1088
	v_fma_f64 v[198:199], v[170:171], v[4:5], -v[190:191]
	v_fmac_f64_e32 v[194:195], v[172:173], v[4:5]
	ds_load_b128 v[4:7], v2 offset:1104
	s_wait_loadcnt_dscnt 0xb01
	v_mul_f64_e32 v[196:197], v[182:183], v[10:11]
	v_mul_f64_e32 v[10:11], v[184:185], v[10:11]
	scratch_load_b128 v[170:173], off, off offset:272
	ds_load_b128 v[190:193], v2 offset:1120
	s_wait_loadcnt_dscnt 0xb01
	v_mul_f64_e32 v[200:201], v[4:5], v[14:15]
	v_mul_f64_e32 v[14:15], v[6:7], v[14:15]
	v_add_f64_e32 v[194:195], 0, v[194:195]
	v_fmac_f64_e32 v[196:197], v[184:185], v[8:9]
	v_fma_f64 v[182:183], v[182:183], v[8:9], -v[10:11]
	v_add_f64_e32 v[184:185], 0, v[198:199]
	scratch_load_b128 v[8:11], off, off offset:288
	v_fmac_f64_e32 v[200:201], v[6:7], v[12:13]
	v_fma_f64 v[202:203], v[4:5], v[12:13], -v[14:15]
	ds_load_b128 v[4:7], v2 offset:1136
	s_wait_loadcnt_dscnt 0xb01
	v_mul_f64_e32 v[198:199], v[190:191], v[144:145]
	v_mul_f64_e32 v[144:145], v[192:193], v[144:145]
	scratch_load_b128 v[12:15], off, off offset:304
	v_add_f64_e32 v[194:195], v[194:195], v[196:197]
	v_add_f64_e32 v[204:205], v[184:185], v[182:183]
	ds_load_b128 v[182:185], v2 offset:1152
	s_wait_loadcnt_dscnt 0xb01
	v_mul_f64_e32 v[196:197], v[4:5], v[148:149]
	v_mul_f64_e32 v[148:149], v[6:7], v[148:149]
	v_fmac_f64_e32 v[198:199], v[192:193], v[142:143]
	v_fma_f64 v[190:191], v[190:191], v[142:143], -v[144:145]
	scratch_load_b128 v[142:145], off, off offset:320
	v_add_f64_e32 v[194:195], v[194:195], v[200:201]
	v_add_f64_e32 v[192:193], v[204:205], v[202:203]
	v_fmac_f64_e32 v[196:197], v[6:7], v[146:147]
	v_fma_f64 v[202:203], v[4:5], v[146:147], -v[148:149]
	ds_load_b128 v[4:7], v2 offset:1168
	s_wait_loadcnt_dscnt 0xb01
	v_mul_f64_e32 v[200:201], v[182:183], v[152:153]
	v_mul_f64_e32 v[152:153], v[184:185], v[152:153]
	scratch_load_b128 v[146:149], off, off offset:336
	v_add_f64_e32 v[194:195], v[194:195], v[198:199]
	s_wait_loadcnt_dscnt 0xb00
	v_mul_f64_e32 v[198:199], v[4:5], v[156:157]
	v_add_f64_e32 v[204:205], v[192:193], v[190:191]
	v_mul_f64_e32 v[156:157], v[6:7], v[156:157]
	ds_load_b128 v[190:193], v2 offset:1184
	v_fmac_f64_e32 v[200:201], v[184:185], v[150:151]
	v_fma_f64 v[182:183], v[182:183], v[150:151], -v[152:153]
	scratch_load_b128 v[150:153], off, off offset:352
	v_add_f64_e32 v[194:195], v[194:195], v[196:197]
	v_fmac_f64_e32 v[198:199], v[6:7], v[154:155]
	v_add_f64_e32 v[184:185], v[204:205], v[202:203]
	v_fma_f64 v[202:203], v[4:5], v[154:155], -v[156:157]
	ds_load_b128 v[4:7], v2 offset:1200
	s_wait_loadcnt_dscnt 0xb01
	v_mul_f64_e32 v[196:197], v[190:191], v[160:161]
	v_mul_f64_e32 v[160:161], v[192:193], v[160:161]
	scratch_load_b128 v[154:157], off, off offset:368
	v_add_f64_e32 v[194:195], v[194:195], v[200:201]
	s_wait_loadcnt_dscnt 0xb00
	v_mul_f64_e32 v[200:201], v[4:5], v[164:165]
	v_add_f64_e32 v[204:205], v[184:185], v[182:183]
	v_mul_f64_e32 v[164:165], v[6:7], v[164:165]
	ds_load_b128 v[182:185], v2 offset:1216
	v_fmac_f64_e32 v[196:197], v[192:193], v[158:159]
	v_fma_f64 v[190:191], v[190:191], v[158:159], -v[160:161]
	scratch_load_b128 v[158:161], off, off offset:384
	v_add_f64_e32 v[194:195], v[194:195], v[198:199]
	v_fmac_f64_e32 v[200:201], v[6:7], v[162:163]
	v_add_f64_e32 v[192:193], v[204:205], v[202:203]
	;; [unrolled: 18-line block ×3, first 2 shown]
	v_fma_f64 v[202:203], v[4:5], v[174:175], -v[176:177]
	ds_load_b128 v[4:7], v2 offset:1264
	s_wait_loadcnt_dscnt 0xa01
	v_mul_f64_e32 v[200:201], v[190:191], v[188:189]
	v_mul_f64_e32 v[188:189], v[192:193], v[188:189]
	scratch_load_b128 v[174:177], off, off offset:432
	v_add_f64_e32 v[194:195], v[194:195], v[198:199]
	v_add_f64_e32 v[204:205], v[184:185], v[182:183]
	s_wait_loadcnt_dscnt 0xa00
	v_mul_f64_e32 v[198:199], v[4:5], v[172:173]
	v_mul_f64_e32 v[172:173], v[6:7], v[172:173]
	v_fmac_f64_e32 v[200:201], v[192:193], v[186:187]
	v_fma_f64 v[190:191], v[190:191], v[186:187], -v[188:189]
	ds_load_b128 v[182:185], v2 offset:1280
	scratch_load_b128 v[186:189], off, off offset:448
	v_add_f64_e32 v[194:195], v[194:195], v[196:197]
	v_add_f64_e32 v[192:193], v[204:205], v[202:203]
	v_fmac_f64_e32 v[198:199], v[6:7], v[170:171]
	v_fma_f64 v[202:203], v[4:5], v[170:171], -v[172:173]
	ds_load_b128 v[4:7], v2 offset:1296
	s_wait_loadcnt_dscnt 0xa01
	v_mul_f64_e32 v[196:197], v[182:183], v[10:11]
	v_mul_f64_e32 v[10:11], v[184:185], v[10:11]
	scratch_load_b128 v[170:173], off, off offset:464
	v_add_f64_e32 v[194:195], v[194:195], v[200:201]
	s_wait_loadcnt_dscnt 0xa00
	v_mul_f64_e32 v[200:201], v[4:5], v[14:15]
	v_add_f64_e32 v[204:205], v[192:193], v[190:191]
	v_mul_f64_e32 v[14:15], v[6:7], v[14:15]
	ds_load_b128 v[190:193], v2 offset:1312
	v_fmac_f64_e32 v[196:197], v[184:185], v[8:9]
	v_fma_f64 v[182:183], v[182:183], v[8:9], -v[10:11]
	scratch_load_b128 v[8:11], off, off offset:480
	v_add_f64_e32 v[194:195], v[194:195], v[198:199]
	v_fmac_f64_e32 v[200:201], v[6:7], v[12:13]
	v_add_f64_e32 v[184:185], v[204:205], v[202:203]
	v_fma_f64 v[202:203], v[4:5], v[12:13], -v[14:15]
	ds_load_b128 v[4:7], v2 offset:1328
	s_wait_loadcnt_dscnt 0xa01
	v_mul_f64_e32 v[198:199], v[190:191], v[144:145]
	v_mul_f64_e32 v[144:145], v[192:193], v[144:145]
	scratch_load_b128 v[12:15], off, off offset:496
	v_add_f64_e32 v[194:195], v[194:195], v[196:197]
	s_wait_loadcnt_dscnt 0xa00
	v_mul_f64_e32 v[196:197], v[4:5], v[148:149]
	v_add_f64_e32 v[204:205], v[184:185], v[182:183]
	v_mul_f64_e32 v[148:149], v[6:7], v[148:149]
	ds_load_b128 v[182:185], v2 offset:1344
	v_fmac_f64_e32 v[198:199], v[192:193], v[142:143]
	v_fma_f64 v[190:191], v[190:191], v[142:143], -v[144:145]
	scratch_load_b128 v[142:145], off, off offset:512
	v_add_f64_e32 v[194:195], v[194:195], v[200:201]
	v_fmac_f64_e32 v[196:197], v[6:7], v[146:147]
	v_add_f64_e32 v[192:193], v[204:205], v[202:203]
	;; [unrolled: 18-line block ×16, first 2 shown]
	v_fma_f64 v[202:203], v[4:5], v[162:163], -v[164:165]
	ds_load_b128 v[4:7], v2 offset:1808
	s_wait_loadcnt_dscnt 0xa01
	v_mul_f64_e32 v[198:199], v[182:183], v[168:169]
	v_mul_f64_e32 v[168:169], v[184:185], v[168:169]
	scratch_load_b128 v[162:165], off, off offset:976
	v_add_f64_e32 v[194:195], v[194:195], v[196:197]
	s_wait_loadcnt_dscnt 0xa00
	v_mul_f64_e32 v[196:197], v[4:5], v[176:177]
	v_add_f64_e32 v[204:205], v[192:193], v[190:191]
	v_mul_f64_e32 v[176:177], v[6:7], v[176:177]
	ds_load_b128 v[190:193], v2 offset:1824
	v_fmac_f64_e32 v[198:199], v[184:185], v[166:167]
	v_fma_f64 v[166:167], v[182:183], v[166:167], -v[168:169]
	s_wait_loadcnt_dscnt 0x900
	v_mul_f64_e32 v[184:185], v[190:191], v[188:189]
	v_mul_f64_e32 v[188:189], v[192:193], v[188:189]
	v_add_f64_e32 v[182:183], v[194:195], v[200:201]
	v_fmac_f64_e32 v[196:197], v[6:7], v[174:175]
	v_add_f64_e32 v[168:169], v[204:205], v[202:203]
	v_fma_f64 v[174:175], v[4:5], v[174:175], -v[176:177]
	v_fmac_f64_e32 v[184:185], v[192:193], v[186:187]
	v_fma_f64 v[186:187], v[190:191], v[186:187], -v[188:189]
	v_add_f64_e32 v[182:183], v[182:183], v[198:199]
	v_add_f64_e32 v[176:177], v[168:169], v[166:167]
	ds_load_b128 v[4:7], v2 offset:1840
	ds_load_b128 v[166:169], v2 offset:1856
	s_wait_loadcnt_dscnt 0x801
	v_mul_f64_e32 v[194:195], v[4:5], v[172:173]
	v_mul_f64_e32 v[172:173], v[6:7], v[172:173]
	v_add_f64_e32 v[174:175], v[176:177], v[174:175]
	v_add_f64_e32 v[176:177], v[182:183], v[196:197]
	s_wait_loadcnt_dscnt 0x700
	v_mul_f64_e32 v[182:183], v[166:167], v[10:11]
	v_mul_f64_e32 v[10:11], v[168:169], v[10:11]
	v_fmac_f64_e32 v[194:195], v[6:7], v[170:171]
	v_fma_f64 v[188:189], v[4:5], v[170:171], -v[172:173]
	ds_load_b128 v[4:7], v2 offset:1872
	ds_load_b128 v[170:173], v2 offset:1888
	v_add_f64_e32 v[174:175], v[174:175], v[186:187]
	v_add_f64_e32 v[176:177], v[176:177], v[184:185]
	v_fmac_f64_e32 v[182:183], v[168:169], v[8:9]
	v_fma_f64 v[8:9], v[166:167], v[8:9], -v[10:11]
	s_wait_loadcnt_dscnt 0x601
	v_mul_f64_e32 v[184:185], v[4:5], v[14:15]
	v_mul_f64_e32 v[14:15], v[6:7], v[14:15]
	s_wait_loadcnt_dscnt 0x500
	v_mul_f64_e32 v[168:169], v[170:171], v[144:145]
	v_mul_f64_e32 v[144:145], v[172:173], v[144:145]
	v_add_f64_e32 v[10:11], v[174:175], v[188:189]
	v_add_f64_e32 v[166:167], v[176:177], v[194:195]
	v_fmac_f64_e32 v[184:185], v[6:7], v[12:13]
	v_fma_f64 v[12:13], v[4:5], v[12:13], -v[14:15]
	v_fmac_f64_e32 v[168:169], v[172:173], v[142:143]
	v_fma_f64 v[142:143], v[170:171], v[142:143], -v[144:145]
	v_add_f64_e32 v[14:15], v[10:11], v[8:9]
	v_add_f64_e32 v[166:167], v[166:167], v[182:183]
	ds_load_b128 v[4:7], v2 offset:1904
	ds_load_b128 v[8:11], v2 offset:1920
	s_wait_loadcnt_dscnt 0x401
	v_mul_f64_e32 v[174:175], v[4:5], v[148:149]
	v_mul_f64_e32 v[148:149], v[6:7], v[148:149]
	s_wait_loadcnt_dscnt 0x300
	v_mul_f64_e32 v[144:145], v[8:9], v[152:153]
	v_mul_f64_e32 v[152:153], v[10:11], v[152:153]
	v_add_f64_e32 v[12:13], v[14:15], v[12:13]
	v_add_f64_e32 v[14:15], v[166:167], v[184:185]
	v_fmac_f64_e32 v[174:175], v[6:7], v[146:147]
	v_fma_f64 v[146:147], v[4:5], v[146:147], -v[148:149]
	v_fmac_f64_e32 v[144:145], v[10:11], v[150:151]
	v_fma_f64 v[8:9], v[8:9], v[150:151], -v[152:153]
	v_add_f64_e32 v[142:143], v[12:13], v[142:143]
	v_add_f64_e32 v[148:149], v[14:15], v[168:169]
	ds_load_b128 v[4:7], v2 offset:1936
	ds_load_b128 v[12:15], v2 offset:1952
	s_wait_loadcnt_dscnt 0x201
	v_mul_f64_e32 v[166:167], v[4:5], v[156:157]
	v_mul_f64_e32 v[156:157], v[6:7], v[156:157]
	v_add_f64_e32 v[10:11], v[142:143], v[146:147]
	v_add_f64_e32 v[142:143], v[148:149], v[174:175]
	s_wait_loadcnt_dscnt 0x100
	v_mul_f64_e32 v[146:147], v[12:13], v[160:161]
	v_mul_f64_e32 v[148:149], v[14:15], v[160:161]
	v_fmac_f64_e32 v[166:167], v[6:7], v[154:155]
	v_fma_f64 v[150:151], v[4:5], v[154:155], -v[156:157]
	ds_load_b128 v[4:7], v2 offset:1968
	v_add_f64_e32 v[8:9], v[10:11], v[8:9]
	v_add_f64_e32 v[10:11], v[142:143], v[144:145]
	v_fmac_f64_e32 v[146:147], v[14:15], v[158:159]
	v_fma_f64 v[12:13], v[12:13], v[158:159], -v[148:149]
	s_wait_loadcnt_dscnt 0x0
	v_mul_f64_e32 v[142:143], v[4:5], v[164:165]
	v_mul_f64_e32 v[144:145], v[6:7], v[164:165]
	v_add_f64_e32 v[8:9], v[8:9], v[150:151]
	v_add_f64_e32 v[10:11], v[10:11], v[166:167]
	s_delay_alu instid0(VALU_DEP_4) | instskip(NEXT) | instid1(VALU_DEP_4)
	v_fmac_f64_e32 v[142:143], v[6:7], v[162:163]
	v_fma_f64 v[4:5], v[4:5], v[162:163], -v[144:145]
	s_delay_alu instid0(VALU_DEP_4) | instskip(NEXT) | instid1(VALU_DEP_4)
	v_add_f64_e32 v[6:7], v[8:9], v[12:13]
	v_add_f64_e32 v[8:9], v[10:11], v[146:147]
	s_delay_alu instid0(VALU_DEP_2) | instskip(NEXT) | instid1(VALU_DEP_2)
	v_add_f64_e32 v[4:5], v[6:7], v[4:5]
	v_add_f64_e32 v[6:7], v[8:9], v[142:143]
	s_delay_alu instid0(VALU_DEP_2) | instskip(NEXT) | instid1(VALU_DEP_2)
	v_add_f64_e64 v[4:5], v[178:179], -v[4:5]
	v_add_f64_e64 v[6:7], v[180:181], -v[6:7]
	scratch_store_b128 off, v[4:7], off offset:64
	s_wait_xcnt 0x0
	v_cmpx_lt_u32_e32 3, v1
	s_cbranch_execz .LBB125_391
; %bb.390:
	scratch_load_b128 v[6:9], off, s16
	v_dual_mov_b32 v3, v2 :: v_dual_mov_b32 v4, v2
	v_mov_b32_e32 v5, v2
	scratch_store_b128 off, v[2:5], off offset:48
	s_wait_loadcnt 0x0
	ds_store_b128 v16, v[6:9]
.LBB125_391:
	s_wait_xcnt 0x0
	s_or_b32 exec_lo, exec_lo, s2
	s_wait_storecnt_dscnt 0x0
	s_barrier_signal -1
	s_barrier_wait -1
	s_clause 0x9
	scratch_load_b128 v[4:7], off, off offset:64
	scratch_load_b128 v[8:11], off, off offset:80
	;; [unrolled: 1-line block ×10, first 2 shown]
	ds_load_b128 v[170:173], v2 offset:1056
	ds_load_b128 v[178:181], v2 offset:1072
	s_clause 0x2
	scratch_load_b128 v[174:177], off, off offset:224
	scratch_load_b128 v[182:185], off, off offset:48
	scratch_load_b128 v[186:189], off, off offset:240
	s_mov_b32 s2, exec_lo
	s_wait_loadcnt_dscnt 0xc01
	v_mul_f64_e32 v[190:191], v[172:173], v[6:7]
	v_mul_f64_e32 v[194:195], v[170:171], v[6:7]
	s_wait_loadcnt_dscnt 0xb00
	v_mul_f64_e32 v[196:197], v[178:179], v[10:11]
	v_mul_f64_e32 v[10:11], v[180:181], v[10:11]
	s_delay_alu instid0(VALU_DEP_4) | instskip(NEXT) | instid1(VALU_DEP_4)
	v_fma_f64 v[198:199], v[170:171], v[4:5], -v[190:191]
	v_fmac_f64_e32 v[194:195], v[172:173], v[4:5]
	ds_load_b128 v[4:7], v2 offset:1088
	ds_load_b128 v[170:173], v2 offset:1104
	scratch_load_b128 v[190:193], off, off offset:256
	v_fmac_f64_e32 v[196:197], v[180:181], v[8:9]
	v_fma_f64 v[178:179], v[178:179], v[8:9], -v[10:11]
	scratch_load_b128 v[8:11], off, off offset:272
	s_wait_loadcnt_dscnt 0xc01
	v_mul_f64_e32 v[200:201], v[4:5], v[14:15]
	v_mul_f64_e32 v[14:15], v[6:7], v[14:15]
	v_add_f64_e32 v[180:181], 0, v[198:199]
	v_add_f64_e32 v[194:195], 0, v[194:195]
	s_wait_loadcnt_dscnt 0xb00
	v_mul_f64_e32 v[198:199], v[170:171], v[144:145]
	v_mul_f64_e32 v[144:145], v[172:173], v[144:145]
	v_fmac_f64_e32 v[200:201], v[6:7], v[12:13]
	v_fma_f64 v[202:203], v[4:5], v[12:13], -v[14:15]
	ds_load_b128 v[4:7], v2 offset:1120
	ds_load_b128 v[12:15], v2 offset:1136
	v_add_f64_e32 v[204:205], v[180:181], v[178:179]
	v_add_f64_e32 v[194:195], v[194:195], v[196:197]
	scratch_load_b128 v[178:181], off, off offset:288
	v_fmac_f64_e32 v[198:199], v[172:173], v[142:143]
	v_fma_f64 v[170:171], v[170:171], v[142:143], -v[144:145]
	scratch_load_b128 v[142:145], off, off offset:304
	s_wait_loadcnt_dscnt 0xc01
	v_mul_f64_e32 v[196:197], v[4:5], v[148:149]
	v_mul_f64_e32 v[148:149], v[6:7], v[148:149]
	v_add_f64_e32 v[172:173], v[204:205], v[202:203]
	v_add_f64_e32 v[194:195], v[194:195], v[200:201]
	s_wait_loadcnt_dscnt 0xb00
	v_mul_f64_e32 v[200:201], v[12:13], v[152:153]
	v_mul_f64_e32 v[152:153], v[14:15], v[152:153]
	v_fmac_f64_e32 v[196:197], v[6:7], v[146:147]
	v_fma_f64 v[202:203], v[4:5], v[146:147], -v[148:149]
	ds_load_b128 v[4:7], v2 offset:1152
	ds_load_b128 v[146:149], v2 offset:1168
	v_add_f64_e32 v[204:205], v[172:173], v[170:171]
	v_add_f64_e32 v[194:195], v[194:195], v[198:199]
	scratch_load_b128 v[170:173], off, off offset:320
	s_wait_loadcnt_dscnt 0xb01
	v_mul_f64_e32 v[198:199], v[4:5], v[156:157]
	v_mul_f64_e32 v[156:157], v[6:7], v[156:157]
	v_fmac_f64_e32 v[200:201], v[14:15], v[150:151]
	v_fma_f64 v[150:151], v[12:13], v[150:151], -v[152:153]
	scratch_load_b128 v[12:15], off, off offset:336
	v_add_f64_e32 v[152:153], v[204:205], v[202:203]
	v_add_f64_e32 v[194:195], v[194:195], v[196:197]
	s_wait_loadcnt_dscnt 0xb00
	v_mul_f64_e32 v[196:197], v[146:147], v[160:161]
	v_mul_f64_e32 v[160:161], v[148:149], v[160:161]
	v_fmac_f64_e32 v[198:199], v[6:7], v[154:155]
	v_fma_f64 v[202:203], v[4:5], v[154:155], -v[156:157]
	v_add_f64_e32 v[204:205], v[152:153], v[150:151]
	v_add_f64_e32 v[194:195], v[194:195], v[200:201]
	ds_load_b128 v[4:7], v2 offset:1184
	ds_load_b128 v[150:153], v2 offset:1200
	scratch_load_b128 v[154:157], off, off offset:352
	v_fmac_f64_e32 v[196:197], v[148:149], v[158:159]
	v_fma_f64 v[158:159], v[146:147], v[158:159], -v[160:161]
	scratch_load_b128 v[146:149], off, off offset:368
	s_wait_loadcnt_dscnt 0xc01
	v_mul_f64_e32 v[200:201], v[4:5], v[164:165]
	v_mul_f64_e32 v[164:165], v[6:7], v[164:165]
	v_add_f64_e32 v[160:161], v[204:205], v[202:203]
	v_add_f64_e32 v[194:195], v[194:195], v[198:199]
	s_wait_loadcnt_dscnt 0xb00
	v_mul_f64_e32 v[198:199], v[150:151], v[168:169]
	v_mul_f64_e32 v[168:169], v[152:153], v[168:169]
	v_fmac_f64_e32 v[200:201], v[6:7], v[162:163]
	v_fma_f64 v[202:203], v[4:5], v[162:163], -v[164:165]
	v_add_f64_e32 v[204:205], v[160:161], v[158:159]
	v_add_f64_e32 v[194:195], v[194:195], v[196:197]
	ds_load_b128 v[4:7], v2 offset:1216
	ds_load_b128 v[158:161], v2 offset:1232
	scratch_load_b128 v[162:165], off, off offset:384
	v_fmac_f64_e32 v[198:199], v[152:153], v[166:167]
	v_fma_f64 v[166:167], v[150:151], v[166:167], -v[168:169]
	scratch_load_b128 v[150:153], off, off offset:400
	s_wait_loadcnt_dscnt 0xc01
	v_mul_f64_e32 v[196:197], v[4:5], v[176:177]
	v_mul_f64_e32 v[176:177], v[6:7], v[176:177]
	;; [unrolled: 18-line block ×5, first 2 shown]
	v_add_f64_e32 v[188:189], v[204:205], v[202:203]
	v_add_f64_e32 v[194:195], v[194:195], v[200:201]
	s_wait_loadcnt_dscnt 0xa00
	v_mul_f64_e32 v[200:201], v[166:167], v[14:15]
	v_mul_f64_e32 v[14:15], v[168:169], v[14:15]
	v_fmac_f64_e32 v[196:197], v[6:7], v[170:171]
	v_fma_f64 v[202:203], v[4:5], v[170:171], -v[172:173]
	ds_load_b128 v[4:7], v2 offset:1344
	ds_load_b128 v[170:173], v2 offset:1360
	v_add_f64_e32 v[204:205], v[188:189], v[186:187]
	v_add_f64_e32 v[194:195], v[194:195], v[198:199]
	scratch_load_b128 v[186:189], off, off offset:512
	v_fmac_f64_e32 v[200:201], v[168:169], v[12:13]
	v_fma_f64 v[166:167], v[166:167], v[12:13], -v[14:15]
	scratch_load_b128 v[12:15], off, off offset:528
	s_wait_loadcnt_dscnt 0xb01
	v_mul_f64_e32 v[198:199], v[4:5], v[156:157]
	v_mul_f64_e32 v[156:157], v[6:7], v[156:157]
	v_add_f64_e32 v[168:169], v[204:205], v[202:203]
	v_add_f64_e32 v[194:195], v[194:195], v[196:197]
	s_wait_loadcnt_dscnt 0xa00
	v_mul_f64_e32 v[196:197], v[170:171], v[148:149]
	v_mul_f64_e32 v[148:149], v[172:173], v[148:149]
	v_fmac_f64_e32 v[198:199], v[6:7], v[154:155]
	v_fma_f64 v[202:203], v[4:5], v[154:155], -v[156:157]
	ds_load_b128 v[4:7], v2 offset:1376
	ds_load_b128 v[154:157], v2 offset:1392
	v_add_f64_e32 v[204:205], v[168:169], v[166:167]
	v_add_f64_e32 v[194:195], v[194:195], v[200:201]
	scratch_load_b128 v[166:169], off, off offset:544
	s_wait_loadcnt_dscnt 0xa01
	v_mul_f64_e32 v[200:201], v[4:5], v[164:165]
	v_mul_f64_e32 v[164:165], v[6:7], v[164:165]
	v_fmac_f64_e32 v[196:197], v[172:173], v[146:147]
	v_fma_f64 v[170:171], v[170:171], v[146:147], -v[148:149]
	scratch_load_b128 v[146:149], off, off offset:560
	v_add_f64_e32 v[172:173], v[204:205], v[202:203]
	v_add_f64_e32 v[194:195], v[194:195], v[198:199]
	s_wait_loadcnt_dscnt 0xa00
	v_mul_f64_e32 v[198:199], v[154:155], v[152:153]
	v_mul_f64_e32 v[152:153], v[156:157], v[152:153]
	v_fmac_f64_e32 v[200:201], v[6:7], v[162:163]
	v_fma_f64 v[202:203], v[4:5], v[162:163], -v[164:165]
	ds_load_b128 v[4:7], v2 offset:1408
	ds_load_b128 v[162:165], v2 offset:1424
	v_add_f64_e32 v[204:205], v[172:173], v[170:171]
	v_add_f64_e32 v[194:195], v[194:195], v[196:197]
	scratch_load_b128 v[170:173], off, off offset:576
	s_wait_loadcnt_dscnt 0xa01
	v_mul_f64_e32 v[196:197], v[4:5], v[176:177]
	v_mul_f64_e32 v[176:177], v[6:7], v[176:177]
	v_fmac_f64_e32 v[198:199], v[156:157], v[150:151]
	v_fma_f64 v[154:155], v[154:155], v[150:151], -v[152:153]
	scratch_load_b128 v[150:153], off, off offset:592
	v_add_f64_e32 v[156:157], v[204:205], v[202:203]
	v_add_f64_e32 v[194:195], v[194:195], v[200:201]
	s_wait_loadcnt_dscnt 0xa00
	v_mul_f64_e32 v[200:201], v[162:163], v[160:161]
	v_mul_f64_e32 v[160:161], v[164:165], v[160:161]
	v_fmac_f64_e32 v[196:197], v[6:7], v[174:175]
	v_fma_f64 v[202:203], v[4:5], v[174:175], -v[176:177]
	v_add_f64_e32 v[204:205], v[156:157], v[154:155]
	v_add_f64_e32 v[194:195], v[194:195], v[198:199]
	ds_load_b128 v[4:7], v2 offset:1440
	ds_load_b128 v[154:157], v2 offset:1456
	scratch_load_b128 v[174:177], off, off offset:608
	v_fmac_f64_e32 v[200:201], v[164:165], v[158:159]
	v_fma_f64 v[162:163], v[162:163], v[158:159], -v[160:161]
	scratch_load_b128 v[158:161], off, off offset:624
	s_wait_loadcnt_dscnt 0xb01
	v_mul_f64_e32 v[198:199], v[4:5], v[192:193]
	v_mul_f64_e32 v[192:193], v[6:7], v[192:193]
	v_add_f64_e32 v[164:165], v[204:205], v[202:203]
	v_add_f64_e32 v[194:195], v[194:195], v[196:197]
	s_wait_loadcnt_dscnt 0xa00
	v_mul_f64_e32 v[196:197], v[154:155], v[10:11]
	v_mul_f64_e32 v[10:11], v[156:157], v[10:11]
	v_fmac_f64_e32 v[198:199], v[6:7], v[190:191]
	v_fma_f64 v[202:203], v[4:5], v[190:191], -v[192:193]
	v_add_f64_e32 v[204:205], v[164:165], v[162:163]
	v_add_f64_e32 v[194:195], v[194:195], v[200:201]
	ds_load_b128 v[4:7], v2 offset:1472
	ds_load_b128 v[162:165], v2 offset:1488
	scratch_load_b128 v[190:193], off, off offset:640
	v_fmac_f64_e32 v[196:197], v[156:157], v[8:9]
	v_fma_f64 v[154:155], v[154:155], v[8:9], -v[10:11]
	scratch_load_b128 v[8:11], off, off offset:656
	s_wait_loadcnt_dscnt 0xb01
	v_mul_f64_e32 v[200:201], v[4:5], v[180:181]
	v_mul_f64_e32 v[180:181], v[6:7], v[180:181]
	;; [unrolled: 18-line block ×12, first 2 shown]
	v_add_f64_e32 v[156:157], v[204:205], v[202:203]
	v_add_f64_e32 v[194:195], v[194:195], v[200:201]
	s_wait_loadcnt_dscnt 0xa00
	v_mul_f64_e32 v[200:201], v[162:163], v[160:161]
	v_mul_f64_e32 v[160:161], v[164:165], v[160:161]
	v_fmac_f64_e32 v[196:197], v[6:7], v[174:175]
	v_fma_f64 v[174:175], v[4:5], v[174:175], -v[176:177]
	v_add_f64_e32 v[176:177], v[156:157], v[154:155]
	v_add_f64_e32 v[194:195], v[194:195], v[198:199]
	ds_load_b128 v[4:7], v2 offset:1824
	ds_load_b128 v[154:157], v2 offset:1840
	v_fmac_f64_e32 v[200:201], v[164:165], v[158:159]
	v_fma_f64 v[158:159], v[162:163], v[158:159], -v[160:161]
	s_wait_loadcnt_dscnt 0x901
	v_mul_f64_e32 v[198:199], v[4:5], v[192:193]
	v_mul_f64_e32 v[192:193], v[6:7], v[192:193]
	s_wait_loadcnt_dscnt 0x800
	v_mul_f64_e32 v[164:165], v[154:155], v[10:11]
	v_mul_f64_e32 v[10:11], v[156:157], v[10:11]
	v_add_f64_e32 v[160:161], v[176:177], v[174:175]
	v_add_f64_e32 v[162:163], v[194:195], v[196:197]
	v_fmac_f64_e32 v[198:199], v[6:7], v[190:191]
	v_fma_f64 v[174:175], v[4:5], v[190:191], -v[192:193]
	v_fmac_f64_e32 v[164:165], v[156:157], v[8:9]
	v_fma_f64 v[8:9], v[154:155], v[8:9], -v[10:11]
	v_add_f64_e32 v[176:177], v[160:161], v[158:159]
	v_add_f64_e32 v[162:163], v[162:163], v[200:201]
	ds_load_b128 v[4:7], v2 offset:1856
	ds_load_b128 v[158:161], v2 offset:1872
	s_wait_loadcnt_dscnt 0x701
	v_mul_f64_e32 v[190:191], v[4:5], v[180:181]
	v_mul_f64_e32 v[180:181], v[6:7], v[180:181]
	s_wait_loadcnt_dscnt 0x600
	v_mul_f64_e32 v[156:157], v[158:159], v[144:145]
	v_mul_f64_e32 v[144:145], v[160:161], v[144:145]
	v_add_f64_e32 v[10:11], v[176:177], v[174:175]
	v_add_f64_e32 v[154:155], v[162:163], v[198:199]
	v_fmac_f64_e32 v[190:191], v[6:7], v[178:179]
	v_fma_f64 v[162:163], v[4:5], v[178:179], -v[180:181]
	v_fmac_f64_e32 v[156:157], v[160:161], v[142:143]
	v_fma_f64 v[142:143], v[158:159], v[142:143], -v[144:145]
	v_add_f64_e32 v[174:175], v[10:11], v[8:9]
	v_add_f64_e32 v[154:155], v[154:155], v[164:165]
	ds_load_b128 v[4:7], v2 offset:1888
	ds_load_b128 v[8:11], v2 offset:1904
	s_wait_loadcnt_dscnt 0x501
	v_mul_f64_e32 v[164:165], v[4:5], v[188:189]
	v_mul_f64_e32 v[176:177], v[6:7], v[188:189]
	s_wait_loadcnt_dscnt 0x400
	v_mul_f64_e32 v[158:159], v[8:9], v[14:15]
	v_mul_f64_e32 v[14:15], v[10:11], v[14:15]
	v_add_f64_e32 v[144:145], v[174:175], v[162:163]
	v_add_f64_e32 v[154:155], v[154:155], v[190:191]
	v_fmac_f64_e32 v[164:165], v[6:7], v[186:187]
	v_fma_f64 v[160:161], v[4:5], v[186:187], -v[176:177]
	v_fmac_f64_e32 v[158:159], v[10:11], v[12:13]
	v_fma_f64 v[8:9], v[8:9], v[12:13], -v[14:15]
	v_add_f64_e32 v[162:163], v[144:145], v[142:143]
	v_add_f64_e32 v[154:155], v[154:155], v[156:157]
	ds_load_b128 v[4:7], v2 offset:1920
	ds_load_b128 v[142:145], v2 offset:1936
	s_wait_loadcnt_dscnt 0x301
	v_mul_f64_e32 v[156:157], v[4:5], v[168:169]
	v_mul_f64_e32 v[168:169], v[6:7], v[168:169]
	s_wait_loadcnt_dscnt 0x200
	v_mul_f64_e32 v[14:15], v[142:143], v[148:149]
	v_mul_f64_e32 v[148:149], v[144:145], v[148:149]
	v_add_f64_e32 v[10:11], v[162:163], v[160:161]
	v_add_f64_e32 v[12:13], v[154:155], v[164:165]
	v_fmac_f64_e32 v[156:157], v[6:7], v[166:167]
	v_fma_f64 v[154:155], v[4:5], v[166:167], -v[168:169]
	v_fmac_f64_e32 v[14:15], v[144:145], v[146:147]
	v_fma_f64 v[142:143], v[142:143], v[146:147], -v[148:149]
	v_add_f64_e32 v[160:161], v[10:11], v[8:9]
	v_add_f64_e32 v[12:13], v[12:13], v[158:159]
	ds_load_b128 v[4:7], v2 offset:1952
	ds_load_b128 v[8:11], v2 offset:1968
	s_wait_loadcnt_dscnt 0x101
	v_mul_f64_e32 v[2:3], v[4:5], v[172:173]
	v_mul_f64_e32 v[158:159], v[6:7], v[172:173]
	s_wait_loadcnt_dscnt 0x0
	v_mul_f64_e32 v[146:147], v[8:9], v[152:153]
	v_mul_f64_e32 v[148:149], v[10:11], v[152:153]
	v_add_f64_e32 v[144:145], v[160:161], v[154:155]
	v_add_f64_e32 v[12:13], v[12:13], v[156:157]
	v_fmac_f64_e32 v[2:3], v[6:7], v[170:171]
	v_fma_f64 v[4:5], v[4:5], v[170:171], -v[158:159]
	v_fmac_f64_e32 v[146:147], v[10:11], v[150:151]
	v_fma_f64 v[8:9], v[8:9], v[150:151], -v[148:149]
	v_add_f64_e32 v[6:7], v[144:145], v[142:143]
	v_add_f64_e32 v[12:13], v[12:13], v[14:15]
	s_delay_alu instid0(VALU_DEP_2) | instskip(NEXT) | instid1(VALU_DEP_2)
	v_add_f64_e32 v[4:5], v[6:7], v[4:5]
	v_add_f64_e32 v[2:3], v[12:13], v[2:3]
	s_delay_alu instid0(VALU_DEP_2) | instskip(NEXT) | instid1(VALU_DEP_2)
	;; [unrolled: 3-line block ×3, first 2 shown]
	v_add_f64_e64 v[2:3], v[182:183], -v[4:5]
	v_add_f64_e64 v[4:5], v[184:185], -v[6:7]
	scratch_store_b128 off, v[2:5], off offset:48
	s_wait_xcnt 0x0
	v_cmpx_lt_u32_e32 2, v1
	s_cbranch_execz .LBB125_393
; %bb.392:
	scratch_load_b128 v[2:5], off, s18
	v_mov_b32_e32 v6, 0
	s_delay_alu instid0(VALU_DEP_1)
	v_dual_mov_b32 v7, v6 :: v_dual_mov_b32 v8, v6
	v_mov_b32_e32 v9, v6
	scratch_store_b128 off, v[6:9], off offset:32
	s_wait_loadcnt 0x0
	ds_store_b128 v16, v[2:5]
.LBB125_393:
	s_wait_xcnt 0x0
	s_or_b32 exec_lo, exec_lo, s2
	s_wait_storecnt_dscnt 0x0
	s_barrier_signal -1
	s_barrier_wait -1
	s_clause 0x9
	scratch_load_b128 v[4:7], off, off offset:48
	scratch_load_b128 v[8:11], off, off offset:64
	;; [unrolled: 1-line block ×10, first 2 shown]
	v_mov_b32_e32 v2, 0
	s_mov_b32 s2, exec_lo
	v_dual_ashrrev_i32 v25, 31, v24 :: v_dual_ashrrev_i32 v23, 31, v22
	v_ashrrev_i32_e32 v29, 31, v28
	ds_load_b128 v[170:173], v2 offset:1040
	s_clause 0x2
	scratch_load_b128 v[174:177], off, off offset:208
	scratch_load_b128 v[178:181], off, off offset:32
	;; [unrolled: 1-line block ×3, first 2 shown]
	v_ashrrev_i32_e32 v33, 31, v32
	v_ashrrev_i32_e32 v37, 31, v36
	v_dual_ashrrev_i32 v41, 31, v40 :: v_dual_ashrrev_i32 v27, 31, v26
	v_ashrrev_i32_e32 v45, 31, v44
	v_dual_ashrrev_i32 v49, 31, v48 :: v_dual_ashrrev_i32 v31, 31, v30
	v_ashrrev_i32_e32 v35, 31, v34
	v_ashrrev_i32_e32 v39, 31, v38
	v_dual_ashrrev_i32 v43, 31, v42 :: v_dual_ashrrev_i32 v53, 31, v52
	v_ashrrev_i32_e32 v47, 31, v46
	v_dual_ashrrev_i32 v51, 31, v50 :: v_dual_ashrrev_i32 v57, 31, v56
	v_dual_ashrrev_i32 v55, 31, v54 :: v_dual_ashrrev_i32 v61, 31, v60
	v_ashrrev_i32_e32 v59, 31, v58
	v_dual_ashrrev_i32 v63, 31, v62 :: v_dual_ashrrev_i32 v65, 31, v64
	v_ashrrev_i32_e32 v69, 31, v68
	v_dual_ashrrev_i32 v73, 31, v72 :: v_dual_ashrrev_i32 v67, 31, v66
	v_dual_ashrrev_i32 v71, 31, v70 :: v_dual_ashrrev_i32 v77, 31, v76
	;; [unrolled: 1-line block ×3, first 2 shown]
	v_ashrrev_i32_e32 v79, 31, v78
	v_dual_ashrrev_i32 v83, 31, v82 :: v_dual_ashrrev_i32 v85, 31, v84
	v_dual_ashrrev_i32 v87, 31, v86 :: v_dual_ashrrev_i32 v89, 31, v88
	;; [unrolled: 1-line block ×10, first 2 shown]
	v_ashrrev_i32_e32 v123, 31, v122
	v_dual_ashrrev_i32 v127, 31, v126 :: v_dual_ashrrev_i32 v125, 31, v124
	v_dual_ashrrev_i32 v129, 31, v128 :: v_dual_ashrrev_i32 v131, 31, v130
	;; [unrolled: 1-line block ×4, first 2 shown]
	s_wait_loadcnt_dscnt 0xc00
	v_dual_mul_f64 v[190:191], v[172:173], v[6:7] :: v_dual_ashrrev_i32 v141, 31, v140
	v_mul_f64_e32 v[194:195], v[170:171], v[6:7]
	ds_load_b128 v[182:185], v2 offset:1056
	v_fma_f64 v[198:199], v[170:171], v[4:5], -v[190:191]
	v_fmac_f64_e32 v[194:195], v[172:173], v[4:5]
	ds_load_b128 v[4:7], v2 offset:1072
	s_wait_loadcnt_dscnt 0xb01
	v_mul_f64_e32 v[196:197], v[182:183], v[10:11]
	v_mul_f64_e32 v[10:11], v[184:185], v[10:11]
	scratch_load_b128 v[170:173], off, off offset:240
	ds_load_b128 v[190:193], v2 offset:1088
	s_wait_loadcnt_dscnt 0xb01
	v_mul_f64_e32 v[200:201], v[4:5], v[14:15]
	v_mul_f64_e32 v[14:15], v[6:7], v[14:15]
	v_add_f64_e32 v[194:195], 0, v[194:195]
	v_fmac_f64_e32 v[196:197], v[184:185], v[8:9]
	v_fma_f64 v[182:183], v[182:183], v[8:9], -v[10:11]
	v_add_f64_e32 v[184:185], 0, v[198:199]
	scratch_load_b128 v[8:11], off, off offset:256
	v_fmac_f64_e32 v[200:201], v[6:7], v[12:13]
	v_fma_f64 v[202:203], v[4:5], v[12:13], -v[14:15]
	ds_load_b128 v[4:7], v2 offset:1104
	s_wait_loadcnt_dscnt 0xb01
	v_mul_f64_e32 v[198:199], v[190:191], v[144:145]
	v_mul_f64_e32 v[144:145], v[192:193], v[144:145]
	scratch_load_b128 v[12:15], off, off offset:272
	v_add_f64_e32 v[194:195], v[194:195], v[196:197]
	v_add_f64_e32 v[204:205], v[184:185], v[182:183]
	ds_load_b128 v[182:185], v2 offset:1120
	s_wait_loadcnt_dscnt 0xb01
	v_mul_f64_e32 v[196:197], v[4:5], v[148:149]
	v_mul_f64_e32 v[148:149], v[6:7], v[148:149]
	v_fmac_f64_e32 v[198:199], v[192:193], v[142:143]
	v_fma_f64 v[190:191], v[190:191], v[142:143], -v[144:145]
	scratch_load_b128 v[142:145], off, off offset:288
	v_add_f64_e32 v[194:195], v[194:195], v[200:201]
	v_add_f64_e32 v[192:193], v[204:205], v[202:203]
	v_fmac_f64_e32 v[196:197], v[6:7], v[146:147]
	v_fma_f64 v[202:203], v[4:5], v[146:147], -v[148:149]
	ds_load_b128 v[4:7], v2 offset:1136
	s_wait_loadcnt_dscnt 0xb01
	v_mul_f64_e32 v[200:201], v[182:183], v[152:153]
	v_mul_f64_e32 v[152:153], v[184:185], v[152:153]
	scratch_load_b128 v[146:149], off, off offset:304
	v_add_f64_e32 v[194:195], v[194:195], v[198:199]
	s_wait_loadcnt_dscnt 0xb00
	v_mul_f64_e32 v[198:199], v[4:5], v[156:157]
	v_add_f64_e32 v[204:205], v[192:193], v[190:191]
	v_mul_f64_e32 v[156:157], v[6:7], v[156:157]
	ds_load_b128 v[190:193], v2 offset:1152
	v_fmac_f64_e32 v[200:201], v[184:185], v[150:151]
	v_fma_f64 v[182:183], v[182:183], v[150:151], -v[152:153]
	scratch_load_b128 v[150:153], off, off offset:320
	v_add_f64_e32 v[194:195], v[194:195], v[196:197]
	v_fmac_f64_e32 v[198:199], v[6:7], v[154:155]
	v_add_f64_e32 v[184:185], v[204:205], v[202:203]
	v_fma_f64 v[202:203], v[4:5], v[154:155], -v[156:157]
	ds_load_b128 v[4:7], v2 offset:1168
	s_wait_loadcnt_dscnt 0xb01
	v_mul_f64_e32 v[196:197], v[190:191], v[160:161]
	v_mul_f64_e32 v[160:161], v[192:193], v[160:161]
	scratch_load_b128 v[154:157], off, off offset:336
	v_add_f64_e32 v[194:195], v[194:195], v[200:201]
	s_wait_loadcnt_dscnt 0xb00
	v_mul_f64_e32 v[200:201], v[4:5], v[164:165]
	v_add_f64_e32 v[204:205], v[184:185], v[182:183]
	v_mul_f64_e32 v[164:165], v[6:7], v[164:165]
	ds_load_b128 v[182:185], v2 offset:1184
	v_fmac_f64_e32 v[196:197], v[192:193], v[158:159]
	v_fma_f64 v[190:191], v[190:191], v[158:159], -v[160:161]
	scratch_load_b128 v[158:161], off, off offset:352
	v_add_f64_e32 v[194:195], v[194:195], v[198:199]
	v_fmac_f64_e32 v[200:201], v[6:7], v[162:163]
	v_add_f64_e32 v[192:193], v[204:205], v[202:203]
	;; [unrolled: 18-line block ×3, first 2 shown]
	v_fma_f64 v[202:203], v[4:5], v[174:175], -v[176:177]
	ds_load_b128 v[4:7], v2 offset:1232
	s_wait_loadcnt_dscnt 0xa01
	v_mul_f64_e32 v[200:201], v[190:191], v[188:189]
	v_mul_f64_e32 v[188:189], v[192:193], v[188:189]
	scratch_load_b128 v[174:177], off, off offset:400
	v_add_f64_e32 v[194:195], v[194:195], v[198:199]
	v_add_f64_e32 v[204:205], v[184:185], v[182:183]
	s_wait_loadcnt_dscnt 0xa00
	v_mul_f64_e32 v[198:199], v[4:5], v[172:173]
	v_mul_f64_e32 v[172:173], v[6:7], v[172:173]
	v_fmac_f64_e32 v[200:201], v[192:193], v[186:187]
	v_fma_f64 v[190:191], v[190:191], v[186:187], -v[188:189]
	ds_load_b128 v[182:185], v2 offset:1248
	scratch_load_b128 v[186:189], off, off offset:416
	v_add_f64_e32 v[194:195], v[194:195], v[196:197]
	v_add_f64_e32 v[192:193], v[204:205], v[202:203]
	v_fmac_f64_e32 v[198:199], v[6:7], v[170:171]
	v_fma_f64 v[202:203], v[4:5], v[170:171], -v[172:173]
	ds_load_b128 v[4:7], v2 offset:1264
	s_wait_loadcnt_dscnt 0xa01
	v_mul_f64_e32 v[196:197], v[182:183], v[10:11]
	v_mul_f64_e32 v[10:11], v[184:185], v[10:11]
	scratch_load_b128 v[170:173], off, off offset:432
	v_add_f64_e32 v[194:195], v[194:195], v[200:201]
	s_wait_loadcnt_dscnt 0xa00
	v_mul_f64_e32 v[200:201], v[4:5], v[14:15]
	v_add_f64_e32 v[204:205], v[192:193], v[190:191]
	v_mul_f64_e32 v[14:15], v[6:7], v[14:15]
	ds_load_b128 v[190:193], v2 offset:1280
	v_fmac_f64_e32 v[196:197], v[184:185], v[8:9]
	v_fma_f64 v[182:183], v[182:183], v[8:9], -v[10:11]
	scratch_load_b128 v[8:11], off, off offset:448
	v_add_f64_e32 v[194:195], v[194:195], v[198:199]
	v_fmac_f64_e32 v[200:201], v[6:7], v[12:13]
	v_add_f64_e32 v[184:185], v[204:205], v[202:203]
	v_fma_f64 v[202:203], v[4:5], v[12:13], -v[14:15]
	ds_load_b128 v[4:7], v2 offset:1296
	s_wait_loadcnt_dscnt 0xa01
	v_mul_f64_e32 v[198:199], v[190:191], v[144:145]
	v_mul_f64_e32 v[144:145], v[192:193], v[144:145]
	scratch_load_b128 v[12:15], off, off offset:464
	v_add_f64_e32 v[194:195], v[194:195], v[196:197]
	s_wait_loadcnt_dscnt 0xa00
	v_mul_f64_e32 v[196:197], v[4:5], v[148:149]
	v_add_f64_e32 v[204:205], v[184:185], v[182:183]
	v_mul_f64_e32 v[148:149], v[6:7], v[148:149]
	ds_load_b128 v[182:185], v2 offset:1312
	v_fmac_f64_e32 v[198:199], v[192:193], v[142:143]
	v_fma_f64 v[190:191], v[190:191], v[142:143], -v[144:145]
	scratch_load_b128 v[142:145], off, off offset:480
	v_add_f64_e32 v[194:195], v[194:195], v[200:201]
	v_fmac_f64_e32 v[196:197], v[6:7], v[146:147]
	v_add_f64_e32 v[192:193], v[204:205], v[202:203]
	;; [unrolled: 18-line block ×17, first 2 shown]
	v_fma_f64 v[202:203], v[4:5], v[174:175], -v[176:177]
	ds_load_b128 v[4:7], v2 offset:1808
	s_wait_loadcnt_dscnt 0xa01
	v_mul_f64_e32 v[200:201], v[190:191], v[188:189]
	v_mul_f64_e32 v[188:189], v[192:193], v[188:189]
	scratch_load_b128 v[174:177], off, off offset:976
	v_add_f64_e32 v[194:195], v[194:195], v[198:199]
	s_wait_loadcnt_dscnt 0xa00
	v_mul_f64_e32 v[198:199], v[4:5], v[172:173]
	v_add_f64_e32 v[204:205], v[184:185], v[182:183]
	v_mul_f64_e32 v[172:173], v[6:7], v[172:173]
	ds_load_b128 v[182:185], v2 offset:1824
	v_fmac_f64_e32 v[200:201], v[192:193], v[186:187]
	v_fma_f64 v[186:187], v[190:191], v[186:187], -v[188:189]
	s_wait_loadcnt_dscnt 0x900
	v_mul_f64_e32 v[192:193], v[182:183], v[10:11]
	v_mul_f64_e32 v[10:11], v[184:185], v[10:11]
	v_add_f64_e32 v[190:191], v[194:195], v[196:197]
	v_fmac_f64_e32 v[198:199], v[6:7], v[170:171]
	v_add_f64_e32 v[188:189], v[204:205], v[202:203]
	v_fma_f64 v[194:195], v[4:5], v[170:171], -v[172:173]
	ds_load_b128 v[4:7], v2 offset:1840
	ds_load_b128 v[170:173], v2 offset:1856
	v_fmac_f64_e32 v[192:193], v[184:185], v[8:9]
	v_fma_f64 v[8:9], v[182:183], v[8:9], -v[10:11]
	v_add_f64_e32 v[186:187], v[188:189], v[186:187]
	v_add_f64_e32 v[188:189], v[190:191], v[200:201]
	s_wait_loadcnt_dscnt 0x801
	v_mul_f64_e32 v[190:191], v[4:5], v[14:15]
	v_mul_f64_e32 v[14:15], v[6:7], v[14:15]
	s_wait_loadcnt_dscnt 0x700
	v_mul_f64_e32 v[184:185], v[170:171], v[144:145]
	v_mul_f64_e32 v[144:145], v[172:173], v[144:145]
	v_add_f64_e32 v[10:11], v[186:187], v[194:195]
	v_add_f64_e32 v[182:183], v[188:189], v[198:199]
	v_fmac_f64_e32 v[190:191], v[6:7], v[12:13]
	v_fma_f64 v[12:13], v[4:5], v[12:13], -v[14:15]
	v_fmac_f64_e32 v[184:185], v[172:173], v[142:143]
	v_fma_f64 v[142:143], v[170:171], v[142:143], -v[144:145]
	v_add_f64_e32 v[14:15], v[10:11], v[8:9]
	v_add_f64_e32 v[182:183], v[182:183], v[192:193]
	ds_load_b128 v[4:7], v2 offset:1872
	ds_load_b128 v[8:11], v2 offset:1888
	s_wait_loadcnt_dscnt 0x601
	v_mul_f64_e32 v[186:187], v[4:5], v[148:149]
	v_mul_f64_e32 v[148:149], v[6:7], v[148:149]
	s_wait_loadcnt_dscnt 0x500
	v_mul_f64_e32 v[144:145], v[8:9], v[152:153]
	v_mul_f64_e32 v[152:153], v[10:11], v[152:153]
	v_add_f64_e32 v[12:13], v[14:15], v[12:13]
	v_add_f64_e32 v[14:15], v[182:183], v[190:191]
	v_fmac_f64_e32 v[186:187], v[6:7], v[146:147]
	v_fma_f64 v[146:147], v[4:5], v[146:147], -v[148:149]
	v_fmac_f64_e32 v[144:145], v[10:11], v[150:151]
	v_fma_f64 v[8:9], v[8:9], v[150:151], -v[152:153]
	v_add_f64_e32 v[142:143], v[12:13], v[142:143]
	v_add_f64_e32 v[148:149], v[14:15], v[184:185]
	ds_load_b128 v[4:7], v2 offset:1904
	ds_load_b128 v[12:15], v2 offset:1920
	s_wait_loadcnt_dscnt 0x401
	v_mul_f64_e32 v[170:171], v[4:5], v[156:157]
	v_mul_f64_e32 v[156:157], v[6:7], v[156:157]
	v_add_f64_e32 v[10:11], v[142:143], v[146:147]
	v_add_f64_e32 v[142:143], v[148:149], v[186:187]
	s_wait_loadcnt_dscnt 0x300
	v_mul_f64_e32 v[146:147], v[12:13], v[160:161]
	v_mul_f64_e32 v[148:149], v[14:15], v[160:161]
	v_fmac_f64_e32 v[170:171], v[6:7], v[154:155]
	v_fma_f64 v[150:151], v[4:5], v[154:155], -v[156:157]
	v_add_f64_e32 v[152:153], v[10:11], v[8:9]
	v_add_f64_e32 v[142:143], v[142:143], v[144:145]
	ds_load_b128 v[4:7], v2 offset:1936
	ds_load_b128 v[8:11], v2 offset:1952
	v_fmac_f64_e32 v[146:147], v[14:15], v[158:159]
	v_fma_f64 v[12:13], v[12:13], v[158:159], -v[148:149]
	s_wait_loadcnt_dscnt 0x201
	v_mul_f64_e32 v[144:145], v[4:5], v[164:165]
	v_mul_f64_e32 v[154:155], v[6:7], v[164:165]
	s_wait_loadcnt_dscnt 0x100
	v_mul_f64_e32 v[148:149], v[8:9], v[168:169]
	v_add_f64_e32 v[14:15], v[152:153], v[150:151]
	v_add_f64_e32 v[142:143], v[142:143], v[170:171]
	v_mul_f64_e32 v[150:151], v[10:11], v[168:169]
	v_fmac_f64_e32 v[144:145], v[6:7], v[162:163]
	v_fma_f64 v[152:153], v[4:5], v[162:163], -v[154:155]
	ds_load_b128 v[4:7], v2 offset:1968
	v_fmac_f64_e32 v[148:149], v[10:11], v[166:167]
	v_add_f64_e32 v[12:13], v[14:15], v[12:13]
	v_add_f64_e32 v[14:15], v[142:143], v[146:147]
	v_fma_f64 v[8:9], v[8:9], v[166:167], -v[150:151]
	s_wait_loadcnt_dscnt 0x0
	v_mul_f64_e32 v[142:143], v[4:5], v[176:177]
	v_mul_f64_e32 v[146:147], v[6:7], v[176:177]
	v_add_f64_e32 v[10:11], v[12:13], v[152:153]
	v_add_f64_e32 v[12:13], v[14:15], v[144:145]
	s_delay_alu instid0(VALU_DEP_4) | instskip(NEXT) | instid1(VALU_DEP_4)
	v_fmac_f64_e32 v[142:143], v[6:7], v[174:175]
	v_fma_f64 v[4:5], v[4:5], v[174:175], -v[146:147]
	s_delay_alu instid0(VALU_DEP_4) | instskip(NEXT) | instid1(VALU_DEP_4)
	v_add_f64_e32 v[6:7], v[10:11], v[8:9]
	v_add_f64_e32 v[8:9], v[12:13], v[148:149]
	s_delay_alu instid0(VALU_DEP_2) | instskip(NEXT) | instid1(VALU_DEP_2)
	v_add_f64_e32 v[4:5], v[6:7], v[4:5]
	v_add_f64_e32 v[6:7], v[8:9], v[142:143]
	s_delay_alu instid0(VALU_DEP_2) | instskip(NEXT) | instid1(VALU_DEP_2)
	v_add_f64_e64 v[4:5], v[178:179], -v[4:5]
	v_add_f64_e64 v[6:7], v[180:181], -v[6:7]
	scratch_store_b128 off, v[4:7], off offset:32
	s_wait_xcnt 0x0
	v_cmpx_lt_u32_e32 1, v1
	s_cbranch_execz .LBB125_395
; %bb.394:
	scratch_load_b128 v[6:9], off, s20
	v_dual_mov_b32 v3, v2 :: v_dual_mov_b32 v4, v2
	v_mov_b32_e32 v5, v2
	scratch_store_b128 off, v[2:5], off offset:16
	s_wait_loadcnt 0x0
	ds_store_b128 v16, v[6:9]
.LBB125_395:
	s_wait_xcnt 0x0
	s_or_b32 exec_lo, exec_lo, s2
	s_wait_storecnt_dscnt 0x0
	s_barrier_signal -1
	s_barrier_wait -1
	s_clause 0x9
	scratch_load_b128 v[4:7], off, off offset:32
	scratch_load_b128 v[8:11], off, off offset:48
	scratch_load_b128 v[12:15], off, off offset:64
	scratch_load_b128 v[142:145], off, off offset:80
	scratch_load_b128 v[146:149], off, off offset:96
	scratch_load_b128 v[150:153], off, off offset:112
	scratch_load_b128 v[154:157], off, off offset:128
	scratch_load_b128 v[158:161], off, off offset:144
	scratch_load_b128 v[162:165], off, off offset:160
	scratch_load_b128 v[166:169], off, off offset:176
	ds_load_b128 v[170:173], v2 offset:1024
	ds_load_b128 v[178:181], v2 offset:1040
	s_clause 0x2
	scratch_load_b128 v[174:177], off, off offset:192
	scratch_load_b128 v[182:185], off, off offset:16
	scratch_load_b128 v[186:189], off, off offset:208
	s_mov_b32 s2, exec_lo
	s_wait_loadcnt_dscnt 0xc01
	v_mul_f64_e32 v[190:191], v[172:173], v[6:7]
	v_mul_f64_e32 v[194:195], v[170:171], v[6:7]
	s_wait_loadcnt_dscnt 0xb00
	v_mul_f64_e32 v[196:197], v[178:179], v[10:11]
	v_mul_f64_e32 v[10:11], v[180:181], v[10:11]
	s_delay_alu instid0(VALU_DEP_4) | instskip(NEXT) | instid1(VALU_DEP_4)
	v_fma_f64 v[198:199], v[170:171], v[4:5], -v[190:191]
	v_fmac_f64_e32 v[194:195], v[172:173], v[4:5]
	ds_load_b128 v[4:7], v2 offset:1056
	ds_load_b128 v[170:173], v2 offset:1072
	scratch_load_b128 v[190:193], off, off offset:224
	v_fmac_f64_e32 v[196:197], v[180:181], v[8:9]
	v_fma_f64 v[178:179], v[178:179], v[8:9], -v[10:11]
	scratch_load_b128 v[8:11], off, off offset:240
	s_wait_loadcnt_dscnt 0xc01
	v_mul_f64_e32 v[200:201], v[4:5], v[14:15]
	v_mul_f64_e32 v[14:15], v[6:7], v[14:15]
	v_add_f64_e32 v[180:181], 0, v[198:199]
	v_add_f64_e32 v[194:195], 0, v[194:195]
	s_wait_loadcnt_dscnt 0xb00
	v_mul_f64_e32 v[198:199], v[170:171], v[144:145]
	v_mul_f64_e32 v[144:145], v[172:173], v[144:145]
	v_fmac_f64_e32 v[200:201], v[6:7], v[12:13]
	v_fma_f64 v[202:203], v[4:5], v[12:13], -v[14:15]
	ds_load_b128 v[4:7], v2 offset:1088
	ds_load_b128 v[12:15], v2 offset:1104
	v_add_f64_e32 v[204:205], v[180:181], v[178:179]
	v_add_f64_e32 v[194:195], v[194:195], v[196:197]
	scratch_load_b128 v[178:181], off, off offset:256
	v_fmac_f64_e32 v[198:199], v[172:173], v[142:143]
	v_fma_f64 v[170:171], v[170:171], v[142:143], -v[144:145]
	scratch_load_b128 v[142:145], off, off offset:272
	s_wait_loadcnt_dscnt 0xc01
	v_mul_f64_e32 v[196:197], v[4:5], v[148:149]
	v_mul_f64_e32 v[148:149], v[6:7], v[148:149]
	v_add_f64_e32 v[172:173], v[204:205], v[202:203]
	v_add_f64_e32 v[194:195], v[194:195], v[200:201]
	s_wait_loadcnt_dscnt 0xb00
	v_mul_f64_e32 v[200:201], v[12:13], v[152:153]
	v_mul_f64_e32 v[152:153], v[14:15], v[152:153]
	v_fmac_f64_e32 v[196:197], v[6:7], v[146:147]
	v_fma_f64 v[202:203], v[4:5], v[146:147], -v[148:149]
	ds_load_b128 v[4:7], v2 offset:1120
	ds_load_b128 v[146:149], v2 offset:1136
	v_add_f64_e32 v[204:205], v[172:173], v[170:171]
	v_add_f64_e32 v[194:195], v[194:195], v[198:199]
	scratch_load_b128 v[170:173], off, off offset:288
	s_wait_loadcnt_dscnt 0xb01
	v_mul_f64_e32 v[198:199], v[4:5], v[156:157]
	v_mul_f64_e32 v[156:157], v[6:7], v[156:157]
	v_fmac_f64_e32 v[200:201], v[14:15], v[150:151]
	v_fma_f64 v[150:151], v[12:13], v[150:151], -v[152:153]
	scratch_load_b128 v[12:15], off, off offset:304
	v_add_f64_e32 v[152:153], v[204:205], v[202:203]
	v_add_f64_e32 v[194:195], v[194:195], v[196:197]
	s_wait_loadcnt_dscnt 0xb00
	v_mul_f64_e32 v[196:197], v[146:147], v[160:161]
	v_mul_f64_e32 v[160:161], v[148:149], v[160:161]
	v_fmac_f64_e32 v[198:199], v[6:7], v[154:155]
	v_fma_f64 v[202:203], v[4:5], v[154:155], -v[156:157]
	v_add_f64_e32 v[204:205], v[152:153], v[150:151]
	v_add_f64_e32 v[194:195], v[194:195], v[200:201]
	ds_load_b128 v[4:7], v2 offset:1152
	ds_load_b128 v[150:153], v2 offset:1168
	scratch_load_b128 v[154:157], off, off offset:320
	v_fmac_f64_e32 v[196:197], v[148:149], v[158:159]
	v_fma_f64 v[158:159], v[146:147], v[158:159], -v[160:161]
	scratch_load_b128 v[146:149], off, off offset:336
	s_wait_loadcnt_dscnt 0xc01
	v_mul_f64_e32 v[200:201], v[4:5], v[164:165]
	v_mul_f64_e32 v[164:165], v[6:7], v[164:165]
	v_add_f64_e32 v[160:161], v[204:205], v[202:203]
	v_add_f64_e32 v[194:195], v[194:195], v[198:199]
	s_wait_loadcnt_dscnt 0xb00
	v_mul_f64_e32 v[198:199], v[150:151], v[168:169]
	v_mul_f64_e32 v[168:169], v[152:153], v[168:169]
	v_fmac_f64_e32 v[200:201], v[6:7], v[162:163]
	v_fma_f64 v[202:203], v[4:5], v[162:163], -v[164:165]
	v_add_f64_e32 v[204:205], v[160:161], v[158:159]
	v_add_f64_e32 v[194:195], v[194:195], v[196:197]
	ds_load_b128 v[4:7], v2 offset:1184
	ds_load_b128 v[158:161], v2 offset:1200
	scratch_load_b128 v[162:165], off, off offset:352
	v_fmac_f64_e32 v[198:199], v[152:153], v[166:167]
	v_fma_f64 v[166:167], v[150:151], v[166:167], -v[168:169]
	scratch_load_b128 v[150:153], off, off offset:368
	s_wait_loadcnt_dscnt 0xc01
	v_mul_f64_e32 v[196:197], v[4:5], v[176:177]
	v_mul_f64_e32 v[176:177], v[6:7], v[176:177]
	v_add_f64_e32 v[168:169], v[204:205], v[202:203]
	v_add_f64_e32 v[194:195], v[194:195], v[200:201]
	s_wait_loadcnt_dscnt 0xa00
	v_mul_f64_e32 v[200:201], v[158:159], v[188:189]
	v_mul_f64_e32 v[188:189], v[160:161], v[188:189]
	v_fmac_f64_e32 v[196:197], v[6:7], v[174:175]
	v_fma_f64 v[202:203], v[4:5], v[174:175], -v[176:177]
	v_add_f64_e32 v[204:205], v[168:169], v[166:167]
	v_add_f64_e32 v[194:195], v[194:195], v[198:199]
	ds_load_b128 v[4:7], v2 offset:1216
	ds_load_b128 v[166:169], v2 offset:1232
	scratch_load_b128 v[174:177], off, off offset:384
	v_fmac_f64_e32 v[200:201], v[160:161], v[186:187]
	v_fma_f64 v[186:187], v[158:159], v[186:187], -v[188:189]
	scratch_load_b128 v[158:161], off, off offset:400
	s_wait_loadcnt_dscnt 0xb01
	v_mul_f64_e32 v[198:199], v[4:5], v[192:193]
	v_mul_f64_e32 v[192:193], v[6:7], v[192:193]
	v_add_f64_e32 v[188:189], v[204:205], v[202:203]
	v_add_f64_e32 v[194:195], v[194:195], v[196:197]
	s_wait_loadcnt_dscnt 0xa00
	v_mul_f64_e32 v[196:197], v[166:167], v[10:11]
	v_mul_f64_e32 v[10:11], v[168:169], v[10:11]
	v_fmac_f64_e32 v[198:199], v[6:7], v[190:191]
	v_fma_f64 v[202:203], v[4:5], v[190:191], -v[192:193]
	v_add_f64_e32 v[204:205], v[188:189], v[186:187]
	v_add_f64_e32 v[194:195], v[194:195], v[200:201]
	ds_load_b128 v[4:7], v2 offset:1248
	ds_load_b128 v[186:189], v2 offset:1264
	scratch_load_b128 v[190:193], off, off offset:416
	v_fmac_f64_e32 v[196:197], v[168:169], v[8:9]
	v_fma_f64 v[166:167], v[166:167], v[8:9], -v[10:11]
	scratch_load_b128 v[8:11], off, off offset:432
	s_wait_loadcnt_dscnt 0xb01
	v_mul_f64_e32 v[200:201], v[4:5], v[180:181]
	v_mul_f64_e32 v[180:181], v[6:7], v[180:181]
	v_add_f64_e32 v[168:169], v[204:205], v[202:203]
	v_add_f64_e32 v[194:195], v[194:195], v[198:199]
	s_wait_loadcnt_dscnt 0xa00
	v_mul_f64_e32 v[198:199], v[186:187], v[144:145]
	v_mul_f64_e32 v[144:145], v[188:189], v[144:145]
	v_fmac_f64_e32 v[200:201], v[6:7], v[178:179]
	v_fma_f64 v[202:203], v[4:5], v[178:179], -v[180:181]
	v_add_f64_e32 v[204:205], v[168:169], v[166:167]
	v_add_f64_e32 v[194:195], v[194:195], v[196:197]
	ds_load_b128 v[4:7], v2 offset:1280
	ds_load_b128 v[166:169], v2 offset:1296
	scratch_load_b128 v[178:181], off, off offset:448
	v_fmac_f64_e32 v[198:199], v[188:189], v[142:143]
	v_fma_f64 v[186:187], v[186:187], v[142:143], -v[144:145]
	scratch_load_b128 v[142:145], off, off offset:464
	s_wait_loadcnt_dscnt 0xb01
	v_mul_f64_e32 v[196:197], v[4:5], v[172:173]
	v_mul_f64_e32 v[172:173], v[6:7], v[172:173]
	v_add_f64_e32 v[188:189], v[204:205], v[202:203]
	v_add_f64_e32 v[194:195], v[194:195], v[200:201]
	s_wait_loadcnt_dscnt 0xa00
	v_mul_f64_e32 v[200:201], v[166:167], v[14:15]
	v_mul_f64_e32 v[14:15], v[168:169], v[14:15]
	v_fmac_f64_e32 v[196:197], v[6:7], v[170:171]
	v_fma_f64 v[202:203], v[4:5], v[170:171], -v[172:173]
	ds_load_b128 v[4:7], v2 offset:1312
	ds_load_b128 v[170:173], v2 offset:1328
	v_add_f64_e32 v[204:205], v[188:189], v[186:187]
	v_add_f64_e32 v[194:195], v[194:195], v[198:199]
	scratch_load_b128 v[186:189], off, off offset:480
	v_fmac_f64_e32 v[200:201], v[168:169], v[12:13]
	v_fma_f64 v[166:167], v[166:167], v[12:13], -v[14:15]
	scratch_load_b128 v[12:15], off, off offset:496
	s_wait_loadcnt_dscnt 0xb01
	v_mul_f64_e32 v[198:199], v[4:5], v[156:157]
	v_mul_f64_e32 v[156:157], v[6:7], v[156:157]
	v_add_f64_e32 v[168:169], v[204:205], v[202:203]
	v_add_f64_e32 v[194:195], v[194:195], v[196:197]
	s_wait_loadcnt_dscnt 0xa00
	v_mul_f64_e32 v[196:197], v[170:171], v[148:149]
	v_mul_f64_e32 v[148:149], v[172:173], v[148:149]
	v_fmac_f64_e32 v[198:199], v[6:7], v[154:155]
	v_fma_f64 v[202:203], v[4:5], v[154:155], -v[156:157]
	ds_load_b128 v[4:7], v2 offset:1344
	ds_load_b128 v[154:157], v2 offset:1360
	v_add_f64_e32 v[204:205], v[168:169], v[166:167]
	v_add_f64_e32 v[194:195], v[194:195], v[200:201]
	scratch_load_b128 v[166:169], off, off offset:512
	s_wait_loadcnt_dscnt 0xa01
	v_mul_f64_e32 v[200:201], v[4:5], v[164:165]
	v_mul_f64_e32 v[164:165], v[6:7], v[164:165]
	v_fmac_f64_e32 v[196:197], v[172:173], v[146:147]
	v_fma_f64 v[170:171], v[170:171], v[146:147], -v[148:149]
	scratch_load_b128 v[146:149], off, off offset:528
	v_add_f64_e32 v[172:173], v[204:205], v[202:203]
	v_add_f64_e32 v[194:195], v[194:195], v[198:199]
	s_wait_loadcnt_dscnt 0xa00
	v_mul_f64_e32 v[198:199], v[154:155], v[152:153]
	v_mul_f64_e32 v[152:153], v[156:157], v[152:153]
	v_fmac_f64_e32 v[200:201], v[6:7], v[162:163]
	v_fma_f64 v[202:203], v[4:5], v[162:163], -v[164:165]
	ds_load_b128 v[4:7], v2 offset:1376
	ds_load_b128 v[162:165], v2 offset:1392
	v_add_f64_e32 v[204:205], v[172:173], v[170:171]
	v_add_f64_e32 v[194:195], v[194:195], v[196:197]
	scratch_load_b128 v[170:173], off, off offset:544
	s_wait_loadcnt_dscnt 0xa01
	v_mul_f64_e32 v[196:197], v[4:5], v[176:177]
	v_mul_f64_e32 v[176:177], v[6:7], v[176:177]
	v_fmac_f64_e32 v[198:199], v[156:157], v[150:151]
	v_fma_f64 v[154:155], v[154:155], v[150:151], -v[152:153]
	scratch_load_b128 v[150:153], off, off offset:560
	v_add_f64_e32 v[156:157], v[204:205], v[202:203]
	v_add_f64_e32 v[194:195], v[194:195], v[200:201]
	s_wait_loadcnt_dscnt 0xa00
	v_mul_f64_e32 v[200:201], v[162:163], v[160:161]
	v_mul_f64_e32 v[160:161], v[164:165], v[160:161]
	v_fmac_f64_e32 v[196:197], v[6:7], v[174:175]
	v_fma_f64 v[202:203], v[4:5], v[174:175], -v[176:177]
	v_add_f64_e32 v[204:205], v[156:157], v[154:155]
	v_add_f64_e32 v[194:195], v[194:195], v[198:199]
	ds_load_b128 v[4:7], v2 offset:1408
	ds_load_b128 v[154:157], v2 offset:1424
	scratch_load_b128 v[174:177], off, off offset:576
	v_fmac_f64_e32 v[200:201], v[164:165], v[158:159]
	v_fma_f64 v[162:163], v[162:163], v[158:159], -v[160:161]
	scratch_load_b128 v[158:161], off, off offset:592
	s_wait_loadcnt_dscnt 0xb01
	v_mul_f64_e32 v[198:199], v[4:5], v[192:193]
	v_mul_f64_e32 v[192:193], v[6:7], v[192:193]
	v_add_f64_e32 v[164:165], v[204:205], v[202:203]
	v_add_f64_e32 v[194:195], v[194:195], v[196:197]
	s_wait_loadcnt_dscnt 0xa00
	v_mul_f64_e32 v[196:197], v[154:155], v[10:11]
	v_mul_f64_e32 v[10:11], v[156:157], v[10:11]
	v_fmac_f64_e32 v[198:199], v[6:7], v[190:191]
	v_fma_f64 v[202:203], v[4:5], v[190:191], -v[192:193]
	v_add_f64_e32 v[204:205], v[164:165], v[162:163]
	v_add_f64_e32 v[194:195], v[194:195], v[200:201]
	ds_load_b128 v[4:7], v2 offset:1440
	ds_load_b128 v[162:165], v2 offset:1456
	scratch_load_b128 v[190:193], off, off offset:608
	v_fmac_f64_e32 v[196:197], v[156:157], v[8:9]
	v_fma_f64 v[154:155], v[154:155], v[8:9], -v[10:11]
	scratch_load_b128 v[8:11], off, off offset:624
	s_wait_loadcnt_dscnt 0xb01
	v_mul_f64_e32 v[200:201], v[4:5], v[180:181]
	v_mul_f64_e32 v[180:181], v[6:7], v[180:181]
	;; [unrolled: 18-line block ×13, first 2 shown]
	v_add_f64_e32 v[164:165], v[204:205], v[202:203]
	v_add_f64_e32 v[194:195], v[194:195], v[196:197]
	s_wait_loadcnt_dscnt 0xa00
	v_mul_f64_e32 v[196:197], v[154:155], v[10:11]
	v_mul_f64_e32 v[10:11], v[156:157], v[10:11]
	v_fmac_f64_e32 v[198:199], v[6:7], v[190:191]
	v_fma_f64 v[190:191], v[4:5], v[190:191], -v[192:193]
	v_add_f64_e32 v[192:193], v[164:165], v[162:163]
	v_add_f64_e32 v[194:195], v[194:195], v[200:201]
	ds_load_b128 v[4:7], v2 offset:1824
	ds_load_b128 v[162:165], v2 offset:1840
	v_fmac_f64_e32 v[196:197], v[156:157], v[8:9]
	v_fma_f64 v[8:9], v[154:155], v[8:9], -v[10:11]
	s_wait_loadcnt_dscnt 0x901
	v_mul_f64_e32 v[200:201], v[4:5], v[180:181]
	v_mul_f64_e32 v[180:181], v[6:7], v[180:181]
	s_wait_loadcnt_dscnt 0x800
	v_mul_f64_e32 v[156:157], v[162:163], v[144:145]
	v_mul_f64_e32 v[144:145], v[164:165], v[144:145]
	v_add_f64_e32 v[10:11], v[192:193], v[190:191]
	v_add_f64_e32 v[154:155], v[194:195], v[198:199]
	v_fmac_f64_e32 v[200:201], v[6:7], v[178:179]
	v_fma_f64 v[178:179], v[4:5], v[178:179], -v[180:181]
	v_fmac_f64_e32 v[156:157], v[164:165], v[142:143]
	v_fma_f64 v[142:143], v[162:163], v[142:143], -v[144:145]
	v_add_f64_e32 v[180:181], v[10:11], v[8:9]
	v_add_f64_e32 v[154:155], v[154:155], v[196:197]
	ds_load_b128 v[4:7], v2 offset:1856
	ds_load_b128 v[8:11], v2 offset:1872
	s_wait_loadcnt_dscnt 0x701
	v_mul_f64_e32 v[190:191], v[4:5], v[188:189]
	v_mul_f64_e32 v[188:189], v[6:7], v[188:189]
	s_wait_loadcnt_dscnt 0x600
	v_mul_f64_e32 v[162:163], v[8:9], v[14:15]
	v_mul_f64_e32 v[14:15], v[10:11], v[14:15]
	v_add_f64_e32 v[144:145], v[180:181], v[178:179]
	v_add_f64_e32 v[154:155], v[154:155], v[200:201]
	v_fmac_f64_e32 v[190:191], v[6:7], v[186:187]
	v_fma_f64 v[164:165], v[4:5], v[186:187], -v[188:189]
	v_fmac_f64_e32 v[162:163], v[10:11], v[12:13]
	v_fma_f64 v[8:9], v[8:9], v[12:13], -v[14:15]
	v_add_f64_e32 v[178:179], v[144:145], v[142:143]
	v_add_f64_e32 v[154:155], v[154:155], v[156:157]
	ds_load_b128 v[4:7], v2 offset:1888
	ds_load_b128 v[142:145], v2 offset:1904
	;; [unrolled: 16-line block ×4, first 2 shown]
	s_wait_loadcnt_dscnt 0x101
	v_mul_f64_e32 v[2:3], v[4:5], v[176:177]
	v_mul_f64_e32 v[154:155], v[6:7], v[176:177]
	s_wait_loadcnt_dscnt 0x0
	v_mul_f64_e32 v[148:149], v[14:15], v[160:161]
	v_add_f64_e32 v[10:11], v[142:143], v[152:153]
	v_add_f64_e32 v[142:143], v[144:145], v[162:163]
	v_mul_f64_e32 v[144:145], v[12:13], v[160:161]
	v_fmac_f64_e32 v[2:3], v[6:7], v[174:175]
	v_fma_f64 v[4:5], v[4:5], v[174:175], -v[154:155]
	v_add_f64_e32 v[6:7], v[10:11], v[8:9]
	v_add_f64_e32 v[8:9], v[142:143], v[146:147]
	v_fmac_f64_e32 v[144:145], v[14:15], v[158:159]
	v_fma_f64 v[10:11], v[12:13], v[158:159], -v[148:149]
	s_delay_alu instid0(VALU_DEP_4) | instskip(NEXT) | instid1(VALU_DEP_4)
	v_add_f64_e32 v[4:5], v[6:7], v[4:5]
	v_add_f64_e32 v[2:3], v[8:9], v[2:3]
	s_delay_alu instid0(VALU_DEP_2) | instskip(NEXT) | instid1(VALU_DEP_2)
	v_add_f64_e32 v[4:5], v[4:5], v[10:11]
	v_add_f64_e32 v[6:7], v[2:3], v[144:145]
	s_delay_alu instid0(VALU_DEP_2) | instskip(NEXT) | instid1(VALU_DEP_2)
	v_add_f64_e64 v[2:3], v[182:183], -v[4:5]
	v_add_f64_e64 v[4:5], v[184:185], -v[6:7]
	scratch_store_b128 off, v[2:5], off offset:16
	s_wait_xcnt 0x0
	v_cmpx_ne_u32_e32 0, v1
	s_cbranch_execz .LBB125_397
; %bb.396:
	scratch_load_b128 v[2:5], off, off
	v_mov_b32_e32 v6, 0
	s_delay_alu instid0(VALU_DEP_1)
	v_dual_mov_b32 v7, v6 :: v_dual_mov_b32 v8, v6
	v_mov_b32_e32 v9, v6
	scratch_store_b128 off, v[6:9], off
	s_wait_loadcnt 0x0
	ds_store_b128 v16, v[2:5]
.LBB125_397:
	s_wait_xcnt 0x0
	s_or_b32 exec_lo, exec_lo, s2
	s_wait_storecnt_dscnt 0x0
	s_barrier_signal -1
	s_barrier_wait -1
	s_clause 0x9
	scratch_load_b128 v[2:5], off, off offset:16
	scratch_load_b128 v[6:9], off, off offset:32
	;; [unrolled: 1-line block ×10, first 2 shown]
	v_mov_b32_e32 v192, 0
	s_and_b32 vcc_lo, exec_lo, s76
	ds_load_b128 v[166:169], v192 offset:1008
	s_clause 0x2
	scratch_load_b128 v[170:173], off, off offset:176
	scratch_load_b128 v[194:197], off, off
	scratch_load_b128 v[178:181], off, off offset:192
	s_wait_loadcnt_dscnt 0xc00
	v_mul_f64_e32 v[182:183], v[168:169], v[4:5]
	v_mul_f64_e32 v[186:187], v[166:167], v[4:5]
	ds_load_b128 v[174:177], v192 offset:1024
	v_fma_f64 v[190:191], v[166:167], v[2:3], -v[182:183]
	v_fmac_f64_e32 v[186:187], v[168:169], v[2:3]
	ds_load_b128 v[2:5], v192 offset:1040
	s_wait_loadcnt_dscnt 0xb01
	v_mul_f64_e32 v[188:189], v[174:175], v[8:9]
	v_mul_f64_e32 v[8:9], v[176:177], v[8:9]
	scratch_load_b128 v[166:169], off, off offset:208
	ds_load_b128 v[182:185], v192 offset:1056
	s_wait_loadcnt_dscnt 0xb01
	v_mul_f64_e32 v[198:199], v[2:3], v[12:13]
	v_mul_f64_e32 v[12:13], v[4:5], v[12:13]
	v_add_f64_e32 v[186:187], 0, v[186:187]
	v_fmac_f64_e32 v[188:189], v[176:177], v[6:7]
	v_fma_f64 v[174:175], v[174:175], v[6:7], -v[8:9]
	v_add_f64_e32 v[176:177], 0, v[190:191]
	scratch_load_b128 v[6:9], off, off offset:224
	v_fmac_f64_e32 v[198:199], v[4:5], v[10:11]
	v_fma_f64 v[200:201], v[2:3], v[10:11], -v[12:13]
	ds_load_b128 v[2:5], v192 offset:1072
	s_wait_loadcnt_dscnt 0xb01
	v_mul_f64_e32 v[190:191], v[182:183], v[16:17]
	v_mul_f64_e32 v[16:17], v[184:185], v[16:17]
	scratch_load_b128 v[10:13], off, off offset:240
	v_add_f64_e32 v[186:187], v[186:187], v[188:189]
	v_add_f64_e32 v[202:203], v[176:177], v[174:175]
	ds_load_b128 v[174:177], v192 offset:1088
	s_wait_loadcnt_dscnt 0xb01
	v_mul_f64_e32 v[188:189], v[2:3], v[144:145]
	v_mul_f64_e32 v[144:145], v[4:5], v[144:145]
	v_fmac_f64_e32 v[190:191], v[184:185], v[14:15]
	v_fma_f64 v[182:183], v[182:183], v[14:15], -v[16:17]
	scratch_load_b128 v[14:17], off, off offset:256
	v_add_f64_e32 v[186:187], v[186:187], v[198:199]
	v_add_f64_e32 v[184:185], v[202:203], v[200:201]
	v_fmac_f64_e32 v[188:189], v[4:5], v[142:143]
	v_fma_f64 v[200:201], v[2:3], v[142:143], -v[144:145]
	ds_load_b128 v[2:5], v192 offset:1104
	s_wait_loadcnt_dscnt 0xb01
	v_mul_f64_e32 v[198:199], v[174:175], v[148:149]
	v_mul_f64_e32 v[148:149], v[176:177], v[148:149]
	scratch_load_b128 v[142:145], off, off offset:272
	v_add_f64_e32 v[186:187], v[186:187], v[190:191]
	s_wait_loadcnt_dscnt 0xb00
	v_mul_f64_e32 v[190:191], v[2:3], v[152:153]
	v_add_f64_e32 v[202:203], v[184:185], v[182:183]
	v_mul_f64_e32 v[152:153], v[4:5], v[152:153]
	ds_load_b128 v[182:185], v192 offset:1120
	v_fmac_f64_e32 v[198:199], v[176:177], v[146:147]
	v_fma_f64 v[174:175], v[174:175], v[146:147], -v[148:149]
	scratch_load_b128 v[146:149], off, off offset:288
	v_add_f64_e32 v[186:187], v[186:187], v[188:189]
	v_fmac_f64_e32 v[190:191], v[4:5], v[150:151]
	v_add_f64_e32 v[176:177], v[202:203], v[200:201]
	v_fma_f64 v[200:201], v[2:3], v[150:151], -v[152:153]
	ds_load_b128 v[2:5], v192 offset:1136
	s_wait_loadcnt_dscnt 0xb01
	v_mul_f64_e32 v[188:189], v[182:183], v[156:157]
	v_mul_f64_e32 v[156:157], v[184:185], v[156:157]
	scratch_load_b128 v[150:153], off, off offset:304
	v_add_f64_e32 v[186:187], v[186:187], v[198:199]
	s_wait_loadcnt_dscnt 0xb00
	v_mul_f64_e32 v[198:199], v[2:3], v[160:161]
	v_add_f64_e32 v[202:203], v[176:177], v[174:175]
	v_mul_f64_e32 v[160:161], v[4:5], v[160:161]
	ds_load_b128 v[174:177], v192 offset:1152
	v_fmac_f64_e32 v[188:189], v[184:185], v[154:155]
	v_fma_f64 v[182:183], v[182:183], v[154:155], -v[156:157]
	scratch_load_b128 v[154:157], off, off offset:320
	v_add_f64_e32 v[186:187], v[186:187], v[190:191]
	v_fmac_f64_e32 v[198:199], v[4:5], v[158:159]
	v_add_f64_e32 v[184:185], v[202:203], v[200:201]
	;; [unrolled: 18-line block ×3, first 2 shown]
	v_fma_f64 v[200:201], v[2:3], v[170:171], -v[172:173]
	ds_load_b128 v[2:5], v192 offset:1200
	s_wait_loadcnt_dscnt 0xa01
	v_mul_f64_e32 v[198:199], v[182:183], v[180:181]
	v_mul_f64_e32 v[180:181], v[184:185], v[180:181]
	scratch_load_b128 v[170:173], off, off offset:368
	v_add_f64_e32 v[186:187], v[186:187], v[190:191]
	v_add_f64_e32 v[202:203], v[176:177], v[174:175]
	s_wait_loadcnt_dscnt 0xa00
	v_mul_f64_e32 v[190:191], v[2:3], v[168:169]
	v_mul_f64_e32 v[168:169], v[4:5], v[168:169]
	v_fmac_f64_e32 v[198:199], v[184:185], v[178:179]
	v_fma_f64 v[182:183], v[182:183], v[178:179], -v[180:181]
	ds_load_b128 v[174:177], v192 offset:1216
	scratch_load_b128 v[178:181], off, off offset:384
	v_add_f64_e32 v[186:187], v[186:187], v[188:189]
	v_add_f64_e32 v[184:185], v[202:203], v[200:201]
	v_fmac_f64_e32 v[190:191], v[4:5], v[166:167]
	v_fma_f64 v[200:201], v[2:3], v[166:167], -v[168:169]
	ds_load_b128 v[2:5], v192 offset:1232
	s_wait_loadcnt_dscnt 0xa01
	v_mul_f64_e32 v[188:189], v[174:175], v[8:9]
	v_mul_f64_e32 v[8:9], v[176:177], v[8:9]
	scratch_load_b128 v[166:169], off, off offset:400
	v_add_f64_e32 v[186:187], v[186:187], v[198:199]
	s_wait_loadcnt_dscnt 0xa00
	v_mul_f64_e32 v[198:199], v[2:3], v[12:13]
	v_add_f64_e32 v[202:203], v[184:185], v[182:183]
	v_mul_f64_e32 v[12:13], v[4:5], v[12:13]
	ds_load_b128 v[182:185], v192 offset:1248
	v_fmac_f64_e32 v[188:189], v[176:177], v[6:7]
	v_fma_f64 v[174:175], v[174:175], v[6:7], -v[8:9]
	scratch_load_b128 v[6:9], off, off offset:416
	v_add_f64_e32 v[186:187], v[186:187], v[190:191]
	v_fmac_f64_e32 v[198:199], v[4:5], v[10:11]
	v_add_f64_e32 v[176:177], v[202:203], v[200:201]
	v_fma_f64 v[200:201], v[2:3], v[10:11], -v[12:13]
	ds_load_b128 v[2:5], v192 offset:1264
	s_wait_loadcnt_dscnt 0xa01
	v_mul_f64_e32 v[190:191], v[182:183], v[16:17]
	v_mul_f64_e32 v[16:17], v[184:185], v[16:17]
	scratch_load_b128 v[10:13], off, off offset:432
	v_add_f64_e32 v[186:187], v[186:187], v[188:189]
	s_wait_loadcnt_dscnt 0xa00
	v_mul_f64_e32 v[188:189], v[2:3], v[144:145]
	v_add_f64_e32 v[202:203], v[176:177], v[174:175]
	v_mul_f64_e32 v[144:145], v[4:5], v[144:145]
	ds_load_b128 v[174:177], v192 offset:1280
	v_fmac_f64_e32 v[190:191], v[184:185], v[14:15]
	v_fma_f64 v[182:183], v[182:183], v[14:15], -v[16:17]
	scratch_load_b128 v[14:17], off, off offset:448
	v_add_f64_e32 v[186:187], v[186:187], v[198:199]
	v_fmac_f64_e32 v[188:189], v[4:5], v[142:143]
	v_add_f64_e32 v[184:185], v[202:203], v[200:201]
	;; [unrolled: 18-line block ×18, first 2 shown]
	v_fma_f64 v[200:201], v[2:3], v[166:167], -v[168:169]
	ds_load_b128 v[2:5], v192 offset:1808
	s_wait_loadcnt_dscnt 0xa01
	v_mul_f64_e32 v[188:189], v[174:175], v[8:9]
	v_mul_f64_e32 v[8:9], v[176:177], v[8:9]
	scratch_load_b128 v[166:169], off, off offset:976
	v_add_f64_e32 v[186:187], v[186:187], v[198:199]
	s_wait_loadcnt_dscnt 0xa00
	v_mul_f64_e32 v[198:199], v[2:3], v[12:13]
	v_add_f64_e32 v[202:203], v[184:185], v[182:183]
	v_mul_f64_e32 v[12:13], v[4:5], v[12:13]
	ds_load_b128 v[182:185], v192 offset:1824
	v_fmac_f64_e32 v[188:189], v[176:177], v[6:7]
	v_fma_f64 v[6:7], v[174:175], v[6:7], -v[8:9]
	s_wait_loadcnt_dscnt 0x900
	v_mul_f64_e32 v[176:177], v[182:183], v[16:17]
	v_mul_f64_e32 v[16:17], v[184:185], v[16:17]
	v_add_f64_e32 v[174:175], v[186:187], v[190:191]
	v_fmac_f64_e32 v[198:199], v[4:5], v[10:11]
	v_add_f64_e32 v[8:9], v[202:203], v[200:201]
	v_fma_f64 v[10:11], v[2:3], v[10:11], -v[12:13]
	v_lshl_add_u64 v[190:191], v[22:23], 4, s[10:11]
	v_lshl_add_u64 v[22:23], v[124:125], 4, s[10:11]
	v_fmac_f64_e32 v[176:177], v[184:185], v[14:15]
	v_fma_f64 v[14:15], v[182:183], v[14:15], -v[16:17]
	v_lshl_add_u64 v[184:185], v[28:29], 4, s[10:11]
	v_lshl_add_u64 v[182:183], v[30:31], 4, s[10:11]
	;; [unrolled: 1-line block ×4, first 2 shown]
	v_add_f64_e32 v[174:175], v[174:175], v[188:189]
	v_lshl_add_u64 v[188:189], v[24:25], 4, s[10:11]
	v_add_f64_e32 v[12:13], v[8:9], v[6:7]
	ds_load_b128 v[2:5], v192 offset:1840
	ds_load_b128 v[6:9], v192 offset:1856
	v_lshl_add_u64 v[24:25], v[122:123], 4, s[10:11]
	s_wait_loadcnt_dscnt 0x801
	v_mul_f64_e32 v[186:187], v[2:3], v[144:145]
	v_mul_f64_e32 v[144:145], v[4:5], v[144:145]
	s_wait_loadcnt_dscnt 0x700
	v_mul_f64_e32 v[16:17], v[6:7], v[148:149]
	v_mul_f64_e32 v[148:149], v[8:9], v[148:149]
	v_add_f64_e32 v[10:11], v[12:13], v[10:11]
	v_add_f64_e32 v[12:13], v[174:175], v[198:199]
	v_fmac_f64_e32 v[186:187], v[4:5], v[142:143]
	v_fma_f64 v[142:143], v[2:3], v[142:143], -v[144:145]
	v_fmac_f64_e32 v[16:17], v[8:9], v[146:147]
	v_fma_f64 v[6:7], v[6:7], v[146:147], -v[148:149]
	v_add_f64_e32 v[14:15], v[10:11], v[14:15]
	v_add_f64_e32 v[144:145], v[12:13], v[176:177]
	ds_load_b128 v[2:5], v192 offset:1872
	ds_load_b128 v[10:13], v192 offset:1888
	v_lshl_add_u64 v[176:177], v[36:37], 4, s[10:11]
	v_lshl_add_u64 v[36:37], v[110:111], 4, s[10:11]
	s_wait_loadcnt_dscnt 0x601
	v_mul_f64_e32 v[174:175], v[2:3], v[152:153]
	v_mul_f64_e32 v[152:153], v[4:5], v[152:153]
	v_add_f64_e32 v[8:9], v[14:15], v[142:143]
	v_add_f64_e32 v[14:15], v[144:145], v[186:187]
	s_wait_loadcnt_dscnt 0x500
	v_mul_f64_e32 v[142:143], v[10:11], v[156:157]
	v_mul_f64_e32 v[144:145], v[12:13], v[156:157]
	v_lshl_add_u64 v[186:187], v[26:27], 4, s[10:11]
	v_lshl_add_u64 v[156:157], v[56:57], 4, s[10:11]
	;; [unrolled: 1-line block ×4, first 2 shown]
	v_fmac_f64_e32 v[174:175], v[4:5], v[150:151]
	v_fma_f64 v[146:147], v[2:3], v[150:151], -v[152:153]
	v_add_f64_e32 v[148:149], v[8:9], v[6:7]
	v_add_f64_e32 v[14:15], v[14:15], v[16:17]
	ds_load_b128 v[2:5], v192 offset:1904
	ds_load_b128 v[6:9], v192 offset:1920
	v_fmac_f64_e32 v[142:143], v[12:13], v[154:155]
	v_fma_f64 v[10:11], v[10:11], v[154:155], -v[144:145]
	v_lshl_add_u64 v[154:155], v[58:59], 4, s[10:11]
	v_lshl_add_u64 v[58:59], v[78:79], 4, s[10:11]
	s_wait_loadcnt_dscnt 0x401
	v_mul_f64_e32 v[16:17], v[2:3], v[160:161]
	v_mul_f64_e32 v[150:151], v[4:5], v[160:161]
	s_wait_loadcnt_dscnt 0x300
	v_mul_f64_e32 v[144:145], v[6:7], v[164:165]
	v_lshl_add_u64 v[160:161], v[52:53], 4, s[10:11]
	v_lshl_add_u64 v[52:53], v[94:95], 4, s[10:11]
	v_add_f64_e32 v[12:13], v[148:149], v[146:147]
	v_add_f64_e32 v[14:15], v[14:15], v[174:175]
	v_mul_f64_e32 v[146:147], v[8:9], v[164:165]
	v_lshl_add_u64 v[174:175], v[38:39], 4, s[10:11]
	v_lshl_add_u64 v[164:165], v[48:49], 4, s[10:11]
	v_lshl_add_u64 v[48:49], v[98:99], 4, s[10:11]
	v_lshl_add_u64 v[38:39], v[108:109], 4, s[10:11]
	v_fmac_f64_e32 v[16:17], v[4:5], v[158:159]
	v_fma_f64 v[148:149], v[2:3], v[158:159], -v[150:151]
	v_fmac_f64_e32 v[144:145], v[8:9], v[162:163]
	v_lshl_add_u64 v[158:159], v[54:55], 4, s[10:11]
	v_lshl_add_u64 v[54:55], v[82:83], 4, s[10:11]
	v_add_f64_e32 v[150:151], v[12:13], v[10:11]
	v_add_f64_e32 v[14:15], v[14:15], v[142:143]
	ds_load_b128 v[2:5], v192 offset:1936
	ds_load_b128 v[10:13], v192 offset:1952
	v_fma_f64 v[6:7], v[6:7], v[162:163], -v[146:147]
	v_lshl_add_u64 v[162:163], v[50:51], 4, s[10:11]
	v_lshl_add_u64 v[50:51], v[96:97], 4, s[10:11]
	s_wait_loadcnt_dscnt 0x201
	v_mul_f64_e32 v[142:143], v[2:3], v[172:173]
	v_mul_f64_e32 v[152:153], v[4:5], v[172:173]
	s_wait_loadcnt_dscnt 0x100
	v_mul_f64_e32 v[146:147], v[12:13], v[180:181]
	v_lshl_add_u64 v[172:173], v[40:41], 4, s[10:11]
	v_lshl_add_u64 v[40:41], v[106:107], 4, s[10:11]
	v_add_f64_e32 v[8:9], v[150:151], v[148:149]
	v_add_f64_e32 v[14:15], v[14:15], v[16:17]
	v_mul_f64_e32 v[16:17], v[10:11], v[180:181]
	v_lshl_add_u64 v[150:151], v[62:63], 4, s[10:11]
	v_lshl_add_u64 v[62:63], v[76:77], 4, s[10:11]
	;; [unrolled: 1-line block ×4, first 2 shown]
	v_fmac_f64_e32 v[142:143], v[4:5], v[170:171]
	v_fma_f64 v[148:149], v[2:3], v[170:171], -v[152:153]
	ds_load_b128 v[2:5], v192 offset:1968
	v_fma_f64 v[10:11], v[10:11], v[178:179], -v[146:147]
	v_lshl_add_u64 v[170:171], v[42:43], 4, s[10:11]
	v_lshl_add_u64 v[152:153], v[60:61], 4, s[10:11]
	;; [unrolled: 1-line block ×7, first 2 shown]
	v_add_f64_e32 v[6:7], v[8:9], v[6:7]
	v_add_f64_e32 v[8:9], v[14:15], v[144:145]
	v_fmac_f64_e32 v[16:17], v[12:13], v[178:179]
	v_lshl_add_u64 v[178:179], v[34:35], 4, s[10:11]
	v_lshl_add_u64 v[34:35], v[112:113], 4, s[10:11]
	;; [unrolled: 1-line block ×3, first 2 shown]
	s_wait_loadcnt_dscnt 0x0
	v_mul_f64_e32 v[14:15], v[2:3], v[168:169]
	v_mul_f64_e32 v[144:145], v[4:5], v[168:169]
	v_lshl_add_u64 v[168:169], v[44:45], 4, s[10:11]
	v_lshl_add_u64 v[44:45], v[102:103], 4, s[10:11]
	v_add_f64_e32 v[6:7], v[6:7], v[148:149]
	v_add_f64_e32 v[8:9], v[8:9], v[142:143]
	v_lshl_add_u64 v[148:149], v[64:65], 4, s[10:11]
	v_lshl_add_u64 v[142:143], v[70:71], 4, s[10:11]
	;; [unrolled: 1-line block ×5, first 2 shown]
	v_fmac_f64_e32 v[14:15], v[4:5], v[166:167]
	v_fma_f64 v[2:3], v[2:3], v[166:167], -v[144:145]
	v_lshl_add_u64 v[166:167], v[46:47], 4, s[10:11]
	v_lshl_add_u64 v[144:145], v[68:69], 4, s[10:11]
	;; [unrolled: 1-line block ×4, first 2 shown]
	v_add_f64_e32 v[4:5], v[6:7], v[10:11]
	v_add_f64_e32 v[6:7], v[8:9], v[16:17]
	v_lshl_add_u64 v[16:17], v[126:127], 4, s[10:11]
	v_lshl_add_u64 v[10:11], v[132:133], 4, s[10:11]
	;; [unrolled: 1-line block ×3, first 2 shown]
	v_add_f64_e32 v[2:3], v[4:5], v[2:3]
	v_add_f64_e32 v[4:5], v[6:7], v[14:15]
	v_lshl_add_u64 v[14:15], v[128:129], 4, s[10:11]
	v_lshl_add_u64 v[6:7], v[136:137], 4, s[10:11]
	s_delay_alu instid0(VALU_DEP_4) | instskip(NEXT) | instid1(VALU_DEP_4)
	v_add_f64_e64 v[76:77], v[194:195], -v[2:3]
	v_add_f64_e64 v[78:79], v[196:197], -v[4:5]
	v_lshl_add_u64 v[4:5], v[138:139], 4, s[10:11]
	v_lshl_add_u64 v[2:3], v[140:141], 4, s[10:11]
	scratch_store_b128 off, v[76:79], off
	s_cbranch_vccz .LBB125_520
; %bb.398:
	global_load_b32 v76, v192, s[8:9] offset:240
	s_load_b64 s[2:3], s[0:1], 0x4
	v_bfe_u32 v77, v0, 10, 10
	v_bfe_u32 v0, v0, 20, 10
	s_wait_kmcnt 0x0
	s_lshr_b32 s0, s2, 16
	s_delay_alu instid0(VALU_DEP_2) | instskip(SKIP_1) | instid1(SALU_CYCLE_1)
	v_mul_u32_u24_e32 v77, s3, v77
	s_mul_i32 s0, s0, s3
	v_mul_u32_u24_e32 v1, s0, v1
	s_delay_alu instid0(VALU_DEP_1) | instskip(NEXT) | instid1(VALU_DEP_1)
	v_add3_u32 v0, v1, v77, v0
	v_lshl_add_u32 v0, v0, 4, 0x7c8
	s_wait_loadcnt 0x0
	v_cmp_ne_u32_e32 vcc_lo, 61, v76
	s_cbranch_vccz .LBB125_400
; %bb.399:
	v_lshlrev_b32_e32 v1, 4, v76
	s_clause 0x1
	scratch_load_b128 v[76:79], off, s17
	scratch_load_b128 v[80:83], v1, off offset:-16
	s_wait_loadcnt 0x1
	ds_store_2addr_b64 v0, v[76:77], v[78:79] offset1:1
	s_wait_loadcnt 0x0
	s_clause 0x1
	scratch_store_b128 off, v[80:83], s17
	scratch_store_b128 v1, v[76:79], off offset:-16
.LBB125_400:
	s_wait_xcnt 0x0
	v_mov_b32_e32 v1, 0
	global_load_b32 v76, v1, s[8:9] offset:236
	s_wait_loadcnt 0x0
	v_cmp_eq_u32_e32 vcc_lo, 60, v76
	s_cbranch_vccnz .LBB125_402
; %bb.401:
	v_lshlrev_b32_e32 v76, 4, v76
	s_delay_alu instid0(VALU_DEP_1)
	v_mov_b32_e32 v84, v76
	s_clause 0x1
	scratch_load_b128 v[76:79], off, s19
	scratch_load_b128 v[80:83], v84, off offset:-16
	s_wait_loadcnt 0x1
	ds_store_2addr_b64 v0, v[76:77], v[78:79] offset1:1
	s_wait_loadcnt 0x0
	s_clause 0x1
	scratch_store_b128 off, v[80:83], s19
	scratch_store_b128 v84, v[76:79], off offset:-16
.LBB125_402:
	global_load_b32 v1, v1, s[8:9] offset:232
	s_wait_loadcnt 0x0
	v_cmp_eq_u32_e32 vcc_lo, 59, v1
	s_cbranch_vccnz .LBB125_404
; %bb.403:
	s_wait_xcnt 0x0
	v_lshlrev_b32_e32 v1, 4, v1
	s_clause 0x1
	scratch_load_b128 v[76:79], off, s21
	scratch_load_b128 v[80:83], v1, off offset:-16
	s_wait_loadcnt 0x1
	ds_store_2addr_b64 v0, v[76:77], v[78:79] offset1:1
	s_wait_loadcnt 0x0
	s_clause 0x1
	scratch_store_b128 off, v[80:83], s21
	scratch_store_b128 v1, v[76:79], off offset:-16
.LBB125_404:
	s_wait_xcnt 0x0
	v_mov_b32_e32 v1, 0
	global_load_b32 v76, v1, s[8:9] offset:228
	s_wait_loadcnt 0x0
	v_cmp_eq_u32_e32 vcc_lo, 58, v76
	s_cbranch_vccnz .LBB125_406
; %bb.405:
	v_lshlrev_b32_e32 v76, 4, v76
	s_delay_alu instid0(VALU_DEP_1)
	v_mov_b32_e32 v84, v76
	s_clause 0x1
	scratch_load_b128 v[76:79], off, s22
	scratch_load_b128 v[80:83], v84, off offset:-16
	s_wait_loadcnt 0x1
	ds_store_2addr_b64 v0, v[76:77], v[78:79] offset1:1
	s_wait_loadcnt 0x0
	s_clause 0x1
	scratch_store_b128 off, v[80:83], s22
	scratch_store_b128 v84, v[76:79], off offset:-16
.LBB125_406:
	global_load_b32 v1, v1, s[8:9] offset:224
	s_wait_loadcnt 0x0
	v_cmp_eq_u32_e32 vcc_lo, 57, v1
	s_cbranch_vccnz .LBB125_408
; %bb.407:
	s_wait_xcnt 0x0
	v_lshlrev_b32_e32 v1, 4, v1
	s_clause 0x1
	scratch_load_b128 v[76:79], off, s23
	scratch_load_b128 v[80:83], v1, off offset:-16
	s_wait_loadcnt 0x1
	ds_store_2addr_b64 v0, v[76:77], v[78:79] offset1:1
	s_wait_loadcnt 0x0
	s_clause 0x1
	scratch_store_b128 off, v[80:83], s23
	scratch_store_b128 v1, v[76:79], off offset:-16
.LBB125_408:
	;; [unrolled: 37-line block ×29, first 2 shown]
	s_wait_xcnt 0x0
	v_mov_b32_e32 v1, 0
	global_load_b32 v76, v1, s[8:9] offset:4
	s_wait_loadcnt 0x0
	v_cmp_eq_u32_e32 vcc_lo, 2, v76
	s_cbranch_vccnz .LBB125_518
; %bb.517:
	v_lshlrev_b32_e32 v76, 4, v76
	s_delay_alu instid0(VALU_DEP_1)
	v_mov_b32_e32 v84, v76
	s_clause 0x1
	scratch_load_b128 v[76:79], off, s20
	scratch_load_b128 v[80:83], v84, off offset:-16
	s_wait_loadcnt 0x1
	ds_store_2addr_b64 v0, v[76:77], v[78:79] offset1:1
	s_wait_loadcnt 0x0
	s_clause 0x1
	scratch_store_b128 off, v[80:83], s20
	scratch_store_b128 v84, v[76:79], off offset:-16
.LBB125_518:
	global_load_b32 v1, v1, s[8:9]
	s_wait_loadcnt 0x0
	v_cmp_eq_u32_e32 vcc_lo, 1, v1
	s_cbranch_vccnz .LBB125_520
; %bb.519:
	s_wait_xcnt 0x0
	v_lshlrev_b32_e32 v1, 4, v1
	scratch_load_b128 v[76:79], off, off
	scratch_load_b128 v[80:83], v1, off offset:-16
	s_wait_loadcnt 0x1
	ds_store_2addr_b64 v0, v[76:77], v[78:79] offset1:1
	s_wait_loadcnt 0x0
	scratch_store_b128 off, v[80:83], off
	scratch_store_b128 v1, v[76:79], off offset:-16
.LBB125_520:
	scratch_load_b128 v[76:79], off, off
	s_wait_loadcnt 0x0
	flat_store_b128 v[18:19], v[76:79]
	scratch_load_b128 v[76:79], off, s20
	s_wait_loadcnt 0x0
	flat_store_b128 v[20:21], v[76:79]
	scratch_load_b128 v[18:21], off, s18
	;; [unrolled: 3-line block ×61, first 2 shown]
	s_wait_loadcnt 0x0
	flat_store_b128 v[2:3], v[4:7]
	s_sendmsg sendmsg(MSG_DEALLOC_VGPRS)
	s_endpgm
	.section	.rodata,"a",@progbits
	.p2align	6, 0x0
	.amdhsa_kernel _ZN9rocsolver6v33100L18getri_kernel_smallILi62E19rocblas_complex_numIdEPKPS3_EEvT1_iilPiilS8_bb
		.amdhsa_group_segment_fixed_size 3016
		.amdhsa_private_segment_fixed_size 1008
		.amdhsa_kernarg_size 60
		.amdhsa_user_sgpr_count 4
		.amdhsa_user_sgpr_dispatch_ptr 1
		.amdhsa_user_sgpr_queue_ptr 0
		.amdhsa_user_sgpr_kernarg_segment_ptr 1
		.amdhsa_user_sgpr_dispatch_id 0
		.amdhsa_user_sgpr_kernarg_preload_length 0
		.amdhsa_user_sgpr_kernarg_preload_offset 0
		.amdhsa_user_sgpr_private_segment_size 0
		.amdhsa_wavefront_size32 1
		.amdhsa_uses_dynamic_stack 0
		.amdhsa_enable_private_segment 1
		.amdhsa_system_sgpr_workgroup_id_x 1
		.amdhsa_system_sgpr_workgroup_id_y 0
		.amdhsa_system_sgpr_workgroup_id_z 0
		.amdhsa_system_sgpr_workgroup_info 0
		.amdhsa_system_vgpr_workitem_id 2
		.amdhsa_next_free_vgpr 206
		.amdhsa_next_free_sgpr 105
		.amdhsa_named_barrier_count 0
		.amdhsa_reserve_vcc 1
		.amdhsa_float_round_mode_32 0
		.amdhsa_float_round_mode_16_64 0
		.amdhsa_float_denorm_mode_32 3
		.amdhsa_float_denorm_mode_16_64 3
		.amdhsa_fp16_overflow 0
		.amdhsa_memory_ordered 1
		.amdhsa_forward_progress 1
		.amdhsa_inst_pref_size 255
		.amdhsa_round_robin_scheduling 0
		.amdhsa_exception_fp_ieee_invalid_op 0
		.amdhsa_exception_fp_denorm_src 0
		.amdhsa_exception_fp_ieee_div_zero 0
		.amdhsa_exception_fp_ieee_overflow 0
		.amdhsa_exception_fp_ieee_underflow 0
		.amdhsa_exception_fp_ieee_inexact 0
		.amdhsa_exception_int_div_zero 0
	.end_amdhsa_kernel
	.section	.text._ZN9rocsolver6v33100L18getri_kernel_smallILi62E19rocblas_complex_numIdEPKPS3_EEvT1_iilPiilS8_bb,"axG",@progbits,_ZN9rocsolver6v33100L18getri_kernel_smallILi62E19rocblas_complex_numIdEPKPS3_EEvT1_iilPiilS8_bb,comdat
.Lfunc_end125:
	.size	_ZN9rocsolver6v33100L18getri_kernel_smallILi62E19rocblas_complex_numIdEPKPS3_EEvT1_iilPiilS8_bb, .Lfunc_end125-_ZN9rocsolver6v33100L18getri_kernel_smallILi62E19rocblas_complex_numIdEPKPS3_EEvT1_iilPiilS8_bb
                                        ; -- End function
	.set _ZN9rocsolver6v33100L18getri_kernel_smallILi62E19rocblas_complex_numIdEPKPS3_EEvT1_iilPiilS8_bb.num_vgpr, 206
	.set _ZN9rocsolver6v33100L18getri_kernel_smallILi62E19rocblas_complex_numIdEPKPS3_EEvT1_iilPiilS8_bb.num_agpr, 0
	.set _ZN9rocsolver6v33100L18getri_kernel_smallILi62E19rocblas_complex_numIdEPKPS3_EEvT1_iilPiilS8_bb.numbered_sgpr, 105
	.set _ZN9rocsolver6v33100L18getri_kernel_smallILi62E19rocblas_complex_numIdEPKPS3_EEvT1_iilPiilS8_bb.num_named_barrier, 0
	.set _ZN9rocsolver6v33100L18getri_kernel_smallILi62E19rocblas_complex_numIdEPKPS3_EEvT1_iilPiilS8_bb.private_seg_size, 1008
	.set _ZN9rocsolver6v33100L18getri_kernel_smallILi62E19rocblas_complex_numIdEPKPS3_EEvT1_iilPiilS8_bb.uses_vcc, 1
	.set _ZN9rocsolver6v33100L18getri_kernel_smallILi62E19rocblas_complex_numIdEPKPS3_EEvT1_iilPiilS8_bb.uses_flat_scratch, 1
	.set _ZN9rocsolver6v33100L18getri_kernel_smallILi62E19rocblas_complex_numIdEPKPS3_EEvT1_iilPiilS8_bb.has_dyn_sized_stack, 0
	.set _ZN9rocsolver6v33100L18getri_kernel_smallILi62E19rocblas_complex_numIdEPKPS3_EEvT1_iilPiilS8_bb.has_recursion, 0
	.set _ZN9rocsolver6v33100L18getri_kernel_smallILi62E19rocblas_complex_numIdEPKPS3_EEvT1_iilPiilS8_bb.has_indirect_call, 0
	.section	.AMDGPU.csdata,"",@progbits
; Kernel info:
; codeLenInByte = 137216
; TotalNumSgprs: 107
; NumVgprs: 206
; ScratchSize: 1008
; MemoryBound: 0
; FloatMode: 240
; IeeeMode: 1
; LDSByteSize: 3016 bytes/workgroup (compile time only)
; SGPRBlocks: 0
; VGPRBlocks: 12
; NumSGPRsForWavesPerEU: 107
; NumVGPRsForWavesPerEU: 206
; NamedBarCnt: 0
; Occupancy: 4
; WaveLimiterHint : 1
; COMPUTE_PGM_RSRC2:SCRATCH_EN: 1
; COMPUTE_PGM_RSRC2:USER_SGPR: 4
; COMPUTE_PGM_RSRC2:TRAP_HANDLER: 0
; COMPUTE_PGM_RSRC2:TGID_X_EN: 1
; COMPUTE_PGM_RSRC2:TGID_Y_EN: 0
; COMPUTE_PGM_RSRC2:TGID_Z_EN: 0
; COMPUTE_PGM_RSRC2:TIDIG_COMP_CNT: 2
	.section	.text._ZN9rocsolver6v33100L18getri_kernel_smallILi63E19rocblas_complex_numIdEPKPS3_EEvT1_iilPiilS8_bb,"axG",@progbits,_ZN9rocsolver6v33100L18getri_kernel_smallILi63E19rocblas_complex_numIdEPKPS3_EEvT1_iilPiilS8_bb,comdat
	.globl	_ZN9rocsolver6v33100L18getri_kernel_smallILi63E19rocblas_complex_numIdEPKPS3_EEvT1_iilPiilS8_bb ; -- Begin function _ZN9rocsolver6v33100L18getri_kernel_smallILi63E19rocblas_complex_numIdEPKPS3_EEvT1_iilPiilS8_bb
	.p2align	8
	.type	_ZN9rocsolver6v33100L18getri_kernel_smallILi63E19rocblas_complex_numIdEPKPS3_EEvT1_iilPiilS8_bb,@function
_ZN9rocsolver6v33100L18getri_kernel_smallILi63E19rocblas_complex_numIdEPKPS3_EEvT1_iilPiilS8_bb: ; @_ZN9rocsolver6v33100L18getri_kernel_smallILi63E19rocblas_complex_numIdEPKPS3_EEvT1_iilPiilS8_bb
; %bb.0:
	v_and_b32_e32 v1, 0x3ff, v0
	s_mov_b32 s4, exec_lo
	s_delay_alu instid0(VALU_DEP_1)
	v_cmpx_gt_u32_e32 63, v1
	s_cbranch_execz .LBB126_278
; %bb.1:
	s_clause 0x1
	s_load_b32 s14, s[2:3], 0x38
	s_load_b64 s[8:9], s[2:3], 0x0
                                        ; implicit-def: $vgpr210 : SGPR spill to VGPR lane
	s_getreg_b32 s6, hwreg(HW_REG_IB_STS2, 6, 4)
	s_wait_kmcnt 0x0
	s_bitcmp1_b32 s14, 8
	s_cselect_b32 s4, -1, 0
	s_and_b32 s5, ttmp6, 15
	v_writelane_b32 v210, s4, 0
	s_bfe_u32 s4, ttmp6, 0x4000c
	s_delay_alu instid0(SALU_CYCLE_1) | instskip(NEXT) | instid1(SALU_CYCLE_1)
	s_add_co_i32 s4, s4, 1
	s_mul_i32 s4, ttmp9, s4
	s_delay_alu instid0(SALU_CYCLE_1) | instskip(SKIP_4) | instid1(SALU_CYCLE_1)
	s_add_co_i32 s5, s5, s4
	s_cmp_eq_u32 s6, 0
	s_cselect_b32 s12, ttmp9, s5
	s_load_b128 s[4:7], s[2:3], 0x28
	s_ashr_i32 s13, s12, 31
	s_lshl_b64 s[10:11], s[12:13], 3
	s_delay_alu instid0(SALU_CYCLE_1) | instskip(SKIP_3) | instid1(SALU_CYCLE_1)
	s_add_nc_u64 s[8:9], s[8:9], s[10:11]
	s_load_b64 s[10:11], s[8:9], 0x0
	s_wait_xcnt 0x0
	s_bfe_u32 s8, s14, 0x10008
	s_cmp_eq_u32 s8, 0
                                        ; implicit-def: $sgpr8_sgpr9
	s_cbranch_scc1 .LBB126_3
; %bb.2:
	s_load_b96 s[16:18], s[2:3], 0x18
	s_wait_kmcnt 0x0
	s_mul_u64 s[4:5], s[4:5], s[12:13]
	s_delay_alu instid0(SALU_CYCLE_1) | instskip(SKIP_4) | instid1(SALU_CYCLE_1)
	s_lshl_b64 s[4:5], s[4:5], 2
	s_ashr_i32 s9, s18, 31
	s_mov_b32 s8, s18
	s_add_nc_u64 s[4:5], s[16:17], s[4:5]
	s_lshl_b64 s[8:9], s[8:9], 2
	s_add_nc_u64 s[8:9], s[4:5], s[8:9]
.LBB126_3:
	s_wait_kmcnt 0x0
	s_clause 0x1
	s_load_b64 s[4:5], s[2:3], 0x8
	s_load_b32 s78, s[2:3], 0x38
	v_dual_mov_b32 v15, 0 :: v_dual_lshlrev_b32 v14, 4, v1
	s_movk_i32 s79, 0x240
	s_movk_i32 s80, 0x250
	;; [unrolled: 1-line block ×16, first 2 shown]
	s_wait_kmcnt 0x0
	s_ashr_i32 s3, s4, 31
	s_mov_b32 s2, s4
	v_add3_u32 v36, s5, s5, v1
	s_lshl_b64 s[2:3], s[2:3], 4
	s_movk_i32 s95, 0x340
	s_add_nc_u64 s[10:11], s[10:11], s[2:3]
	s_ashr_i32 s3, s5, 31
	flat_load_b128 v[2:5], v1, s[10:11] scale_offset
	v_add_nc_u64_e32 v[32:33], s[10:11], v[14:15]
	s_mov_b32 s2, s5
	v_add_nc_u32_e32 v38, s5, v36
	s_movk_i32 s96, 0x350
	s_movk_i32 s97, 0x360
	;; [unrolled: 1-line block ×4, first 2 shown]
	v_lshl_add_u64 v[34:35], s[2:3], 4, v[32:33]
	v_add_nc_u32_e32 v40, s5, v38
	s_movk_i32 s100, 0x390
	s_movk_i32 s101, 0x3a0
	;; [unrolled: 1-line block ×3, first 2 shown]
	s_movk_i32 vcc_lo, 0x3c0
	v_add_nc_u32_e32 v42, s5, v40
	s_movk_i32 vcc_hi, 0x3d0
	s_movk_i32 s77, 0x3e0
	s_mov_b32 s20, 16
	s_mov_b32 s18, 32
	v_add_nc_u32_e32 v44, s5, v42
	s_mov_b32 s16, 48
	s_mov_b32 s14, 64
	s_movk_i32 s76, 0x50
	s_movk_i32 s75, 0x60
	v_add_nc_u32_e32 v46, s5, v44
	s_movk_i32 s74, 0x70
	s_movk_i32 s73, 0x80
	s_movk_i32 s72, 0x90
	s_movk_i32 s71, 0xa0
	v_add_nc_u32_e32 v48, s5, v46
	s_movk_i32 s70, 0xb0
	s_movk_i32 s69, 0xc0
	;; [unrolled: 5-line block ×7, first 2 shown]
	s_movk_i32 s48, 0x210
	s_movk_i32 s47, 0x220
	v_add_nc_u32_e32 v60, s5, v58
	s_movk_i32 s46, 0x230
	s_mov_b32 s45, s79
	s_mov_b32 s44, s80
	s_mov_b32 s43, s81
	v_add_nc_u32_e32 v62, s5, v60
	s_mov_b32 s42, s82
	s_mov_b32 s41, s83
	s_mov_b32 s40, s84
	s_mov_b32 s39, s85
	v_add_nc_u32_e32 v64, s5, v62
	s_mov_b32 s38, s86
	;; [unrolled: 5-line block ×6, first 2 shown]
	s_mov_b32 s19, vcc_lo
	s_mov_b32 s17, vcc_hi
	s_mov_b32 s15, s77
	v_add_nc_u32_e32 v74, s5, v72
	s_bitcmp0_b32 s78, 0
	s_mov_b32 s3, -1
	s_delay_alu instid0(VALU_DEP_1) | instskip(NEXT) | instid1(VALU_DEP_1)
	v_add_nc_u32_e32 v76, s5, v74
	v_add_nc_u32_e32 v78, s5, v76
	s_delay_alu instid0(VALU_DEP_1) | instskip(NEXT) | instid1(VALU_DEP_1)
	v_add_nc_u32_e32 v80, s5, v78
	v_add_nc_u32_e32 v82, s5, v80
	;; [unrolled: 3-line block ×20, first 2 shown]
	s_delay_alu instid0(VALU_DEP_1)
	v_add_nc_u32_e32 v156, s5, v154
	s_wait_loadcnt_dscnt 0x0
	scratch_store_b128 off, v[2:5], off
	flat_load_b128 v[2:5], v[34:35]
	s_wait_loadcnt_dscnt 0x0
	scratch_store_b128 off, v[2:5], off offset:16
	flat_load_b128 v[2:5], v36, s[10:11] scale_offset
	s_wait_loadcnt_dscnt 0x0
	scratch_store_b128 off, v[2:5], off offset:32
	flat_load_b128 v[2:5], v38, s[10:11] scale_offset
	;; [unrolled: 3-line block ×61, first 2 shown]
	s_wait_loadcnt_dscnt 0x0
	scratch_store_b128 off, v[2:5], off offset:992
	s_cbranch_scc1 .LBB126_276
; %bb.4:
	v_cmp_eq_u32_e64 s2, 0, v1
	s_wait_xcnt 0x0
	s_and_saveexec_b32 s3, s2
; %bb.5:
	v_mov_b32_e32 v2, 0
	ds_store_b32 v2, v2 offset:2016
; %bb.6:
	s_or_b32 exec_lo, exec_lo, s3
	s_wait_storecnt_dscnt 0x0
	s_barrier_signal -1
	s_barrier_wait -1
	scratch_load_b128 v[2:5], v1, off scale_offset
	s_wait_loadcnt 0x0
	v_cmp_eq_f64_e32 vcc_lo, 0, v[2:3]
	v_cmp_eq_f64_e64 s3, 0, v[4:5]
	s_and_b32 s3, vcc_lo, s3
	s_delay_alu instid0(SALU_CYCLE_1)
	s_and_saveexec_b32 s4, s3
	s_cbranch_execz .LBB126_10
; %bb.7:
	v_mov_b32_e32 v2, 0
	s_mov_b32 s5, 0
	ds_load_b32 v3, v2 offset:2016
	s_wait_dscnt 0x0
	v_readfirstlane_b32 s3, v3
	v_add_nc_u32_e32 v3, 1, v1
	s_cmp_eq_u32 s3, 0
	s_delay_alu instid0(VALU_DEP_1) | instskip(SKIP_1) | instid1(SALU_CYCLE_1)
	v_cmp_gt_i32_e32 vcc_lo, s3, v3
	s_cselect_b32 s77, -1, 0
	s_or_b32 s77, s77, vcc_lo
	s_delay_alu instid0(SALU_CYCLE_1)
	s_and_b32 exec_lo, exec_lo, s77
	s_cbranch_execz .LBB126_10
; %bb.8:
	v_mov_b32_e32 v4, s3
.LBB126_9:                              ; =>This Inner Loop Header: Depth=1
	ds_cmpstore_rtn_b32 v4, v2, v3, v4 offset:2016
	s_wait_dscnt 0x0
	v_cmp_ne_u32_e32 vcc_lo, 0, v4
	v_cmp_le_i32_e64 s3, v4, v3
	s_and_b32 s3, vcc_lo, s3
	s_delay_alu instid0(SALU_CYCLE_1) | instskip(NEXT) | instid1(SALU_CYCLE_1)
	s_and_b32 s3, exec_lo, s3
	s_or_b32 s5, s3, s5
	s_delay_alu instid0(SALU_CYCLE_1)
	s_and_not1_b32 exec_lo, exec_lo, s5
	s_cbranch_execnz .LBB126_9
.LBB126_10:
	s_or_b32 exec_lo, exec_lo, s4
	v_mov_b32_e32 v2, 0
	s_barrier_signal -1
	s_barrier_wait -1
	ds_load_b32 v3, v2 offset:2016
	s_and_saveexec_b32 s3, s2
	s_cbranch_execz .LBB126_12
; %bb.11:
	s_lshl_b64 s[4:5], s[12:13], 2
	s_delay_alu instid0(SALU_CYCLE_1)
	s_add_nc_u64 s[4:5], s[6:7], s[4:5]
	s_wait_dscnt 0x0
	global_store_b32 v2, v3, s[4:5]
.LBB126_12:
	s_wait_xcnt 0x0
	s_or_b32 exec_lo, exec_lo, s3
	s_wait_dscnt 0x0
	v_cmp_ne_u32_e32 vcc_lo, 0, v3
	s_mov_b32 s3, 0
	s_cbranch_vccnz .LBB126_276
; %bb.13:
	v_lshl_add_u32 v15, v1, 4, 0
                                        ; implicit-def: $vgpr6_vgpr7
                                        ; implicit-def: $vgpr10_vgpr11
	scratch_load_b128 v[2:5], v15, off
	s_wait_loadcnt 0x0
	v_cmp_ngt_f64_e64 s3, |v[2:3]|, |v[4:5]|
	s_wait_xcnt 0x0
	s_and_saveexec_b32 s4, s3
	s_delay_alu instid0(SALU_CYCLE_1)
	s_xor_b32 s3, exec_lo, s4
	s_cbranch_execz .LBB126_15
; %bb.14:
	v_div_scale_f64 v[6:7], null, v[4:5], v[4:5], v[2:3]
	v_div_scale_f64 v[12:13], vcc_lo, v[2:3], v[4:5], v[2:3]
	s_delay_alu instid0(VALU_DEP_2) | instskip(SKIP_1) | instid1(TRANS32_DEP_1)
	v_rcp_f64_e32 v[8:9], v[6:7]
	v_nop
	v_fma_f64 v[10:11], -v[6:7], v[8:9], 1.0
	s_delay_alu instid0(VALU_DEP_1) | instskip(NEXT) | instid1(VALU_DEP_1)
	v_fmac_f64_e32 v[8:9], v[8:9], v[10:11]
	v_fma_f64 v[10:11], -v[6:7], v[8:9], 1.0
	s_delay_alu instid0(VALU_DEP_1) | instskip(NEXT) | instid1(VALU_DEP_1)
	v_fmac_f64_e32 v[8:9], v[8:9], v[10:11]
	v_mul_f64_e32 v[10:11], v[12:13], v[8:9]
	s_delay_alu instid0(VALU_DEP_1) | instskip(NEXT) | instid1(VALU_DEP_1)
	v_fma_f64 v[6:7], -v[6:7], v[10:11], v[12:13]
	v_div_fmas_f64 v[6:7], v[6:7], v[8:9], v[10:11]
	s_delay_alu instid0(VALU_DEP_1) | instskip(NEXT) | instid1(VALU_DEP_1)
	v_div_fixup_f64 v[6:7], v[6:7], v[4:5], v[2:3]
	v_fmac_f64_e32 v[4:5], v[2:3], v[6:7]
	s_delay_alu instid0(VALU_DEP_1) | instskip(SKIP_1) | instid1(VALU_DEP_2)
	v_div_scale_f64 v[2:3], null, v[4:5], v[4:5], 1.0
	v_div_scale_f64 v[12:13], vcc_lo, 1.0, v[4:5], 1.0
	v_rcp_f64_e32 v[8:9], v[2:3]
	v_nop
	s_delay_alu instid0(TRANS32_DEP_1) | instskip(NEXT) | instid1(VALU_DEP_1)
	v_fma_f64 v[10:11], -v[2:3], v[8:9], 1.0
	v_fmac_f64_e32 v[8:9], v[8:9], v[10:11]
	s_delay_alu instid0(VALU_DEP_1) | instskip(NEXT) | instid1(VALU_DEP_1)
	v_fma_f64 v[10:11], -v[2:3], v[8:9], 1.0
	v_fmac_f64_e32 v[8:9], v[8:9], v[10:11]
	s_delay_alu instid0(VALU_DEP_1) | instskip(NEXT) | instid1(VALU_DEP_1)
	v_mul_f64_e32 v[10:11], v[12:13], v[8:9]
	v_fma_f64 v[2:3], -v[2:3], v[10:11], v[12:13]
	s_delay_alu instid0(VALU_DEP_1) | instskip(NEXT) | instid1(VALU_DEP_1)
	v_div_fmas_f64 v[2:3], v[2:3], v[8:9], v[10:11]
	v_div_fixup_f64 v[8:9], v[2:3], v[4:5], 1.0
                                        ; implicit-def: $vgpr2_vgpr3
	s_delay_alu instid0(VALU_DEP_1) | instskip(SKIP_1) | instid1(VALU_DEP_2)
	v_mul_f64_e32 v[6:7], v[6:7], v[8:9]
	v_xor_b32_e32 v9, 0x80000000, v9
	v_xor_b32_e32 v11, 0x80000000, v7
	s_delay_alu instid0(VALU_DEP_3)
	v_mov_b32_e32 v10, v6
.LBB126_15:
	s_and_not1_saveexec_b32 s3, s3
	s_cbranch_execz .LBB126_17
; %bb.16:
	v_div_scale_f64 v[6:7], null, v[2:3], v[2:3], v[4:5]
	v_div_scale_f64 v[12:13], vcc_lo, v[4:5], v[2:3], v[4:5]
	s_delay_alu instid0(VALU_DEP_2) | instskip(SKIP_1) | instid1(TRANS32_DEP_1)
	v_rcp_f64_e32 v[8:9], v[6:7]
	v_nop
	v_fma_f64 v[10:11], -v[6:7], v[8:9], 1.0
	s_delay_alu instid0(VALU_DEP_1) | instskip(NEXT) | instid1(VALU_DEP_1)
	v_fmac_f64_e32 v[8:9], v[8:9], v[10:11]
	v_fma_f64 v[10:11], -v[6:7], v[8:9], 1.0
	s_delay_alu instid0(VALU_DEP_1) | instskip(NEXT) | instid1(VALU_DEP_1)
	v_fmac_f64_e32 v[8:9], v[8:9], v[10:11]
	v_mul_f64_e32 v[10:11], v[12:13], v[8:9]
	s_delay_alu instid0(VALU_DEP_1) | instskip(NEXT) | instid1(VALU_DEP_1)
	v_fma_f64 v[6:7], -v[6:7], v[10:11], v[12:13]
	v_div_fmas_f64 v[6:7], v[6:7], v[8:9], v[10:11]
	s_delay_alu instid0(VALU_DEP_1) | instskip(NEXT) | instid1(VALU_DEP_1)
	v_div_fixup_f64 v[8:9], v[6:7], v[2:3], v[4:5]
	v_fmac_f64_e32 v[2:3], v[4:5], v[8:9]
	s_delay_alu instid0(VALU_DEP_1) | instskip(NEXT) | instid1(VALU_DEP_1)
	v_div_scale_f64 v[4:5], null, v[2:3], v[2:3], 1.0
	v_rcp_f64_e32 v[6:7], v[4:5]
	v_nop
	s_delay_alu instid0(TRANS32_DEP_1) | instskip(NEXT) | instid1(VALU_DEP_1)
	v_fma_f64 v[10:11], -v[4:5], v[6:7], 1.0
	v_fmac_f64_e32 v[6:7], v[6:7], v[10:11]
	s_delay_alu instid0(VALU_DEP_1) | instskip(NEXT) | instid1(VALU_DEP_1)
	v_fma_f64 v[10:11], -v[4:5], v[6:7], 1.0
	v_fmac_f64_e32 v[6:7], v[6:7], v[10:11]
	v_div_scale_f64 v[10:11], vcc_lo, 1.0, v[2:3], 1.0
	s_delay_alu instid0(VALU_DEP_1) | instskip(NEXT) | instid1(VALU_DEP_1)
	v_mul_f64_e32 v[12:13], v[10:11], v[6:7]
	v_fma_f64 v[4:5], -v[4:5], v[12:13], v[10:11]
	s_delay_alu instid0(VALU_DEP_1) | instskip(NEXT) | instid1(VALU_DEP_1)
	v_div_fmas_f64 v[4:5], v[4:5], v[6:7], v[12:13]
	v_div_fixup_f64 v[6:7], v[4:5], v[2:3], 1.0
	s_delay_alu instid0(VALU_DEP_1)
	v_mul_f64_e64 v[8:9], v[8:9], -v[6:7]
	v_xor_b32_e32 v11, 0x80000000, v7
	v_mov_b32_e32 v10, v6
.LBB126_17:
	s_or_b32 exec_lo, exec_lo, s3
	s_clause 0x1
	scratch_store_b128 v15, v[6:9], off
	scratch_load_b128 v[2:5], off, s20
	v_xor_b32_e32 v13, 0x80000000, v9
	v_mov_b32_e32 v12, v8
	s_wait_xcnt 0x1
	v_add_nc_u32_e32 v6, 0x3f0, v14
	ds_store_b128 v14, v[10:13]
	s_wait_loadcnt 0x0
	ds_store_b128 v14, v[2:5] offset:1008
	s_wait_storecnt_dscnt 0x0
	s_barrier_signal -1
	s_barrier_wait -1
	s_wait_xcnt 0x0
	s_and_saveexec_b32 s3, s2
	s_cbranch_execz .LBB126_19
; %bb.18:
	scratch_load_b128 v[2:5], v15, off
	ds_load_b128 v[8:11], v6
	v_mov_b32_e32 v7, 0
	ds_load_b128 v[16:19], v7 offset:16
	s_wait_loadcnt_dscnt 0x1
	v_mul_f64_e32 v[12:13], v[8:9], v[4:5]
	v_mul_f64_e32 v[4:5], v[10:11], v[4:5]
	s_delay_alu instid0(VALU_DEP_2) | instskip(NEXT) | instid1(VALU_DEP_2)
	v_fmac_f64_e32 v[12:13], v[10:11], v[2:3]
	v_fma_f64 v[2:3], v[8:9], v[2:3], -v[4:5]
	s_delay_alu instid0(VALU_DEP_2) | instskip(NEXT) | instid1(VALU_DEP_2)
	v_add_f64_e32 v[8:9], 0, v[12:13]
	v_add_f64_e32 v[2:3], 0, v[2:3]
	s_wait_dscnt 0x0
	s_delay_alu instid0(VALU_DEP_2) | instskip(NEXT) | instid1(VALU_DEP_2)
	v_mul_f64_e32 v[10:11], v[8:9], v[18:19]
	v_mul_f64_e32 v[4:5], v[2:3], v[18:19]
	s_delay_alu instid0(VALU_DEP_2) | instskip(NEXT) | instid1(VALU_DEP_2)
	v_fma_f64 v[2:3], v[2:3], v[16:17], -v[10:11]
	v_fmac_f64_e32 v[4:5], v[8:9], v[16:17]
	scratch_store_b128 off, v[2:5], off offset:16
.LBB126_19:
	s_wait_xcnt 0x0
	s_or_b32 exec_lo, exec_lo, s3
	s_wait_storecnt 0x0
	s_barrier_signal -1
	s_barrier_wait -1
	scratch_load_b128 v[2:5], off, s18
	v_cmp_gt_u32_e32 vcc_lo, 2, v1
	s_wait_loadcnt 0x0
	ds_store_b128 v6, v[2:5]
	s_wait_dscnt 0x0
	s_barrier_signal -1
	s_barrier_wait -1
	s_and_saveexec_b32 s3, vcc_lo
	s_cbranch_execz .LBB126_23
; %bb.20:
	scratch_load_b128 v[2:5], v15, off
	ds_load_b128 v[8:11], v6
	s_wait_loadcnt_dscnt 0x0
	v_mul_f64_e32 v[12:13], v[10:11], v[4:5]
	v_mul_f64_e32 v[16:17], v[8:9], v[4:5]
	s_delay_alu instid0(VALU_DEP_2) | instskip(NEXT) | instid1(VALU_DEP_2)
	v_fma_f64 v[4:5], v[8:9], v[2:3], -v[12:13]
	v_fmac_f64_e32 v[16:17], v[10:11], v[2:3]
	s_delay_alu instid0(VALU_DEP_2) | instskip(NEXT) | instid1(VALU_DEP_2)
	v_add_f64_e32 v[4:5], 0, v[4:5]
	v_add_f64_e32 v[2:3], 0, v[16:17]
	s_and_saveexec_b32 s4, s2
	s_cbranch_execz .LBB126_22
; %bb.21:
	scratch_load_b128 v[8:11], off, off offset:16
	v_mov_b32_e32 v7, 0
	ds_load_b128 v[16:19], v7 offset:1024
	s_wait_loadcnt_dscnt 0x0
	v_mul_f64_e32 v[12:13], v[16:17], v[10:11]
	v_mul_f64_e32 v[10:11], v[18:19], v[10:11]
	s_delay_alu instid0(VALU_DEP_2) | instskip(NEXT) | instid1(VALU_DEP_2)
	v_fmac_f64_e32 v[12:13], v[18:19], v[8:9]
	v_fma_f64 v[8:9], v[16:17], v[8:9], -v[10:11]
	s_delay_alu instid0(VALU_DEP_2) | instskip(NEXT) | instid1(VALU_DEP_2)
	v_add_f64_e32 v[2:3], v[2:3], v[12:13]
	v_add_f64_e32 v[4:5], v[4:5], v[8:9]
.LBB126_22:
	s_or_b32 exec_lo, exec_lo, s4
	v_mov_b32_e32 v7, 0
	ds_load_b128 v[8:11], v7 offset:32
	s_wait_dscnt 0x0
	v_mul_f64_e32 v[16:17], v[2:3], v[10:11]
	v_mul_f64_e32 v[12:13], v[4:5], v[10:11]
	s_delay_alu instid0(VALU_DEP_2) | instskip(NEXT) | instid1(VALU_DEP_2)
	v_fma_f64 v[10:11], v[4:5], v[8:9], -v[16:17]
	v_fmac_f64_e32 v[12:13], v[2:3], v[8:9]
	scratch_store_b128 off, v[10:13], off offset:32
.LBB126_23:
	s_wait_xcnt 0x0
	s_or_b32 exec_lo, exec_lo, s3
	s_wait_storecnt 0x0
	s_barrier_signal -1
	s_barrier_wait -1
	scratch_load_b128 v[2:5], off, s16
	v_add_nc_u32_e32 v7, -1, v1
	s_mov_b32 s4, exec_lo
	s_wait_loadcnt 0x0
	ds_store_b128 v6, v[2:5]
	s_wait_dscnt 0x0
	s_barrier_signal -1
	s_barrier_wait -1
	v_cmpx_gt_u32_e32 3, v1
	s_cbranch_execz .LBB126_27
; %bb.24:
	v_dual_mov_b32 v10, v14 :: v_dual_add_nc_u32 v8, -1, v1
	v_mov_b64_e32 v[2:3], 0
	v_mov_b64_e32 v[4:5], 0
	v_add_nc_u32_e32 v9, 0x3f0, v14
	s_delay_alu instid0(VALU_DEP_4)
	v_or_b32_e32 v10, 8, v10
	s_mov_b32 s5, 0
.LBB126_25:                             ; =>This Inner Loop Header: Depth=1
	scratch_load_b128 v[16:19], v10, off offset:-8
	ds_load_b128 v[20:23], v9
	v_dual_add_nc_u32 v8, 1, v8 :: v_dual_add_nc_u32 v9, 16, v9
	s_wait_xcnt 0x0
	v_add_nc_u32_e32 v10, 16, v10
	s_delay_alu instid0(VALU_DEP_2) | instskip(SKIP_4) | instid1(VALU_DEP_2)
	v_cmp_lt_u32_e64 s3, 1, v8
	s_or_b32 s5, s3, s5
	s_wait_loadcnt_dscnt 0x0
	v_mul_f64_e32 v[12:13], v[22:23], v[18:19]
	v_mul_f64_e32 v[18:19], v[20:21], v[18:19]
	v_fma_f64 v[12:13], v[20:21], v[16:17], -v[12:13]
	s_delay_alu instid0(VALU_DEP_2) | instskip(NEXT) | instid1(VALU_DEP_2)
	v_fmac_f64_e32 v[18:19], v[22:23], v[16:17]
	v_add_f64_e32 v[4:5], v[4:5], v[12:13]
	s_delay_alu instid0(VALU_DEP_2)
	v_add_f64_e32 v[2:3], v[2:3], v[18:19]
	s_and_not1_b32 exec_lo, exec_lo, s5
	s_cbranch_execnz .LBB126_25
; %bb.26:
	s_or_b32 exec_lo, exec_lo, s5
	v_mov_b32_e32 v8, 0
	ds_load_b128 v[8:11], v8 offset:48
	s_wait_dscnt 0x0
	v_mul_f64_e32 v[16:17], v[2:3], v[10:11]
	v_mul_f64_e32 v[12:13], v[4:5], v[10:11]
	s_delay_alu instid0(VALU_DEP_2) | instskip(NEXT) | instid1(VALU_DEP_2)
	v_fma_f64 v[10:11], v[4:5], v[8:9], -v[16:17]
	v_fmac_f64_e32 v[12:13], v[2:3], v[8:9]
	scratch_store_b128 off, v[10:13], off offset:48
.LBB126_27:
	s_wait_xcnt 0x0
	s_or_b32 exec_lo, exec_lo, s4
	s_wait_storecnt 0x0
	s_barrier_signal -1
	s_barrier_wait -1
	scratch_load_b128 v[2:5], off, s14
	v_cmp_gt_u32_e64 s3, 4, v1
	s_wait_loadcnt 0x0
	ds_store_b128 v6, v[2:5]
	s_wait_dscnt 0x0
	s_barrier_signal -1
	s_barrier_wait -1
	s_and_saveexec_b32 s5, s3
	s_cbranch_execz .LBB126_31
; %bb.28:
	v_dual_mov_b32 v10, v14 :: v_dual_add_nc_u32 v8, -1, v1
	v_mov_b64_e32 v[2:3], 0
	v_mov_b64_e32 v[4:5], 0
	v_add_nc_u32_e32 v9, 0x3f0, v14
	s_delay_alu instid0(VALU_DEP_4)
	v_or_b32_e32 v10, 8, v10
	s_mov_b32 s78, 0
.LBB126_29:                             ; =>This Inner Loop Header: Depth=1
	scratch_load_b128 v[16:19], v10, off offset:-8
	ds_load_b128 v[20:23], v9
	v_dual_add_nc_u32 v8, 1, v8 :: v_dual_add_nc_u32 v9, 16, v9
	s_wait_xcnt 0x0
	v_add_nc_u32_e32 v10, 16, v10
	s_delay_alu instid0(VALU_DEP_2) | instskip(SKIP_4) | instid1(VALU_DEP_2)
	v_cmp_lt_u32_e64 s4, 2, v8
	s_or_b32 s78, s4, s78
	s_wait_loadcnt_dscnt 0x0
	v_mul_f64_e32 v[12:13], v[22:23], v[18:19]
	v_mul_f64_e32 v[18:19], v[20:21], v[18:19]
	v_fma_f64 v[12:13], v[20:21], v[16:17], -v[12:13]
	s_delay_alu instid0(VALU_DEP_2) | instskip(NEXT) | instid1(VALU_DEP_2)
	v_fmac_f64_e32 v[18:19], v[22:23], v[16:17]
	v_add_f64_e32 v[4:5], v[4:5], v[12:13]
	s_delay_alu instid0(VALU_DEP_2)
	v_add_f64_e32 v[2:3], v[2:3], v[18:19]
	s_and_not1_b32 exec_lo, exec_lo, s78
	s_cbranch_execnz .LBB126_29
; %bb.30:
	s_or_b32 exec_lo, exec_lo, s78
	v_mov_b32_e32 v8, 0
	ds_load_b128 v[8:11], v8 offset:64
	s_wait_dscnt 0x0
	v_mul_f64_e32 v[16:17], v[2:3], v[10:11]
	v_mul_f64_e32 v[12:13], v[4:5], v[10:11]
	s_delay_alu instid0(VALU_DEP_2) | instskip(NEXT) | instid1(VALU_DEP_2)
	v_fma_f64 v[10:11], v[4:5], v[8:9], -v[16:17]
	v_fmac_f64_e32 v[12:13], v[2:3], v[8:9]
	scratch_store_b128 off, v[10:13], off offset:64
.LBB126_31:
	s_wait_xcnt 0x0
	s_or_b32 exec_lo, exec_lo, s5
	s_wait_storecnt 0x0
	s_barrier_signal -1
	s_barrier_wait -1
	scratch_load_b128 v[2:5], off, s76
	s_mov_b32 s5, exec_lo
	s_wait_loadcnt 0x0
	ds_store_b128 v6, v[2:5]
	s_wait_dscnt 0x0
	s_barrier_signal -1
	s_barrier_wait -1
	v_cmpx_gt_u32_e32 5, v1
	s_cbranch_execz .LBB126_35
; %bb.32:
	v_dual_mov_b32 v10, v14 :: v_dual_add_nc_u32 v8, -1, v1
	v_mov_b64_e32 v[2:3], 0
	v_mov_b64_e32 v[4:5], 0
	v_add_nc_u32_e32 v9, 0x3f0, v14
	s_delay_alu instid0(VALU_DEP_4)
	v_or_b32_e32 v10, 8, v10
	s_mov_b32 s78, 0
.LBB126_33:                             ; =>This Inner Loop Header: Depth=1
	scratch_load_b128 v[16:19], v10, off offset:-8
	ds_load_b128 v[20:23], v9
	v_dual_add_nc_u32 v8, 1, v8 :: v_dual_add_nc_u32 v9, 16, v9
	s_wait_xcnt 0x0
	v_add_nc_u32_e32 v10, 16, v10
	s_delay_alu instid0(VALU_DEP_2) | instskip(SKIP_4) | instid1(VALU_DEP_2)
	v_cmp_lt_u32_e64 s4, 3, v8
	s_or_b32 s78, s4, s78
	s_wait_loadcnt_dscnt 0x0
	v_mul_f64_e32 v[12:13], v[22:23], v[18:19]
	v_mul_f64_e32 v[18:19], v[20:21], v[18:19]
	v_fma_f64 v[12:13], v[20:21], v[16:17], -v[12:13]
	s_delay_alu instid0(VALU_DEP_2) | instskip(NEXT) | instid1(VALU_DEP_2)
	v_fmac_f64_e32 v[18:19], v[22:23], v[16:17]
	v_add_f64_e32 v[4:5], v[4:5], v[12:13]
	s_delay_alu instid0(VALU_DEP_2)
	v_add_f64_e32 v[2:3], v[2:3], v[18:19]
	s_and_not1_b32 exec_lo, exec_lo, s78
	s_cbranch_execnz .LBB126_33
; %bb.34:
	s_or_b32 exec_lo, exec_lo, s78
	v_mov_b32_e32 v8, 0
	ds_load_b128 v[8:11], v8 offset:80
	s_wait_dscnt 0x0
	v_mul_f64_e32 v[16:17], v[2:3], v[10:11]
	v_mul_f64_e32 v[12:13], v[4:5], v[10:11]
	s_delay_alu instid0(VALU_DEP_2) | instskip(NEXT) | instid1(VALU_DEP_2)
	v_fma_f64 v[10:11], v[4:5], v[8:9], -v[16:17]
	v_fmac_f64_e32 v[12:13], v[2:3], v[8:9]
	scratch_store_b128 off, v[10:13], off offset:80
.LBB126_35:
	s_wait_xcnt 0x0
	s_or_b32 exec_lo, exec_lo, s5
	s_wait_storecnt 0x0
	s_barrier_signal -1
	s_barrier_wait -1
	scratch_load_b128 v[2:5], off, s75
	v_cmp_gt_u32_e64 s4, 6, v1
	s_wait_loadcnt 0x0
	ds_store_b128 v6, v[2:5]
	s_wait_dscnt 0x0
	s_barrier_signal -1
	s_barrier_wait -1
	s_and_saveexec_b32 s78, s4
	s_cbranch_execz .LBB126_39
; %bb.36:
	v_dual_mov_b32 v10, v14 :: v_dual_add_nc_u32 v8, -1, v1
	v_mov_b64_e32 v[2:3], 0
	v_mov_b64_e32 v[4:5], 0
	v_add_nc_u32_e32 v9, 0x3f0, v14
	s_delay_alu instid0(VALU_DEP_4)
	v_or_b32_e32 v10, 8, v10
	s_mov_b32 s79, 0
.LBB126_37:                             ; =>This Inner Loop Header: Depth=1
	scratch_load_b128 v[16:19], v10, off offset:-8
	ds_load_b128 v[20:23], v9
	v_dual_add_nc_u32 v8, 1, v8 :: v_dual_add_nc_u32 v9, 16, v9
	s_wait_xcnt 0x0
	v_add_nc_u32_e32 v10, 16, v10
	s_delay_alu instid0(VALU_DEP_2) | instskip(SKIP_4) | instid1(VALU_DEP_2)
	v_cmp_lt_u32_e64 s5, 4, v8
	s_or_b32 s79, s5, s79
	s_wait_loadcnt_dscnt 0x0
	v_mul_f64_e32 v[12:13], v[22:23], v[18:19]
	v_mul_f64_e32 v[18:19], v[20:21], v[18:19]
	v_fma_f64 v[12:13], v[20:21], v[16:17], -v[12:13]
	s_delay_alu instid0(VALU_DEP_2) | instskip(NEXT) | instid1(VALU_DEP_2)
	v_fmac_f64_e32 v[18:19], v[22:23], v[16:17]
	v_add_f64_e32 v[4:5], v[4:5], v[12:13]
	s_delay_alu instid0(VALU_DEP_2)
	v_add_f64_e32 v[2:3], v[2:3], v[18:19]
	s_and_not1_b32 exec_lo, exec_lo, s79
	s_cbranch_execnz .LBB126_37
; %bb.38:
	s_or_b32 exec_lo, exec_lo, s79
	v_mov_b32_e32 v8, 0
	ds_load_b128 v[8:11], v8 offset:96
	s_wait_dscnt 0x0
	v_mul_f64_e32 v[16:17], v[2:3], v[10:11]
	v_mul_f64_e32 v[12:13], v[4:5], v[10:11]
	s_delay_alu instid0(VALU_DEP_2) | instskip(NEXT) | instid1(VALU_DEP_2)
	v_fma_f64 v[10:11], v[4:5], v[8:9], -v[16:17]
	v_fmac_f64_e32 v[12:13], v[2:3], v[8:9]
	scratch_store_b128 off, v[10:13], off offset:96
.LBB126_39:
	s_wait_xcnt 0x0
	s_or_b32 exec_lo, exec_lo, s78
	s_wait_storecnt 0x0
	s_barrier_signal -1
	s_barrier_wait -1
	scratch_load_b128 v[2:5], off, s74
	s_mov_b32 s78, exec_lo
	s_wait_loadcnt 0x0
	ds_store_b128 v6, v[2:5]
	s_wait_dscnt 0x0
	s_barrier_signal -1
	s_barrier_wait -1
	v_cmpx_gt_u32_e32 7, v1
	s_cbranch_execz .LBB126_43
; %bb.40:
	v_dual_mov_b32 v10, v14 :: v_dual_add_nc_u32 v8, -1, v1
	v_mov_b64_e32 v[2:3], 0
	v_mov_b64_e32 v[4:5], 0
	v_add_nc_u32_e32 v9, 0x3f0, v14
	s_delay_alu instid0(VALU_DEP_4)
	v_or_b32_e32 v10, 8, v10
	s_mov_b32 s79, 0
.LBB126_41:                             ; =>This Inner Loop Header: Depth=1
	scratch_load_b128 v[16:19], v10, off offset:-8
	ds_load_b128 v[20:23], v9
	v_dual_add_nc_u32 v8, 1, v8 :: v_dual_add_nc_u32 v9, 16, v9
	s_wait_xcnt 0x0
	v_add_nc_u32_e32 v10, 16, v10
	s_delay_alu instid0(VALU_DEP_2) | instskip(SKIP_4) | instid1(VALU_DEP_2)
	v_cmp_lt_u32_e64 s5, 5, v8
	s_or_b32 s79, s5, s79
	s_wait_loadcnt_dscnt 0x0
	v_mul_f64_e32 v[12:13], v[22:23], v[18:19]
	v_mul_f64_e32 v[18:19], v[20:21], v[18:19]
	v_fma_f64 v[12:13], v[20:21], v[16:17], -v[12:13]
	s_delay_alu instid0(VALU_DEP_2) | instskip(NEXT) | instid1(VALU_DEP_2)
	v_fmac_f64_e32 v[18:19], v[22:23], v[16:17]
	v_add_f64_e32 v[4:5], v[4:5], v[12:13]
	s_delay_alu instid0(VALU_DEP_2)
	v_add_f64_e32 v[2:3], v[2:3], v[18:19]
	s_and_not1_b32 exec_lo, exec_lo, s79
	s_cbranch_execnz .LBB126_41
; %bb.42:
	s_or_b32 exec_lo, exec_lo, s79
	v_mov_b32_e32 v8, 0
	ds_load_b128 v[8:11], v8 offset:112
	s_wait_dscnt 0x0
	v_mul_f64_e32 v[16:17], v[2:3], v[10:11]
	v_mul_f64_e32 v[12:13], v[4:5], v[10:11]
	s_delay_alu instid0(VALU_DEP_2) | instskip(NEXT) | instid1(VALU_DEP_2)
	v_fma_f64 v[10:11], v[4:5], v[8:9], -v[16:17]
	v_fmac_f64_e32 v[12:13], v[2:3], v[8:9]
	scratch_store_b128 off, v[10:13], off offset:112
.LBB126_43:
	s_wait_xcnt 0x0
	s_or_b32 exec_lo, exec_lo, s78
	s_wait_storecnt 0x0
	s_barrier_signal -1
	s_barrier_wait -1
	scratch_load_b128 v[2:5], off, s73
	s_mov_b32 s78, exec_lo
	s_wait_loadcnt 0x0
	ds_store_b128 v6, v[2:5]
	s_wait_dscnt 0x0
	s_barrier_signal -1
	s_barrier_wait -1
	v_cmpx_gt_u32_e32 8, v1
	s_cbranch_execz .LBB126_59
; %bb.44:
	scratch_load_b128 v[2:5], v15, off
	ds_load_b128 v[8:11], v6
	s_mov_b32 s79, exec_lo
	s_wait_loadcnt_dscnt 0x0
	v_mul_f64_e32 v[12:13], v[10:11], v[4:5]
	v_mul_f64_e32 v[16:17], v[8:9], v[4:5]
	s_delay_alu instid0(VALU_DEP_2) | instskip(NEXT) | instid1(VALU_DEP_2)
	v_fma_f64 v[4:5], v[8:9], v[2:3], -v[12:13]
	v_fmac_f64_e32 v[16:17], v[10:11], v[2:3]
	s_delay_alu instid0(VALU_DEP_2) | instskip(NEXT) | instid1(VALU_DEP_2)
	v_add_f64_e32 v[4:5], 0, v[4:5]
	v_add_f64_e32 v[2:3], 0, v[16:17]
	v_cmpx_ne_u32_e32 7, v1
	s_cbranch_execz .LBB126_58
; %bb.45:
	scratch_load_b128 v[8:11], v15, off offset:16
	ds_load_b128 v[16:19], v6 offset:16
	s_wait_loadcnt_dscnt 0x0
	v_mul_f64_e32 v[12:13], v[18:19], v[10:11]
	v_mul_f64_e32 v[10:11], v[16:17], v[10:11]
	s_delay_alu instid0(VALU_DEP_2) | instskip(NEXT) | instid1(VALU_DEP_2)
	v_fma_f64 v[12:13], v[16:17], v[8:9], -v[12:13]
	v_fmac_f64_e32 v[10:11], v[18:19], v[8:9]
	s_delay_alu instid0(VALU_DEP_2) | instskip(NEXT) | instid1(VALU_DEP_2)
	v_add_f64_e32 v[4:5], v[4:5], v[12:13]
	v_add_f64_e32 v[2:3], v[2:3], v[10:11]
	s_and_saveexec_b32 s5, s4
	s_cbranch_execz .LBB126_57
; %bb.46:
	scratch_load_b128 v[8:11], v15, off offset:32
	ds_load_b128 v[16:19], v6 offset:32
	s_mov_b32 s80, exec_lo
	s_wait_loadcnt_dscnt 0x0
	v_mul_f64_e32 v[12:13], v[18:19], v[10:11]
	v_mul_f64_e32 v[10:11], v[16:17], v[10:11]
	s_delay_alu instid0(VALU_DEP_2) | instskip(NEXT) | instid1(VALU_DEP_2)
	v_fma_f64 v[12:13], v[16:17], v[8:9], -v[12:13]
	v_fmac_f64_e32 v[10:11], v[18:19], v[8:9]
	s_delay_alu instid0(VALU_DEP_2) | instskip(NEXT) | instid1(VALU_DEP_2)
	v_add_f64_e32 v[4:5], v[4:5], v[12:13]
	v_add_f64_e32 v[2:3], v[2:3], v[10:11]
	v_cmpx_ne_u32_e32 5, v1
	s_cbranch_execz .LBB126_56
; %bb.47:
	scratch_load_b128 v[8:11], v15, off offset:48
	ds_load_b128 v[16:19], v6 offset:48
	s_wait_loadcnt_dscnt 0x0
	v_mul_f64_e32 v[12:13], v[18:19], v[10:11]
	v_mul_f64_e32 v[10:11], v[16:17], v[10:11]
	s_delay_alu instid0(VALU_DEP_2) | instskip(NEXT) | instid1(VALU_DEP_2)
	v_fma_f64 v[12:13], v[16:17], v[8:9], -v[12:13]
	v_fmac_f64_e32 v[10:11], v[18:19], v[8:9]
	s_delay_alu instid0(VALU_DEP_2) | instskip(NEXT) | instid1(VALU_DEP_2)
	v_add_f64_e32 v[4:5], v[4:5], v[12:13]
	v_add_f64_e32 v[2:3], v[2:3], v[10:11]
	s_and_saveexec_b32 s4, s3
	s_cbranch_execz .LBB126_55
; %bb.48:
	scratch_load_b128 v[8:11], v15, off offset:64
	ds_load_b128 v[16:19], v6 offset:64
	s_mov_b32 s81, exec_lo
	s_wait_loadcnt_dscnt 0x0
	v_mul_f64_e32 v[12:13], v[18:19], v[10:11]
	v_mul_f64_e32 v[10:11], v[16:17], v[10:11]
	s_delay_alu instid0(VALU_DEP_2) | instskip(NEXT) | instid1(VALU_DEP_2)
	v_fma_f64 v[12:13], v[16:17], v[8:9], -v[12:13]
	v_fmac_f64_e32 v[10:11], v[18:19], v[8:9]
	s_delay_alu instid0(VALU_DEP_2) | instskip(NEXT) | instid1(VALU_DEP_2)
	v_add_f64_e32 v[4:5], v[4:5], v[12:13]
	v_add_f64_e32 v[2:3], v[2:3], v[10:11]
	v_cmpx_ne_u32_e32 3, v1
	s_cbranch_execz .LBB126_54
; %bb.49:
	scratch_load_b128 v[8:11], v15, off offset:80
	ds_load_b128 v[16:19], v6 offset:80
	s_wait_loadcnt_dscnt 0x0
	v_mul_f64_e32 v[12:13], v[18:19], v[10:11]
	v_mul_f64_e32 v[10:11], v[16:17], v[10:11]
	s_delay_alu instid0(VALU_DEP_2) | instskip(NEXT) | instid1(VALU_DEP_2)
	v_fma_f64 v[12:13], v[16:17], v[8:9], -v[12:13]
	v_fmac_f64_e32 v[10:11], v[18:19], v[8:9]
	s_delay_alu instid0(VALU_DEP_2) | instskip(NEXT) | instid1(VALU_DEP_2)
	v_add_f64_e32 v[4:5], v[4:5], v[12:13]
	v_add_f64_e32 v[2:3], v[2:3], v[10:11]
	s_and_saveexec_b32 s3, vcc_lo
	s_cbranch_execz .LBB126_53
; %bb.50:
	scratch_load_b128 v[8:11], v15, off offset:96
	ds_load_b128 v[16:19], v6 offset:96
	s_wait_loadcnt_dscnt 0x0
	v_mul_f64_e32 v[12:13], v[18:19], v[10:11]
	v_mul_f64_e32 v[10:11], v[16:17], v[10:11]
	s_delay_alu instid0(VALU_DEP_2) | instskip(NEXT) | instid1(VALU_DEP_2)
	v_fma_f64 v[12:13], v[16:17], v[8:9], -v[12:13]
	v_fmac_f64_e32 v[10:11], v[18:19], v[8:9]
	s_delay_alu instid0(VALU_DEP_2) | instskip(NEXT) | instid1(VALU_DEP_2)
	v_add_f64_e32 v[4:5], v[4:5], v[12:13]
	v_add_f64_e32 v[2:3], v[2:3], v[10:11]
	s_and_saveexec_b32 s82, s2
	s_cbranch_execz .LBB126_52
; %bb.51:
	scratch_load_b128 v[8:11], v15, off offset:112
	ds_load_b128 v[16:19], v6 offset:112
	s_wait_loadcnt_dscnt 0x0
	v_mul_f64_e32 v[12:13], v[18:19], v[10:11]
	v_mul_f64_e32 v[10:11], v[16:17], v[10:11]
	s_delay_alu instid0(VALU_DEP_2) | instskip(NEXT) | instid1(VALU_DEP_2)
	v_fma_f64 v[12:13], v[16:17], v[8:9], -v[12:13]
	v_fmac_f64_e32 v[10:11], v[18:19], v[8:9]
	s_delay_alu instid0(VALU_DEP_2) | instskip(NEXT) | instid1(VALU_DEP_2)
	v_add_f64_e32 v[4:5], v[4:5], v[12:13]
	v_add_f64_e32 v[2:3], v[2:3], v[10:11]
.LBB126_52:
	s_or_b32 exec_lo, exec_lo, s82
.LBB126_53:
	s_delay_alu instid0(SALU_CYCLE_1)
	s_or_b32 exec_lo, exec_lo, s3
.LBB126_54:
	s_delay_alu instid0(SALU_CYCLE_1)
	s_or_b32 exec_lo, exec_lo, s81
.LBB126_55:
	s_delay_alu instid0(SALU_CYCLE_1)
	s_or_b32 exec_lo, exec_lo, s4
.LBB126_56:
	s_delay_alu instid0(SALU_CYCLE_1)
	s_or_b32 exec_lo, exec_lo, s80
.LBB126_57:
	s_delay_alu instid0(SALU_CYCLE_1)
	s_or_b32 exec_lo, exec_lo, s5
.LBB126_58:
	s_delay_alu instid0(SALU_CYCLE_1)
	s_or_b32 exec_lo, exec_lo, s79
	v_mov_b32_e32 v8, 0
	ds_load_b128 v[8:11], v8 offset:128
	s_wait_dscnt 0x0
	v_mul_f64_e32 v[16:17], v[2:3], v[10:11]
	v_mul_f64_e32 v[12:13], v[4:5], v[10:11]
	s_delay_alu instid0(VALU_DEP_2) | instskip(NEXT) | instid1(VALU_DEP_2)
	v_fma_f64 v[10:11], v[4:5], v[8:9], -v[16:17]
	v_fmac_f64_e32 v[12:13], v[2:3], v[8:9]
	scratch_store_b128 off, v[10:13], off offset:128
.LBB126_59:
	s_wait_xcnt 0x0
	s_or_b32 exec_lo, exec_lo, s78
	s_wait_storecnt 0x0
	s_barrier_signal -1
	s_barrier_wait -1
	scratch_load_b128 v[2:5], off, s72
	s_mov_b32 s2, exec_lo
	s_wait_loadcnt 0x0
	ds_store_b128 v6, v[2:5]
	s_wait_dscnt 0x0
	s_barrier_signal -1
	s_barrier_wait -1
	v_cmpx_gt_u32_e32 9, v1
	s_cbranch_execz .LBB126_63
; %bb.60:
	v_dual_mov_b32 v10, v14 :: v_dual_add_nc_u32 v8, -1, v1
	v_mov_b64_e32 v[2:3], 0
	v_mov_b64_e32 v[4:5], 0
	v_add_nc_u32_e32 v9, 0x3f0, v14
	s_delay_alu instid0(VALU_DEP_4)
	v_or_b32_e32 v10, 8, v10
	s_mov_b32 s3, 0
.LBB126_61:                             ; =>This Inner Loop Header: Depth=1
	scratch_load_b128 v[16:19], v10, off offset:-8
	ds_load_b128 v[20:23], v9
	v_dual_add_nc_u32 v8, 1, v8 :: v_dual_add_nc_u32 v9, 16, v9
	s_wait_xcnt 0x0
	v_add_nc_u32_e32 v10, 16, v10
	s_delay_alu instid0(VALU_DEP_2) | instskip(SKIP_4) | instid1(VALU_DEP_2)
	v_cmp_lt_u32_e32 vcc_lo, 7, v8
	s_or_b32 s3, vcc_lo, s3
	s_wait_loadcnt_dscnt 0x0
	v_mul_f64_e32 v[12:13], v[22:23], v[18:19]
	v_mul_f64_e32 v[18:19], v[20:21], v[18:19]
	v_fma_f64 v[12:13], v[20:21], v[16:17], -v[12:13]
	s_delay_alu instid0(VALU_DEP_2) | instskip(NEXT) | instid1(VALU_DEP_2)
	v_fmac_f64_e32 v[18:19], v[22:23], v[16:17]
	v_add_f64_e32 v[4:5], v[4:5], v[12:13]
	s_delay_alu instid0(VALU_DEP_2)
	v_add_f64_e32 v[2:3], v[2:3], v[18:19]
	s_and_not1_b32 exec_lo, exec_lo, s3
	s_cbranch_execnz .LBB126_61
; %bb.62:
	s_or_b32 exec_lo, exec_lo, s3
	v_mov_b32_e32 v8, 0
	ds_load_b128 v[8:11], v8 offset:144
	s_wait_dscnt 0x0
	v_mul_f64_e32 v[16:17], v[2:3], v[10:11]
	v_mul_f64_e32 v[12:13], v[4:5], v[10:11]
	s_delay_alu instid0(VALU_DEP_2) | instskip(NEXT) | instid1(VALU_DEP_2)
	v_fma_f64 v[10:11], v[4:5], v[8:9], -v[16:17]
	v_fmac_f64_e32 v[12:13], v[2:3], v[8:9]
	scratch_store_b128 off, v[10:13], off offset:144
.LBB126_63:
	s_wait_xcnt 0x0
	s_or_b32 exec_lo, exec_lo, s2
	s_wait_storecnt 0x0
	s_barrier_signal -1
	s_barrier_wait -1
	scratch_load_b128 v[2:5], off, s71
	s_mov_b32 s2, exec_lo
	s_wait_loadcnt 0x0
	ds_store_b128 v6, v[2:5]
	s_wait_dscnt 0x0
	s_barrier_signal -1
	s_barrier_wait -1
	v_cmpx_gt_u32_e32 10, v1
	s_cbranch_execz .LBB126_67
; %bb.64:
	v_dual_mov_b32 v10, v14 :: v_dual_add_nc_u32 v8, -1, v1
	v_mov_b64_e32 v[2:3], 0
	v_mov_b64_e32 v[4:5], 0
	v_add_nc_u32_e32 v9, 0x3f0, v14
	s_delay_alu instid0(VALU_DEP_4)
	v_or_b32_e32 v10, 8, v10
	s_mov_b32 s3, 0
.LBB126_65:                             ; =>This Inner Loop Header: Depth=1
	scratch_load_b128 v[16:19], v10, off offset:-8
	ds_load_b128 v[20:23], v9
	v_dual_add_nc_u32 v8, 1, v8 :: v_dual_add_nc_u32 v9, 16, v9
	s_wait_xcnt 0x0
	v_add_nc_u32_e32 v10, 16, v10
	s_delay_alu instid0(VALU_DEP_2) | instskip(SKIP_4) | instid1(VALU_DEP_2)
	v_cmp_lt_u32_e32 vcc_lo, 8, v8
	s_or_b32 s3, vcc_lo, s3
	s_wait_loadcnt_dscnt 0x0
	v_mul_f64_e32 v[12:13], v[22:23], v[18:19]
	v_mul_f64_e32 v[18:19], v[20:21], v[18:19]
	v_fma_f64 v[12:13], v[20:21], v[16:17], -v[12:13]
	s_delay_alu instid0(VALU_DEP_2) | instskip(NEXT) | instid1(VALU_DEP_2)
	v_fmac_f64_e32 v[18:19], v[22:23], v[16:17]
	v_add_f64_e32 v[4:5], v[4:5], v[12:13]
	s_delay_alu instid0(VALU_DEP_2)
	v_add_f64_e32 v[2:3], v[2:3], v[18:19]
	s_and_not1_b32 exec_lo, exec_lo, s3
	s_cbranch_execnz .LBB126_65
; %bb.66:
	s_or_b32 exec_lo, exec_lo, s3
	v_mov_b32_e32 v8, 0
	ds_load_b128 v[8:11], v8 offset:160
	s_wait_dscnt 0x0
	v_mul_f64_e32 v[16:17], v[2:3], v[10:11]
	v_mul_f64_e32 v[12:13], v[4:5], v[10:11]
	s_delay_alu instid0(VALU_DEP_2) | instskip(NEXT) | instid1(VALU_DEP_2)
	v_fma_f64 v[10:11], v[4:5], v[8:9], -v[16:17]
	v_fmac_f64_e32 v[12:13], v[2:3], v[8:9]
	scratch_store_b128 off, v[10:13], off offset:160
.LBB126_67:
	s_wait_xcnt 0x0
	s_or_b32 exec_lo, exec_lo, s2
	s_wait_storecnt 0x0
	s_barrier_signal -1
	s_barrier_wait -1
	scratch_load_b128 v[2:5], off, s70
	s_mov_b32 s2, exec_lo
	s_wait_loadcnt 0x0
	ds_store_b128 v6, v[2:5]
	s_wait_dscnt 0x0
	s_barrier_signal -1
	s_barrier_wait -1
	v_cmpx_gt_u32_e32 11, v1
	s_cbranch_execz .LBB126_71
; %bb.68:
	v_dual_mov_b32 v10, v14 :: v_dual_add_nc_u32 v8, -1, v1
	v_mov_b64_e32 v[2:3], 0
	v_mov_b64_e32 v[4:5], 0
	v_add_nc_u32_e32 v9, 0x3f0, v14
	s_delay_alu instid0(VALU_DEP_4)
	v_or_b32_e32 v10, 8, v10
	s_mov_b32 s3, 0
.LBB126_69:                             ; =>This Inner Loop Header: Depth=1
	scratch_load_b128 v[16:19], v10, off offset:-8
	ds_load_b128 v[20:23], v9
	v_dual_add_nc_u32 v8, 1, v8 :: v_dual_add_nc_u32 v9, 16, v9
	s_wait_xcnt 0x0
	v_add_nc_u32_e32 v10, 16, v10
	s_delay_alu instid0(VALU_DEP_2) | instskip(SKIP_4) | instid1(VALU_DEP_2)
	v_cmp_lt_u32_e32 vcc_lo, 9, v8
	s_or_b32 s3, vcc_lo, s3
	s_wait_loadcnt_dscnt 0x0
	v_mul_f64_e32 v[12:13], v[22:23], v[18:19]
	v_mul_f64_e32 v[18:19], v[20:21], v[18:19]
	v_fma_f64 v[12:13], v[20:21], v[16:17], -v[12:13]
	s_delay_alu instid0(VALU_DEP_2) | instskip(NEXT) | instid1(VALU_DEP_2)
	v_fmac_f64_e32 v[18:19], v[22:23], v[16:17]
	v_add_f64_e32 v[4:5], v[4:5], v[12:13]
	s_delay_alu instid0(VALU_DEP_2)
	v_add_f64_e32 v[2:3], v[2:3], v[18:19]
	s_and_not1_b32 exec_lo, exec_lo, s3
	s_cbranch_execnz .LBB126_69
; %bb.70:
	s_or_b32 exec_lo, exec_lo, s3
	v_mov_b32_e32 v8, 0
	ds_load_b128 v[8:11], v8 offset:176
	s_wait_dscnt 0x0
	v_mul_f64_e32 v[16:17], v[2:3], v[10:11]
	v_mul_f64_e32 v[12:13], v[4:5], v[10:11]
	s_delay_alu instid0(VALU_DEP_2) | instskip(NEXT) | instid1(VALU_DEP_2)
	v_fma_f64 v[10:11], v[4:5], v[8:9], -v[16:17]
	v_fmac_f64_e32 v[12:13], v[2:3], v[8:9]
	scratch_store_b128 off, v[10:13], off offset:176
.LBB126_71:
	s_wait_xcnt 0x0
	s_or_b32 exec_lo, exec_lo, s2
	s_wait_storecnt 0x0
	s_barrier_signal -1
	s_barrier_wait -1
	scratch_load_b128 v[2:5], off, s69
	s_mov_b32 s2, exec_lo
	s_wait_loadcnt 0x0
	ds_store_b128 v6, v[2:5]
	s_wait_dscnt 0x0
	s_barrier_signal -1
	s_barrier_wait -1
	v_cmpx_gt_u32_e32 12, v1
	s_cbranch_execz .LBB126_75
; %bb.72:
	v_dual_mov_b32 v10, v14 :: v_dual_add_nc_u32 v8, -1, v1
	v_mov_b64_e32 v[2:3], 0
	v_mov_b64_e32 v[4:5], 0
	v_add_nc_u32_e32 v9, 0x3f0, v14
	s_delay_alu instid0(VALU_DEP_4)
	v_or_b32_e32 v10, 8, v10
	s_mov_b32 s3, 0
.LBB126_73:                             ; =>This Inner Loop Header: Depth=1
	scratch_load_b128 v[16:19], v10, off offset:-8
	ds_load_b128 v[20:23], v9
	v_dual_add_nc_u32 v8, 1, v8 :: v_dual_add_nc_u32 v9, 16, v9
	s_wait_xcnt 0x0
	v_add_nc_u32_e32 v10, 16, v10
	s_delay_alu instid0(VALU_DEP_2) | instskip(SKIP_4) | instid1(VALU_DEP_2)
	v_cmp_lt_u32_e32 vcc_lo, 10, v8
	s_or_b32 s3, vcc_lo, s3
	s_wait_loadcnt_dscnt 0x0
	v_mul_f64_e32 v[12:13], v[22:23], v[18:19]
	v_mul_f64_e32 v[18:19], v[20:21], v[18:19]
	v_fma_f64 v[12:13], v[20:21], v[16:17], -v[12:13]
	s_delay_alu instid0(VALU_DEP_2) | instskip(NEXT) | instid1(VALU_DEP_2)
	v_fmac_f64_e32 v[18:19], v[22:23], v[16:17]
	v_add_f64_e32 v[4:5], v[4:5], v[12:13]
	s_delay_alu instid0(VALU_DEP_2)
	v_add_f64_e32 v[2:3], v[2:3], v[18:19]
	s_and_not1_b32 exec_lo, exec_lo, s3
	s_cbranch_execnz .LBB126_73
; %bb.74:
	s_or_b32 exec_lo, exec_lo, s3
	v_mov_b32_e32 v8, 0
	ds_load_b128 v[8:11], v8 offset:192
	s_wait_dscnt 0x0
	v_mul_f64_e32 v[16:17], v[2:3], v[10:11]
	v_mul_f64_e32 v[12:13], v[4:5], v[10:11]
	s_delay_alu instid0(VALU_DEP_2) | instskip(NEXT) | instid1(VALU_DEP_2)
	v_fma_f64 v[10:11], v[4:5], v[8:9], -v[16:17]
	v_fmac_f64_e32 v[12:13], v[2:3], v[8:9]
	scratch_store_b128 off, v[10:13], off offset:192
.LBB126_75:
	s_wait_xcnt 0x0
	s_or_b32 exec_lo, exec_lo, s2
	s_wait_storecnt 0x0
	s_barrier_signal -1
	s_barrier_wait -1
	scratch_load_b128 v[2:5], off, s68
	s_mov_b32 s2, exec_lo
	s_wait_loadcnt 0x0
	ds_store_b128 v6, v[2:5]
	s_wait_dscnt 0x0
	s_barrier_signal -1
	s_barrier_wait -1
	v_cmpx_gt_u32_e32 13, v1
	s_cbranch_execz .LBB126_79
; %bb.76:
	v_dual_mov_b32 v10, v14 :: v_dual_add_nc_u32 v8, -1, v1
	v_mov_b64_e32 v[2:3], 0
	v_mov_b64_e32 v[4:5], 0
	v_add_nc_u32_e32 v9, 0x3f0, v14
	s_delay_alu instid0(VALU_DEP_4)
	v_or_b32_e32 v10, 8, v10
	s_mov_b32 s3, 0
.LBB126_77:                             ; =>This Inner Loop Header: Depth=1
	scratch_load_b128 v[16:19], v10, off offset:-8
	ds_load_b128 v[20:23], v9
	v_dual_add_nc_u32 v8, 1, v8 :: v_dual_add_nc_u32 v9, 16, v9
	s_wait_xcnt 0x0
	v_add_nc_u32_e32 v10, 16, v10
	s_delay_alu instid0(VALU_DEP_2) | instskip(SKIP_4) | instid1(VALU_DEP_2)
	v_cmp_lt_u32_e32 vcc_lo, 11, v8
	s_or_b32 s3, vcc_lo, s3
	s_wait_loadcnt_dscnt 0x0
	v_mul_f64_e32 v[12:13], v[22:23], v[18:19]
	v_mul_f64_e32 v[18:19], v[20:21], v[18:19]
	v_fma_f64 v[12:13], v[20:21], v[16:17], -v[12:13]
	s_delay_alu instid0(VALU_DEP_2) | instskip(NEXT) | instid1(VALU_DEP_2)
	v_fmac_f64_e32 v[18:19], v[22:23], v[16:17]
	v_add_f64_e32 v[4:5], v[4:5], v[12:13]
	s_delay_alu instid0(VALU_DEP_2)
	v_add_f64_e32 v[2:3], v[2:3], v[18:19]
	s_and_not1_b32 exec_lo, exec_lo, s3
	s_cbranch_execnz .LBB126_77
; %bb.78:
	s_or_b32 exec_lo, exec_lo, s3
	v_mov_b32_e32 v8, 0
	ds_load_b128 v[8:11], v8 offset:208
	s_wait_dscnt 0x0
	v_mul_f64_e32 v[16:17], v[2:3], v[10:11]
	v_mul_f64_e32 v[12:13], v[4:5], v[10:11]
	s_delay_alu instid0(VALU_DEP_2) | instskip(NEXT) | instid1(VALU_DEP_2)
	v_fma_f64 v[10:11], v[4:5], v[8:9], -v[16:17]
	v_fmac_f64_e32 v[12:13], v[2:3], v[8:9]
	scratch_store_b128 off, v[10:13], off offset:208
.LBB126_79:
	s_wait_xcnt 0x0
	s_or_b32 exec_lo, exec_lo, s2
	s_wait_storecnt 0x0
	s_barrier_signal -1
	s_barrier_wait -1
	scratch_load_b128 v[2:5], off, s67
	s_mov_b32 s2, exec_lo
	s_wait_loadcnt 0x0
	ds_store_b128 v6, v[2:5]
	s_wait_dscnt 0x0
	s_barrier_signal -1
	s_barrier_wait -1
	v_cmpx_gt_u32_e32 14, v1
	s_cbranch_execz .LBB126_83
; %bb.80:
	v_dual_mov_b32 v10, v14 :: v_dual_add_nc_u32 v8, -1, v1
	v_mov_b64_e32 v[2:3], 0
	v_mov_b64_e32 v[4:5], 0
	v_add_nc_u32_e32 v9, 0x3f0, v14
	s_delay_alu instid0(VALU_DEP_4)
	v_or_b32_e32 v10, 8, v10
	s_mov_b32 s3, 0
.LBB126_81:                             ; =>This Inner Loop Header: Depth=1
	scratch_load_b128 v[16:19], v10, off offset:-8
	ds_load_b128 v[20:23], v9
	v_dual_add_nc_u32 v8, 1, v8 :: v_dual_add_nc_u32 v9, 16, v9
	s_wait_xcnt 0x0
	v_add_nc_u32_e32 v10, 16, v10
	s_delay_alu instid0(VALU_DEP_2) | instskip(SKIP_4) | instid1(VALU_DEP_2)
	v_cmp_lt_u32_e32 vcc_lo, 12, v8
	s_or_b32 s3, vcc_lo, s3
	s_wait_loadcnt_dscnt 0x0
	v_mul_f64_e32 v[12:13], v[22:23], v[18:19]
	v_mul_f64_e32 v[18:19], v[20:21], v[18:19]
	v_fma_f64 v[12:13], v[20:21], v[16:17], -v[12:13]
	s_delay_alu instid0(VALU_DEP_2) | instskip(NEXT) | instid1(VALU_DEP_2)
	v_fmac_f64_e32 v[18:19], v[22:23], v[16:17]
	v_add_f64_e32 v[4:5], v[4:5], v[12:13]
	s_delay_alu instid0(VALU_DEP_2)
	v_add_f64_e32 v[2:3], v[2:3], v[18:19]
	s_and_not1_b32 exec_lo, exec_lo, s3
	s_cbranch_execnz .LBB126_81
; %bb.82:
	s_or_b32 exec_lo, exec_lo, s3
	v_mov_b32_e32 v8, 0
	ds_load_b128 v[8:11], v8 offset:224
	s_wait_dscnt 0x0
	v_mul_f64_e32 v[16:17], v[2:3], v[10:11]
	v_mul_f64_e32 v[12:13], v[4:5], v[10:11]
	s_delay_alu instid0(VALU_DEP_2) | instskip(NEXT) | instid1(VALU_DEP_2)
	v_fma_f64 v[10:11], v[4:5], v[8:9], -v[16:17]
	v_fmac_f64_e32 v[12:13], v[2:3], v[8:9]
	scratch_store_b128 off, v[10:13], off offset:224
.LBB126_83:
	s_wait_xcnt 0x0
	s_or_b32 exec_lo, exec_lo, s2
	s_wait_storecnt 0x0
	s_barrier_signal -1
	s_barrier_wait -1
	scratch_load_b128 v[2:5], off, s66
	s_mov_b32 s2, exec_lo
	s_wait_loadcnt 0x0
	ds_store_b128 v6, v[2:5]
	s_wait_dscnt 0x0
	s_barrier_signal -1
	s_barrier_wait -1
	v_cmpx_gt_u32_e32 15, v1
	s_cbranch_execz .LBB126_87
; %bb.84:
	v_dual_mov_b32 v10, v14 :: v_dual_add_nc_u32 v8, -1, v1
	v_mov_b64_e32 v[2:3], 0
	v_mov_b64_e32 v[4:5], 0
	v_add_nc_u32_e32 v9, 0x3f0, v14
	s_delay_alu instid0(VALU_DEP_4)
	v_or_b32_e32 v10, 8, v10
	s_mov_b32 s3, 0
.LBB126_85:                             ; =>This Inner Loop Header: Depth=1
	scratch_load_b128 v[16:19], v10, off offset:-8
	ds_load_b128 v[20:23], v9
	v_dual_add_nc_u32 v8, 1, v8 :: v_dual_add_nc_u32 v9, 16, v9
	s_wait_xcnt 0x0
	v_add_nc_u32_e32 v10, 16, v10
	s_delay_alu instid0(VALU_DEP_2) | instskip(SKIP_4) | instid1(VALU_DEP_2)
	v_cmp_lt_u32_e32 vcc_lo, 13, v8
	s_or_b32 s3, vcc_lo, s3
	s_wait_loadcnt_dscnt 0x0
	v_mul_f64_e32 v[12:13], v[22:23], v[18:19]
	v_mul_f64_e32 v[18:19], v[20:21], v[18:19]
	v_fma_f64 v[12:13], v[20:21], v[16:17], -v[12:13]
	s_delay_alu instid0(VALU_DEP_2) | instskip(NEXT) | instid1(VALU_DEP_2)
	v_fmac_f64_e32 v[18:19], v[22:23], v[16:17]
	v_add_f64_e32 v[4:5], v[4:5], v[12:13]
	s_delay_alu instid0(VALU_DEP_2)
	v_add_f64_e32 v[2:3], v[2:3], v[18:19]
	s_and_not1_b32 exec_lo, exec_lo, s3
	s_cbranch_execnz .LBB126_85
; %bb.86:
	s_or_b32 exec_lo, exec_lo, s3
	v_mov_b32_e32 v8, 0
	ds_load_b128 v[8:11], v8 offset:240
	s_wait_dscnt 0x0
	v_mul_f64_e32 v[16:17], v[2:3], v[10:11]
	v_mul_f64_e32 v[12:13], v[4:5], v[10:11]
	s_delay_alu instid0(VALU_DEP_2) | instskip(NEXT) | instid1(VALU_DEP_2)
	v_fma_f64 v[10:11], v[4:5], v[8:9], -v[16:17]
	v_fmac_f64_e32 v[12:13], v[2:3], v[8:9]
	scratch_store_b128 off, v[10:13], off offset:240
.LBB126_87:
	s_wait_xcnt 0x0
	s_or_b32 exec_lo, exec_lo, s2
	s_wait_storecnt 0x0
	s_barrier_signal -1
	s_barrier_wait -1
	scratch_load_b128 v[2:5], off, s65
	s_mov_b32 s2, exec_lo
	s_wait_loadcnt 0x0
	ds_store_b128 v6, v[2:5]
	s_wait_dscnt 0x0
	s_barrier_signal -1
	s_barrier_wait -1
	v_cmpx_gt_u32_e32 16, v1
	s_cbranch_execz .LBB126_91
; %bb.88:
	v_dual_mov_b32 v10, v14 :: v_dual_add_nc_u32 v8, -1, v1
	v_mov_b64_e32 v[2:3], 0
	v_mov_b64_e32 v[4:5], 0
	v_add_nc_u32_e32 v9, 0x3f0, v14
	s_delay_alu instid0(VALU_DEP_4)
	v_or_b32_e32 v10, 8, v10
	s_mov_b32 s3, 0
.LBB126_89:                             ; =>This Inner Loop Header: Depth=1
	scratch_load_b128 v[16:19], v10, off offset:-8
	ds_load_b128 v[20:23], v9
	v_dual_add_nc_u32 v8, 1, v8 :: v_dual_add_nc_u32 v9, 16, v9
	s_wait_xcnt 0x0
	v_add_nc_u32_e32 v10, 16, v10
	s_delay_alu instid0(VALU_DEP_2) | instskip(SKIP_4) | instid1(VALU_DEP_2)
	v_cmp_lt_u32_e32 vcc_lo, 14, v8
	s_or_b32 s3, vcc_lo, s3
	s_wait_loadcnt_dscnt 0x0
	v_mul_f64_e32 v[12:13], v[22:23], v[18:19]
	v_mul_f64_e32 v[18:19], v[20:21], v[18:19]
	v_fma_f64 v[12:13], v[20:21], v[16:17], -v[12:13]
	s_delay_alu instid0(VALU_DEP_2) | instskip(NEXT) | instid1(VALU_DEP_2)
	v_fmac_f64_e32 v[18:19], v[22:23], v[16:17]
	v_add_f64_e32 v[4:5], v[4:5], v[12:13]
	s_delay_alu instid0(VALU_DEP_2)
	v_add_f64_e32 v[2:3], v[2:3], v[18:19]
	s_and_not1_b32 exec_lo, exec_lo, s3
	s_cbranch_execnz .LBB126_89
; %bb.90:
	s_or_b32 exec_lo, exec_lo, s3
	v_mov_b32_e32 v8, 0
	ds_load_b128 v[8:11], v8 offset:256
	s_wait_dscnt 0x0
	v_mul_f64_e32 v[16:17], v[2:3], v[10:11]
	v_mul_f64_e32 v[12:13], v[4:5], v[10:11]
	s_delay_alu instid0(VALU_DEP_2) | instskip(NEXT) | instid1(VALU_DEP_2)
	v_fma_f64 v[10:11], v[4:5], v[8:9], -v[16:17]
	v_fmac_f64_e32 v[12:13], v[2:3], v[8:9]
	scratch_store_b128 off, v[10:13], off offset:256
.LBB126_91:
	s_wait_xcnt 0x0
	s_or_b32 exec_lo, exec_lo, s2
	s_wait_storecnt 0x0
	s_barrier_signal -1
	s_barrier_wait -1
	scratch_load_b128 v[2:5], off, s64
	s_mov_b32 s2, exec_lo
	s_wait_loadcnt 0x0
	ds_store_b128 v6, v[2:5]
	s_wait_dscnt 0x0
	s_barrier_signal -1
	s_barrier_wait -1
	v_cmpx_gt_u32_e32 17, v1
	s_cbranch_execz .LBB126_95
; %bb.92:
	v_dual_mov_b32 v10, v14 :: v_dual_add_nc_u32 v8, -1, v1
	v_mov_b64_e32 v[2:3], 0
	v_mov_b64_e32 v[4:5], 0
	v_add_nc_u32_e32 v9, 0x3f0, v14
	s_delay_alu instid0(VALU_DEP_4)
	v_or_b32_e32 v10, 8, v10
	s_mov_b32 s3, 0
.LBB126_93:                             ; =>This Inner Loop Header: Depth=1
	scratch_load_b128 v[16:19], v10, off offset:-8
	ds_load_b128 v[20:23], v9
	v_dual_add_nc_u32 v8, 1, v8 :: v_dual_add_nc_u32 v9, 16, v9
	s_wait_xcnt 0x0
	v_add_nc_u32_e32 v10, 16, v10
	s_delay_alu instid0(VALU_DEP_2) | instskip(SKIP_4) | instid1(VALU_DEP_2)
	v_cmp_lt_u32_e32 vcc_lo, 15, v8
	s_or_b32 s3, vcc_lo, s3
	s_wait_loadcnt_dscnt 0x0
	v_mul_f64_e32 v[12:13], v[22:23], v[18:19]
	v_mul_f64_e32 v[18:19], v[20:21], v[18:19]
	v_fma_f64 v[12:13], v[20:21], v[16:17], -v[12:13]
	s_delay_alu instid0(VALU_DEP_2) | instskip(NEXT) | instid1(VALU_DEP_2)
	v_fmac_f64_e32 v[18:19], v[22:23], v[16:17]
	v_add_f64_e32 v[4:5], v[4:5], v[12:13]
	s_delay_alu instid0(VALU_DEP_2)
	v_add_f64_e32 v[2:3], v[2:3], v[18:19]
	s_and_not1_b32 exec_lo, exec_lo, s3
	s_cbranch_execnz .LBB126_93
; %bb.94:
	s_or_b32 exec_lo, exec_lo, s3
	v_mov_b32_e32 v8, 0
	ds_load_b128 v[8:11], v8 offset:272
	s_wait_dscnt 0x0
	v_mul_f64_e32 v[16:17], v[2:3], v[10:11]
	v_mul_f64_e32 v[12:13], v[4:5], v[10:11]
	s_delay_alu instid0(VALU_DEP_2) | instskip(NEXT) | instid1(VALU_DEP_2)
	v_fma_f64 v[10:11], v[4:5], v[8:9], -v[16:17]
	v_fmac_f64_e32 v[12:13], v[2:3], v[8:9]
	scratch_store_b128 off, v[10:13], off offset:272
.LBB126_95:
	s_wait_xcnt 0x0
	s_or_b32 exec_lo, exec_lo, s2
	s_wait_storecnt 0x0
	s_barrier_signal -1
	s_barrier_wait -1
	scratch_load_b128 v[2:5], off, s63
	s_mov_b32 s2, exec_lo
	s_wait_loadcnt 0x0
	ds_store_b128 v6, v[2:5]
	s_wait_dscnt 0x0
	s_barrier_signal -1
	s_barrier_wait -1
	v_cmpx_gt_u32_e32 18, v1
	s_cbranch_execz .LBB126_99
; %bb.96:
	v_dual_mov_b32 v10, v14 :: v_dual_add_nc_u32 v8, -1, v1
	v_mov_b64_e32 v[2:3], 0
	v_mov_b64_e32 v[4:5], 0
	v_add_nc_u32_e32 v9, 0x3f0, v14
	s_delay_alu instid0(VALU_DEP_4)
	v_or_b32_e32 v10, 8, v10
	s_mov_b32 s3, 0
.LBB126_97:                             ; =>This Inner Loop Header: Depth=1
	scratch_load_b128 v[16:19], v10, off offset:-8
	ds_load_b128 v[20:23], v9
	v_dual_add_nc_u32 v8, 1, v8 :: v_dual_add_nc_u32 v9, 16, v9
	s_wait_xcnt 0x0
	v_add_nc_u32_e32 v10, 16, v10
	s_delay_alu instid0(VALU_DEP_2) | instskip(SKIP_4) | instid1(VALU_DEP_2)
	v_cmp_lt_u32_e32 vcc_lo, 16, v8
	s_or_b32 s3, vcc_lo, s3
	s_wait_loadcnt_dscnt 0x0
	v_mul_f64_e32 v[12:13], v[22:23], v[18:19]
	v_mul_f64_e32 v[18:19], v[20:21], v[18:19]
	v_fma_f64 v[12:13], v[20:21], v[16:17], -v[12:13]
	s_delay_alu instid0(VALU_DEP_2) | instskip(NEXT) | instid1(VALU_DEP_2)
	v_fmac_f64_e32 v[18:19], v[22:23], v[16:17]
	v_add_f64_e32 v[4:5], v[4:5], v[12:13]
	s_delay_alu instid0(VALU_DEP_2)
	v_add_f64_e32 v[2:3], v[2:3], v[18:19]
	s_and_not1_b32 exec_lo, exec_lo, s3
	s_cbranch_execnz .LBB126_97
; %bb.98:
	s_or_b32 exec_lo, exec_lo, s3
	v_mov_b32_e32 v8, 0
	ds_load_b128 v[8:11], v8 offset:288
	s_wait_dscnt 0x0
	v_mul_f64_e32 v[16:17], v[2:3], v[10:11]
	v_mul_f64_e32 v[12:13], v[4:5], v[10:11]
	s_delay_alu instid0(VALU_DEP_2) | instskip(NEXT) | instid1(VALU_DEP_2)
	v_fma_f64 v[10:11], v[4:5], v[8:9], -v[16:17]
	v_fmac_f64_e32 v[12:13], v[2:3], v[8:9]
	scratch_store_b128 off, v[10:13], off offset:288
.LBB126_99:
	s_wait_xcnt 0x0
	s_or_b32 exec_lo, exec_lo, s2
	s_wait_storecnt 0x0
	s_barrier_signal -1
	s_barrier_wait -1
	scratch_load_b128 v[2:5], off, s62
	s_mov_b32 s2, exec_lo
	s_wait_loadcnt 0x0
	ds_store_b128 v6, v[2:5]
	s_wait_dscnt 0x0
	s_barrier_signal -1
	s_barrier_wait -1
	v_cmpx_gt_u32_e32 19, v1
	s_cbranch_execz .LBB126_103
; %bb.100:
	v_dual_mov_b32 v10, v14 :: v_dual_add_nc_u32 v8, -1, v1
	v_mov_b64_e32 v[2:3], 0
	v_mov_b64_e32 v[4:5], 0
	v_add_nc_u32_e32 v9, 0x3f0, v14
	s_delay_alu instid0(VALU_DEP_4)
	v_or_b32_e32 v10, 8, v10
	s_mov_b32 s3, 0
.LBB126_101:                            ; =>This Inner Loop Header: Depth=1
	scratch_load_b128 v[16:19], v10, off offset:-8
	ds_load_b128 v[20:23], v9
	v_dual_add_nc_u32 v8, 1, v8 :: v_dual_add_nc_u32 v9, 16, v9
	s_wait_xcnt 0x0
	v_add_nc_u32_e32 v10, 16, v10
	s_delay_alu instid0(VALU_DEP_2) | instskip(SKIP_4) | instid1(VALU_DEP_2)
	v_cmp_lt_u32_e32 vcc_lo, 17, v8
	s_or_b32 s3, vcc_lo, s3
	s_wait_loadcnt_dscnt 0x0
	v_mul_f64_e32 v[12:13], v[22:23], v[18:19]
	v_mul_f64_e32 v[18:19], v[20:21], v[18:19]
	v_fma_f64 v[12:13], v[20:21], v[16:17], -v[12:13]
	s_delay_alu instid0(VALU_DEP_2) | instskip(NEXT) | instid1(VALU_DEP_2)
	v_fmac_f64_e32 v[18:19], v[22:23], v[16:17]
	v_add_f64_e32 v[4:5], v[4:5], v[12:13]
	s_delay_alu instid0(VALU_DEP_2)
	v_add_f64_e32 v[2:3], v[2:3], v[18:19]
	s_and_not1_b32 exec_lo, exec_lo, s3
	s_cbranch_execnz .LBB126_101
; %bb.102:
	s_or_b32 exec_lo, exec_lo, s3
	v_mov_b32_e32 v8, 0
	ds_load_b128 v[8:11], v8 offset:304
	s_wait_dscnt 0x0
	v_mul_f64_e32 v[16:17], v[2:3], v[10:11]
	v_mul_f64_e32 v[12:13], v[4:5], v[10:11]
	s_delay_alu instid0(VALU_DEP_2) | instskip(NEXT) | instid1(VALU_DEP_2)
	v_fma_f64 v[10:11], v[4:5], v[8:9], -v[16:17]
	v_fmac_f64_e32 v[12:13], v[2:3], v[8:9]
	scratch_store_b128 off, v[10:13], off offset:304
.LBB126_103:
	s_wait_xcnt 0x0
	s_or_b32 exec_lo, exec_lo, s2
	s_wait_storecnt 0x0
	s_barrier_signal -1
	s_barrier_wait -1
	scratch_load_b128 v[2:5], off, s61
	s_mov_b32 s2, exec_lo
	s_wait_loadcnt 0x0
	ds_store_b128 v6, v[2:5]
	s_wait_dscnt 0x0
	s_barrier_signal -1
	s_barrier_wait -1
	v_cmpx_gt_u32_e32 20, v1
	s_cbranch_execz .LBB126_107
; %bb.104:
	v_dual_mov_b32 v10, v14 :: v_dual_add_nc_u32 v8, -1, v1
	v_mov_b64_e32 v[2:3], 0
	v_mov_b64_e32 v[4:5], 0
	v_add_nc_u32_e32 v9, 0x3f0, v14
	s_delay_alu instid0(VALU_DEP_4)
	v_or_b32_e32 v10, 8, v10
	s_mov_b32 s3, 0
.LBB126_105:                            ; =>This Inner Loop Header: Depth=1
	scratch_load_b128 v[16:19], v10, off offset:-8
	ds_load_b128 v[20:23], v9
	v_dual_add_nc_u32 v8, 1, v8 :: v_dual_add_nc_u32 v9, 16, v9
	s_wait_xcnt 0x0
	v_add_nc_u32_e32 v10, 16, v10
	s_delay_alu instid0(VALU_DEP_2) | instskip(SKIP_4) | instid1(VALU_DEP_2)
	v_cmp_lt_u32_e32 vcc_lo, 18, v8
	s_or_b32 s3, vcc_lo, s3
	s_wait_loadcnt_dscnt 0x0
	v_mul_f64_e32 v[12:13], v[22:23], v[18:19]
	v_mul_f64_e32 v[18:19], v[20:21], v[18:19]
	v_fma_f64 v[12:13], v[20:21], v[16:17], -v[12:13]
	s_delay_alu instid0(VALU_DEP_2) | instskip(NEXT) | instid1(VALU_DEP_2)
	v_fmac_f64_e32 v[18:19], v[22:23], v[16:17]
	v_add_f64_e32 v[4:5], v[4:5], v[12:13]
	s_delay_alu instid0(VALU_DEP_2)
	v_add_f64_e32 v[2:3], v[2:3], v[18:19]
	s_and_not1_b32 exec_lo, exec_lo, s3
	s_cbranch_execnz .LBB126_105
; %bb.106:
	s_or_b32 exec_lo, exec_lo, s3
	v_mov_b32_e32 v8, 0
	ds_load_b128 v[8:11], v8 offset:320
	s_wait_dscnt 0x0
	v_mul_f64_e32 v[16:17], v[2:3], v[10:11]
	v_mul_f64_e32 v[12:13], v[4:5], v[10:11]
	s_delay_alu instid0(VALU_DEP_2) | instskip(NEXT) | instid1(VALU_DEP_2)
	v_fma_f64 v[10:11], v[4:5], v[8:9], -v[16:17]
	v_fmac_f64_e32 v[12:13], v[2:3], v[8:9]
	scratch_store_b128 off, v[10:13], off offset:320
.LBB126_107:
	;; [unrolled: 54-line block ×43, first 2 shown]
	s_wait_xcnt 0x0
	s_or_b32 exec_lo, exec_lo, s2
	s_wait_storecnt 0x0
	s_barrier_signal -1
	s_barrier_wait -1
	scratch_load_b128 v[2:5], off, s15
	s_mov_b32 s2, exec_lo
	s_wait_loadcnt 0x0
	ds_store_b128 v6, v[2:5]
	s_wait_dscnt 0x0
	s_barrier_signal -1
	s_barrier_wait -1
	v_cmpx_ne_u32_e32 62, v1
	s_cbranch_execz .LBB126_275
; %bb.272:
	v_mov_b32_e32 v8, v14
	v_mov_b64_e32 v[2:3], 0
	v_mov_b64_e32 v[4:5], 0
	s_mov_b32 s3, 0
	s_delay_alu instid0(VALU_DEP_3)
	v_or_b32_e32 v8, 8, v8
.LBB126_273:                            ; =>This Inner Loop Header: Depth=1
	scratch_load_b128 v[10:13], v8, off offset:-8
	ds_load_b128 v[14:17], v6
	v_dual_add_nc_u32 v7, 1, v7 :: v_dual_add_nc_u32 v6, 16, v6
	s_wait_xcnt 0x0
	v_add_nc_u32_e32 v8, 16, v8
	s_delay_alu instid0(VALU_DEP_2) | instskip(SKIP_4) | instid1(VALU_DEP_2)
	v_cmp_lt_u32_e32 vcc_lo, 60, v7
	s_or_b32 s3, vcc_lo, s3
	s_wait_loadcnt_dscnt 0x0
	v_mul_f64_e32 v[18:19], v[16:17], v[12:13]
	v_mul_f64_e32 v[12:13], v[14:15], v[12:13]
	v_fma_f64 v[14:15], v[14:15], v[10:11], -v[18:19]
	s_delay_alu instid0(VALU_DEP_2) | instskip(NEXT) | instid1(VALU_DEP_2)
	v_fmac_f64_e32 v[12:13], v[16:17], v[10:11]
	v_add_f64_e32 v[4:5], v[4:5], v[14:15]
	s_delay_alu instid0(VALU_DEP_2)
	v_add_f64_e32 v[2:3], v[2:3], v[12:13]
	s_and_not1_b32 exec_lo, exec_lo, s3
	s_cbranch_execnz .LBB126_273
; %bb.274:
	s_or_b32 exec_lo, exec_lo, s3
	v_mov_b32_e32 v6, 0
	ds_load_b128 v[6:9], v6 offset:992
	s_wait_dscnt 0x0
	v_mul_f64_e32 v[12:13], v[2:3], v[8:9]
	v_mul_f64_e32 v[10:11], v[4:5], v[8:9]
	s_delay_alu instid0(VALU_DEP_2) | instskip(NEXT) | instid1(VALU_DEP_2)
	v_fma_f64 v[8:9], v[4:5], v[6:7], -v[12:13]
	v_fmac_f64_e32 v[10:11], v[2:3], v[6:7]
	scratch_store_b128 off, v[8:11], off offset:992
.LBB126_275:
	s_wait_xcnt 0x0
	s_or_b32 exec_lo, exec_lo, s2
	s_mov_b32 s3, -1
	s_wait_storecnt 0x0
	s_barrier_signal -1
	s_barrier_wait -1
.LBB126_276:
	s_and_b32 vcc_lo, exec_lo, s3
	s_cbranch_vccz .LBB126_278
; %bb.277:
	s_wait_xcnt 0x0
	v_mov_b32_e32 v2, 0
	s_lshl_b64 s[2:3], s[12:13], 2
	s_delay_alu instid0(SALU_CYCLE_1)
	s_add_nc_u64 s[2:3], s[6:7], s[2:3]
	global_load_b32 v2, v2, s[2:3]
	s_wait_loadcnt 0x0
	v_cmp_ne_u32_e32 vcc_lo, 0, v2
	s_cbranch_vccz .LBB126_279
.LBB126_278:
	s_sendmsg sendmsg(MSG_DEALLOC_VGPRS)
	s_endpgm
.LBB126_279:
	v_lshl_add_u32 v20, v1, 4, 0x3f0
	s_wait_xcnt 0x0
	s_mov_b32 s2, exec_lo
	v_cmpx_eq_u32_e32 62, v1
	s_cbranch_execz .LBB126_281
; %bb.280:
	scratch_load_b128 v[2:5], off, s17
	v_mov_b32_e32 v6, 0
	s_delay_alu instid0(VALU_DEP_1)
	v_dual_mov_b32 v7, v6 :: v_dual_mov_b32 v8, v6
	v_mov_b32_e32 v9, v6
	scratch_store_b128 off, v[6:9], off offset:976
	s_wait_loadcnt 0x0
	ds_store_b128 v20, v[2:5]
.LBB126_281:
	s_wait_xcnt 0x0
	s_or_b32 exec_lo, exec_lo, s2
	s_wait_storecnt_dscnt 0x0
	s_barrier_signal -1
	s_barrier_wait -1
	s_clause 0x1
	scratch_load_b128 v[4:7], off, off offset:992
	scratch_load_b128 v[8:11], off, off offset:976
	v_mov_b32_e32 v2, 0
	s_mov_b32 s2, exec_lo
	ds_load_b128 v[12:15], v2 offset:2000
	s_wait_loadcnt_dscnt 0x100
	v_mul_f64_e32 v[16:17], v[14:15], v[6:7]
	v_mul_f64_e32 v[6:7], v[12:13], v[6:7]
	s_delay_alu instid0(VALU_DEP_2) | instskip(NEXT) | instid1(VALU_DEP_2)
	v_fma_f64 v[12:13], v[12:13], v[4:5], -v[16:17]
	v_fmac_f64_e32 v[6:7], v[14:15], v[4:5]
	s_delay_alu instid0(VALU_DEP_2) | instskip(NEXT) | instid1(VALU_DEP_2)
	v_add_f64_e32 v[4:5], 0, v[12:13]
	v_add_f64_e32 v[6:7], 0, v[6:7]
	s_wait_loadcnt 0x0
	s_delay_alu instid0(VALU_DEP_2) | instskip(NEXT) | instid1(VALU_DEP_2)
	v_add_f64_e64 v[4:5], v[8:9], -v[4:5]
	v_add_f64_e64 v[6:7], v[10:11], -v[6:7]
	scratch_store_b128 off, v[4:7], off offset:976
	s_wait_xcnt 0x0
	v_cmpx_lt_u32_e32 60, v1
	s_cbranch_execz .LBB126_283
; %bb.282:
	scratch_load_b128 v[6:9], off, s19
	v_dual_mov_b32 v3, v2 :: v_dual_mov_b32 v4, v2
	v_mov_b32_e32 v5, v2
	scratch_store_b128 off, v[2:5], off offset:960
	s_wait_loadcnt 0x0
	ds_store_b128 v20, v[6:9]
.LBB126_283:
	s_wait_xcnt 0x0
	s_or_b32 exec_lo, exec_lo, s2
	s_wait_storecnt_dscnt 0x0
	s_barrier_signal -1
	s_barrier_wait -1
	s_clause 0x2
	scratch_load_b128 v[4:7], off, off offset:976
	scratch_load_b128 v[8:11], off, off offset:992
	;; [unrolled: 1-line block ×3, first 2 shown]
	ds_load_b128 v[16:19], v2 offset:1984
	ds_load_b128 v[22:25], v2 offset:2000
	s_mov_b32 s2, exec_lo
	s_wait_loadcnt_dscnt 0x201
	v_mul_f64_e32 v[2:3], v[18:19], v[6:7]
	v_mul_f64_e32 v[6:7], v[16:17], v[6:7]
	s_wait_loadcnt_dscnt 0x100
	v_mul_f64_e32 v[26:27], v[22:23], v[10:11]
	v_mul_f64_e32 v[10:11], v[24:25], v[10:11]
	s_delay_alu instid0(VALU_DEP_4) | instskip(NEXT) | instid1(VALU_DEP_4)
	v_fma_f64 v[2:3], v[16:17], v[4:5], -v[2:3]
	v_fmac_f64_e32 v[6:7], v[18:19], v[4:5]
	s_delay_alu instid0(VALU_DEP_4) | instskip(NEXT) | instid1(VALU_DEP_4)
	v_fmac_f64_e32 v[26:27], v[24:25], v[8:9]
	v_fma_f64 v[4:5], v[22:23], v[8:9], -v[10:11]
	s_delay_alu instid0(VALU_DEP_4) | instskip(NEXT) | instid1(VALU_DEP_4)
	v_add_f64_e32 v[2:3], 0, v[2:3]
	v_add_f64_e32 v[6:7], 0, v[6:7]
	s_delay_alu instid0(VALU_DEP_2) | instskip(NEXT) | instid1(VALU_DEP_2)
	v_add_f64_e32 v[2:3], v[2:3], v[4:5]
	v_add_f64_e32 v[4:5], v[6:7], v[26:27]
	s_wait_loadcnt 0x0
	s_delay_alu instid0(VALU_DEP_2) | instskip(NEXT) | instid1(VALU_DEP_2)
	v_add_f64_e64 v[2:3], v[12:13], -v[2:3]
	v_add_f64_e64 v[4:5], v[14:15], -v[4:5]
	scratch_store_b128 off, v[2:5], off offset:960
	s_wait_xcnt 0x0
	v_cmpx_lt_u32_e32 59, v1
	s_cbranch_execz .LBB126_285
; %bb.284:
	scratch_load_b128 v[2:5], off, s21
	v_mov_b32_e32 v6, 0
	s_delay_alu instid0(VALU_DEP_1)
	v_dual_mov_b32 v7, v6 :: v_dual_mov_b32 v8, v6
	v_mov_b32_e32 v9, v6
	scratch_store_b128 off, v[6:9], off offset:944
	s_wait_loadcnt 0x0
	ds_store_b128 v20, v[2:5]
.LBB126_285:
	s_wait_xcnt 0x0
	s_or_b32 exec_lo, exec_lo, s2
	s_wait_storecnt_dscnt 0x0
	s_barrier_signal -1
	s_barrier_wait -1
	s_clause 0x3
	scratch_load_b128 v[4:7], off, off offset:960
	scratch_load_b128 v[8:11], off, off offset:976
	;; [unrolled: 1-line block ×4, first 2 shown]
	v_mov_b32_e32 v2, 0
	ds_load_b128 v[22:25], v2 offset:1968
	ds_load_b128 v[26:29], v2 offset:1984
	s_mov_b32 s2, exec_lo
	s_wait_loadcnt_dscnt 0x301
	v_mul_f64_e32 v[30:31], v[24:25], v[6:7]
	v_mul_f64_e32 v[158:159], v[22:23], v[6:7]
	s_wait_loadcnt_dscnt 0x200
	v_mul_f64_e32 v[160:161], v[26:27], v[10:11]
	v_mul_f64_e32 v[10:11], v[28:29], v[10:11]
	s_delay_alu instid0(VALU_DEP_4) | instskip(NEXT) | instid1(VALU_DEP_4)
	v_fma_f64 v[22:23], v[22:23], v[4:5], -v[30:31]
	v_fmac_f64_e32 v[158:159], v[24:25], v[4:5]
	ds_load_b128 v[4:7], v2 offset:2000
	v_fmac_f64_e32 v[160:161], v[28:29], v[8:9]
	v_fma_f64 v[8:9], v[26:27], v[8:9], -v[10:11]
	s_wait_loadcnt_dscnt 0x100
	v_mul_f64_e32 v[24:25], v[4:5], v[14:15]
	v_mul_f64_e32 v[14:15], v[6:7], v[14:15]
	v_add_f64_e32 v[10:11], 0, v[22:23]
	v_add_f64_e32 v[22:23], 0, v[158:159]
	s_delay_alu instid0(VALU_DEP_4) | instskip(NEXT) | instid1(VALU_DEP_4)
	v_fmac_f64_e32 v[24:25], v[6:7], v[12:13]
	v_fma_f64 v[4:5], v[4:5], v[12:13], -v[14:15]
	s_delay_alu instid0(VALU_DEP_4) | instskip(NEXT) | instid1(VALU_DEP_4)
	v_add_f64_e32 v[6:7], v[10:11], v[8:9]
	v_add_f64_e32 v[8:9], v[22:23], v[160:161]
	s_delay_alu instid0(VALU_DEP_2) | instskip(NEXT) | instid1(VALU_DEP_2)
	v_add_f64_e32 v[4:5], v[6:7], v[4:5]
	v_add_f64_e32 v[6:7], v[8:9], v[24:25]
	s_wait_loadcnt 0x0
	s_delay_alu instid0(VALU_DEP_2) | instskip(NEXT) | instid1(VALU_DEP_2)
	v_add_f64_e64 v[4:5], v[16:17], -v[4:5]
	v_add_f64_e64 v[6:7], v[18:19], -v[6:7]
	scratch_store_b128 off, v[4:7], off offset:944
	s_wait_xcnt 0x0
	v_cmpx_lt_u32_e32 58, v1
	s_cbranch_execz .LBB126_287
; %bb.286:
	scratch_load_b128 v[6:9], off, s22
	v_dual_mov_b32 v3, v2 :: v_dual_mov_b32 v4, v2
	v_mov_b32_e32 v5, v2
	scratch_store_b128 off, v[2:5], off offset:928
	s_wait_loadcnt 0x0
	ds_store_b128 v20, v[6:9]
.LBB126_287:
	s_wait_xcnt 0x0
	s_or_b32 exec_lo, exec_lo, s2
	s_wait_storecnt_dscnt 0x0
	s_barrier_signal -1
	s_barrier_wait -1
	s_clause 0x4
	scratch_load_b128 v[4:7], off, off offset:944
	scratch_load_b128 v[8:11], off, off offset:960
	;; [unrolled: 1-line block ×5, first 2 shown]
	ds_load_b128 v[26:29], v2 offset:1952
	ds_load_b128 v[158:161], v2 offset:1968
	s_mov_b32 s2, exec_lo
	s_wait_loadcnt_dscnt 0x401
	v_mul_f64_e32 v[30:31], v[28:29], v[6:7]
	v_mul_f64_e32 v[162:163], v[26:27], v[6:7]
	s_wait_loadcnt_dscnt 0x300
	v_mul_f64_e32 v[164:165], v[158:159], v[10:11]
	v_mul_f64_e32 v[10:11], v[160:161], v[10:11]
	s_delay_alu instid0(VALU_DEP_4) | instskip(NEXT) | instid1(VALU_DEP_4)
	v_fma_f64 v[30:31], v[26:27], v[4:5], -v[30:31]
	v_fmac_f64_e32 v[162:163], v[28:29], v[4:5]
	ds_load_b128 v[4:7], v2 offset:1984
	ds_load_b128 v[26:29], v2 offset:2000
	v_fmac_f64_e32 v[164:165], v[160:161], v[8:9]
	v_fma_f64 v[8:9], v[158:159], v[8:9], -v[10:11]
	s_wait_loadcnt_dscnt 0x201
	v_mul_f64_e32 v[2:3], v[4:5], v[14:15]
	v_mul_f64_e32 v[14:15], v[6:7], v[14:15]
	s_wait_loadcnt_dscnt 0x100
	v_mul_f64_e32 v[158:159], v[26:27], v[18:19]
	v_mul_f64_e32 v[18:19], v[28:29], v[18:19]
	v_add_f64_e32 v[10:11], 0, v[30:31]
	v_add_f64_e32 v[30:31], 0, v[162:163]
	v_fmac_f64_e32 v[2:3], v[6:7], v[12:13]
	v_fma_f64 v[4:5], v[4:5], v[12:13], -v[14:15]
	v_fmac_f64_e32 v[158:159], v[28:29], v[16:17]
	v_add_f64_e32 v[6:7], v[10:11], v[8:9]
	v_add_f64_e32 v[8:9], v[30:31], v[164:165]
	v_fma_f64 v[10:11], v[26:27], v[16:17], -v[18:19]
	s_delay_alu instid0(VALU_DEP_3) | instskip(NEXT) | instid1(VALU_DEP_3)
	v_add_f64_e32 v[4:5], v[6:7], v[4:5]
	v_add_f64_e32 v[2:3], v[8:9], v[2:3]
	s_delay_alu instid0(VALU_DEP_2) | instskip(NEXT) | instid1(VALU_DEP_2)
	v_add_f64_e32 v[4:5], v[4:5], v[10:11]
	v_add_f64_e32 v[6:7], v[2:3], v[158:159]
	s_wait_loadcnt 0x0
	s_delay_alu instid0(VALU_DEP_2) | instskip(NEXT) | instid1(VALU_DEP_2)
	v_add_f64_e64 v[2:3], v[22:23], -v[4:5]
	v_add_f64_e64 v[4:5], v[24:25], -v[6:7]
	scratch_store_b128 off, v[2:5], off offset:928
	s_wait_xcnt 0x0
	v_cmpx_lt_u32_e32 57, v1
	s_cbranch_execz .LBB126_289
; %bb.288:
	scratch_load_b128 v[2:5], off, s23
	v_mov_b32_e32 v6, 0
	s_delay_alu instid0(VALU_DEP_1)
	v_dual_mov_b32 v7, v6 :: v_dual_mov_b32 v8, v6
	v_mov_b32_e32 v9, v6
	scratch_store_b128 off, v[6:9], off offset:912
	s_wait_loadcnt 0x0
	ds_store_b128 v20, v[2:5]
.LBB126_289:
	s_wait_xcnt 0x0
	s_or_b32 exec_lo, exec_lo, s2
	s_wait_storecnt_dscnt 0x0
	s_barrier_signal -1
	s_barrier_wait -1
	s_clause 0x5
	scratch_load_b128 v[4:7], off, off offset:928
	scratch_load_b128 v[8:11], off, off offset:944
	;; [unrolled: 1-line block ×6, first 2 shown]
	v_mov_b32_e32 v2, 0
	ds_load_b128 v[158:161], v2 offset:1936
	ds_load_b128 v[162:165], v2 offset:1952
	s_mov_b32 s2, exec_lo
	s_wait_loadcnt_dscnt 0x501
	v_mul_f64_e32 v[30:31], v[160:161], v[6:7]
	v_mul_f64_e32 v[166:167], v[158:159], v[6:7]
	s_wait_loadcnt_dscnt 0x400
	v_mul_f64_e32 v[168:169], v[162:163], v[10:11]
	v_mul_f64_e32 v[10:11], v[164:165], v[10:11]
	s_delay_alu instid0(VALU_DEP_4) | instskip(NEXT) | instid1(VALU_DEP_4)
	v_fma_f64 v[30:31], v[158:159], v[4:5], -v[30:31]
	v_fmac_f64_e32 v[166:167], v[160:161], v[4:5]
	ds_load_b128 v[4:7], v2 offset:1968
	ds_load_b128 v[158:161], v2 offset:1984
	v_fmac_f64_e32 v[168:169], v[164:165], v[8:9]
	v_fma_f64 v[8:9], v[162:163], v[8:9], -v[10:11]
	s_wait_loadcnt_dscnt 0x301
	v_mul_f64_e32 v[170:171], v[4:5], v[14:15]
	v_mul_f64_e32 v[14:15], v[6:7], v[14:15]
	s_wait_loadcnt_dscnt 0x200
	v_mul_f64_e32 v[162:163], v[158:159], v[18:19]
	v_mul_f64_e32 v[18:19], v[160:161], v[18:19]
	v_add_f64_e32 v[10:11], 0, v[30:31]
	v_add_f64_e32 v[30:31], 0, v[166:167]
	v_fmac_f64_e32 v[170:171], v[6:7], v[12:13]
	v_fma_f64 v[12:13], v[4:5], v[12:13], -v[14:15]
	ds_load_b128 v[4:7], v2 offset:2000
	v_fmac_f64_e32 v[162:163], v[160:161], v[16:17]
	v_fma_f64 v[16:17], v[158:159], v[16:17], -v[18:19]
	v_add_f64_e32 v[8:9], v[10:11], v[8:9]
	v_add_f64_e32 v[10:11], v[30:31], v[168:169]
	s_wait_loadcnt_dscnt 0x100
	v_mul_f64_e32 v[14:15], v[4:5], v[24:25]
	v_mul_f64_e32 v[24:25], v[6:7], v[24:25]
	s_delay_alu instid0(VALU_DEP_4) | instskip(NEXT) | instid1(VALU_DEP_4)
	v_add_f64_e32 v[8:9], v[8:9], v[12:13]
	v_add_f64_e32 v[10:11], v[10:11], v[170:171]
	s_delay_alu instid0(VALU_DEP_4) | instskip(NEXT) | instid1(VALU_DEP_4)
	v_fmac_f64_e32 v[14:15], v[6:7], v[22:23]
	v_fma_f64 v[4:5], v[4:5], v[22:23], -v[24:25]
	s_delay_alu instid0(VALU_DEP_4) | instskip(NEXT) | instid1(VALU_DEP_4)
	v_add_f64_e32 v[6:7], v[8:9], v[16:17]
	v_add_f64_e32 v[8:9], v[10:11], v[162:163]
	s_delay_alu instid0(VALU_DEP_2) | instskip(NEXT) | instid1(VALU_DEP_2)
	v_add_f64_e32 v[4:5], v[6:7], v[4:5]
	v_add_f64_e32 v[6:7], v[8:9], v[14:15]
	s_wait_loadcnt 0x0
	s_delay_alu instid0(VALU_DEP_2) | instskip(NEXT) | instid1(VALU_DEP_2)
	v_add_f64_e64 v[4:5], v[26:27], -v[4:5]
	v_add_f64_e64 v[6:7], v[28:29], -v[6:7]
	scratch_store_b128 off, v[4:7], off offset:912
	s_wait_xcnt 0x0
	v_cmpx_lt_u32_e32 56, v1
	s_cbranch_execz .LBB126_291
; %bb.290:
	scratch_load_b128 v[6:9], off, s24
	v_dual_mov_b32 v3, v2 :: v_dual_mov_b32 v4, v2
	v_mov_b32_e32 v5, v2
	scratch_store_b128 off, v[2:5], off offset:896
	s_wait_loadcnt 0x0
	ds_store_b128 v20, v[6:9]
.LBB126_291:
	s_wait_xcnt 0x0
	s_or_b32 exec_lo, exec_lo, s2
	s_wait_storecnt_dscnt 0x0
	s_barrier_signal -1
	s_barrier_wait -1
	s_clause 0x6
	scratch_load_b128 v[4:7], off, off offset:912
	scratch_load_b128 v[8:11], off, off offset:928
	;; [unrolled: 1-line block ×7, first 2 shown]
	ds_load_b128 v[162:165], v2 offset:1920
	ds_load_b128 v[166:169], v2 offset:1936
	s_mov_b32 s2, exec_lo
	s_wait_loadcnt_dscnt 0x601
	v_mul_f64_e32 v[30:31], v[164:165], v[6:7]
	v_mul_f64_e32 v[170:171], v[162:163], v[6:7]
	s_wait_loadcnt_dscnt 0x500
	v_mul_f64_e32 v[172:173], v[166:167], v[10:11]
	v_mul_f64_e32 v[10:11], v[168:169], v[10:11]
	s_delay_alu instid0(VALU_DEP_4) | instskip(NEXT) | instid1(VALU_DEP_4)
	v_fma_f64 v[30:31], v[162:163], v[4:5], -v[30:31]
	v_fmac_f64_e32 v[170:171], v[164:165], v[4:5]
	ds_load_b128 v[4:7], v2 offset:1952
	ds_load_b128 v[162:165], v2 offset:1968
	v_fmac_f64_e32 v[172:173], v[168:169], v[8:9]
	v_fma_f64 v[8:9], v[166:167], v[8:9], -v[10:11]
	s_wait_loadcnt_dscnt 0x401
	v_mul_f64_e32 v[174:175], v[4:5], v[14:15]
	v_mul_f64_e32 v[14:15], v[6:7], v[14:15]
	s_wait_loadcnt_dscnt 0x300
	v_mul_f64_e32 v[166:167], v[162:163], v[18:19]
	v_mul_f64_e32 v[18:19], v[164:165], v[18:19]
	v_add_f64_e32 v[10:11], 0, v[30:31]
	v_add_f64_e32 v[30:31], 0, v[170:171]
	v_fmac_f64_e32 v[174:175], v[6:7], v[12:13]
	v_fma_f64 v[12:13], v[4:5], v[12:13], -v[14:15]
	v_fmac_f64_e32 v[166:167], v[164:165], v[16:17]
	v_fma_f64 v[16:17], v[162:163], v[16:17], -v[18:19]
	v_add_f64_e32 v[14:15], v[10:11], v[8:9]
	v_add_f64_e32 v[30:31], v[30:31], v[172:173]
	ds_load_b128 v[4:7], v2 offset:1984
	ds_load_b128 v[8:11], v2 offset:2000
	s_wait_loadcnt_dscnt 0x201
	v_mul_f64_e32 v[2:3], v[4:5], v[24:25]
	v_mul_f64_e32 v[24:25], v[6:7], v[24:25]
	s_wait_loadcnt_dscnt 0x100
	v_mul_f64_e32 v[18:19], v[8:9], v[28:29]
	v_mul_f64_e32 v[28:29], v[10:11], v[28:29]
	v_add_f64_e32 v[12:13], v[14:15], v[12:13]
	v_add_f64_e32 v[14:15], v[30:31], v[174:175]
	v_fmac_f64_e32 v[2:3], v[6:7], v[22:23]
	v_fma_f64 v[4:5], v[4:5], v[22:23], -v[24:25]
	v_fmac_f64_e32 v[18:19], v[10:11], v[26:27]
	v_fma_f64 v[8:9], v[8:9], v[26:27], -v[28:29]
	v_add_f64_e32 v[6:7], v[12:13], v[16:17]
	v_add_f64_e32 v[12:13], v[14:15], v[166:167]
	s_delay_alu instid0(VALU_DEP_2) | instskip(NEXT) | instid1(VALU_DEP_2)
	v_add_f64_e32 v[4:5], v[6:7], v[4:5]
	v_add_f64_e32 v[2:3], v[12:13], v[2:3]
	s_delay_alu instid0(VALU_DEP_2) | instskip(NEXT) | instid1(VALU_DEP_2)
	v_add_f64_e32 v[4:5], v[4:5], v[8:9]
	v_add_f64_e32 v[6:7], v[2:3], v[18:19]
	s_wait_loadcnt 0x0
	s_delay_alu instid0(VALU_DEP_2) | instskip(NEXT) | instid1(VALU_DEP_2)
	v_add_f64_e64 v[2:3], v[158:159], -v[4:5]
	v_add_f64_e64 v[4:5], v[160:161], -v[6:7]
	scratch_store_b128 off, v[2:5], off offset:896
	s_wait_xcnt 0x0
	v_cmpx_lt_u32_e32 55, v1
	s_cbranch_execz .LBB126_293
; %bb.292:
	scratch_load_b128 v[2:5], off, s25
	v_mov_b32_e32 v6, 0
	s_delay_alu instid0(VALU_DEP_1)
	v_dual_mov_b32 v7, v6 :: v_dual_mov_b32 v8, v6
	v_mov_b32_e32 v9, v6
	scratch_store_b128 off, v[6:9], off offset:880
	s_wait_loadcnt 0x0
	ds_store_b128 v20, v[2:5]
.LBB126_293:
	s_wait_xcnt 0x0
	s_or_b32 exec_lo, exec_lo, s2
	s_wait_storecnt_dscnt 0x0
	s_barrier_signal -1
	s_barrier_wait -1
	s_clause 0x7
	scratch_load_b128 v[4:7], off, off offset:896
	scratch_load_b128 v[8:11], off, off offset:912
	;; [unrolled: 1-line block ×8, first 2 shown]
	v_mov_b32_e32 v2, 0
	ds_load_b128 v[166:169], v2 offset:1904
	ds_load_b128 v[170:173], v2 offset:1920
	s_mov_b32 s2, exec_lo
	s_wait_loadcnt_dscnt 0x701
	v_mul_f64_e32 v[30:31], v[168:169], v[6:7]
	v_mul_f64_e32 v[174:175], v[166:167], v[6:7]
	s_wait_loadcnt_dscnt 0x600
	v_mul_f64_e32 v[176:177], v[170:171], v[10:11]
	v_mul_f64_e32 v[10:11], v[172:173], v[10:11]
	s_delay_alu instid0(VALU_DEP_4) | instskip(NEXT) | instid1(VALU_DEP_4)
	v_fma_f64 v[30:31], v[166:167], v[4:5], -v[30:31]
	v_fmac_f64_e32 v[174:175], v[168:169], v[4:5]
	ds_load_b128 v[4:7], v2 offset:1936
	ds_load_b128 v[166:169], v2 offset:1952
	v_fmac_f64_e32 v[176:177], v[172:173], v[8:9]
	v_fma_f64 v[8:9], v[170:171], v[8:9], -v[10:11]
	s_wait_loadcnt_dscnt 0x501
	v_mul_f64_e32 v[178:179], v[4:5], v[14:15]
	v_mul_f64_e32 v[14:15], v[6:7], v[14:15]
	s_wait_loadcnt_dscnt 0x400
	v_mul_f64_e32 v[170:171], v[166:167], v[18:19]
	v_mul_f64_e32 v[18:19], v[168:169], v[18:19]
	v_add_f64_e32 v[10:11], 0, v[30:31]
	v_add_f64_e32 v[30:31], 0, v[174:175]
	v_fmac_f64_e32 v[178:179], v[6:7], v[12:13]
	v_fma_f64 v[12:13], v[4:5], v[12:13], -v[14:15]
	v_fmac_f64_e32 v[170:171], v[168:169], v[16:17]
	v_fma_f64 v[16:17], v[166:167], v[16:17], -v[18:19]
	v_add_f64_e32 v[14:15], v[10:11], v[8:9]
	v_add_f64_e32 v[30:31], v[30:31], v[176:177]
	ds_load_b128 v[4:7], v2 offset:1968
	ds_load_b128 v[8:11], v2 offset:1984
	s_wait_loadcnt_dscnt 0x301
	v_mul_f64_e32 v[172:173], v[4:5], v[24:25]
	v_mul_f64_e32 v[24:25], v[6:7], v[24:25]
	s_wait_loadcnt_dscnt 0x200
	v_mul_f64_e32 v[18:19], v[8:9], v[28:29]
	v_mul_f64_e32 v[28:29], v[10:11], v[28:29]
	v_add_f64_e32 v[12:13], v[14:15], v[12:13]
	v_add_f64_e32 v[14:15], v[30:31], v[178:179]
	v_fmac_f64_e32 v[172:173], v[6:7], v[22:23]
	v_fma_f64 v[22:23], v[4:5], v[22:23], -v[24:25]
	ds_load_b128 v[4:7], v2 offset:2000
	v_fmac_f64_e32 v[18:19], v[10:11], v[26:27]
	v_fma_f64 v[8:9], v[8:9], v[26:27], -v[28:29]
	v_add_f64_e32 v[12:13], v[12:13], v[16:17]
	v_add_f64_e32 v[14:15], v[14:15], v[170:171]
	s_wait_loadcnt_dscnt 0x100
	v_mul_f64_e32 v[16:17], v[4:5], v[160:161]
	v_mul_f64_e32 v[24:25], v[6:7], v[160:161]
	s_delay_alu instid0(VALU_DEP_4) | instskip(NEXT) | instid1(VALU_DEP_4)
	v_add_f64_e32 v[10:11], v[12:13], v[22:23]
	v_add_f64_e32 v[12:13], v[14:15], v[172:173]
	s_delay_alu instid0(VALU_DEP_4) | instskip(NEXT) | instid1(VALU_DEP_4)
	v_fmac_f64_e32 v[16:17], v[6:7], v[158:159]
	v_fma_f64 v[4:5], v[4:5], v[158:159], -v[24:25]
	s_delay_alu instid0(VALU_DEP_4) | instskip(NEXT) | instid1(VALU_DEP_4)
	v_add_f64_e32 v[6:7], v[10:11], v[8:9]
	v_add_f64_e32 v[8:9], v[12:13], v[18:19]
	s_delay_alu instid0(VALU_DEP_2) | instskip(NEXT) | instid1(VALU_DEP_2)
	v_add_f64_e32 v[4:5], v[6:7], v[4:5]
	v_add_f64_e32 v[6:7], v[8:9], v[16:17]
	s_wait_loadcnt 0x0
	s_delay_alu instid0(VALU_DEP_2) | instskip(NEXT) | instid1(VALU_DEP_2)
	v_add_f64_e64 v[4:5], v[162:163], -v[4:5]
	v_add_f64_e64 v[6:7], v[164:165], -v[6:7]
	scratch_store_b128 off, v[4:7], off offset:880
	s_wait_xcnt 0x0
	v_cmpx_lt_u32_e32 54, v1
	s_cbranch_execz .LBB126_295
; %bb.294:
	scratch_load_b128 v[6:9], off, s26
	v_dual_mov_b32 v3, v2 :: v_dual_mov_b32 v4, v2
	v_mov_b32_e32 v5, v2
	scratch_store_b128 off, v[2:5], off offset:864
	s_wait_loadcnt 0x0
	ds_store_b128 v20, v[6:9]
.LBB126_295:
	s_wait_xcnt 0x0
	s_or_b32 exec_lo, exec_lo, s2
	s_wait_storecnt_dscnt 0x0
	s_barrier_signal -1
	s_barrier_wait -1
	s_clause 0x7
	scratch_load_b128 v[4:7], off, off offset:880
	scratch_load_b128 v[8:11], off, off offset:896
	scratch_load_b128 v[12:15], off, off offset:912
	scratch_load_b128 v[16:19], off, off offset:928
	scratch_load_b128 v[22:25], off, off offset:944
	scratch_load_b128 v[26:29], off, off offset:960
	scratch_load_b128 v[158:161], off, off offset:976
	scratch_load_b128 v[162:165], off, off offset:992
	ds_load_b128 v[166:169], v2 offset:1888
	ds_load_b128 v[170:173], v2 offset:1904
	scratch_load_b128 v[174:177], off, off offset:864
	s_mov_b32 s2, exec_lo
	s_wait_loadcnt_dscnt 0x801
	v_mul_f64_e32 v[30:31], v[168:169], v[6:7]
	v_mul_f64_e32 v[178:179], v[166:167], v[6:7]
	s_wait_loadcnt_dscnt 0x700
	v_mul_f64_e32 v[180:181], v[170:171], v[10:11]
	v_mul_f64_e32 v[10:11], v[172:173], v[10:11]
	s_delay_alu instid0(VALU_DEP_4) | instskip(NEXT) | instid1(VALU_DEP_4)
	v_fma_f64 v[30:31], v[166:167], v[4:5], -v[30:31]
	v_fmac_f64_e32 v[178:179], v[168:169], v[4:5]
	ds_load_b128 v[4:7], v2 offset:1920
	ds_load_b128 v[166:169], v2 offset:1936
	v_fmac_f64_e32 v[180:181], v[172:173], v[8:9]
	v_fma_f64 v[8:9], v[170:171], v[8:9], -v[10:11]
	s_wait_loadcnt_dscnt 0x601
	v_mul_f64_e32 v[182:183], v[4:5], v[14:15]
	v_mul_f64_e32 v[14:15], v[6:7], v[14:15]
	s_wait_loadcnt_dscnt 0x500
	v_mul_f64_e32 v[170:171], v[166:167], v[18:19]
	v_mul_f64_e32 v[18:19], v[168:169], v[18:19]
	v_add_f64_e32 v[10:11], 0, v[30:31]
	v_add_f64_e32 v[30:31], 0, v[178:179]
	v_fmac_f64_e32 v[182:183], v[6:7], v[12:13]
	v_fma_f64 v[12:13], v[4:5], v[12:13], -v[14:15]
	v_fmac_f64_e32 v[170:171], v[168:169], v[16:17]
	v_fma_f64 v[16:17], v[166:167], v[16:17], -v[18:19]
	v_add_f64_e32 v[14:15], v[10:11], v[8:9]
	v_add_f64_e32 v[30:31], v[30:31], v[180:181]
	ds_load_b128 v[4:7], v2 offset:1952
	ds_load_b128 v[8:11], v2 offset:1968
	s_wait_loadcnt_dscnt 0x401
	v_mul_f64_e32 v[172:173], v[4:5], v[24:25]
	v_mul_f64_e32 v[24:25], v[6:7], v[24:25]
	s_wait_loadcnt_dscnt 0x300
	v_mul_f64_e32 v[18:19], v[8:9], v[28:29]
	v_mul_f64_e32 v[28:29], v[10:11], v[28:29]
	v_add_f64_e32 v[12:13], v[14:15], v[12:13]
	v_add_f64_e32 v[14:15], v[30:31], v[182:183]
	v_fmac_f64_e32 v[172:173], v[6:7], v[22:23]
	v_fma_f64 v[22:23], v[4:5], v[22:23], -v[24:25]
	v_fmac_f64_e32 v[18:19], v[10:11], v[26:27]
	v_fma_f64 v[8:9], v[8:9], v[26:27], -v[28:29]
	v_add_f64_e32 v[16:17], v[12:13], v[16:17]
	v_add_f64_e32 v[24:25], v[14:15], v[170:171]
	ds_load_b128 v[4:7], v2 offset:1984
	ds_load_b128 v[12:15], v2 offset:2000
	s_wait_loadcnt_dscnt 0x201
	v_mul_f64_e32 v[2:3], v[4:5], v[160:161]
	v_mul_f64_e32 v[30:31], v[6:7], v[160:161]
	v_add_f64_e32 v[10:11], v[16:17], v[22:23]
	v_add_f64_e32 v[16:17], v[24:25], v[172:173]
	s_wait_loadcnt_dscnt 0x100
	v_mul_f64_e32 v[22:23], v[12:13], v[164:165]
	v_mul_f64_e32 v[24:25], v[14:15], v[164:165]
	v_fmac_f64_e32 v[2:3], v[6:7], v[158:159]
	v_fma_f64 v[4:5], v[4:5], v[158:159], -v[30:31]
	v_add_f64_e32 v[6:7], v[10:11], v[8:9]
	v_add_f64_e32 v[8:9], v[16:17], v[18:19]
	v_fmac_f64_e32 v[22:23], v[14:15], v[162:163]
	v_fma_f64 v[10:11], v[12:13], v[162:163], -v[24:25]
	s_delay_alu instid0(VALU_DEP_4) | instskip(NEXT) | instid1(VALU_DEP_4)
	v_add_f64_e32 v[4:5], v[6:7], v[4:5]
	v_add_f64_e32 v[2:3], v[8:9], v[2:3]
	s_delay_alu instid0(VALU_DEP_2) | instskip(NEXT) | instid1(VALU_DEP_2)
	v_add_f64_e32 v[4:5], v[4:5], v[10:11]
	v_add_f64_e32 v[6:7], v[2:3], v[22:23]
	s_wait_loadcnt 0x0
	s_delay_alu instid0(VALU_DEP_2) | instskip(NEXT) | instid1(VALU_DEP_2)
	v_add_f64_e64 v[2:3], v[174:175], -v[4:5]
	v_add_f64_e64 v[4:5], v[176:177], -v[6:7]
	scratch_store_b128 off, v[2:5], off offset:864
	s_wait_xcnt 0x0
	v_cmpx_lt_u32_e32 53, v1
	s_cbranch_execz .LBB126_297
; %bb.296:
	scratch_load_b128 v[2:5], off, s27
	v_mov_b32_e32 v6, 0
	s_delay_alu instid0(VALU_DEP_1)
	v_dual_mov_b32 v7, v6 :: v_dual_mov_b32 v8, v6
	v_mov_b32_e32 v9, v6
	scratch_store_b128 off, v[6:9], off offset:848
	s_wait_loadcnt 0x0
	ds_store_b128 v20, v[2:5]
.LBB126_297:
	s_wait_xcnt 0x0
	s_or_b32 exec_lo, exec_lo, s2
	s_wait_storecnt_dscnt 0x0
	s_barrier_signal -1
	s_barrier_wait -1
	s_clause 0x8
	scratch_load_b128 v[4:7], off, off offset:864
	scratch_load_b128 v[8:11], off, off offset:880
	scratch_load_b128 v[12:15], off, off offset:896
	scratch_load_b128 v[16:19], off, off offset:912
	scratch_load_b128 v[22:25], off, off offset:928
	scratch_load_b128 v[26:29], off, off offset:944
	scratch_load_b128 v[158:161], off, off offset:960
	scratch_load_b128 v[162:165], off, off offset:976
	scratch_load_b128 v[166:169], off, off offset:992
	v_mov_b32_e32 v2, 0
	scratch_load_b128 v[174:177], off, off offset:848
	s_mov_b32 s2, exec_lo
	ds_load_b128 v[170:173], v2 offset:1872
	ds_load_b128 v[178:181], v2 offset:1888
	s_wait_loadcnt_dscnt 0x901
	v_mul_f64_e32 v[30:31], v[172:173], v[6:7]
	v_mul_f64_e32 v[182:183], v[170:171], v[6:7]
	s_wait_loadcnt_dscnt 0x800
	v_mul_f64_e32 v[184:185], v[178:179], v[10:11]
	v_mul_f64_e32 v[10:11], v[180:181], v[10:11]
	s_delay_alu instid0(VALU_DEP_4) | instskip(NEXT) | instid1(VALU_DEP_4)
	v_fma_f64 v[30:31], v[170:171], v[4:5], -v[30:31]
	v_fmac_f64_e32 v[182:183], v[172:173], v[4:5]
	ds_load_b128 v[4:7], v2 offset:1904
	ds_load_b128 v[170:173], v2 offset:1920
	v_fmac_f64_e32 v[184:185], v[180:181], v[8:9]
	v_fma_f64 v[8:9], v[178:179], v[8:9], -v[10:11]
	s_wait_loadcnt_dscnt 0x701
	v_mul_f64_e32 v[186:187], v[4:5], v[14:15]
	v_mul_f64_e32 v[14:15], v[6:7], v[14:15]
	s_wait_loadcnt_dscnt 0x600
	v_mul_f64_e32 v[178:179], v[170:171], v[18:19]
	v_mul_f64_e32 v[18:19], v[172:173], v[18:19]
	v_add_f64_e32 v[10:11], 0, v[30:31]
	v_add_f64_e32 v[30:31], 0, v[182:183]
	v_fmac_f64_e32 v[186:187], v[6:7], v[12:13]
	v_fma_f64 v[12:13], v[4:5], v[12:13], -v[14:15]
	v_fmac_f64_e32 v[178:179], v[172:173], v[16:17]
	v_fma_f64 v[16:17], v[170:171], v[16:17], -v[18:19]
	v_add_f64_e32 v[14:15], v[10:11], v[8:9]
	v_add_f64_e32 v[30:31], v[30:31], v[184:185]
	ds_load_b128 v[4:7], v2 offset:1936
	ds_load_b128 v[8:11], v2 offset:1952
	s_wait_loadcnt_dscnt 0x501
	v_mul_f64_e32 v[180:181], v[4:5], v[24:25]
	v_mul_f64_e32 v[24:25], v[6:7], v[24:25]
	s_wait_loadcnt_dscnt 0x400
	v_mul_f64_e32 v[18:19], v[8:9], v[28:29]
	v_mul_f64_e32 v[28:29], v[10:11], v[28:29]
	v_add_f64_e32 v[12:13], v[14:15], v[12:13]
	v_add_f64_e32 v[14:15], v[30:31], v[186:187]
	v_fmac_f64_e32 v[180:181], v[6:7], v[22:23]
	v_fma_f64 v[22:23], v[4:5], v[22:23], -v[24:25]
	v_fmac_f64_e32 v[18:19], v[10:11], v[26:27]
	v_fma_f64 v[8:9], v[8:9], v[26:27], -v[28:29]
	v_add_f64_e32 v[16:17], v[12:13], v[16:17]
	v_add_f64_e32 v[24:25], v[14:15], v[178:179]
	ds_load_b128 v[4:7], v2 offset:1968
	ds_load_b128 v[12:15], v2 offset:1984
	s_wait_loadcnt_dscnt 0x301
	v_mul_f64_e32 v[30:31], v[4:5], v[160:161]
	v_mul_f64_e32 v[160:161], v[6:7], v[160:161]
	v_add_f64_e32 v[10:11], v[16:17], v[22:23]
	v_add_f64_e32 v[16:17], v[24:25], v[180:181]
	s_wait_loadcnt_dscnt 0x200
	v_mul_f64_e32 v[22:23], v[12:13], v[164:165]
	v_mul_f64_e32 v[24:25], v[14:15], v[164:165]
	v_fmac_f64_e32 v[30:31], v[6:7], v[158:159]
	v_fma_f64 v[26:27], v[4:5], v[158:159], -v[160:161]
	ds_load_b128 v[4:7], v2 offset:2000
	v_add_f64_e32 v[8:9], v[10:11], v[8:9]
	v_add_f64_e32 v[10:11], v[16:17], v[18:19]
	v_fmac_f64_e32 v[22:23], v[14:15], v[162:163]
	v_fma_f64 v[12:13], v[12:13], v[162:163], -v[24:25]
	s_wait_loadcnt_dscnt 0x100
	v_mul_f64_e32 v[16:17], v[4:5], v[168:169]
	v_mul_f64_e32 v[18:19], v[6:7], v[168:169]
	v_add_f64_e32 v[8:9], v[8:9], v[26:27]
	v_add_f64_e32 v[10:11], v[10:11], v[30:31]
	s_delay_alu instid0(VALU_DEP_4) | instskip(NEXT) | instid1(VALU_DEP_4)
	v_fmac_f64_e32 v[16:17], v[6:7], v[166:167]
	v_fma_f64 v[4:5], v[4:5], v[166:167], -v[18:19]
	s_delay_alu instid0(VALU_DEP_4) | instskip(NEXT) | instid1(VALU_DEP_4)
	v_add_f64_e32 v[6:7], v[8:9], v[12:13]
	v_add_f64_e32 v[8:9], v[10:11], v[22:23]
	s_delay_alu instid0(VALU_DEP_2) | instskip(NEXT) | instid1(VALU_DEP_2)
	v_add_f64_e32 v[4:5], v[6:7], v[4:5]
	v_add_f64_e32 v[6:7], v[8:9], v[16:17]
	s_wait_loadcnt 0x0
	s_delay_alu instid0(VALU_DEP_2) | instskip(NEXT) | instid1(VALU_DEP_2)
	v_add_f64_e64 v[4:5], v[174:175], -v[4:5]
	v_add_f64_e64 v[6:7], v[176:177], -v[6:7]
	scratch_store_b128 off, v[4:7], off offset:848
	s_wait_xcnt 0x0
	v_cmpx_lt_u32_e32 52, v1
	s_cbranch_execz .LBB126_299
; %bb.298:
	scratch_load_b128 v[6:9], off, s28
	v_dual_mov_b32 v3, v2 :: v_dual_mov_b32 v4, v2
	v_mov_b32_e32 v5, v2
	scratch_store_b128 off, v[2:5], off offset:832
	s_wait_loadcnt 0x0
	ds_store_b128 v20, v[6:9]
.LBB126_299:
	s_wait_xcnt 0x0
	s_or_b32 exec_lo, exec_lo, s2
	s_wait_storecnt_dscnt 0x0
	s_barrier_signal -1
	s_barrier_wait -1
	s_clause 0x9
	scratch_load_b128 v[4:7], off, off offset:848
	scratch_load_b128 v[8:11], off, off offset:864
	;; [unrolled: 1-line block ×10, first 2 shown]
	ds_load_b128 v[174:177], v2 offset:1856
	ds_load_b128 v[178:181], v2 offset:1872
	scratch_load_b128 v[182:185], off, off offset:832
	s_mov_b32 s2, exec_lo
	s_wait_loadcnt_dscnt 0xa01
	v_mul_f64_e32 v[30:31], v[176:177], v[6:7]
	v_mul_f64_e32 v[186:187], v[174:175], v[6:7]
	s_wait_loadcnt_dscnt 0x900
	v_mul_f64_e32 v[188:189], v[178:179], v[10:11]
	v_mul_f64_e32 v[10:11], v[180:181], v[10:11]
	s_delay_alu instid0(VALU_DEP_4) | instskip(NEXT) | instid1(VALU_DEP_4)
	v_fma_f64 v[30:31], v[174:175], v[4:5], -v[30:31]
	v_fmac_f64_e32 v[186:187], v[176:177], v[4:5]
	ds_load_b128 v[4:7], v2 offset:1888
	ds_load_b128 v[174:177], v2 offset:1904
	v_fmac_f64_e32 v[188:189], v[180:181], v[8:9]
	v_fma_f64 v[8:9], v[178:179], v[8:9], -v[10:11]
	s_wait_loadcnt_dscnt 0x801
	v_mul_f64_e32 v[190:191], v[4:5], v[14:15]
	v_mul_f64_e32 v[14:15], v[6:7], v[14:15]
	s_wait_loadcnt_dscnt 0x700
	v_mul_f64_e32 v[178:179], v[174:175], v[18:19]
	v_mul_f64_e32 v[18:19], v[176:177], v[18:19]
	v_add_f64_e32 v[10:11], 0, v[30:31]
	v_add_f64_e32 v[30:31], 0, v[186:187]
	v_fmac_f64_e32 v[190:191], v[6:7], v[12:13]
	v_fma_f64 v[12:13], v[4:5], v[12:13], -v[14:15]
	v_fmac_f64_e32 v[178:179], v[176:177], v[16:17]
	v_fma_f64 v[16:17], v[174:175], v[16:17], -v[18:19]
	v_add_f64_e32 v[14:15], v[10:11], v[8:9]
	v_add_f64_e32 v[30:31], v[30:31], v[188:189]
	ds_load_b128 v[4:7], v2 offset:1920
	ds_load_b128 v[8:11], v2 offset:1936
	s_wait_loadcnt_dscnt 0x601
	v_mul_f64_e32 v[180:181], v[4:5], v[24:25]
	v_mul_f64_e32 v[24:25], v[6:7], v[24:25]
	s_wait_loadcnt_dscnt 0x500
	v_mul_f64_e32 v[18:19], v[8:9], v[28:29]
	v_mul_f64_e32 v[28:29], v[10:11], v[28:29]
	v_add_f64_e32 v[12:13], v[14:15], v[12:13]
	v_add_f64_e32 v[14:15], v[30:31], v[190:191]
	v_fmac_f64_e32 v[180:181], v[6:7], v[22:23]
	v_fma_f64 v[22:23], v[4:5], v[22:23], -v[24:25]
	v_fmac_f64_e32 v[18:19], v[10:11], v[26:27]
	v_fma_f64 v[8:9], v[8:9], v[26:27], -v[28:29]
	v_add_f64_e32 v[16:17], v[12:13], v[16:17]
	v_add_f64_e32 v[24:25], v[14:15], v[178:179]
	ds_load_b128 v[4:7], v2 offset:1952
	ds_load_b128 v[12:15], v2 offset:1968
	s_wait_loadcnt_dscnt 0x401
	v_mul_f64_e32 v[30:31], v[4:5], v[160:161]
	v_mul_f64_e32 v[160:161], v[6:7], v[160:161]
	v_add_f64_e32 v[10:11], v[16:17], v[22:23]
	v_add_f64_e32 v[16:17], v[24:25], v[180:181]
	s_wait_loadcnt_dscnt 0x300
	v_mul_f64_e32 v[22:23], v[12:13], v[164:165]
	v_mul_f64_e32 v[24:25], v[14:15], v[164:165]
	v_fmac_f64_e32 v[30:31], v[6:7], v[158:159]
	v_fma_f64 v[26:27], v[4:5], v[158:159], -v[160:161]
	v_add_f64_e32 v[28:29], v[10:11], v[8:9]
	v_add_f64_e32 v[16:17], v[16:17], v[18:19]
	ds_load_b128 v[4:7], v2 offset:1984
	ds_load_b128 v[8:11], v2 offset:2000
	v_fmac_f64_e32 v[22:23], v[14:15], v[162:163]
	v_fma_f64 v[12:13], v[12:13], v[162:163], -v[24:25]
	s_wait_loadcnt_dscnt 0x201
	v_mul_f64_e32 v[2:3], v[4:5], v[168:169]
	v_mul_f64_e32 v[18:19], v[6:7], v[168:169]
	s_wait_loadcnt_dscnt 0x100
	v_mul_f64_e32 v[24:25], v[8:9], v[172:173]
	v_add_f64_e32 v[14:15], v[28:29], v[26:27]
	v_add_f64_e32 v[16:17], v[16:17], v[30:31]
	v_mul_f64_e32 v[26:27], v[10:11], v[172:173]
	v_fmac_f64_e32 v[2:3], v[6:7], v[166:167]
	v_fma_f64 v[4:5], v[4:5], v[166:167], -v[18:19]
	v_fmac_f64_e32 v[24:25], v[10:11], v[170:171]
	v_add_f64_e32 v[6:7], v[14:15], v[12:13]
	v_add_f64_e32 v[12:13], v[16:17], v[22:23]
	v_fma_f64 v[8:9], v[8:9], v[170:171], -v[26:27]
	s_delay_alu instid0(VALU_DEP_3) | instskip(NEXT) | instid1(VALU_DEP_3)
	v_add_f64_e32 v[4:5], v[6:7], v[4:5]
	v_add_f64_e32 v[2:3], v[12:13], v[2:3]
	s_delay_alu instid0(VALU_DEP_2) | instskip(NEXT) | instid1(VALU_DEP_2)
	v_add_f64_e32 v[4:5], v[4:5], v[8:9]
	v_add_f64_e32 v[6:7], v[2:3], v[24:25]
	s_wait_loadcnt 0x0
	s_delay_alu instid0(VALU_DEP_2) | instskip(NEXT) | instid1(VALU_DEP_2)
	v_add_f64_e64 v[2:3], v[182:183], -v[4:5]
	v_add_f64_e64 v[4:5], v[184:185], -v[6:7]
	scratch_store_b128 off, v[2:5], off offset:832
	s_wait_xcnt 0x0
	v_cmpx_lt_u32_e32 51, v1
	s_cbranch_execz .LBB126_301
; %bb.300:
	scratch_load_b128 v[2:5], off, s29
	v_mov_b32_e32 v6, 0
	s_delay_alu instid0(VALU_DEP_1)
	v_dual_mov_b32 v7, v6 :: v_dual_mov_b32 v8, v6
	v_mov_b32_e32 v9, v6
	scratch_store_b128 off, v[6:9], off offset:816
	s_wait_loadcnt 0x0
	ds_store_b128 v20, v[2:5]
.LBB126_301:
	s_wait_xcnt 0x0
	s_or_b32 exec_lo, exec_lo, s2
	s_wait_storecnt_dscnt 0x0
	s_barrier_signal -1
	s_barrier_wait -1
	s_clause 0x9
	scratch_load_b128 v[4:7], off, off offset:832
	scratch_load_b128 v[8:11], off, off offset:848
	;; [unrolled: 1-line block ×10, first 2 shown]
	v_mov_b32_e32 v2, 0
	s_mov_b32 s2, exec_lo
	ds_load_b128 v[174:177], v2 offset:1840
	s_clause 0x1
	scratch_load_b128 v[178:181], off, off offset:992
	scratch_load_b128 v[182:185], off, off offset:816
	s_wait_loadcnt_dscnt 0xb00
	v_mul_f64_e32 v[30:31], v[176:177], v[6:7]
	v_mul_f64_e32 v[190:191], v[174:175], v[6:7]
	ds_load_b128 v[186:189], v2 offset:1856
	s_wait_loadcnt_dscnt 0xa00
	v_mul_f64_e32 v[192:193], v[186:187], v[10:11]
	v_mul_f64_e32 v[10:11], v[188:189], v[10:11]
	v_fma_f64 v[30:31], v[174:175], v[4:5], -v[30:31]
	v_fmac_f64_e32 v[190:191], v[176:177], v[4:5]
	ds_load_b128 v[4:7], v2 offset:1872
	ds_load_b128 v[174:177], v2 offset:1888
	s_wait_loadcnt_dscnt 0x901
	v_mul_f64_e32 v[194:195], v[4:5], v[14:15]
	v_mul_f64_e32 v[14:15], v[6:7], v[14:15]
	v_fmac_f64_e32 v[192:193], v[188:189], v[8:9]
	v_fma_f64 v[8:9], v[186:187], v[8:9], -v[10:11]
	s_wait_loadcnt_dscnt 0x800
	v_mul_f64_e32 v[186:187], v[174:175], v[18:19]
	v_mul_f64_e32 v[18:19], v[176:177], v[18:19]
	v_add_f64_e32 v[10:11], 0, v[30:31]
	v_add_f64_e32 v[30:31], 0, v[190:191]
	v_fmac_f64_e32 v[194:195], v[6:7], v[12:13]
	v_fma_f64 v[12:13], v[4:5], v[12:13], -v[14:15]
	v_fmac_f64_e32 v[186:187], v[176:177], v[16:17]
	v_fma_f64 v[16:17], v[174:175], v[16:17], -v[18:19]
	v_add_f64_e32 v[14:15], v[10:11], v[8:9]
	v_add_f64_e32 v[30:31], v[30:31], v[192:193]
	ds_load_b128 v[4:7], v2 offset:1904
	ds_load_b128 v[8:11], v2 offset:1920
	s_wait_loadcnt_dscnt 0x701
	v_mul_f64_e32 v[188:189], v[4:5], v[24:25]
	v_mul_f64_e32 v[24:25], v[6:7], v[24:25]
	s_wait_loadcnt_dscnt 0x600
	v_mul_f64_e32 v[18:19], v[8:9], v[28:29]
	v_mul_f64_e32 v[28:29], v[10:11], v[28:29]
	v_add_f64_e32 v[12:13], v[14:15], v[12:13]
	v_add_f64_e32 v[14:15], v[30:31], v[194:195]
	v_fmac_f64_e32 v[188:189], v[6:7], v[22:23]
	v_fma_f64 v[22:23], v[4:5], v[22:23], -v[24:25]
	v_fmac_f64_e32 v[18:19], v[10:11], v[26:27]
	v_fma_f64 v[8:9], v[8:9], v[26:27], -v[28:29]
	v_add_f64_e32 v[16:17], v[12:13], v[16:17]
	v_add_f64_e32 v[24:25], v[14:15], v[186:187]
	ds_load_b128 v[4:7], v2 offset:1936
	ds_load_b128 v[12:15], v2 offset:1952
	s_wait_loadcnt_dscnt 0x501
	v_mul_f64_e32 v[30:31], v[4:5], v[160:161]
	v_mul_f64_e32 v[160:161], v[6:7], v[160:161]
	v_add_f64_e32 v[10:11], v[16:17], v[22:23]
	v_add_f64_e32 v[16:17], v[24:25], v[188:189]
	s_wait_loadcnt_dscnt 0x400
	v_mul_f64_e32 v[22:23], v[12:13], v[164:165]
	v_mul_f64_e32 v[24:25], v[14:15], v[164:165]
	v_fmac_f64_e32 v[30:31], v[6:7], v[158:159]
	v_fma_f64 v[26:27], v[4:5], v[158:159], -v[160:161]
	v_add_f64_e32 v[28:29], v[10:11], v[8:9]
	v_add_f64_e32 v[16:17], v[16:17], v[18:19]
	ds_load_b128 v[4:7], v2 offset:1968
	ds_load_b128 v[8:11], v2 offset:1984
	v_fmac_f64_e32 v[22:23], v[14:15], v[162:163]
	v_fma_f64 v[12:13], v[12:13], v[162:163], -v[24:25]
	s_wait_loadcnt_dscnt 0x301
	v_mul_f64_e32 v[18:19], v[4:5], v[168:169]
	v_mul_f64_e32 v[158:159], v[6:7], v[168:169]
	s_wait_loadcnt_dscnt 0x200
	v_mul_f64_e32 v[24:25], v[8:9], v[172:173]
	v_add_f64_e32 v[14:15], v[28:29], v[26:27]
	v_add_f64_e32 v[16:17], v[16:17], v[30:31]
	v_mul_f64_e32 v[26:27], v[10:11], v[172:173]
	v_fmac_f64_e32 v[18:19], v[6:7], v[166:167]
	v_fma_f64 v[28:29], v[4:5], v[166:167], -v[158:159]
	ds_load_b128 v[4:7], v2 offset:2000
	v_fmac_f64_e32 v[24:25], v[10:11], v[170:171]
	v_add_f64_e32 v[12:13], v[14:15], v[12:13]
	v_add_f64_e32 v[14:15], v[16:17], v[22:23]
	v_fma_f64 v[8:9], v[8:9], v[170:171], -v[26:27]
	s_wait_loadcnt_dscnt 0x100
	v_mul_f64_e32 v[16:17], v[4:5], v[180:181]
	v_mul_f64_e32 v[22:23], v[6:7], v[180:181]
	v_add_f64_e32 v[10:11], v[12:13], v[28:29]
	v_add_f64_e32 v[12:13], v[14:15], v[18:19]
	s_delay_alu instid0(VALU_DEP_4) | instskip(NEXT) | instid1(VALU_DEP_4)
	v_fmac_f64_e32 v[16:17], v[6:7], v[178:179]
	v_fma_f64 v[4:5], v[4:5], v[178:179], -v[22:23]
	s_delay_alu instid0(VALU_DEP_4) | instskip(NEXT) | instid1(VALU_DEP_4)
	v_add_f64_e32 v[6:7], v[10:11], v[8:9]
	v_add_f64_e32 v[8:9], v[12:13], v[24:25]
	s_delay_alu instid0(VALU_DEP_2) | instskip(NEXT) | instid1(VALU_DEP_2)
	v_add_f64_e32 v[4:5], v[6:7], v[4:5]
	v_add_f64_e32 v[6:7], v[8:9], v[16:17]
	s_wait_loadcnt 0x0
	s_delay_alu instid0(VALU_DEP_2) | instskip(NEXT) | instid1(VALU_DEP_2)
	v_add_f64_e64 v[4:5], v[182:183], -v[4:5]
	v_add_f64_e64 v[6:7], v[184:185], -v[6:7]
	scratch_store_b128 off, v[4:7], off offset:816
	s_wait_xcnt 0x0
	v_cmpx_lt_u32_e32 50, v1
	s_cbranch_execz .LBB126_303
; %bb.302:
	scratch_load_b128 v[6:9], off, s30
	v_dual_mov_b32 v3, v2 :: v_dual_mov_b32 v4, v2
	v_mov_b32_e32 v5, v2
	scratch_store_b128 off, v[2:5], off offset:800
	s_wait_loadcnt 0x0
	ds_store_b128 v20, v[6:9]
.LBB126_303:
	s_wait_xcnt 0x0
	s_or_b32 exec_lo, exec_lo, s2
	s_wait_storecnt_dscnt 0x0
	s_barrier_signal -1
	s_barrier_wait -1
	s_clause 0x9
	scratch_load_b128 v[4:7], off, off offset:816
	scratch_load_b128 v[8:11], off, off offset:832
	;; [unrolled: 1-line block ×10, first 2 shown]
	ds_load_b128 v[174:177], v2 offset:1824
	ds_load_b128 v[182:185], v2 offset:1840
	s_clause 0x2
	scratch_load_b128 v[178:181], off, off offset:976
	scratch_load_b128 v[186:189], off, off offset:800
	;; [unrolled: 1-line block ×3, first 2 shown]
	s_mov_b32 s2, exec_lo
	s_wait_loadcnt_dscnt 0xc01
	v_mul_f64_e32 v[30:31], v[176:177], v[6:7]
	v_mul_f64_e32 v[194:195], v[174:175], v[6:7]
	s_wait_loadcnt_dscnt 0xb00
	v_mul_f64_e32 v[196:197], v[182:183], v[10:11]
	v_mul_f64_e32 v[10:11], v[184:185], v[10:11]
	s_delay_alu instid0(VALU_DEP_4) | instskip(NEXT) | instid1(VALU_DEP_4)
	v_fma_f64 v[30:31], v[174:175], v[4:5], -v[30:31]
	v_fmac_f64_e32 v[194:195], v[176:177], v[4:5]
	ds_load_b128 v[4:7], v2 offset:1856
	ds_load_b128 v[174:177], v2 offset:1872
	v_fmac_f64_e32 v[196:197], v[184:185], v[8:9]
	v_fma_f64 v[8:9], v[182:183], v[8:9], -v[10:11]
	s_wait_loadcnt_dscnt 0xa01
	v_mul_f64_e32 v[198:199], v[4:5], v[14:15]
	v_mul_f64_e32 v[14:15], v[6:7], v[14:15]
	s_wait_loadcnt_dscnt 0x900
	v_mul_f64_e32 v[182:183], v[174:175], v[18:19]
	v_mul_f64_e32 v[18:19], v[176:177], v[18:19]
	v_add_f64_e32 v[10:11], 0, v[30:31]
	v_add_f64_e32 v[30:31], 0, v[194:195]
	v_fmac_f64_e32 v[198:199], v[6:7], v[12:13]
	v_fma_f64 v[12:13], v[4:5], v[12:13], -v[14:15]
	v_fmac_f64_e32 v[182:183], v[176:177], v[16:17]
	v_fma_f64 v[16:17], v[174:175], v[16:17], -v[18:19]
	v_add_f64_e32 v[14:15], v[10:11], v[8:9]
	v_add_f64_e32 v[30:31], v[30:31], v[196:197]
	ds_load_b128 v[4:7], v2 offset:1888
	ds_load_b128 v[8:11], v2 offset:1904
	s_wait_loadcnt_dscnt 0x801
	v_mul_f64_e32 v[184:185], v[4:5], v[24:25]
	v_mul_f64_e32 v[24:25], v[6:7], v[24:25]
	s_wait_loadcnt_dscnt 0x700
	v_mul_f64_e32 v[18:19], v[8:9], v[28:29]
	v_mul_f64_e32 v[28:29], v[10:11], v[28:29]
	v_add_f64_e32 v[12:13], v[14:15], v[12:13]
	v_add_f64_e32 v[14:15], v[30:31], v[198:199]
	v_fmac_f64_e32 v[184:185], v[6:7], v[22:23]
	v_fma_f64 v[22:23], v[4:5], v[22:23], -v[24:25]
	v_fmac_f64_e32 v[18:19], v[10:11], v[26:27]
	v_fma_f64 v[8:9], v[8:9], v[26:27], -v[28:29]
	v_add_f64_e32 v[16:17], v[12:13], v[16:17]
	v_add_f64_e32 v[24:25], v[14:15], v[182:183]
	ds_load_b128 v[4:7], v2 offset:1920
	ds_load_b128 v[12:15], v2 offset:1936
	s_wait_loadcnt_dscnt 0x601
	v_mul_f64_e32 v[30:31], v[4:5], v[160:161]
	v_mul_f64_e32 v[160:161], v[6:7], v[160:161]
	v_add_f64_e32 v[10:11], v[16:17], v[22:23]
	v_add_f64_e32 v[16:17], v[24:25], v[184:185]
	s_wait_loadcnt_dscnt 0x500
	v_mul_f64_e32 v[22:23], v[12:13], v[164:165]
	v_mul_f64_e32 v[24:25], v[14:15], v[164:165]
	v_fmac_f64_e32 v[30:31], v[6:7], v[158:159]
	v_fma_f64 v[26:27], v[4:5], v[158:159], -v[160:161]
	v_add_f64_e32 v[28:29], v[10:11], v[8:9]
	v_add_f64_e32 v[16:17], v[16:17], v[18:19]
	ds_load_b128 v[4:7], v2 offset:1952
	ds_load_b128 v[8:11], v2 offset:1968
	v_fmac_f64_e32 v[22:23], v[14:15], v[162:163]
	v_fma_f64 v[12:13], v[12:13], v[162:163], -v[24:25]
	s_wait_loadcnt_dscnt 0x401
	v_mul_f64_e32 v[18:19], v[4:5], v[168:169]
	v_mul_f64_e32 v[158:159], v[6:7], v[168:169]
	s_wait_loadcnt_dscnt 0x300
	v_mul_f64_e32 v[24:25], v[8:9], v[172:173]
	v_add_f64_e32 v[14:15], v[28:29], v[26:27]
	v_add_f64_e32 v[16:17], v[16:17], v[30:31]
	v_mul_f64_e32 v[26:27], v[10:11], v[172:173]
	v_fmac_f64_e32 v[18:19], v[6:7], v[166:167]
	v_fma_f64 v[28:29], v[4:5], v[166:167], -v[158:159]
	v_fmac_f64_e32 v[24:25], v[10:11], v[170:171]
	v_add_f64_e32 v[30:31], v[14:15], v[12:13]
	v_add_f64_e32 v[16:17], v[16:17], v[22:23]
	ds_load_b128 v[4:7], v2 offset:1984
	ds_load_b128 v[12:15], v2 offset:2000
	v_fma_f64 v[8:9], v[8:9], v[170:171], -v[26:27]
	s_wait_loadcnt_dscnt 0x201
	v_mul_f64_e32 v[2:3], v[4:5], v[180:181]
	v_mul_f64_e32 v[22:23], v[6:7], v[180:181]
	s_wait_loadcnt_dscnt 0x0
	v_mul_f64_e32 v[26:27], v[14:15], v[192:193]
	v_add_f64_e32 v[10:11], v[30:31], v[28:29]
	v_add_f64_e32 v[16:17], v[16:17], v[18:19]
	v_mul_f64_e32 v[18:19], v[12:13], v[192:193]
	v_fmac_f64_e32 v[2:3], v[6:7], v[178:179]
	v_fma_f64 v[4:5], v[4:5], v[178:179], -v[22:23]
	v_add_f64_e32 v[6:7], v[10:11], v[8:9]
	v_add_f64_e32 v[8:9], v[16:17], v[24:25]
	v_fmac_f64_e32 v[18:19], v[14:15], v[190:191]
	v_fma_f64 v[10:11], v[12:13], v[190:191], -v[26:27]
	s_delay_alu instid0(VALU_DEP_4) | instskip(NEXT) | instid1(VALU_DEP_4)
	v_add_f64_e32 v[4:5], v[6:7], v[4:5]
	v_add_f64_e32 v[2:3], v[8:9], v[2:3]
	s_delay_alu instid0(VALU_DEP_2) | instskip(NEXT) | instid1(VALU_DEP_2)
	v_add_f64_e32 v[4:5], v[4:5], v[10:11]
	v_add_f64_e32 v[6:7], v[2:3], v[18:19]
	s_delay_alu instid0(VALU_DEP_2) | instskip(NEXT) | instid1(VALU_DEP_2)
	v_add_f64_e64 v[2:3], v[186:187], -v[4:5]
	v_add_f64_e64 v[4:5], v[188:189], -v[6:7]
	scratch_store_b128 off, v[2:5], off offset:800
	s_wait_xcnt 0x0
	v_cmpx_lt_u32_e32 49, v1
	s_cbranch_execz .LBB126_305
; %bb.304:
	scratch_load_b128 v[2:5], off, s31
	v_mov_b32_e32 v6, 0
	s_delay_alu instid0(VALU_DEP_1)
	v_dual_mov_b32 v7, v6 :: v_dual_mov_b32 v8, v6
	v_mov_b32_e32 v9, v6
	scratch_store_b128 off, v[6:9], off offset:784
	s_wait_loadcnt 0x0
	ds_store_b128 v20, v[2:5]
.LBB126_305:
	s_wait_xcnt 0x0
	s_or_b32 exec_lo, exec_lo, s2
	s_wait_storecnt_dscnt 0x0
	s_barrier_signal -1
	s_barrier_wait -1
	s_clause 0x9
	scratch_load_b128 v[4:7], off, off offset:800
	scratch_load_b128 v[8:11], off, off offset:816
	;; [unrolled: 1-line block ×10, first 2 shown]
	v_mov_b32_e32 v2, 0
	s_mov_b32 s2, exec_lo
	ds_load_b128 v[174:177], v2 offset:1808
	s_clause 0x2
	scratch_load_b128 v[178:181], off, off offset:960
	scratch_load_b128 v[182:185], off, off offset:784
	;; [unrolled: 1-line block ×3, first 2 shown]
	s_wait_loadcnt_dscnt 0xc00
	v_mul_f64_e32 v[30:31], v[176:177], v[6:7]
	v_mul_f64_e32 v[198:199], v[174:175], v[6:7]
	ds_load_b128 v[186:189], v2 offset:1824
	ds_load_b128 v[194:197], v2 offset:1856
	v_fma_f64 v[30:31], v[174:175], v[4:5], -v[30:31]
	v_fmac_f64_e32 v[198:199], v[176:177], v[4:5]
	ds_load_b128 v[4:7], v2 offset:1840
	s_wait_loadcnt_dscnt 0xb02
	v_mul_f64_e32 v[200:201], v[186:187], v[10:11]
	v_mul_f64_e32 v[10:11], v[188:189], v[10:11]
	scratch_load_b128 v[174:177], off, off offset:992
	s_wait_loadcnt_dscnt 0xb00
	v_mul_f64_e32 v[202:203], v[4:5], v[14:15]
	v_mul_f64_e32 v[14:15], v[6:7], v[14:15]
	v_fmac_f64_e32 v[200:201], v[188:189], v[8:9]
	v_fma_f64 v[8:9], v[186:187], v[8:9], -v[10:11]
	v_add_f64_e32 v[10:11], 0, v[30:31]
	v_add_f64_e32 v[30:31], 0, v[198:199]
	s_wait_loadcnt 0xa
	v_mul_f64_e32 v[186:187], v[194:195], v[18:19]
	v_mul_f64_e32 v[18:19], v[196:197], v[18:19]
	v_fmac_f64_e32 v[202:203], v[6:7], v[12:13]
	v_fma_f64 v[12:13], v[4:5], v[12:13], -v[14:15]
	v_add_f64_e32 v[14:15], v[10:11], v[8:9]
	v_add_f64_e32 v[30:31], v[30:31], v[200:201]
	ds_load_b128 v[4:7], v2 offset:1872
	ds_load_b128 v[8:11], v2 offset:1888
	v_fmac_f64_e32 v[186:187], v[196:197], v[16:17]
	v_fma_f64 v[16:17], v[194:195], v[16:17], -v[18:19]
	s_wait_loadcnt_dscnt 0x901
	v_mul_f64_e32 v[188:189], v[4:5], v[24:25]
	v_mul_f64_e32 v[24:25], v[6:7], v[24:25]
	s_wait_loadcnt_dscnt 0x800
	v_mul_f64_e32 v[18:19], v[8:9], v[28:29]
	v_mul_f64_e32 v[28:29], v[10:11], v[28:29]
	v_add_f64_e32 v[12:13], v[14:15], v[12:13]
	v_add_f64_e32 v[14:15], v[30:31], v[202:203]
	v_fmac_f64_e32 v[188:189], v[6:7], v[22:23]
	v_fma_f64 v[22:23], v[4:5], v[22:23], -v[24:25]
	v_fmac_f64_e32 v[18:19], v[10:11], v[26:27]
	v_fma_f64 v[8:9], v[8:9], v[26:27], -v[28:29]
	v_add_f64_e32 v[16:17], v[12:13], v[16:17]
	v_add_f64_e32 v[24:25], v[14:15], v[186:187]
	ds_load_b128 v[4:7], v2 offset:1904
	ds_load_b128 v[12:15], v2 offset:1920
	s_wait_loadcnt_dscnt 0x701
	v_mul_f64_e32 v[30:31], v[4:5], v[160:161]
	v_mul_f64_e32 v[160:161], v[6:7], v[160:161]
	v_add_f64_e32 v[10:11], v[16:17], v[22:23]
	v_add_f64_e32 v[16:17], v[24:25], v[188:189]
	s_wait_loadcnt_dscnt 0x600
	v_mul_f64_e32 v[22:23], v[12:13], v[164:165]
	v_mul_f64_e32 v[24:25], v[14:15], v[164:165]
	v_fmac_f64_e32 v[30:31], v[6:7], v[158:159]
	v_fma_f64 v[26:27], v[4:5], v[158:159], -v[160:161]
	v_add_f64_e32 v[28:29], v[10:11], v[8:9]
	v_add_f64_e32 v[16:17], v[16:17], v[18:19]
	ds_load_b128 v[4:7], v2 offset:1936
	ds_load_b128 v[8:11], v2 offset:1952
	v_fmac_f64_e32 v[22:23], v[14:15], v[162:163]
	v_fma_f64 v[12:13], v[12:13], v[162:163], -v[24:25]
	s_wait_loadcnt_dscnt 0x501
	v_mul_f64_e32 v[18:19], v[4:5], v[168:169]
	v_mul_f64_e32 v[158:159], v[6:7], v[168:169]
	s_wait_loadcnt_dscnt 0x400
	v_mul_f64_e32 v[24:25], v[8:9], v[172:173]
	v_add_f64_e32 v[14:15], v[28:29], v[26:27]
	v_add_f64_e32 v[16:17], v[16:17], v[30:31]
	v_mul_f64_e32 v[26:27], v[10:11], v[172:173]
	v_fmac_f64_e32 v[18:19], v[6:7], v[166:167]
	v_fma_f64 v[28:29], v[4:5], v[166:167], -v[158:159]
	v_fmac_f64_e32 v[24:25], v[10:11], v[170:171]
	v_add_f64_e32 v[30:31], v[14:15], v[12:13]
	v_add_f64_e32 v[16:17], v[16:17], v[22:23]
	ds_load_b128 v[4:7], v2 offset:1968
	ds_load_b128 v[12:15], v2 offset:1984
	v_fma_f64 v[8:9], v[8:9], v[170:171], -v[26:27]
	s_wait_loadcnt_dscnt 0x301
	v_mul_f64_e32 v[22:23], v[4:5], v[180:181]
	v_mul_f64_e32 v[158:159], v[6:7], v[180:181]
	s_wait_loadcnt_dscnt 0x100
	v_mul_f64_e32 v[26:27], v[14:15], v[192:193]
	v_add_f64_e32 v[10:11], v[30:31], v[28:29]
	v_add_f64_e32 v[16:17], v[16:17], v[18:19]
	v_mul_f64_e32 v[18:19], v[12:13], v[192:193]
	v_fmac_f64_e32 v[22:23], v[6:7], v[178:179]
	v_fma_f64 v[28:29], v[4:5], v[178:179], -v[158:159]
	ds_load_b128 v[4:7], v2 offset:2000
	v_fma_f64 v[12:13], v[12:13], v[190:191], -v[26:27]
	v_add_f64_e32 v[8:9], v[10:11], v[8:9]
	v_add_f64_e32 v[10:11], v[16:17], v[24:25]
	v_fmac_f64_e32 v[18:19], v[14:15], v[190:191]
	s_wait_loadcnt_dscnt 0x0
	v_mul_f64_e32 v[16:17], v[4:5], v[176:177]
	v_mul_f64_e32 v[24:25], v[6:7], v[176:177]
	v_add_f64_e32 v[8:9], v[8:9], v[28:29]
	v_add_f64_e32 v[10:11], v[10:11], v[22:23]
	s_delay_alu instid0(VALU_DEP_4) | instskip(NEXT) | instid1(VALU_DEP_4)
	v_fmac_f64_e32 v[16:17], v[6:7], v[174:175]
	v_fma_f64 v[4:5], v[4:5], v[174:175], -v[24:25]
	s_delay_alu instid0(VALU_DEP_4) | instskip(NEXT) | instid1(VALU_DEP_4)
	v_add_f64_e32 v[6:7], v[8:9], v[12:13]
	v_add_f64_e32 v[8:9], v[10:11], v[18:19]
	s_delay_alu instid0(VALU_DEP_2) | instskip(NEXT) | instid1(VALU_DEP_2)
	v_add_f64_e32 v[4:5], v[6:7], v[4:5]
	v_add_f64_e32 v[6:7], v[8:9], v[16:17]
	s_delay_alu instid0(VALU_DEP_2) | instskip(NEXT) | instid1(VALU_DEP_2)
	v_add_f64_e64 v[4:5], v[182:183], -v[4:5]
	v_add_f64_e64 v[6:7], v[184:185], -v[6:7]
	scratch_store_b128 off, v[4:7], off offset:784
	s_wait_xcnt 0x0
	v_cmpx_lt_u32_e32 48, v1
	s_cbranch_execz .LBB126_307
; %bb.306:
	scratch_load_b128 v[6:9], off, s33
	v_dual_mov_b32 v3, v2 :: v_dual_mov_b32 v4, v2
	v_mov_b32_e32 v5, v2
	scratch_store_b128 off, v[2:5], off offset:768
	s_wait_loadcnt 0x0
	ds_store_b128 v20, v[6:9]
.LBB126_307:
	s_wait_xcnt 0x0
	s_or_b32 exec_lo, exec_lo, s2
	s_wait_storecnt_dscnt 0x0
	s_barrier_signal -1
	s_barrier_wait -1
	s_clause 0x9
	scratch_load_b128 v[4:7], off, off offset:784
	scratch_load_b128 v[8:11], off, off offset:800
	scratch_load_b128 v[12:15], off, off offset:816
	scratch_load_b128 v[16:19], off, off offset:832
	scratch_load_b128 v[22:25], off, off offset:848
	scratch_load_b128 v[26:29], off, off offset:864
	scratch_load_b128 v[158:161], off, off offset:880
	scratch_load_b128 v[162:165], off, off offset:896
	scratch_load_b128 v[166:169], off, off offset:912
	scratch_load_b128 v[170:173], off, off offset:928
	ds_load_b128 v[174:177], v2 offset:1792
	ds_load_b128 v[182:185], v2 offset:1808
	s_clause 0x2
	scratch_load_b128 v[178:181], off, off offset:944
	scratch_load_b128 v[186:189], off, off offset:768
	;; [unrolled: 1-line block ×3, first 2 shown]
	s_mov_b32 s2, exec_lo
	s_wait_loadcnt_dscnt 0xc01
	v_mul_f64_e32 v[30:31], v[176:177], v[6:7]
	v_mul_f64_e32 v[198:199], v[174:175], v[6:7]
	s_wait_loadcnt_dscnt 0xb00
	v_mul_f64_e32 v[200:201], v[182:183], v[10:11]
	v_mul_f64_e32 v[10:11], v[184:185], v[10:11]
	s_delay_alu instid0(VALU_DEP_4) | instskip(NEXT) | instid1(VALU_DEP_4)
	v_fma_f64 v[30:31], v[174:175], v[4:5], -v[30:31]
	v_fmac_f64_e32 v[198:199], v[176:177], v[4:5]
	ds_load_b128 v[4:7], v2 offset:1824
	ds_load_b128 v[174:177], v2 offset:1840
	scratch_load_b128 v[194:197], off, off offset:976
	v_fmac_f64_e32 v[200:201], v[184:185], v[8:9]
	v_fma_f64 v[182:183], v[182:183], v[8:9], -v[10:11]
	scratch_load_b128 v[8:11], off, off offset:992
	s_wait_loadcnt_dscnt 0xc01
	v_mul_f64_e32 v[202:203], v[4:5], v[14:15]
	v_mul_f64_e32 v[14:15], v[6:7], v[14:15]
	v_add_f64_e32 v[30:31], 0, v[30:31]
	v_add_f64_e32 v[184:185], 0, v[198:199]
	s_wait_loadcnt_dscnt 0xb00
	v_mul_f64_e32 v[198:199], v[174:175], v[18:19]
	v_mul_f64_e32 v[18:19], v[176:177], v[18:19]
	v_fmac_f64_e32 v[202:203], v[6:7], v[12:13]
	v_fma_f64 v[204:205], v[4:5], v[12:13], -v[14:15]
	ds_load_b128 v[4:7], v2 offset:1856
	ds_load_b128 v[12:15], v2 offset:1872
	v_add_f64_e32 v[30:31], v[30:31], v[182:183]
	v_add_f64_e32 v[182:183], v[184:185], v[200:201]
	v_fmac_f64_e32 v[198:199], v[176:177], v[16:17]
	v_fma_f64 v[16:17], v[174:175], v[16:17], -v[18:19]
	s_wait_loadcnt_dscnt 0xa01
	v_mul_f64_e32 v[184:185], v[4:5], v[24:25]
	v_mul_f64_e32 v[24:25], v[6:7], v[24:25]
	s_wait_loadcnt_dscnt 0x900
	v_mul_f64_e32 v[174:175], v[12:13], v[28:29]
	v_mul_f64_e32 v[28:29], v[14:15], v[28:29]
	v_add_f64_e32 v[18:19], v[30:31], v[204:205]
	v_add_f64_e32 v[30:31], v[182:183], v[202:203]
	v_fmac_f64_e32 v[184:185], v[6:7], v[22:23]
	v_fma_f64 v[22:23], v[4:5], v[22:23], -v[24:25]
	v_fmac_f64_e32 v[174:175], v[14:15], v[26:27]
	v_fma_f64 v[12:13], v[12:13], v[26:27], -v[28:29]
	v_add_f64_e32 v[24:25], v[18:19], v[16:17]
	v_add_f64_e32 v[30:31], v[30:31], v[198:199]
	ds_load_b128 v[4:7], v2 offset:1888
	ds_load_b128 v[16:19], v2 offset:1904
	s_wait_loadcnt_dscnt 0x801
	v_mul_f64_e32 v[176:177], v[4:5], v[160:161]
	v_mul_f64_e32 v[160:161], v[6:7], v[160:161]
	s_wait_loadcnt_dscnt 0x700
	v_mul_f64_e32 v[26:27], v[18:19], v[164:165]
	v_add_f64_e32 v[14:15], v[24:25], v[22:23]
	v_add_f64_e32 v[22:23], v[30:31], v[184:185]
	v_mul_f64_e32 v[24:25], v[16:17], v[164:165]
	v_fmac_f64_e32 v[176:177], v[6:7], v[158:159]
	v_fma_f64 v[28:29], v[4:5], v[158:159], -v[160:161]
	v_fma_f64 v[16:17], v[16:17], v[162:163], -v[26:27]
	v_add_f64_e32 v[30:31], v[14:15], v[12:13]
	v_add_f64_e32 v[22:23], v[22:23], v[174:175]
	ds_load_b128 v[4:7], v2 offset:1920
	ds_load_b128 v[12:15], v2 offset:1936
	v_fmac_f64_e32 v[24:25], v[18:19], v[162:163]
	s_wait_loadcnt_dscnt 0x601
	v_mul_f64_e32 v[158:159], v[4:5], v[168:169]
	v_mul_f64_e32 v[160:161], v[6:7], v[168:169]
	s_wait_loadcnt_dscnt 0x500
	v_mul_f64_e32 v[26:27], v[12:13], v[172:173]
	v_add_f64_e32 v[18:19], v[30:31], v[28:29]
	v_add_f64_e32 v[22:23], v[22:23], v[176:177]
	v_mul_f64_e32 v[28:29], v[14:15], v[172:173]
	v_fmac_f64_e32 v[158:159], v[6:7], v[166:167]
	v_fma_f64 v[30:31], v[4:5], v[166:167], -v[160:161]
	v_fmac_f64_e32 v[26:27], v[14:15], v[170:171]
	v_add_f64_e32 v[160:161], v[18:19], v[16:17]
	v_add_f64_e32 v[22:23], v[22:23], v[24:25]
	ds_load_b128 v[4:7], v2 offset:1952
	ds_load_b128 v[16:19], v2 offset:1968
	v_fma_f64 v[12:13], v[12:13], v[170:171], -v[28:29]
	s_wait_loadcnt_dscnt 0x401
	v_mul_f64_e32 v[24:25], v[4:5], v[180:181]
	v_mul_f64_e32 v[162:163], v[6:7], v[180:181]
	s_wait_loadcnt_dscnt 0x200
	v_mul_f64_e32 v[28:29], v[16:17], v[192:193]
	v_add_f64_e32 v[14:15], v[160:161], v[30:31]
	v_add_f64_e32 v[22:23], v[22:23], v[158:159]
	v_mul_f64_e32 v[30:31], v[18:19], v[192:193]
	v_fmac_f64_e32 v[24:25], v[6:7], v[178:179]
	v_fma_f64 v[158:159], v[4:5], v[178:179], -v[162:163]
	v_fmac_f64_e32 v[28:29], v[18:19], v[190:191]
	v_add_f64_e32 v[160:161], v[14:15], v[12:13]
	v_add_f64_e32 v[22:23], v[22:23], v[26:27]
	ds_load_b128 v[4:7], v2 offset:1984
	ds_load_b128 v[12:15], v2 offset:2000
	v_fma_f64 v[16:17], v[16:17], v[190:191], -v[30:31]
	s_wait_loadcnt_dscnt 0x101
	v_mul_f64_e32 v[2:3], v[4:5], v[196:197]
	v_mul_f64_e32 v[26:27], v[6:7], v[196:197]
	v_add_f64_e32 v[18:19], v[160:161], v[158:159]
	v_add_f64_e32 v[22:23], v[22:23], v[24:25]
	s_wait_loadcnt_dscnt 0x0
	v_mul_f64_e32 v[24:25], v[12:13], v[10:11]
	v_mul_f64_e32 v[10:11], v[14:15], v[10:11]
	v_fmac_f64_e32 v[2:3], v[6:7], v[194:195]
	v_fma_f64 v[4:5], v[4:5], v[194:195], -v[26:27]
	v_add_f64_e32 v[6:7], v[18:19], v[16:17]
	v_add_f64_e32 v[16:17], v[22:23], v[28:29]
	v_fmac_f64_e32 v[24:25], v[14:15], v[8:9]
	v_fma_f64 v[8:9], v[12:13], v[8:9], -v[10:11]
	s_delay_alu instid0(VALU_DEP_4) | instskip(NEXT) | instid1(VALU_DEP_4)
	v_add_f64_e32 v[4:5], v[6:7], v[4:5]
	v_add_f64_e32 v[2:3], v[16:17], v[2:3]
	s_delay_alu instid0(VALU_DEP_2) | instskip(NEXT) | instid1(VALU_DEP_2)
	v_add_f64_e32 v[4:5], v[4:5], v[8:9]
	v_add_f64_e32 v[6:7], v[2:3], v[24:25]
	s_delay_alu instid0(VALU_DEP_2) | instskip(NEXT) | instid1(VALU_DEP_2)
	v_add_f64_e64 v[2:3], v[186:187], -v[4:5]
	v_add_f64_e64 v[4:5], v[188:189], -v[6:7]
	scratch_store_b128 off, v[2:5], off offset:768
	s_wait_xcnt 0x0
	v_cmpx_lt_u32_e32 47, v1
	s_cbranch_execz .LBB126_309
; %bb.308:
	scratch_load_b128 v[2:5], off, s34
	v_mov_b32_e32 v6, 0
	s_delay_alu instid0(VALU_DEP_1)
	v_dual_mov_b32 v7, v6 :: v_dual_mov_b32 v8, v6
	v_mov_b32_e32 v9, v6
	scratch_store_b128 off, v[6:9], off offset:752
	s_wait_loadcnt 0x0
	ds_store_b128 v20, v[2:5]
.LBB126_309:
	s_wait_xcnt 0x0
	s_or_b32 exec_lo, exec_lo, s2
	s_wait_storecnt_dscnt 0x0
	s_barrier_signal -1
	s_barrier_wait -1
	s_clause 0x9
	scratch_load_b128 v[4:7], off, off offset:768
	scratch_load_b128 v[8:11], off, off offset:784
	;; [unrolled: 1-line block ×10, first 2 shown]
	v_mov_b32_e32 v2, 0
	s_mov_b32 s2, exec_lo
	ds_load_b128 v[174:177], v2 offset:1776
	s_clause 0x2
	scratch_load_b128 v[178:181], off, off offset:928
	scratch_load_b128 v[182:185], off, off offset:752
	;; [unrolled: 1-line block ×3, first 2 shown]
	s_wait_loadcnt_dscnt 0xc00
	v_mul_f64_e32 v[30:31], v[176:177], v[6:7]
	v_mul_f64_e32 v[198:199], v[174:175], v[6:7]
	ds_load_b128 v[186:189], v2 offset:1792
	ds_load_b128 v[194:197], v2 offset:1824
	v_fma_f64 v[30:31], v[174:175], v[4:5], -v[30:31]
	v_fmac_f64_e32 v[198:199], v[176:177], v[4:5]
	ds_load_b128 v[4:7], v2 offset:1808
	s_wait_loadcnt_dscnt 0xb02
	v_mul_f64_e32 v[200:201], v[186:187], v[10:11]
	v_mul_f64_e32 v[10:11], v[188:189], v[10:11]
	scratch_load_b128 v[174:177], off, off offset:960
	s_wait_loadcnt_dscnt 0xb00
	v_mul_f64_e32 v[202:203], v[4:5], v[14:15]
	v_mul_f64_e32 v[14:15], v[6:7], v[14:15]
	v_add_f64_e32 v[30:31], 0, v[30:31]
	v_fmac_f64_e32 v[200:201], v[188:189], v[8:9]
	v_fma_f64 v[186:187], v[186:187], v[8:9], -v[10:11]
	v_add_f64_e32 v[188:189], 0, v[198:199]
	scratch_load_b128 v[8:11], off, off offset:976
	v_fmac_f64_e32 v[202:203], v[6:7], v[12:13]
	v_fma_f64 v[204:205], v[4:5], v[12:13], -v[14:15]
	ds_load_b128 v[4:7], v2 offset:1840
	s_wait_loadcnt 0xb
	v_mul_f64_e32 v[198:199], v[194:195], v[18:19]
	v_mul_f64_e32 v[18:19], v[196:197], v[18:19]
	scratch_load_b128 v[12:15], off, off offset:992
	v_add_f64_e32 v[30:31], v[30:31], v[186:187]
	v_add_f64_e32 v[200:201], v[188:189], v[200:201]
	ds_load_b128 v[186:189], v2 offset:1856
	s_wait_loadcnt_dscnt 0xb01
	v_mul_f64_e32 v[206:207], v[4:5], v[24:25]
	v_mul_f64_e32 v[24:25], v[6:7], v[24:25]
	v_fmac_f64_e32 v[198:199], v[196:197], v[16:17]
	v_fma_f64 v[16:17], v[194:195], v[16:17], -v[18:19]
	s_wait_loadcnt_dscnt 0xa00
	v_mul_f64_e32 v[194:195], v[186:187], v[28:29]
	v_mul_f64_e32 v[28:29], v[188:189], v[28:29]
	v_add_f64_e32 v[18:19], v[30:31], v[204:205]
	v_add_f64_e32 v[30:31], v[200:201], v[202:203]
	v_fmac_f64_e32 v[206:207], v[6:7], v[22:23]
	v_fma_f64 v[22:23], v[4:5], v[22:23], -v[24:25]
	v_fmac_f64_e32 v[194:195], v[188:189], v[26:27]
	v_fma_f64 v[26:27], v[186:187], v[26:27], -v[28:29]
	v_add_f64_e32 v[24:25], v[18:19], v[16:17]
	v_add_f64_e32 v[30:31], v[30:31], v[198:199]
	ds_load_b128 v[4:7], v2 offset:1872
	ds_load_b128 v[16:19], v2 offset:1888
	s_wait_loadcnt_dscnt 0x901
	v_mul_f64_e32 v[196:197], v[4:5], v[160:161]
	v_mul_f64_e32 v[160:161], v[6:7], v[160:161]
	s_wait_loadcnt_dscnt 0x800
	v_mul_f64_e32 v[28:29], v[16:17], v[164:165]
	v_add_f64_e32 v[22:23], v[24:25], v[22:23]
	v_add_f64_e32 v[24:25], v[30:31], v[206:207]
	v_mul_f64_e32 v[30:31], v[18:19], v[164:165]
	v_fmac_f64_e32 v[196:197], v[6:7], v[158:159]
	v_fma_f64 v[158:159], v[4:5], v[158:159], -v[160:161]
	v_fmac_f64_e32 v[28:29], v[18:19], v[162:163]
	v_add_f64_e32 v[26:27], v[22:23], v[26:27]
	v_add_f64_e32 v[160:161], v[24:25], v[194:195]
	ds_load_b128 v[4:7], v2 offset:1904
	ds_load_b128 v[22:25], v2 offset:1920
	v_fma_f64 v[16:17], v[16:17], v[162:163], -v[30:31]
	s_wait_loadcnt_dscnt 0x701
	v_mul_f64_e32 v[164:165], v[4:5], v[168:169]
	v_mul_f64_e32 v[168:169], v[6:7], v[168:169]
	s_wait_loadcnt_dscnt 0x600
	v_mul_f64_e32 v[30:31], v[22:23], v[172:173]
	v_add_f64_e32 v[18:19], v[26:27], v[158:159]
	v_add_f64_e32 v[26:27], v[160:161], v[196:197]
	v_mul_f64_e32 v[158:159], v[24:25], v[172:173]
	v_fmac_f64_e32 v[164:165], v[6:7], v[166:167]
	v_fma_f64 v[160:161], v[4:5], v[166:167], -v[168:169]
	v_fmac_f64_e32 v[30:31], v[24:25], v[170:171]
	v_add_f64_e32 v[162:163], v[18:19], v[16:17]
	v_add_f64_e32 v[26:27], v[26:27], v[28:29]
	ds_load_b128 v[4:7], v2 offset:1936
	ds_load_b128 v[16:19], v2 offset:1952
	v_fma_f64 v[22:23], v[22:23], v[170:171], -v[158:159]
	;; [unrolled: 16-line block ×3, first 2 shown]
	s_wait_loadcnt_dscnt 0x201
	v_mul_f64_e32 v[30:31], v[4:5], v[176:177]
	v_mul_f64_e32 v[166:167], v[6:7], v[176:177]
	v_add_f64_e32 v[18:19], v[164:165], v[162:163]
	v_add_f64_e32 v[26:27], v[26:27], v[28:29]
	s_wait_loadcnt_dscnt 0x100
	v_mul_f64_e32 v[28:29], v[22:23], v[10:11]
	v_mul_f64_e32 v[10:11], v[24:25], v[10:11]
	v_fmac_f64_e32 v[30:31], v[6:7], v[174:175]
	v_fma_f64 v[160:161], v[4:5], v[174:175], -v[166:167]
	ds_load_b128 v[4:7], v2 offset:2000
	v_add_f64_e32 v[16:17], v[18:19], v[16:17]
	v_add_f64_e32 v[18:19], v[26:27], v[158:159]
	v_fmac_f64_e32 v[28:29], v[24:25], v[8:9]
	v_fma_f64 v[8:9], v[22:23], v[8:9], -v[10:11]
	s_wait_loadcnt_dscnt 0x0
	v_mul_f64_e32 v[26:27], v[4:5], v[14:15]
	v_mul_f64_e32 v[14:15], v[6:7], v[14:15]
	v_add_f64_e32 v[10:11], v[16:17], v[160:161]
	v_add_f64_e32 v[16:17], v[18:19], v[30:31]
	s_delay_alu instid0(VALU_DEP_4) | instskip(NEXT) | instid1(VALU_DEP_4)
	v_fmac_f64_e32 v[26:27], v[6:7], v[12:13]
	v_fma_f64 v[4:5], v[4:5], v[12:13], -v[14:15]
	s_delay_alu instid0(VALU_DEP_4) | instskip(NEXT) | instid1(VALU_DEP_4)
	v_add_f64_e32 v[6:7], v[10:11], v[8:9]
	v_add_f64_e32 v[8:9], v[16:17], v[28:29]
	s_delay_alu instid0(VALU_DEP_2) | instskip(NEXT) | instid1(VALU_DEP_2)
	v_add_f64_e32 v[4:5], v[6:7], v[4:5]
	v_add_f64_e32 v[6:7], v[8:9], v[26:27]
	s_delay_alu instid0(VALU_DEP_2) | instskip(NEXT) | instid1(VALU_DEP_2)
	v_add_f64_e64 v[4:5], v[182:183], -v[4:5]
	v_add_f64_e64 v[6:7], v[184:185], -v[6:7]
	scratch_store_b128 off, v[4:7], off offset:752
	s_wait_xcnt 0x0
	v_cmpx_lt_u32_e32 46, v1
	s_cbranch_execz .LBB126_311
; %bb.310:
	scratch_load_b128 v[6:9], off, s35
	v_dual_mov_b32 v3, v2 :: v_dual_mov_b32 v4, v2
	v_mov_b32_e32 v5, v2
	scratch_store_b128 off, v[2:5], off offset:736
	s_wait_loadcnt 0x0
	ds_store_b128 v20, v[6:9]
.LBB126_311:
	s_wait_xcnt 0x0
	s_or_b32 exec_lo, exec_lo, s2
	s_wait_storecnt_dscnt 0x0
	s_barrier_signal -1
	s_barrier_wait -1
	s_clause 0x9
	scratch_load_b128 v[4:7], off, off offset:752
	scratch_load_b128 v[8:11], off, off offset:768
	;; [unrolled: 1-line block ×10, first 2 shown]
	ds_load_b128 v[174:177], v2 offset:1760
	ds_load_b128 v[182:185], v2 offset:1776
	s_clause 0x2
	scratch_load_b128 v[178:181], off, off offset:912
	scratch_load_b128 v[186:189], off, off offset:736
	;; [unrolled: 1-line block ×3, first 2 shown]
	s_mov_b32 s2, exec_lo
	s_wait_loadcnt_dscnt 0xc01
	v_mul_f64_e32 v[30:31], v[176:177], v[6:7]
	v_mul_f64_e32 v[198:199], v[174:175], v[6:7]
	s_wait_loadcnt_dscnt 0xb00
	v_mul_f64_e32 v[200:201], v[182:183], v[10:11]
	v_mul_f64_e32 v[10:11], v[184:185], v[10:11]
	s_delay_alu instid0(VALU_DEP_4) | instskip(NEXT) | instid1(VALU_DEP_4)
	v_fma_f64 v[30:31], v[174:175], v[4:5], -v[30:31]
	v_fmac_f64_e32 v[198:199], v[176:177], v[4:5]
	ds_load_b128 v[4:7], v2 offset:1792
	ds_load_b128 v[174:177], v2 offset:1808
	scratch_load_b128 v[194:197], off, off offset:944
	v_fmac_f64_e32 v[200:201], v[184:185], v[8:9]
	v_fma_f64 v[182:183], v[182:183], v[8:9], -v[10:11]
	scratch_load_b128 v[8:11], off, off offset:960
	s_wait_loadcnt_dscnt 0xc01
	v_mul_f64_e32 v[202:203], v[4:5], v[14:15]
	v_mul_f64_e32 v[14:15], v[6:7], v[14:15]
	v_add_f64_e32 v[30:31], 0, v[30:31]
	v_add_f64_e32 v[184:185], 0, v[198:199]
	s_wait_loadcnt_dscnt 0xb00
	v_mul_f64_e32 v[198:199], v[174:175], v[18:19]
	v_mul_f64_e32 v[18:19], v[176:177], v[18:19]
	v_fmac_f64_e32 v[202:203], v[6:7], v[12:13]
	v_fma_f64 v[204:205], v[4:5], v[12:13], -v[14:15]
	ds_load_b128 v[4:7], v2 offset:1824
	ds_load_b128 v[12:15], v2 offset:1840
	v_add_f64_e32 v[30:31], v[30:31], v[182:183]
	v_add_f64_e32 v[200:201], v[184:185], v[200:201]
	scratch_load_b128 v[182:185], off, off offset:976
	v_fmac_f64_e32 v[198:199], v[176:177], v[16:17]
	v_fma_f64 v[174:175], v[174:175], v[16:17], -v[18:19]
	scratch_load_b128 v[16:19], off, off offset:992
	s_wait_loadcnt_dscnt 0xc01
	v_mul_f64_e32 v[206:207], v[4:5], v[24:25]
	v_mul_f64_e32 v[24:25], v[6:7], v[24:25]
	v_add_f64_e32 v[30:31], v[30:31], v[204:205]
	v_add_f64_e32 v[176:177], v[200:201], v[202:203]
	s_wait_loadcnt_dscnt 0xb00
	v_mul_f64_e32 v[200:201], v[12:13], v[28:29]
	v_mul_f64_e32 v[28:29], v[14:15], v[28:29]
	v_fmac_f64_e32 v[206:207], v[6:7], v[22:23]
	v_fma_f64 v[202:203], v[4:5], v[22:23], -v[24:25]
	ds_load_b128 v[4:7], v2 offset:1856
	ds_load_b128 v[22:25], v2 offset:1872
	v_add_f64_e32 v[30:31], v[30:31], v[174:175]
	v_add_f64_e32 v[174:175], v[176:177], v[198:199]
	s_wait_loadcnt_dscnt 0xa01
	v_mul_f64_e32 v[176:177], v[4:5], v[160:161]
	v_mul_f64_e32 v[160:161], v[6:7], v[160:161]
	v_fmac_f64_e32 v[200:201], v[14:15], v[26:27]
	v_fma_f64 v[12:13], v[12:13], v[26:27], -v[28:29]
	s_wait_loadcnt_dscnt 0x900
	v_mul_f64_e32 v[28:29], v[22:23], v[164:165]
	v_add_f64_e32 v[14:15], v[30:31], v[202:203]
	v_add_f64_e32 v[26:27], v[174:175], v[206:207]
	v_mul_f64_e32 v[30:31], v[24:25], v[164:165]
	v_fmac_f64_e32 v[176:177], v[6:7], v[158:159]
	v_fma_f64 v[158:159], v[4:5], v[158:159], -v[160:161]
	v_fmac_f64_e32 v[28:29], v[24:25], v[162:163]
	v_add_f64_e32 v[160:161], v[14:15], v[12:13]
	v_add_f64_e32 v[26:27], v[26:27], v[200:201]
	ds_load_b128 v[4:7], v2 offset:1888
	ds_load_b128 v[12:15], v2 offset:1904
	v_fma_f64 v[22:23], v[22:23], v[162:163], -v[30:31]
	s_wait_loadcnt_dscnt 0x801
	v_mul_f64_e32 v[164:165], v[4:5], v[168:169]
	v_mul_f64_e32 v[168:169], v[6:7], v[168:169]
	s_wait_loadcnt_dscnt 0x700
	v_mul_f64_e32 v[30:31], v[12:13], v[172:173]
	v_add_f64_e32 v[24:25], v[160:161], v[158:159]
	v_add_f64_e32 v[26:27], v[26:27], v[176:177]
	v_mul_f64_e32 v[158:159], v[14:15], v[172:173]
	v_fmac_f64_e32 v[164:165], v[6:7], v[166:167]
	v_fma_f64 v[160:161], v[4:5], v[166:167], -v[168:169]
	v_fmac_f64_e32 v[30:31], v[14:15], v[170:171]
	v_add_f64_e32 v[162:163], v[24:25], v[22:23]
	v_add_f64_e32 v[26:27], v[26:27], v[28:29]
	ds_load_b128 v[4:7], v2 offset:1920
	ds_load_b128 v[22:25], v2 offset:1936
	v_fma_f64 v[12:13], v[12:13], v[170:171], -v[158:159]
	s_wait_loadcnt_dscnt 0x601
	v_mul_f64_e32 v[28:29], v[4:5], v[180:181]
	v_mul_f64_e32 v[166:167], v[6:7], v[180:181]
	;; [unrolled: 16-line block ×3, first 2 shown]
	v_add_f64_e32 v[24:25], v[164:165], v[162:163]
	v_add_f64_e32 v[26:27], v[26:27], v[28:29]
	s_wait_loadcnt_dscnt 0x200
	v_mul_f64_e32 v[28:29], v[12:13], v[10:11]
	v_mul_f64_e32 v[10:11], v[14:15], v[10:11]
	v_fmac_f64_e32 v[30:31], v[6:7], v[194:195]
	v_fma_f64 v[160:161], v[4:5], v[194:195], -v[166:167]
	v_add_f64_e32 v[162:163], v[24:25], v[22:23]
	v_add_f64_e32 v[26:27], v[26:27], v[158:159]
	ds_load_b128 v[4:7], v2 offset:1984
	ds_load_b128 v[22:25], v2 offset:2000
	v_fmac_f64_e32 v[28:29], v[14:15], v[8:9]
	v_fma_f64 v[8:9], v[12:13], v[8:9], -v[10:11]
	s_wait_loadcnt_dscnt 0x101
	v_mul_f64_e32 v[2:3], v[4:5], v[184:185]
	v_mul_f64_e32 v[158:159], v[6:7], v[184:185]
	s_wait_loadcnt_dscnt 0x0
	v_mul_f64_e32 v[14:15], v[22:23], v[18:19]
	v_mul_f64_e32 v[18:19], v[24:25], v[18:19]
	v_add_f64_e32 v[10:11], v[162:163], v[160:161]
	v_add_f64_e32 v[12:13], v[26:27], v[30:31]
	v_fmac_f64_e32 v[2:3], v[6:7], v[182:183]
	v_fma_f64 v[4:5], v[4:5], v[182:183], -v[158:159]
	v_fmac_f64_e32 v[14:15], v[24:25], v[16:17]
	v_add_f64_e32 v[6:7], v[10:11], v[8:9]
	v_add_f64_e32 v[8:9], v[12:13], v[28:29]
	v_fma_f64 v[10:11], v[22:23], v[16:17], -v[18:19]
	s_delay_alu instid0(VALU_DEP_3) | instskip(NEXT) | instid1(VALU_DEP_3)
	v_add_f64_e32 v[4:5], v[6:7], v[4:5]
	v_add_f64_e32 v[2:3], v[8:9], v[2:3]
	s_delay_alu instid0(VALU_DEP_2) | instskip(NEXT) | instid1(VALU_DEP_2)
	v_add_f64_e32 v[4:5], v[4:5], v[10:11]
	v_add_f64_e32 v[6:7], v[2:3], v[14:15]
	s_delay_alu instid0(VALU_DEP_2) | instskip(NEXT) | instid1(VALU_DEP_2)
	v_add_f64_e64 v[2:3], v[186:187], -v[4:5]
	v_add_f64_e64 v[4:5], v[188:189], -v[6:7]
	scratch_store_b128 off, v[2:5], off offset:736
	s_wait_xcnt 0x0
	v_cmpx_lt_u32_e32 45, v1
	s_cbranch_execz .LBB126_313
; %bb.312:
	scratch_load_b128 v[2:5], off, s36
	v_mov_b32_e32 v6, 0
	s_delay_alu instid0(VALU_DEP_1)
	v_dual_mov_b32 v7, v6 :: v_dual_mov_b32 v8, v6
	v_mov_b32_e32 v9, v6
	scratch_store_b128 off, v[6:9], off offset:720
	s_wait_loadcnt 0x0
	ds_store_b128 v20, v[2:5]
.LBB126_313:
	s_wait_xcnt 0x0
	s_or_b32 exec_lo, exec_lo, s2
	s_wait_storecnt_dscnt 0x0
	s_barrier_signal -1
	s_barrier_wait -1
	s_clause 0x9
	scratch_load_b128 v[4:7], off, off offset:736
	scratch_load_b128 v[8:11], off, off offset:752
	;; [unrolled: 1-line block ×10, first 2 shown]
	v_mov_b32_e32 v2, 0
	s_mov_b32 s2, exec_lo
	ds_load_b128 v[174:177], v2 offset:1744
	s_clause 0x2
	scratch_load_b128 v[178:181], off, off offset:896
	scratch_load_b128 v[182:185], off, off offset:720
	;; [unrolled: 1-line block ×3, first 2 shown]
	s_wait_loadcnt_dscnt 0xc00
	v_mul_f64_e32 v[30:31], v[176:177], v[6:7]
	v_mul_f64_e32 v[198:199], v[174:175], v[6:7]
	ds_load_b128 v[186:189], v2 offset:1760
	ds_load_b128 v[194:197], v2 offset:1792
	v_fma_f64 v[30:31], v[174:175], v[4:5], -v[30:31]
	v_fmac_f64_e32 v[198:199], v[176:177], v[4:5]
	ds_load_b128 v[4:7], v2 offset:1776
	s_wait_loadcnt_dscnt 0xb02
	v_mul_f64_e32 v[200:201], v[186:187], v[10:11]
	v_mul_f64_e32 v[10:11], v[188:189], v[10:11]
	scratch_load_b128 v[174:177], off, off offset:928
	s_wait_loadcnt_dscnt 0xb00
	v_mul_f64_e32 v[202:203], v[4:5], v[14:15]
	v_mul_f64_e32 v[14:15], v[6:7], v[14:15]
	v_add_f64_e32 v[30:31], 0, v[30:31]
	v_fmac_f64_e32 v[200:201], v[188:189], v[8:9]
	v_fma_f64 v[186:187], v[186:187], v[8:9], -v[10:11]
	v_add_f64_e32 v[188:189], 0, v[198:199]
	scratch_load_b128 v[8:11], off, off offset:944
	v_fmac_f64_e32 v[202:203], v[6:7], v[12:13]
	v_fma_f64 v[204:205], v[4:5], v[12:13], -v[14:15]
	ds_load_b128 v[4:7], v2 offset:1808
	s_wait_loadcnt 0xb
	v_mul_f64_e32 v[198:199], v[194:195], v[18:19]
	v_mul_f64_e32 v[18:19], v[196:197], v[18:19]
	scratch_load_b128 v[12:15], off, off offset:960
	v_add_f64_e32 v[30:31], v[30:31], v[186:187]
	v_add_f64_e32 v[200:201], v[188:189], v[200:201]
	ds_load_b128 v[186:189], v2 offset:1824
	s_wait_loadcnt_dscnt 0xb01
	v_mul_f64_e32 v[206:207], v[4:5], v[24:25]
	v_mul_f64_e32 v[24:25], v[6:7], v[24:25]
	v_fmac_f64_e32 v[198:199], v[196:197], v[16:17]
	v_fma_f64 v[194:195], v[194:195], v[16:17], -v[18:19]
	scratch_load_b128 v[16:19], off, off offset:976
	v_add_f64_e32 v[30:31], v[30:31], v[204:205]
	v_add_f64_e32 v[196:197], v[200:201], v[202:203]
	v_fmac_f64_e32 v[206:207], v[6:7], v[22:23]
	v_fma_f64 v[204:205], v[4:5], v[22:23], -v[24:25]
	ds_load_b128 v[4:7], v2 offset:1840
	s_wait_loadcnt_dscnt 0xb01
	v_mul_f64_e32 v[200:201], v[186:187], v[28:29]
	v_mul_f64_e32 v[202:203], v[188:189], v[28:29]
	scratch_load_b128 v[22:25], off, off offset:992
	v_add_f64_e32 v[194:195], v[30:31], v[194:195]
	v_add_f64_e32 v[196:197], v[196:197], v[198:199]
	s_wait_loadcnt_dscnt 0xb00
	v_mul_f64_e32 v[198:199], v[4:5], v[160:161]
	v_mul_f64_e32 v[160:161], v[6:7], v[160:161]
	ds_load_b128 v[28:31], v2 offset:1856
	v_fmac_f64_e32 v[200:201], v[188:189], v[26:27]
	v_fma_f64 v[26:27], v[186:187], v[26:27], -v[202:203]
	v_add_f64_e32 v[186:187], v[194:195], v[204:205]
	v_add_f64_e32 v[188:189], v[196:197], v[206:207]
	s_wait_loadcnt_dscnt 0xa00
	v_mul_f64_e32 v[194:195], v[28:29], v[164:165]
	v_mul_f64_e32 v[164:165], v[30:31], v[164:165]
	v_fmac_f64_e32 v[198:199], v[6:7], v[158:159]
	v_fma_f64 v[196:197], v[4:5], v[158:159], -v[160:161]
	ds_load_b128 v[4:7], v2 offset:1872
	ds_load_b128 v[158:161], v2 offset:1888
	v_add_f64_e32 v[26:27], v[186:187], v[26:27]
	v_add_f64_e32 v[186:187], v[188:189], v[200:201]
	s_wait_loadcnt_dscnt 0x901
	v_mul_f64_e32 v[188:189], v[4:5], v[168:169]
	v_mul_f64_e32 v[168:169], v[6:7], v[168:169]
	v_fmac_f64_e32 v[194:195], v[30:31], v[162:163]
	v_fma_f64 v[28:29], v[28:29], v[162:163], -v[164:165]
	s_wait_loadcnt_dscnt 0x800
	v_mul_f64_e32 v[162:163], v[158:159], v[172:173]
	v_mul_f64_e32 v[164:165], v[160:161], v[172:173]
	v_add_f64_e32 v[26:27], v[26:27], v[196:197]
	v_add_f64_e32 v[30:31], v[186:187], v[198:199]
	v_fmac_f64_e32 v[188:189], v[6:7], v[166:167]
	v_fma_f64 v[166:167], v[4:5], v[166:167], -v[168:169]
	v_fmac_f64_e32 v[162:163], v[160:161], v[170:171]
	v_fma_f64 v[158:159], v[158:159], v[170:171], -v[164:165]
	v_add_f64_e32 v[168:169], v[26:27], v[28:29]
	v_add_f64_e32 v[30:31], v[30:31], v[194:195]
	ds_load_b128 v[4:7], v2 offset:1904
	ds_load_b128 v[26:29], v2 offset:1920
	s_wait_loadcnt_dscnt 0x701
	v_mul_f64_e32 v[172:173], v[4:5], v[180:181]
	v_mul_f64_e32 v[180:181], v[6:7], v[180:181]
	s_wait_loadcnt_dscnt 0x500
	v_mul_f64_e32 v[164:165], v[26:27], v[192:193]
	v_add_f64_e32 v[160:161], v[168:169], v[166:167]
	v_add_f64_e32 v[30:31], v[30:31], v[188:189]
	v_mul_f64_e32 v[166:167], v[28:29], v[192:193]
	v_fmac_f64_e32 v[172:173], v[6:7], v[178:179]
	v_fma_f64 v[168:169], v[4:5], v[178:179], -v[180:181]
	v_fmac_f64_e32 v[164:165], v[28:29], v[190:191]
	v_add_f64_e32 v[170:171], v[160:161], v[158:159]
	v_add_f64_e32 v[30:31], v[30:31], v[162:163]
	ds_load_b128 v[4:7], v2 offset:1936
	ds_load_b128 v[158:161], v2 offset:1952
	v_fma_f64 v[26:27], v[26:27], v[190:191], -v[166:167]
	s_wait_loadcnt_dscnt 0x401
	v_mul_f64_e32 v[162:163], v[4:5], v[176:177]
	v_mul_f64_e32 v[176:177], v[6:7], v[176:177]
	v_add_f64_e32 v[28:29], v[170:171], v[168:169]
	v_add_f64_e32 v[30:31], v[30:31], v[172:173]
	s_wait_loadcnt_dscnt 0x300
	v_mul_f64_e32 v[166:167], v[158:159], v[10:11]
	v_mul_f64_e32 v[10:11], v[160:161], v[10:11]
	v_fmac_f64_e32 v[162:163], v[6:7], v[174:175]
	v_fma_f64 v[168:169], v[4:5], v[174:175], -v[176:177]
	v_add_f64_e32 v[170:171], v[28:29], v[26:27]
	v_add_f64_e32 v[30:31], v[30:31], v[164:165]
	ds_load_b128 v[4:7], v2 offset:1968
	ds_load_b128 v[26:29], v2 offset:1984
	v_fmac_f64_e32 v[166:167], v[160:161], v[8:9]
	v_fma_f64 v[8:9], v[158:159], v[8:9], -v[10:11]
	s_wait_loadcnt_dscnt 0x201
	v_mul_f64_e32 v[164:165], v[4:5], v[14:15]
	v_mul_f64_e32 v[14:15], v[6:7], v[14:15]
	s_wait_loadcnt_dscnt 0x100
	v_mul_f64_e32 v[158:159], v[26:27], v[18:19]
	v_mul_f64_e32 v[18:19], v[28:29], v[18:19]
	v_add_f64_e32 v[10:11], v[170:171], v[168:169]
	v_add_f64_e32 v[30:31], v[30:31], v[162:163]
	v_fmac_f64_e32 v[164:165], v[6:7], v[12:13]
	v_fma_f64 v[12:13], v[4:5], v[12:13], -v[14:15]
	ds_load_b128 v[4:7], v2 offset:2000
	v_fmac_f64_e32 v[158:159], v[28:29], v[16:17]
	v_fma_f64 v[16:17], v[26:27], v[16:17], -v[18:19]
	v_add_f64_e32 v[8:9], v[10:11], v[8:9]
	v_add_f64_e32 v[10:11], v[30:31], v[166:167]
	s_wait_loadcnt_dscnt 0x0
	v_mul_f64_e32 v[14:15], v[4:5], v[24:25]
	v_mul_f64_e32 v[24:25], v[6:7], v[24:25]
	s_delay_alu instid0(VALU_DEP_4) | instskip(NEXT) | instid1(VALU_DEP_4)
	v_add_f64_e32 v[8:9], v[8:9], v[12:13]
	v_add_f64_e32 v[10:11], v[10:11], v[164:165]
	s_delay_alu instid0(VALU_DEP_4) | instskip(NEXT) | instid1(VALU_DEP_4)
	v_fmac_f64_e32 v[14:15], v[6:7], v[22:23]
	v_fma_f64 v[4:5], v[4:5], v[22:23], -v[24:25]
	s_delay_alu instid0(VALU_DEP_4) | instskip(NEXT) | instid1(VALU_DEP_4)
	v_add_f64_e32 v[6:7], v[8:9], v[16:17]
	v_add_f64_e32 v[8:9], v[10:11], v[158:159]
	s_delay_alu instid0(VALU_DEP_2) | instskip(NEXT) | instid1(VALU_DEP_2)
	v_add_f64_e32 v[4:5], v[6:7], v[4:5]
	v_add_f64_e32 v[6:7], v[8:9], v[14:15]
	s_delay_alu instid0(VALU_DEP_2) | instskip(NEXT) | instid1(VALU_DEP_2)
	v_add_f64_e64 v[4:5], v[182:183], -v[4:5]
	v_add_f64_e64 v[6:7], v[184:185], -v[6:7]
	scratch_store_b128 off, v[4:7], off offset:720
	s_wait_xcnt 0x0
	v_cmpx_lt_u32_e32 44, v1
	s_cbranch_execz .LBB126_315
; %bb.314:
	scratch_load_b128 v[6:9], off, s37
	v_dual_mov_b32 v3, v2 :: v_dual_mov_b32 v4, v2
	v_mov_b32_e32 v5, v2
	scratch_store_b128 off, v[2:5], off offset:704
	s_wait_loadcnt 0x0
	ds_store_b128 v20, v[6:9]
.LBB126_315:
	s_wait_xcnt 0x0
	s_or_b32 exec_lo, exec_lo, s2
	s_wait_storecnt_dscnt 0x0
	s_barrier_signal -1
	s_barrier_wait -1
	s_clause 0x9
	scratch_load_b128 v[4:7], off, off offset:720
	scratch_load_b128 v[8:11], off, off offset:736
	;; [unrolled: 1-line block ×10, first 2 shown]
	ds_load_b128 v[174:177], v2 offset:1728
	ds_load_b128 v[182:185], v2 offset:1744
	s_clause 0x2
	scratch_load_b128 v[178:181], off, off offset:880
	scratch_load_b128 v[186:189], off, off offset:704
	;; [unrolled: 1-line block ×3, first 2 shown]
	s_mov_b32 s2, exec_lo
	s_wait_loadcnt_dscnt 0xc01
	v_mul_f64_e32 v[30:31], v[176:177], v[6:7]
	v_mul_f64_e32 v[198:199], v[174:175], v[6:7]
	s_wait_loadcnt_dscnt 0xb00
	v_mul_f64_e32 v[200:201], v[182:183], v[10:11]
	v_mul_f64_e32 v[10:11], v[184:185], v[10:11]
	s_delay_alu instid0(VALU_DEP_4) | instskip(NEXT) | instid1(VALU_DEP_4)
	v_fma_f64 v[30:31], v[174:175], v[4:5], -v[30:31]
	v_fmac_f64_e32 v[198:199], v[176:177], v[4:5]
	ds_load_b128 v[4:7], v2 offset:1760
	ds_load_b128 v[174:177], v2 offset:1776
	scratch_load_b128 v[194:197], off, off offset:912
	v_fmac_f64_e32 v[200:201], v[184:185], v[8:9]
	v_fma_f64 v[182:183], v[182:183], v[8:9], -v[10:11]
	scratch_load_b128 v[8:11], off, off offset:928
	s_wait_loadcnt_dscnt 0xc01
	v_mul_f64_e32 v[202:203], v[4:5], v[14:15]
	v_mul_f64_e32 v[14:15], v[6:7], v[14:15]
	v_add_f64_e32 v[30:31], 0, v[30:31]
	v_add_f64_e32 v[184:185], 0, v[198:199]
	s_wait_loadcnt_dscnt 0xb00
	v_mul_f64_e32 v[198:199], v[174:175], v[18:19]
	v_mul_f64_e32 v[18:19], v[176:177], v[18:19]
	v_fmac_f64_e32 v[202:203], v[6:7], v[12:13]
	v_fma_f64 v[204:205], v[4:5], v[12:13], -v[14:15]
	ds_load_b128 v[4:7], v2 offset:1792
	ds_load_b128 v[12:15], v2 offset:1808
	v_add_f64_e32 v[30:31], v[30:31], v[182:183]
	v_add_f64_e32 v[200:201], v[184:185], v[200:201]
	scratch_load_b128 v[182:185], off, off offset:944
	v_fmac_f64_e32 v[198:199], v[176:177], v[16:17]
	v_fma_f64 v[174:175], v[174:175], v[16:17], -v[18:19]
	scratch_load_b128 v[16:19], off, off offset:960
	s_wait_loadcnt_dscnt 0xc01
	v_mul_f64_e32 v[206:207], v[4:5], v[24:25]
	v_mul_f64_e32 v[24:25], v[6:7], v[24:25]
	v_add_f64_e32 v[30:31], v[30:31], v[204:205]
	v_add_f64_e32 v[176:177], v[200:201], v[202:203]
	s_wait_loadcnt_dscnt 0xb00
	v_mul_f64_e32 v[200:201], v[12:13], v[28:29]
	v_mul_f64_e32 v[202:203], v[14:15], v[28:29]
	v_fmac_f64_e32 v[206:207], v[6:7], v[22:23]
	v_fma_f64 v[204:205], v[4:5], v[22:23], -v[24:25]
	ds_load_b128 v[4:7], v2 offset:1824
	ds_load_b128 v[22:25], v2 offset:1840
	v_add_f64_e32 v[174:175], v[30:31], v[174:175]
	v_add_f64_e32 v[176:177], v[176:177], v[198:199]
	scratch_load_b128 v[28:31], off, off offset:976
	s_wait_loadcnt_dscnt 0xb01
	v_mul_f64_e32 v[198:199], v[4:5], v[160:161]
	v_mul_f64_e32 v[160:161], v[6:7], v[160:161]
	v_fmac_f64_e32 v[200:201], v[14:15], v[26:27]
	v_fma_f64 v[26:27], v[12:13], v[26:27], -v[202:203]
	scratch_load_b128 v[12:15], off, off offset:992
	s_wait_loadcnt_dscnt 0xb00
	v_mul_f64_e32 v[202:203], v[22:23], v[164:165]
	v_mul_f64_e32 v[164:165], v[24:25], v[164:165]
	v_add_f64_e32 v[174:175], v[174:175], v[204:205]
	v_add_f64_e32 v[176:177], v[176:177], v[206:207]
	v_fmac_f64_e32 v[198:199], v[6:7], v[158:159]
	v_fma_f64 v[204:205], v[4:5], v[158:159], -v[160:161]
	ds_load_b128 v[4:7], v2 offset:1856
	ds_load_b128 v[158:161], v2 offset:1872
	v_fmac_f64_e32 v[202:203], v[24:25], v[162:163]
	v_fma_f64 v[22:23], v[22:23], v[162:163], -v[164:165]
	s_wait_loadcnt_dscnt 0x900
	v_mul_f64_e32 v[162:163], v[158:159], v[172:173]
	v_mul_f64_e32 v[164:165], v[160:161], v[172:173]
	v_add_f64_e32 v[26:27], v[174:175], v[26:27]
	v_add_f64_e32 v[174:175], v[176:177], v[200:201]
	v_mul_f64_e32 v[176:177], v[4:5], v[168:169]
	v_mul_f64_e32 v[168:169], v[6:7], v[168:169]
	v_fmac_f64_e32 v[162:163], v[160:161], v[170:171]
	v_fma_f64 v[158:159], v[158:159], v[170:171], -v[164:165]
	v_add_f64_e32 v[24:25], v[26:27], v[204:205]
	v_add_f64_e32 v[26:27], v[174:175], v[198:199]
	v_fmac_f64_e32 v[176:177], v[6:7], v[166:167]
	v_fma_f64 v[166:167], v[4:5], v[166:167], -v[168:169]
	s_delay_alu instid0(VALU_DEP_4) | instskip(NEXT) | instid1(VALU_DEP_4)
	v_add_f64_e32 v[168:169], v[24:25], v[22:23]
	v_add_f64_e32 v[26:27], v[26:27], v[202:203]
	ds_load_b128 v[4:7], v2 offset:1888
	ds_load_b128 v[22:25], v2 offset:1904
	s_wait_loadcnt_dscnt 0x801
	v_mul_f64_e32 v[172:173], v[4:5], v[180:181]
	v_mul_f64_e32 v[174:175], v[6:7], v[180:181]
	s_wait_loadcnt_dscnt 0x600
	v_mul_f64_e32 v[164:165], v[22:23], v[192:193]
	v_add_f64_e32 v[160:161], v[168:169], v[166:167]
	v_add_f64_e32 v[26:27], v[26:27], v[176:177]
	v_mul_f64_e32 v[166:167], v[24:25], v[192:193]
	v_fmac_f64_e32 v[172:173], v[6:7], v[178:179]
	v_fma_f64 v[168:169], v[4:5], v[178:179], -v[174:175]
	v_fmac_f64_e32 v[164:165], v[24:25], v[190:191]
	v_add_f64_e32 v[170:171], v[160:161], v[158:159]
	v_add_f64_e32 v[26:27], v[26:27], v[162:163]
	ds_load_b128 v[4:7], v2 offset:1920
	ds_load_b128 v[158:161], v2 offset:1936
	v_fma_f64 v[22:23], v[22:23], v[190:191], -v[166:167]
	s_wait_loadcnt_dscnt 0x501
	v_mul_f64_e32 v[162:163], v[4:5], v[196:197]
	v_mul_f64_e32 v[174:175], v[6:7], v[196:197]
	s_wait_loadcnt_dscnt 0x400
	v_mul_f64_e32 v[166:167], v[158:159], v[10:11]
	v_mul_f64_e32 v[10:11], v[160:161], v[10:11]
	v_add_f64_e32 v[24:25], v[170:171], v[168:169]
	v_add_f64_e32 v[26:27], v[26:27], v[172:173]
	v_fmac_f64_e32 v[162:163], v[6:7], v[194:195]
	v_fma_f64 v[168:169], v[4:5], v[194:195], -v[174:175]
	v_fmac_f64_e32 v[166:167], v[160:161], v[8:9]
	v_fma_f64 v[8:9], v[158:159], v[8:9], -v[10:11]
	v_add_f64_e32 v[170:171], v[24:25], v[22:23]
	v_add_f64_e32 v[26:27], v[26:27], v[164:165]
	ds_load_b128 v[4:7], v2 offset:1952
	ds_load_b128 v[22:25], v2 offset:1968
	s_wait_loadcnt_dscnt 0x301
	v_mul_f64_e32 v[164:165], v[4:5], v[184:185]
	v_mul_f64_e32 v[172:173], v[6:7], v[184:185]
	s_wait_loadcnt_dscnt 0x200
	v_mul_f64_e32 v[158:159], v[22:23], v[18:19]
	v_mul_f64_e32 v[18:19], v[24:25], v[18:19]
	v_add_f64_e32 v[10:11], v[170:171], v[168:169]
	v_add_f64_e32 v[26:27], v[26:27], v[162:163]
	v_fmac_f64_e32 v[164:165], v[6:7], v[182:183]
	v_fma_f64 v[160:161], v[4:5], v[182:183], -v[172:173]
	v_fmac_f64_e32 v[158:159], v[24:25], v[16:17]
	v_fma_f64 v[16:17], v[22:23], v[16:17], -v[18:19]
	v_add_f64_e32 v[162:163], v[10:11], v[8:9]
	v_add_f64_e32 v[26:27], v[26:27], v[166:167]
	ds_load_b128 v[4:7], v2 offset:1984
	ds_load_b128 v[8:11], v2 offset:2000
	s_wait_loadcnt_dscnt 0x101
	v_mul_f64_e32 v[2:3], v[4:5], v[30:31]
	v_mul_f64_e32 v[30:31], v[6:7], v[30:31]
	s_wait_loadcnt_dscnt 0x0
	v_mul_f64_e32 v[24:25], v[8:9], v[14:15]
	v_mul_f64_e32 v[14:15], v[10:11], v[14:15]
	v_add_f64_e32 v[18:19], v[162:163], v[160:161]
	v_add_f64_e32 v[22:23], v[26:27], v[164:165]
	v_fmac_f64_e32 v[2:3], v[6:7], v[28:29]
	v_fma_f64 v[4:5], v[4:5], v[28:29], -v[30:31]
	v_fmac_f64_e32 v[24:25], v[10:11], v[12:13]
	v_fma_f64 v[8:9], v[8:9], v[12:13], -v[14:15]
	v_add_f64_e32 v[6:7], v[18:19], v[16:17]
	v_add_f64_e32 v[16:17], v[22:23], v[158:159]
	s_delay_alu instid0(VALU_DEP_2) | instskip(NEXT) | instid1(VALU_DEP_2)
	v_add_f64_e32 v[4:5], v[6:7], v[4:5]
	v_add_f64_e32 v[2:3], v[16:17], v[2:3]
	s_delay_alu instid0(VALU_DEP_2) | instskip(NEXT) | instid1(VALU_DEP_2)
	v_add_f64_e32 v[4:5], v[4:5], v[8:9]
	v_add_f64_e32 v[6:7], v[2:3], v[24:25]
	s_delay_alu instid0(VALU_DEP_2) | instskip(NEXT) | instid1(VALU_DEP_2)
	v_add_f64_e64 v[2:3], v[186:187], -v[4:5]
	v_add_f64_e64 v[4:5], v[188:189], -v[6:7]
	scratch_store_b128 off, v[2:5], off offset:704
	s_wait_xcnt 0x0
	v_cmpx_lt_u32_e32 43, v1
	s_cbranch_execz .LBB126_317
; %bb.316:
	scratch_load_b128 v[2:5], off, s38
	v_mov_b32_e32 v6, 0
	s_delay_alu instid0(VALU_DEP_1)
	v_dual_mov_b32 v7, v6 :: v_dual_mov_b32 v8, v6
	v_mov_b32_e32 v9, v6
	scratch_store_b128 off, v[6:9], off offset:688
	s_wait_loadcnt 0x0
	ds_store_b128 v20, v[2:5]
.LBB126_317:
	s_wait_xcnt 0x0
	s_or_b32 exec_lo, exec_lo, s2
	s_wait_storecnt_dscnt 0x0
	s_barrier_signal -1
	s_barrier_wait -1
	s_clause 0x9
	scratch_load_b128 v[4:7], off, off offset:704
	scratch_load_b128 v[8:11], off, off offset:720
	;; [unrolled: 1-line block ×10, first 2 shown]
	v_mov_b32_e32 v2, 0
	s_mov_b32 s2, exec_lo
	ds_load_b128 v[174:177], v2 offset:1712
	s_clause 0x2
	scratch_load_b128 v[178:181], off, off offset:864
	scratch_load_b128 v[182:185], off, off offset:688
	;; [unrolled: 1-line block ×3, first 2 shown]
	s_wait_loadcnt_dscnt 0xc00
	v_mul_f64_e32 v[30:31], v[176:177], v[6:7]
	v_mul_f64_e32 v[198:199], v[174:175], v[6:7]
	ds_load_b128 v[186:189], v2 offset:1728
	ds_load_b128 v[194:197], v2 offset:1760
	v_fma_f64 v[30:31], v[174:175], v[4:5], -v[30:31]
	v_fmac_f64_e32 v[198:199], v[176:177], v[4:5]
	ds_load_b128 v[4:7], v2 offset:1744
	s_wait_loadcnt_dscnt 0xb02
	v_mul_f64_e32 v[200:201], v[186:187], v[10:11]
	v_mul_f64_e32 v[10:11], v[188:189], v[10:11]
	scratch_load_b128 v[174:177], off, off offset:896
	s_wait_loadcnt_dscnt 0xb00
	v_mul_f64_e32 v[202:203], v[4:5], v[14:15]
	v_mul_f64_e32 v[14:15], v[6:7], v[14:15]
	v_add_f64_e32 v[30:31], 0, v[30:31]
	v_fmac_f64_e32 v[200:201], v[188:189], v[8:9]
	v_fma_f64 v[186:187], v[186:187], v[8:9], -v[10:11]
	v_add_f64_e32 v[188:189], 0, v[198:199]
	scratch_load_b128 v[8:11], off, off offset:912
	v_fmac_f64_e32 v[202:203], v[6:7], v[12:13]
	v_fma_f64 v[204:205], v[4:5], v[12:13], -v[14:15]
	ds_load_b128 v[4:7], v2 offset:1776
	s_wait_loadcnt 0xb
	v_mul_f64_e32 v[198:199], v[194:195], v[18:19]
	v_mul_f64_e32 v[18:19], v[196:197], v[18:19]
	scratch_load_b128 v[12:15], off, off offset:928
	v_add_f64_e32 v[30:31], v[30:31], v[186:187]
	v_add_f64_e32 v[200:201], v[188:189], v[200:201]
	ds_load_b128 v[186:189], v2 offset:1792
	s_wait_loadcnt_dscnt 0xb01
	v_mul_f64_e32 v[206:207], v[4:5], v[24:25]
	v_mul_f64_e32 v[24:25], v[6:7], v[24:25]
	v_fmac_f64_e32 v[198:199], v[196:197], v[16:17]
	v_fma_f64 v[194:195], v[194:195], v[16:17], -v[18:19]
	scratch_load_b128 v[16:19], off, off offset:944
	v_add_f64_e32 v[30:31], v[30:31], v[204:205]
	v_add_f64_e32 v[196:197], v[200:201], v[202:203]
	v_fmac_f64_e32 v[206:207], v[6:7], v[22:23]
	v_fma_f64 v[204:205], v[4:5], v[22:23], -v[24:25]
	ds_load_b128 v[4:7], v2 offset:1808
	s_wait_loadcnt_dscnt 0xb01
	v_mul_f64_e32 v[200:201], v[186:187], v[28:29]
	v_mul_f64_e32 v[202:203], v[188:189], v[28:29]
	scratch_load_b128 v[22:25], off, off offset:960
	v_add_f64_e32 v[194:195], v[30:31], v[194:195]
	v_add_f64_e32 v[196:197], v[196:197], v[198:199]
	s_wait_loadcnt_dscnt 0xb00
	v_mul_f64_e32 v[198:199], v[4:5], v[160:161]
	v_mul_f64_e32 v[160:161], v[6:7], v[160:161]
	ds_load_b128 v[28:31], v2 offset:1824
	v_fmac_f64_e32 v[200:201], v[188:189], v[26:27]
	v_fma_f64 v[26:27], v[186:187], v[26:27], -v[202:203]
	scratch_load_b128 v[186:189], off, off offset:976
	v_add_f64_e32 v[194:195], v[194:195], v[204:205]
	v_add_f64_e32 v[196:197], v[196:197], v[206:207]
	v_fmac_f64_e32 v[198:199], v[6:7], v[158:159]
	v_fma_f64 v[204:205], v[4:5], v[158:159], -v[160:161]
	ds_load_b128 v[4:7], v2 offset:1840
	s_wait_loadcnt_dscnt 0xb01
	v_mul_f64_e32 v[202:203], v[28:29], v[164:165]
	v_mul_f64_e32 v[164:165], v[30:31], v[164:165]
	scratch_load_b128 v[158:161], off, off offset:992
	s_wait_loadcnt_dscnt 0xb00
	v_mul_f64_e32 v[206:207], v[4:5], v[168:169]
	v_mul_f64_e32 v[168:169], v[6:7], v[168:169]
	v_add_f64_e32 v[26:27], v[194:195], v[26:27]
	v_add_f64_e32 v[200:201], v[196:197], v[200:201]
	ds_load_b128 v[194:197], v2 offset:1856
	v_fmac_f64_e32 v[202:203], v[30:31], v[162:163]
	v_fma_f64 v[28:29], v[28:29], v[162:163], -v[164:165]
	s_wait_loadcnt_dscnt 0xa00
	v_mul_f64_e32 v[162:163], v[194:195], v[172:173]
	v_mul_f64_e32 v[164:165], v[196:197], v[172:173]
	v_fmac_f64_e32 v[206:207], v[6:7], v[166:167]
	v_fma_f64 v[166:167], v[4:5], v[166:167], -v[168:169]
	v_add_f64_e32 v[26:27], v[26:27], v[204:205]
	v_add_f64_e32 v[30:31], v[200:201], v[198:199]
	v_fmac_f64_e32 v[162:163], v[196:197], v[170:171]
	v_fma_f64 v[164:165], v[194:195], v[170:171], -v[164:165]
	s_delay_alu instid0(VALU_DEP_4) | instskip(NEXT) | instid1(VALU_DEP_4)
	v_add_f64_e32 v[168:169], v[26:27], v[28:29]
	v_add_f64_e32 v[30:31], v[30:31], v[202:203]
	ds_load_b128 v[4:7], v2 offset:1872
	ds_load_b128 v[26:29], v2 offset:1888
	s_wait_loadcnt_dscnt 0x901
	v_mul_f64_e32 v[172:173], v[4:5], v[180:181]
	v_mul_f64_e32 v[180:181], v[6:7], v[180:181]
	s_wait_loadcnt_dscnt 0x700
	v_mul_f64_e32 v[170:171], v[28:29], v[192:193]
	v_add_f64_e32 v[166:167], v[168:169], v[166:167]
	v_add_f64_e32 v[30:31], v[30:31], v[206:207]
	v_mul_f64_e32 v[168:169], v[26:27], v[192:193]
	v_fmac_f64_e32 v[172:173], v[6:7], v[178:179]
	v_fma_f64 v[178:179], v[4:5], v[178:179], -v[180:181]
	v_fma_f64 v[26:27], v[26:27], v[190:191], -v[170:171]
	v_add_f64_e32 v[166:167], v[166:167], v[164:165]
	v_add_f64_e32 v[30:31], v[30:31], v[162:163]
	ds_load_b128 v[4:7], v2 offset:1904
	ds_load_b128 v[162:165], v2 offset:1920
	v_fmac_f64_e32 v[168:169], v[28:29], v[190:191]
	s_wait_loadcnt_dscnt 0x601
	v_mul_f64_e32 v[180:181], v[4:5], v[176:177]
	v_mul_f64_e32 v[176:177], v[6:7], v[176:177]
	v_add_f64_e32 v[28:29], v[166:167], v[178:179]
	v_add_f64_e32 v[30:31], v[30:31], v[172:173]
	s_wait_loadcnt_dscnt 0x500
	v_mul_f64_e32 v[166:167], v[162:163], v[10:11]
	v_mul_f64_e32 v[10:11], v[164:165], v[10:11]
	v_fmac_f64_e32 v[180:181], v[6:7], v[174:175]
	v_fma_f64 v[170:171], v[4:5], v[174:175], -v[176:177]
	v_add_f64_e32 v[172:173], v[28:29], v[26:27]
	v_add_f64_e32 v[30:31], v[30:31], v[168:169]
	ds_load_b128 v[4:7], v2 offset:1936
	ds_load_b128 v[26:29], v2 offset:1952
	v_fmac_f64_e32 v[166:167], v[164:165], v[8:9]
	v_fma_f64 v[8:9], v[162:163], v[8:9], -v[10:11]
	s_wait_loadcnt_dscnt 0x401
	v_mul_f64_e32 v[168:169], v[4:5], v[14:15]
	v_mul_f64_e32 v[14:15], v[6:7], v[14:15]
	s_wait_loadcnt_dscnt 0x300
	v_mul_f64_e32 v[162:163], v[26:27], v[18:19]
	v_mul_f64_e32 v[18:19], v[28:29], v[18:19]
	v_add_f64_e32 v[10:11], v[172:173], v[170:171]
	v_add_f64_e32 v[30:31], v[30:31], v[180:181]
	v_fmac_f64_e32 v[168:169], v[6:7], v[12:13]
	v_fma_f64 v[12:13], v[4:5], v[12:13], -v[14:15]
	v_fmac_f64_e32 v[162:163], v[28:29], v[16:17]
	v_fma_f64 v[16:17], v[26:27], v[16:17], -v[18:19]
	v_add_f64_e32 v[14:15], v[10:11], v[8:9]
	v_add_f64_e32 v[30:31], v[30:31], v[166:167]
	ds_load_b128 v[4:7], v2 offset:1968
	ds_load_b128 v[8:11], v2 offset:1984
	s_wait_loadcnt_dscnt 0x201
	v_mul_f64_e32 v[164:165], v[4:5], v[24:25]
	v_mul_f64_e32 v[24:25], v[6:7], v[24:25]
	s_wait_loadcnt_dscnt 0x100
	v_mul_f64_e32 v[18:19], v[8:9], v[188:189]
	v_mul_f64_e32 v[26:27], v[10:11], v[188:189]
	v_add_f64_e32 v[12:13], v[14:15], v[12:13]
	v_add_f64_e32 v[14:15], v[30:31], v[168:169]
	v_fmac_f64_e32 v[164:165], v[6:7], v[22:23]
	v_fma_f64 v[22:23], v[4:5], v[22:23], -v[24:25]
	ds_load_b128 v[4:7], v2 offset:2000
	v_fmac_f64_e32 v[18:19], v[10:11], v[186:187]
	v_fma_f64 v[8:9], v[8:9], v[186:187], -v[26:27]
	v_add_f64_e32 v[12:13], v[12:13], v[16:17]
	v_add_f64_e32 v[14:15], v[14:15], v[162:163]
	s_wait_loadcnt_dscnt 0x0
	v_mul_f64_e32 v[16:17], v[4:5], v[160:161]
	v_mul_f64_e32 v[24:25], v[6:7], v[160:161]
	s_delay_alu instid0(VALU_DEP_4) | instskip(NEXT) | instid1(VALU_DEP_4)
	v_add_f64_e32 v[10:11], v[12:13], v[22:23]
	v_add_f64_e32 v[12:13], v[14:15], v[164:165]
	s_delay_alu instid0(VALU_DEP_4) | instskip(NEXT) | instid1(VALU_DEP_4)
	v_fmac_f64_e32 v[16:17], v[6:7], v[158:159]
	v_fma_f64 v[4:5], v[4:5], v[158:159], -v[24:25]
	s_delay_alu instid0(VALU_DEP_4) | instskip(NEXT) | instid1(VALU_DEP_4)
	v_add_f64_e32 v[6:7], v[10:11], v[8:9]
	v_add_f64_e32 v[8:9], v[12:13], v[18:19]
	s_delay_alu instid0(VALU_DEP_2) | instskip(NEXT) | instid1(VALU_DEP_2)
	v_add_f64_e32 v[4:5], v[6:7], v[4:5]
	v_add_f64_e32 v[6:7], v[8:9], v[16:17]
	s_delay_alu instid0(VALU_DEP_2) | instskip(NEXT) | instid1(VALU_DEP_2)
	v_add_f64_e64 v[4:5], v[182:183], -v[4:5]
	v_add_f64_e64 v[6:7], v[184:185], -v[6:7]
	scratch_store_b128 off, v[4:7], off offset:688
	s_wait_xcnt 0x0
	v_cmpx_lt_u32_e32 42, v1
	s_cbranch_execz .LBB126_319
; %bb.318:
	scratch_load_b128 v[6:9], off, s39
	v_dual_mov_b32 v3, v2 :: v_dual_mov_b32 v4, v2
	v_mov_b32_e32 v5, v2
	scratch_store_b128 off, v[2:5], off offset:672
	s_wait_loadcnt 0x0
	ds_store_b128 v20, v[6:9]
.LBB126_319:
	s_wait_xcnt 0x0
	s_or_b32 exec_lo, exec_lo, s2
	s_wait_storecnt_dscnt 0x0
	s_barrier_signal -1
	s_barrier_wait -1
	s_clause 0x9
	scratch_load_b128 v[4:7], off, off offset:688
	scratch_load_b128 v[8:11], off, off offset:704
	;; [unrolled: 1-line block ×10, first 2 shown]
	ds_load_b128 v[174:177], v2 offset:1696
	ds_load_b128 v[182:185], v2 offset:1712
	s_clause 0x2
	scratch_load_b128 v[178:181], off, off offset:848
	scratch_load_b128 v[186:189], off, off offset:672
	;; [unrolled: 1-line block ×3, first 2 shown]
	s_mov_b32 s2, exec_lo
	s_wait_loadcnt_dscnt 0xc01
	v_mul_f64_e32 v[30:31], v[176:177], v[6:7]
	v_mul_f64_e32 v[198:199], v[174:175], v[6:7]
	s_wait_loadcnt_dscnt 0xb00
	v_mul_f64_e32 v[200:201], v[182:183], v[10:11]
	v_mul_f64_e32 v[10:11], v[184:185], v[10:11]
	s_delay_alu instid0(VALU_DEP_4) | instskip(NEXT) | instid1(VALU_DEP_4)
	v_fma_f64 v[30:31], v[174:175], v[4:5], -v[30:31]
	v_fmac_f64_e32 v[198:199], v[176:177], v[4:5]
	ds_load_b128 v[4:7], v2 offset:1728
	ds_load_b128 v[174:177], v2 offset:1744
	scratch_load_b128 v[194:197], off, off offset:880
	v_fmac_f64_e32 v[200:201], v[184:185], v[8:9]
	v_fma_f64 v[182:183], v[182:183], v[8:9], -v[10:11]
	scratch_load_b128 v[8:11], off, off offset:896
	s_wait_loadcnt_dscnt 0xc01
	v_mul_f64_e32 v[202:203], v[4:5], v[14:15]
	v_mul_f64_e32 v[14:15], v[6:7], v[14:15]
	v_add_f64_e32 v[30:31], 0, v[30:31]
	v_add_f64_e32 v[184:185], 0, v[198:199]
	s_wait_loadcnt_dscnt 0xb00
	v_mul_f64_e32 v[198:199], v[174:175], v[18:19]
	v_mul_f64_e32 v[18:19], v[176:177], v[18:19]
	v_fmac_f64_e32 v[202:203], v[6:7], v[12:13]
	v_fma_f64 v[204:205], v[4:5], v[12:13], -v[14:15]
	ds_load_b128 v[4:7], v2 offset:1760
	ds_load_b128 v[12:15], v2 offset:1776
	v_add_f64_e32 v[30:31], v[30:31], v[182:183]
	v_add_f64_e32 v[200:201], v[184:185], v[200:201]
	scratch_load_b128 v[182:185], off, off offset:912
	v_fmac_f64_e32 v[198:199], v[176:177], v[16:17]
	v_fma_f64 v[174:175], v[174:175], v[16:17], -v[18:19]
	scratch_load_b128 v[16:19], off, off offset:928
	s_wait_loadcnt_dscnt 0xc01
	v_mul_f64_e32 v[206:207], v[4:5], v[24:25]
	v_mul_f64_e32 v[24:25], v[6:7], v[24:25]
	v_add_f64_e32 v[30:31], v[30:31], v[204:205]
	v_add_f64_e32 v[176:177], v[200:201], v[202:203]
	s_wait_loadcnt_dscnt 0xb00
	v_mul_f64_e32 v[200:201], v[12:13], v[28:29]
	v_mul_f64_e32 v[202:203], v[14:15], v[28:29]
	v_fmac_f64_e32 v[206:207], v[6:7], v[22:23]
	v_fma_f64 v[204:205], v[4:5], v[22:23], -v[24:25]
	ds_load_b128 v[4:7], v2 offset:1792
	ds_load_b128 v[22:25], v2 offset:1808
	v_add_f64_e32 v[174:175], v[30:31], v[174:175]
	v_add_f64_e32 v[176:177], v[176:177], v[198:199]
	scratch_load_b128 v[28:31], off, off offset:944
	s_wait_loadcnt_dscnt 0xb01
	v_mul_f64_e32 v[198:199], v[4:5], v[160:161]
	v_mul_f64_e32 v[160:161], v[6:7], v[160:161]
	v_fmac_f64_e32 v[200:201], v[14:15], v[26:27]
	v_fma_f64 v[26:27], v[12:13], v[26:27], -v[202:203]
	scratch_load_b128 v[12:15], off, off offset:960
	s_wait_loadcnt_dscnt 0xb00
	v_mul_f64_e32 v[202:203], v[22:23], v[164:165]
	v_mul_f64_e32 v[164:165], v[24:25], v[164:165]
	v_add_f64_e32 v[174:175], v[174:175], v[204:205]
	v_add_f64_e32 v[176:177], v[176:177], v[206:207]
	v_fmac_f64_e32 v[198:199], v[6:7], v[158:159]
	v_fma_f64 v[204:205], v[4:5], v[158:159], -v[160:161]
	ds_load_b128 v[4:7], v2 offset:1824
	ds_load_b128 v[158:161], v2 offset:1840
	v_fmac_f64_e32 v[202:203], v[24:25], v[162:163]
	v_fma_f64 v[162:163], v[22:23], v[162:163], -v[164:165]
	scratch_load_b128 v[22:25], off, off offset:992
	s_wait_loadcnt_dscnt 0xb01
	v_mul_f64_e32 v[206:207], v[4:5], v[168:169]
	v_mul_f64_e32 v[168:169], v[6:7], v[168:169]
	v_add_f64_e32 v[26:27], v[174:175], v[26:27]
	v_add_f64_e32 v[200:201], v[176:177], v[200:201]
	scratch_load_b128 v[174:177], off, off offset:976
	v_fmac_f64_e32 v[206:207], v[6:7], v[166:167]
	v_fma_f64 v[166:167], v[4:5], v[166:167], -v[168:169]
	v_add_f64_e32 v[26:27], v[26:27], v[204:205]
	v_add_f64_e32 v[164:165], v[200:201], v[198:199]
	s_wait_loadcnt_dscnt 0xb00
	v_mul_f64_e32 v[198:199], v[158:159], v[172:173]
	v_mul_f64_e32 v[172:173], v[160:161], v[172:173]
	s_delay_alu instid0(VALU_DEP_4) | instskip(NEXT) | instid1(VALU_DEP_4)
	v_add_f64_e32 v[26:27], v[26:27], v[162:163]
	v_add_f64_e32 v[168:169], v[164:165], v[202:203]
	ds_load_b128 v[4:7], v2 offset:1856
	ds_load_b128 v[162:165], v2 offset:1872
	v_fmac_f64_e32 v[198:199], v[160:161], v[170:171]
	v_fma_f64 v[158:159], v[158:159], v[170:171], -v[172:173]
	s_wait_loadcnt_dscnt 0xa01
	v_mul_f64_e32 v[200:201], v[4:5], v[180:181]
	v_mul_f64_e32 v[180:181], v[6:7], v[180:181]
	v_add_f64_e32 v[26:27], v[26:27], v[166:167]
	v_add_f64_e32 v[160:161], v[168:169], v[206:207]
	s_wait_loadcnt_dscnt 0x800
	v_mul_f64_e32 v[166:167], v[162:163], v[192:193]
	v_mul_f64_e32 v[168:169], v[164:165], v[192:193]
	v_fmac_f64_e32 v[200:201], v[6:7], v[178:179]
	v_fma_f64 v[170:171], v[4:5], v[178:179], -v[180:181]
	v_add_f64_e32 v[26:27], v[26:27], v[158:159]
	v_add_f64_e32 v[172:173], v[160:161], v[198:199]
	ds_load_b128 v[4:7], v2 offset:1888
	ds_load_b128 v[158:161], v2 offset:1904
	v_fmac_f64_e32 v[166:167], v[164:165], v[190:191]
	v_fma_f64 v[162:163], v[162:163], v[190:191], -v[168:169]
	s_wait_loadcnt_dscnt 0x701
	v_mul_f64_e32 v[178:179], v[4:5], v[196:197]
	v_mul_f64_e32 v[180:181], v[6:7], v[196:197]
	s_wait_loadcnt_dscnt 0x600
	v_mul_f64_e32 v[168:169], v[158:159], v[10:11]
	v_mul_f64_e32 v[10:11], v[160:161], v[10:11]
	v_add_f64_e32 v[26:27], v[26:27], v[170:171]
	v_add_f64_e32 v[164:165], v[172:173], v[200:201]
	v_fmac_f64_e32 v[178:179], v[6:7], v[194:195]
	v_fma_f64 v[170:171], v[4:5], v[194:195], -v[180:181]
	v_fmac_f64_e32 v[168:169], v[160:161], v[8:9]
	v_fma_f64 v[8:9], v[158:159], v[8:9], -v[10:11]
	v_add_f64_e32 v[26:27], v[26:27], v[162:163]
	v_add_f64_e32 v[166:167], v[164:165], v[166:167]
	ds_load_b128 v[4:7], v2 offset:1920
	ds_load_b128 v[162:165], v2 offset:1936
	s_wait_loadcnt_dscnt 0x501
	v_mul_f64_e32 v[172:173], v[4:5], v[184:185]
	v_mul_f64_e32 v[180:181], v[6:7], v[184:185]
	s_wait_loadcnt_dscnt 0x400
	v_mul_f64_e32 v[158:159], v[162:163], v[18:19]
	v_mul_f64_e32 v[18:19], v[164:165], v[18:19]
	v_add_f64_e32 v[10:11], v[26:27], v[170:171]
	v_add_f64_e32 v[26:27], v[166:167], v[178:179]
	v_fmac_f64_e32 v[172:173], v[6:7], v[182:183]
	v_fma_f64 v[160:161], v[4:5], v[182:183], -v[180:181]
	v_fmac_f64_e32 v[158:159], v[164:165], v[16:17]
	v_fma_f64 v[16:17], v[162:163], v[16:17], -v[18:19]
	v_add_f64_e32 v[166:167], v[10:11], v[8:9]
	v_add_f64_e32 v[26:27], v[26:27], v[168:169]
	ds_load_b128 v[4:7], v2 offset:1952
	ds_load_b128 v[8:11], v2 offset:1968
	s_wait_loadcnt_dscnt 0x301
	v_mul_f64_e32 v[168:169], v[4:5], v[30:31]
	v_mul_f64_e32 v[30:31], v[6:7], v[30:31]
	s_wait_loadcnt_dscnt 0x200
	v_mul_f64_e32 v[162:163], v[10:11], v[14:15]
	v_add_f64_e32 v[18:19], v[166:167], v[160:161]
	v_add_f64_e32 v[26:27], v[26:27], v[172:173]
	v_mul_f64_e32 v[160:161], v[8:9], v[14:15]
	v_fmac_f64_e32 v[168:169], v[6:7], v[28:29]
	v_fma_f64 v[28:29], v[4:5], v[28:29], -v[30:31]
	v_fma_f64 v[8:9], v[8:9], v[12:13], -v[162:163]
	v_add_f64_e32 v[18:19], v[18:19], v[16:17]
	v_add_f64_e32 v[26:27], v[26:27], v[158:159]
	ds_load_b128 v[4:7], v2 offset:1984
	ds_load_b128 v[14:17], v2 offset:2000
	v_fmac_f64_e32 v[160:161], v[10:11], v[12:13]
	s_wait_loadcnt_dscnt 0x1
	v_mul_f64_e32 v[2:3], v[4:5], v[176:177]
	v_mul_f64_e32 v[30:31], v[6:7], v[176:177]
	v_add_f64_e32 v[10:11], v[18:19], v[28:29]
	v_add_f64_e32 v[12:13], v[26:27], v[168:169]
	s_wait_dscnt 0x0
	v_mul_f64_e32 v[18:19], v[14:15], v[24:25]
	v_mul_f64_e32 v[24:25], v[16:17], v[24:25]
	v_fmac_f64_e32 v[2:3], v[6:7], v[174:175]
	v_fma_f64 v[4:5], v[4:5], v[174:175], -v[30:31]
	v_add_f64_e32 v[6:7], v[10:11], v[8:9]
	v_add_f64_e32 v[8:9], v[12:13], v[160:161]
	v_fmac_f64_e32 v[18:19], v[16:17], v[22:23]
	v_fma_f64 v[10:11], v[14:15], v[22:23], -v[24:25]
	s_delay_alu instid0(VALU_DEP_4) | instskip(NEXT) | instid1(VALU_DEP_4)
	v_add_f64_e32 v[4:5], v[6:7], v[4:5]
	v_add_f64_e32 v[2:3], v[8:9], v[2:3]
	s_delay_alu instid0(VALU_DEP_2) | instskip(NEXT) | instid1(VALU_DEP_2)
	v_add_f64_e32 v[4:5], v[4:5], v[10:11]
	v_add_f64_e32 v[6:7], v[2:3], v[18:19]
	s_delay_alu instid0(VALU_DEP_2) | instskip(NEXT) | instid1(VALU_DEP_2)
	v_add_f64_e64 v[2:3], v[186:187], -v[4:5]
	v_add_f64_e64 v[4:5], v[188:189], -v[6:7]
	scratch_store_b128 off, v[2:5], off offset:672
	s_wait_xcnt 0x0
	v_cmpx_lt_u32_e32 41, v1
	s_cbranch_execz .LBB126_321
; %bb.320:
	scratch_load_b128 v[2:5], off, s40
	v_mov_b32_e32 v6, 0
	s_delay_alu instid0(VALU_DEP_1)
	v_dual_mov_b32 v7, v6 :: v_dual_mov_b32 v8, v6
	v_mov_b32_e32 v9, v6
	scratch_store_b128 off, v[6:9], off offset:656
	s_wait_loadcnt 0x0
	ds_store_b128 v20, v[2:5]
.LBB126_321:
	s_wait_xcnt 0x0
	s_or_b32 exec_lo, exec_lo, s2
	s_wait_storecnt_dscnt 0x0
	s_barrier_signal -1
	s_barrier_wait -1
	s_clause 0x9
	scratch_load_b128 v[4:7], off, off offset:672
	scratch_load_b128 v[8:11], off, off offset:688
	;; [unrolled: 1-line block ×10, first 2 shown]
	v_mov_b32_e32 v2, 0
	s_mov_b32 s2, exec_lo
	ds_load_b128 v[174:177], v2 offset:1680
	s_clause 0x2
	scratch_load_b128 v[178:181], off, off offset:832
	scratch_load_b128 v[182:185], off, off offset:656
	;; [unrolled: 1-line block ×3, first 2 shown]
	s_wait_loadcnt_dscnt 0xc00
	v_mul_f64_e32 v[30:31], v[176:177], v[6:7]
	v_mul_f64_e32 v[198:199], v[174:175], v[6:7]
	ds_load_b128 v[186:189], v2 offset:1696
	ds_load_b128 v[194:197], v2 offset:1728
	v_fma_f64 v[30:31], v[174:175], v[4:5], -v[30:31]
	v_fmac_f64_e32 v[198:199], v[176:177], v[4:5]
	ds_load_b128 v[4:7], v2 offset:1712
	s_wait_loadcnt_dscnt 0xb02
	v_mul_f64_e32 v[200:201], v[186:187], v[10:11]
	v_mul_f64_e32 v[10:11], v[188:189], v[10:11]
	scratch_load_b128 v[174:177], off, off offset:864
	s_wait_loadcnt_dscnt 0xb00
	v_mul_f64_e32 v[202:203], v[4:5], v[14:15]
	v_mul_f64_e32 v[14:15], v[6:7], v[14:15]
	v_add_f64_e32 v[30:31], 0, v[30:31]
	v_fmac_f64_e32 v[200:201], v[188:189], v[8:9]
	v_fma_f64 v[186:187], v[186:187], v[8:9], -v[10:11]
	v_add_f64_e32 v[188:189], 0, v[198:199]
	scratch_load_b128 v[8:11], off, off offset:880
	v_fmac_f64_e32 v[202:203], v[6:7], v[12:13]
	v_fma_f64 v[204:205], v[4:5], v[12:13], -v[14:15]
	ds_load_b128 v[4:7], v2 offset:1744
	s_wait_loadcnt 0xb
	v_mul_f64_e32 v[198:199], v[194:195], v[18:19]
	v_mul_f64_e32 v[18:19], v[196:197], v[18:19]
	scratch_load_b128 v[12:15], off, off offset:896
	v_add_f64_e32 v[30:31], v[30:31], v[186:187]
	v_add_f64_e32 v[200:201], v[188:189], v[200:201]
	ds_load_b128 v[186:189], v2 offset:1760
	s_wait_loadcnt_dscnt 0xb01
	v_mul_f64_e32 v[206:207], v[4:5], v[24:25]
	v_mul_f64_e32 v[24:25], v[6:7], v[24:25]
	v_fmac_f64_e32 v[198:199], v[196:197], v[16:17]
	v_fma_f64 v[194:195], v[194:195], v[16:17], -v[18:19]
	scratch_load_b128 v[16:19], off, off offset:912
	v_add_f64_e32 v[30:31], v[30:31], v[204:205]
	v_add_f64_e32 v[196:197], v[200:201], v[202:203]
	v_fmac_f64_e32 v[206:207], v[6:7], v[22:23]
	v_fma_f64 v[204:205], v[4:5], v[22:23], -v[24:25]
	ds_load_b128 v[4:7], v2 offset:1776
	s_wait_loadcnt_dscnt 0xb01
	v_mul_f64_e32 v[200:201], v[186:187], v[28:29]
	v_mul_f64_e32 v[202:203], v[188:189], v[28:29]
	scratch_load_b128 v[22:25], off, off offset:928
	v_add_f64_e32 v[194:195], v[30:31], v[194:195]
	v_add_f64_e32 v[196:197], v[196:197], v[198:199]
	s_wait_loadcnt_dscnt 0xb00
	v_mul_f64_e32 v[198:199], v[4:5], v[160:161]
	v_mul_f64_e32 v[160:161], v[6:7], v[160:161]
	ds_load_b128 v[28:31], v2 offset:1792
	v_fmac_f64_e32 v[200:201], v[188:189], v[26:27]
	v_fma_f64 v[26:27], v[186:187], v[26:27], -v[202:203]
	scratch_load_b128 v[186:189], off, off offset:944
	v_add_f64_e32 v[194:195], v[194:195], v[204:205]
	v_add_f64_e32 v[196:197], v[196:197], v[206:207]
	v_fmac_f64_e32 v[198:199], v[6:7], v[158:159]
	v_fma_f64 v[204:205], v[4:5], v[158:159], -v[160:161]
	ds_load_b128 v[4:7], v2 offset:1808
	s_wait_loadcnt_dscnt 0xb01
	v_mul_f64_e32 v[202:203], v[28:29], v[164:165]
	v_mul_f64_e32 v[164:165], v[30:31], v[164:165]
	scratch_load_b128 v[158:161], off, off offset:960
	s_wait_loadcnt_dscnt 0xb00
	v_mul_f64_e32 v[206:207], v[4:5], v[168:169]
	v_mul_f64_e32 v[168:169], v[6:7], v[168:169]
	v_add_f64_e32 v[26:27], v[194:195], v[26:27]
	v_add_f64_e32 v[200:201], v[196:197], v[200:201]
	ds_load_b128 v[194:197], v2 offset:1824
	v_fmac_f64_e32 v[202:203], v[30:31], v[162:163]
	v_fma_f64 v[30:31], v[28:29], v[162:163], -v[164:165]
	v_fmac_f64_e32 v[206:207], v[6:7], v[166:167]
	v_add_f64_e32 v[162:163], v[26:27], v[204:205]
	v_add_f64_e32 v[164:165], v[200:201], v[198:199]
	scratch_load_b128 v[26:29], off, off offset:976
	v_fma_f64 v[200:201], v[4:5], v[166:167], -v[168:169]
	ds_load_b128 v[4:7], v2 offset:1840
	s_wait_loadcnt_dscnt 0xb01
	v_mul_f64_e32 v[198:199], v[194:195], v[172:173]
	v_mul_f64_e32 v[172:173], v[196:197], v[172:173]
	ds_load_b128 v[166:169], v2 offset:1856
	s_wait_loadcnt_dscnt 0xa01
	v_mul_f64_e32 v[204:205], v[4:5], v[180:181]
	v_mul_f64_e32 v[180:181], v[6:7], v[180:181]
	v_add_f64_e32 v[30:31], v[162:163], v[30:31]
	v_add_f64_e32 v[202:203], v[164:165], v[202:203]
	scratch_load_b128 v[162:165], off, off offset:992
	v_fmac_f64_e32 v[198:199], v[196:197], v[170:171]
	v_fma_f64 v[170:171], v[194:195], v[170:171], -v[172:173]
	s_wait_loadcnt_dscnt 0x900
	v_mul_f64_e32 v[194:195], v[166:167], v[192:193]
	v_mul_f64_e32 v[192:193], v[168:169], v[192:193]
	v_fmac_f64_e32 v[204:205], v[6:7], v[178:179]
	v_fma_f64 v[178:179], v[4:5], v[178:179], -v[180:181]
	v_add_f64_e32 v[30:31], v[30:31], v[200:201]
	v_add_f64_e32 v[172:173], v[202:203], v[206:207]
	v_fmac_f64_e32 v[194:195], v[168:169], v[190:191]
	v_fma_f64 v[166:167], v[166:167], v[190:191], -v[192:193]
	s_delay_alu instid0(VALU_DEP_4) | instskip(NEXT) | instid1(VALU_DEP_4)
	v_add_f64_e32 v[30:31], v[30:31], v[170:171]
	v_add_f64_e32 v[180:181], v[172:173], v[198:199]
	ds_load_b128 v[4:7], v2 offset:1872
	ds_load_b128 v[170:173], v2 offset:1888
	s_wait_loadcnt_dscnt 0x801
	v_mul_f64_e32 v[196:197], v[4:5], v[176:177]
	v_mul_f64_e32 v[176:177], v[6:7], v[176:177]
	v_add_f64_e32 v[30:31], v[30:31], v[178:179]
	v_add_f64_e32 v[168:169], v[180:181], v[204:205]
	s_wait_loadcnt_dscnt 0x700
	v_mul_f64_e32 v[178:179], v[170:171], v[10:11]
	v_mul_f64_e32 v[10:11], v[172:173], v[10:11]
	v_fmac_f64_e32 v[196:197], v[6:7], v[174:175]
	v_fma_f64 v[174:175], v[4:5], v[174:175], -v[176:177]
	v_add_f64_e32 v[30:31], v[30:31], v[166:167]
	v_add_f64_e32 v[176:177], v[168:169], v[194:195]
	ds_load_b128 v[4:7], v2 offset:1904
	ds_load_b128 v[166:169], v2 offset:1920
	v_fmac_f64_e32 v[178:179], v[172:173], v[8:9]
	v_fma_f64 v[8:9], v[170:171], v[8:9], -v[10:11]
	s_wait_loadcnt_dscnt 0x601
	v_mul_f64_e32 v[180:181], v[4:5], v[14:15]
	v_mul_f64_e32 v[14:15], v[6:7], v[14:15]
	s_wait_loadcnt_dscnt 0x500
	v_mul_f64_e32 v[170:171], v[166:167], v[18:19]
	v_mul_f64_e32 v[18:19], v[168:169], v[18:19]
	v_add_f64_e32 v[10:11], v[30:31], v[174:175]
	v_add_f64_e32 v[30:31], v[176:177], v[196:197]
	v_fmac_f64_e32 v[180:181], v[6:7], v[12:13]
	v_fma_f64 v[12:13], v[4:5], v[12:13], -v[14:15]
	v_fmac_f64_e32 v[170:171], v[168:169], v[16:17]
	v_fma_f64 v[16:17], v[166:167], v[16:17], -v[18:19]
	v_add_f64_e32 v[14:15], v[10:11], v[8:9]
	v_add_f64_e32 v[30:31], v[30:31], v[178:179]
	ds_load_b128 v[4:7], v2 offset:1936
	ds_load_b128 v[8:11], v2 offset:1952
	s_wait_loadcnt_dscnt 0x401
	v_mul_f64_e32 v[172:173], v[4:5], v[24:25]
	v_mul_f64_e32 v[24:25], v[6:7], v[24:25]
	s_wait_loadcnt_dscnt 0x300
	v_mul_f64_e32 v[18:19], v[8:9], v[188:189]
	v_add_f64_e32 v[12:13], v[14:15], v[12:13]
	v_add_f64_e32 v[14:15], v[30:31], v[180:181]
	v_mul_f64_e32 v[30:31], v[10:11], v[188:189]
	v_fmac_f64_e32 v[172:173], v[6:7], v[22:23]
	v_fma_f64 v[22:23], v[4:5], v[22:23], -v[24:25]
	v_fmac_f64_e32 v[18:19], v[10:11], v[186:187]
	v_add_f64_e32 v[16:17], v[12:13], v[16:17]
	v_add_f64_e32 v[24:25], v[14:15], v[170:171]
	ds_load_b128 v[4:7], v2 offset:1968
	ds_load_b128 v[12:15], v2 offset:1984
	v_fma_f64 v[8:9], v[8:9], v[186:187], -v[30:31]
	s_wait_loadcnt_dscnt 0x201
	v_mul_f64_e32 v[166:167], v[4:5], v[160:161]
	v_mul_f64_e32 v[160:161], v[6:7], v[160:161]
	v_add_f64_e32 v[10:11], v[16:17], v[22:23]
	v_add_f64_e32 v[16:17], v[24:25], v[172:173]
	s_wait_loadcnt_dscnt 0x100
	v_mul_f64_e32 v[22:23], v[12:13], v[28:29]
	v_mul_f64_e32 v[24:25], v[14:15], v[28:29]
	v_fmac_f64_e32 v[166:167], v[6:7], v[158:159]
	v_fma_f64 v[28:29], v[4:5], v[158:159], -v[160:161]
	ds_load_b128 v[4:7], v2 offset:2000
	v_add_f64_e32 v[8:9], v[10:11], v[8:9]
	v_add_f64_e32 v[10:11], v[16:17], v[18:19]
	v_fmac_f64_e32 v[22:23], v[14:15], v[26:27]
	v_fma_f64 v[12:13], v[12:13], v[26:27], -v[24:25]
	s_wait_loadcnt_dscnt 0x0
	v_mul_f64_e32 v[16:17], v[4:5], v[164:165]
	v_mul_f64_e32 v[18:19], v[6:7], v[164:165]
	v_add_f64_e32 v[8:9], v[8:9], v[28:29]
	v_add_f64_e32 v[10:11], v[10:11], v[166:167]
	s_delay_alu instid0(VALU_DEP_4) | instskip(NEXT) | instid1(VALU_DEP_4)
	v_fmac_f64_e32 v[16:17], v[6:7], v[162:163]
	v_fma_f64 v[4:5], v[4:5], v[162:163], -v[18:19]
	s_delay_alu instid0(VALU_DEP_4) | instskip(NEXT) | instid1(VALU_DEP_4)
	v_add_f64_e32 v[6:7], v[8:9], v[12:13]
	v_add_f64_e32 v[8:9], v[10:11], v[22:23]
	s_delay_alu instid0(VALU_DEP_2) | instskip(NEXT) | instid1(VALU_DEP_2)
	v_add_f64_e32 v[4:5], v[6:7], v[4:5]
	v_add_f64_e32 v[6:7], v[8:9], v[16:17]
	s_delay_alu instid0(VALU_DEP_2) | instskip(NEXT) | instid1(VALU_DEP_2)
	v_add_f64_e64 v[4:5], v[182:183], -v[4:5]
	v_add_f64_e64 v[6:7], v[184:185], -v[6:7]
	scratch_store_b128 off, v[4:7], off offset:656
	s_wait_xcnt 0x0
	v_cmpx_lt_u32_e32 40, v1
	s_cbranch_execz .LBB126_323
; %bb.322:
	scratch_load_b128 v[6:9], off, s41
	v_dual_mov_b32 v3, v2 :: v_dual_mov_b32 v4, v2
	v_mov_b32_e32 v5, v2
	scratch_store_b128 off, v[2:5], off offset:640
	s_wait_loadcnt 0x0
	ds_store_b128 v20, v[6:9]
.LBB126_323:
	s_wait_xcnt 0x0
	s_or_b32 exec_lo, exec_lo, s2
	s_wait_storecnt_dscnt 0x0
	s_barrier_signal -1
	s_barrier_wait -1
	s_clause 0x9
	scratch_load_b128 v[4:7], off, off offset:656
	scratch_load_b128 v[8:11], off, off offset:672
	;; [unrolled: 1-line block ×10, first 2 shown]
	ds_load_b128 v[174:177], v2 offset:1664
	ds_load_b128 v[182:185], v2 offset:1680
	s_clause 0x2
	scratch_load_b128 v[178:181], off, off offset:816
	scratch_load_b128 v[186:189], off, off offset:640
	;; [unrolled: 1-line block ×3, first 2 shown]
	s_mov_b32 s2, exec_lo
	s_wait_loadcnt_dscnt 0xc01
	v_mul_f64_e32 v[30:31], v[176:177], v[6:7]
	v_mul_f64_e32 v[198:199], v[174:175], v[6:7]
	s_wait_loadcnt_dscnt 0xb00
	v_mul_f64_e32 v[200:201], v[182:183], v[10:11]
	v_mul_f64_e32 v[10:11], v[184:185], v[10:11]
	s_delay_alu instid0(VALU_DEP_4) | instskip(NEXT) | instid1(VALU_DEP_4)
	v_fma_f64 v[30:31], v[174:175], v[4:5], -v[30:31]
	v_fmac_f64_e32 v[198:199], v[176:177], v[4:5]
	ds_load_b128 v[4:7], v2 offset:1696
	ds_load_b128 v[174:177], v2 offset:1712
	scratch_load_b128 v[194:197], off, off offset:848
	v_fmac_f64_e32 v[200:201], v[184:185], v[8:9]
	v_fma_f64 v[182:183], v[182:183], v[8:9], -v[10:11]
	scratch_load_b128 v[8:11], off, off offset:864
	s_wait_loadcnt_dscnt 0xc01
	v_mul_f64_e32 v[202:203], v[4:5], v[14:15]
	v_mul_f64_e32 v[14:15], v[6:7], v[14:15]
	v_add_f64_e32 v[30:31], 0, v[30:31]
	v_add_f64_e32 v[184:185], 0, v[198:199]
	s_wait_loadcnt_dscnt 0xb00
	v_mul_f64_e32 v[198:199], v[174:175], v[18:19]
	v_mul_f64_e32 v[18:19], v[176:177], v[18:19]
	v_fmac_f64_e32 v[202:203], v[6:7], v[12:13]
	v_fma_f64 v[204:205], v[4:5], v[12:13], -v[14:15]
	ds_load_b128 v[4:7], v2 offset:1728
	ds_load_b128 v[12:15], v2 offset:1744
	v_add_f64_e32 v[30:31], v[30:31], v[182:183]
	v_add_f64_e32 v[200:201], v[184:185], v[200:201]
	scratch_load_b128 v[182:185], off, off offset:880
	v_fmac_f64_e32 v[198:199], v[176:177], v[16:17]
	v_fma_f64 v[174:175], v[174:175], v[16:17], -v[18:19]
	scratch_load_b128 v[16:19], off, off offset:896
	s_wait_loadcnt_dscnt 0xc01
	v_mul_f64_e32 v[206:207], v[4:5], v[24:25]
	v_mul_f64_e32 v[24:25], v[6:7], v[24:25]
	v_add_f64_e32 v[30:31], v[30:31], v[204:205]
	v_add_f64_e32 v[176:177], v[200:201], v[202:203]
	s_wait_loadcnt_dscnt 0xb00
	v_mul_f64_e32 v[200:201], v[12:13], v[28:29]
	v_mul_f64_e32 v[202:203], v[14:15], v[28:29]
	v_fmac_f64_e32 v[206:207], v[6:7], v[22:23]
	v_fma_f64 v[204:205], v[4:5], v[22:23], -v[24:25]
	ds_load_b128 v[4:7], v2 offset:1760
	ds_load_b128 v[22:25], v2 offset:1776
	v_add_f64_e32 v[174:175], v[30:31], v[174:175]
	v_add_f64_e32 v[176:177], v[176:177], v[198:199]
	scratch_load_b128 v[28:31], off, off offset:912
	s_wait_loadcnt_dscnt 0xb01
	v_mul_f64_e32 v[198:199], v[4:5], v[160:161]
	v_mul_f64_e32 v[160:161], v[6:7], v[160:161]
	v_fmac_f64_e32 v[200:201], v[14:15], v[26:27]
	v_fma_f64 v[26:27], v[12:13], v[26:27], -v[202:203]
	scratch_load_b128 v[12:15], off, off offset:928
	s_wait_loadcnt_dscnt 0xb00
	v_mul_f64_e32 v[202:203], v[22:23], v[164:165]
	v_mul_f64_e32 v[164:165], v[24:25], v[164:165]
	v_add_f64_e32 v[174:175], v[174:175], v[204:205]
	v_add_f64_e32 v[176:177], v[176:177], v[206:207]
	v_fmac_f64_e32 v[198:199], v[6:7], v[158:159]
	v_fma_f64 v[204:205], v[4:5], v[158:159], -v[160:161]
	ds_load_b128 v[4:7], v2 offset:1792
	ds_load_b128 v[158:161], v2 offset:1808
	v_fmac_f64_e32 v[202:203], v[24:25], v[162:163]
	v_fma_f64 v[162:163], v[22:23], v[162:163], -v[164:165]
	scratch_load_b128 v[22:25], off, off offset:960
	s_wait_loadcnt_dscnt 0xb01
	v_mul_f64_e32 v[206:207], v[4:5], v[168:169]
	v_mul_f64_e32 v[168:169], v[6:7], v[168:169]
	v_add_f64_e32 v[26:27], v[174:175], v[26:27]
	v_add_f64_e32 v[200:201], v[176:177], v[200:201]
	scratch_load_b128 v[174:177], off, off offset:944
	v_fmac_f64_e32 v[206:207], v[6:7], v[166:167]
	v_add_f64_e32 v[26:27], v[26:27], v[204:205]
	v_add_f64_e32 v[164:165], v[200:201], v[198:199]
	s_wait_loadcnt_dscnt 0xb00
	v_mul_f64_e32 v[198:199], v[158:159], v[172:173]
	v_mul_f64_e32 v[172:173], v[160:161], v[172:173]
	v_fma_f64 v[200:201], v[4:5], v[166:167], -v[168:169]
	v_add_f64_e32 v[26:27], v[26:27], v[162:163]
	v_add_f64_e32 v[202:203], v[164:165], v[202:203]
	ds_load_b128 v[4:7], v2 offset:1824
	ds_load_b128 v[162:165], v2 offset:1840
	scratch_load_b128 v[166:169], off, off offset:976
	v_fmac_f64_e32 v[198:199], v[160:161], v[170:171]
	v_fma_f64 v[170:171], v[158:159], v[170:171], -v[172:173]
	scratch_load_b128 v[158:161], off, off offset:992
	s_wait_loadcnt_dscnt 0xc01
	v_mul_f64_e32 v[204:205], v[4:5], v[180:181]
	v_mul_f64_e32 v[180:181], v[6:7], v[180:181]
	v_add_f64_e32 v[26:27], v[26:27], v[200:201]
	v_add_f64_e32 v[172:173], v[202:203], v[206:207]
	s_wait_loadcnt_dscnt 0xa00
	v_mul_f64_e32 v[200:201], v[162:163], v[192:193]
	v_mul_f64_e32 v[192:193], v[164:165], v[192:193]
	v_fmac_f64_e32 v[204:205], v[6:7], v[178:179]
	v_fma_f64 v[178:179], v[4:5], v[178:179], -v[180:181]
	v_add_f64_e32 v[26:27], v[26:27], v[170:171]
	v_add_f64_e32 v[180:181], v[172:173], v[198:199]
	ds_load_b128 v[4:7], v2 offset:1856
	ds_load_b128 v[170:173], v2 offset:1872
	v_fmac_f64_e32 v[200:201], v[164:165], v[190:191]
	v_fma_f64 v[162:163], v[162:163], v[190:191], -v[192:193]
	s_wait_loadcnt_dscnt 0x901
	v_mul_f64_e32 v[198:199], v[4:5], v[196:197]
	v_mul_f64_e32 v[196:197], v[6:7], v[196:197]
	v_add_f64_e32 v[26:27], v[26:27], v[178:179]
	v_add_f64_e32 v[164:165], v[180:181], v[204:205]
	s_wait_loadcnt_dscnt 0x800
	v_mul_f64_e32 v[178:179], v[170:171], v[10:11]
	v_mul_f64_e32 v[10:11], v[172:173], v[10:11]
	v_fmac_f64_e32 v[198:199], v[6:7], v[194:195]
	v_fma_f64 v[180:181], v[4:5], v[194:195], -v[196:197]
	v_add_f64_e32 v[26:27], v[26:27], v[162:163]
	v_add_f64_e32 v[190:191], v[164:165], v[200:201]
	ds_load_b128 v[4:7], v2 offset:1888
	ds_load_b128 v[162:165], v2 offset:1904
	v_fmac_f64_e32 v[178:179], v[172:173], v[8:9]
	v_fma_f64 v[8:9], v[170:171], v[8:9], -v[10:11]
	s_wait_loadcnt_dscnt 0x701
	v_mul_f64_e32 v[192:193], v[4:5], v[184:185]
	v_mul_f64_e32 v[184:185], v[6:7], v[184:185]
	s_wait_loadcnt_dscnt 0x600
	v_mul_f64_e32 v[170:171], v[162:163], v[18:19]
	v_mul_f64_e32 v[18:19], v[164:165], v[18:19]
	v_add_f64_e32 v[10:11], v[26:27], v[180:181]
	v_add_f64_e32 v[26:27], v[190:191], v[198:199]
	v_fmac_f64_e32 v[192:193], v[6:7], v[182:183]
	v_fma_f64 v[172:173], v[4:5], v[182:183], -v[184:185]
	v_fmac_f64_e32 v[170:171], v[164:165], v[16:17]
	v_fma_f64 v[16:17], v[162:163], v[16:17], -v[18:19]
	v_add_f64_e32 v[180:181], v[10:11], v[8:9]
	v_add_f64_e32 v[26:27], v[26:27], v[178:179]
	ds_load_b128 v[4:7], v2 offset:1920
	ds_load_b128 v[8:11], v2 offset:1936
	s_wait_loadcnt_dscnt 0x501
	v_mul_f64_e32 v[178:179], v[4:5], v[30:31]
	v_mul_f64_e32 v[30:31], v[6:7], v[30:31]
	s_wait_loadcnt_dscnt 0x400
	v_mul_f64_e32 v[162:163], v[8:9], v[14:15]
	v_mul_f64_e32 v[164:165], v[10:11], v[14:15]
	v_add_f64_e32 v[18:19], v[180:181], v[172:173]
	v_add_f64_e32 v[26:27], v[26:27], v[192:193]
	v_fmac_f64_e32 v[178:179], v[6:7], v[28:29]
	v_fma_f64 v[28:29], v[4:5], v[28:29], -v[30:31]
	v_fmac_f64_e32 v[162:163], v[10:11], v[12:13]
	v_fma_f64 v[8:9], v[8:9], v[12:13], -v[164:165]
	v_add_f64_e32 v[18:19], v[18:19], v[16:17]
	v_add_f64_e32 v[26:27], v[26:27], v[170:171]
	ds_load_b128 v[4:7], v2 offset:1952
	ds_load_b128 v[14:17], v2 offset:1968
	s_wait_loadcnt_dscnt 0x201
	v_mul_f64_e32 v[30:31], v[4:5], v[176:177]
	v_mul_f64_e32 v[170:171], v[6:7], v[176:177]
	v_add_f64_e32 v[10:11], v[18:19], v[28:29]
	v_add_f64_e32 v[12:13], v[26:27], v[178:179]
	s_wait_dscnt 0x0
	v_mul_f64_e32 v[18:19], v[14:15], v[24:25]
	v_mul_f64_e32 v[24:25], v[16:17], v[24:25]
	v_fmac_f64_e32 v[30:31], v[6:7], v[174:175]
	v_fma_f64 v[26:27], v[4:5], v[174:175], -v[170:171]
	v_add_f64_e32 v[28:29], v[10:11], v[8:9]
	v_add_f64_e32 v[12:13], v[12:13], v[162:163]
	ds_load_b128 v[4:7], v2 offset:1984
	ds_load_b128 v[8:11], v2 offset:2000
	v_fmac_f64_e32 v[18:19], v[16:17], v[22:23]
	v_fma_f64 v[14:15], v[14:15], v[22:23], -v[24:25]
	s_wait_loadcnt_dscnt 0x101
	v_mul_f64_e32 v[2:3], v[4:5], v[168:169]
	v_mul_f64_e32 v[162:163], v[6:7], v[168:169]
	s_wait_loadcnt_dscnt 0x0
	v_mul_f64_e32 v[22:23], v[8:9], v[160:161]
	v_mul_f64_e32 v[24:25], v[10:11], v[160:161]
	v_add_f64_e32 v[16:17], v[28:29], v[26:27]
	v_add_f64_e32 v[12:13], v[12:13], v[30:31]
	v_fmac_f64_e32 v[2:3], v[6:7], v[166:167]
	v_fma_f64 v[4:5], v[4:5], v[166:167], -v[162:163]
	v_fmac_f64_e32 v[22:23], v[10:11], v[158:159]
	v_fma_f64 v[8:9], v[8:9], v[158:159], -v[24:25]
	v_add_f64_e32 v[6:7], v[16:17], v[14:15]
	v_add_f64_e32 v[12:13], v[12:13], v[18:19]
	s_delay_alu instid0(VALU_DEP_2) | instskip(NEXT) | instid1(VALU_DEP_2)
	v_add_f64_e32 v[4:5], v[6:7], v[4:5]
	v_add_f64_e32 v[2:3], v[12:13], v[2:3]
	s_delay_alu instid0(VALU_DEP_2) | instskip(NEXT) | instid1(VALU_DEP_2)
	;; [unrolled: 3-line block ×3, first 2 shown]
	v_add_f64_e64 v[2:3], v[186:187], -v[4:5]
	v_add_f64_e64 v[4:5], v[188:189], -v[6:7]
	scratch_store_b128 off, v[2:5], off offset:640
	s_wait_xcnt 0x0
	v_cmpx_lt_u32_e32 39, v1
	s_cbranch_execz .LBB126_325
; %bb.324:
	scratch_load_b128 v[2:5], off, s42
	v_mov_b32_e32 v6, 0
	s_delay_alu instid0(VALU_DEP_1)
	v_dual_mov_b32 v7, v6 :: v_dual_mov_b32 v8, v6
	v_mov_b32_e32 v9, v6
	scratch_store_b128 off, v[6:9], off offset:624
	s_wait_loadcnt 0x0
	ds_store_b128 v20, v[2:5]
.LBB126_325:
	s_wait_xcnt 0x0
	s_or_b32 exec_lo, exec_lo, s2
	s_wait_storecnt_dscnt 0x0
	s_barrier_signal -1
	s_barrier_wait -1
	s_clause 0x9
	scratch_load_b128 v[4:7], off, off offset:640
	scratch_load_b128 v[8:11], off, off offset:656
	;; [unrolled: 1-line block ×10, first 2 shown]
	v_mov_b32_e32 v2, 0
	s_mov_b32 s2, exec_lo
	ds_load_b128 v[174:177], v2 offset:1648
	s_clause 0x2
	scratch_load_b128 v[178:181], off, off offset:800
	scratch_load_b128 v[182:185], off, off offset:624
	;; [unrolled: 1-line block ×3, first 2 shown]
	s_wait_loadcnt_dscnt 0xc00
	v_mul_f64_e32 v[30:31], v[176:177], v[6:7]
	v_mul_f64_e32 v[198:199], v[174:175], v[6:7]
	ds_load_b128 v[186:189], v2 offset:1664
	ds_load_b128 v[194:197], v2 offset:1696
	v_fma_f64 v[30:31], v[174:175], v[4:5], -v[30:31]
	v_fmac_f64_e32 v[198:199], v[176:177], v[4:5]
	ds_load_b128 v[4:7], v2 offset:1680
	s_wait_loadcnt_dscnt 0xb02
	v_mul_f64_e32 v[200:201], v[186:187], v[10:11]
	v_mul_f64_e32 v[10:11], v[188:189], v[10:11]
	scratch_load_b128 v[174:177], off, off offset:832
	s_wait_loadcnt_dscnt 0xb00
	v_mul_f64_e32 v[202:203], v[4:5], v[14:15]
	v_mul_f64_e32 v[14:15], v[6:7], v[14:15]
	v_add_f64_e32 v[30:31], 0, v[30:31]
	v_fmac_f64_e32 v[200:201], v[188:189], v[8:9]
	v_fma_f64 v[186:187], v[186:187], v[8:9], -v[10:11]
	v_add_f64_e32 v[188:189], 0, v[198:199]
	scratch_load_b128 v[8:11], off, off offset:848
	v_fmac_f64_e32 v[202:203], v[6:7], v[12:13]
	v_fma_f64 v[204:205], v[4:5], v[12:13], -v[14:15]
	ds_load_b128 v[4:7], v2 offset:1712
	s_wait_loadcnt 0xb
	v_mul_f64_e32 v[198:199], v[194:195], v[18:19]
	v_mul_f64_e32 v[18:19], v[196:197], v[18:19]
	scratch_load_b128 v[12:15], off, off offset:864
	v_add_f64_e32 v[30:31], v[30:31], v[186:187]
	v_add_f64_e32 v[200:201], v[188:189], v[200:201]
	ds_load_b128 v[186:189], v2 offset:1728
	s_wait_loadcnt_dscnt 0xb01
	v_mul_f64_e32 v[206:207], v[4:5], v[24:25]
	v_mul_f64_e32 v[24:25], v[6:7], v[24:25]
	v_fmac_f64_e32 v[198:199], v[196:197], v[16:17]
	v_fma_f64 v[194:195], v[194:195], v[16:17], -v[18:19]
	scratch_load_b128 v[16:19], off, off offset:880
	v_add_f64_e32 v[30:31], v[30:31], v[204:205]
	v_add_f64_e32 v[196:197], v[200:201], v[202:203]
	v_fmac_f64_e32 v[206:207], v[6:7], v[22:23]
	v_fma_f64 v[204:205], v[4:5], v[22:23], -v[24:25]
	ds_load_b128 v[4:7], v2 offset:1744
	s_wait_loadcnt_dscnt 0xb01
	v_mul_f64_e32 v[200:201], v[186:187], v[28:29]
	v_mul_f64_e32 v[202:203], v[188:189], v[28:29]
	scratch_load_b128 v[22:25], off, off offset:896
	v_add_f64_e32 v[194:195], v[30:31], v[194:195]
	v_add_f64_e32 v[196:197], v[196:197], v[198:199]
	s_wait_loadcnt_dscnt 0xb00
	v_mul_f64_e32 v[198:199], v[4:5], v[160:161]
	v_mul_f64_e32 v[160:161], v[6:7], v[160:161]
	ds_load_b128 v[28:31], v2 offset:1760
	v_fmac_f64_e32 v[200:201], v[188:189], v[26:27]
	v_fma_f64 v[26:27], v[186:187], v[26:27], -v[202:203]
	scratch_load_b128 v[186:189], off, off offset:912
	v_add_f64_e32 v[194:195], v[194:195], v[204:205]
	v_add_f64_e32 v[196:197], v[196:197], v[206:207]
	v_fmac_f64_e32 v[198:199], v[6:7], v[158:159]
	v_fma_f64 v[204:205], v[4:5], v[158:159], -v[160:161]
	ds_load_b128 v[4:7], v2 offset:1776
	s_wait_loadcnt_dscnt 0xb01
	v_mul_f64_e32 v[202:203], v[28:29], v[164:165]
	v_mul_f64_e32 v[164:165], v[30:31], v[164:165]
	scratch_load_b128 v[158:161], off, off offset:928
	s_wait_loadcnt_dscnt 0xb00
	v_mul_f64_e32 v[206:207], v[4:5], v[168:169]
	v_mul_f64_e32 v[168:169], v[6:7], v[168:169]
	v_add_f64_e32 v[26:27], v[194:195], v[26:27]
	v_add_f64_e32 v[200:201], v[196:197], v[200:201]
	ds_load_b128 v[194:197], v2 offset:1792
	v_fmac_f64_e32 v[202:203], v[30:31], v[162:163]
	v_fma_f64 v[30:31], v[28:29], v[162:163], -v[164:165]
	v_fmac_f64_e32 v[206:207], v[6:7], v[166:167]
	v_add_f64_e32 v[162:163], v[26:27], v[204:205]
	v_add_f64_e32 v[164:165], v[200:201], v[198:199]
	scratch_load_b128 v[26:29], off, off offset:944
	v_fma_f64 v[200:201], v[4:5], v[166:167], -v[168:169]
	ds_load_b128 v[4:7], v2 offset:1808
	s_wait_loadcnt_dscnt 0xb01
	v_mul_f64_e32 v[198:199], v[194:195], v[172:173]
	v_mul_f64_e32 v[172:173], v[196:197], v[172:173]
	ds_load_b128 v[166:169], v2 offset:1824
	s_wait_loadcnt_dscnt 0xa01
	v_mul_f64_e32 v[204:205], v[4:5], v[180:181]
	v_mul_f64_e32 v[180:181], v[6:7], v[180:181]
	v_add_f64_e32 v[30:31], v[162:163], v[30:31]
	v_add_f64_e32 v[202:203], v[164:165], v[202:203]
	scratch_load_b128 v[162:165], off, off offset:960
	v_fmac_f64_e32 v[198:199], v[196:197], v[170:171]
	v_fma_f64 v[194:195], v[194:195], v[170:171], -v[172:173]
	scratch_load_b128 v[170:173], off, off offset:976
	v_fmac_f64_e32 v[204:205], v[6:7], v[178:179]
	v_add_f64_e32 v[30:31], v[30:31], v[200:201]
	v_add_f64_e32 v[196:197], v[202:203], v[206:207]
	v_fma_f64 v[206:207], v[4:5], v[178:179], -v[180:181]
	ds_load_b128 v[4:7], v2 offset:1840
	s_wait_loadcnt_dscnt 0xa01
	v_mul_f64_e32 v[200:201], v[166:167], v[192:193]
	v_mul_f64_e32 v[202:203], v[168:169], v[192:193]
	scratch_load_b128 v[178:181], off, off offset:992
	v_add_f64_e32 v[30:31], v[30:31], v[194:195]
	v_add_f64_e32 v[196:197], v[196:197], v[198:199]
	s_wait_loadcnt_dscnt 0xa00
	v_mul_f64_e32 v[198:199], v[4:5], v[176:177]
	v_mul_f64_e32 v[176:177], v[6:7], v[176:177]
	v_fmac_f64_e32 v[200:201], v[168:169], v[190:191]
	v_fma_f64 v[166:167], v[166:167], v[190:191], -v[202:203]
	ds_load_b128 v[192:195], v2 offset:1856
	v_add_f64_e32 v[30:31], v[30:31], v[206:207]
	v_add_f64_e32 v[168:169], v[196:197], v[204:205]
	s_wait_loadcnt_dscnt 0x900
	v_mul_f64_e32 v[190:191], v[192:193], v[10:11]
	v_mul_f64_e32 v[10:11], v[194:195], v[10:11]
	v_fmac_f64_e32 v[198:199], v[6:7], v[174:175]
	v_fma_f64 v[174:175], v[4:5], v[174:175], -v[176:177]
	v_add_f64_e32 v[30:31], v[30:31], v[166:167]
	v_add_f64_e32 v[176:177], v[168:169], v[200:201]
	ds_load_b128 v[4:7], v2 offset:1872
	ds_load_b128 v[166:169], v2 offset:1888
	v_fmac_f64_e32 v[190:191], v[194:195], v[8:9]
	v_fma_f64 v[8:9], v[192:193], v[8:9], -v[10:11]
	s_wait_loadcnt_dscnt 0x801
	v_mul_f64_e32 v[196:197], v[4:5], v[14:15]
	v_mul_f64_e32 v[14:15], v[6:7], v[14:15]
	v_add_f64_e32 v[10:11], v[30:31], v[174:175]
	v_add_f64_e32 v[30:31], v[176:177], v[198:199]
	s_wait_loadcnt_dscnt 0x700
	v_mul_f64_e32 v[174:175], v[166:167], v[18:19]
	v_mul_f64_e32 v[18:19], v[168:169], v[18:19]
	v_fmac_f64_e32 v[196:197], v[6:7], v[12:13]
	v_fma_f64 v[12:13], v[4:5], v[12:13], -v[14:15]
	v_add_f64_e32 v[14:15], v[10:11], v[8:9]
	v_add_f64_e32 v[30:31], v[30:31], v[190:191]
	ds_load_b128 v[4:7], v2 offset:1904
	ds_load_b128 v[8:11], v2 offset:1920
	v_fmac_f64_e32 v[174:175], v[168:169], v[16:17]
	v_fma_f64 v[16:17], v[166:167], v[16:17], -v[18:19]
	s_wait_loadcnt_dscnt 0x601
	v_mul_f64_e32 v[176:177], v[4:5], v[24:25]
	v_mul_f64_e32 v[24:25], v[6:7], v[24:25]
	s_wait_loadcnt_dscnt 0x500
	v_mul_f64_e32 v[18:19], v[8:9], v[188:189]
	v_add_f64_e32 v[12:13], v[14:15], v[12:13]
	v_add_f64_e32 v[14:15], v[30:31], v[196:197]
	v_mul_f64_e32 v[30:31], v[10:11], v[188:189]
	v_fmac_f64_e32 v[176:177], v[6:7], v[22:23]
	v_fma_f64 v[22:23], v[4:5], v[22:23], -v[24:25]
	v_fmac_f64_e32 v[18:19], v[10:11], v[186:187]
	v_add_f64_e32 v[16:17], v[12:13], v[16:17]
	v_add_f64_e32 v[24:25], v[14:15], v[174:175]
	ds_load_b128 v[4:7], v2 offset:1936
	ds_load_b128 v[12:15], v2 offset:1952
	v_fma_f64 v[8:9], v[8:9], v[186:187], -v[30:31]
	s_wait_loadcnt_dscnt 0x401
	v_mul_f64_e32 v[166:167], v[4:5], v[160:161]
	v_mul_f64_e32 v[160:161], v[6:7], v[160:161]
	v_add_f64_e32 v[10:11], v[16:17], v[22:23]
	v_add_f64_e32 v[16:17], v[24:25], v[176:177]
	s_wait_loadcnt_dscnt 0x300
	v_mul_f64_e32 v[22:23], v[12:13], v[28:29]
	v_mul_f64_e32 v[24:25], v[14:15], v[28:29]
	v_fmac_f64_e32 v[166:167], v[6:7], v[158:159]
	v_fma_f64 v[28:29], v[4:5], v[158:159], -v[160:161]
	v_add_f64_e32 v[30:31], v[10:11], v[8:9]
	v_add_f64_e32 v[16:17], v[16:17], v[18:19]
	ds_load_b128 v[4:7], v2 offset:1968
	ds_load_b128 v[8:11], v2 offset:1984
	v_fmac_f64_e32 v[22:23], v[14:15], v[26:27]
	v_fma_f64 v[12:13], v[12:13], v[26:27], -v[24:25]
	s_wait_loadcnt_dscnt 0x201
	v_mul_f64_e32 v[18:19], v[4:5], v[164:165]
	v_mul_f64_e32 v[158:159], v[6:7], v[164:165]
	s_wait_loadcnt_dscnt 0x100
	v_mul_f64_e32 v[24:25], v[8:9], v[172:173]
	v_mul_f64_e32 v[26:27], v[10:11], v[172:173]
	v_add_f64_e32 v[14:15], v[30:31], v[28:29]
	v_add_f64_e32 v[16:17], v[16:17], v[166:167]
	v_fmac_f64_e32 v[18:19], v[6:7], v[162:163]
	v_fma_f64 v[28:29], v[4:5], v[162:163], -v[158:159]
	ds_load_b128 v[4:7], v2 offset:2000
	v_fmac_f64_e32 v[24:25], v[10:11], v[170:171]
	v_fma_f64 v[8:9], v[8:9], v[170:171], -v[26:27]
	v_add_f64_e32 v[12:13], v[14:15], v[12:13]
	v_add_f64_e32 v[14:15], v[16:17], v[22:23]
	s_wait_loadcnt_dscnt 0x0
	v_mul_f64_e32 v[16:17], v[4:5], v[180:181]
	v_mul_f64_e32 v[22:23], v[6:7], v[180:181]
	s_delay_alu instid0(VALU_DEP_4) | instskip(NEXT) | instid1(VALU_DEP_4)
	v_add_f64_e32 v[10:11], v[12:13], v[28:29]
	v_add_f64_e32 v[12:13], v[14:15], v[18:19]
	s_delay_alu instid0(VALU_DEP_4) | instskip(NEXT) | instid1(VALU_DEP_4)
	v_fmac_f64_e32 v[16:17], v[6:7], v[178:179]
	v_fma_f64 v[4:5], v[4:5], v[178:179], -v[22:23]
	s_delay_alu instid0(VALU_DEP_4) | instskip(NEXT) | instid1(VALU_DEP_4)
	v_add_f64_e32 v[6:7], v[10:11], v[8:9]
	v_add_f64_e32 v[8:9], v[12:13], v[24:25]
	s_delay_alu instid0(VALU_DEP_2) | instskip(NEXT) | instid1(VALU_DEP_2)
	v_add_f64_e32 v[4:5], v[6:7], v[4:5]
	v_add_f64_e32 v[6:7], v[8:9], v[16:17]
	s_delay_alu instid0(VALU_DEP_2) | instskip(NEXT) | instid1(VALU_DEP_2)
	v_add_f64_e64 v[4:5], v[182:183], -v[4:5]
	v_add_f64_e64 v[6:7], v[184:185], -v[6:7]
	scratch_store_b128 off, v[4:7], off offset:624
	s_wait_xcnt 0x0
	v_cmpx_lt_u32_e32 38, v1
	s_cbranch_execz .LBB126_327
; %bb.326:
	scratch_load_b128 v[6:9], off, s43
	v_dual_mov_b32 v3, v2 :: v_dual_mov_b32 v4, v2
	v_mov_b32_e32 v5, v2
	scratch_store_b128 off, v[2:5], off offset:608
	s_wait_loadcnt 0x0
	ds_store_b128 v20, v[6:9]
.LBB126_327:
	s_wait_xcnt 0x0
	s_or_b32 exec_lo, exec_lo, s2
	s_wait_storecnt_dscnt 0x0
	s_barrier_signal -1
	s_barrier_wait -1
	s_clause 0x9
	scratch_load_b128 v[4:7], off, off offset:624
	scratch_load_b128 v[8:11], off, off offset:640
	;; [unrolled: 1-line block ×10, first 2 shown]
	ds_load_b128 v[174:177], v2 offset:1632
	ds_load_b128 v[182:185], v2 offset:1648
	s_clause 0x2
	scratch_load_b128 v[178:181], off, off offset:784
	scratch_load_b128 v[186:189], off, off offset:608
	;; [unrolled: 1-line block ×3, first 2 shown]
	s_mov_b32 s2, exec_lo
	s_wait_loadcnt_dscnt 0xc01
	v_mul_f64_e32 v[30:31], v[176:177], v[6:7]
	v_mul_f64_e32 v[198:199], v[174:175], v[6:7]
	s_wait_loadcnt_dscnt 0xb00
	v_mul_f64_e32 v[200:201], v[182:183], v[10:11]
	v_mul_f64_e32 v[10:11], v[184:185], v[10:11]
	s_delay_alu instid0(VALU_DEP_4) | instskip(NEXT) | instid1(VALU_DEP_4)
	v_fma_f64 v[30:31], v[174:175], v[4:5], -v[30:31]
	v_fmac_f64_e32 v[198:199], v[176:177], v[4:5]
	ds_load_b128 v[4:7], v2 offset:1664
	ds_load_b128 v[174:177], v2 offset:1680
	scratch_load_b128 v[194:197], off, off offset:816
	v_fmac_f64_e32 v[200:201], v[184:185], v[8:9]
	v_fma_f64 v[182:183], v[182:183], v[8:9], -v[10:11]
	scratch_load_b128 v[8:11], off, off offset:832
	s_wait_loadcnt_dscnt 0xc01
	v_mul_f64_e32 v[202:203], v[4:5], v[14:15]
	v_mul_f64_e32 v[14:15], v[6:7], v[14:15]
	v_add_f64_e32 v[30:31], 0, v[30:31]
	v_add_f64_e32 v[184:185], 0, v[198:199]
	s_wait_loadcnt_dscnt 0xb00
	v_mul_f64_e32 v[198:199], v[174:175], v[18:19]
	v_mul_f64_e32 v[18:19], v[176:177], v[18:19]
	v_fmac_f64_e32 v[202:203], v[6:7], v[12:13]
	v_fma_f64 v[204:205], v[4:5], v[12:13], -v[14:15]
	ds_load_b128 v[4:7], v2 offset:1696
	ds_load_b128 v[12:15], v2 offset:1712
	v_add_f64_e32 v[30:31], v[30:31], v[182:183]
	v_add_f64_e32 v[200:201], v[184:185], v[200:201]
	scratch_load_b128 v[182:185], off, off offset:848
	v_fmac_f64_e32 v[198:199], v[176:177], v[16:17]
	v_fma_f64 v[174:175], v[174:175], v[16:17], -v[18:19]
	scratch_load_b128 v[16:19], off, off offset:864
	s_wait_loadcnt_dscnt 0xc01
	v_mul_f64_e32 v[206:207], v[4:5], v[24:25]
	v_mul_f64_e32 v[24:25], v[6:7], v[24:25]
	v_add_f64_e32 v[30:31], v[30:31], v[204:205]
	v_add_f64_e32 v[176:177], v[200:201], v[202:203]
	s_wait_loadcnt_dscnt 0xb00
	v_mul_f64_e32 v[200:201], v[12:13], v[28:29]
	v_mul_f64_e32 v[202:203], v[14:15], v[28:29]
	v_fmac_f64_e32 v[206:207], v[6:7], v[22:23]
	v_fma_f64 v[204:205], v[4:5], v[22:23], -v[24:25]
	ds_load_b128 v[4:7], v2 offset:1728
	ds_load_b128 v[22:25], v2 offset:1744
	v_add_f64_e32 v[174:175], v[30:31], v[174:175]
	v_add_f64_e32 v[176:177], v[176:177], v[198:199]
	scratch_load_b128 v[28:31], off, off offset:880
	s_wait_loadcnt_dscnt 0xb01
	v_mul_f64_e32 v[198:199], v[4:5], v[160:161]
	v_mul_f64_e32 v[160:161], v[6:7], v[160:161]
	v_fmac_f64_e32 v[200:201], v[14:15], v[26:27]
	v_fma_f64 v[26:27], v[12:13], v[26:27], -v[202:203]
	scratch_load_b128 v[12:15], off, off offset:896
	s_wait_loadcnt_dscnt 0xb00
	v_mul_f64_e32 v[202:203], v[22:23], v[164:165]
	v_mul_f64_e32 v[164:165], v[24:25], v[164:165]
	v_add_f64_e32 v[174:175], v[174:175], v[204:205]
	v_add_f64_e32 v[176:177], v[176:177], v[206:207]
	v_fmac_f64_e32 v[198:199], v[6:7], v[158:159]
	v_fma_f64 v[204:205], v[4:5], v[158:159], -v[160:161]
	ds_load_b128 v[4:7], v2 offset:1760
	ds_load_b128 v[158:161], v2 offset:1776
	v_fmac_f64_e32 v[202:203], v[24:25], v[162:163]
	v_fma_f64 v[162:163], v[22:23], v[162:163], -v[164:165]
	scratch_load_b128 v[22:25], off, off offset:928
	s_wait_loadcnt_dscnt 0xb01
	v_mul_f64_e32 v[206:207], v[4:5], v[168:169]
	v_mul_f64_e32 v[168:169], v[6:7], v[168:169]
	v_add_f64_e32 v[26:27], v[174:175], v[26:27]
	v_add_f64_e32 v[200:201], v[176:177], v[200:201]
	scratch_load_b128 v[174:177], off, off offset:912
	v_fmac_f64_e32 v[206:207], v[6:7], v[166:167]
	v_add_f64_e32 v[26:27], v[26:27], v[204:205]
	v_add_f64_e32 v[164:165], v[200:201], v[198:199]
	s_wait_loadcnt_dscnt 0xb00
	v_mul_f64_e32 v[198:199], v[158:159], v[172:173]
	v_mul_f64_e32 v[172:173], v[160:161], v[172:173]
	v_fma_f64 v[200:201], v[4:5], v[166:167], -v[168:169]
	v_add_f64_e32 v[26:27], v[26:27], v[162:163]
	v_add_f64_e32 v[202:203], v[164:165], v[202:203]
	ds_load_b128 v[4:7], v2 offset:1792
	ds_load_b128 v[162:165], v2 offset:1808
	scratch_load_b128 v[166:169], off, off offset:944
	v_fmac_f64_e32 v[198:199], v[160:161], v[170:171]
	v_fma_f64 v[170:171], v[158:159], v[170:171], -v[172:173]
	scratch_load_b128 v[158:161], off, off offset:960
	s_wait_loadcnt_dscnt 0xc01
	v_mul_f64_e32 v[204:205], v[4:5], v[180:181]
	v_mul_f64_e32 v[180:181], v[6:7], v[180:181]
	v_add_f64_e32 v[26:27], v[26:27], v[200:201]
	v_add_f64_e32 v[172:173], v[202:203], v[206:207]
	s_wait_loadcnt_dscnt 0xa00
	v_mul_f64_e32 v[200:201], v[162:163], v[192:193]
	v_mul_f64_e32 v[192:193], v[164:165], v[192:193]
	v_fmac_f64_e32 v[204:205], v[6:7], v[178:179]
	v_fma_f64 v[202:203], v[4:5], v[178:179], -v[180:181]
	v_add_f64_e32 v[26:27], v[26:27], v[170:171]
	v_add_f64_e32 v[198:199], v[172:173], v[198:199]
	ds_load_b128 v[4:7], v2 offset:1824
	ds_load_b128 v[170:173], v2 offset:1840
	scratch_load_b128 v[178:181], off, off offset:976
	v_fmac_f64_e32 v[200:201], v[164:165], v[190:191]
	v_fma_f64 v[190:191], v[162:163], v[190:191], -v[192:193]
	scratch_load_b128 v[162:165], off, off offset:992
	s_wait_loadcnt_dscnt 0xb01
	v_mul_f64_e32 v[206:207], v[4:5], v[196:197]
	v_mul_f64_e32 v[196:197], v[6:7], v[196:197]
	v_add_f64_e32 v[26:27], v[26:27], v[202:203]
	v_add_f64_e32 v[192:193], v[198:199], v[204:205]
	s_wait_loadcnt_dscnt 0xa00
	v_mul_f64_e32 v[198:199], v[170:171], v[10:11]
	v_mul_f64_e32 v[10:11], v[172:173], v[10:11]
	v_fmac_f64_e32 v[206:207], v[6:7], v[194:195]
	v_fma_f64 v[194:195], v[4:5], v[194:195], -v[196:197]
	v_add_f64_e32 v[26:27], v[26:27], v[190:191]
	v_add_f64_e32 v[196:197], v[192:193], v[200:201]
	ds_load_b128 v[4:7], v2 offset:1856
	ds_load_b128 v[190:193], v2 offset:1872
	v_fmac_f64_e32 v[198:199], v[172:173], v[8:9]
	v_fma_f64 v[8:9], v[170:171], v[8:9], -v[10:11]
	s_wait_loadcnt_dscnt 0x901
	v_mul_f64_e32 v[200:201], v[4:5], v[184:185]
	v_mul_f64_e32 v[184:185], v[6:7], v[184:185]
	s_wait_loadcnt_dscnt 0x800
	v_mul_f64_e32 v[170:171], v[190:191], v[18:19]
	v_mul_f64_e32 v[18:19], v[192:193], v[18:19]
	v_add_f64_e32 v[10:11], v[26:27], v[194:195]
	v_add_f64_e32 v[26:27], v[196:197], v[206:207]
	v_fmac_f64_e32 v[200:201], v[6:7], v[182:183]
	v_fma_f64 v[172:173], v[4:5], v[182:183], -v[184:185]
	v_fmac_f64_e32 v[170:171], v[192:193], v[16:17]
	v_fma_f64 v[16:17], v[190:191], v[16:17], -v[18:19]
	v_add_f64_e32 v[182:183], v[10:11], v[8:9]
	v_add_f64_e32 v[26:27], v[26:27], v[198:199]
	ds_load_b128 v[4:7], v2 offset:1888
	ds_load_b128 v[8:11], v2 offset:1904
	s_wait_loadcnt_dscnt 0x701
	v_mul_f64_e32 v[184:185], v[4:5], v[30:31]
	v_mul_f64_e32 v[30:31], v[6:7], v[30:31]
	v_add_f64_e32 v[18:19], v[182:183], v[172:173]
	v_add_f64_e32 v[26:27], v[26:27], v[200:201]
	s_wait_loadcnt_dscnt 0x600
	v_mul_f64_e32 v[172:173], v[8:9], v[14:15]
	v_mul_f64_e32 v[182:183], v[10:11], v[14:15]
	v_fmac_f64_e32 v[184:185], v[6:7], v[28:29]
	v_fma_f64 v[28:29], v[4:5], v[28:29], -v[30:31]
	v_add_f64_e32 v[18:19], v[18:19], v[16:17]
	v_add_f64_e32 v[26:27], v[26:27], v[170:171]
	ds_load_b128 v[4:7], v2 offset:1920
	ds_load_b128 v[14:17], v2 offset:1936
	v_fmac_f64_e32 v[172:173], v[10:11], v[12:13]
	v_fma_f64 v[8:9], v[8:9], v[12:13], -v[182:183]
	s_wait_loadcnt_dscnt 0x401
	v_mul_f64_e32 v[30:31], v[4:5], v[176:177]
	v_mul_f64_e32 v[170:171], v[6:7], v[176:177]
	v_add_f64_e32 v[10:11], v[18:19], v[28:29]
	v_add_f64_e32 v[12:13], v[26:27], v[184:185]
	s_wait_dscnt 0x0
	v_mul_f64_e32 v[18:19], v[14:15], v[24:25]
	v_mul_f64_e32 v[24:25], v[16:17], v[24:25]
	v_fmac_f64_e32 v[30:31], v[6:7], v[174:175]
	v_fma_f64 v[26:27], v[4:5], v[174:175], -v[170:171]
	v_add_f64_e32 v[28:29], v[10:11], v[8:9]
	v_add_f64_e32 v[12:13], v[12:13], v[172:173]
	ds_load_b128 v[4:7], v2 offset:1952
	ds_load_b128 v[8:11], v2 offset:1968
	v_fmac_f64_e32 v[18:19], v[16:17], v[22:23]
	v_fma_f64 v[14:15], v[14:15], v[22:23], -v[24:25]
	s_wait_loadcnt_dscnt 0x301
	v_mul_f64_e32 v[170:171], v[4:5], v[168:169]
	v_mul_f64_e32 v[168:169], v[6:7], v[168:169]
	s_wait_loadcnt_dscnt 0x200
	v_mul_f64_e32 v[22:23], v[8:9], v[160:161]
	v_mul_f64_e32 v[24:25], v[10:11], v[160:161]
	v_add_f64_e32 v[16:17], v[28:29], v[26:27]
	v_add_f64_e32 v[12:13], v[12:13], v[30:31]
	v_fmac_f64_e32 v[170:171], v[6:7], v[166:167]
	v_fma_f64 v[26:27], v[4:5], v[166:167], -v[168:169]
	v_fmac_f64_e32 v[22:23], v[10:11], v[158:159]
	v_fma_f64 v[8:9], v[8:9], v[158:159], -v[24:25]
	v_add_f64_e32 v[16:17], v[16:17], v[14:15]
	v_add_f64_e32 v[18:19], v[12:13], v[18:19]
	ds_load_b128 v[4:7], v2 offset:1984
	ds_load_b128 v[12:15], v2 offset:2000
	s_wait_loadcnt_dscnt 0x101
	v_mul_f64_e32 v[2:3], v[4:5], v[180:181]
	v_mul_f64_e32 v[28:29], v[6:7], v[180:181]
	s_wait_loadcnt_dscnt 0x0
	v_mul_f64_e32 v[24:25], v[14:15], v[164:165]
	v_add_f64_e32 v[10:11], v[16:17], v[26:27]
	v_add_f64_e32 v[16:17], v[18:19], v[170:171]
	v_mul_f64_e32 v[18:19], v[12:13], v[164:165]
	v_fmac_f64_e32 v[2:3], v[6:7], v[178:179]
	v_fma_f64 v[4:5], v[4:5], v[178:179], -v[28:29]
	v_add_f64_e32 v[6:7], v[10:11], v[8:9]
	v_add_f64_e32 v[8:9], v[16:17], v[22:23]
	v_fmac_f64_e32 v[18:19], v[14:15], v[162:163]
	v_fma_f64 v[10:11], v[12:13], v[162:163], -v[24:25]
	s_delay_alu instid0(VALU_DEP_4) | instskip(NEXT) | instid1(VALU_DEP_4)
	v_add_f64_e32 v[4:5], v[6:7], v[4:5]
	v_add_f64_e32 v[2:3], v[8:9], v[2:3]
	s_delay_alu instid0(VALU_DEP_2) | instskip(NEXT) | instid1(VALU_DEP_2)
	v_add_f64_e32 v[4:5], v[4:5], v[10:11]
	v_add_f64_e32 v[6:7], v[2:3], v[18:19]
	s_delay_alu instid0(VALU_DEP_2) | instskip(NEXT) | instid1(VALU_DEP_2)
	v_add_f64_e64 v[2:3], v[186:187], -v[4:5]
	v_add_f64_e64 v[4:5], v[188:189], -v[6:7]
	scratch_store_b128 off, v[2:5], off offset:608
	s_wait_xcnt 0x0
	v_cmpx_lt_u32_e32 37, v1
	s_cbranch_execz .LBB126_329
; %bb.328:
	scratch_load_b128 v[2:5], off, s44
	v_mov_b32_e32 v6, 0
	s_delay_alu instid0(VALU_DEP_1)
	v_dual_mov_b32 v7, v6 :: v_dual_mov_b32 v8, v6
	v_mov_b32_e32 v9, v6
	scratch_store_b128 off, v[6:9], off offset:592
	s_wait_loadcnt 0x0
	ds_store_b128 v20, v[2:5]
.LBB126_329:
	s_wait_xcnt 0x0
	s_or_b32 exec_lo, exec_lo, s2
	s_wait_storecnt_dscnt 0x0
	s_barrier_signal -1
	s_barrier_wait -1
	s_clause 0x9
	scratch_load_b128 v[4:7], off, off offset:608
	scratch_load_b128 v[8:11], off, off offset:624
	;; [unrolled: 1-line block ×10, first 2 shown]
	v_mov_b32_e32 v2, 0
	s_mov_b32 s2, exec_lo
	ds_load_b128 v[174:177], v2 offset:1616
	s_clause 0x2
	scratch_load_b128 v[178:181], off, off offset:768
	scratch_load_b128 v[182:185], off, off offset:592
	;; [unrolled: 1-line block ×3, first 2 shown]
	s_wait_loadcnt_dscnt 0xc00
	v_mul_f64_e32 v[30:31], v[176:177], v[6:7]
	v_mul_f64_e32 v[198:199], v[174:175], v[6:7]
	ds_load_b128 v[186:189], v2 offset:1632
	ds_load_b128 v[194:197], v2 offset:1664
	v_fma_f64 v[30:31], v[174:175], v[4:5], -v[30:31]
	v_fmac_f64_e32 v[198:199], v[176:177], v[4:5]
	ds_load_b128 v[4:7], v2 offset:1648
	s_wait_loadcnt_dscnt 0xb02
	v_mul_f64_e32 v[200:201], v[186:187], v[10:11]
	v_mul_f64_e32 v[10:11], v[188:189], v[10:11]
	scratch_load_b128 v[174:177], off, off offset:800
	s_wait_loadcnt_dscnt 0xb00
	v_mul_f64_e32 v[202:203], v[4:5], v[14:15]
	v_mul_f64_e32 v[14:15], v[6:7], v[14:15]
	v_add_f64_e32 v[30:31], 0, v[30:31]
	v_fmac_f64_e32 v[200:201], v[188:189], v[8:9]
	v_fma_f64 v[186:187], v[186:187], v[8:9], -v[10:11]
	v_add_f64_e32 v[188:189], 0, v[198:199]
	scratch_load_b128 v[8:11], off, off offset:816
	v_fmac_f64_e32 v[202:203], v[6:7], v[12:13]
	v_fma_f64 v[204:205], v[4:5], v[12:13], -v[14:15]
	ds_load_b128 v[4:7], v2 offset:1680
	s_wait_loadcnt 0xb
	v_mul_f64_e32 v[198:199], v[194:195], v[18:19]
	v_mul_f64_e32 v[18:19], v[196:197], v[18:19]
	scratch_load_b128 v[12:15], off, off offset:832
	v_add_f64_e32 v[30:31], v[30:31], v[186:187]
	v_add_f64_e32 v[200:201], v[188:189], v[200:201]
	ds_load_b128 v[186:189], v2 offset:1696
	s_wait_loadcnt_dscnt 0xb01
	v_mul_f64_e32 v[206:207], v[4:5], v[24:25]
	v_mul_f64_e32 v[24:25], v[6:7], v[24:25]
	v_fmac_f64_e32 v[198:199], v[196:197], v[16:17]
	v_fma_f64 v[194:195], v[194:195], v[16:17], -v[18:19]
	scratch_load_b128 v[16:19], off, off offset:848
	v_add_f64_e32 v[30:31], v[30:31], v[204:205]
	v_add_f64_e32 v[196:197], v[200:201], v[202:203]
	v_fmac_f64_e32 v[206:207], v[6:7], v[22:23]
	v_fma_f64 v[204:205], v[4:5], v[22:23], -v[24:25]
	ds_load_b128 v[4:7], v2 offset:1712
	s_wait_loadcnt_dscnt 0xb01
	v_mul_f64_e32 v[200:201], v[186:187], v[28:29]
	v_mul_f64_e32 v[202:203], v[188:189], v[28:29]
	scratch_load_b128 v[22:25], off, off offset:864
	v_add_f64_e32 v[194:195], v[30:31], v[194:195]
	v_add_f64_e32 v[196:197], v[196:197], v[198:199]
	s_wait_loadcnt_dscnt 0xb00
	v_mul_f64_e32 v[198:199], v[4:5], v[160:161]
	v_mul_f64_e32 v[160:161], v[6:7], v[160:161]
	ds_load_b128 v[28:31], v2 offset:1728
	v_fmac_f64_e32 v[200:201], v[188:189], v[26:27]
	v_fma_f64 v[26:27], v[186:187], v[26:27], -v[202:203]
	scratch_load_b128 v[186:189], off, off offset:880
	v_add_f64_e32 v[194:195], v[194:195], v[204:205]
	v_add_f64_e32 v[196:197], v[196:197], v[206:207]
	v_fmac_f64_e32 v[198:199], v[6:7], v[158:159]
	v_fma_f64 v[204:205], v[4:5], v[158:159], -v[160:161]
	ds_load_b128 v[4:7], v2 offset:1744
	s_wait_loadcnt_dscnt 0xb01
	v_mul_f64_e32 v[202:203], v[28:29], v[164:165]
	v_mul_f64_e32 v[164:165], v[30:31], v[164:165]
	scratch_load_b128 v[158:161], off, off offset:896
	s_wait_loadcnt_dscnt 0xb00
	v_mul_f64_e32 v[206:207], v[4:5], v[168:169]
	v_mul_f64_e32 v[168:169], v[6:7], v[168:169]
	v_add_f64_e32 v[26:27], v[194:195], v[26:27]
	v_add_f64_e32 v[200:201], v[196:197], v[200:201]
	ds_load_b128 v[194:197], v2 offset:1760
	v_fmac_f64_e32 v[202:203], v[30:31], v[162:163]
	v_fma_f64 v[30:31], v[28:29], v[162:163], -v[164:165]
	v_fmac_f64_e32 v[206:207], v[6:7], v[166:167]
	v_add_f64_e32 v[162:163], v[26:27], v[204:205]
	v_add_f64_e32 v[164:165], v[200:201], v[198:199]
	scratch_load_b128 v[26:29], off, off offset:912
	v_fma_f64 v[200:201], v[4:5], v[166:167], -v[168:169]
	ds_load_b128 v[4:7], v2 offset:1776
	s_wait_loadcnt_dscnt 0xb01
	v_mul_f64_e32 v[198:199], v[194:195], v[172:173]
	v_mul_f64_e32 v[172:173], v[196:197], v[172:173]
	ds_load_b128 v[166:169], v2 offset:1792
	s_wait_loadcnt_dscnt 0xa01
	v_mul_f64_e32 v[204:205], v[4:5], v[180:181]
	v_mul_f64_e32 v[180:181], v[6:7], v[180:181]
	v_add_f64_e32 v[30:31], v[162:163], v[30:31]
	v_add_f64_e32 v[202:203], v[164:165], v[202:203]
	scratch_load_b128 v[162:165], off, off offset:928
	v_fmac_f64_e32 v[198:199], v[196:197], v[170:171]
	v_fma_f64 v[194:195], v[194:195], v[170:171], -v[172:173]
	scratch_load_b128 v[170:173], off, off offset:944
	v_fmac_f64_e32 v[204:205], v[6:7], v[178:179]
	v_add_f64_e32 v[30:31], v[30:31], v[200:201]
	v_add_f64_e32 v[196:197], v[202:203], v[206:207]
	v_fma_f64 v[206:207], v[4:5], v[178:179], -v[180:181]
	ds_load_b128 v[4:7], v2 offset:1808
	s_wait_loadcnt_dscnt 0xa01
	v_mul_f64_e32 v[200:201], v[166:167], v[192:193]
	v_mul_f64_e32 v[202:203], v[168:169], v[192:193]
	scratch_load_b128 v[178:181], off, off offset:960
	v_add_f64_e32 v[30:31], v[30:31], v[194:195]
	v_add_f64_e32 v[196:197], v[196:197], v[198:199]
	s_wait_loadcnt_dscnt 0xa00
	v_mul_f64_e32 v[208:209], v[4:5], v[176:177]
	v_mul_f64_e32 v[176:177], v[6:7], v[176:177]
	v_fmac_f64_e32 v[200:201], v[168:169], v[190:191]
	v_fma_f64 v[190:191], v[166:167], v[190:191], -v[202:203]
	ds_load_b128 v[192:195], v2 offset:1824
	scratch_load_b128 v[166:169], off, off offset:976
	v_add_f64_e32 v[30:31], v[30:31], v[206:207]
	v_add_f64_e32 v[196:197], v[196:197], v[204:205]
	v_fmac_f64_e32 v[208:209], v[6:7], v[174:175]
	v_fma_f64 v[204:205], v[4:5], v[174:175], -v[176:177]
	ds_load_b128 v[4:7], v2 offset:1840
	s_wait_loadcnt_dscnt 0xa01
	v_mul_f64_e32 v[202:203], v[192:193], v[10:11]
	v_mul_f64_e32 v[10:11], v[194:195], v[10:11]
	scratch_load_b128 v[174:177], off, off offset:992
	v_add_f64_e32 v[30:31], v[30:31], v[190:191]
	v_add_f64_e32 v[190:191], v[196:197], v[200:201]
	s_wait_loadcnt_dscnt 0xa00
	v_mul_f64_e32 v[200:201], v[4:5], v[14:15]
	v_mul_f64_e32 v[14:15], v[6:7], v[14:15]
	ds_load_b128 v[196:199], v2 offset:1856
	v_fmac_f64_e32 v[202:203], v[194:195], v[8:9]
	v_fma_f64 v[8:9], v[192:193], v[8:9], -v[10:11]
	v_add_f64_e32 v[10:11], v[30:31], v[204:205]
	v_add_f64_e32 v[30:31], v[190:191], v[208:209]
	s_wait_loadcnt_dscnt 0x900
	v_mul_f64_e32 v[190:191], v[196:197], v[18:19]
	v_mul_f64_e32 v[18:19], v[198:199], v[18:19]
	v_fmac_f64_e32 v[200:201], v[6:7], v[12:13]
	v_fma_f64 v[12:13], v[4:5], v[12:13], -v[14:15]
	v_add_f64_e32 v[14:15], v[10:11], v[8:9]
	v_add_f64_e32 v[30:31], v[30:31], v[202:203]
	ds_load_b128 v[4:7], v2 offset:1872
	ds_load_b128 v[8:11], v2 offset:1888
	v_fmac_f64_e32 v[190:191], v[198:199], v[16:17]
	v_fma_f64 v[16:17], v[196:197], v[16:17], -v[18:19]
	s_wait_loadcnt_dscnt 0x801
	v_mul_f64_e32 v[192:193], v[4:5], v[24:25]
	v_mul_f64_e32 v[24:25], v[6:7], v[24:25]
	s_wait_loadcnt_dscnt 0x700
	v_mul_f64_e32 v[18:19], v[8:9], v[188:189]
	v_add_f64_e32 v[12:13], v[14:15], v[12:13]
	v_add_f64_e32 v[14:15], v[30:31], v[200:201]
	v_mul_f64_e32 v[30:31], v[10:11], v[188:189]
	v_fmac_f64_e32 v[192:193], v[6:7], v[22:23]
	v_fma_f64 v[22:23], v[4:5], v[22:23], -v[24:25]
	v_fmac_f64_e32 v[18:19], v[10:11], v[186:187]
	v_add_f64_e32 v[16:17], v[12:13], v[16:17]
	v_add_f64_e32 v[24:25], v[14:15], v[190:191]
	ds_load_b128 v[4:7], v2 offset:1904
	ds_load_b128 v[12:15], v2 offset:1920
	v_fma_f64 v[8:9], v[8:9], v[186:187], -v[30:31]
	s_wait_loadcnt_dscnt 0x601
	v_mul_f64_e32 v[188:189], v[4:5], v[160:161]
	v_mul_f64_e32 v[160:161], v[6:7], v[160:161]
	v_add_f64_e32 v[10:11], v[16:17], v[22:23]
	v_add_f64_e32 v[16:17], v[24:25], v[192:193]
	s_wait_loadcnt_dscnt 0x500
	v_mul_f64_e32 v[22:23], v[12:13], v[28:29]
	v_mul_f64_e32 v[24:25], v[14:15], v[28:29]
	v_fmac_f64_e32 v[188:189], v[6:7], v[158:159]
	v_fma_f64 v[28:29], v[4:5], v[158:159], -v[160:161]
	v_add_f64_e32 v[30:31], v[10:11], v[8:9]
	v_add_f64_e32 v[16:17], v[16:17], v[18:19]
	ds_load_b128 v[4:7], v2 offset:1936
	ds_load_b128 v[8:11], v2 offset:1952
	v_fmac_f64_e32 v[22:23], v[14:15], v[26:27]
	v_fma_f64 v[12:13], v[12:13], v[26:27], -v[24:25]
	s_wait_loadcnt_dscnt 0x401
	v_mul_f64_e32 v[18:19], v[4:5], v[164:165]
	v_mul_f64_e32 v[158:159], v[6:7], v[164:165]
	s_wait_loadcnt_dscnt 0x300
	v_mul_f64_e32 v[24:25], v[8:9], v[172:173]
	v_mul_f64_e32 v[26:27], v[10:11], v[172:173]
	v_add_f64_e32 v[14:15], v[30:31], v[28:29]
	v_add_f64_e32 v[16:17], v[16:17], v[188:189]
	v_fmac_f64_e32 v[18:19], v[6:7], v[162:163]
	v_fma_f64 v[28:29], v[4:5], v[162:163], -v[158:159]
	v_fmac_f64_e32 v[24:25], v[10:11], v[170:171]
	v_fma_f64 v[8:9], v[8:9], v[170:171], -v[26:27]
	v_add_f64_e32 v[30:31], v[14:15], v[12:13]
	v_add_f64_e32 v[16:17], v[16:17], v[22:23]
	ds_load_b128 v[4:7], v2 offset:1968
	ds_load_b128 v[12:15], v2 offset:1984
	s_wait_loadcnt_dscnt 0x201
	v_mul_f64_e32 v[22:23], v[4:5], v[180:181]
	v_mul_f64_e32 v[158:159], v[6:7], v[180:181]
	s_wait_loadcnt_dscnt 0x100
	v_mul_f64_e32 v[26:27], v[14:15], v[168:169]
	v_add_f64_e32 v[10:11], v[30:31], v[28:29]
	v_add_f64_e32 v[16:17], v[16:17], v[18:19]
	v_mul_f64_e32 v[18:19], v[12:13], v[168:169]
	v_fmac_f64_e32 v[22:23], v[6:7], v[178:179]
	v_fma_f64 v[28:29], v[4:5], v[178:179], -v[158:159]
	ds_load_b128 v[4:7], v2 offset:2000
	v_fma_f64 v[12:13], v[12:13], v[166:167], -v[26:27]
	v_add_f64_e32 v[8:9], v[10:11], v[8:9]
	v_add_f64_e32 v[10:11], v[16:17], v[24:25]
	v_fmac_f64_e32 v[18:19], v[14:15], v[166:167]
	s_wait_loadcnt_dscnt 0x0
	v_mul_f64_e32 v[16:17], v[4:5], v[176:177]
	v_mul_f64_e32 v[24:25], v[6:7], v[176:177]
	v_add_f64_e32 v[8:9], v[8:9], v[28:29]
	v_add_f64_e32 v[10:11], v[10:11], v[22:23]
	s_delay_alu instid0(VALU_DEP_4) | instskip(NEXT) | instid1(VALU_DEP_4)
	v_fmac_f64_e32 v[16:17], v[6:7], v[174:175]
	v_fma_f64 v[4:5], v[4:5], v[174:175], -v[24:25]
	s_delay_alu instid0(VALU_DEP_4) | instskip(NEXT) | instid1(VALU_DEP_4)
	v_add_f64_e32 v[6:7], v[8:9], v[12:13]
	v_add_f64_e32 v[8:9], v[10:11], v[18:19]
	s_delay_alu instid0(VALU_DEP_2) | instskip(NEXT) | instid1(VALU_DEP_2)
	v_add_f64_e32 v[4:5], v[6:7], v[4:5]
	v_add_f64_e32 v[6:7], v[8:9], v[16:17]
	s_delay_alu instid0(VALU_DEP_2) | instskip(NEXT) | instid1(VALU_DEP_2)
	v_add_f64_e64 v[4:5], v[182:183], -v[4:5]
	v_add_f64_e64 v[6:7], v[184:185], -v[6:7]
	scratch_store_b128 off, v[4:7], off offset:592
	s_wait_xcnt 0x0
	v_cmpx_lt_u32_e32 36, v1
	s_cbranch_execz .LBB126_331
; %bb.330:
	scratch_load_b128 v[6:9], off, s45
	v_dual_mov_b32 v3, v2 :: v_dual_mov_b32 v4, v2
	v_mov_b32_e32 v5, v2
	scratch_store_b128 off, v[2:5], off offset:576
	s_wait_loadcnt 0x0
	ds_store_b128 v20, v[6:9]
.LBB126_331:
	s_wait_xcnt 0x0
	s_or_b32 exec_lo, exec_lo, s2
	s_wait_storecnt_dscnt 0x0
	s_barrier_signal -1
	s_barrier_wait -1
	s_clause 0x9
	scratch_load_b128 v[4:7], off, off offset:592
	scratch_load_b128 v[8:11], off, off offset:608
	;; [unrolled: 1-line block ×10, first 2 shown]
	ds_load_b128 v[174:177], v2 offset:1600
	ds_load_b128 v[182:185], v2 offset:1616
	s_clause 0x2
	scratch_load_b128 v[178:181], off, off offset:752
	scratch_load_b128 v[186:189], off, off offset:576
	;; [unrolled: 1-line block ×3, first 2 shown]
	s_mov_b32 s2, exec_lo
	s_wait_loadcnt_dscnt 0xc01
	v_mul_f64_e32 v[30:31], v[176:177], v[6:7]
	v_mul_f64_e32 v[198:199], v[174:175], v[6:7]
	s_wait_loadcnt_dscnt 0xb00
	v_mul_f64_e32 v[200:201], v[182:183], v[10:11]
	v_mul_f64_e32 v[10:11], v[184:185], v[10:11]
	s_delay_alu instid0(VALU_DEP_4) | instskip(NEXT) | instid1(VALU_DEP_4)
	v_fma_f64 v[30:31], v[174:175], v[4:5], -v[30:31]
	v_fmac_f64_e32 v[198:199], v[176:177], v[4:5]
	ds_load_b128 v[4:7], v2 offset:1632
	ds_load_b128 v[174:177], v2 offset:1648
	scratch_load_b128 v[194:197], off, off offset:784
	v_fmac_f64_e32 v[200:201], v[184:185], v[8:9]
	v_fma_f64 v[182:183], v[182:183], v[8:9], -v[10:11]
	scratch_load_b128 v[8:11], off, off offset:800
	s_wait_loadcnt_dscnt 0xc01
	v_mul_f64_e32 v[202:203], v[4:5], v[14:15]
	v_mul_f64_e32 v[14:15], v[6:7], v[14:15]
	v_add_f64_e32 v[30:31], 0, v[30:31]
	v_add_f64_e32 v[184:185], 0, v[198:199]
	s_wait_loadcnt_dscnt 0xb00
	v_mul_f64_e32 v[198:199], v[174:175], v[18:19]
	v_mul_f64_e32 v[18:19], v[176:177], v[18:19]
	v_fmac_f64_e32 v[202:203], v[6:7], v[12:13]
	v_fma_f64 v[204:205], v[4:5], v[12:13], -v[14:15]
	ds_load_b128 v[4:7], v2 offset:1664
	ds_load_b128 v[12:15], v2 offset:1680
	v_add_f64_e32 v[30:31], v[30:31], v[182:183]
	v_add_f64_e32 v[200:201], v[184:185], v[200:201]
	scratch_load_b128 v[182:185], off, off offset:816
	v_fmac_f64_e32 v[198:199], v[176:177], v[16:17]
	v_fma_f64 v[174:175], v[174:175], v[16:17], -v[18:19]
	scratch_load_b128 v[16:19], off, off offset:832
	s_wait_loadcnt_dscnt 0xc01
	v_mul_f64_e32 v[206:207], v[4:5], v[24:25]
	v_mul_f64_e32 v[24:25], v[6:7], v[24:25]
	v_add_f64_e32 v[30:31], v[30:31], v[204:205]
	v_add_f64_e32 v[176:177], v[200:201], v[202:203]
	s_wait_loadcnt_dscnt 0xb00
	v_mul_f64_e32 v[200:201], v[12:13], v[28:29]
	v_mul_f64_e32 v[202:203], v[14:15], v[28:29]
	v_fmac_f64_e32 v[206:207], v[6:7], v[22:23]
	v_fma_f64 v[204:205], v[4:5], v[22:23], -v[24:25]
	ds_load_b128 v[4:7], v2 offset:1696
	ds_load_b128 v[22:25], v2 offset:1712
	v_add_f64_e32 v[174:175], v[30:31], v[174:175]
	v_add_f64_e32 v[176:177], v[176:177], v[198:199]
	scratch_load_b128 v[28:31], off, off offset:848
	s_wait_loadcnt_dscnt 0xb01
	v_mul_f64_e32 v[198:199], v[4:5], v[160:161]
	v_mul_f64_e32 v[160:161], v[6:7], v[160:161]
	v_fmac_f64_e32 v[200:201], v[14:15], v[26:27]
	v_fma_f64 v[26:27], v[12:13], v[26:27], -v[202:203]
	scratch_load_b128 v[12:15], off, off offset:864
	s_wait_loadcnt_dscnt 0xb00
	v_mul_f64_e32 v[202:203], v[22:23], v[164:165]
	v_mul_f64_e32 v[164:165], v[24:25], v[164:165]
	v_add_f64_e32 v[174:175], v[174:175], v[204:205]
	v_add_f64_e32 v[176:177], v[176:177], v[206:207]
	v_fmac_f64_e32 v[198:199], v[6:7], v[158:159]
	v_fma_f64 v[204:205], v[4:5], v[158:159], -v[160:161]
	ds_load_b128 v[4:7], v2 offset:1728
	ds_load_b128 v[158:161], v2 offset:1744
	v_fmac_f64_e32 v[202:203], v[24:25], v[162:163]
	v_fma_f64 v[162:163], v[22:23], v[162:163], -v[164:165]
	scratch_load_b128 v[22:25], off, off offset:896
	s_wait_loadcnt_dscnt 0xb01
	v_mul_f64_e32 v[206:207], v[4:5], v[168:169]
	v_mul_f64_e32 v[168:169], v[6:7], v[168:169]
	v_add_f64_e32 v[26:27], v[174:175], v[26:27]
	v_add_f64_e32 v[200:201], v[176:177], v[200:201]
	scratch_load_b128 v[174:177], off, off offset:880
	v_fmac_f64_e32 v[206:207], v[6:7], v[166:167]
	v_add_f64_e32 v[26:27], v[26:27], v[204:205]
	v_add_f64_e32 v[164:165], v[200:201], v[198:199]
	s_wait_loadcnt_dscnt 0xb00
	v_mul_f64_e32 v[198:199], v[158:159], v[172:173]
	v_mul_f64_e32 v[172:173], v[160:161], v[172:173]
	v_fma_f64 v[200:201], v[4:5], v[166:167], -v[168:169]
	v_add_f64_e32 v[26:27], v[26:27], v[162:163]
	v_add_f64_e32 v[202:203], v[164:165], v[202:203]
	ds_load_b128 v[4:7], v2 offset:1760
	ds_load_b128 v[162:165], v2 offset:1776
	scratch_load_b128 v[166:169], off, off offset:912
	v_fmac_f64_e32 v[198:199], v[160:161], v[170:171]
	v_fma_f64 v[170:171], v[158:159], v[170:171], -v[172:173]
	scratch_load_b128 v[158:161], off, off offset:928
	s_wait_loadcnt_dscnt 0xc01
	v_mul_f64_e32 v[204:205], v[4:5], v[180:181]
	v_mul_f64_e32 v[180:181], v[6:7], v[180:181]
	v_add_f64_e32 v[26:27], v[26:27], v[200:201]
	v_add_f64_e32 v[172:173], v[202:203], v[206:207]
	s_wait_loadcnt_dscnt 0xa00
	v_mul_f64_e32 v[200:201], v[162:163], v[192:193]
	v_mul_f64_e32 v[192:193], v[164:165], v[192:193]
	v_fmac_f64_e32 v[204:205], v[6:7], v[178:179]
	v_fma_f64 v[202:203], v[4:5], v[178:179], -v[180:181]
	v_add_f64_e32 v[26:27], v[26:27], v[170:171]
	v_add_f64_e32 v[198:199], v[172:173], v[198:199]
	ds_load_b128 v[4:7], v2 offset:1792
	ds_load_b128 v[170:173], v2 offset:1808
	scratch_load_b128 v[178:181], off, off offset:944
	v_fmac_f64_e32 v[200:201], v[164:165], v[190:191]
	v_fma_f64 v[190:191], v[162:163], v[190:191], -v[192:193]
	scratch_load_b128 v[162:165], off, off offset:960
	s_wait_loadcnt_dscnt 0xb01
	v_mul_f64_e32 v[206:207], v[4:5], v[196:197]
	v_mul_f64_e32 v[196:197], v[6:7], v[196:197]
	v_add_f64_e32 v[26:27], v[26:27], v[202:203]
	v_add_f64_e32 v[192:193], v[198:199], v[204:205]
	s_wait_loadcnt_dscnt 0xa00
	v_mul_f64_e32 v[198:199], v[170:171], v[10:11]
	v_mul_f64_e32 v[10:11], v[172:173], v[10:11]
	v_fmac_f64_e32 v[206:207], v[6:7], v[194:195]
	;; [unrolled: 18-line block ×3, first 2 shown]
	v_fma_f64 v[182:183], v[4:5], v[182:183], -v[184:185]
	v_add_f64_e32 v[26:27], v[26:27], v[170:171]
	v_add_f64_e32 v[184:185], v[172:173], v[198:199]
	ds_load_b128 v[4:7], v2 offset:1856
	ds_load_b128 v[170:173], v2 offset:1872
	v_fmac_f64_e32 v[200:201], v[192:193], v[16:17]
	v_fma_f64 v[16:17], v[190:191], v[16:17], -v[18:19]
	s_wait_loadcnt_dscnt 0x901
	v_mul_f64_e32 v[198:199], v[4:5], v[30:31]
	v_mul_f64_e32 v[30:31], v[6:7], v[30:31]
	v_add_f64_e32 v[18:19], v[26:27], v[182:183]
	v_add_f64_e32 v[26:27], v[184:185], v[204:205]
	s_wait_loadcnt_dscnt 0x800
	v_mul_f64_e32 v[182:183], v[170:171], v[14:15]
	v_mul_f64_e32 v[184:185], v[172:173], v[14:15]
	v_fmac_f64_e32 v[198:199], v[6:7], v[28:29]
	v_fma_f64 v[28:29], v[4:5], v[28:29], -v[30:31]
	v_add_f64_e32 v[18:19], v[18:19], v[16:17]
	v_add_f64_e32 v[26:27], v[26:27], v[200:201]
	ds_load_b128 v[4:7], v2 offset:1888
	ds_load_b128 v[14:17], v2 offset:1904
	v_fmac_f64_e32 v[182:183], v[172:173], v[12:13]
	v_fma_f64 v[12:13], v[170:171], v[12:13], -v[184:185]
	s_wait_loadcnt_dscnt 0x601
	v_mul_f64_e32 v[30:31], v[4:5], v[176:177]
	v_mul_f64_e32 v[176:177], v[6:7], v[176:177]
	s_wait_dscnt 0x0
	v_mul_f64_e32 v[170:171], v[16:17], v[24:25]
	v_add_f64_e32 v[18:19], v[18:19], v[28:29]
	v_add_f64_e32 v[26:27], v[26:27], v[198:199]
	v_mul_f64_e32 v[28:29], v[14:15], v[24:25]
	v_fmac_f64_e32 v[30:31], v[6:7], v[174:175]
	v_fma_f64 v[172:173], v[4:5], v[174:175], -v[176:177]
	v_fma_f64 v[14:15], v[14:15], v[22:23], -v[170:171]
	v_add_f64_e32 v[12:13], v[18:19], v[12:13]
	v_add_f64_e32 v[18:19], v[26:27], v[182:183]
	ds_load_b128 v[4:7], v2 offset:1920
	ds_load_b128 v[24:27], v2 offset:1936
	v_fmac_f64_e32 v[28:29], v[16:17], v[22:23]
	s_wait_loadcnt_dscnt 0x501
	v_mul_f64_e32 v[174:175], v[4:5], v[168:169]
	v_mul_f64_e32 v[168:169], v[6:7], v[168:169]
	s_wait_loadcnt_dscnt 0x400
	v_mul_f64_e32 v[22:23], v[26:27], v[160:161]
	v_add_f64_e32 v[12:13], v[12:13], v[172:173]
	v_add_f64_e32 v[16:17], v[18:19], v[30:31]
	v_mul_f64_e32 v[18:19], v[24:25], v[160:161]
	v_fmac_f64_e32 v[174:175], v[6:7], v[166:167]
	v_fma_f64 v[30:31], v[4:5], v[166:167], -v[168:169]
	v_fma_f64 v[22:23], v[24:25], v[158:159], -v[22:23]
	v_add_f64_e32 v[160:161], v[12:13], v[14:15]
	v_add_f64_e32 v[16:17], v[16:17], v[28:29]
	ds_load_b128 v[4:7], v2 offset:1952
	ds_load_b128 v[12:15], v2 offset:1968
	v_fmac_f64_e32 v[18:19], v[26:27], v[158:159]
	s_wait_loadcnt_dscnt 0x301
	v_mul_f64_e32 v[28:29], v[4:5], v[180:181]
	v_mul_f64_e32 v[166:167], v[6:7], v[180:181]
	s_wait_loadcnt_dscnt 0x200
	v_mul_f64_e32 v[26:27], v[12:13], v[164:165]
	v_add_f64_e32 v[24:25], v[160:161], v[30:31]
	v_add_f64_e32 v[16:17], v[16:17], v[174:175]
	v_mul_f64_e32 v[30:31], v[14:15], v[164:165]
	v_fmac_f64_e32 v[28:29], v[6:7], v[178:179]
	v_fma_f64 v[158:159], v[4:5], v[178:179], -v[166:167]
	v_fmac_f64_e32 v[26:27], v[14:15], v[162:163]
	v_add_f64_e32 v[22:23], v[24:25], v[22:23]
	v_add_f64_e32 v[24:25], v[16:17], v[18:19]
	ds_load_b128 v[4:7], v2 offset:1984
	ds_load_b128 v[16:19], v2 offset:2000
	v_fma_f64 v[12:13], v[12:13], v[162:163], -v[30:31]
	s_wait_loadcnt_dscnt 0x101
	v_mul_f64_e32 v[2:3], v[4:5], v[196:197]
	v_mul_f64_e32 v[160:161], v[6:7], v[196:197]
	v_add_f64_e32 v[14:15], v[22:23], v[158:159]
	v_add_f64_e32 v[22:23], v[24:25], v[28:29]
	s_wait_loadcnt_dscnt 0x0
	v_mul_f64_e32 v[24:25], v[16:17], v[10:11]
	v_mul_f64_e32 v[10:11], v[18:19], v[10:11]
	v_fmac_f64_e32 v[2:3], v[6:7], v[194:195]
	v_fma_f64 v[4:5], v[4:5], v[194:195], -v[160:161]
	v_add_f64_e32 v[6:7], v[14:15], v[12:13]
	v_add_f64_e32 v[12:13], v[22:23], v[26:27]
	v_fmac_f64_e32 v[24:25], v[18:19], v[8:9]
	v_fma_f64 v[8:9], v[16:17], v[8:9], -v[10:11]
	s_delay_alu instid0(VALU_DEP_4) | instskip(NEXT) | instid1(VALU_DEP_4)
	v_add_f64_e32 v[4:5], v[6:7], v[4:5]
	v_add_f64_e32 v[2:3], v[12:13], v[2:3]
	s_delay_alu instid0(VALU_DEP_2) | instskip(NEXT) | instid1(VALU_DEP_2)
	v_add_f64_e32 v[4:5], v[4:5], v[8:9]
	v_add_f64_e32 v[6:7], v[2:3], v[24:25]
	s_delay_alu instid0(VALU_DEP_2) | instskip(NEXT) | instid1(VALU_DEP_2)
	v_add_f64_e64 v[2:3], v[186:187], -v[4:5]
	v_add_f64_e64 v[4:5], v[188:189], -v[6:7]
	scratch_store_b128 off, v[2:5], off offset:576
	s_wait_xcnt 0x0
	v_cmpx_lt_u32_e32 35, v1
	s_cbranch_execz .LBB126_333
; %bb.332:
	scratch_load_b128 v[2:5], off, s46
	v_mov_b32_e32 v6, 0
	s_delay_alu instid0(VALU_DEP_1)
	v_dual_mov_b32 v7, v6 :: v_dual_mov_b32 v8, v6
	v_mov_b32_e32 v9, v6
	scratch_store_b128 off, v[6:9], off offset:560
	s_wait_loadcnt 0x0
	ds_store_b128 v20, v[2:5]
.LBB126_333:
	s_wait_xcnt 0x0
	s_or_b32 exec_lo, exec_lo, s2
	s_wait_storecnt_dscnt 0x0
	s_barrier_signal -1
	s_barrier_wait -1
	s_clause 0x9
	scratch_load_b128 v[4:7], off, off offset:576
	scratch_load_b128 v[8:11], off, off offset:592
	;; [unrolled: 1-line block ×10, first 2 shown]
	v_mov_b32_e32 v2, 0
	s_mov_b32 s2, exec_lo
	ds_load_b128 v[174:177], v2 offset:1584
	s_clause 0x2
	scratch_load_b128 v[178:181], off, off offset:736
	scratch_load_b128 v[182:185], off, off offset:560
	;; [unrolled: 1-line block ×3, first 2 shown]
	s_wait_loadcnt_dscnt 0xc00
	v_mul_f64_e32 v[30:31], v[176:177], v[6:7]
	v_mul_f64_e32 v[198:199], v[174:175], v[6:7]
	ds_load_b128 v[186:189], v2 offset:1600
	ds_load_b128 v[194:197], v2 offset:1632
	v_fma_f64 v[30:31], v[174:175], v[4:5], -v[30:31]
	v_fmac_f64_e32 v[198:199], v[176:177], v[4:5]
	ds_load_b128 v[4:7], v2 offset:1616
	s_wait_loadcnt_dscnt 0xb02
	v_mul_f64_e32 v[200:201], v[186:187], v[10:11]
	v_mul_f64_e32 v[10:11], v[188:189], v[10:11]
	scratch_load_b128 v[174:177], off, off offset:768
	s_wait_loadcnt_dscnt 0xb00
	v_mul_f64_e32 v[202:203], v[4:5], v[14:15]
	v_mul_f64_e32 v[14:15], v[6:7], v[14:15]
	v_add_f64_e32 v[30:31], 0, v[30:31]
	v_fmac_f64_e32 v[200:201], v[188:189], v[8:9]
	v_fma_f64 v[186:187], v[186:187], v[8:9], -v[10:11]
	v_add_f64_e32 v[188:189], 0, v[198:199]
	scratch_load_b128 v[8:11], off, off offset:784
	v_fmac_f64_e32 v[202:203], v[6:7], v[12:13]
	v_fma_f64 v[204:205], v[4:5], v[12:13], -v[14:15]
	ds_load_b128 v[4:7], v2 offset:1648
	s_wait_loadcnt 0xb
	v_mul_f64_e32 v[198:199], v[194:195], v[18:19]
	v_mul_f64_e32 v[18:19], v[196:197], v[18:19]
	scratch_load_b128 v[12:15], off, off offset:800
	v_add_f64_e32 v[30:31], v[30:31], v[186:187]
	v_add_f64_e32 v[200:201], v[188:189], v[200:201]
	ds_load_b128 v[186:189], v2 offset:1664
	s_wait_loadcnt_dscnt 0xb01
	v_mul_f64_e32 v[206:207], v[4:5], v[24:25]
	v_mul_f64_e32 v[24:25], v[6:7], v[24:25]
	v_fmac_f64_e32 v[198:199], v[196:197], v[16:17]
	v_fma_f64 v[194:195], v[194:195], v[16:17], -v[18:19]
	scratch_load_b128 v[16:19], off, off offset:816
	v_add_f64_e32 v[30:31], v[30:31], v[204:205]
	v_add_f64_e32 v[196:197], v[200:201], v[202:203]
	v_fmac_f64_e32 v[206:207], v[6:7], v[22:23]
	v_fma_f64 v[204:205], v[4:5], v[22:23], -v[24:25]
	ds_load_b128 v[4:7], v2 offset:1680
	s_wait_loadcnt_dscnt 0xb01
	v_mul_f64_e32 v[200:201], v[186:187], v[28:29]
	v_mul_f64_e32 v[202:203], v[188:189], v[28:29]
	scratch_load_b128 v[22:25], off, off offset:832
	v_add_f64_e32 v[194:195], v[30:31], v[194:195]
	v_add_f64_e32 v[196:197], v[196:197], v[198:199]
	s_wait_loadcnt_dscnt 0xb00
	v_mul_f64_e32 v[198:199], v[4:5], v[160:161]
	v_mul_f64_e32 v[160:161], v[6:7], v[160:161]
	ds_load_b128 v[28:31], v2 offset:1696
	v_fmac_f64_e32 v[200:201], v[188:189], v[26:27]
	v_fma_f64 v[26:27], v[186:187], v[26:27], -v[202:203]
	scratch_load_b128 v[186:189], off, off offset:848
	v_add_f64_e32 v[194:195], v[194:195], v[204:205]
	v_add_f64_e32 v[196:197], v[196:197], v[206:207]
	v_fmac_f64_e32 v[198:199], v[6:7], v[158:159]
	v_fma_f64 v[204:205], v[4:5], v[158:159], -v[160:161]
	ds_load_b128 v[4:7], v2 offset:1712
	s_wait_loadcnt_dscnt 0xb01
	v_mul_f64_e32 v[202:203], v[28:29], v[164:165]
	v_mul_f64_e32 v[164:165], v[30:31], v[164:165]
	scratch_load_b128 v[158:161], off, off offset:864
	s_wait_loadcnt_dscnt 0xb00
	v_mul_f64_e32 v[206:207], v[4:5], v[168:169]
	v_mul_f64_e32 v[168:169], v[6:7], v[168:169]
	v_add_f64_e32 v[26:27], v[194:195], v[26:27]
	v_add_f64_e32 v[200:201], v[196:197], v[200:201]
	ds_load_b128 v[194:197], v2 offset:1728
	v_fmac_f64_e32 v[202:203], v[30:31], v[162:163]
	v_fma_f64 v[30:31], v[28:29], v[162:163], -v[164:165]
	v_fmac_f64_e32 v[206:207], v[6:7], v[166:167]
	v_add_f64_e32 v[162:163], v[26:27], v[204:205]
	v_add_f64_e32 v[164:165], v[200:201], v[198:199]
	scratch_load_b128 v[26:29], off, off offset:880
	v_fma_f64 v[200:201], v[4:5], v[166:167], -v[168:169]
	ds_load_b128 v[4:7], v2 offset:1744
	s_wait_loadcnt_dscnt 0xb01
	v_mul_f64_e32 v[198:199], v[194:195], v[172:173]
	v_mul_f64_e32 v[172:173], v[196:197], v[172:173]
	ds_load_b128 v[166:169], v2 offset:1760
	s_wait_loadcnt_dscnt 0xa01
	v_mul_f64_e32 v[204:205], v[4:5], v[180:181]
	v_mul_f64_e32 v[180:181], v[6:7], v[180:181]
	v_add_f64_e32 v[30:31], v[162:163], v[30:31]
	v_add_f64_e32 v[202:203], v[164:165], v[202:203]
	scratch_load_b128 v[162:165], off, off offset:896
	v_fmac_f64_e32 v[198:199], v[196:197], v[170:171]
	v_fma_f64 v[194:195], v[194:195], v[170:171], -v[172:173]
	scratch_load_b128 v[170:173], off, off offset:912
	v_fmac_f64_e32 v[204:205], v[6:7], v[178:179]
	v_add_f64_e32 v[30:31], v[30:31], v[200:201]
	v_add_f64_e32 v[196:197], v[202:203], v[206:207]
	v_fma_f64 v[206:207], v[4:5], v[178:179], -v[180:181]
	ds_load_b128 v[4:7], v2 offset:1776
	s_wait_loadcnt_dscnt 0xa01
	v_mul_f64_e32 v[200:201], v[166:167], v[192:193]
	v_mul_f64_e32 v[202:203], v[168:169], v[192:193]
	scratch_load_b128 v[178:181], off, off offset:928
	v_add_f64_e32 v[30:31], v[30:31], v[194:195]
	v_add_f64_e32 v[196:197], v[196:197], v[198:199]
	s_wait_loadcnt_dscnt 0xa00
	v_mul_f64_e32 v[208:209], v[4:5], v[176:177]
	v_mul_f64_e32 v[176:177], v[6:7], v[176:177]
	v_fmac_f64_e32 v[200:201], v[168:169], v[190:191]
	v_fma_f64 v[190:191], v[166:167], v[190:191], -v[202:203]
	ds_load_b128 v[192:195], v2 offset:1792
	scratch_load_b128 v[166:169], off, off offset:944
	v_add_f64_e32 v[30:31], v[30:31], v[206:207]
	v_add_f64_e32 v[196:197], v[196:197], v[204:205]
	v_fmac_f64_e32 v[208:209], v[6:7], v[174:175]
	v_fma_f64 v[204:205], v[4:5], v[174:175], -v[176:177]
	ds_load_b128 v[4:7], v2 offset:1808
	s_wait_loadcnt_dscnt 0xa01
	v_mul_f64_e32 v[202:203], v[192:193], v[10:11]
	v_mul_f64_e32 v[10:11], v[194:195], v[10:11]
	scratch_load_b128 v[174:177], off, off offset:960
	v_add_f64_e32 v[30:31], v[30:31], v[190:191]
	v_add_f64_e32 v[190:191], v[196:197], v[200:201]
	s_wait_loadcnt_dscnt 0xa00
	v_mul_f64_e32 v[200:201], v[4:5], v[14:15]
	v_mul_f64_e32 v[14:15], v[6:7], v[14:15]
	ds_load_b128 v[196:199], v2 offset:1824
	v_fmac_f64_e32 v[202:203], v[194:195], v[8:9]
	v_fma_f64 v[192:193], v[192:193], v[8:9], -v[10:11]
	scratch_load_b128 v[8:11], off, off offset:976
	v_add_f64_e32 v[30:31], v[30:31], v[204:205]
	v_add_f64_e32 v[190:191], v[190:191], v[208:209]
	v_fmac_f64_e32 v[200:201], v[6:7], v[12:13]
	v_fma_f64 v[204:205], v[4:5], v[12:13], -v[14:15]
	ds_load_b128 v[4:7], v2 offset:1840
	s_wait_loadcnt_dscnt 0xa01
	v_mul_f64_e32 v[194:195], v[196:197], v[18:19]
	v_mul_f64_e32 v[18:19], v[198:199], v[18:19]
	scratch_load_b128 v[12:15], off, off offset:992
	s_wait_loadcnt_dscnt 0xa00
	v_mul_f64_e32 v[206:207], v[4:5], v[24:25]
	v_mul_f64_e32 v[24:25], v[6:7], v[24:25]
	v_add_f64_e32 v[30:31], v[30:31], v[192:193]
	v_add_f64_e32 v[202:203], v[190:191], v[202:203]
	ds_load_b128 v[190:193], v2 offset:1856
	v_fmac_f64_e32 v[194:195], v[198:199], v[16:17]
	v_fma_f64 v[16:17], v[196:197], v[16:17], -v[18:19]
	s_wait_loadcnt_dscnt 0x900
	v_mul_f64_e32 v[196:197], v[190:191], v[188:189]
	v_mul_f64_e32 v[188:189], v[192:193], v[188:189]
	v_fmac_f64_e32 v[206:207], v[6:7], v[22:23]
	v_fma_f64 v[22:23], v[4:5], v[22:23], -v[24:25]
	v_add_f64_e32 v[18:19], v[30:31], v[204:205]
	v_add_f64_e32 v[30:31], v[202:203], v[200:201]
	v_fmac_f64_e32 v[196:197], v[192:193], v[186:187]
	v_fma_f64 v[186:187], v[190:191], v[186:187], -v[188:189]
	s_delay_alu instid0(VALU_DEP_4) | instskip(NEXT) | instid1(VALU_DEP_4)
	v_add_f64_e32 v[24:25], v[18:19], v[16:17]
	v_add_f64_e32 v[30:31], v[30:31], v[194:195]
	ds_load_b128 v[4:7], v2 offset:1872
	ds_load_b128 v[16:19], v2 offset:1888
	s_wait_loadcnt_dscnt 0x801
	v_mul_f64_e32 v[194:195], v[4:5], v[160:161]
	v_mul_f64_e32 v[160:161], v[6:7], v[160:161]
	v_add_f64_e32 v[22:23], v[24:25], v[22:23]
	v_add_f64_e32 v[24:25], v[30:31], v[206:207]
	s_wait_loadcnt_dscnt 0x700
	v_mul_f64_e32 v[30:31], v[16:17], v[28:29]
	v_mul_f64_e32 v[28:29], v[18:19], v[28:29]
	v_fmac_f64_e32 v[194:195], v[6:7], v[158:159]
	v_fma_f64 v[158:159], v[4:5], v[158:159], -v[160:161]
	v_add_f64_e32 v[160:161], v[22:23], v[186:187]
	v_add_f64_e32 v[186:187], v[24:25], v[196:197]
	ds_load_b128 v[4:7], v2 offset:1904
	ds_load_b128 v[22:25], v2 offset:1920
	v_fmac_f64_e32 v[30:31], v[18:19], v[26:27]
	v_fma_f64 v[16:17], v[16:17], v[26:27], -v[28:29]
	s_wait_loadcnt_dscnt 0x601
	v_mul_f64_e32 v[188:189], v[4:5], v[164:165]
	v_mul_f64_e32 v[164:165], v[6:7], v[164:165]
	s_wait_loadcnt_dscnt 0x500
	v_mul_f64_e32 v[28:29], v[22:23], v[172:173]
	v_add_f64_e32 v[18:19], v[160:161], v[158:159]
	v_add_f64_e32 v[26:27], v[186:187], v[194:195]
	v_mul_f64_e32 v[158:159], v[24:25], v[172:173]
	v_fmac_f64_e32 v[188:189], v[6:7], v[162:163]
	v_fma_f64 v[160:161], v[4:5], v[162:163], -v[164:165]
	v_fmac_f64_e32 v[28:29], v[24:25], v[170:171]
	v_add_f64_e32 v[162:163], v[18:19], v[16:17]
	v_add_f64_e32 v[26:27], v[26:27], v[30:31]
	ds_load_b128 v[4:7], v2 offset:1936
	ds_load_b128 v[16:19], v2 offset:1952
	v_fma_f64 v[22:23], v[22:23], v[170:171], -v[158:159]
	s_wait_loadcnt_dscnt 0x401
	v_mul_f64_e32 v[30:31], v[4:5], v[180:181]
	v_mul_f64_e32 v[164:165], v[6:7], v[180:181]
	s_wait_loadcnt_dscnt 0x300
	v_mul_f64_e32 v[158:159], v[16:17], v[168:169]
	v_add_f64_e32 v[24:25], v[162:163], v[160:161]
	v_add_f64_e32 v[26:27], v[26:27], v[188:189]
	v_mul_f64_e32 v[160:161], v[18:19], v[168:169]
	v_fmac_f64_e32 v[30:31], v[6:7], v[178:179]
	v_fma_f64 v[162:163], v[4:5], v[178:179], -v[164:165]
	v_fmac_f64_e32 v[158:159], v[18:19], v[166:167]
	v_add_f64_e32 v[164:165], v[24:25], v[22:23]
	v_add_f64_e32 v[26:27], v[26:27], v[28:29]
	ds_load_b128 v[4:7], v2 offset:1968
	ds_load_b128 v[22:25], v2 offset:1984
	v_fma_f64 v[16:17], v[16:17], v[166:167], -v[160:161]
	s_wait_loadcnt_dscnt 0x201
	v_mul_f64_e32 v[28:29], v[4:5], v[176:177]
	v_mul_f64_e32 v[168:169], v[6:7], v[176:177]
	v_add_f64_e32 v[18:19], v[164:165], v[162:163]
	v_add_f64_e32 v[26:27], v[26:27], v[30:31]
	s_wait_loadcnt_dscnt 0x100
	v_mul_f64_e32 v[30:31], v[22:23], v[10:11]
	v_mul_f64_e32 v[10:11], v[24:25], v[10:11]
	v_fmac_f64_e32 v[28:29], v[6:7], v[174:175]
	v_fma_f64 v[160:161], v[4:5], v[174:175], -v[168:169]
	ds_load_b128 v[4:7], v2 offset:2000
	v_add_f64_e32 v[16:17], v[18:19], v[16:17]
	v_add_f64_e32 v[18:19], v[26:27], v[158:159]
	v_fmac_f64_e32 v[30:31], v[24:25], v[8:9]
	v_fma_f64 v[8:9], v[22:23], v[8:9], -v[10:11]
	s_wait_loadcnt_dscnt 0x0
	v_mul_f64_e32 v[26:27], v[4:5], v[14:15]
	v_mul_f64_e32 v[14:15], v[6:7], v[14:15]
	v_add_f64_e32 v[10:11], v[16:17], v[160:161]
	v_add_f64_e32 v[16:17], v[18:19], v[28:29]
	s_delay_alu instid0(VALU_DEP_4) | instskip(NEXT) | instid1(VALU_DEP_4)
	v_fmac_f64_e32 v[26:27], v[6:7], v[12:13]
	v_fma_f64 v[4:5], v[4:5], v[12:13], -v[14:15]
	s_delay_alu instid0(VALU_DEP_4) | instskip(NEXT) | instid1(VALU_DEP_4)
	v_add_f64_e32 v[6:7], v[10:11], v[8:9]
	v_add_f64_e32 v[8:9], v[16:17], v[30:31]
	s_delay_alu instid0(VALU_DEP_2) | instskip(NEXT) | instid1(VALU_DEP_2)
	v_add_f64_e32 v[4:5], v[6:7], v[4:5]
	v_add_f64_e32 v[6:7], v[8:9], v[26:27]
	s_delay_alu instid0(VALU_DEP_2) | instskip(NEXT) | instid1(VALU_DEP_2)
	v_add_f64_e64 v[4:5], v[182:183], -v[4:5]
	v_add_f64_e64 v[6:7], v[184:185], -v[6:7]
	scratch_store_b128 off, v[4:7], off offset:560
	s_wait_xcnt 0x0
	v_cmpx_lt_u32_e32 34, v1
	s_cbranch_execz .LBB126_335
; %bb.334:
	scratch_load_b128 v[6:9], off, s47
	v_dual_mov_b32 v3, v2 :: v_dual_mov_b32 v4, v2
	v_mov_b32_e32 v5, v2
	scratch_store_b128 off, v[2:5], off offset:544
	s_wait_loadcnt 0x0
	ds_store_b128 v20, v[6:9]
.LBB126_335:
	s_wait_xcnt 0x0
	s_or_b32 exec_lo, exec_lo, s2
	s_wait_storecnt_dscnt 0x0
	s_barrier_signal -1
	s_barrier_wait -1
	s_clause 0x9
	scratch_load_b128 v[4:7], off, off offset:560
	scratch_load_b128 v[8:11], off, off offset:576
	;; [unrolled: 1-line block ×10, first 2 shown]
	ds_load_b128 v[174:177], v2 offset:1568
	ds_load_b128 v[182:185], v2 offset:1584
	s_clause 0x2
	scratch_load_b128 v[178:181], off, off offset:720
	scratch_load_b128 v[186:189], off, off offset:544
	;; [unrolled: 1-line block ×3, first 2 shown]
	s_mov_b32 s2, exec_lo
	s_wait_loadcnt_dscnt 0xc01
	v_mul_f64_e32 v[30:31], v[176:177], v[6:7]
	v_mul_f64_e32 v[198:199], v[174:175], v[6:7]
	s_wait_loadcnt_dscnt 0xb00
	v_mul_f64_e32 v[200:201], v[182:183], v[10:11]
	v_mul_f64_e32 v[10:11], v[184:185], v[10:11]
	s_delay_alu instid0(VALU_DEP_4) | instskip(NEXT) | instid1(VALU_DEP_4)
	v_fma_f64 v[30:31], v[174:175], v[4:5], -v[30:31]
	v_fmac_f64_e32 v[198:199], v[176:177], v[4:5]
	ds_load_b128 v[4:7], v2 offset:1600
	ds_load_b128 v[174:177], v2 offset:1616
	scratch_load_b128 v[194:197], off, off offset:752
	v_fmac_f64_e32 v[200:201], v[184:185], v[8:9]
	v_fma_f64 v[182:183], v[182:183], v[8:9], -v[10:11]
	scratch_load_b128 v[8:11], off, off offset:768
	s_wait_loadcnt_dscnt 0xc01
	v_mul_f64_e32 v[202:203], v[4:5], v[14:15]
	v_mul_f64_e32 v[14:15], v[6:7], v[14:15]
	v_add_f64_e32 v[30:31], 0, v[30:31]
	v_add_f64_e32 v[184:185], 0, v[198:199]
	s_wait_loadcnt_dscnt 0xb00
	v_mul_f64_e32 v[198:199], v[174:175], v[18:19]
	v_mul_f64_e32 v[18:19], v[176:177], v[18:19]
	v_fmac_f64_e32 v[202:203], v[6:7], v[12:13]
	v_fma_f64 v[204:205], v[4:5], v[12:13], -v[14:15]
	ds_load_b128 v[4:7], v2 offset:1632
	ds_load_b128 v[12:15], v2 offset:1648
	v_add_f64_e32 v[30:31], v[30:31], v[182:183]
	v_add_f64_e32 v[200:201], v[184:185], v[200:201]
	scratch_load_b128 v[182:185], off, off offset:784
	v_fmac_f64_e32 v[198:199], v[176:177], v[16:17]
	v_fma_f64 v[174:175], v[174:175], v[16:17], -v[18:19]
	scratch_load_b128 v[16:19], off, off offset:800
	s_wait_loadcnt_dscnt 0xc01
	v_mul_f64_e32 v[206:207], v[4:5], v[24:25]
	v_mul_f64_e32 v[24:25], v[6:7], v[24:25]
	v_add_f64_e32 v[30:31], v[30:31], v[204:205]
	v_add_f64_e32 v[176:177], v[200:201], v[202:203]
	s_wait_loadcnt_dscnt 0xb00
	v_mul_f64_e32 v[200:201], v[12:13], v[28:29]
	v_mul_f64_e32 v[202:203], v[14:15], v[28:29]
	v_fmac_f64_e32 v[206:207], v[6:7], v[22:23]
	v_fma_f64 v[204:205], v[4:5], v[22:23], -v[24:25]
	ds_load_b128 v[4:7], v2 offset:1664
	ds_load_b128 v[22:25], v2 offset:1680
	v_add_f64_e32 v[174:175], v[30:31], v[174:175]
	v_add_f64_e32 v[176:177], v[176:177], v[198:199]
	scratch_load_b128 v[28:31], off, off offset:816
	s_wait_loadcnt_dscnt 0xb01
	v_mul_f64_e32 v[198:199], v[4:5], v[160:161]
	v_mul_f64_e32 v[160:161], v[6:7], v[160:161]
	v_fmac_f64_e32 v[200:201], v[14:15], v[26:27]
	v_fma_f64 v[26:27], v[12:13], v[26:27], -v[202:203]
	scratch_load_b128 v[12:15], off, off offset:832
	s_wait_loadcnt_dscnt 0xb00
	v_mul_f64_e32 v[202:203], v[22:23], v[164:165]
	v_mul_f64_e32 v[164:165], v[24:25], v[164:165]
	v_add_f64_e32 v[174:175], v[174:175], v[204:205]
	v_add_f64_e32 v[176:177], v[176:177], v[206:207]
	v_fmac_f64_e32 v[198:199], v[6:7], v[158:159]
	v_fma_f64 v[204:205], v[4:5], v[158:159], -v[160:161]
	ds_load_b128 v[4:7], v2 offset:1696
	ds_load_b128 v[158:161], v2 offset:1712
	v_fmac_f64_e32 v[202:203], v[24:25], v[162:163]
	v_fma_f64 v[162:163], v[22:23], v[162:163], -v[164:165]
	scratch_load_b128 v[22:25], off, off offset:864
	s_wait_loadcnt_dscnt 0xb01
	v_mul_f64_e32 v[206:207], v[4:5], v[168:169]
	v_mul_f64_e32 v[168:169], v[6:7], v[168:169]
	v_add_f64_e32 v[26:27], v[174:175], v[26:27]
	v_add_f64_e32 v[200:201], v[176:177], v[200:201]
	scratch_load_b128 v[174:177], off, off offset:848
	v_fmac_f64_e32 v[206:207], v[6:7], v[166:167]
	v_add_f64_e32 v[26:27], v[26:27], v[204:205]
	v_add_f64_e32 v[164:165], v[200:201], v[198:199]
	s_wait_loadcnt_dscnt 0xb00
	v_mul_f64_e32 v[198:199], v[158:159], v[172:173]
	v_mul_f64_e32 v[172:173], v[160:161], v[172:173]
	v_fma_f64 v[200:201], v[4:5], v[166:167], -v[168:169]
	v_add_f64_e32 v[26:27], v[26:27], v[162:163]
	v_add_f64_e32 v[202:203], v[164:165], v[202:203]
	ds_load_b128 v[4:7], v2 offset:1728
	ds_load_b128 v[162:165], v2 offset:1744
	scratch_load_b128 v[166:169], off, off offset:880
	v_fmac_f64_e32 v[198:199], v[160:161], v[170:171]
	v_fma_f64 v[170:171], v[158:159], v[170:171], -v[172:173]
	scratch_load_b128 v[158:161], off, off offset:896
	s_wait_loadcnt_dscnt 0xc01
	v_mul_f64_e32 v[204:205], v[4:5], v[180:181]
	v_mul_f64_e32 v[180:181], v[6:7], v[180:181]
	v_add_f64_e32 v[26:27], v[26:27], v[200:201]
	v_add_f64_e32 v[172:173], v[202:203], v[206:207]
	s_wait_loadcnt_dscnt 0xa00
	v_mul_f64_e32 v[200:201], v[162:163], v[192:193]
	v_mul_f64_e32 v[192:193], v[164:165], v[192:193]
	v_fmac_f64_e32 v[204:205], v[6:7], v[178:179]
	v_fma_f64 v[202:203], v[4:5], v[178:179], -v[180:181]
	v_add_f64_e32 v[26:27], v[26:27], v[170:171]
	v_add_f64_e32 v[198:199], v[172:173], v[198:199]
	ds_load_b128 v[4:7], v2 offset:1760
	ds_load_b128 v[170:173], v2 offset:1776
	scratch_load_b128 v[178:181], off, off offset:912
	v_fmac_f64_e32 v[200:201], v[164:165], v[190:191]
	v_fma_f64 v[190:191], v[162:163], v[190:191], -v[192:193]
	scratch_load_b128 v[162:165], off, off offset:928
	s_wait_loadcnt_dscnt 0xb01
	v_mul_f64_e32 v[206:207], v[4:5], v[196:197]
	v_mul_f64_e32 v[196:197], v[6:7], v[196:197]
	v_add_f64_e32 v[26:27], v[26:27], v[202:203]
	v_add_f64_e32 v[192:193], v[198:199], v[204:205]
	s_wait_loadcnt_dscnt 0xa00
	v_mul_f64_e32 v[198:199], v[170:171], v[10:11]
	v_mul_f64_e32 v[10:11], v[172:173], v[10:11]
	v_fmac_f64_e32 v[206:207], v[6:7], v[194:195]
	;; [unrolled: 18-line block ×4, first 2 shown]
	v_fma_f64 v[30:31], v[4:5], v[28:29], -v[30:31]
	v_add_f64_e32 v[190:191], v[26:27], v[190:191]
	v_add_f64_e32 v[192:193], v[192:193], v[200:201]
	ds_load_b128 v[4:7], v2 offset:1856
	ds_load_b128 v[26:29], v2 offset:1872
	v_fmac_f64_e32 v[198:199], v[172:173], v[12:13]
	v_fma_f64 v[12:13], v[170:171], v[12:13], -v[14:15]
	s_wait_loadcnt_dscnt 0x801
	v_mul_f64_e32 v[200:201], v[4:5], v[176:177]
	v_mul_f64_e32 v[176:177], v[6:7], v[176:177]
	s_wait_dscnt 0x0
	v_mul_f64_e32 v[170:171], v[26:27], v[24:25]
	v_mul_f64_e32 v[24:25], v[28:29], v[24:25]
	v_add_f64_e32 v[14:15], v[190:191], v[30:31]
	v_add_f64_e32 v[30:31], v[192:193], v[206:207]
	v_fmac_f64_e32 v[200:201], v[6:7], v[174:175]
	v_fma_f64 v[172:173], v[4:5], v[174:175], -v[176:177]
	v_fmac_f64_e32 v[170:171], v[28:29], v[22:23]
	v_fma_f64 v[22:23], v[26:27], v[22:23], -v[24:25]
	v_add_f64_e32 v[174:175], v[14:15], v[12:13]
	v_add_f64_e32 v[30:31], v[30:31], v[198:199]
	ds_load_b128 v[4:7], v2 offset:1888
	ds_load_b128 v[12:15], v2 offset:1904
	s_wait_loadcnt_dscnt 0x701
	v_mul_f64_e32 v[176:177], v[4:5], v[168:169]
	v_mul_f64_e32 v[168:169], v[6:7], v[168:169]
	s_wait_loadcnt_dscnt 0x600
	v_mul_f64_e32 v[28:29], v[12:13], v[160:161]
	v_add_f64_e32 v[24:25], v[174:175], v[172:173]
	v_add_f64_e32 v[26:27], v[30:31], v[200:201]
	v_mul_f64_e32 v[30:31], v[14:15], v[160:161]
	v_fmac_f64_e32 v[176:177], v[6:7], v[166:167]
	v_fma_f64 v[160:161], v[4:5], v[166:167], -v[168:169]
	v_fmac_f64_e32 v[28:29], v[14:15], v[158:159]
	v_add_f64_e32 v[166:167], v[24:25], v[22:23]
	v_add_f64_e32 v[26:27], v[26:27], v[170:171]
	ds_load_b128 v[4:7], v2 offset:1920
	ds_load_b128 v[22:25], v2 offset:1936
	v_fma_f64 v[12:13], v[12:13], v[158:159], -v[30:31]
	s_wait_loadcnt_dscnt 0x501
	v_mul_f64_e32 v[168:169], v[4:5], v[180:181]
	v_mul_f64_e32 v[170:171], v[6:7], v[180:181]
	s_wait_loadcnt_dscnt 0x400
	v_mul_f64_e32 v[30:31], v[22:23], v[164:165]
	v_mul_f64_e32 v[158:159], v[24:25], v[164:165]
	v_add_f64_e32 v[14:15], v[166:167], v[160:161]
	v_add_f64_e32 v[26:27], v[26:27], v[176:177]
	v_fmac_f64_e32 v[168:169], v[6:7], v[178:179]
	v_fma_f64 v[160:161], v[4:5], v[178:179], -v[170:171]
	v_fmac_f64_e32 v[30:31], v[24:25], v[162:163]
	v_fma_f64 v[22:23], v[22:23], v[162:163], -v[158:159]
	v_add_f64_e32 v[164:165], v[14:15], v[12:13]
	v_add_f64_e32 v[26:27], v[26:27], v[28:29]
	ds_load_b128 v[4:7], v2 offset:1952
	ds_load_b128 v[12:15], v2 offset:1968
	s_wait_loadcnt_dscnt 0x301
	v_mul_f64_e32 v[28:29], v[4:5], v[196:197]
	v_mul_f64_e32 v[166:167], v[6:7], v[196:197]
	s_wait_loadcnt_dscnt 0x200
	v_mul_f64_e32 v[158:159], v[12:13], v[10:11]
	v_mul_f64_e32 v[10:11], v[14:15], v[10:11]
	v_add_f64_e32 v[24:25], v[164:165], v[160:161]
	v_add_f64_e32 v[26:27], v[26:27], v[168:169]
	v_fmac_f64_e32 v[28:29], v[6:7], v[194:195]
	v_fma_f64 v[160:161], v[4:5], v[194:195], -v[166:167]
	v_fmac_f64_e32 v[158:159], v[14:15], v[8:9]
	v_fma_f64 v[8:9], v[12:13], v[8:9], -v[10:11]
	v_add_f64_e32 v[162:163], v[24:25], v[22:23]
	v_add_f64_e32 v[26:27], v[26:27], v[30:31]
	ds_load_b128 v[4:7], v2 offset:1984
	ds_load_b128 v[22:25], v2 offset:2000
	s_wait_loadcnt_dscnt 0x101
	v_mul_f64_e32 v[2:3], v[4:5], v[184:185]
	v_mul_f64_e32 v[30:31], v[6:7], v[184:185]
	s_wait_loadcnt_dscnt 0x0
	v_mul_f64_e32 v[14:15], v[22:23], v[18:19]
	v_mul_f64_e32 v[18:19], v[24:25], v[18:19]
	v_add_f64_e32 v[10:11], v[162:163], v[160:161]
	v_add_f64_e32 v[12:13], v[26:27], v[28:29]
	v_fmac_f64_e32 v[2:3], v[6:7], v[182:183]
	v_fma_f64 v[4:5], v[4:5], v[182:183], -v[30:31]
	v_fmac_f64_e32 v[14:15], v[24:25], v[16:17]
	v_add_f64_e32 v[6:7], v[10:11], v[8:9]
	v_add_f64_e32 v[8:9], v[12:13], v[158:159]
	v_fma_f64 v[10:11], v[22:23], v[16:17], -v[18:19]
	s_delay_alu instid0(VALU_DEP_3) | instskip(NEXT) | instid1(VALU_DEP_3)
	v_add_f64_e32 v[4:5], v[6:7], v[4:5]
	v_add_f64_e32 v[2:3], v[8:9], v[2:3]
	s_delay_alu instid0(VALU_DEP_2) | instskip(NEXT) | instid1(VALU_DEP_2)
	v_add_f64_e32 v[4:5], v[4:5], v[10:11]
	v_add_f64_e32 v[6:7], v[2:3], v[14:15]
	s_delay_alu instid0(VALU_DEP_2) | instskip(NEXT) | instid1(VALU_DEP_2)
	v_add_f64_e64 v[2:3], v[186:187], -v[4:5]
	v_add_f64_e64 v[4:5], v[188:189], -v[6:7]
	scratch_store_b128 off, v[2:5], off offset:544
	s_wait_xcnt 0x0
	v_cmpx_lt_u32_e32 33, v1
	s_cbranch_execz .LBB126_337
; %bb.336:
	scratch_load_b128 v[2:5], off, s48
	v_mov_b32_e32 v6, 0
	s_delay_alu instid0(VALU_DEP_1)
	v_dual_mov_b32 v7, v6 :: v_dual_mov_b32 v8, v6
	v_mov_b32_e32 v9, v6
	scratch_store_b128 off, v[6:9], off offset:528
	s_wait_loadcnt 0x0
	ds_store_b128 v20, v[2:5]
.LBB126_337:
	s_wait_xcnt 0x0
	s_or_b32 exec_lo, exec_lo, s2
	s_wait_storecnt_dscnt 0x0
	s_barrier_signal -1
	s_barrier_wait -1
	s_clause 0x9
	scratch_load_b128 v[4:7], off, off offset:544
	scratch_load_b128 v[8:11], off, off offset:560
	;; [unrolled: 1-line block ×10, first 2 shown]
	v_mov_b32_e32 v2, 0
	s_mov_b32 s2, exec_lo
	ds_load_b128 v[174:177], v2 offset:1552
	s_clause 0x2
	scratch_load_b128 v[178:181], off, off offset:704
	scratch_load_b128 v[182:185], off, off offset:528
	;; [unrolled: 1-line block ×3, first 2 shown]
	s_wait_loadcnt_dscnt 0xc00
	v_mul_f64_e32 v[30:31], v[176:177], v[6:7]
	v_mul_f64_e32 v[198:199], v[174:175], v[6:7]
	ds_load_b128 v[186:189], v2 offset:1568
	ds_load_b128 v[194:197], v2 offset:1600
	v_fma_f64 v[30:31], v[174:175], v[4:5], -v[30:31]
	v_fmac_f64_e32 v[198:199], v[176:177], v[4:5]
	ds_load_b128 v[4:7], v2 offset:1584
	s_wait_loadcnt_dscnt 0xb02
	v_mul_f64_e32 v[200:201], v[186:187], v[10:11]
	v_mul_f64_e32 v[10:11], v[188:189], v[10:11]
	scratch_load_b128 v[174:177], off, off offset:736
	s_wait_loadcnt_dscnt 0xb00
	v_mul_f64_e32 v[202:203], v[4:5], v[14:15]
	v_mul_f64_e32 v[14:15], v[6:7], v[14:15]
	v_add_f64_e32 v[30:31], 0, v[30:31]
	v_fmac_f64_e32 v[200:201], v[188:189], v[8:9]
	v_fma_f64 v[186:187], v[186:187], v[8:9], -v[10:11]
	v_add_f64_e32 v[188:189], 0, v[198:199]
	scratch_load_b128 v[8:11], off, off offset:752
	v_fmac_f64_e32 v[202:203], v[6:7], v[12:13]
	v_fma_f64 v[204:205], v[4:5], v[12:13], -v[14:15]
	ds_load_b128 v[4:7], v2 offset:1616
	s_wait_loadcnt 0xb
	v_mul_f64_e32 v[198:199], v[194:195], v[18:19]
	v_mul_f64_e32 v[18:19], v[196:197], v[18:19]
	scratch_load_b128 v[12:15], off, off offset:768
	v_add_f64_e32 v[30:31], v[30:31], v[186:187]
	v_add_f64_e32 v[200:201], v[188:189], v[200:201]
	ds_load_b128 v[186:189], v2 offset:1632
	s_wait_loadcnt_dscnt 0xb01
	v_mul_f64_e32 v[206:207], v[4:5], v[24:25]
	v_mul_f64_e32 v[24:25], v[6:7], v[24:25]
	v_fmac_f64_e32 v[198:199], v[196:197], v[16:17]
	v_fma_f64 v[194:195], v[194:195], v[16:17], -v[18:19]
	scratch_load_b128 v[16:19], off, off offset:784
	v_add_f64_e32 v[30:31], v[30:31], v[204:205]
	v_add_f64_e32 v[196:197], v[200:201], v[202:203]
	v_fmac_f64_e32 v[206:207], v[6:7], v[22:23]
	v_fma_f64 v[204:205], v[4:5], v[22:23], -v[24:25]
	ds_load_b128 v[4:7], v2 offset:1648
	s_wait_loadcnt_dscnt 0xb01
	v_mul_f64_e32 v[200:201], v[186:187], v[28:29]
	v_mul_f64_e32 v[202:203], v[188:189], v[28:29]
	scratch_load_b128 v[22:25], off, off offset:800
	v_add_f64_e32 v[194:195], v[30:31], v[194:195]
	v_add_f64_e32 v[196:197], v[196:197], v[198:199]
	s_wait_loadcnt_dscnt 0xb00
	v_mul_f64_e32 v[198:199], v[4:5], v[160:161]
	v_mul_f64_e32 v[160:161], v[6:7], v[160:161]
	ds_load_b128 v[28:31], v2 offset:1664
	v_fmac_f64_e32 v[200:201], v[188:189], v[26:27]
	v_fma_f64 v[26:27], v[186:187], v[26:27], -v[202:203]
	scratch_load_b128 v[186:189], off, off offset:816
	v_add_f64_e32 v[194:195], v[194:195], v[204:205]
	v_add_f64_e32 v[196:197], v[196:197], v[206:207]
	v_fmac_f64_e32 v[198:199], v[6:7], v[158:159]
	v_fma_f64 v[204:205], v[4:5], v[158:159], -v[160:161]
	ds_load_b128 v[4:7], v2 offset:1680
	s_wait_loadcnt_dscnt 0xb01
	v_mul_f64_e32 v[202:203], v[28:29], v[164:165]
	v_mul_f64_e32 v[164:165], v[30:31], v[164:165]
	scratch_load_b128 v[158:161], off, off offset:832
	s_wait_loadcnt_dscnt 0xb00
	v_mul_f64_e32 v[206:207], v[4:5], v[168:169]
	v_mul_f64_e32 v[168:169], v[6:7], v[168:169]
	v_add_f64_e32 v[26:27], v[194:195], v[26:27]
	v_add_f64_e32 v[200:201], v[196:197], v[200:201]
	ds_load_b128 v[194:197], v2 offset:1696
	v_fmac_f64_e32 v[202:203], v[30:31], v[162:163]
	v_fma_f64 v[30:31], v[28:29], v[162:163], -v[164:165]
	v_fmac_f64_e32 v[206:207], v[6:7], v[166:167]
	v_add_f64_e32 v[162:163], v[26:27], v[204:205]
	v_add_f64_e32 v[164:165], v[200:201], v[198:199]
	scratch_load_b128 v[26:29], off, off offset:848
	v_fma_f64 v[200:201], v[4:5], v[166:167], -v[168:169]
	ds_load_b128 v[4:7], v2 offset:1712
	s_wait_loadcnt_dscnt 0xb01
	v_mul_f64_e32 v[198:199], v[194:195], v[172:173]
	v_mul_f64_e32 v[172:173], v[196:197], v[172:173]
	ds_load_b128 v[166:169], v2 offset:1728
	s_wait_loadcnt_dscnt 0xa01
	v_mul_f64_e32 v[204:205], v[4:5], v[180:181]
	v_mul_f64_e32 v[180:181], v[6:7], v[180:181]
	v_add_f64_e32 v[30:31], v[162:163], v[30:31]
	v_add_f64_e32 v[202:203], v[164:165], v[202:203]
	scratch_load_b128 v[162:165], off, off offset:864
	v_fmac_f64_e32 v[198:199], v[196:197], v[170:171]
	v_fma_f64 v[194:195], v[194:195], v[170:171], -v[172:173]
	scratch_load_b128 v[170:173], off, off offset:880
	v_fmac_f64_e32 v[204:205], v[6:7], v[178:179]
	v_add_f64_e32 v[30:31], v[30:31], v[200:201]
	v_add_f64_e32 v[196:197], v[202:203], v[206:207]
	v_fma_f64 v[206:207], v[4:5], v[178:179], -v[180:181]
	ds_load_b128 v[4:7], v2 offset:1744
	s_wait_loadcnt_dscnt 0xa01
	v_mul_f64_e32 v[200:201], v[166:167], v[192:193]
	v_mul_f64_e32 v[202:203], v[168:169], v[192:193]
	scratch_load_b128 v[178:181], off, off offset:896
	v_add_f64_e32 v[30:31], v[30:31], v[194:195]
	v_add_f64_e32 v[196:197], v[196:197], v[198:199]
	s_wait_loadcnt_dscnt 0xa00
	v_mul_f64_e32 v[208:209], v[4:5], v[176:177]
	v_mul_f64_e32 v[176:177], v[6:7], v[176:177]
	v_fmac_f64_e32 v[200:201], v[168:169], v[190:191]
	v_fma_f64 v[190:191], v[166:167], v[190:191], -v[202:203]
	ds_load_b128 v[192:195], v2 offset:1760
	scratch_load_b128 v[166:169], off, off offset:912
	v_add_f64_e32 v[30:31], v[30:31], v[206:207]
	v_add_f64_e32 v[196:197], v[196:197], v[204:205]
	v_fmac_f64_e32 v[208:209], v[6:7], v[174:175]
	v_fma_f64 v[204:205], v[4:5], v[174:175], -v[176:177]
	ds_load_b128 v[4:7], v2 offset:1776
	s_wait_loadcnt_dscnt 0xa01
	v_mul_f64_e32 v[202:203], v[192:193], v[10:11]
	v_mul_f64_e32 v[10:11], v[194:195], v[10:11]
	scratch_load_b128 v[174:177], off, off offset:928
	v_add_f64_e32 v[30:31], v[30:31], v[190:191]
	v_add_f64_e32 v[190:191], v[196:197], v[200:201]
	s_wait_loadcnt_dscnt 0xa00
	v_mul_f64_e32 v[200:201], v[4:5], v[14:15]
	v_mul_f64_e32 v[14:15], v[6:7], v[14:15]
	ds_load_b128 v[196:199], v2 offset:1792
	v_fmac_f64_e32 v[202:203], v[194:195], v[8:9]
	v_fma_f64 v[192:193], v[192:193], v[8:9], -v[10:11]
	scratch_load_b128 v[8:11], off, off offset:944
	v_add_f64_e32 v[30:31], v[30:31], v[204:205]
	v_add_f64_e32 v[190:191], v[190:191], v[208:209]
	v_fmac_f64_e32 v[200:201], v[6:7], v[12:13]
	v_fma_f64 v[204:205], v[4:5], v[12:13], -v[14:15]
	ds_load_b128 v[4:7], v2 offset:1808
	s_wait_loadcnt_dscnt 0xa01
	v_mul_f64_e32 v[194:195], v[196:197], v[18:19]
	v_mul_f64_e32 v[18:19], v[198:199], v[18:19]
	scratch_load_b128 v[12:15], off, off offset:960
	s_wait_loadcnt_dscnt 0xa00
	v_mul_f64_e32 v[206:207], v[4:5], v[24:25]
	v_mul_f64_e32 v[24:25], v[6:7], v[24:25]
	v_add_f64_e32 v[30:31], v[30:31], v[192:193]
	v_add_f64_e32 v[202:203], v[190:191], v[202:203]
	ds_load_b128 v[190:193], v2 offset:1824
	v_fmac_f64_e32 v[194:195], v[198:199], v[16:17]
	v_fma_f64 v[196:197], v[196:197], v[16:17], -v[18:19]
	scratch_load_b128 v[16:19], off, off offset:976
	v_fmac_f64_e32 v[206:207], v[6:7], v[22:23]
	v_add_f64_e32 v[30:31], v[30:31], v[204:205]
	v_add_f64_e32 v[198:199], v[202:203], v[200:201]
	v_fma_f64 v[202:203], v[4:5], v[22:23], -v[24:25]
	ds_load_b128 v[4:7], v2 offset:1840
	s_wait_loadcnt_dscnt 0xa01
	v_mul_f64_e32 v[200:201], v[190:191], v[188:189]
	v_mul_f64_e32 v[188:189], v[192:193], v[188:189]
	scratch_load_b128 v[22:25], off, off offset:992
	s_wait_loadcnt_dscnt 0xa00
	v_mul_f64_e32 v[204:205], v[4:5], v[160:161]
	v_mul_f64_e32 v[160:161], v[6:7], v[160:161]
	v_add_f64_e32 v[30:31], v[30:31], v[196:197]
	v_add_f64_e32 v[198:199], v[198:199], v[194:195]
	ds_load_b128 v[194:197], v2 offset:1856
	v_fmac_f64_e32 v[200:201], v[192:193], v[186:187]
	v_fma_f64 v[186:187], v[190:191], v[186:187], -v[188:189]
	v_fmac_f64_e32 v[204:205], v[6:7], v[158:159]
	v_fma_f64 v[158:159], v[4:5], v[158:159], -v[160:161]
	v_add_f64_e32 v[30:31], v[30:31], v[202:203]
	v_add_f64_e32 v[188:189], v[198:199], v[206:207]
	s_wait_loadcnt_dscnt 0x900
	v_mul_f64_e32 v[190:191], v[194:195], v[28:29]
	v_mul_f64_e32 v[192:193], v[196:197], v[28:29]
	s_delay_alu instid0(VALU_DEP_4) | instskip(NEXT) | instid1(VALU_DEP_4)
	v_add_f64_e32 v[160:161], v[30:31], v[186:187]
	v_add_f64_e32 v[186:187], v[188:189], v[200:201]
	ds_load_b128 v[4:7], v2 offset:1872
	ds_load_b128 v[28:31], v2 offset:1888
	v_fmac_f64_e32 v[190:191], v[196:197], v[26:27]
	v_fma_f64 v[26:27], v[194:195], v[26:27], -v[192:193]
	s_wait_loadcnt_dscnt 0x801
	v_mul_f64_e32 v[188:189], v[4:5], v[164:165]
	v_mul_f64_e32 v[164:165], v[6:7], v[164:165]
	v_add_f64_e32 v[158:159], v[160:161], v[158:159]
	v_add_f64_e32 v[160:161], v[186:187], v[204:205]
	s_wait_loadcnt_dscnt 0x700
	v_mul_f64_e32 v[186:187], v[28:29], v[172:173]
	v_mul_f64_e32 v[172:173], v[30:31], v[172:173]
	v_fmac_f64_e32 v[188:189], v[6:7], v[162:163]
	v_fma_f64 v[162:163], v[4:5], v[162:163], -v[164:165]
	v_add_f64_e32 v[26:27], v[158:159], v[26:27]
	v_add_f64_e32 v[164:165], v[160:161], v[190:191]
	ds_load_b128 v[4:7], v2 offset:1904
	ds_load_b128 v[158:161], v2 offset:1920
	v_fmac_f64_e32 v[186:187], v[30:31], v[170:171]
	v_fma_f64 v[28:29], v[28:29], v[170:171], -v[172:173]
	s_wait_loadcnt_dscnt 0x601
	v_mul_f64_e32 v[190:191], v[4:5], v[180:181]
	v_mul_f64_e32 v[180:181], v[6:7], v[180:181]
	v_add_f64_e32 v[26:27], v[26:27], v[162:163]
	v_add_f64_e32 v[30:31], v[164:165], v[188:189]
	s_wait_loadcnt_dscnt 0x500
	v_mul_f64_e32 v[162:163], v[158:159], v[168:169]
	v_mul_f64_e32 v[164:165], v[160:161], v[168:169]
	v_fmac_f64_e32 v[190:191], v[6:7], v[178:179]
	v_fma_f64 v[168:169], v[4:5], v[178:179], -v[180:181]
	v_add_f64_e32 v[170:171], v[26:27], v[28:29]
	v_add_f64_e32 v[30:31], v[30:31], v[186:187]
	ds_load_b128 v[4:7], v2 offset:1936
	ds_load_b128 v[26:29], v2 offset:1952
	v_fmac_f64_e32 v[162:163], v[160:161], v[166:167]
	v_fma_f64 v[158:159], v[158:159], v[166:167], -v[164:165]
	s_wait_loadcnt_dscnt 0x401
	v_mul_f64_e32 v[172:173], v[4:5], v[176:177]
	v_mul_f64_e32 v[176:177], v[6:7], v[176:177]
	s_wait_loadcnt_dscnt 0x300
	v_mul_f64_e32 v[164:165], v[26:27], v[10:11]
	v_mul_f64_e32 v[10:11], v[28:29], v[10:11]
	v_add_f64_e32 v[160:161], v[170:171], v[168:169]
	v_add_f64_e32 v[30:31], v[30:31], v[190:191]
	v_fmac_f64_e32 v[172:173], v[6:7], v[174:175]
	v_fma_f64 v[166:167], v[4:5], v[174:175], -v[176:177]
	v_fmac_f64_e32 v[164:165], v[28:29], v[8:9]
	v_fma_f64 v[8:9], v[26:27], v[8:9], -v[10:11]
	v_add_f64_e32 v[168:169], v[160:161], v[158:159]
	v_add_f64_e32 v[30:31], v[30:31], v[162:163]
	ds_load_b128 v[4:7], v2 offset:1968
	ds_load_b128 v[158:161], v2 offset:1984
	s_wait_loadcnt_dscnt 0x201
	v_mul_f64_e32 v[162:163], v[4:5], v[14:15]
	v_mul_f64_e32 v[14:15], v[6:7], v[14:15]
	s_wait_loadcnt_dscnt 0x100
	v_mul_f64_e32 v[28:29], v[158:159], v[18:19]
	v_mul_f64_e32 v[18:19], v[160:161], v[18:19]
	v_add_f64_e32 v[10:11], v[168:169], v[166:167]
	v_add_f64_e32 v[26:27], v[30:31], v[172:173]
	v_fmac_f64_e32 v[162:163], v[6:7], v[12:13]
	v_fma_f64 v[12:13], v[4:5], v[12:13], -v[14:15]
	ds_load_b128 v[4:7], v2 offset:2000
	v_fmac_f64_e32 v[28:29], v[160:161], v[16:17]
	v_fma_f64 v[16:17], v[158:159], v[16:17], -v[18:19]
	v_add_f64_e32 v[8:9], v[10:11], v[8:9]
	v_add_f64_e32 v[10:11], v[26:27], v[164:165]
	s_wait_loadcnt_dscnt 0x0
	v_mul_f64_e32 v[14:15], v[4:5], v[24:25]
	v_mul_f64_e32 v[24:25], v[6:7], v[24:25]
	s_delay_alu instid0(VALU_DEP_4) | instskip(NEXT) | instid1(VALU_DEP_4)
	v_add_f64_e32 v[8:9], v[8:9], v[12:13]
	v_add_f64_e32 v[10:11], v[10:11], v[162:163]
	s_delay_alu instid0(VALU_DEP_4) | instskip(NEXT) | instid1(VALU_DEP_4)
	v_fmac_f64_e32 v[14:15], v[6:7], v[22:23]
	v_fma_f64 v[4:5], v[4:5], v[22:23], -v[24:25]
	s_delay_alu instid0(VALU_DEP_4) | instskip(NEXT) | instid1(VALU_DEP_4)
	v_add_f64_e32 v[6:7], v[8:9], v[16:17]
	v_add_f64_e32 v[8:9], v[10:11], v[28:29]
	s_delay_alu instid0(VALU_DEP_2) | instskip(NEXT) | instid1(VALU_DEP_2)
	v_add_f64_e32 v[4:5], v[6:7], v[4:5]
	v_add_f64_e32 v[6:7], v[8:9], v[14:15]
	s_delay_alu instid0(VALU_DEP_2) | instskip(NEXT) | instid1(VALU_DEP_2)
	v_add_f64_e64 v[4:5], v[182:183], -v[4:5]
	v_add_f64_e64 v[6:7], v[184:185], -v[6:7]
	scratch_store_b128 off, v[4:7], off offset:528
	s_wait_xcnt 0x0
	v_cmpx_lt_u32_e32 32, v1
	s_cbranch_execz .LBB126_339
; %bb.338:
	scratch_load_b128 v[6:9], off, s49
	v_dual_mov_b32 v3, v2 :: v_dual_mov_b32 v4, v2
	v_mov_b32_e32 v5, v2
	scratch_store_b128 off, v[2:5], off offset:512
	s_wait_loadcnt 0x0
	ds_store_b128 v20, v[6:9]
.LBB126_339:
	s_wait_xcnt 0x0
	s_or_b32 exec_lo, exec_lo, s2
	s_wait_storecnt_dscnt 0x0
	s_barrier_signal -1
	s_barrier_wait -1
	s_clause 0x9
	scratch_load_b128 v[4:7], off, off offset:528
	scratch_load_b128 v[8:11], off, off offset:544
	;; [unrolled: 1-line block ×10, first 2 shown]
	ds_load_b128 v[174:177], v2 offset:1536
	ds_load_b128 v[182:185], v2 offset:1552
	s_clause 0x2
	scratch_load_b128 v[178:181], off, off offset:688
	scratch_load_b128 v[186:189], off, off offset:512
	;; [unrolled: 1-line block ×3, first 2 shown]
	s_mov_b32 s2, exec_lo
	s_wait_loadcnt_dscnt 0xc01
	v_mul_f64_e32 v[30:31], v[176:177], v[6:7]
	v_mul_f64_e32 v[198:199], v[174:175], v[6:7]
	s_wait_loadcnt_dscnt 0xb00
	v_mul_f64_e32 v[200:201], v[182:183], v[10:11]
	v_mul_f64_e32 v[10:11], v[184:185], v[10:11]
	s_delay_alu instid0(VALU_DEP_4) | instskip(NEXT) | instid1(VALU_DEP_4)
	v_fma_f64 v[30:31], v[174:175], v[4:5], -v[30:31]
	v_fmac_f64_e32 v[198:199], v[176:177], v[4:5]
	ds_load_b128 v[4:7], v2 offset:1568
	ds_load_b128 v[174:177], v2 offset:1584
	scratch_load_b128 v[194:197], off, off offset:720
	v_fmac_f64_e32 v[200:201], v[184:185], v[8:9]
	v_fma_f64 v[182:183], v[182:183], v[8:9], -v[10:11]
	scratch_load_b128 v[8:11], off, off offset:736
	s_wait_loadcnt_dscnt 0xc01
	v_mul_f64_e32 v[202:203], v[4:5], v[14:15]
	v_mul_f64_e32 v[14:15], v[6:7], v[14:15]
	v_add_f64_e32 v[30:31], 0, v[30:31]
	v_add_f64_e32 v[184:185], 0, v[198:199]
	s_wait_loadcnt_dscnt 0xb00
	v_mul_f64_e32 v[198:199], v[174:175], v[18:19]
	v_mul_f64_e32 v[18:19], v[176:177], v[18:19]
	v_fmac_f64_e32 v[202:203], v[6:7], v[12:13]
	v_fma_f64 v[204:205], v[4:5], v[12:13], -v[14:15]
	ds_load_b128 v[4:7], v2 offset:1600
	ds_load_b128 v[12:15], v2 offset:1616
	v_add_f64_e32 v[30:31], v[30:31], v[182:183]
	v_add_f64_e32 v[200:201], v[184:185], v[200:201]
	scratch_load_b128 v[182:185], off, off offset:752
	v_fmac_f64_e32 v[198:199], v[176:177], v[16:17]
	v_fma_f64 v[174:175], v[174:175], v[16:17], -v[18:19]
	scratch_load_b128 v[16:19], off, off offset:768
	s_wait_loadcnt_dscnt 0xc01
	v_mul_f64_e32 v[206:207], v[4:5], v[24:25]
	v_mul_f64_e32 v[24:25], v[6:7], v[24:25]
	v_add_f64_e32 v[30:31], v[30:31], v[204:205]
	v_add_f64_e32 v[176:177], v[200:201], v[202:203]
	s_wait_loadcnt_dscnt 0xb00
	v_mul_f64_e32 v[200:201], v[12:13], v[28:29]
	v_mul_f64_e32 v[202:203], v[14:15], v[28:29]
	v_fmac_f64_e32 v[206:207], v[6:7], v[22:23]
	v_fma_f64 v[204:205], v[4:5], v[22:23], -v[24:25]
	ds_load_b128 v[4:7], v2 offset:1632
	ds_load_b128 v[22:25], v2 offset:1648
	v_add_f64_e32 v[174:175], v[30:31], v[174:175]
	v_add_f64_e32 v[176:177], v[176:177], v[198:199]
	scratch_load_b128 v[28:31], off, off offset:784
	s_wait_loadcnt_dscnt 0xb01
	v_mul_f64_e32 v[198:199], v[4:5], v[160:161]
	v_mul_f64_e32 v[160:161], v[6:7], v[160:161]
	v_fmac_f64_e32 v[200:201], v[14:15], v[26:27]
	v_fma_f64 v[26:27], v[12:13], v[26:27], -v[202:203]
	scratch_load_b128 v[12:15], off, off offset:800
	s_wait_loadcnt_dscnt 0xb00
	v_mul_f64_e32 v[202:203], v[22:23], v[164:165]
	v_mul_f64_e32 v[164:165], v[24:25], v[164:165]
	v_add_f64_e32 v[174:175], v[174:175], v[204:205]
	v_add_f64_e32 v[176:177], v[176:177], v[206:207]
	v_fmac_f64_e32 v[198:199], v[6:7], v[158:159]
	v_fma_f64 v[204:205], v[4:5], v[158:159], -v[160:161]
	ds_load_b128 v[4:7], v2 offset:1664
	ds_load_b128 v[158:161], v2 offset:1680
	v_fmac_f64_e32 v[202:203], v[24:25], v[162:163]
	v_fma_f64 v[162:163], v[22:23], v[162:163], -v[164:165]
	scratch_load_b128 v[22:25], off, off offset:832
	s_wait_loadcnt_dscnt 0xb01
	v_mul_f64_e32 v[206:207], v[4:5], v[168:169]
	v_mul_f64_e32 v[168:169], v[6:7], v[168:169]
	v_add_f64_e32 v[26:27], v[174:175], v[26:27]
	v_add_f64_e32 v[200:201], v[176:177], v[200:201]
	scratch_load_b128 v[174:177], off, off offset:816
	v_fmac_f64_e32 v[206:207], v[6:7], v[166:167]
	v_add_f64_e32 v[26:27], v[26:27], v[204:205]
	v_add_f64_e32 v[164:165], v[200:201], v[198:199]
	s_wait_loadcnt_dscnt 0xb00
	v_mul_f64_e32 v[198:199], v[158:159], v[172:173]
	v_mul_f64_e32 v[172:173], v[160:161], v[172:173]
	v_fma_f64 v[200:201], v[4:5], v[166:167], -v[168:169]
	v_add_f64_e32 v[26:27], v[26:27], v[162:163]
	v_add_f64_e32 v[202:203], v[164:165], v[202:203]
	ds_load_b128 v[4:7], v2 offset:1696
	ds_load_b128 v[162:165], v2 offset:1712
	scratch_load_b128 v[166:169], off, off offset:848
	v_fmac_f64_e32 v[198:199], v[160:161], v[170:171]
	v_fma_f64 v[170:171], v[158:159], v[170:171], -v[172:173]
	scratch_load_b128 v[158:161], off, off offset:864
	s_wait_loadcnt_dscnt 0xc01
	v_mul_f64_e32 v[204:205], v[4:5], v[180:181]
	v_mul_f64_e32 v[180:181], v[6:7], v[180:181]
	v_add_f64_e32 v[26:27], v[26:27], v[200:201]
	v_add_f64_e32 v[172:173], v[202:203], v[206:207]
	s_wait_loadcnt_dscnt 0xa00
	v_mul_f64_e32 v[200:201], v[162:163], v[192:193]
	v_mul_f64_e32 v[192:193], v[164:165], v[192:193]
	v_fmac_f64_e32 v[204:205], v[6:7], v[178:179]
	v_fma_f64 v[202:203], v[4:5], v[178:179], -v[180:181]
	v_add_f64_e32 v[26:27], v[26:27], v[170:171]
	v_add_f64_e32 v[198:199], v[172:173], v[198:199]
	ds_load_b128 v[4:7], v2 offset:1728
	ds_load_b128 v[170:173], v2 offset:1744
	scratch_load_b128 v[178:181], off, off offset:880
	v_fmac_f64_e32 v[200:201], v[164:165], v[190:191]
	v_fma_f64 v[190:191], v[162:163], v[190:191], -v[192:193]
	scratch_load_b128 v[162:165], off, off offset:896
	s_wait_loadcnt_dscnt 0xb01
	v_mul_f64_e32 v[206:207], v[4:5], v[196:197]
	v_mul_f64_e32 v[196:197], v[6:7], v[196:197]
	v_add_f64_e32 v[26:27], v[26:27], v[202:203]
	v_add_f64_e32 v[192:193], v[198:199], v[204:205]
	s_wait_loadcnt_dscnt 0xa00
	v_mul_f64_e32 v[198:199], v[170:171], v[10:11]
	v_mul_f64_e32 v[10:11], v[172:173], v[10:11]
	v_fmac_f64_e32 v[206:207], v[6:7], v[194:195]
	;; [unrolled: 18-line block ×4, first 2 shown]
	v_fma_f64 v[30:31], v[4:5], v[28:29], -v[30:31]
	v_add_f64_e32 v[202:203], v[26:27], v[190:191]
	v_add_f64_e32 v[200:201], v[192:193], v[200:201]
	ds_load_b128 v[4:7], v2 offset:1824
	ds_load_b128 v[26:29], v2 offset:1840
	scratch_load_b128 v[190:193], off, off offset:976
	v_fmac_f64_e32 v[198:199], v[172:173], v[12:13]
	v_fma_f64 v[170:171], v[170:171], v[12:13], -v[14:15]
	scratch_load_b128 v[12:15], off, off offset:992
	s_wait_loadcnt_dscnt 0xa01
	v_mul_f64_e32 v[204:205], v[4:5], v[176:177]
	v_mul_f64_e32 v[176:177], v[6:7], v[176:177]
	v_add_f64_e32 v[30:31], v[202:203], v[30:31]
	v_add_f64_e32 v[172:173], v[200:201], v[206:207]
	s_wait_dscnt 0x0
	v_mul_f64_e32 v[200:201], v[26:27], v[24:25]
	v_mul_f64_e32 v[24:25], v[28:29], v[24:25]
	v_fmac_f64_e32 v[204:205], v[6:7], v[174:175]
	v_fma_f64 v[174:175], v[4:5], v[174:175], -v[176:177]
	v_add_f64_e32 v[30:31], v[30:31], v[170:171]
	v_add_f64_e32 v[176:177], v[172:173], v[198:199]
	ds_load_b128 v[4:7], v2 offset:1856
	ds_load_b128 v[170:173], v2 offset:1872
	v_fmac_f64_e32 v[200:201], v[28:29], v[22:23]
	v_fma_f64 v[22:23], v[26:27], v[22:23], -v[24:25]
	s_wait_loadcnt_dscnt 0x901
	v_mul_f64_e32 v[198:199], v[4:5], v[168:169]
	v_mul_f64_e32 v[168:169], v[6:7], v[168:169]
	s_wait_loadcnt_dscnt 0x800
	v_mul_f64_e32 v[28:29], v[170:171], v[160:161]
	v_add_f64_e32 v[24:25], v[30:31], v[174:175]
	v_add_f64_e32 v[26:27], v[176:177], v[204:205]
	v_mul_f64_e32 v[30:31], v[172:173], v[160:161]
	v_fmac_f64_e32 v[198:199], v[6:7], v[166:167]
	v_fma_f64 v[160:161], v[4:5], v[166:167], -v[168:169]
	v_fmac_f64_e32 v[28:29], v[172:173], v[158:159]
	v_add_f64_e32 v[166:167], v[24:25], v[22:23]
	v_add_f64_e32 v[26:27], v[26:27], v[200:201]
	ds_load_b128 v[4:7], v2 offset:1888
	ds_load_b128 v[22:25], v2 offset:1904
	v_fma_f64 v[30:31], v[170:171], v[158:159], -v[30:31]
	s_wait_loadcnt_dscnt 0x701
	v_mul_f64_e32 v[168:169], v[4:5], v[180:181]
	v_mul_f64_e32 v[174:175], v[6:7], v[180:181]
	v_add_f64_e32 v[158:159], v[166:167], v[160:161]
	v_add_f64_e32 v[26:27], v[26:27], v[198:199]
	s_wait_loadcnt_dscnt 0x600
	v_mul_f64_e32 v[160:161], v[22:23], v[164:165]
	v_mul_f64_e32 v[164:165], v[24:25], v[164:165]
	v_fmac_f64_e32 v[168:169], v[6:7], v[178:179]
	v_fma_f64 v[166:167], v[4:5], v[178:179], -v[174:175]
	v_add_f64_e32 v[30:31], v[158:159], v[30:31]
	v_add_f64_e32 v[158:159], v[26:27], v[28:29]
	ds_load_b128 v[4:7], v2 offset:1920
	ds_load_b128 v[26:29], v2 offset:1936
	v_fmac_f64_e32 v[160:161], v[24:25], v[162:163]
	v_fma_f64 v[22:23], v[22:23], v[162:163], -v[164:165]
	s_wait_loadcnt_dscnt 0x501
	v_mul_f64_e32 v[170:171], v[4:5], v[196:197]
	v_mul_f64_e32 v[172:173], v[6:7], v[196:197]
	v_add_f64_e32 v[24:25], v[30:31], v[166:167]
	v_add_f64_e32 v[30:31], v[158:159], v[168:169]
	s_wait_loadcnt_dscnt 0x400
	v_mul_f64_e32 v[158:159], v[26:27], v[10:11]
	v_mul_f64_e32 v[10:11], v[28:29], v[10:11]
	v_fmac_f64_e32 v[170:171], v[6:7], v[194:195]
	v_fma_f64 v[162:163], v[4:5], v[194:195], -v[172:173]
	v_add_f64_e32 v[164:165], v[24:25], v[22:23]
	v_add_f64_e32 v[30:31], v[30:31], v[160:161]
	ds_load_b128 v[4:7], v2 offset:1952
	ds_load_b128 v[22:25], v2 offset:1968
	v_fmac_f64_e32 v[158:159], v[28:29], v[8:9]
	v_fma_f64 v[8:9], v[26:27], v[8:9], -v[10:11]
	s_wait_loadcnt_dscnt 0x301
	v_mul_f64_e32 v[160:161], v[4:5], v[184:185]
	v_mul_f64_e32 v[166:167], v[6:7], v[184:185]
	s_wait_loadcnt_dscnt 0x200
	v_mul_f64_e32 v[28:29], v[22:23], v[18:19]
	v_mul_f64_e32 v[18:19], v[24:25], v[18:19]
	v_add_f64_e32 v[10:11], v[164:165], v[162:163]
	v_add_f64_e32 v[26:27], v[30:31], v[170:171]
	v_fmac_f64_e32 v[160:161], v[6:7], v[182:183]
	v_fma_f64 v[30:31], v[4:5], v[182:183], -v[166:167]
	v_fmac_f64_e32 v[28:29], v[24:25], v[16:17]
	v_fma_f64 v[16:17], v[22:23], v[16:17], -v[18:19]
	v_add_f64_e32 v[162:163], v[10:11], v[8:9]
	v_add_f64_e32 v[26:27], v[26:27], v[158:159]
	ds_load_b128 v[4:7], v2 offset:1984
	ds_load_b128 v[8:11], v2 offset:2000
	s_wait_loadcnt_dscnt 0x101
	v_mul_f64_e32 v[2:3], v[4:5], v[192:193]
	v_mul_f64_e32 v[158:159], v[6:7], v[192:193]
	s_wait_loadcnt_dscnt 0x0
	v_mul_f64_e32 v[24:25], v[8:9], v[14:15]
	v_mul_f64_e32 v[14:15], v[10:11], v[14:15]
	v_add_f64_e32 v[18:19], v[162:163], v[30:31]
	v_add_f64_e32 v[22:23], v[26:27], v[160:161]
	v_fmac_f64_e32 v[2:3], v[6:7], v[190:191]
	v_fma_f64 v[4:5], v[4:5], v[190:191], -v[158:159]
	v_fmac_f64_e32 v[24:25], v[10:11], v[12:13]
	v_fma_f64 v[8:9], v[8:9], v[12:13], -v[14:15]
	v_add_f64_e32 v[6:7], v[18:19], v[16:17]
	v_add_f64_e32 v[16:17], v[22:23], v[28:29]
	s_delay_alu instid0(VALU_DEP_2) | instskip(NEXT) | instid1(VALU_DEP_2)
	v_add_f64_e32 v[4:5], v[6:7], v[4:5]
	v_add_f64_e32 v[2:3], v[16:17], v[2:3]
	s_delay_alu instid0(VALU_DEP_2) | instskip(NEXT) | instid1(VALU_DEP_2)
	;; [unrolled: 3-line block ×3, first 2 shown]
	v_add_f64_e64 v[2:3], v[186:187], -v[4:5]
	v_add_f64_e64 v[4:5], v[188:189], -v[6:7]
	scratch_store_b128 off, v[2:5], off offset:512
	s_wait_xcnt 0x0
	v_cmpx_lt_u32_e32 31, v1
	s_cbranch_execz .LBB126_341
; %bb.340:
	scratch_load_b128 v[2:5], off, s50
	v_mov_b32_e32 v6, 0
	s_delay_alu instid0(VALU_DEP_1)
	v_dual_mov_b32 v7, v6 :: v_dual_mov_b32 v8, v6
	v_mov_b32_e32 v9, v6
	scratch_store_b128 off, v[6:9], off offset:496
	s_wait_loadcnt 0x0
	ds_store_b128 v20, v[2:5]
.LBB126_341:
	s_wait_xcnt 0x0
	s_or_b32 exec_lo, exec_lo, s2
	s_wait_storecnt_dscnt 0x0
	s_barrier_signal -1
	s_barrier_wait -1
	s_clause 0x9
	scratch_load_b128 v[4:7], off, off offset:512
	scratch_load_b128 v[8:11], off, off offset:528
	;; [unrolled: 1-line block ×10, first 2 shown]
	v_mov_b32_e32 v2, 0
	s_mov_b32 s2, exec_lo
	ds_load_b128 v[174:177], v2 offset:1520
	s_clause 0x2
	scratch_load_b128 v[178:181], off, off offset:672
	scratch_load_b128 v[182:185], off, off offset:496
	;; [unrolled: 1-line block ×3, first 2 shown]
	s_wait_loadcnt_dscnt 0xc00
	v_mul_f64_e32 v[30:31], v[176:177], v[6:7]
	v_mul_f64_e32 v[198:199], v[174:175], v[6:7]
	ds_load_b128 v[186:189], v2 offset:1536
	ds_load_b128 v[194:197], v2 offset:1568
	v_fma_f64 v[30:31], v[174:175], v[4:5], -v[30:31]
	v_fmac_f64_e32 v[198:199], v[176:177], v[4:5]
	ds_load_b128 v[4:7], v2 offset:1552
	s_wait_loadcnt_dscnt 0xb02
	v_mul_f64_e32 v[200:201], v[186:187], v[10:11]
	v_mul_f64_e32 v[10:11], v[188:189], v[10:11]
	scratch_load_b128 v[174:177], off, off offset:704
	s_wait_loadcnt_dscnt 0xb00
	v_mul_f64_e32 v[202:203], v[4:5], v[14:15]
	v_mul_f64_e32 v[14:15], v[6:7], v[14:15]
	v_add_f64_e32 v[30:31], 0, v[30:31]
	v_fmac_f64_e32 v[200:201], v[188:189], v[8:9]
	v_fma_f64 v[186:187], v[186:187], v[8:9], -v[10:11]
	v_add_f64_e32 v[188:189], 0, v[198:199]
	scratch_load_b128 v[8:11], off, off offset:720
	v_fmac_f64_e32 v[202:203], v[6:7], v[12:13]
	v_fma_f64 v[204:205], v[4:5], v[12:13], -v[14:15]
	ds_load_b128 v[4:7], v2 offset:1584
	s_wait_loadcnt 0xb
	v_mul_f64_e32 v[198:199], v[194:195], v[18:19]
	v_mul_f64_e32 v[18:19], v[196:197], v[18:19]
	scratch_load_b128 v[12:15], off, off offset:736
	v_add_f64_e32 v[30:31], v[30:31], v[186:187]
	v_add_f64_e32 v[200:201], v[188:189], v[200:201]
	ds_load_b128 v[186:189], v2 offset:1600
	s_wait_loadcnt_dscnt 0xb01
	v_mul_f64_e32 v[206:207], v[4:5], v[24:25]
	v_mul_f64_e32 v[24:25], v[6:7], v[24:25]
	v_fmac_f64_e32 v[198:199], v[196:197], v[16:17]
	v_fma_f64 v[194:195], v[194:195], v[16:17], -v[18:19]
	scratch_load_b128 v[16:19], off, off offset:752
	v_add_f64_e32 v[30:31], v[30:31], v[204:205]
	v_add_f64_e32 v[196:197], v[200:201], v[202:203]
	v_fmac_f64_e32 v[206:207], v[6:7], v[22:23]
	v_fma_f64 v[204:205], v[4:5], v[22:23], -v[24:25]
	ds_load_b128 v[4:7], v2 offset:1616
	s_wait_loadcnt_dscnt 0xb01
	v_mul_f64_e32 v[200:201], v[186:187], v[28:29]
	v_mul_f64_e32 v[202:203], v[188:189], v[28:29]
	scratch_load_b128 v[22:25], off, off offset:768
	v_add_f64_e32 v[194:195], v[30:31], v[194:195]
	v_add_f64_e32 v[196:197], v[196:197], v[198:199]
	s_wait_loadcnt_dscnt 0xb00
	v_mul_f64_e32 v[198:199], v[4:5], v[160:161]
	v_mul_f64_e32 v[160:161], v[6:7], v[160:161]
	ds_load_b128 v[28:31], v2 offset:1632
	v_fmac_f64_e32 v[200:201], v[188:189], v[26:27]
	v_fma_f64 v[26:27], v[186:187], v[26:27], -v[202:203]
	scratch_load_b128 v[186:189], off, off offset:784
	v_add_f64_e32 v[194:195], v[194:195], v[204:205]
	v_add_f64_e32 v[196:197], v[196:197], v[206:207]
	v_fmac_f64_e32 v[198:199], v[6:7], v[158:159]
	v_fma_f64 v[204:205], v[4:5], v[158:159], -v[160:161]
	ds_load_b128 v[4:7], v2 offset:1648
	s_wait_loadcnt_dscnt 0xb01
	v_mul_f64_e32 v[202:203], v[28:29], v[164:165]
	v_mul_f64_e32 v[164:165], v[30:31], v[164:165]
	scratch_load_b128 v[158:161], off, off offset:800
	s_wait_loadcnt_dscnt 0xb00
	v_mul_f64_e32 v[206:207], v[4:5], v[168:169]
	v_mul_f64_e32 v[168:169], v[6:7], v[168:169]
	v_add_f64_e32 v[26:27], v[194:195], v[26:27]
	v_add_f64_e32 v[200:201], v[196:197], v[200:201]
	ds_load_b128 v[194:197], v2 offset:1664
	v_fmac_f64_e32 v[202:203], v[30:31], v[162:163]
	v_fma_f64 v[30:31], v[28:29], v[162:163], -v[164:165]
	v_fmac_f64_e32 v[206:207], v[6:7], v[166:167]
	v_add_f64_e32 v[162:163], v[26:27], v[204:205]
	v_add_f64_e32 v[164:165], v[200:201], v[198:199]
	scratch_load_b128 v[26:29], off, off offset:816
	v_fma_f64 v[200:201], v[4:5], v[166:167], -v[168:169]
	ds_load_b128 v[4:7], v2 offset:1680
	s_wait_loadcnt_dscnt 0xb01
	v_mul_f64_e32 v[198:199], v[194:195], v[172:173]
	v_mul_f64_e32 v[172:173], v[196:197], v[172:173]
	ds_load_b128 v[166:169], v2 offset:1696
	s_wait_loadcnt_dscnt 0xa01
	v_mul_f64_e32 v[204:205], v[4:5], v[180:181]
	v_mul_f64_e32 v[180:181], v[6:7], v[180:181]
	v_add_f64_e32 v[30:31], v[162:163], v[30:31]
	v_add_f64_e32 v[202:203], v[164:165], v[202:203]
	scratch_load_b128 v[162:165], off, off offset:832
	v_fmac_f64_e32 v[198:199], v[196:197], v[170:171]
	v_fma_f64 v[194:195], v[194:195], v[170:171], -v[172:173]
	scratch_load_b128 v[170:173], off, off offset:848
	v_fmac_f64_e32 v[204:205], v[6:7], v[178:179]
	v_add_f64_e32 v[30:31], v[30:31], v[200:201]
	v_add_f64_e32 v[196:197], v[202:203], v[206:207]
	v_fma_f64 v[206:207], v[4:5], v[178:179], -v[180:181]
	ds_load_b128 v[4:7], v2 offset:1712
	s_wait_loadcnt_dscnt 0xa01
	v_mul_f64_e32 v[200:201], v[166:167], v[192:193]
	v_mul_f64_e32 v[202:203], v[168:169], v[192:193]
	scratch_load_b128 v[178:181], off, off offset:864
	v_add_f64_e32 v[30:31], v[30:31], v[194:195]
	v_add_f64_e32 v[196:197], v[196:197], v[198:199]
	s_wait_loadcnt_dscnt 0xa00
	v_mul_f64_e32 v[208:209], v[4:5], v[176:177]
	v_mul_f64_e32 v[176:177], v[6:7], v[176:177]
	v_fmac_f64_e32 v[200:201], v[168:169], v[190:191]
	v_fma_f64 v[190:191], v[166:167], v[190:191], -v[202:203]
	ds_load_b128 v[192:195], v2 offset:1728
	scratch_load_b128 v[166:169], off, off offset:880
	v_add_f64_e32 v[30:31], v[30:31], v[206:207]
	v_add_f64_e32 v[196:197], v[196:197], v[204:205]
	v_fmac_f64_e32 v[208:209], v[6:7], v[174:175]
	v_fma_f64 v[204:205], v[4:5], v[174:175], -v[176:177]
	ds_load_b128 v[4:7], v2 offset:1744
	s_wait_loadcnt_dscnt 0xa01
	v_mul_f64_e32 v[202:203], v[192:193], v[10:11]
	v_mul_f64_e32 v[10:11], v[194:195], v[10:11]
	scratch_load_b128 v[174:177], off, off offset:896
	v_add_f64_e32 v[30:31], v[30:31], v[190:191]
	v_add_f64_e32 v[190:191], v[196:197], v[200:201]
	s_wait_loadcnt_dscnt 0xa00
	v_mul_f64_e32 v[200:201], v[4:5], v[14:15]
	v_mul_f64_e32 v[14:15], v[6:7], v[14:15]
	ds_load_b128 v[196:199], v2 offset:1760
	v_fmac_f64_e32 v[202:203], v[194:195], v[8:9]
	v_fma_f64 v[192:193], v[192:193], v[8:9], -v[10:11]
	scratch_load_b128 v[8:11], off, off offset:912
	v_add_f64_e32 v[30:31], v[30:31], v[204:205]
	v_add_f64_e32 v[190:191], v[190:191], v[208:209]
	v_fmac_f64_e32 v[200:201], v[6:7], v[12:13]
	v_fma_f64 v[204:205], v[4:5], v[12:13], -v[14:15]
	ds_load_b128 v[4:7], v2 offset:1776
	s_wait_loadcnt_dscnt 0xa01
	v_mul_f64_e32 v[194:195], v[196:197], v[18:19]
	v_mul_f64_e32 v[18:19], v[198:199], v[18:19]
	scratch_load_b128 v[12:15], off, off offset:928
	s_wait_loadcnt_dscnt 0xa00
	v_mul_f64_e32 v[206:207], v[4:5], v[24:25]
	v_mul_f64_e32 v[24:25], v[6:7], v[24:25]
	v_add_f64_e32 v[30:31], v[30:31], v[192:193]
	v_add_f64_e32 v[202:203], v[190:191], v[202:203]
	ds_load_b128 v[190:193], v2 offset:1792
	v_fmac_f64_e32 v[194:195], v[198:199], v[16:17]
	v_fma_f64 v[196:197], v[196:197], v[16:17], -v[18:19]
	scratch_load_b128 v[16:19], off, off offset:944
	v_fmac_f64_e32 v[206:207], v[6:7], v[22:23]
	v_add_f64_e32 v[30:31], v[30:31], v[204:205]
	v_add_f64_e32 v[198:199], v[202:203], v[200:201]
	v_fma_f64 v[202:203], v[4:5], v[22:23], -v[24:25]
	ds_load_b128 v[4:7], v2 offset:1808
	s_wait_loadcnt_dscnt 0xa01
	v_mul_f64_e32 v[200:201], v[190:191], v[188:189]
	v_mul_f64_e32 v[188:189], v[192:193], v[188:189]
	scratch_load_b128 v[22:25], off, off offset:960
	s_wait_loadcnt_dscnt 0xa00
	v_mul_f64_e32 v[204:205], v[4:5], v[160:161]
	v_mul_f64_e32 v[160:161], v[6:7], v[160:161]
	v_add_f64_e32 v[30:31], v[30:31], v[196:197]
	v_add_f64_e32 v[198:199], v[198:199], v[194:195]
	ds_load_b128 v[194:197], v2 offset:1824
	v_fmac_f64_e32 v[200:201], v[192:193], v[186:187]
	v_fma_f64 v[190:191], v[190:191], v[186:187], -v[188:189]
	scratch_load_b128 v[186:189], off, off offset:976
	v_fmac_f64_e32 v[204:205], v[6:7], v[158:159]
	v_add_f64_e32 v[30:31], v[30:31], v[202:203]
	v_add_f64_e32 v[192:193], v[198:199], v[206:207]
	v_fma_f64 v[206:207], v[4:5], v[158:159], -v[160:161]
	ds_load_b128 v[4:7], v2 offset:1840
	s_wait_loadcnt_dscnt 0xa01
	v_mul_f64_e32 v[198:199], v[194:195], v[28:29]
	v_mul_f64_e32 v[202:203], v[196:197], v[28:29]
	ds_load_b128 v[158:161], v2 offset:1856
	v_add_f64_e32 v[190:191], v[30:31], v[190:191]
	v_add_f64_e32 v[192:193], v[192:193], v[200:201]
	scratch_load_b128 v[28:31], off, off offset:992
	s_wait_loadcnt_dscnt 0xa01
	v_mul_f64_e32 v[200:201], v[4:5], v[164:165]
	v_mul_f64_e32 v[164:165], v[6:7], v[164:165]
	v_fmac_f64_e32 v[198:199], v[196:197], v[26:27]
	v_fma_f64 v[26:27], v[194:195], v[26:27], -v[202:203]
	s_wait_loadcnt_dscnt 0x900
	v_mul_f64_e32 v[194:195], v[158:159], v[172:173]
	v_mul_f64_e32 v[172:173], v[160:161], v[172:173]
	v_add_f64_e32 v[190:191], v[190:191], v[206:207]
	v_add_f64_e32 v[192:193], v[192:193], v[204:205]
	v_fmac_f64_e32 v[200:201], v[6:7], v[162:163]
	v_fma_f64 v[196:197], v[4:5], v[162:163], -v[164:165]
	ds_load_b128 v[4:7], v2 offset:1872
	ds_load_b128 v[162:165], v2 offset:1888
	v_fmac_f64_e32 v[194:195], v[160:161], v[170:171]
	v_fma_f64 v[158:159], v[158:159], v[170:171], -v[172:173]
	v_add_f64_e32 v[26:27], v[190:191], v[26:27]
	v_add_f64_e32 v[190:191], v[192:193], v[198:199]
	s_wait_loadcnt_dscnt 0x801
	v_mul_f64_e32 v[192:193], v[4:5], v[180:181]
	v_mul_f64_e32 v[180:181], v[6:7], v[180:181]
	s_wait_loadcnt_dscnt 0x700
	v_mul_f64_e32 v[170:171], v[162:163], v[168:169]
	v_mul_f64_e32 v[168:169], v[164:165], v[168:169]
	v_add_f64_e32 v[26:27], v[26:27], v[196:197]
	v_add_f64_e32 v[160:161], v[190:191], v[200:201]
	v_fmac_f64_e32 v[192:193], v[6:7], v[178:179]
	v_fma_f64 v[172:173], v[4:5], v[178:179], -v[180:181]
	v_fmac_f64_e32 v[170:171], v[164:165], v[166:167]
	v_fma_f64 v[162:163], v[162:163], v[166:167], -v[168:169]
	v_add_f64_e32 v[26:27], v[26:27], v[158:159]
	v_add_f64_e32 v[178:179], v[160:161], v[194:195]
	ds_load_b128 v[4:7], v2 offset:1904
	ds_load_b128 v[158:161], v2 offset:1920
	s_wait_loadcnt_dscnt 0x601
	v_mul_f64_e32 v[180:181], v[4:5], v[176:177]
	v_mul_f64_e32 v[176:177], v[6:7], v[176:177]
	s_wait_loadcnt_dscnt 0x500
	v_mul_f64_e32 v[166:167], v[158:159], v[10:11]
	v_mul_f64_e32 v[10:11], v[160:161], v[10:11]
	v_add_f64_e32 v[26:27], v[26:27], v[172:173]
	v_add_f64_e32 v[164:165], v[178:179], v[192:193]
	v_fmac_f64_e32 v[180:181], v[6:7], v[174:175]
	v_fma_f64 v[168:169], v[4:5], v[174:175], -v[176:177]
	v_fmac_f64_e32 v[166:167], v[160:161], v[8:9]
	v_fma_f64 v[8:9], v[158:159], v[8:9], -v[10:11]
	v_add_f64_e32 v[26:27], v[26:27], v[162:163]
	v_add_f64_e32 v[170:171], v[164:165], v[170:171]
	ds_load_b128 v[4:7], v2 offset:1936
	ds_load_b128 v[162:165], v2 offset:1952
	;; [unrolled: 16-line block ×3, first 2 shown]
	s_wait_loadcnt_dscnt 0x201
	v_mul_f64_e32 v[160:161], v[4:5], v[24:25]
	v_mul_f64_e32 v[24:25], v[6:7], v[24:25]
	s_wait_loadcnt_dscnt 0x100
	v_mul_f64_e32 v[18:19], v[8:9], v[188:189]
	v_add_f64_e32 v[12:13], v[14:15], v[12:13]
	v_add_f64_e32 v[14:15], v[26:27], v[172:173]
	v_mul_f64_e32 v[26:27], v[10:11], v[188:189]
	v_fmac_f64_e32 v[160:161], v[6:7], v[22:23]
	v_fma_f64 v[22:23], v[4:5], v[22:23], -v[24:25]
	ds_load_b128 v[4:7], v2 offset:2000
	v_fmac_f64_e32 v[18:19], v[10:11], v[186:187]
	v_add_f64_e32 v[12:13], v[12:13], v[16:17]
	v_add_f64_e32 v[14:15], v[14:15], v[158:159]
	v_fma_f64 v[8:9], v[8:9], v[186:187], -v[26:27]
	s_wait_loadcnt_dscnt 0x0
	v_mul_f64_e32 v[16:17], v[4:5], v[30:31]
	v_mul_f64_e32 v[24:25], v[6:7], v[30:31]
	v_add_f64_e32 v[10:11], v[12:13], v[22:23]
	v_add_f64_e32 v[12:13], v[14:15], v[160:161]
	s_delay_alu instid0(VALU_DEP_4) | instskip(NEXT) | instid1(VALU_DEP_4)
	v_fmac_f64_e32 v[16:17], v[6:7], v[28:29]
	v_fma_f64 v[4:5], v[4:5], v[28:29], -v[24:25]
	s_delay_alu instid0(VALU_DEP_4) | instskip(NEXT) | instid1(VALU_DEP_4)
	v_add_f64_e32 v[6:7], v[10:11], v[8:9]
	v_add_f64_e32 v[8:9], v[12:13], v[18:19]
	s_delay_alu instid0(VALU_DEP_2) | instskip(NEXT) | instid1(VALU_DEP_2)
	v_add_f64_e32 v[4:5], v[6:7], v[4:5]
	v_add_f64_e32 v[6:7], v[8:9], v[16:17]
	s_delay_alu instid0(VALU_DEP_2) | instskip(NEXT) | instid1(VALU_DEP_2)
	v_add_f64_e64 v[4:5], v[182:183], -v[4:5]
	v_add_f64_e64 v[6:7], v[184:185], -v[6:7]
	scratch_store_b128 off, v[4:7], off offset:496
	s_wait_xcnt 0x0
	v_cmpx_lt_u32_e32 30, v1
	s_cbranch_execz .LBB126_343
; %bb.342:
	scratch_load_b128 v[6:9], off, s51
	v_dual_mov_b32 v3, v2 :: v_dual_mov_b32 v4, v2
	v_mov_b32_e32 v5, v2
	scratch_store_b128 off, v[2:5], off offset:480
	s_wait_loadcnt 0x0
	ds_store_b128 v20, v[6:9]
.LBB126_343:
	s_wait_xcnt 0x0
	s_or_b32 exec_lo, exec_lo, s2
	s_wait_storecnt_dscnt 0x0
	s_barrier_signal -1
	s_barrier_wait -1
	s_clause 0x9
	scratch_load_b128 v[4:7], off, off offset:496
	scratch_load_b128 v[8:11], off, off offset:512
	;; [unrolled: 1-line block ×10, first 2 shown]
	ds_load_b128 v[174:177], v2 offset:1504
	ds_load_b128 v[182:185], v2 offset:1520
	s_clause 0x2
	scratch_load_b128 v[178:181], off, off offset:656
	scratch_load_b128 v[186:189], off, off offset:480
	;; [unrolled: 1-line block ×3, first 2 shown]
	s_mov_b32 s2, exec_lo
	s_wait_loadcnt_dscnt 0xc01
	v_mul_f64_e32 v[30:31], v[176:177], v[6:7]
	v_mul_f64_e32 v[198:199], v[174:175], v[6:7]
	s_wait_loadcnt_dscnt 0xb00
	v_mul_f64_e32 v[200:201], v[182:183], v[10:11]
	v_mul_f64_e32 v[10:11], v[184:185], v[10:11]
	s_delay_alu instid0(VALU_DEP_4) | instskip(NEXT) | instid1(VALU_DEP_4)
	v_fma_f64 v[30:31], v[174:175], v[4:5], -v[30:31]
	v_fmac_f64_e32 v[198:199], v[176:177], v[4:5]
	ds_load_b128 v[4:7], v2 offset:1536
	ds_load_b128 v[174:177], v2 offset:1552
	scratch_load_b128 v[194:197], off, off offset:688
	v_fmac_f64_e32 v[200:201], v[184:185], v[8:9]
	v_fma_f64 v[182:183], v[182:183], v[8:9], -v[10:11]
	scratch_load_b128 v[8:11], off, off offset:704
	s_wait_loadcnt_dscnt 0xc01
	v_mul_f64_e32 v[202:203], v[4:5], v[14:15]
	v_mul_f64_e32 v[14:15], v[6:7], v[14:15]
	v_add_f64_e32 v[30:31], 0, v[30:31]
	v_add_f64_e32 v[184:185], 0, v[198:199]
	s_wait_loadcnt_dscnt 0xb00
	v_mul_f64_e32 v[198:199], v[174:175], v[18:19]
	v_mul_f64_e32 v[18:19], v[176:177], v[18:19]
	v_fmac_f64_e32 v[202:203], v[6:7], v[12:13]
	v_fma_f64 v[204:205], v[4:5], v[12:13], -v[14:15]
	ds_load_b128 v[4:7], v2 offset:1568
	ds_load_b128 v[12:15], v2 offset:1584
	v_add_f64_e32 v[30:31], v[30:31], v[182:183]
	v_add_f64_e32 v[200:201], v[184:185], v[200:201]
	scratch_load_b128 v[182:185], off, off offset:720
	v_fmac_f64_e32 v[198:199], v[176:177], v[16:17]
	v_fma_f64 v[174:175], v[174:175], v[16:17], -v[18:19]
	scratch_load_b128 v[16:19], off, off offset:736
	s_wait_loadcnt_dscnt 0xc01
	v_mul_f64_e32 v[206:207], v[4:5], v[24:25]
	v_mul_f64_e32 v[24:25], v[6:7], v[24:25]
	v_add_f64_e32 v[30:31], v[30:31], v[204:205]
	v_add_f64_e32 v[176:177], v[200:201], v[202:203]
	s_wait_loadcnt_dscnt 0xb00
	v_mul_f64_e32 v[200:201], v[12:13], v[28:29]
	v_mul_f64_e32 v[202:203], v[14:15], v[28:29]
	v_fmac_f64_e32 v[206:207], v[6:7], v[22:23]
	v_fma_f64 v[204:205], v[4:5], v[22:23], -v[24:25]
	ds_load_b128 v[4:7], v2 offset:1600
	ds_load_b128 v[22:25], v2 offset:1616
	v_add_f64_e32 v[174:175], v[30:31], v[174:175]
	v_add_f64_e32 v[176:177], v[176:177], v[198:199]
	scratch_load_b128 v[28:31], off, off offset:752
	s_wait_loadcnt_dscnt 0xb01
	v_mul_f64_e32 v[198:199], v[4:5], v[160:161]
	v_mul_f64_e32 v[160:161], v[6:7], v[160:161]
	v_fmac_f64_e32 v[200:201], v[14:15], v[26:27]
	v_fma_f64 v[26:27], v[12:13], v[26:27], -v[202:203]
	scratch_load_b128 v[12:15], off, off offset:768
	s_wait_loadcnt_dscnt 0xb00
	v_mul_f64_e32 v[202:203], v[22:23], v[164:165]
	v_mul_f64_e32 v[164:165], v[24:25], v[164:165]
	v_add_f64_e32 v[174:175], v[174:175], v[204:205]
	v_add_f64_e32 v[176:177], v[176:177], v[206:207]
	v_fmac_f64_e32 v[198:199], v[6:7], v[158:159]
	v_fma_f64 v[204:205], v[4:5], v[158:159], -v[160:161]
	ds_load_b128 v[4:7], v2 offset:1632
	ds_load_b128 v[158:161], v2 offset:1648
	v_fmac_f64_e32 v[202:203], v[24:25], v[162:163]
	v_fma_f64 v[162:163], v[22:23], v[162:163], -v[164:165]
	scratch_load_b128 v[22:25], off, off offset:800
	s_wait_loadcnt_dscnt 0xb01
	v_mul_f64_e32 v[206:207], v[4:5], v[168:169]
	v_mul_f64_e32 v[168:169], v[6:7], v[168:169]
	v_add_f64_e32 v[26:27], v[174:175], v[26:27]
	v_add_f64_e32 v[200:201], v[176:177], v[200:201]
	scratch_load_b128 v[174:177], off, off offset:784
	v_fmac_f64_e32 v[206:207], v[6:7], v[166:167]
	v_add_f64_e32 v[26:27], v[26:27], v[204:205]
	v_add_f64_e32 v[164:165], v[200:201], v[198:199]
	s_wait_loadcnt_dscnt 0xb00
	v_mul_f64_e32 v[198:199], v[158:159], v[172:173]
	v_mul_f64_e32 v[172:173], v[160:161], v[172:173]
	v_fma_f64 v[200:201], v[4:5], v[166:167], -v[168:169]
	v_add_f64_e32 v[26:27], v[26:27], v[162:163]
	v_add_f64_e32 v[202:203], v[164:165], v[202:203]
	ds_load_b128 v[4:7], v2 offset:1664
	ds_load_b128 v[162:165], v2 offset:1680
	scratch_load_b128 v[166:169], off, off offset:816
	v_fmac_f64_e32 v[198:199], v[160:161], v[170:171]
	v_fma_f64 v[170:171], v[158:159], v[170:171], -v[172:173]
	scratch_load_b128 v[158:161], off, off offset:832
	s_wait_loadcnt_dscnt 0xc01
	v_mul_f64_e32 v[204:205], v[4:5], v[180:181]
	v_mul_f64_e32 v[180:181], v[6:7], v[180:181]
	v_add_f64_e32 v[26:27], v[26:27], v[200:201]
	v_add_f64_e32 v[172:173], v[202:203], v[206:207]
	s_wait_loadcnt_dscnt 0xa00
	v_mul_f64_e32 v[200:201], v[162:163], v[192:193]
	v_mul_f64_e32 v[192:193], v[164:165], v[192:193]
	v_fmac_f64_e32 v[204:205], v[6:7], v[178:179]
	v_fma_f64 v[202:203], v[4:5], v[178:179], -v[180:181]
	v_add_f64_e32 v[26:27], v[26:27], v[170:171]
	v_add_f64_e32 v[198:199], v[172:173], v[198:199]
	ds_load_b128 v[4:7], v2 offset:1696
	ds_load_b128 v[170:173], v2 offset:1712
	scratch_load_b128 v[178:181], off, off offset:848
	v_fmac_f64_e32 v[200:201], v[164:165], v[190:191]
	v_fma_f64 v[190:191], v[162:163], v[190:191], -v[192:193]
	scratch_load_b128 v[162:165], off, off offset:864
	s_wait_loadcnt_dscnt 0xb01
	v_mul_f64_e32 v[206:207], v[4:5], v[196:197]
	v_mul_f64_e32 v[196:197], v[6:7], v[196:197]
	v_add_f64_e32 v[26:27], v[26:27], v[202:203]
	v_add_f64_e32 v[192:193], v[198:199], v[204:205]
	s_wait_loadcnt_dscnt 0xa00
	v_mul_f64_e32 v[198:199], v[170:171], v[10:11]
	v_mul_f64_e32 v[10:11], v[172:173], v[10:11]
	v_fmac_f64_e32 v[206:207], v[6:7], v[194:195]
	;; [unrolled: 18-line block ×4, first 2 shown]
	v_fma_f64 v[30:31], v[4:5], v[28:29], -v[30:31]
	v_add_f64_e32 v[202:203], v[26:27], v[190:191]
	v_add_f64_e32 v[200:201], v[192:193], v[200:201]
	ds_load_b128 v[4:7], v2 offset:1792
	ds_load_b128 v[26:29], v2 offset:1808
	scratch_load_b128 v[190:193], off, off offset:944
	v_fmac_f64_e32 v[198:199], v[172:173], v[12:13]
	v_fma_f64 v[170:171], v[170:171], v[12:13], -v[14:15]
	scratch_load_b128 v[12:15], off, off offset:960
	s_wait_loadcnt_dscnt 0xa01
	v_mul_f64_e32 v[204:205], v[4:5], v[176:177]
	v_mul_f64_e32 v[176:177], v[6:7], v[176:177]
	v_add_f64_e32 v[30:31], v[202:203], v[30:31]
	v_add_f64_e32 v[172:173], v[200:201], v[206:207]
	s_wait_dscnt 0x0
	v_mul_f64_e32 v[200:201], v[26:27], v[24:25]
	v_mul_f64_e32 v[24:25], v[28:29], v[24:25]
	v_fmac_f64_e32 v[204:205], v[6:7], v[174:175]
	v_fma_f64 v[202:203], v[4:5], v[174:175], -v[176:177]
	v_add_f64_e32 v[30:31], v[30:31], v[170:171]
	v_add_f64_e32 v[198:199], v[172:173], v[198:199]
	ds_load_b128 v[4:7], v2 offset:1824
	ds_load_b128 v[170:173], v2 offset:1840
	scratch_load_b128 v[174:177], off, off offset:976
	v_fmac_f64_e32 v[200:201], v[28:29], v[22:23]
	v_fma_f64 v[26:27], v[26:27], v[22:23], -v[24:25]
	scratch_load_b128 v[22:25], off, off offset:992
	s_wait_loadcnt_dscnt 0xb01
	v_mul_f64_e32 v[206:207], v[4:5], v[168:169]
	v_mul_f64_e32 v[168:169], v[6:7], v[168:169]
	v_add_f64_e32 v[28:29], v[30:31], v[202:203]
	v_add_f64_e32 v[30:31], v[198:199], v[204:205]
	s_wait_loadcnt_dscnt 0xa00
	v_mul_f64_e32 v[198:199], v[170:171], v[160:161]
	v_mul_f64_e32 v[160:161], v[172:173], v[160:161]
	v_fmac_f64_e32 v[206:207], v[6:7], v[166:167]
	v_fma_f64 v[166:167], v[4:5], v[166:167], -v[168:169]
	v_add_f64_e32 v[168:169], v[28:29], v[26:27]
	v_add_f64_e32 v[30:31], v[30:31], v[200:201]
	ds_load_b128 v[4:7], v2 offset:1856
	ds_load_b128 v[26:29], v2 offset:1872
	v_fmac_f64_e32 v[198:199], v[172:173], v[158:159]
	v_fma_f64 v[158:159], v[170:171], v[158:159], -v[160:161]
	s_wait_loadcnt_dscnt 0x901
	v_mul_f64_e32 v[200:201], v[4:5], v[180:181]
	v_mul_f64_e32 v[180:181], v[6:7], v[180:181]
	v_add_f64_e32 v[160:161], v[168:169], v[166:167]
	v_add_f64_e32 v[30:31], v[30:31], v[206:207]
	s_wait_loadcnt_dscnt 0x800
	v_mul_f64_e32 v[166:167], v[26:27], v[164:165]
	v_mul_f64_e32 v[164:165], v[28:29], v[164:165]
	v_fmac_f64_e32 v[200:201], v[6:7], v[178:179]
	v_fma_f64 v[168:169], v[4:5], v[178:179], -v[180:181]
	v_add_f64_e32 v[170:171], v[160:161], v[158:159]
	v_add_f64_e32 v[30:31], v[30:31], v[198:199]
	ds_load_b128 v[4:7], v2 offset:1888
	ds_load_b128 v[158:161], v2 offset:1904
	v_fmac_f64_e32 v[166:167], v[28:29], v[162:163]
	v_fma_f64 v[26:27], v[26:27], v[162:163], -v[164:165]
	s_wait_loadcnt_dscnt 0x701
	v_mul_f64_e32 v[172:173], v[4:5], v[196:197]
	v_mul_f64_e32 v[178:179], v[6:7], v[196:197]
	s_wait_loadcnt_dscnt 0x600
	v_mul_f64_e32 v[162:163], v[158:159], v[10:11]
	v_mul_f64_e32 v[10:11], v[160:161], v[10:11]
	v_add_f64_e32 v[28:29], v[170:171], v[168:169]
	v_add_f64_e32 v[30:31], v[30:31], v[200:201]
	v_fmac_f64_e32 v[172:173], v[6:7], v[194:195]
	v_fma_f64 v[164:165], v[4:5], v[194:195], -v[178:179]
	v_fmac_f64_e32 v[162:163], v[160:161], v[8:9]
	v_fma_f64 v[8:9], v[158:159], v[8:9], -v[10:11]
	v_add_f64_e32 v[168:169], v[28:29], v[26:27]
	v_add_f64_e32 v[30:31], v[30:31], v[166:167]
	ds_load_b128 v[4:7], v2 offset:1920
	ds_load_b128 v[26:29], v2 offset:1936
	s_wait_loadcnt_dscnt 0x501
	v_mul_f64_e32 v[166:167], v[4:5], v[184:185]
	v_mul_f64_e32 v[170:171], v[6:7], v[184:185]
	s_wait_loadcnt_dscnt 0x400
	v_mul_f64_e32 v[158:159], v[26:27], v[18:19]
	v_mul_f64_e32 v[18:19], v[28:29], v[18:19]
	v_add_f64_e32 v[10:11], v[168:169], v[164:165]
	v_add_f64_e32 v[30:31], v[30:31], v[172:173]
	v_fmac_f64_e32 v[166:167], v[6:7], v[182:183]
	v_fma_f64 v[160:161], v[4:5], v[182:183], -v[170:171]
	v_fmac_f64_e32 v[158:159], v[28:29], v[16:17]
	v_fma_f64 v[16:17], v[26:27], v[16:17], -v[18:19]
	v_add_f64_e32 v[164:165], v[10:11], v[8:9]
	v_add_f64_e32 v[30:31], v[30:31], v[162:163]
	ds_load_b128 v[4:7], v2 offset:1952
	ds_load_b128 v[8:11], v2 offset:1968
	s_wait_loadcnt_dscnt 0x301
	v_mul_f64_e32 v[162:163], v[4:5], v[192:193]
	v_mul_f64_e32 v[168:169], v[6:7], v[192:193]
	s_wait_loadcnt_dscnt 0x200
	v_mul_f64_e32 v[28:29], v[8:9], v[14:15]
	v_add_f64_e32 v[18:19], v[164:165], v[160:161]
	v_add_f64_e32 v[26:27], v[30:31], v[166:167]
	v_mul_f64_e32 v[30:31], v[10:11], v[14:15]
	v_fmac_f64_e32 v[162:163], v[6:7], v[190:191]
	v_fma_f64 v[160:161], v[4:5], v[190:191], -v[168:169]
	v_fmac_f64_e32 v[28:29], v[10:11], v[12:13]
	v_add_f64_e32 v[18:19], v[18:19], v[16:17]
	v_add_f64_e32 v[26:27], v[26:27], v[158:159]
	ds_load_b128 v[4:7], v2 offset:1984
	ds_load_b128 v[14:17], v2 offset:2000
	v_fma_f64 v[8:9], v[8:9], v[12:13], -v[30:31]
	s_wait_loadcnt_dscnt 0x101
	v_mul_f64_e32 v[2:3], v[4:5], v[176:177]
	v_mul_f64_e32 v[158:159], v[6:7], v[176:177]
	v_add_f64_e32 v[10:11], v[18:19], v[160:161]
	v_add_f64_e32 v[12:13], v[26:27], v[162:163]
	s_wait_loadcnt_dscnt 0x0
	v_mul_f64_e32 v[18:19], v[14:15], v[24:25]
	v_mul_f64_e32 v[24:25], v[16:17], v[24:25]
	v_fmac_f64_e32 v[2:3], v[6:7], v[174:175]
	v_fma_f64 v[4:5], v[4:5], v[174:175], -v[158:159]
	v_add_f64_e32 v[6:7], v[10:11], v[8:9]
	v_add_f64_e32 v[8:9], v[12:13], v[28:29]
	v_fmac_f64_e32 v[18:19], v[16:17], v[22:23]
	v_fma_f64 v[10:11], v[14:15], v[22:23], -v[24:25]
	s_delay_alu instid0(VALU_DEP_4) | instskip(NEXT) | instid1(VALU_DEP_4)
	v_add_f64_e32 v[4:5], v[6:7], v[4:5]
	v_add_f64_e32 v[2:3], v[8:9], v[2:3]
	s_delay_alu instid0(VALU_DEP_2) | instskip(NEXT) | instid1(VALU_DEP_2)
	v_add_f64_e32 v[4:5], v[4:5], v[10:11]
	v_add_f64_e32 v[6:7], v[2:3], v[18:19]
	s_delay_alu instid0(VALU_DEP_2) | instskip(NEXT) | instid1(VALU_DEP_2)
	v_add_f64_e64 v[2:3], v[186:187], -v[4:5]
	v_add_f64_e64 v[4:5], v[188:189], -v[6:7]
	scratch_store_b128 off, v[2:5], off offset:480
	s_wait_xcnt 0x0
	v_cmpx_lt_u32_e32 29, v1
	s_cbranch_execz .LBB126_345
; %bb.344:
	scratch_load_b128 v[2:5], off, s52
	v_mov_b32_e32 v6, 0
	s_delay_alu instid0(VALU_DEP_1)
	v_dual_mov_b32 v7, v6 :: v_dual_mov_b32 v8, v6
	v_mov_b32_e32 v9, v6
	scratch_store_b128 off, v[6:9], off offset:464
	s_wait_loadcnt 0x0
	ds_store_b128 v20, v[2:5]
.LBB126_345:
	s_wait_xcnt 0x0
	s_or_b32 exec_lo, exec_lo, s2
	s_wait_storecnt_dscnt 0x0
	s_barrier_signal -1
	s_barrier_wait -1
	s_clause 0x9
	scratch_load_b128 v[4:7], off, off offset:480
	scratch_load_b128 v[8:11], off, off offset:496
	;; [unrolled: 1-line block ×10, first 2 shown]
	v_mov_b32_e32 v2, 0
	s_mov_b32 s2, exec_lo
	ds_load_b128 v[174:177], v2 offset:1488
	s_clause 0x2
	scratch_load_b128 v[178:181], off, off offset:640
	scratch_load_b128 v[182:185], off, off offset:464
	;; [unrolled: 1-line block ×3, first 2 shown]
	s_wait_loadcnt_dscnt 0xc00
	v_mul_f64_e32 v[30:31], v[176:177], v[6:7]
	v_mul_f64_e32 v[198:199], v[174:175], v[6:7]
	ds_load_b128 v[186:189], v2 offset:1504
	ds_load_b128 v[194:197], v2 offset:1536
	v_fma_f64 v[30:31], v[174:175], v[4:5], -v[30:31]
	v_fmac_f64_e32 v[198:199], v[176:177], v[4:5]
	ds_load_b128 v[4:7], v2 offset:1520
	s_wait_loadcnt_dscnt 0xb02
	v_mul_f64_e32 v[200:201], v[186:187], v[10:11]
	v_mul_f64_e32 v[10:11], v[188:189], v[10:11]
	scratch_load_b128 v[174:177], off, off offset:672
	s_wait_loadcnt_dscnt 0xb00
	v_mul_f64_e32 v[202:203], v[4:5], v[14:15]
	v_mul_f64_e32 v[14:15], v[6:7], v[14:15]
	v_add_f64_e32 v[30:31], 0, v[30:31]
	v_fmac_f64_e32 v[200:201], v[188:189], v[8:9]
	v_fma_f64 v[186:187], v[186:187], v[8:9], -v[10:11]
	v_add_f64_e32 v[188:189], 0, v[198:199]
	scratch_load_b128 v[8:11], off, off offset:688
	v_fmac_f64_e32 v[202:203], v[6:7], v[12:13]
	v_fma_f64 v[204:205], v[4:5], v[12:13], -v[14:15]
	ds_load_b128 v[4:7], v2 offset:1552
	s_wait_loadcnt 0xb
	v_mul_f64_e32 v[198:199], v[194:195], v[18:19]
	v_mul_f64_e32 v[18:19], v[196:197], v[18:19]
	scratch_load_b128 v[12:15], off, off offset:704
	v_add_f64_e32 v[30:31], v[30:31], v[186:187]
	v_add_f64_e32 v[200:201], v[188:189], v[200:201]
	ds_load_b128 v[186:189], v2 offset:1568
	s_wait_loadcnt_dscnt 0xb01
	v_mul_f64_e32 v[206:207], v[4:5], v[24:25]
	v_mul_f64_e32 v[24:25], v[6:7], v[24:25]
	v_fmac_f64_e32 v[198:199], v[196:197], v[16:17]
	v_fma_f64 v[194:195], v[194:195], v[16:17], -v[18:19]
	scratch_load_b128 v[16:19], off, off offset:720
	v_add_f64_e32 v[30:31], v[30:31], v[204:205]
	v_add_f64_e32 v[196:197], v[200:201], v[202:203]
	v_fmac_f64_e32 v[206:207], v[6:7], v[22:23]
	v_fma_f64 v[204:205], v[4:5], v[22:23], -v[24:25]
	ds_load_b128 v[4:7], v2 offset:1584
	s_wait_loadcnt_dscnt 0xb01
	v_mul_f64_e32 v[200:201], v[186:187], v[28:29]
	v_mul_f64_e32 v[202:203], v[188:189], v[28:29]
	scratch_load_b128 v[22:25], off, off offset:736
	v_add_f64_e32 v[194:195], v[30:31], v[194:195]
	v_add_f64_e32 v[196:197], v[196:197], v[198:199]
	s_wait_loadcnt_dscnt 0xb00
	v_mul_f64_e32 v[198:199], v[4:5], v[160:161]
	v_mul_f64_e32 v[160:161], v[6:7], v[160:161]
	ds_load_b128 v[28:31], v2 offset:1600
	v_fmac_f64_e32 v[200:201], v[188:189], v[26:27]
	v_fma_f64 v[26:27], v[186:187], v[26:27], -v[202:203]
	scratch_load_b128 v[186:189], off, off offset:752
	v_add_f64_e32 v[194:195], v[194:195], v[204:205]
	v_add_f64_e32 v[196:197], v[196:197], v[206:207]
	v_fmac_f64_e32 v[198:199], v[6:7], v[158:159]
	v_fma_f64 v[204:205], v[4:5], v[158:159], -v[160:161]
	ds_load_b128 v[4:7], v2 offset:1616
	s_wait_loadcnt_dscnt 0xb01
	v_mul_f64_e32 v[202:203], v[28:29], v[164:165]
	v_mul_f64_e32 v[164:165], v[30:31], v[164:165]
	scratch_load_b128 v[158:161], off, off offset:768
	s_wait_loadcnt_dscnt 0xb00
	v_mul_f64_e32 v[206:207], v[4:5], v[168:169]
	v_mul_f64_e32 v[168:169], v[6:7], v[168:169]
	v_add_f64_e32 v[26:27], v[194:195], v[26:27]
	v_add_f64_e32 v[200:201], v[196:197], v[200:201]
	ds_load_b128 v[194:197], v2 offset:1632
	v_fmac_f64_e32 v[202:203], v[30:31], v[162:163]
	v_fma_f64 v[30:31], v[28:29], v[162:163], -v[164:165]
	v_fmac_f64_e32 v[206:207], v[6:7], v[166:167]
	v_add_f64_e32 v[162:163], v[26:27], v[204:205]
	v_add_f64_e32 v[164:165], v[200:201], v[198:199]
	scratch_load_b128 v[26:29], off, off offset:784
	v_fma_f64 v[200:201], v[4:5], v[166:167], -v[168:169]
	ds_load_b128 v[4:7], v2 offset:1648
	s_wait_loadcnt_dscnt 0xb01
	v_mul_f64_e32 v[198:199], v[194:195], v[172:173]
	v_mul_f64_e32 v[172:173], v[196:197], v[172:173]
	ds_load_b128 v[166:169], v2 offset:1664
	s_wait_loadcnt_dscnt 0xa01
	v_mul_f64_e32 v[204:205], v[4:5], v[180:181]
	v_mul_f64_e32 v[180:181], v[6:7], v[180:181]
	v_add_f64_e32 v[30:31], v[162:163], v[30:31]
	v_add_f64_e32 v[202:203], v[164:165], v[202:203]
	scratch_load_b128 v[162:165], off, off offset:800
	v_fmac_f64_e32 v[198:199], v[196:197], v[170:171]
	v_fma_f64 v[194:195], v[194:195], v[170:171], -v[172:173]
	scratch_load_b128 v[170:173], off, off offset:816
	v_fmac_f64_e32 v[204:205], v[6:7], v[178:179]
	v_add_f64_e32 v[30:31], v[30:31], v[200:201]
	v_add_f64_e32 v[196:197], v[202:203], v[206:207]
	v_fma_f64 v[206:207], v[4:5], v[178:179], -v[180:181]
	ds_load_b128 v[4:7], v2 offset:1680
	s_wait_loadcnt_dscnt 0xa01
	v_mul_f64_e32 v[200:201], v[166:167], v[192:193]
	v_mul_f64_e32 v[202:203], v[168:169], v[192:193]
	scratch_load_b128 v[178:181], off, off offset:832
	v_add_f64_e32 v[30:31], v[30:31], v[194:195]
	v_add_f64_e32 v[196:197], v[196:197], v[198:199]
	s_wait_loadcnt_dscnt 0xa00
	v_mul_f64_e32 v[208:209], v[4:5], v[176:177]
	v_mul_f64_e32 v[176:177], v[6:7], v[176:177]
	v_fmac_f64_e32 v[200:201], v[168:169], v[190:191]
	v_fma_f64 v[190:191], v[166:167], v[190:191], -v[202:203]
	ds_load_b128 v[192:195], v2 offset:1696
	scratch_load_b128 v[166:169], off, off offset:848
	v_add_f64_e32 v[30:31], v[30:31], v[206:207]
	v_add_f64_e32 v[196:197], v[196:197], v[204:205]
	v_fmac_f64_e32 v[208:209], v[6:7], v[174:175]
	v_fma_f64 v[204:205], v[4:5], v[174:175], -v[176:177]
	ds_load_b128 v[4:7], v2 offset:1712
	s_wait_loadcnt_dscnt 0xa01
	v_mul_f64_e32 v[202:203], v[192:193], v[10:11]
	v_mul_f64_e32 v[10:11], v[194:195], v[10:11]
	scratch_load_b128 v[174:177], off, off offset:864
	v_add_f64_e32 v[30:31], v[30:31], v[190:191]
	v_add_f64_e32 v[190:191], v[196:197], v[200:201]
	s_wait_loadcnt_dscnt 0xa00
	v_mul_f64_e32 v[200:201], v[4:5], v[14:15]
	v_mul_f64_e32 v[14:15], v[6:7], v[14:15]
	ds_load_b128 v[196:199], v2 offset:1728
	v_fmac_f64_e32 v[202:203], v[194:195], v[8:9]
	v_fma_f64 v[192:193], v[192:193], v[8:9], -v[10:11]
	scratch_load_b128 v[8:11], off, off offset:880
	v_add_f64_e32 v[30:31], v[30:31], v[204:205]
	v_add_f64_e32 v[190:191], v[190:191], v[208:209]
	v_fmac_f64_e32 v[200:201], v[6:7], v[12:13]
	v_fma_f64 v[204:205], v[4:5], v[12:13], -v[14:15]
	ds_load_b128 v[4:7], v2 offset:1744
	s_wait_loadcnt_dscnt 0xa01
	v_mul_f64_e32 v[194:195], v[196:197], v[18:19]
	v_mul_f64_e32 v[18:19], v[198:199], v[18:19]
	scratch_load_b128 v[12:15], off, off offset:896
	s_wait_loadcnt_dscnt 0xa00
	v_mul_f64_e32 v[206:207], v[4:5], v[24:25]
	v_mul_f64_e32 v[24:25], v[6:7], v[24:25]
	v_add_f64_e32 v[30:31], v[30:31], v[192:193]
	v_add_f64_e32 v[202:203], v[190:191], v[202:203]
	ds_load_b128 v[190:193], v2 offset:1760
	v_fmac_f64_e32 v[194:195], v[198:199], v[16:17]
	v_fma_f64 v[196:197], v[196:197], v[16:17], -v[18:19]
	scratch_load_b128 v[16:19], off, off offset:912
	v_fmac_f64_e32 v[206:207], v[6:7], v[22:23]
	v_add_f64_e32 v[30:31], v[30:31], v[204:205]
	v_add_f64_e32 v[198:199], v[202:203], v[200:201]
	v_fma_f64 v[202:203], v[4:5], v[22:23], -v[24:25]
	ds_load_b128 v[4:7], v2 offset:1776
	s_wait_loadcnt_dscnt 0xa01
	v_mul_f64_e32 v[200:201], v[190:191], v[188:189]
	v_mul_f64_e32 v[188:189], v[192:193], v[188:189]
	scratch_load_b128 v[22:25], off, off offset:928
	s_wait_loadcnt_dscnt 0xa00
	v_mul_f64_e32 v[204:205], v[4:5], v[160:161]
	v_mul_f64_e32 v[160:161], v[6:7], v[160:161]
	v_add_f64_e32 v[30:31], v[30:31], v[196:197]
	v_add_f64_e32 v[198:199], v[198:199], v[194:195]
	ds_load_b128 v[194:197], v2 offset:1792
	v_fmac_f64_e32 v[200:201], v[192:193], v[186:187]
	v_fma_f64 v[190:191], v[190:191], v[186:187], -v[188:189]
	scratch_load_b128 v[186:189], off, off offset:944
	v_fmac_f64_e32 v[204:205], v[6:7], v[158:159]
	v_add_f64_e32 v[30:31], v[30:31], v[202:203]
	v_add_f64_e32 v[192:193], v[198:199], v[206:207]
	v_fma_f64 v[206:207], v[4:5], v[158:159], -v[160:161]
	ds_load_b128 v[4:7], v2 offset:1808
	s_wait_loadcnt_dscnt 0xa01
	v_mul_f64_e32 v[198:199], v[194:195], v[28:29]
	v_mul_f64_e32 v[202:203], v[196:197], v[28:29]
	ds_load_b128 v[158:161], v2 offset:1824
	v_add_f64_e32 v[190:191], v[30:31], v[190:191]
	v_add_f64_e32 v[192:193], v[192:193], v[200:201]
	scratch_load_b128 v[28:31], off, off offset:960
	s_wait_loadcnt_dscnt 0xa01
	v_mul_f64_e32 v[200:201], v[4:5], v[164:165]
	v_mul_f64_e32 v[164:165], v[6:7], v[164:165]
	v_fmac_f64_e32 v[198:199], v[196:197], v[26:27]
	v_fma_f64 v[26:27], v[194:195], v[26:27], -v[202:203]
	v_add_f64_e32 v[194:195], v[190:191], v[206:207]
	v_add_f64_e32 v[196:197], v[192:193], v[204:205]
	scratch_load_b128 v[190:193], off, off offset:976
	v_fmac_f64_e32 v[200:201], v[6:7], v[162:163]
	v_fma_f64 v[204:205], v[4:5], v[162:163], -v[164:165]
	ds_load_b128 v[4:7], v2 offset:1840
	s_wait_loadcnt_dscnt 0xa01
	v_mul_f64_e32 v[202:203], v[158:159], v[172:173]
	v_mul_f64_e32 v[172:173], v[160:161], v[172:173]
	scratch_load_b128 v[162:165], off, off offset:992
	s_wait_loadcnt_dscnt 0xa00
	v_mul_f64_e32 v[206:207], v[4:5], v[180:181]
	v_mul_f64_e32 v[180:181], v[6:7], v[180:181]
	v_add_f64_e32 v[26:27], v[194:195], v[26:27]
	v_add_f64_e32 v[198:199], v[196:197], v[198:199]
	ds_load_b128 v[194:197], v2 offset:1856
	v_fmac_f64_e32 v[202:203], v[160:161], v[170:171]
	v_fma_f64 v[158:159], v[158:159], v[170:171], -v[172:173]
	s_wait_loadcnt_dscnt 0x900
	v_mul_f64_e32 v[170:171], v[194:195], v[168:169]
	v_mul_f64_e32 v[168:169], v[196:197], v[168:169]
	v_fmac_f64_e32 v[206:207], v[6:7], v[178:179]
	v_fma_f64 v[172:173], v[4:5], v[178:179], -v[180:181]
	v_add_f64_e32 v[26:27], v[26:27], v[204:205]
	v_add_f64_e32 v[160:161], v[198:199], v[200:201]
	v_fmac_f64_e32 v[170:171], v[196:197], v[166:167]
	v_fma_f64 v[166:167], v[194:195], v[166:167], -v[168:169]
	s_delay_alu instid0(VALU_DEP_4) | instskip(NEXT) | instid1(VALU_DEP_4)
	v_add_f64_e32 v[26:27], v[26:27], v[158:159]
	v_add_f64_e32 v[178:179], v[160:161], v[202:203]
	ds_load_b128 v[4:7], v2 offset:1872
	ds_load_b128 v[158:161], v2 offset:1888
	s_wait_loadcnt_dscnt 0x801
	v_mul_f64_e32 v[180:181], v[4:5], v[176:177]
	v_mul_f64_e32 v[176:177], v[6:7], v[176:177]
	v_add_f64_e32 v[26:27], v[26:27], v[172:173]
	v_add_f64_e32 v[168:169], v[178:179], v[206:207]
	s_wait_loadcnt_dscnt 0x700
	v_mul_f64_e32 v[172:173], v[158:159], v[10:11]
	v_mul_f64_e32 v[10:11], v[160:161], v[10:11]
	v_fmac_f64_e32 v[180:181], v[6:7], v[174:175]
	v_fma_f64 v[174:175], v[4:5], v[174:175], -v[176:177]
	v_add_f64_e32 v[26:27], v[26:27], v[166:167]
	v_add_f64_e32 v[170:171], v[168:169], v[170:171]
	ds_load_b128 v[4:7], v2 offset:1904
	ds_load_b128 v[166:169], v2 offset:1920
	v_fmac_f64_e32 v[172:173], v[160:161], v[8:9]
	v_fma_f64 v[8:9], v[158:159], v[8:9], -v[10:11]
	s_wait_loadcnt_dscnt 0x601
	v_mul_f64_e32 v[176:177], v[4:5], v[14:15]
	v_mul_f64_e32 v[14:15], v[6:7], v[14:15]
	s_wait_loadcnt_dscnt 0x500
	v_mul_f64_e32 v[158:159], v[166:167], v[18:19]
	v_mul_f64_e32 v[18:19], v[168:169], v[18:19]
	v_add_f64_e32 v[10:11], v[26:27], v[174:175]
	v_add_f64_e32 v[26:27], v[170:171], v[180:181]
	v_fmac_f64_e32 v[176:177], v[6:7], v[12:13]
	v_fma_f64 v[12:13], v[4:5], v[12:13], -v[14:15]
	v_fmac_f64_e32 v[158:159], v[168:169], v[16:17]
	v_fma_f64 v[16:17], v[166:167], v[16:17], -v[18:19]
	v_add_f64_e32 v[14:15], v[10:11], v[8:9]
	v_add_f64_e32 v[26:27], v[26:27], v[172:173]
	ds_load_b128 v[4:7], v2 offset:1936
	ds_load_b128 v[8:11], v2 offset:1952
	s_wait_loadcnt_dscnt 0x401
	v_mul_f64_e32 v[160:161], v[4:5], v[24:25]
	v_mul_f64_e32 v[24:25], v[6:7], v[24:25]
	s_wait_loadcnt_dscnt 0x300
	v_mul_f64_e32 v[18:19], v[8:9], v[188:189]
	v_add_f64_e32 v[12:13], v[14:15], v[12:13]
	v_add_f64_e32 v[14:15], v[26:27], v[176:177]
	v_mul_f64_e32 v[26:27], v[10:11], v[188:189]
	v_fmac_f64_e32 v[160:161], v[6:7], v[22:23]
	v_fma_f64 v[22:23], v[4:5], v[22:23], -v[24:25]
	v_fmac_f64_e32 v[18:19], v[10:11], v[186:187]
	v_add_f64_e32 v[16:17], v[12:13], v[16:17]
	v_add_f64_e32 v[24:25], v[14:15], v[158:159]
	ds_load_b128 v[4:7], v2 offset:1968
	ds_load_b128 v[12:15], v2 offset:1984
	v_fma_f64 v[8:9], v[8:9], v[186:187], -v[26:27]
	s_wait_loadcnt_dscnt 0x201
	v_mul_f64_e32 v[158:159], v[4:5], v[30:31]
	v_mul_f64_e32 v[30:31], v[6:7], v[30:31]
	v_add_f64_e32 v[10:11], v[16:17], v[22:23]
	v_add_f64_e32 v[16:17], v[24:25], v[160:161]
	s_wait_loadcnt_dscnt 0x100
	v_mul_f64_e32 v[22:23], v[12:13], v[192:193]
	v_mul_f64_e32 v[24:25], v[14:15], v[192:193]
	v_fmac_f64_e32 v[158:159], v[6:7], v[28:29]
	v_fma_f64 v[26:27], v[4:5], v[28:29], -v[30:31]
	ds_load_b128 v[4:7], v2 offset:2000
	v_add_f64_e32 v[8:9], v[10:11], v[8:9]
	v_add_f64_e32 v[10:11], v[16:17], v[18:19]
	v_fmac_f64_e32 v[22:23], v[14:15], v[190:191]
	v_fma_f64 v[12:13], v[12:13], v[190:191], -v[24:25]
	s_wait_loadcnt_dscnt 0x0
	v_mul_f64_e32 v[16:17], v[4:5], v[164:165]
	v_mul_f64_e32 v[18:19], v[6:7], v[164:165]
	v_add_f64_e32 v[8:9], v[8:9], v[26:27]
	v_add_f64_e32 v[10:11], v[10:11], v[158:159]
	s_delay_alu instid0(VALU_DEP_4) | instskip(NEXT) | instid1(VALU_DEP_4)
	v_fmac_f64_e32 v[16:17], v[6:7], v[162:163]
	v_fma_f64 v[4:5], v[4:5], v[162:163], -v[18:19]
	s_delay_alu instid0(VALU_DEP_4) | instskip(NEXT) | instid1(VALU_DEP_4)
	v_add_f64_e32 v[6:7], v[8:9], v[12:13]
	v_add_f64_e32 v[8:9], v[10:11], v[22:23]
	s_delay_alu instid0(VALU_DEP_2) | instskip(NEXT) | instid1(VALU_DEP_2)
	v_add_f64_e32 v[4:5], v[6:7], v[4:5]
	v_add_f64_e32 v[6:7], v[8:9], v[16:17]
	s_delay_alu instid0(VALU_DEP_2) | instskip(NEXT) | instid1(VALU_DEP_2)
	v_add_f64_e64 v[4:5], v[182:183], -v[4:5]
	v_add_f64_e64 v[6:7], v[184:185], -v[6:7]
	scratch_store_b128 off, v[4:7], off offset:464
	s_wait_xcnt 0x0
	v_cmpx_lt_u32_e32 28, v1
	s_cbranch_execz .LBB126_347
; %bb.346:
	scratch_load_b128 v[6:9], off, s53
	v_dual_mov_b32 v3, v2 :: v_dual_mov_b32 v4, v2
	v_mov_b32_e32 v5, v2
	scratch_store_b128 off, v[2:5], off offset:448
	s_wait_loadcnt 0x0
	ds_store_b128 v20, v[6:9]
.LBB126_347:
	s_wait_xcnt 0x0
	s_or_b32 exec_lo, exec_lo, s2
	s_wait_storecnt_dscnt 0x0
	s_barrier_signal -1
	s_barrier_wait -1
	s_clause 0x9
	scratch_load_b128 v[4:7], off, off offset:464
	scratch_load_b128 v[8:11], off, off offset:480
	;; [unrolled: 1-line block ×10, first 2 shown]
	ds_load_b128 v[174:177], v2 offset:1472
	ds_load_b128 v[182:185], v2 offset:1488
	s_clause 0x2
	scratch_load_b128 v[178:181], off, off offset:624
	scratch_load_b128 v[186:189], off, off offset:448
	;; [unrolled: 1-line block ×3, first 2 shown]
	s_mov_b32 s2, exec_lo
	s_wait_loadcnt_dscnt 0xc01
	v_mul_f64_e32 v[30:31], v[176:177], v[6:7]
	v_mul_f64_e32 v[198:199], v[174:175], v[6:7]
	s_wait_loadcnt_dscnt 0xb00
	v_mul_f64_e32 v[200:201], v[182:183], v[10:11]
	v_mul_f64_e32 v[10:11], v[184:185], v[10:11]
	s_delay_alu instid0(VALU_DEP_4) | instskip(NEXT) | instid1(VALU_DEP_4)
	v_fma_f64 v[30:31], v[174:175], v[4:5], -v[30:31]
	v_fmac_f64_e32 v[198:199], v[176:177], v[4:5]
	ds_load_b128 v[4:7], v2 offset:1504
	ds_load_b128 v[174:177], v2 offset:1520
	scratch_load_b128 v[194:197], off, off offset:656
	v_fmac_f64_e32 v[200:201], v[184:185], v[8:9]
	v_fma_f64 v[182:183], v[182:183], v[8:9], -v[10:11]
	scratch_load_b128 v[8:11], off, off offset:672
	s_wait_loadcnt_dscnt 0xc01
	v_mul_f64_e32 v[202:203], v[4:5], v[14:15]
	v_mul_f64_e32 v[14:15], v[6:7], v[14:15]
	v_add_f64_e32 v[30:31], 0, v[30:31]
	v_add_f64_e32 v[184:185], 0, v[198:199]
	s_wait_loadcnt_dscnt 0xb00
	v_mul_f64_e32 v[198:199], v[174:175], v[18:19]
	v_mul_f64_e32 v[18:19], v[176:177], v[18:19]
	v_fmac_f64_e32 v[202:203], v[6:7], v[12:13]
	v_fma_f64 v[204:205], v[4:5], v[12:13], -v[14:15]
	ds_load_b128 v[4:7], v2 offset:1536
	ds_load_b128 v[12:15], v2 offset:1552
	v_add_f64_e32 v[30:31], v[30:31], v[182:183]
	v_add_f64_e32 v[200:201], v[184:185], v[200:201]
	scratch_load_b128 v[182:185], off, off offset:688
	v_fmac_f64_e32 v[198:199], v[176:177], v[16:17]
	v_fma_f64 v[174:175], v[174:175], v[16:17], -v[18:19]
	scratch_load_b128 v[16:19], off, off offset:704
	s_wait_loadcnt_dscnt 0xc01
	v_mul_f64_e32 v[206:207], v[4:5], v[24:25]
	v_mul_f64_e32 v[24:25], v[6:7], v[24:25]
	v_add_f64_e32 v[30:31], v[30:31], v[204:205]
	v_add_f64_e32 v[176:177], v[200:201], v[202:203]
	s_wait_loadcnt_dscnt 0xb00
	v_mul_f64_e32 v[200:201], v[12:13], v[28:29]
	v_mul_f64_e32 v[202:203], v[14:15], v[28:29]
	v_fmac_f64_e32 v[206:207], v[6:7], v[22:23]
	v_fma_f64 v[204:205], v[4:5], v[22:23], -v[24:25]
	ds_load_b128 v[4:7], v2 offset:1568
	ds_load_b128 v[22:25], v2 offset:1584
	v_add_f64_e32 v[174:175], v[30:31], v[174:175]
	v_add_f64_e32 v[176:177], v[176:177], v[198:199]
	scratch_load_b128 v[28:31], off, off offset:720
	s_wait_loadcnt_dscnt 0xb01
	v_mul_f64_e32 v[198:199], v[4:5], v[160:161]
	v_mul_f64_e32 v[160:161], v[6:7], v[160:161]
	v_fmac_f64_e32 v[200:201], v[14:15], v[26:27]
	v_fma_f64 v[26:27], v[12:13], v[26:27], -v[202:203]
	scratch_load_b128 v[12:15], off, off offset:736
	s_wait_loadcnt_dscnt 0xb00
	v_mul_f64_e32 v[202:203], v[22:23], v[164:165]
	v_mul_f64_e32 v[164:165], v[24:25], v[164:165]
	v_add_f64_e32 v[174:175], v[174:175], v[204:205]
	v_add_f64_e32 v[176:177], v[176:177], v[206:207]
	v_fmac_f64_e32 v[198:199], v[6:7], v[158:159]
	v_fma_f64 v[204:205], v[4:5], v[158:159], -v[160:161]
	ds_load_b128 v[4:7], v2 offset:1600
	ds_load_b128 v[158:161], v2 offset:1616
	v_fmac_f64_e32 v[202:203], v[24:25], v[162:163]
	v_fma_f64 v[162:163], v[22:23], v[162:163], -v[164:165]
	scratch_load_b128 v[22:25], off, off offset:768
	s_wait_loadcnt_dscnt 0xb01
	v_mul_f64_e32 v[206:207], v[4:5], v[168:169]
	v_mul_f64_e32 v[168:169], v[6:7], v[168:169]
	v_add_f64_e32 v[26:27], v[174:175], v[26:27]
	v_add_f64_e32 v[200:201], v[176:177], v[200:201]
	scratch_load_b128 v[174:177], off, off offset:752
	v_fmac_f64_e32 v[206:207], v[6:7], v[166:167]
	v_add_f64_e32 v[26:27], v[26:27], v[204:205]
	v_add_f64_e32 v[164:165], v[200:201], v[198:199]
	s_wait_loadcnt_dscnt 0xb00
	v_mul_f64_e32 v[198:199], v[158:159], v[172:173]
	v_mul_f64_e32 v[172:173], v[160:161], v[172:173]
	v_fma_f64 v[200:201], v[4:5], v[166:167], -v[168:169]
	v_add_f64_e32 v[26:27], v[26:27], v[162:163]
	v_add_f64_e32 v[202:203], v[164:165], v[202:203]
	ds_load_b128 v[4:7], v2 offset:1632
	ds_load_b128 v[162:165], v2 offset:1648
	scratch_load_b128 v[166:169], off, off offset:784
	v_fmac_f64_e32 v[198:199], v[160:161], v[170:171]
	v_fma_f64 v[170:171], v[158:159], v[170:171], -v[172:173]
	scratch_load_b128 v[158:161], off, off offset:800
	s_wait_loadcnt_dscnt 0xc01
	v_mul_f64_e32 v[204:205], v[4:5], v[180:181]
	v_mul_f64_e32 v[180:181], v[6:7], v[180:181]
	v_add_f64_e32 v[26:27], v[26:27], v[200:201]
	v_add_f64_e32 v[172:173], v[202:203], v[206:207]
	s_wait_loadcnt_dscnt 0xa00
	v_mul_f64_e32 v[200:201], v[162:163], v[192:193]
	v_mul_f64_e32 v[192:193], v[164:165], v[192:193]
	v_fmac_f64_e32 v[204:205], v[6:7], v[178:179]
	v_fma_f64 v[202:203], v[4:5], v[178:179], -v[180:181]
	v_add_f64_e32 v[26:27], v[26:27], v[170:171]
	v_add_f64_e32 v[198:199], v[172:173], v[198:199]
	ds_load_b128 v[4:7], v2 offset:1664
	ds_load_b128 v[170:173], v2 offset:1680
	scratch_load_b128 v[178:181], off, off offset:816
	v_fmac_f64_e32 v[200:201], v[164:165], v[190:191]
	v_fma_f64 v[190:191], v[162:163], v[190:191], -v[192:193]
	scratch_load_b128 v[162:165], off, off offset:832
	s_wait_loadcnt_dscnt 0xb01
	v_mul_f64_e32 v[206:207], v[4:5], v[196:197]
	v_mul_f64_e32 v[196:197], v[6:7], v[196:197]
	v_add_f64_e32 v[26:27], v[26:27], v[202:203]
	v_add_f64_e32 v[192:193], v[198:199], v[204:205]
	s_wait_loadcnt_dscnt 0xa00
	v_mul_f64_e32 v[198:199], v[170:171], v[10:11]
	v_mul_f64_e32 v[10:11], v[172:173], v[10:11]
	v_fmac_f64_e32 v[206:207], v[6:7], v[194:195]
	;; [unrolled: 18-line block ×4, first 2 shown]
	v_fma_f64 v[30:31], v[4:5], v[28:29], -v[30:31]
	v_add_f64_e32 v[202:203], v[26:27], v[190:191]
	v_add_f64_e32 v[200:201], v[192:193], v[200:201]
	ds_load_b128 v[4:7], v2 offset:1760
	ds_load_b128 v[26:29], v2 offset:1776
	scratch_load_b128 v[190:193], off, off offset:912
	v_fmac_f64_e32 v[198:199], v[172:173], v[12:13]
	v_fma_f64 v[170:171], v[170:171], v[12:13], -v[14:15]
	scratch_load_b128 v[12:15], off, off offset:928
	s_wait_loadcnt_dscnt 0xa01
	v_mul_f64_e32 v[204:205], v[4:5], v[176:177]
	v_mul_f64_e32 v[176:177], v[6:7], v[176:177]
	v_add_f64_e32 v[30:31], v[202:203], v[30:31]
	v_add_f64_e32 v[172:173], v[200:201], v[206:207]
	s_wait_dscnt 0x0
	v_mul_f64_e32 v[200:201], v[26:27], v[24:25]
	v_mul_f64_e32 v[24:25], v[28:29], v[24:25]
	v_fmac_f64_e32 v[204:205], v[6:7], v[174:175]
	v_fma_f64 v[202:203], v[4:5], v[174:175], -v[176:177]
	v_add_f64_e32 v[30:31], v[30:31], v[170:171]
	v_add_f64_e32 v[198:199], v[172:173], v[198:199]
	ds_load_b128 v[4:7], v2 offset:1792
	ds_load_b128 v[170:173], v2 offset:1808
	scratch_load_b128 v[174:177], off, off offset:944
	v_fmac_f64_e32 v[200:201], v[28:29], v[22:23]
	v_fma_f64 v[26:27], v[26:27], v[22:23], -v[24:25]
	scratch_load_b128 v[22:25], off, off offset:960
	s_wait_loadcnt_dscnt 0xb01
	v_mul_f64_e32 v[206:207], v[4:5], v[168:169]
	v_mul_f64_e32 v[168:169], v[6:7], v[168:169]
	v_add_f64_e32 v[28:29], v[30:31], v[202:203]
	v_add_f64_e32 v[30:31], v[198:199], v[204:205]
	s_wait_loadcnt_dscnt 0xa00
	v_mul_f64_e32 v[198:199], v[170:171], v[160:161]
	v_mul_f64_e32 v[160:161], v[172:173], v[160:161]
	v_fmac_f64_e32 v[206:207], v[6:7], v[166:167]
	v_fma_f64 v[202:203], v[4:5], v[166:167], -v[168:169]
	v_add_f64_e32 v[204:205], v[28:29], v[26:27]
	v_add_f64_e32 v[30:31], v[30:31], v[200:201]
	ds_load_b128 v[4:7], v2 offset:1824
	ds_load_b128 v[26:29], v2 offset:1840
	scratch_load_b128 v[166:169], off, off offset:976
	v_fmac_f64_e32 v[198:199], v[172:173], v[158:159]
	v_fma_f64 v[170:171], v[170:171], v[158:159], -v[160:161]
	scratch_load_b128 v[158:161], off, off offset:992
	s_wait_loadcnt_dscnt 0xb01
	v_mul_f64_e32 v[200:201], v[4:5], v[180:181]
	v_mul_f64_e32 v[180:181], v[6:7], v[180:181]
	v_add_f64_e32 v[172:173], v[204:205], v[202:203]
	v_add_f64_e32 v[30:31], v[30:31], v[206:207]
	s_wait_loadcnt_dscnt 0xa00
	v_mul_f64_e32 v[202:203], v[26:27], v[164:165]
	v_mul_f64_e32 v[164:165], v[28:29], v[164:165]
	v_fmac_f64_e32 v[200:201], v[6:7], v[178:179]
	v_fma_f64 v[178:179], v[4:5], v[178:179], -v[180:181]
	v_add_f64_e32 v[180:181], v[172:173], v[170:171]
	v_add_f64_e32 v[30:31], v[30:31], v[198:199]
	ds_load_b128 v[4:7], v2 offset:1856
	ds_load_b128 v[170:173], v2 offset:1872
	v_fmac_f64_e32 v[202:203], v[28:29], v[162:163]
	v_fma_f64 v[26:27], v[26:27], v[162:163], -v[164:165]
	s_wait_loadcnt_dscnt 0x901
	v_mul_f64_e32 v[198:199], v[4:5], v[196:197]
	v_mul_f64_e32 v[196:197], v[6:7], v[196:197]
	s_wait_loadcnt_dscnt 0x800
	v_mul_f64_e32 v[162:163], v[170:171], v[10:11]
	v_mul_f64_e32 v[10:11], v[172:173], v[10:11]
	v_add_f64_e32 v[28:29], v[180:181], v[178:179]
	v_add_f64_e32 v[30:31], v[30:31], v[200:201]
	v_fmac_f64_e32 v[198:199], v[6:7], v[194:195]
	v_fma_f64 v[164:165], v[4:5], v[194:195], -v[196:197]
	v_fmac_f64_e32 v[162:163], v[172:173], v[8:9]
	v_fma_f64 v[8:9], v[170:171], v[8:9], -v[10:11]
	v_add_f64_e32 v[178:179], v[28:29], v[26:27]
	v_add_f64_e32 v[30:31], v[30:31], v[202:203]
	ds_load_b128 v[4:7], v2 offset:1888
	ds_load_b128 v[26:29], v2 offset:1904
	s_wait_loadcnt_dscnt 0x701
	v_mul_f64_e32 v[180:181], v[4:5], v[184:185]
	v_mul_f64_e32 v[184:185], v[6:7], v[184:185]
	v_add_f64_e32 v[10:11], v[178:179], v[164:165]
	v_add_f64_e32 v[30:31], v[30:31], v[198:199]
	s_wait_loadcnt_dscnt 0x600
	v_mul_f64_e32 v[164:165], v[26:27], v[18:19]
	v_mul_f64_e32 v[18:19], v[28:29], v[18:19]
	v_fmac_f64_e32 v[180:181], v[6:7], v[182:183]
	v_fma_f64 v[170:171], v[4:5], v[182:183], -v[184:185]
	v_add_f64_e32 v[172:173], v[10:11], v[8:9]
	v_add_f64_e32 v[30:31], v[30:31], v[162:163]
	ds_load_b128 v[4:7], v2 offset:1920
	ds_load_b128 v[8:11], v2 offset:1936
	v_fmac_f64_e32 v[164:165], v[28:29], v[16:17]
	v_fma_f64 v[16:17], v[26:27], v[16:17], -v[18:19]
	s_wait_loadcnt_dscnt 0x501
	v_mul_f64_e32 v[162:163], v[4:5], v[192:193]
	v_mul_f64_e32 v[178:179], v[6:7], v[192:193]
	s_wait_loadcnt_dscnt 0x400
	v_mul_f64_e32 v[28:29], v[8:9], v[14:15]
	v_add_f64_e32 v[18:19], v[172:173], v[170:171]
	v_add_f64_e32 v[26:27], v[30:31], v[180:181]
	v_mul_f64_e32 v[30:31], v[10:11], v[14:15]
	v_fmac_f64_e32 v[162:163], v[6:7], v[190:191]
	v_fma_f64 v[170:171], v[4:5], v[190:191], -v[178:179]
	v_fmac_f64_e32 v[28:29], v[10:11], v[12:13]
	v_add_f64_e32 v[18:19], v[18:19], v[16:17]
	v_add_f64_e32 v[26:27], v[26:27], v[164:165]
	ds_load_b128 v[4:7], v2 offset:1952
	ds_load_b128 v[14:17], v2 offset:1968
	v_fma_f64 v[8:9], v[8:9], v[12:13], -v[30:31]
	s_wait_loadcnt_dscnt 0x301
	v_mul_f64_e32 v[164:165], v[4:5], v[176:177]
	v_mul_f64_e32 v[172:173], v[6:7], v[176:177]
	v_add_f64_e32 v[10:11], v[18:19], v[170:171]
	v_add_f64_e32 v[12:13], v[26:27], v[162:163]
	s_wait_loadcnt_dscnt 0x200
	v_mul_f64_e32 v[18:19], v[14:15], v[24:25]
	v_mul_f64_e32 v[24:25], v[16:17], v[24:25]
	v_fmac_f64_e32 v[164:165], v[6:7], v[174:175]
	v_fma_f64 v[26:27], v[4:5], v[174:175], -v[172:173]
	v_add_f64_e32 v[30:31], v[10:11], v[8:9]
	v_add_f64_e32 v[12:13], v[12:13], v[28:29]
	ds_load_b128 v[4:7], v2 offset:1984
	ds_load_b128 v[8:11], v2 offset:2000
	v_fmac_f64_e32 v[18:19], v[16:17], v[22:23]
	v_fma_f64 v[14:15], v[14:15], v[22:23], -v[24:25]
	s_wait_loadcnt_dscnt 0x101
	v_mul_f64_e32 v[2:3], v[4:5], v[168:169]
	v_mul_f64_e32 v[28:29], v[6:7], v[168:169]
	s_wait_loadcnt_dscnt 0x0
	v_mul_f64_e32 v[22:23], v[8:9], v[160:161]
	v_mul_f64_e32 v[24:25], v[10:11], v[160:161]
	v_add_f64_e32 v[16:17], v[30:31], v[26:27]
	v_add_f64_e32 v[12:13], v[12:13], v[164:165]
	v_fmac_f64_e32 v[2:3], v[6:7], v[166:167]
	v_fma_f64 v[4:5], v[4:5], v[166:167], -v[28:29]
	v_fmac_f64_e32 v[22:23], v[10:11], v[158:159]
	v_fma_f64 v[8:9], v[8:9], v[158:159], -v[24:25]
	v_add_f64_e32 v[6:7], v[16:17], v[14:15]
	v_add_f64_e32 v[12:13], v[12:13], v[18:19]
	s_delay_alu instid0(VALU_DEP_2) | instskip(NEXT) | instid1(VALU_DEP_2)
	v_add_f64_e32 v[4:5], v[6:7], v[4:5]
	v_add_f64_e32 v[2:3], v[12:13], v[2:3]
	s_delay_alu instid0(VALU_DEP_2) | instskip(NEXT) | instid1(VALU_DEP_2)
	;; [unrolled: 3-line block ×3, first 2 shown]
	v_add_f64_e64 v[2:3], v[186:187], -v[4:5]
	v_add_f64_e64 v[4:5], v[188:189], -v[6:7]
	scratch_store_b128 off, v[2:5], off offset:448
	s_wait_xcnt 0x0
	v_cmpx_lt_u32_e32 27, v1
	s_cbranch_execz .LBB126_349
; %bb.348:
	scratch_load_b128 v[2:5], off, s54
	v_mov_b32_e32 v6, 0
	s_delay_alu instid0(VALU_DEP_1)
	v_dual_mov_b32 v7, v6 :: v_dual_mov_b32 v8, v6
	v_mov_b32_e32 v9, v6
	scratch_store_b128 off, v[6:9], off offset:432
	s_wait_loadcnt 0x0
	ds_store_b128 v20, v[2:5]
.LBB126_349:
	s_wait_xcnt 0x0
	s_or_b32 exec_lo, exec_lo, s2
	s_wait_storecnt_dscnt 0x0
	s_barrier_signal -1
	s_barrier_wait -1
	s_clause 0x9
	scratch_load_b128 v[4:7], off, off offset:448
	scratch_load_b128 v[8:11], off, off offset:464
	;; [unrolled: 1-line block ×10, first 2 shown]
	v_mov_b32_e32 v2, 0
	s_mov_b32 s2, exec_lo
	ds_load_b128 v[174:177], v2 offset:1456
	s_clause 0x2
	scratch_load_b128 v[178:181], off, off offset:608
	scratch_load_b128 v[182:185], off, off offset:432
	;; [unrolled: 1-line block ×3, first 2 shown]
	s_wait_loadcnt_dscnt 0xc00
	v_mul_f64_e32 v[30:31], v[176:177], v[6:7]
	v_mul_f64_e32 v[198:199], v[174:175], v[6:7]
	ds_load_b128 v[186:189], v2 offset:1472
	ds_load_b128 v[194:197], v2 offset:1504
	v_fma_f64 v[30:31], v[174:175], v[4:5], -v[30:31]
	v_fmac_f64_e32 v[198:199], v[176:177], v[4:5]
	ds_load_b128 v[4:7], v2 offset:1488
	s_wait_loadcnt_dscnt 0xb02
	v_mul_f64_e32 v[200:201], v[186:187], v[10:11]
	v_mul_f64_e32 v[10:11], v[188:189], v[10:11]
	scratch_load_b128 v[174:177], off, off offset:640
	s_wait_loadcnt_dscnt 0xb00
	v_mul_f64_e32 v[202:203], v[4:5], v[14:15]
	v_mul_f64_e32 v[14:15], v[6:7], v[14:15]
	v_add_f64_e32 v[30:31], 0, v[30:31]
	v_fmac_f64_e32 v[200:201], v[188:189], v[8:9]
	v_fma_f64 v[186:187], v[186:187], v[8:9], -v[10:11]
	v_add_f64_e32 v[188:189], 0, v[198:199]
	scratch_load_b128 v[8:11], off, off offset:656
	v_fmac_f64_e32 v[202:203], v[6:7], v[12:13]
	v_fma_f64 v[204:205], v[4:5], v[12:13], -v[14:15]
	ds_load_b128 v[4:7], v2 offset:1520
	s_wait_loadcnt 0xb
	v_mul_f64_e32 v[198:199], v[194:195], v[18:19]
	v_mul_f64_e32 v[18:19], v[196:197], v[18:19]
	scratch_load_b128 v[12:15], off, off offset:672
	v_add_f64_e32 v[30:31], v[30:31], v[186:187]
	v_add_f64_e32 v[200:201], v[188:189], v[200:201]
	ds_load_b128 v[186:189], v2 offset:1536
	s_wait_loadcnt_dscnt 0xb01
	v_mul_f64_e32 v[206:207], v[4:5], v[24:25]
	v_mul_f64_e32 v[24:25], v[6:7], v[24:25]
	v_fmac_f64_e32 v[198:199], v[196:197], v[16:17]
	v_fma_f64 v[194:195], v[194:195], v[16:17], -v[18:19]
	scratch_load_b128 v[16:19], off, off offset:688
	v_add_f64_e32 v[30:31], v[30:31], v[204:205]
	v_add_f64_e32 v[196:197], v[200:201], v[202:203]
	v_fmac_f64_e32 v[206:207], v[6:7], v[22:23]
	v_fma_f64 v[204:205], v[4:5], v[22:23], -v[24:25]
	ds_load_b128 v[4:7], v2 offset:1552
	s_wait_loadcnt_dscnt 0xb01
	v_mul_f64_e32 v[200:201], v[186:187], v[28:29]
	v_mul_f64_e32 v[202:203], v[188:189], v[28:29]
	scratch_load_b128 v[22:25], off, off offset:704
	v_add_f64_e32 v[194:195], v[30:31], v[194:195]
	v_add_f64_e32 v[196:197], v[196:197], v[198:199]
	s_wait_loadcnt_dscnt 0xb00
	v_mul_f64_e32 v[198:199], v[4:5], v[160:161]
	v_mul_f64_e32 v[160:161], v[6:7], v[160:161]
	ds_load_b128 v[28:31], v2 offset:1568
	v_fmac_f64_e32 v[200:201], v[188:189], v[26:27]
	v_fma_f64 v[26:27], v[186:187], v[26:27], -v[202:203]
	scratch_load_b128 v[186:189], off, off offset:720
	v_add_f64_e32 v[194:195], v[194:195], v[204:205]
	v_add_f64_e32 v[196:197], v[196:197], v[206:207]
	v_fmac_f64_e32 v[198:199], v[6:7], v[158:159]
	v_fma_f64 v[204:205], v[4:5], v[158:159], -v[160:161]
	ds_load_b128 v[4:7], v2 offset:1584
	s_wait_loadcnt_dscnt 0xb01
	v_mul_f64_e32 v[202:203], v[28:29], v[164:165]
	v_mul_f64_e32 v[164:165], v[30:31], v[164:165]
	scratch_load_b128 v[158:161], off, off offset:736
	s_wait_loadcnt_dscnt 0xb00
	v_mul_f64_e32 v[206:207], v[4:5], v[168:169]
	v_mul_f64_e32 v[168:169], v[6:7], v[168:169]
	v_add_f64_e32 v[26:27], v[194:195], v[26:27]
	v_add_f64_e32 v[200:201], v[196:197], v[200:201]
	ds_load_b128 v[194:197], v2 offset:1600
	v_fmac_f64_e32 v[202:203], v[30:31], v[162:163]
	v_fma_f64 v[30:31], v[28:29], v[162:163], -v[164:165]
	v_fmac_f64_e32 v[206:207], v[6:7], v[166:167]
	v_add_f64_e32 v[162:163], v[26:27], v[204:205]
	v_add_f64_e32 v[164:165], v[200:201], v[198:199]
	scratch_load_b128 v[26:29], off, off offset:752
	v_fma_f64 v[200:201], v[4:5], v[166:167], -v[168:169]
	ds_load_b128 v[4:7], v2 offset:1616
	s_wait_loadcnt_dscnt 0xb01
	v_mul_f64_e32 v[198:199], v[194:195], v[172:173]
	v_mul_f64_e32 v[172:173], v[196:197], v[172:173]
	ds_load_b128 v[166:169], v2 offset:1632
	s_wait_loadcnt_dscnt 0xa01
	v_mul_f64_e32 v[204:205], v[4:5], v[180:181]
	v_mul_f64_e32 v[180:181], v[6:7], v[180:181]
	v_add_f64_e32 v[30:31], v[162:163], v[30:31]
	v_add_f64_e32 v[202:203], v[164:165], v[202:203]
	scratch_load_b128 v[162:165], off, off offset:768
	v_fmac_f64_e32 v[198:199], v[196:197], v[170:171]
	v_fma_f64 v[194:195], v[194:195], v[170:171], -v[172:173]
	scratch_load_b128 v[170:173], off, off offset:784
	v_fmac_f64_e32 v[204:205], v[6:7], v[178:179]
	v_add_f64_e32 v[30:31], v[30:31], v[200:201]
	v_add_f64_e32 v[196:197], v[202:203], v[206:207]
	v_fma_f64 v[206:207], v[4:5], v[178:179], -v[180:181]
	ds_load_b128 v[4:7], v2 offset:1648
	s_wait_loadcnt_dscnt 0xa01
	v_mul_f64_e32 v[200:201], v[166:167], v[192:193]
	v_mul_f64_e32 v[202:203], v[168:169], v[192:193]
	scratch_load_b128 v[178:181], off, off offset:800
	v_add_f64_e32 v[30:31], v[30:31], v[194:195]
	v_add_f64_e32 v[196:197], v[196:197], v[198:199]
	s_wait_loadcnt_dscnt 0xa00
	v_mul_f64_e32 v[208:209], v[4:5], v[176:177]
	v_mul_f64_e32 v[176:177], v[6:7], v[176:177]
	v_fmac_f64_e32 v[200:201], v[168:169], v[190:191]
	v_fma_f64 v[190:191], v[166:167], v[190:191], -v[202:203]
	ds_load_b128 v[192:195], v2 offset:1664
	scratch_load_b128 v[166:169], off, off offset:816
	v_add_f64_e32 v[30:31], v[30:31], v[206:207]
	v_add_f64_e32 v[196:197], v[196:197], v[204:205]
	v_fmac_f64_e32 v[208:209], v[6:7], v[174:175]
	v_fma_f64 v[204:205], v[4:5], v[174:175], -v[176:177]
	ds_load_b128 v[4:7], v2 offset:1680
	s_wait_loadcnt_dscnt 0xa01
	v_mul_f64_e32 v[202:203], v[192:193], v[10:11]
	v_mul_f64_e32 v[10:11], v[194:195], v[10:11]
	scratch_load_b128 v[174:177], off, off offset:832
	v_add_f64_e32 v[30:31], v[30:31], v[190:191]
	v_add_f64_e32 v[190:191], v[196:197], v[200:201]
	s_wait_loadcnt_dscnt 0xa00
	v_mul_f64_e32 v[200:201], v[4:5], v[14:15]
	v_mul_f64_e32 v[14:15], v[6:7], v[14:15]
	ds_load_b128 v[196:199], v2 offset:1696
	v_fmac_f64_e32 v[202:203], v[194:195], v[8:9]
	v_fma_f64 v[192:193], v[192:193], v[8:9], -v[10:11]
	scratch_load_b128 v[8:11], off, off offset:848
	v_add_f64_e32 v[30:31], v[30:31], v[204:205]
	v_add_f64_e32 v[190:191], v[190:191], v[208:209]
	v_fmac_f64_e32 v[200:201], v[6:7], v[12:13]
	v_fma_f64 v[204:205], v[4:5], v[12:13], -v[14:15]
	ds_load_b128 v[4:7], v2 offset:1712
	s_wait_loadcnt_dscnt 0xa01
	v_mul_f64_e32 v[194:195], v[196:197], v[18:19]
	v_mul_f64_e32 v[18:19], v[198:199], v[18:19]
	scratch_load_b128 v[12:15], off, off offset:864
	s_wait_loadcnt_dscnt 0xa00
	v_mul_f64_e32 v[206:207], v[4:5], v[24:25]
	v_mul_f64_e32 v[24:25], v[6:7], v[24:25]
	v_add_f64_e32 v[30:31], v[30:31], v[192:193]
	v_add_f64_e32 v[202:203], v[190:191], v[202:203]
	ds_load_b128 v[190:193], v2 offset:1728
	v_fmac_f64_e32 v[194:195], v[198:199], v[16:17]
	v_fma_f64 v[196:197], v[196:197], v[16:17], -v[18:19]
	scratch_load_b128 v[16:19], off, off offset:880
	v_fmac_f64_e32 v[206:207], v[6:7], v[22:23]
	v_add_f64_e32 v[30:31], v[30:31], v[204:205]
	v_add_f64_e32 v[198:199], v[202:203], v[200:201]
	v_fma_f64 v[202:203], v[4:5], v[22:23], -v[24:25]
	ds_load_b128 v[4:7], v2 offset:1744
	s_wait_loadcnt_dscnt 0xa01
	v_mul_f64_e32 v[200:201], v[190:191], v[188:189]
	v_mul_f64_e32 v[188:189], v[192:193], v[188:189]
	scratch_load_b128 v[22:25], off, off offset:896
	s_wait_loadcnt_dscnt 0xa00
	v_mul_f64_e32 v[204:205], v[4:5], v[160:161]
	v_mul_f64_e32 v[160:161], v[6:7], v[160:161]
	v_add_f64_e32 v[30:31], v[30:31], v[196:197]
	v_add_f64_e32 v[198:199], v[198:199], v[194:195]
	ds_load_b128 v[194:197], v2 offset:1760
	v_fmac_f64_e32 v[200:201], v[192:193], v[186:187]
	v_fma_f64 v[190:191], v[190:191], v[186:187], -v[188:189]
	scratch_load_b128 v[186:189], off, off offset:912
	v_fmac_f64_e32 v[204:205], v[6:7], v[158:159]
	v_add_f64_e32 v[30:31], v[30:31], v[202:203]
	v_add_f64_e32 v[192:193], v[198:199], v[206:207]
	v_fma_f64 v[206:207], v[4:5], v[158:159], -v[160:161]
	ds_load_b128 v[4:7], v2 offset:1776
	s_wait_loadcnt_dscnt 0xa01
	v_mul_f64_e32 v[198:199], v[194:195], v[28:29]
	v_mul_f64_e32 v[202:203], v[196:197], v[28:29]
	ds_load_b128 v[158:161], v2 offset:1792
	v_add_f64_e32 v[190:191], v[30:31], v[190:191]
	v_add_f64_e32 v[192:193], v[192:193], v[200:201]
	scratch_load_b128 v[28:31], off, off offset:928
	s_wait_loadcnt_dscnt 0xa01
	v_mul_f64_e32 v[200:201], v[4:5], v[164:165]
	v_mul_f64_e32 v[164:165], v[6:7], v[164:165]
	v_fmac_f64_e32 v[198:199], v[196:197], v[26:27]
	v_fma_f64 v[26:27], v[194:195], v[26:27], -v[202:203]
	v_add_f64_e32 v[194:195], v[190:191], v[206:207]
	v_add_f64_e32 v[196:197], v[192:193], v[204:205]
	scratch_load_b128 v[190:193], off, off offset:944
	v_fmac_f64_e32 v[200:201], v[6:7], v[162:163]
	v_fma_f64 v[204:205], v[4:5], v[162:163], -v[164:165]
	ds_load_b128 v[4:7], v2 offset:1808
	s_wait_loadcnt_dscnt 0xa01
	v_mul_f64_e32 v[202:203], v[158:159], v[172:173]
	v_mul_f64_e32 v[172:173], v[160:161], v[172:173]
	scratch_load_b128 v[162:165], off, off offset:960
	s_wait_loadcnt_dscnt 0xa00
	v_mul_f64_e32 v[206:207], v[4:5], v[180:181]
	v_mul_f64_e32 v[180:181], v[6:7], v[180:181]
	v_add_f64_e32 v[26:27], v[194:195], v[26:27]
	v_add_f64_e32 v[198:199], v[196:197], v[198:199]
	ds_load_b128 v[194:197], v2 offset:1824
	v_fmac_f64_e32 v[202:203], v[160:161], v[170:171]
	v_fma_f64 v[170:171], v[158:159], v[170:171], -v[172:173]
	scratch_load_b128 v[158:161], off, off offset:976
	v_fmac_f64_e32 v[206:207], v[6:7], v[178:179]
	v_add_f64_e32 v[26:27], v[26:27], v[204:205]
	v_add_f64_e32 v[172:173], v[198:199], v[200:201]
	v_fma_f64 v[204:205], v[4:5], v[178:179], -v[180:181]
	ds_load_b128 v[4:7], v2 offset:1840
	s_wait_loadcnt_dscnt 0xa01
	v_mul_f64_e32 v[198:199], v[194:195], v[168:169]
	v_mul_f64_e32 v[200:201], v[196:197], v[168:169]
	ds_load_b128 v[178:181], v2 offset:1856
	v_add_f64_e32 v[26:27], v[26:27], v[170:171]
	v_add_f64_e32 v[172:173], v[172:173], v[202:203]
	scratch_load_b128 v[168:171], off, off offset:992
	s_wait_loadcnt_dscnt 0xa01
	v_mul_f64_e32 v[202:203], v[4:5], v[176:177]
	v_mul_f64_e32 v[176:177], v[6:7], v[176:177]
	v_fmac_f64_e32 v[198:199], v[196:197], v[166:167]
	v_fma_f64 v[166:167], v[194:195], v[166:167], -v[200:201]
	s_wait_loadcnt_dscnt 0x900
	v_mul_f64_e32 v[194:195], v[178:179], v[10:11]
	v_mul_f64_e32 v[10:11], v[180:181], v[10:11]
	v_add_f64_e32 v[26:27], v[26:27], v[204:205]
	v_add_f64_e32 v[172:173], v[172:173], v[206:207]
	v_fmac_f64_e32 v[202:203], v[6:7], v[174:175]
	v_fma_f64 v[176:177], v[4:5], v[174:175], -v[176:177]
	v_fmac_f64_e32 v[194:195], v[180:181], v[8:9]
	v_fma_f64 v[8:9], v[178:179], v[8:9], -v[10:11]
	v_add_f64_e32 v[26:27], v[26:27], v[166:167]
	v_add_f64_e32 v[166:167], v[172:173], v[198:199]
	ds_load_b128 v[4:7], v2 offset:1872
	ds_load_b128 v[172:175], v2 offset:1888
	s_wait_loadcnt_dscnt 0x801
	v_mul_f64_e32 v[196:197], v[4:5], v[14:15]
	v_mul_f64_e32 v[14:15], v[6:7], v[14:15]
	v_add_f64_e32 v[10:11], v[26:27], v[176:177]
	v_add_f64_e32 v[26:27], v[166:167], v[202:203]
	s_wait_loadcnt_dscnt 0x700
	v_mul_f64_e32 v[166:167], v[172:173], v[18:19]
	v_mul_f64_e32 v[18:19], v[174:175], v[18:19]
	v_fmac_f64_e32 v[196:197], v[6:7], v[12:13]
	v_fma_f64 v[12:13], v[4:5], v[12:13], -v[14:15]
	v_add_f64_e32 v[14:15], v[10:11], v[8:9]
	v_add_f64_e32 v[26:27], v[26:27], v[194:195]
	ds_load_b128 v[4:7], v2 offset:1904
	ds_load_b128 v[8:11], v2 offset:1920
	v_fmac_f64_e32 v[166:167], v[174:175], v[16:17]
	v_fma_f64 v[16:17], v[172:173], v[16:17], -v[18:19]
	s_wait_loadcnt_dscnt 0x601
	v_mul_f64_e32 v[176:177], v[4:5], v[24:25]
	v_mul_f64_e32 v[24:25], v[6:7], v[24:25]
	s_wait_loadcnt_dscnt 0x500
	v_mul_f64_e32 v[18:19], v[8:9], v[188:189]
	v_add_f64_e32 v[12:13], v[14:15], v[12:13]
	v_add_f64_e32 v[14:15], v[26:27], v[196:197]
	v_mul_f64_e32 v[26:27], v[10:11], v[188:189]
	v_fmac_f64_e32 v[176:177], v[6:7], v[22:23]
	v_fma_f64 v[22:23], v[4:5], v[22:23], -v[24:25]
	v_fmac_f64_e32 v[18:19], v[10:11], v[186:187]
	v_add_f64_e32 v[16:17], v[12:13], v[16:17]
	v_add_f64_e32 v[24:25], v[14:15], v[166:167]
	ds_load_b128 v[4:7], v2 offset:1936
	ds_load_b128 v[12:15], v2 offset:1952
	v_fma_f64 v[8:9], v[8:9], v[186:187], -v[26:27]
	s_wait_loadcnt_dscnt 0x401
	v_mul_f64_e32 v[166:167], v[4:5], v[30:31]
	v_mul_f64_e32 v[30:31], v[6:7], v[30:31]
	v_add_f64_e32 v[10:11], v[16:17], v[22:23]
	v_add_f64_e32 v[16:17], v[24:25], v[176:177]
	s_wait_loadcnt_dscnt 0x300
	v_mul_f64_e32 v[22:23], v[12:13], v[192:193]
	v_mul_f64_e32 v[24:25], v[14:15], v[192:193]
	v_fmac_f64_e32 v[166:167], v[6:7], v[28:29]
	v_fma_f64 v[26:27], v[4:5], v[28:29], -v[30:31]
	v_add_f64_e32 v[28:29], v[10:11], v[8:9]
	v_add_f64_e32 v[16:17], v[16:17], v[18:19]
	ds_load_b128 v[4:7], v2 offset:1968
	ds_load_b128 v[8:11], v2 offset:1984
	v_fmac_f64_e32 v[22:23], v[14:15], v[190:191]
	v_fma_f64 v[12:13], v[12:13], v[190:191], -v[24:25]
	s_wait_loadcnt_dscnt 0x201
	v_mul_f64_e32 v[18:19], v[4:5], v[164:165]
	v_mul_f64_e32 v[30:31], v[6:7], v[164:165]
	s_wait_loadcnt_dscnt 0x100
	v_mul_f64_e32 v[24:25], v[8:9], v[160:161]
	v_add_f64_e32 v[14:15], v[28:29], v[26:27]
	v_add_f64_e32 v[16:17], v[16:17], v[166:167]
	v_mul_f64_e32 v[26:27], v[10:11], v[160:161]
	v_fmac_f64_e32 v[18:19], v[6:7], v[162:163]
	v_fma_f64 v[28:29], v[4:5], v[162:163], -v[30:31]
	ds_load_b128 v[4:7], v2 offset:2000
	v_fmac_f64_e32 v[24:25], v[10:11], v[158:159]
	v_add_f64_e32 v[12:13], v[14:15], v[12:13]
	v_add_f64_e32 v[14:15], v[16:17], v[22:23]
	v_fma_f64 v[8:9], v[8:9], v[158:159], -v[26:27]
	s_wait_loadcnt_dscnt 0x0
	v_mul_f64_e32 v[16:17], v[4:5], v[170:171]
	v_mul_f64_e32 v[22:23], v[6:7], v[170:171]
	v_add_f64_e32 v[10:11], v[12:13], v[28:29]
	v_add_f64_e32 v[12:13], v[14:15], v[18:19]
	s_delay_alu instid0(VALU_DEP_4) | instskip(NEXT) | instid1(VALU_DEP_4)
	v_fmac_f64_e32 v[16:17], v[6:7], v[168:169]
	v_fma_f64 v[4:5], v[4:5], v[168:169], -v[22:23]
	s_delay_alu instid0(VALU_DEP_4) | instskip(NEXT) | instid1(VALU_DEP_4)
	v_add_f64_e32 v[6:7], v[10:11], v[8:9]
	v_add_f64_e32 v[8:9], v[12:13], v[24:25]
	s_delay_alu instid0(VALU_DEP_2) | instskip(NEXT) | instid1(VALU_DEP_2)
	v_add_f64_e32 v[4:5], v[6:7], v[4:5]
	v_add_f64_e32 v[6:7], v[8:9], v[16:17]
	s_delay_alu instid0(VALU_DEP_2) | instskip(NEXT) | instid1(VALU_DEP_2)
	v_add_f64_e64 v[4:5], v[182:183], -v[4:5]
	v_add_f64_e64 v[6:7], v[184:185], -v[6:7]
	scratch_store_b128 off, v[4:7], off offset:432
	s_wait_xcnt 0x0
	v_cmpx_lt_u32_e32 26, v1
	s_cbranch_execz .LBB126_351
; %bb.350:
	scratch_load_b128 v[6:9], off, s55
	v_dual_mov_b32 v3, v2 :: v_dual_mov_b32 v4, v2
	v_mov_b32_e32 v5, v2
	scratch_store_b128 off, v[2:5], off offset:416
	s_wait_loadcnt 0x0
	ds_store_b128 v20, v[6:9]
.LBB126_351:
	s_wait_xcnt 0x0
	s_or_b32 exec_lo, exec_lo, s2
	s_wait_storecnt_dscnt 0x0
	s_barrier_signal -1
	s_barrier_wait -1
	s_clause 0x9
	scratch_load_b128 v[4:7], off, off offset:432
	scratch_load_b128 v[8:11], off, off offset:448
	;; [unrolled: 1-line block ×10, first 2 shown]
	ds_load_b128 v[174:177], v2 offset:1440
	ds_load_b128 v[182:185], v2 offset:1456
	s_clause 0x2
	scratch_load_b128 v[178:181], off, off offset:592
	scratch_load_b128 v[186:189], off, off offset:416
	;; [unrolled: 1-line block ×3, first 2 shown]
	s_mov_b32 s2, exec_lo
	s_wait_loadcnt_dscnt 0xc01
	v_mul_f64_e32 v[30:31], v[176:177], v[6:7]
	v_mul_f64_e32 v[198:199], v[174:175], v[6:7]
	s_wait_loadcnt_dscnt 0xb00
	v_mul_f64_e32 v[200:201], v[182:183], v[10:11]
	v_mul_f64_e32 v[10:11], v[184:185], v[10:11]
	s_delay_alu instid0(VALU_DEP_4) | instskip(NEXT) | instid1(VALU_DEP_4)
	v_fma_f64 v[30:31], v[174:175], v[4:5], -v[30:31]
	v_fmac_f64_e32 v[198:199], v[176:177], v[4:5]
	ds_load_b128 v[4:7], v2 offset:1472
	ds_load_b128 v[174:177], v2 offset:1488
	scratch_load_b128 v[194:197], off, off offset:624
	v_fmac_f64_e32 v[200:201], v[184:185], v[8:9]
	v_fma_f64 v[182:183], v[182:183], v[8:9], -v[10:11]
	scratch_load_b128 v[8:11], off, off offset:640
	s_wait_loadcnt_dscnt 0xc01
	v_mul_f64_e32 v[202:203], v[4:5], v[14:15]
	v_mul_f64_e32 v[14:15], v[6:7], v[14:15]
	v_add_f64_e32 v[30:31], 0, v[30:31]
	v_add_f64_e32 v[184:185], 0, v[198:199]
	s_wait_loadcnt_dscnt 0xb00
	v_mul_f64_e32 v[198:199], v[174:175], v[18:19]
	v_mul_f64_e32 v[18:19], v[176:177], v[18:19]
	v_fmac_f64_e32 v[202:203], v[6:7], v[12:13]
	v_fma_f64 v[204:205], v[4:5], v[12:13], -v[14:15]
	ds_load_b128 v[4:7], v2 offset:1504
	ds_load_b128 v[12:15], v2 offset:1520
	v_add_f64_e32 v[30:31], v[30:31], v[182:183]
	v_add_f64_e32 v[200:201], v[184:185], v[200:201]
	scratch_load_b128 v[182:185], off, off offset:656
	v_fmac_f64_e32 v[198:199], v[176:177], v[16:17]
	v_fma_f64 v[174:175], v[174:175], v[16:17], -v[18:19]
	scratch_load_b128 v[16:19], off, off offset:672
	s_wait_loadcnt_dscnt 0xc01
	v_mul_f64_e32 v[206:207], v[4:5], v[24:25]
	v_mul_f64_e32 v[24:25], v[6:7], v[24:25]
	v_add_f64_e32 v[30:31], v[30:31], v[204:205]
	v_add_f64_e32 v[176:177], v[200:201], v[202:203]
	s_wait_loadcnt_dscnt 0xb00
	v_mul_f64_e32 v[200:201], v[12:13], v[28:29]
	v_mul_f64_e32 v[202:203], v[14:15], v[28:29]
	v_fmac_f64_e32 v[206:207], v[6:7], v[22:23]
	v_fma_f64 v[204:205], v[4:5], v[22:23], -v[24:25]
	ds_load_b128 v[4:7], v2 offset:1536
	ds_load_b128 v[22:25], v2 offset:1552
	v_add_f64_e32 v[174:175], v[30:31], v[174:175]
	v_add_f64_e32 v[176:177], v[176:177], v[198:199]
	scratch_load_b128 v[28:31], off, off offset:688
	s_wait_loadcnt_dscnt 0xb01
	v_mul_f64_e32 v[198:199], v[4:5], v[160:161]
	v_mul_f64_e32 v[160:161], v[6:7], v[160:161]
	v_fmac_f64_e32 v[200:201], v[14:15], v[26:27]
	v_fma_f64 v[26:27], v[12:13], v[26:27], -v[202:203]
	scratch_load_b128 v[12:15], off, off offset:704
	s_wait_loadcnt_dscnt 0xb00
	v_mul_f64_e32 v[202:203], v[22:23], v[164:165]
	v_mul_f64_e32 v[164:165], v[24:25], v[164:165]
	v_add_f64_e32 v[174:175], v[174:175], v[204:205]
	v_add_f64_e32 v[176:177], v[176:177], v[206:207]
	v_fmac_f64_e32 v[198:199], v[6:7], v[158:159]
	v_fma_f64 v[204:205], v[4:5], v[158:159], -v[160:161]
	ds_load_b128 v[4:7], v2 offset:1568
	ds_load_b128 v[158:161], v2 offset:1584
	v_fmac_f64_e32 v[202:203], v[24:25], v[162:163]
	v_fma_f64 v[162:163], v[22:23], v[162:163], -v[164:165]
	scratch_load_b128 v[22:25], off, off offset:736
	s_wait_loadcnt_dscnt 0xb01
	v_mul_f64_e32 v[206:207], v[4:5], v[168:169]
	v_mul_f64_e32 v[168:169], v[6:7], v[168:169]
	v_add_f64_e32 v[26:27], v[174:175], v[26:27]
	v_add_f64_e32 v[200:201], v[176:177], v[200:201]
	scratch_load_b128 v[174:177], off, off offset:720
	v_fmac_f64_e32 v[206:207], v[6:7], v[166:167]
	v_add_f64_e32 v[26:27], v[26:27], v[204:205]
	v_add_f64_e32 v[164:165], v[200:201], v[198:199]
	s_wait_loadcnt_dscnt 0xb00
	v_mul_f64_e32 v[198:199], v[158:159], v[172:173]
	v_mul_f64_e32 v[172:173], v[160:161], v[172:173]
	v_fma_f64 v[200:201], v[4:5], v[166:167], -v[168:169]
	v_add_f64_e32 v[26:27], v[26:27], v[162:163]
	v_add_f64_e32 v[202:203], v[164:165], v[202:203]
	ds_load_b128 v[4:7], v2 offset:1600
	ds_load_b128 v[162:165], v2 offset:1616
	scratch_load_b128 v[166:169], off, off offset:752
	v_fmac_f64_e32 v[198:199], v[160:161], v[170:171]
	v_fma_f64 v[170:171], v[158:159], v[170:171], -v[172:173]
	scratch_load_b128 v[158:161], off, off offset:768
	s_wait_loadcnt_dscnt 0xc01
	v_mul_f64_e32 v[204:205], v[4:5], v[180:181]
	v_mul_f64_e32 v[180:181], v[6:7], v[180:181]
	v_add_f64_e32 v[26:27], v[26:27], v[200:201]
	v_add_f64_e32 v[172:173], v[202:203], v[206:207]
	s_wait_loadcnt_dscnt 0xa00
	v_mul_f64_e32 v[200:201], v[162:163], v[192:193]
	v_mul_f64_e32 v[192:193], v[164:165], v[192:193]
	v_fmac_f64_e32 v[204:205], v[6:7], v[178:179]
	v_fma_f64 v[202:203], v[4:5], v[178:179], -v[180:181]
	v_add_f64_e32 v[26:27], v[26:27], v[170:171]
	v_add_f64_e32 v[198:199], v[172:173], v[198:199]
	ds_load_b128 v[4:7], v2 offset:1632
	ds_load_b128 v[170:173], v2 offset:1648
	scratch_load_b128 v[178:181], off, off offset:784
	v_fmac_f64_e32 v[200:201], v[164:165], v[190:191]
	v_fma_f64 v[190:191], v[162:163], v[190:191], -v[192:193]
	scratch_load_b128 v[162:165], off, off offset:800
	s_wait_loadcnt_dscnt 0xb01
	v_mul_f64_e32 v[206:207], v[4:5], v[196:197]
	v_mul_f64_e32 v[196:197], v[6:7], v[196:197]
	v_add_f64_e32 v[26:27], v[26:27], v[202:203]
	v_add_f64_e32 v[192:193], v[198:199], v[204:205]
	s_wait_loadcnt_dscnt 0xa00
	v_mul_f64_e32 v[198:199], v[170:171], v[10:11]
	v_mul_f64_e32 v[10:11], v[172:173], v[10:11]
	v_fmac_f64_e32 v[206:207], v[6:7], v[194:195]
	;; [unrolled: 18-line block ×4, first 2 shown]
	v_fma_f64 v[30:31], v[4:5], v[28:29], -v[30:31]
	v_add_f64_e32 v[202:203], v[26:27], v[190:191]
	v_add_f64_e32 v[200:201], v[192:193], v[200:201]
	ds_load_b128 v[4:7], v2 offset:1728
	ds_load_b128 v[26:29], v2 offset:1744
	scratch_load_b128 v[190:193], off, off offset:880
	v_fmac_f64_e32 v[198:199], v[172:173], v[12:13]
	v_fma_f64 v[170:171], v[170:171], v[12:13], -v[14:15]
	scratch_load_b128 v[12:15], off, off offset:896
	s_wait_loadcnt_dscnt 0xa01
	v_mul_f64_e32 v[204:205], v[4:5], v[176:177]
	v_mul_f64_e32 v[176:177], v[6:7], v[176:177]
	v_add_f64_e32 v[30:31], v[202:203], v[30:31]
	v_add_f64_e32 v[172:173], v[200:201], v[206:207]
	s_wait_dscnt 0x0
	v_mul_f64_e32 v[200:201], v[26:27], v[24:25]
	v_mul_f64_e32 v[24:25], v[28:29], v[24:25]
	v_fmac_f64_e32 v[204:205], v[6:7], v[174:175]
	v_fma_f64 v[202:203], v[4:5], v[174:175], -v[176:177]
	v_add_f64_e32 v[30:31], v[30:31], v[170:171]
	v_add_f64_e32 v[198:199], v[172:173], v[198:199]
	ds_load_b128 v[4:7], v2 offset:1760
	ds_load_b128 v[170:173], v2 offset:1776
	scratch_load_b128 v[174:177], off, off offset:912
	v_fmac_f64_e32 v[200:201], v[28:29], v[22:23]
	v_fma_f64 v[26:27], v[26:27], v[22:23], -v[24:25]
	scratch_load_b128 v[22:25], off, off offset:928
	s_wait_loadcnt_dscnt 0xb01
	v_mul_f64_e32 v[206:207], v[4:5], v[168:169]
	v_mul_f64_e32 v[168:169], v[6:7], v[168:169]
	v_add_f64_e32 v[28:29], v[30:31], v[202:203]
	v_add_f64_e32 v[30:31], v[198:199], v[204:205]
	s_wait_loadcnt_dscnt 0xa00
	v_mul_f64_e32 v[198:199], v[170:171], v[160:161]
	v_mul_f64_e32 v[160:161], v[172:173], v[160:161]
	v_fmac_f64_e32 v[206:207], v[6:7], v[166:167]
	v_fma_f64 v[202:203], v[4:5], v[166:167], -v[168:169]
	v_add_f64_e32 v[204:205], v[28:29], v[26:27]
	v_add_f64_e32 v[30:31], v[30:31], v[200:201]
	ds_load_b128 v[4:7], v2 offset:1792
	ds_load_b128 v[26:29], v2 offset:1808
	scratch_load_b128 v[166:169], off, off offset:944
	v_fmac_f64_e32 v[198:199], v[172:173], v[158:159]
	v_fma_f64 v[170:171], v[170:171], v[158:159], -v[160:161]
	scratch_load_b128 v[158:161], off, off offset:960
	s_wait_loadcnt_dscnt 0xb01
	v_mul_f64_e32 v[200:201], v[4:5], v[180:181]
	v_mul_f64_e32 v[180:181], v[6:7], v[180:181]
	v_add_f64_e32 v[172:173], v[204:205], v[202:203]
	v_add_f64_e32 v[30:31], v[30:31], v[206:207]
	s_wait_loadcnt_dscnt 0xa00
	;; [unrolled: 18-line block ×3, first 2 shown]
	v_mul_f64_e32 v[200:201], v[170:171], v[10:11]
	v_mul_f64_e32 v[10:11], v[172:173], v[10:11]
	v_fmac_f64_e32 v[198:199], v[6:7], v[194:195]
	v_fma_f64 v[194:195], v[4:5], v[194:195], -v[196:197]
	v_add_f64_e32 v[196:197], v[164:165], v[162:163]
	v_add_f64_e32 v[30:31], v[30:31], v[202:203]
	ds_load_b128 v[4:7], v2 offset:1856
	ds_load_b128 v[162:165], v2 offset:1872
	v_fmac_f64_e32 v[200:201], v[172:173], v[8:9]
	v_fma_f64 v[8:9], v[170:171], v[8:9], -v[10:11]
	s_wait_loadcnt_dscnt 0x901
	v_mul_f64_e32 v[202:203], v[4:5], v[184:185]
	v_mul_f64_e32 v[184:185], v[6:7], v[184:185]
	s_wait_loadcnt_dscnt 0x800
	v_mul_f64_e32 v[170:171], v[162:163], v[18:19]
	v_mul_f64_e32 v[18:19], v[164:165], v[18:19]
	v_add_f64_e32 v[10:11], v[196:197], v[194:195]
	v_add_f64_e32 v[30:31], v[30:31], v[198:199]
	v_fmac_f64_e32 v[202:203], v[6:7], v[182:183]
	v_fma_f64 v[172:173], v[4:5], v[182:183], -v[184:185]
	v_fmac_f64_e32 v[170:171], v[164:165], v[16:17]
	v_fma_f64 v[16:17], v[162:163], v[16:17], -v[18:19]
	v_add_f64_e32 v[182:183], v[10:11], v[8:9]
	v_add_f64_e32 v[30:31], v[30:31], v[200:201]
	ds_load_b128 v[4:7], v2 offset:1888
	ds_load_b128 v[8:11], v2 offset:1904
	s_wait_loadcnt_dscnt 0x701
	v_mul_f64_e32 v[184:185], v[4:5], v[192:193]
	v_mul_f64_e32 v[192:193], v[6:7], v[192:193]
	s_wait_loadcnt_dscnt 0x600
	v_mul_f64_e32 v[162:163], v[8:9], v[14:15]
	v_mul_f64_e32 v[164:165], v[10:11], v[14:15]
	v_add_f64_e32 v[18:19], v[182:183], v[172:173]
	v_add_f64_e32 v[30:31], v[30:31], v[202:203]
	v_fmac_f64_e32 v[184:185], v[6:7], v[190:191]
	v_fma_f64 v[172:173], v[4:5], v[190:191], -v[192:193]
	v_fmac_f64_e32 v[162:163], v[10:11], v[12:13]
	v_fma_f64 v[8:9], v[8:9], v[12:13], -v[164:165]
	v_add_f64_e32 v[18:19], v[18:19], v[16:17]
	v_add_f64_e32 v[30:31], v[30:31], v[170:171]
	ds_load_b128 v[4:7], v2 offset:1920
	ds_load_b128 v[14:17], v2 offset:1936
	s_wait_loadcnt_dscnt 0x501
	v_mul_f64_e32 v[170:171], v[4:5], v[176:177]
	v_mul_f64_e32 v[176:177], v[6:7], v[176:177]
	v_add_f64_e32 v[10:11], v[18:19], v[172:173]
	v_add_f64_e32 v[12:13], v[30:31], v[184:185]
	s_wait_loadcnt_dscnt 0x400
	v_mul_f64_e32 v[18:19], v[14:15], v[24:25]
	v_mul_f64_e32 v[24:25], v[16:17], v[24:25]
	v_fmac_f64_e32 v[170:171], v[6:7], v[174:175]
	v_fma_f64 v[30:31], v[4:5], v[174:175], -v[176:177]
	v_add_f64_e32 v[164:165], v[10:11], v[8:9]
	v_add_f64_e32 v[12:13], v[12:13], v[162:163]
	ds_load_b128 v[4:7], v2 offset:1952
	ds_load_b128 v[8:11], v2 offset:1968
	v_fmac_f64_e32 v[18:19], v[16:17], v[22:23]
	v_fma_f64 v[14:15], v[14:15], v[22:23], -v[24:25]
	s_wait_loadcnt_dscnt 0x301
	v_mul_f64_e32 v[162:163], v[4:5], v[168:169]
	v_mul_f64_e32 v[168:169], v[6:7], v[168:169]
	s_wait_loadcnt_dscnt 0x200
	v_mul_f64_e32 v[22:23], v[8:9], v[160:161]
	v_mul_f64_e32 v[24:25], v[10:11], v[160:161]
	v_add_f64_e32 v[16:17], v[164:165], v[30:31]
	v_add_f64_e32 v[12:13], v[12:13], v[170:171]
	v_fmac_f64_e32 v[162:163], v[6:7], v[166:167]
	v_fma_f64 v[30:31], v[4:5], v[166:167], -v[168:169]
	v_fmac_f64_e32 v[22:23], v[10:11], v[158:159]
	v_fma_f64 v[8:9], v[8:9], v[158:159], -v[24:25]
	v_add_f64_e32 v[16:17], v[16:17], v[14:15]
	v_add_f64_e32 v[18:19], v[12:13], v[18:19]
	ds_load_b128 v[4:7], v2 offset:1984
	ds_load_b128 v[12:15], v2 offset:2000
	s_wait_loadcnt_dscnt 0x101
	v_mul_f64_e32 v[2:3], v[4:5], v[180:181]
	v_mul_f64_e32 v[160:161], v[6:7], v[180:181]
	s_wait_loadcnt_dscnt 0x0
	v_mul_f64_e32 v[24:25], v[14:15], v[28:29]
	v_add_f64_e32 v[10:11], v[16:17], v[30:31]
	v_add_f64_e32 v[16:17], v[18:19], v[162:163]
	v_mul_f64_e32 v[18:19], v[12:13], v[28:29]
	v_fmac_f64_e32 v[2:3], v[6:7], v[178:179]
	v_fma_f64 v[4:5], v[4:5], v[178:179], -v[160:161]
	v_add_f64_e32 v[6:7], v[10:11], v[8:9]
	v_add_f64_e32 v[8:9], v[16:17], v[22:23]
	v_fmac_f64_e32 v[18:19], v[14:15], v[26:27]
	v_fma_f64 v[10:11], v[12:13], v[26:27], -v[24:25]
	s_delay_alu instid0(VALU_DEP_4) | instskip(NEXT) | instid1(VALU_DEP_4)
	v_add_f64_e32 v[4:5], v[6:7], v[4:5]
	v_add_f64_e32 v[2:3], v[8:9], v[2:3]
	s_delay_alu instid0(VALU_DEP_2) | instskip(NEXT) | instid1(VALU_DEP_2)
	v_add_f64_e32 v[4:5], v[4:5], v[10:11]
	v_add_f64_e32 v[6:7], v[2:3], v[18:19]
	s_delay_alu instid0(VALU_DEP_2) | instskip(NEXT) | instid1(VALU_DEP_2)
	v_add_f64_e64 v[2:3], v[186:187], -v[4:5]
	v_add_f64_e64 v[4:5], v[188:189], -v[6:7]
	scratch_store_b128 off, v[2:5], off offset:416
	s_wait_xcnt 0x0
	v_cmpx_lt_u32_e32 25, v1
	s_cbranch_execz .LBB126_353
; %bb.352:
	scratch_load_b128 v[2:5], off, s56
	v_mov_b32_e32 v6, 0
	s_delay_alu instid0(VALU_DEP_1)
	v_dual_mov_b32 v7, v6 :: v_dual_mov_b32 v8, v6
	v_mov_b32_e32 v9, v6
	scratch_store_b128 off, v[6:9], off offset:400
	s_wait_loadcnt 0x0
	ds_store_b128 v20, v[2:5]
.LBB126_353:
	s_wait_xcnt 0x0
	s_or_b32 exec_lo, exec_lo, s2
	s_wait_storecnt_dscnt 0x0
	s_barrier_signal -1
	s_barrier_wait -1
	s_clause 0x9
	scratch_load_b128 v[4:7], off, off offset:416
	scratch_load_b128 v[8:11], off, off offset:432
	;; [unrolled: 1-line block ×10, first 2 shown]
	v_mov_b32_e32 v2, 0
	s_mov_b32 s2, exec_lo
	ds_load_b128 v[174:177], v2 offset:1424
	s_clause 0x2
	scratch_load_b128 v[178:181], off, off offset:576
	scratch_load_b128 v[182:185], off, off offset:400
	;; [unrolled: 1-line block ×3, first 2 shown]
	s_wait_loadcnt_dscnt 0xc00
	v_mul_f64_e32 v[30:31], v[176:177], v[6:7]
	v_mul_f64_e32 v[198:199], v[174:175], v[6:7]
	ds_load_b128 v[186:189], v2 offset:1440
	ds_load_b128 v[194:197], v2 offset:1472
	v_fma_f64 v[30:31], v[174:175], v[4:5], -v[30:31]
	v_fmac_f64_e32 v[198:199], v[176:177], v[4:5]
	ds_load_b128 v[4:7], v2 offset:1456
	s_wait_loadcnt_dscnt 0xb02
	v_mul_f64_e32 v[200:201], v[186:187], v[10:11]
	v_mul_f64_e32 v[10:11], v[188:189], v[10:11]
	scratch_load_b128 v[174:177], off, off offset:608
	s_wait_loadcnt_dscnt 0xb00
	v_mul_f64_e32 v[202:203], v[4:5], v[14:15]
	v_mul_f64_e32 v[14:15], v[6:7], v[14:15]
	v_add_f64_e32 v[30:31], 0, v[30:31]
	v_fmac_f64_e32 v[200:201], v[188:189], v[8:9]
	v_fma_f64 v[186:187], v[186:187], v[8:9], -v[10:11]
	v_add_f64_e32 v[188:189], 0, v[198:199]
	scratch_load_b128 v[8:11], off, off offset:624
	v_fmac_f64_e32 v[202:203], v[6:7], v[12:13]
	v_fma_f64 v[204:205], v[4:5], v[12:13], -v[14:15]
	ds_load_b128 v[4:7], v2 offset:1488
	s_wait_loadcnt 0xb
	v_mul_f64_e32 v[198:199], v[194:195], v[18:19]
	v_mul_f64_e32 v[18:19], v[196:197], v[18:19]
	scratch_load_b128 v[12:15], off, off offset:640
	v_add_f64_e32 v[30:31], v[30:31], v[186:187]
	v_add_f64_e32 v[200:201], v[188:189], v[200:201]
	ds_load_b128 v[186:189], v2 offset:1504
	s_wait_loadcnt_dscnt 0xb01
	v_mul_f64_e32 v[206:207], v[4:5], v[24:25]
	v_mul_f64_e32 v[24:25], v[6:7], v[24:25]
	v_fmac_f64_e32 v[198:199], v[196:197], v[16:17]
	v_fma_f64 v[194:195], v[194:195], v[16:17], -v[18:19]
	scratch_load_b128 v[16:19], off, off offset:656
	v_add_f64_e32 v[30:31], v[30:31], v[204:205]
	v_add_f64_e32 v[196:197], v[200:201], v[202:203]
	v_fmac_f64_e32 v[206:207], v[6:7], v[22:23]
	v_fma_f64 v[204:205], v[4:5], v[22:23], -v[24:25]
	ds_load_b128 v[4:7], v2 offset:1520
	s_wait_loadcnt_dscnt 0xb01
	v_mul_f64_e32 v[200:201], v[186:187], v[28:29]
	v_mul_f64_e32 v[202:203], v[188:189], v[28:29]
	scratch_load_b128 v[22:25], off, off offset:672
	v_add_f64_e32 v[194:195], v[30:31], v[194:195]
	v_add_f64_e32 v[196:197], v[196:197], v[198:199]
	s_wait_loadcnt_dscnt 0xb00
	v_mul_f64_e32 v[198:199], v[4:5], v[160:161]
	v_mul_f64_e32 v[160:161], v[6:7], v[160:161]
	ds_load_b128 v[28:31], v2 offset:1536
	v_fmac_f64_e32 v[200:201], v[188:189], v[26:27]
	v_fma_f64 v[26:27], v[186:187], v[26:27], -v[202:203]
	scratch_load_b128 v[186:189], off, off offset:688
	v_add_f64_e32 v[194:195], v[194:195], v[204:205]
	v_add_f64_e32 v[196:197], v[196:197], v[206:207]
	v_fmac_f64_e32 v[198:199], v[6:7], v[158:159]
	v_fma_f64 v[204:205], v[4:5], v[158:159], -v[160:161]
	ds_load_b128 v[4:7], v2 offset:1552
	s_wait_loadcnt_dscnt 0xb01
	v_mul_f64_e32 v[202:203], v[28:29], v[164:165]
	v_mul_f64_e32 v[164:165], v[30:31], v[164:165]
	scratch_load_b128 v[158:161], off, off offset:704
	s_wait_loadcnt_dscnt 0xb00
	v_mul_f64_e32 v[206:207], v[4:5], v[168:169]
	v_mul_f64_e32 v[168:169], v[6:7], v[168:169]
	v_add_f64_e32 v[26:27], v[194:195], v[26:27]
	v_add_f64_e32 v[200:201], v[196:197], v[200:201]
	ds_load_b128 v[194:197], v2 offset:1568
	v_fmac_f64_e32 v[202:203], v[30:31], v[162:163]
	v_fma_f64 v[30:31], v[28:29], v[162:163], -v[164:165]
	v_fmac_f64_e32 v[206:207], v[6:7], v[166:167]
	v_add_f64_e32 v[162:163], v[26:27], v[204:205]
	v_add_f64_e32 v[164:165], v[200:201], v[198:199]
	scratch_load_b128 v[26:29], off, off offset:720
	v_fma_f64 v[200:201], v[4:5], v[166:167], -v[168:169]
	ds_load_b128 v[4:7], v2 offset:1584
	s_wait_loadcnt_dscnt 0xb01
	v_mul_f64_e32 v[198:199], v[194:195], v[172:173]
	v_mul_f64_e32 v[172:173], v[196:197], v[172:173]
	ds_load_b128 v[166:169], v2 offset:1600
	s_wait_loadcnt_dscnt 0xa01
	v_mul_f64_e32 v[204:205], v[4:5], v[180:181]
	v_mul_f64_e32 v[180:181], v[6:7], v[180:181]
	v_add_f64_e32 v[30:31], v[162:163], v[30:31]
	v_add_f64_e32 v[202:203], v[164:165], v[202:203]
	scratch_load_b128 v[162:165], off, off offset:736
	v_fmac_f64_e32 v[198:199], v[196:197], v[170:171]
	v_fma_f64 v[194:195], v[194:195], v[170:171], -v[172:173]
	scratch_load_b128 v[170:173], off, off offset:752
	v_fmac_f64_e32 v[204:205], v[6:7], v[178:179]
	v_add_f64_e32 v[30:31], v[30:31], v[200:201]
	v_add_f64_e32 v[196:197], v[202:203], v[206:207]
	v_fma_f64 v[206:207], v[4:5], v[178:179], -v[180:181]
	ds_load_b128 v[4:7], v2 offset:1616
	s_wait_loadcnt_dscnt 0xa01
	v_mul_f64_e32 v[200:201], v[166:167], v[192:193]
	v_mul_f64_e32 v[202:203], v[168:169], v[192:193]
	scratch_load_b128 v[178:181], off, off offset:768
	v_add_f64_e32 v[30:31], v[30:31], v[194:195]
	v_add_f64_e32 v[196:197], v[196:197], v[198:199]
	s_wait_loadcnt_dscnt 0xa00
	v_mul_f64_e32 v[208:209], v[4:5], v[176:177]
	v_mul_f64_e32 v[176:177], v[6:7], v[176:177]
	v_fmac_f64_e32 v[200:201], v[168:169], v[190:191]
	v_fma_f64 v[190:191], v[166:167], v[190:191], -v[202:203]
	ds_load_b128 v[192:195], v2 offset:1632
	scratch_load_b128 v[166:169], off, off offset:784
	v_add_f64_e32 v[30:31], v[30:31], v[206:207]
	v_add_f64_e32 v[196:197], v[196:197], v[204:205]
	v_fmac_f64_e32 v[208:209], v[6:7], v[174:175]
	v_fma_f64 v[204:205], v[4:5], v[174:175], -v[176:177]
	ds_load_b128 v[4:7], v2 offset:1648
	s_wait_loadcnt_dscnt 0xa01
	v_mul_f64_e32 v[202:203], v[192:193], v[10:11]
	v_mul_f64_e32 v[10:11], v[194:195], v[10:11]
	scratch_load_b128 v[174:177], off, off offset:800
	v_add_f64_e32 v[30:31], v[30:31], v[190:191]
	v_add_f64_e32 v[190:191], v[196:197], v[200:201]
	s_wait_loadcnt_dscnt 0xa00
	v_mul_f64_e32 v[200:201], v[4:5], v[14:15]
	v_mul_f64_e32 v[14:15], v[6:7], v[14:15]
	ds_load_b128 v[196:199], v2 offset:1664
	v_fmac_f64_e32 v[202:203], v[194:195], v[8:9]
	v_fma_f64 v[192:193], v[192:193], v[8:9], -v[10:11]
	scratch_load_b128 v[8:11], off, off offset:816
	v_add_f64_e32 v[30:31], v[30:31], v[204:205]
	v_add_f64_e32 v[190:191], v[190:191], v[208:209]
	v_fmac_f64_e32 v[200:201], v[6:7], v[12:13]
	v_fma_f64 v[204:205], v[4:5], v[12:13], -v[14:15]
	ds_load_b128 v[4:7], v2 offset:1680
	s_wait_loadcnt_dscnt 0xa01
	v_mul_f64_e32 v[194:195], v[196:197], v[18:19]
	v_mul_f64_e32 v[18:19], v[198:199], v[18:19]
	scratch_load_b128 v[12:15], off, off offset:832
	s_wait_loadcnt_dscnt 0xa00
	v_mul_f64_e32 v[206:207], v[4:5], v[24:25]
	v_mul_f64_e32 v[24:25], v[6:7], v[24:25]
	v_add_f64_e32 v[30:31], v[30:31], v[192:193]
	v_add_f64_e32 v[202:203], v[190:191], v[202:203]
	ds_load_b128 v[190:193], v2 offset:1696
	v_fmac_f64_e32 v[194:195], v[198:199], v[16:17]
	v_fma_f64 v[196:197], v[196:197], v[16:17], -v[18:19]
	scratch_load_b128 v[16:19], off, off offset:848
	v_fmac_f64_e32 v[206:207], v[6:7], v[22:23]
	v_add_f64_e32 v[30:31], v[30:31], v[204:205]
	v_add_f64_e32 v[198:199], v[202:203], v[200:201]
	v_fma_f64 v[202:203], v[4:5], v[22:23], -v[24:25]
	ds_load_b128 v[4:7], v2 offset:1712
	s_wait_loadcnt_dscnt 0xa01
	v_mul_f64_e32 v[200:201], v[190:191], v[188:189]
	v_mul_f64_e32 v[188:189], v[192:193], v[188:189]
	scratch_load_b128 v[22:25], off, off offset:864
	s_wait_loadcnt_dscnt 0xa00
	v_mul_f64_e32 v[204:205], v[4:5], v[160:161]
	v_mul_f64_e32 v[160:161], v[6:7], v[160:161]
	v_add_f64_e32 v[30:31], v[30:31], v[196:197]
	v_add_f64_e32 v[198:199], v[198:199], v[194:195]
	ds_load_b128 v[194:197], v2 offset:1728
	v_fmac_f64_e32 v[200:201], v[192:193], v[186:187]
	v_fma_f64 v[190:191], v[190:191], v[186:187], -v[188:189]
	scratch_load_b128 v[186:189], off, off offset:880
	v_fmac_f64_e32 v[204:205], v[6:7], v[158:159]
	v_add_f64_e32 v[30:31], v[30:31], v[202:203]
	v_add_f64_e32 v[192:193], v[198:199], v[206:207]
	v_fma_f64 v[206:207], v[4:5], v[158:159], -v[160:161]
	ds_load_b128 v[4:7], v2 offset:1744
	s_wait_loadcnt_dscnt 0xa01
	v_mul_f64_e32 v[198:199], v[194:195], v[28:29]
	v_mul_f64_e32 v[202:203], v[196:197], v[28:29]
	ds_load_b128 v[158:161], v2 offset:1760
	v_add_f64_e32 v[190:191], v[30:31], v[190:191]
	v_add_f64_e32 v[192:193], v[192:193], v[200:201]
	scratch_load_b128 v[28:31], off, off offset:896
	s_wait_loadcnt_dscnt 0xa01
	v_mul_f64_e32 v[200:201], v[4:5], v[164:165]
	v_mul_f64_e32 v[164:165], v[6:7], v[164:165]
	v_fmac_f64_e32 v[198:199], v[196:197], v[26:27]
	v_fma_f64 v[26:27], v[194:195], v[26:27], -v[202:203]
	v_add_f64_e32 v[194:195], v[190:191], v[206:207]
	v_add_f64_e32 v[196:197], v[192:193], v[204:205]
	scratch_load_b128 v[190:193], off, off offset:912
	v_fmac_f64_e32 v[200:201], v[6:7], v[162:163]
	v_fma_f64 v[204:205], v[4:5], v[162:163], -v[164:165]
	ds_load_b128 v[4:7], v2 offset:1776
	s_wait_loadcnt_dscnt 0xa01
	v_mul_f64_e32 v[202:203], v[158:159], v[172:173]
	v_mul_f64_e32 v[172:173], v[160:161], v[172:173]
	scratch_load_b128 v[162:165], off, off offset:928
	s_wait_loadcnt_dscnt 0xa00
	v_mul_f64_e32 v[206:207], v[4:5], v[180:181]
	v_mul_f64_e32 v[180:181], v[6:7], v[180:181]
	v_add_f64_e32 v[26:27], v[194:195], v[26:27]
	v_add_f64_e32 v[198:199], v[196:197], v[198:199]
	ds_load_b128 v[194:197], v2 offset:1792
	v_fmac_f64_e32 v[202:203], v[160:161], v[170:171]
	v_fma_f64 v[170:171], v[158:159], v[170:171], -v[172:173]
	scratch_load_b128 v[158:161], off, off offset:944
	v_fmac_f64_e32 v[206:207], v[6:7], v[178:179]
	v_add_f64_e32 v[26:27], v[26:27], v[204:205]
	v_add_f64_e32 v[172:173], v[198:199], v[200:201]
	v_fma_f64 v[204:205], v[4:5], v[178:179], -v[180:181]
	ds_load_b128 v[4:7], v2 offset:1808
	s_wait_loadcnt_dscnt 0xa01
	v_mul_f64_e32 v[198:199], v[194:195], v[168:169]
	v_mul_f64_e32 v[200:201], v[196:197], v[168:169]
	ds_load_b128 v[178:181], v2 offset:1824
	v_add_f64_e32 v[26:27], v[26:27], v[170:171]
	v_add_f64_e32 v[172:173], v[172:173], v[202:203]
	scratch_load_b128 v[168:171], off, off offset:960
	s_wait_loadcnt_dscnt 0xa01
	v_mul_f64_e32 v[202:203], v[4:5], v[176:177]
	v_mul_f64_e32 v[176:177], v[6:7], v[176:177]
	v_fmac_f64_e32 v[198:199], v[196:197], v[166:167]
	v_fma_f64 v[166:167], v[194:195], v[166:167], -v[200:201]
	scratch_load_b128 v[194:197], off, off offset:976
	v_add_f64_e32 v[26:27], v[26:27], v[204:205]
	v_add_f64_e32 v[172:173], v[172:173], v[206:207]
	v_fmac_f64_e32 v[202:203], v[6:7], v[174:175]
	v_fma_f64 v[176:177], v[4:5], v[174:175], -v[176:177]
	ds_load_b128 v[4:7], v2 offset:1840
	s_wait_loadcnt_dscnt 0xa01
	v_mul_f64_e32 v[204:205], v[178:179], v[10:11]
	v_mul_f64_e32 v[10:11], v[180:181], v[10:11]
	s_wait_loadcnt_dscnt 0x900
	v_mul_f64_e32 v[206:207], v[4:5], v[14:15]
	v_mul_f64_e32 v[14:15], v[6:7], v[14:15]
	v_add_f64_e32 v[26:27], v[26:27], v[166:167]
	v_add_f64_e32 v[166:167], v[172:173], v[198:199]
	scratch_load_b128 v[172:175], off, off offset:992
	ds_load_b128 v[198:201], v2 offset:1856
	v_fmac_f64_e32 v[204:205], v[180:181], v[8:9]
	v_fma_f64 v[8:9], v[178:179], v[8:9], -v[10:11]
	v_fmac_f64_e32 v[206:207], v[6:7], v[12:13]
	v_fma_f64 v[12:13], v[4:5], v[12:13], -v[14:15]
	v_add_f64_e32 v[10:11], v[26:27], v[176:177]
	v_add_f64_e32 v[26:27], v[166:167], v[202:203]
	s_wait_loadcnt_dscnt 0x900
	v_mul_f64_e32 v[166:167], v[198:199], v[18:19]
	v_mul_f64_e32 v[18:19], v[200:201], v[18:19]
	s_delay_alu instid0(VALU_DEP_4) | instskip(NEXT) | instid1(VALU_DEP_4)
	v_add_f64_e32 v[14:15], v[10:11], v[8:9]
	v_add_f64_e32 v[26:27], v[26:27], v[204:205]
	ds_load_b128 v[4:7], v2 offset:1872
	ds_load_b128 v[8:11], v2 offset:1888
	v_fmac_f64_e32 v[166:167], v[200:201], v[16:17]
	v_fma_f64 v[16:17], v[198:199], v[16:17], -v[18:19]
	s_wait_loadcnt_dscnt 0x801
	v_mul_f64_e32 v[176:177], v[4:5], v[24:25]
	v_mul_f64_e32 v[24:25], v[6:7], v[24:25]
	s_wait_loadcnt_dscnt 0x700
	v_mul_f64_e32 v[18:19], v[8:9], v[188:189]
	v_add_f64_e32 v[12:13], v[14:15], v[12:13]
	v_add_f64_e32 v[14:15], v[26:27], v[206:207]
	v_mul_f64_e32 v[26:27], v[10:11], v[188:189]
	v_fmac_f64_e32 v[176:177], v[6:7], v[22:23]
	v_fma_f64 v[22:23], v[4:5], v[22:23], -v[24:25]
	v_fmac_f64_e32 v[18:19], v[10:11], v[186:187]
	v_add_f64_e32 v[16:17], v[12:13], v[16:17]
	v_add_f64_e32 v[24:25], v[14:15], v[166:167]
	ds_load_b128 v[4:7], v2 offset:1904
	ds_load_b128 v[12:15], v2 offset:1920
	v_fma_f64 v[8:9], v[8:9], v[186:187], -v[26:27]
	s_wait_loadcnt_dscnt 0x601
	v_mul_f64_e32 v[166:167], v[4:5], v[30:31]
	v_mul_f64_e32 v[30:31], v[6:7], v[30:31]
	v_add_f64_e32 v[10:11], v[16:17], v[22:23]
	v_add_f64_e32 v[16:17], v[24:25], v[176:177]
	s_wait_loadcnt_dscnt 0x500
	v_mul_f64_e32 v[22:23], v[12:13], v[192:193]
	v_mul_f64_e32 v[24:25], v[14:15], v[192:193]
	v_fmac_f64_e32 v[166:167], v[6:7], v[28:29]
	v_fma_f64 v[26:27], v[4:5], v[28:29], -v[30:31]
	v_add_f64_e32 v[28:29], v[10:11], v[8:9]
	v_add_f64_e32 v[16:17], v[16:17], v[18:19]
	ds_load_b128 v[4:7], v2 offset:1936
	ds_load_b128 v[8:11], v2 offset:1952
	v_fmac_f64_e32 v[22:23], v[14:15], v[190:191]
	v_fma_f64 v[12:13], v[12:13], v[190:191], -v[24:25]
	s_wait_loadcnt_dscnt 0x401
	v_mul_f64_e32 v[18:19], v[4:5], v[164:165]
	v_mul_f64_e32 v[30:31], v[6:7], v[164:165]
	s_wait_loadcnt_dscnt 0x300
	v_mul_f64_e32 v[24:25], v[8:9], v[160:161]
	v_add_f64_e32 v[14:15], v[28:29], v[26:27]
	v_add_f64_e32 v[16:17], v[16:17], v[166:167]
	v_mul_f64_e32 v[26:27], v[10:11], v[160:161]
	v_fmac_f64_e32 v[18:19], v[6:7], v[162:163]
	v_fma_f64 v[28:29], v[4:5], v[162:163], -v[30:31]
	v_fmac_f64_e32 v[24:25], v[10:11], v[158:159]
	v_add_f64_e32 v[30:31], v[14:15], v[12:13]
	v_add_f64_e32 v[16:17], v[16:17], v[22:23]
	ds_load_b128 v[4:7], v2 offset:1968
	ds_load_b128 v[12:15], v2 offset:1984
	v_fma_f64 v[8:9], v[8:9], v[158:159], -v[26:27]
	s_wait_loadcnt_dscnt 0x201
	v_mul_f64_e32 v[22:23], v[4:5], v[170:171]
	v_mul_f64_e32 v[160:161], v[6:7], v[170:171]
	s_wait_loadcnt_dscnt 0x100
	v_mul_f64_e32 v[26:27], v[14:15], v[196:197]
	v_add_f64_e32 v[10:11], v[30:31], v[28:29]
	v_add_f64_e32 v[16:17], v[16:17], v[18:19]
	v_mul_f64_e32 v[18:19], v[12:13], v[196:197]
	v_fmac_f64_e32 v[22:23], v[6:7], v[168:169]
	v_fma_f64 v[28:29], v[4:5], v[168:169], -v[160:161]
	ds_load_b128 v[4:7], v2 offset:2000
	v_fma_f64 v[12:13], v[12:13], v[194:195], -v[26:27]
	v_add_f64_e32 v[8:9], v[10:11], v[8:9]
	v_add_f64_e32 v[10:11], v[16:17], v[24:25]
	v_fmac_f64_e32 v[18:19], v[14:15], v[194:195]
	s_wait_loadcnt_dscnt 0x0
	v_mul_f64_e32 v[16:17], v[4:5], v[174:175]
	v_mul_f64_e32 v[24:25], v[6:7], v[174:175]
	v_add_f64_e32 v[8:9], v[8:9], v[28:29]
	v_add_f64_e32 v[10:11], v[10:11], v[22:23]
	s_delay_alu instid0(VALU_DEP_4) | instskip(NEXT) | instid1(VALU_DEP_4)
	v_fmac_f64_e32 v[16:17], v[6:7], v[172:173]
	v_fma_f64 v[4:5], v[4:5], v[172:173], -v[24:25]
	s_delay_alu instid0(VALU_DEP_4) | instskip(NEXT) | instid1(VALU_DEP_4)
	v_add_f64_e32 v[6:7], v[8:9], v[12:13]
	v_add_f64_e32 v[8:9], v[10:11], v[18:19]
	s_delay_alu instid0(VALU_DEP_2) | instskip(NEXT) | instid1(VALU_DEP_2)
	v_add_f64_e32 v[4:5], v[6:7], v[4:5]
	v_add_f64_e32 v[6:7], v[8:9], v[16:17]
	s_delay_alu instid0(VALU_DEP_2) | instskip(NEXT) | instid1(VALU_DEP_2)
	v_add_f64_e64 v[4:5], v[182:183], -v[4:5]
	v_add_f64_e64 v[6:7], v[184:185], -v[6:7]
	scratch_store_b128 off, v[4:7], off offset:400
	s_wait_xcnt 0x0
	v_cmpx_lt_u32_e32 24, v1
	s_cbranch_execz .LBB126_355
; %bb.354:
	scratch_load_b128 v[6:9], off, s57
	v_dual_mov_b32 v3, v2 :: v_dual_mov_b32 v4, v2
	v_mov_b32_e32 v5, v2
	scratch_store_b128 off, v[2:5], off offset:384
	s_wait_loadcnt 0x0
	ds_store_b128 v20, v[6:9]
.LBB126_355:
	s_wait_xcnt 0x0
	s_or_b32 exec_lo, exec_lo, s2
	s_wait_storecnt_dscnt 0x0
	s_barrier_signal -1
	s_barrier_wait -1
	s_clause 0x9
	scratch_load_b128 v[4:7], off, off offset:400
	scratch_load_b128 v[8:11], off, off offset:416
	;; [unrolled: 1-line block ×10, first 2 shown]
	ds_load_b128 v[174:177], v2 offset:1408
	ds_load_b128 v[182:185], v2 offset:1424
	s_clause 0x2
	scratch_load_b128 v[178:181], off, off offset:560
	scratch_load_b128 v[186:189], off, off offset:384
	;; [unrolled: 1-line block ×3, first 2 shown]
	s_mov_b32 s2, exec_lo
	s_wait_loadcnt_dscnt 0xc01
	v_mul_f64_e32 v[30:31], v[176:177], v[6:7]
	v_mul_f64_e32 v[198:199], v[174:175], v[6:7]
	s_wait_loadcnt_dscnt 0xb00
	v_mul_f64_e32 v[200:201], v[182:183], v[10:11]
	v_mul_f64_e32 v[10:11], v[184:185], v[10:11]
	s_delay_alu instid0(VALU_DEP_4) | instskip(NEXT) | instid1(VALU_DEP_4)
	v_fma_f64 v[30:31], v[174:175], v[4:5], -v[30:31]
	v_fmac_f64_e32 v[198:199], v[176:177], v[4:5]
	ds_load_b128 v[4:7], v2 offset:1440
	ds_load_b128 v[174:177], v2 offset:1456
	scratch_load_b128 v[194:197], off, off offset:592
	v_fmac_f64_e32 v[200:201], v[184:185], v[8:9]
	v_fma_f64 v[182:183], v[182:183], v[8:9], -v[10:11]
	scratch_load_b128 v[8:11], off, off offset:608
	s_wait_loadcnt_dscnt 0xc01
	v_mul_f64_e32 v[202:203], v[4:5], v[14:15]
	v_mul_f64_e32 v[14:15], v[6:7], v[14:15]
	v_add_f64_e32 v[30:31], 0, v[30:31]
	v_add_f64_e32 v[184:185], 0, v[198:199]
	s_wait_loadcnt_dscnt 0xb00
	v_mul_f64_e32 v[198:199], v[174:175], v[18:19]
	v_mul_f64_e32 v[18:19], v[176:177], v[18:19]
	v_fmac_f64_e32 v[202:203], v[6:7], v[12:13]
	v_fma_f64 v[204:205], v[4:5], v[12:13], -v[14:15]
	ds_load_b128 v[4:7], v2 offset:1472
	ds_load_b128 v[12:15], v2 offset:1488
	v_add_f64_e32 v[30:31], v[30:31], v[182:183]
	v_add_f64_e32 v[200:201], v[184:185], v[200:201]
	scratch_load_b128 v[182:185], off, off offset:624
	v_fmac_f64_e32 v[198:199], v[176:177], v[16:17]
	v_fma_f64 v[174:175], v[174:175], v[16:17], -v[18:19]
	scratch_load_b128 v[16:19], off, off offset:640
	s_wait_loadcnt_dscnt 0xc01
	v_mul_f64_e32 v[206:207], v[4:5], v[24:25]
	v_mul_f64_e32 v[24:25], v[6:7], v[24:25]
	v_add_f64_e32 v[30:31], v[30:31], v[204:205]
	v_add_f64_e32 v[176:177], v[200:201], v[202:203]
	s_wait_loadcnt_dscnt 0xb00
	v_mul_f64_e32 v[200:201], v[12:13], v[28:29]
	v_mul_f64_e32 v[202:203], v[14:15], v[28:29]
	v_fmac_f64_e32 v[206:207], v[6:7], v[22:23]
	v_fma_f64 v[204:205], v[4:5], v[22:23], -v[24:25]
	ds_load_b128 v[4:7], v2 offset:1504
	ds_load_b128 v[22:25], v2 offset:1520
	v_add_f64_e32 v[174:175], v[30:31], v[174:175]
	v_add_f64_e32 v[176:177], v[176:177], v[198:199]
	scratch_load_b128 v[28:31], off, off offset:656
	s_wait_loadcnt_dscnt 0xb01
	v_mul_f64_e32 v[198:199], v[4:5], v[160:161]
	v_mul_f64_e32 v[160:161], v[6:7], v[160:161]
	v_fmac_f64_e32 v[200:201], v[14:15], v[26:27]
	v_fma_f64 v[26:27], v[12:13], v[26:27], -v[202:203]
	scratch_load_b128 v[12:15], off, off offset:672
	s_wait_loadcnt_dscnt 0xb00
	v_mul_f64_e32 v[202:203], v[22:23], v[164:165]
	v_mul_f64_e32 v[164:165], v[24:25], v[164:165]
	v_add_f64_e32 v[174:175], v[174:175], v[204:205]
	v_add_f64_e32 v[176:177], v[176:177], v[206:207]
	v_fmac_f64_e32 v[198:199], v[6:7], v[158:159]
	v_fma_f64 v[204:205], v[4:5], v[158:159], -v[160:161]
	ds_load_b128 v[4:7], v2 offset:1536
	ds_load_b128 v[158:161], v2 offset:1552
	v_fmac_f64_e32 v[202:203], v[24:25], v[162:163]
	v_fma_f64 v[162:163], v[22:23], v[162:163], -v[164:165]
	scratch_load_b128 v[22:25], off, off offset:704
	s_wait_loadcnt_dscnt 0xb01
	v_mul_f64_e32 v[206:207], v[4:5], v[168:169]
	v_mul_f64_e32 v[168:169], v[6:7], v[168:169]
	v_add_f64_e32 v[26:27], v[174:175], v[26:27]
	v_add_f64_e32 v[200:201], v[176:177], v[200:201]
	scratch_load_b128 v[174:177], off, off offset:688
	v_fmac_f64_e32 v[206:207], v[6:7], v[166:167]
	v_add_f64_e32 v[26:27], v[26:27], v[204:205]
	v_add_f64_e32 v[164:165], v[200:201], v[198:199]
	s_wait_loadcnt_dscnt 0xb00
	v_mul_f64_e32 v[198:199], v[158:159], v[172:173]
	v_mul_f64_e32 v[172:173], v[160:161], v[172:173]
	v_fma_f64 v[200:201], v[4:5], v[166:167], -v[168:169]
	v_add_f64_e32 v[26:27], v[26:27], v[162:163]
	v_add_f64_e32 v[202:203], v[164:165], v[202:203]
	ds_load_b128 v[4:7], v2 offset:1568
	ds_load_b128 v[162:165], v2 offset:1584
	scratch_load_b128 v[166:169], off, off offset:720
	v_fmac_f64_e32 v[198:199], v[160:161], v[170:171]
	v_fma_f64 v[170:171], v[158:159], v[170:171], -v[172:173]
	scratch_load_b128 v[158:161], off, off offset:736
	s_wait_loadcnt_dscnt 0xc01
	v_mul_f64_e32 v[204:205], v[4:5], v[180:181]
	v_mul_f64_e32 v[180:181], v[6:7], v[180:181]
	v_add_f64_e32 v[26:27], v[26:27], v[200:201]
	v_add_f64_e32 v[172:173], v[202:203], v[206:207]
	s_wait_loadcnt_dscnt 0xa00
	v_mul_f64_e32 v[200:201], v[162:163], v[192:193]
	v_mul_f64_e32 v[192:193], v[164:165], v[192:193]
	v_fmac_f64_e32 v[204:205], v[6:7], v[178:179]
	v_fma_f64 v[202:203], v[4:5], v[178:179], -v[180:181]
	v_add_f64_e32 v[26:27], v[26:27], v[170:171]
	v_add_f64_e32 v[198:199], v[172:173], v[198:199]
	ds_load_b128 v[4:7], v2 offset:1600
	ds_load_b128 v[170:173], v2 offset:1616
	scratch_load_b128 v[178:181], off, off offset:752
	v_fmac_f64_e32 v[200:201], v[164:165], v[190:191]
	v_fma_f64 v[190:191], v[162:163], v[190:191], -v[192:193]
	scratch_load_b128 v[162:165], off, off offset:768
	s_wait_loadcnt_dscnt 0xb01
	v_mul_f64_e32 v[206:207], v[4:5], v[196:197]
	v_mul_f64_e32 v[196:197], v[6:7], v[196:197]
	v_add_f64_e32 v[26:27], v[26:27], v[202:203]
	v_add_f64_e32 v[192:193], v[198:199], v[204:205]
	s_wait_loadcnt_dscnt 0xa00
	v_mul_f64_e32 v[198:199], v[170:171], v[10:11]
	v_mul_f64_e32 v[10:11], v[172:173], v[10:11]
	v_fmac_f64_e32 v[206:207], v[6:7], v[194:195]
	;; [unrolled: 18-line block ×4, first 2 shown]
	v_fma_f64 v[30:31], v[4:5], v[28:29], -v[30:31]
	v_add_f64_e32 v[202:203], v[26:27], v[190:191]
	v_add_f64_e32 v[200:201], v[192:193], v[200:201]
	ds_load_b128 v[4:7], v2 offset:1696
	ds_load_b128 v[26:29], v2 offset:1712
	scratch_load_b128 v[190:193], off, off offset:848
	v_fmac_f64_e32 v[198:199], v[172:173], v[12:13]
	v_fma_f64 v[170:171], v[170:171], v[12:13], -v[14:15]
	scratch_load_b128 v[12:15], off, off offset:864
	s_wait_loadcnt_dscnt 0xa01
	v_mul_f64_e32 v[204:205], v[4:5], v[176:177]
	v_mul_f64_e32 v[176:177], v[6:7], v[176:177]
	v_add_f64_e32 v[30:31], v[202:203], v[30:31]
	v_add_f64_e32 v[172:173], v[200:201], v[206:207]
	s_wait_dscnt 0x0
	v_mul_f64_e32 v[200:201], v[26:27], v[24:25]
	v_mul_f64_e32 v[24:25], v[28:29], v[24:25]
	v_fmac_f64_e32 v[204:205], v[6:7], v[174:175]
	v_fma_f64 v[202:203], v[4:5], v[174:175], -v[176:177]
	v_add_f64_e32 v[30:31], v[30:31], v[170:171]
	v_add_f64_e32 v[198:199], v[172:173], v[198:199]
	ds_load_b128 v[4:7], v2 offset:1728
	ds_load_b128 v[170:173], v2 offset:1744
	scratch_load_b128 v[174:177], off, off offset:880
	v_fmac_f64_e32 v[200:201], v[28:29], v[22:23]
	v_fma_f64 v[26:27], v[26:27], v[22:23], -v[24:25]
	scratch_load_b128 v[22:25], off, off offset:896
	s_wait_loadcnt_dscnt 0xb01
	v_mul_f64_e32 v[206:207], v[4:5], v[168:169]
	v_mul_f64_e32 v[168:169], v[6:7], v[168:169]
	v_add_f64_e32 v[28:29], v[30:31], v[202:203]
	v_add_f64_e32 v[30:31], v[198:199], v[204:205]
	s_wait_loadcnt_dscnt 0xa00
	v_mul_f64_e32 v[198:199], v[170:171], v[160:161]
	v_mul_f64_e32 v[160:161], v[172:173], v[160:161]
	v_fmac_f64_e32 v[206:207], v[6:7], v[166:167]
	v_fma_f64 v[202:203], v[4:5], v[166:167], -v[168:169]
	v_add_f64_e32 v[204:205], v[28:29], v[26:27]
	v_add_f64_e32 v[30:31], v[30:31], v[200:201]
	ds_load_b128 v[4:7], v2 offset:1760
	ds_load_b128 v[26:29], v2 offset:1776
	scratch_load_b128 v[166:169], off, off offset:912
	v_fmac_f64_e32 v[198:199], v[172:173], v[158:159]
	v_fma_f64 v[170:171], v[170:171], v[158:159], -v[160:161]
	scratch_load_b128 v[158:161], off, off offset:928
	s_wait_loadcnt_dscnt 0xb01
	v_mul_f64_e32 v[200:201], v[4:5], v[180:181]
	v_mul_f64_e32 v[180:181], v[6:7], v[180:181]
	v_add_f64_e32 v[172:173], v[204:205], v[202:203]
	v_add_f64_e32 v[30:31], v[30:31], v[206:207]
	s_wait_loadcnt_dscnt 0xa00
	;; [unrolled: 18-line block ×4, first 2 shown]
	v_mul_f64_e32 v[198:199], v[162:163], v[18:19]
	v_mul_f64_e32 v[18:19], v[164:165], v[18:19]
	v_fmac_f64_e32 v[202:203], v[6:7], v[182:183]
	v_fma_f64 v[182:183], v[4:5], v[182:183], -v[184:185]
	v_add_f64_e32 v[184:185], v[172:173], v[170:171]
	v_add_f64_e32 v[30:31], v[30:31], v[200:201]
	ds_load_b128 v[4:7], v2 offset:1856
	ds_load_b128 v[170:173], v2 offset:1872
	v_fmac_f64_e32 v[198:199], v[164:165], v[16:17]
	v_fma_f64 v[16:17], v[162:163], v[16:17], -v[18:19]
	s_wait_loadcnt_dscnt 0x901
	v_mul_f64_e32 v[200:201], v[4:5], v[192:193]
	v_mul_f64_e32 v[192:193], v[6:7], v[192:193]
	s_wait_loadcnt_dscnt 0x800
	v_mul_f64_e32 v[162:163], v[170:171], v[14:15]
	v_mul_f64_e32 v[164:165], v[172:173], v[14:15]
	v_add_f64_e32 v[18:19], v[184:185], v[182:183]
	v_add_f64_e32 v[30:31], v[30:31], v[202:203]
	v_fmac_f64_e32 v[200:201], v[6:7], v[190:191]
	v_fma_f64 v[182:183], v[4:5], v[190:191], -v[192:193]
	v_fmac_f64_e32 v[162:163], v[172:173], v[12:13]
	v_fma_f64 v[12:13], v[170:171], v[12:13], -v[164:165]
	v_add_f64_e32 v[18:19], v[18:19], v[16:17]
	v_add_f64_e32 v[30:31], v[30:31], v[198:199]
	ds_load_b128 v[4:7], v2 offset:1888
	ds_load_b128 v[14:17], v2 offset:1904
	s_wait_loadcnt_dscnt 0x701
	v_mul_f64_e32 v[184:185], v[4:5], v[176:177]
	v_mul_f64_e32 v[176:177], v[6:7], v[176:177]
	s_wait_loadcnt_dscnt 0x600
	v_mul_f64_e32 v[170:171], v[14:15], v[24:25]
	v_mul_f64_e32 v[24:25], v[16:17], v[24:25]
	v_add_f64_e32 v[18:19], v[18:19], v[182:183]
	v_add_f64_e32 v[30:31], v[30:31], v[200:201]
	v_fmac_f64_e32 v[184:185], v[6:7], v[174:175]
	v_fma_f64 v[172:173], v[4:5], v[174:175], -v[176:177]
	v_fmac_f64_e32 v[170:171], v[16:17], v[22:23]
	v_fma_f64 v[14:15], v[14:15], v[22:23], -v[24:25]
	v_add_f64_e32 v[12:13], v[18:19], v[12:13]
	v_add_f64_e32 v[18:19], v[30:31], v[162:163]
	ds_load_b128 v[4:7], v2 offset:1920
	ds_load_b128 v[162:165], v2 offset:1936
	s_wait_loadcnt_dscnt 0x501
	v_mul_f64_e32 v[30:31], v[4:5], v[168:169]
	v_mul_f64_e32 v[168:169], v[6:7], v[168:169]
	s_wait_loadcnt_dscnt 0x400
	v_mul_f64_e32 v[22:23], v[164:165], v[160:161]
	v_add_f64_e32 v[12:13], v[12:13], v[172:173]
	v_add_f64_e32 v[16:17], v[18:19], v[184:185]
	v_mul_f64_e32 v[18:19], v[162:163], v[160:161]
	v_fmac_f64_e32 v[30:31], v[6:7], v[166:167]
	v_fma_f64 v[24:25], v[4:5], v[166:167], -v[168:169]
	v_fma_f64 v[22:23], v[162:163], v[158:159], -v[22:23]
	v_add_f64_e32 v[160:161], v[12:13], v[14:15]
	v_add_f64_e32 v[16:17], v[16:17], v[170:171]
	ds_load_b128 v[4:7], v2 offset:1952
	ds_load_b128 v[12:15], v2 offset:1968
	v_fmac_f64_e32 v[18:19], v[164:165], v[158:159]
	s_wait_loadcnt_dscnt 0x301
	v_mul_f64_e32 v[166:167], v[4:5], v[180:181]
	v_mul_f64_e32 v[168:169], v[6:7], v[180:181]
	v_add_f64_e32 v[24:25], v[160:161], v[24:25]
	v_add_f64_e32 v[16:17], v[16:17], v[30:31]
	s_wait_loadcnt_dscnt 0x200
	v_mul_f64_e32 v[30:31], v[12:13], v[28:29]
	v_mul_f64_e32 v[28:29], v[14:15], v[28:29]
	v_fmac_f64_e32 v[166:167], v[6:7], v[178:179]
	v_fma_f64 v[158:159], v[4:5], v[178:179], -v[168:169]
	v_add_f64_e32 v[22:23], v[24:25], v[22:23]
	v_add_f64_e32 v[24:25], v[16:17], v[18:19]
	ds_load_b128 v[4:7], v2 offset:1984
	ds_load_b128 v[16:19], v2 offset:2000
	v_fmac_f64_e32 v[30:31], v[14:15], v[26:27]
	v_fma_f64 v[12:13], v[12:13], v[26:27], -v[28:29]
	s_wait_loadcnt_dscnt 0x101
	v_mul_f64_e32 v[2:3], v[4:5], v[196:197]
	v_mul_f64_e32 v[160:161], v[6:7], v[196:197]
	v_add_f64_e32 v[14:15], v[22:23], v[158:159]
	v_add_f64_e32 v[22:23], v[24:25], v[166:167]
	s_wait_loadcnt_dscnt 0x0
	v_mul_f64_e32 v[24:25], v[16:17], v[10:11]
	v_mul_f64_e32 v[10:11], v[18:19], v[10:11]
	v_fmac_f64_e32 v[2:3], v[6:7], v[194:195]
	v_fma_f64 v[4:5], v[4:5], v[194:195], -v[160:161]
	v_add_f64_e32 v[6:7], v[14:15], v[12:13]
	v_add_f64_e32 v[12:13], v[22:23], v[30:31]
	v_fmac_f64_e32 v[24:25], v[18:19], v[8:9]
	v_fma_f64 v[8:9], v[16:17], v[8:9], -v[10:11]
	s_delay_alu instid0(VALU_DEP_4) | instskip(NEXT) | instid1(VALU_DEP_4)
	v_add_f64_e32 v[4:5], v[6:7], v[4:5]
	v_add_f64_e32 v[2:3], v[12:13], v[2:3]
	s_delay_alu instid0(VALU_DEP_2) | instskip(NEXT) | instid1(VALU_DEP_2)
	v_add_f64_e32 v[4:5], v[4:5], v[8:9]
	v_add_f64_e32 v[6:7], v[2:3], v[24:25]
	s_delay_alu instid0(VALU_DEP_2) | instskip(NEXT) | instid1(VALU_DEP_2)
	v_add_f64_e64 v[2:3], v[186:187], -v[4:5]
	v_add_f64_e64 v[4:5], v[188:189], -v[6:7]
	scratch_store_b128 off, v[2:5], off offset:384
	s_wait_xcnt 0x0
	v_cmpx_lt_u32_e32 23, v1
	s_cbranch_execz .LBB126_357
; %bb.356:
	scratch_load_b128 v[2:5], off, s58
	v_mov_b32_e32 v6, 0
	s_delay_alu instid0(VALU_DEP_1)
	v_dual_mov_b32 v7, v6 :: v_dual_mov_b32 v8, v6
	v_mov_b32_e32 v9, v6
	scratch_store_b128 off, v[6:9], off offset:368
	s_wait_loadcnt 0x0
	ds_store_b128 v20, v[2:5]
.LBB126_357:
	s_wait_xcnt 0x0
	s_or_b32 exec_lo, exec_lo, s2
	s_wait_storecnt_dscnt 0x0
	s_barrier_signal -1
	s_barrier_wait -1
	s_clause 0x9
	scratch_load_b128 v[4:7], off, off offset:384
	scratch_load_b128 v[8:11], off, off offset:400
	;; [unrolled: 1-line block ×10, first 2 shown]
	v_mov_b32_e32 v2, 0
	s_mov_b32 s2, exec_lo
	ds_load_b128 v[174:177], v2 offset:1392
	s_clause 0x2
	scratch_load_b128 v[178:181], off, off offset:544
	scratch_load_b128 v[182:185], off, off offset:368
	;; [unrolled: 1-line block ×3, first 2 shown]
	s_wait_loadcnt_dscnt 0xc00
	v_mul_f64_e32 v[30:31], v[176:177], v[6:7]
	v_mul_f64_e32 v[198:199], v[174:175], v[6:7]
	ds_load_b128 v[186:189], v2 offset:1408
	ds_load_b128 v[194:197], v2 offset:1440
	v_fma_f64 v[30:31], v[174:175], v[4:5], -v[30:31]
	v_fmac_f64_e32 v[198:199], v[176:177], v[4:5]
	ds_load_b128 v[4:7], v2 offset:1424
	s_wait_loadcnt_dscnt 0xb02
	v_mul_f64_e32 v[200:201], v[186:187], v[10:11]
	v_mul_f64_e32 v[10:11], v[188:189], v[10:11]
	scratch_load_b128 v[174:177], off, off offset:576
	s_wait_loadcnt_dscnt 0xb00
	v_mul_f64_e32 v[202:203], v[4:5], v[14:15]
	v_mul_f64_e32 v[14:15], v[6:7], v[14:15]
	v_add_f64_e32 v[30:31], 0, v[30:31]
	v_fmac_f64_e32 v[200:201], v[188:189], v[8:9]
	v_fma_f64 v[186:187], v[186:187], v[8:9], -v[10:11]
	v_add_f64_e32 v[188:189], 0, v[198:199]
	scratch_load_b128 v[8:11], off, off offset:592
	v_fmac_f64_e32 v[202:203], v[6:7], v[12:13]
	v_fma_f64 v[204:205], v[4:5], v[12:13], -v[14:15]
	ds_load_b128 v[4:7], v2 offset:1456
	s_wait_loadcnt 0xb
	v_mul_f64_e32 v[198:199], v[194:195], v[18:19]
	v_mul_f64_e32 v[18:19], v[196:197], v[18:19]
	scratch_load_b128 v[12:15], off, off offset:608
	v_add_f64_e32 v[30:31], v[30:31], v[186:187]
	v_add_f64_e32 v[200:201], v[188:189], v[200:201]
	ds_load_b128 v[186:189], v2 offset:1472
	s_wait_loadcnt_dscnt 0xb01
	v_mul_f64_e32 v[206:207], v[4:5], v[24:25]
	v_mul_f64_e32 v[24:25], v[6:7], v[24:25]
	v_fmac_f64_e32 v[198:199], v[196:197], v[16:17]
	v_fma_f64 v[194:195], v[194:195], v[16:17], -v[18:19]
	scratch_load_b128 v[16:19], off, off offset:624
	v_add_f64_e32 v[30:31], v[30:31], v[204:205]
	v_add_f64_e32 v[196:197], v[200:201], v[202:203]
	v_fmac_f64_e32 v[206:207], v[6:7], v[22:23]
	v_fma_f64 v[204:205], v[4:5], v[22:23], -v[24:25]
	ds_load_b128 v[4:7], v2 offset:1488
	s_wait_loadcnt_dscnt 0xb01
	v_mul_f64_e32 v[200:201], v[186:187], v[28:29]
	v_mul_f64_e32 v[202:203], v[188:189], v[28:29]
	scratch_load_b128 v[22:25], off, off offset:640
	v_add_f64_e32 v[194:195], v[30:31], v[194:195]
	v_add_f64_e32 v[196:197], v[196:197], v[198:199]
	s_wait_loadcnt_dscnt 0xb00
	v_mul_f64_e32 v[198:199], v[4:5], v[160:161]
	v_mul_f64_e32 v[160:161], v[6:7], v[160:161]
	ds_load_b128 v[28:31], v2 offset:1504
	v_fmac_f64_e32 v[200:201], v[188:189], v[26:27]
	v_fma_f64 v[26:27], v[186:187], v[26:27], -v[202:203]
	scratch_load_b128 v[186:189], off, off offset:656
	v_add_f64_e32 v[194:195], v[194:195], v[204:205]
	v_add_f64_e32 v[196:197], v[196:197], v[206:207]
	v_fmac_f64_e32 v[198:199], v[6:7], v[158:159]
	v_fma_f64 v[204:205], v[4:5], v[158:159], -v[160:161]
	ds_load_b128 v[4:7], v2 offset:1520
	s_wait_loadcnt_dscnt 0xb01
	v_mul_f64_e32 v[202:203], v[28:29], v[164:165]
	v_mul_f64_e32 v[164:165], v[30:31], v[164:165]
	scratch_load_b128 v[158:161], off, off offset:672
	s_wait_loadcnt_dscnt 0xb00
	v_mul_f64_e32 v[206:207], v[4:5], v[168:169]
	v_mul_f64_e32 v[168:169], v[6:7], v[168:169]
	v_add_f64_e32 v[26:27], v[194:195], v[26:27]
	v_add_f64_e32 v[200:201], v[196:197], v[200:201]
	ds_load_b128 v[194:197], v2 offset:1536
	v_fmac_f64_e32 v[202:203], v[30:31], v[162:163]
	v_fma_f64 v[30:31], v[28:29], v[162:163], -v[164:165]
	v_fmac_f64_e32 v[206:207], v[6:7], v[166:167]
	v_add_f64_e32 v[162:163], v[26:27], v[204:205]
	v_add_f64_e32 v[164:165], v[200:201], v[198:199]
	scratch_load_b128 v[26:29], off, off offset:688
	v_fma_f64 v[200:201], v[4:5], v[166:167], -v[168:169]
	ds_load_b128 v[4:7], v2 offset:1552
	s_wait_loadcnt_dscnt 0xb01
	v_mul_f64_e32 v[198:199], v[194:195], v[172:173]
	v_mul_f64_e32 v[172:173], v[196:197], v[172:173]
	ds_load_b128 v[166:169], v2 offset:1568
	s_wait_loadcnt_dscnt 0xa01
	v_mul_f64_e32 v[204:205], v[4:5], v[180:181]
	v_mul_f64_e32 v[180:181], v[6:7], v[180:181]
	v_add_f64_e32 v[30:31], v[162:163], v[30:31]
	v_add_f64_e32 v[202:203], v[164:165], v[202:203]
	scratch_load_b128 v[162:165], off, off offset:704
	v_fmac_f64_e32 v[198:199], v[196:197], v[170:171]
	v_fma_f64 v[194:195], v[194:195], v[170:171], -v[172:173]
	scratch_load_b128 v[170:173], off, off offset:720
	v_fmac_f64_e32 v[204:205], v[6:7], v[178:179]
	v_add_f64_e32 v[30:31], v[30:31], v[200:201]
	v_add_f64_e32 v[196:197], v[202:203], v[206:207]
	v_fma_f64 v[206:207], v[4:5], v[178:179], -v[180:181]
	ds_load_b128 v[4:7], v2 offset:1584
	s_wait_loadcnt_dscnt 0xa01
	v_mul_f64_e32 v[200:201], v[166:167], v[192:193]
	v_mul_f64_e32 v[202:203], v[168:169], v[192:193]
	scratch_load_b128 v[178:181], off, off offset:736
	v_add_f64_e32 v[30:31], v[30:31], v[194:195]
	v_add_f64_e32 v[196:197], v[196:197], v[198:199]
	s_wait_loadcnt_dscnt 0xa00
	v_mul_f64_e32 v[208:209], v[4:5], v[176:177]
	v_mul_f64_e32 v[176:177], v[6:7], v[176:177]
	v_fmac_f64_e32 v[200:201], v[168:169], v[190:191]
	v_fma_f64 v[190:191], v[166:167], v[190:191], -v[202:203]
	ds_load_b128 v[192:195], v2 offset:1600
	scratch_load_b128 v[166:169], off, off offset:752
	v_add_f64_e32 v[30:31], v[30:31], v[206:207]
	v_add_f64_e32 v[196:197], v[196:197], v[204:205]
	v_fmac_f64_e32 v[208:209], v[6:7], v[174:175]
	v_fma_f64 v[204:205], v[4:5], v[174:175], -v[176:177]
	ds_load_b128 v[4:7], v2 offset:1616
	s_wait_loadcnt_dscnt 0xa01
	v_mul_f64_e32 v[202:203], v[192:193], v[10:11]
	v_mul_f64_e32 v[10:11], v[194:195], v[10:11]
	scratch_load_b128 v[174:177], off, off offset:768
	v_add_f64_e32 v[30:31], v[30:31], v[190:191]
	v_add_f64_e32 v[190:191], v[196:197], v[200:201]
	s_wait_loadcnt_dscnt 0xa00
	v_mul_f64_e32 v[200:201], v[4:5], v[14:15]
	v_mul_f64_e32 v[14:15], v[6:7], v[14:15]
	ds_load_b128 v[196:199], v2 offset:1632
	v_fmac_f64_e32 v[202:203], v[194:195], v[8:9]
	v_fma_f64 v[192:193], v[192:193], v[8:9], -v[10:11]
	scratch_load_b128 v[8:11], off, off offset:784
	v_add_f64_e32 v[30:31], v[30:31], v[204:205]
	v_add_f64_e32 v[190:191], v[190:191], v[208:209]
	v_fmac_f64_e32 v[200:201], v[6:7], v[12:13]
	v_fma_f64 v[204:205], v[4:5], v[12:13], -v[14:15]
	ds_load_b128 v[4:7], v2 offset:1648
	s_wait_loadcnt_dscnt 0xa01
	v_mul_f64_e32 v[194:195], v[196:197], v[18:19]
	v_mul_f64_e32 v[18:19], v[198:199], v[18:19]
	scratch_load_b128 v[12:15], off, off offset:800
	s_wait_loadcnt_dscnt 0xa00
	v_mul_f64_e32 v[206:207], v[4:5], v[24:25]
	v_mul_f64_e32 v[24:25], v[6:7], v[24:25]
	v_add_f64_e32 v[30:31], v[30:31], v[192:193]
	v_add_f64_e32 v[202:203], v[190:191], v[202:203]
	ds_load_b128 v[190:193], v2 offset:1664
	v_fmac_f64_e32 v[194:195], v[198:199], v[16:17]
	v_fma_f64 v[196:197], v[196:197], v[16:17], -v[18:19]
	scratch_load_b128 v[16:19], off, off offset:816
	v_fmac_f64_e32 v[206:207], v[6:7], v[22:23]
	v_add_f64_e32 v[30:31], v[30:31], v[204:205]
	v_add_f64_e32 v[198:199], v[202:203], v[200:201]
	v_fma_f64 v[202:203], v[4:5], v[22:23], -v[24:25]
	ds_load_b128 v[4:7], v2 offset:1680
	s_wait_loadcnt_dscnt 0xa01
	v_mul_f64_e32 v[200:201], v[190:191], v[188:189]
	v_mul_f64_e32 v[188:189], v[192:193], v[188:189]
	scratch_load_b128 v[22:25], off, off offset:832
	s_wait_loadcnt_dscnt 0xa00
	v_mul_f64_e32 v[204:205], v[4:5], v[160:161]
	v_mul_f64_e32 v[160:161], v[6:7], v[160:161]
	v_add_f64_e32 v[30:31], v[30:31], v[196:197]
	v_add_f64_e32 v[198:199], v[198:199], v[194:195]
	ds_load_b128 v[194:197], v2 offset:1696
	v_fmac_f64_e32 v[200:201], v[192:193], v[186:187]
	v_fma_f64 v[190:191], v[190:191], v[186:187], -v[188:189]
	scratch_load_b128 v[186:189], off, off offset:848
	v_fmac_f64_e32 v[204:205], v[6:7], v[158:159]
	v_add_f64_e32 v[30:31], v[30:31], v[202:203]
	v_add_f64_e32 v[192:193], v[198:199], v[206:207]
	v_fma_f64 v[206:207], v[4:5], v[158:159], -v[160:161]
	ds_load_b128 v[4:7], v2 offset:1712
	s_wait_loadcnt_dscnt 0xa01
	v_mul_f64_e32 v[198:199], v[194:195], v[28:29]
	v_mul_f64_e32 v[202:203], v[196:197], v[28:29]
	ds_load_b128 v[158:161], v2 offset:1728
	v_add_f64_e32 v[190:191], v[30:31], v[190:191]
	v_add_f64_e32 v[192:193], v[192:193], v[200:201]
	scratch_load_b128 v[28:31], off, off offset:864
	s_wait_loadcnt_dscnt 0xa01
	v_mul_f64_e32 v[200:201], v[4:5], v[164:165]
	v_mul_f64_e32 v[164:165], v[6:7], v[164:165]
	v_fmac_f64_e32 v[198:199], v[196:197], v[26:27]
	v_fma_f64 v[26:27], v[194:195], v[26:27], -v[202:203]
	v_add_f64_e32 v[194:195], v[190:191], v[206:207]
	v_add_f64_e32 v[196:197], v[192:193], v[204:205]
	scratch_load_b128 v[190:193], off, off offset:880
	v_fmac_f64_e32 v[200:201], v[6:7], v[162:163]
	v_fma_f64 v[204:205], v[4:5], v[162:163], -v[164:165]
	ds_load_b128 v[4:7], v2 offset:1744
	s_wait_loadcnt_dscnt 0xa01
	v_mul_f64_e32 v[202:203], v[158:159], v[172:173]
	v_mul_f64_e32 v[172:173], v[160:161], v[172:173]
	scratch_load_b128 v[162:165], off, off offset:896
	s_wait_loadcnt_dscnt 0xa00
	v_mul_f64_e32 v[206:207], v[4:5], v[180:181]
	v_mul_f64_e32 v[180:181], v[6:7], v[180:181]
	v_add_f64_e32 v[26:27], v[194:195], v[26:27]
	v_add_f64_e32 v[198:199], v[196:197], v[198:199]
	ds_load_b128 v[194:197], v2 offset:1760
	v_fmac_f64_e32 v[202:203], v[160:161], v[170:171]
	v_fma_f64 v[170:171], v[158:159], v[170:171], -v[172:173]
	scratch_load_b128 v[158:161], off, off offset:912
	v_fmac_f64_e32 v[206:207], v[6:7], v[178:179]
	v_add_f64_e32 v[26:27], v[26:27], v[204:205]
	v_add_f64_e32 v[172:173], v[198:199], v[200:201]
	v_fma_f64 v[204:205], v[4:5], v[178:179], -v[180:181]
	ds_load_b128 v[4:7], v2 offset:1776
	s_wait_loadcnt_dscnt 0xa01
	v_mul_f64_e32 v[198:199], v[194:195], v[168:169]
	v_mul_f64_e32 v[200:201], v[196:197], v[168:169]
	ds_load_b128 v[178:181], v2 offset:1792
	v_add_f64_e32 v[26:27], v[26:27], v[170:171]
	v_add_f64_e32 v[172:173], v[172:173], v[202:203]
	scratch_load_b128 v[168:171], off, off offset:928
	s_wait_loadcnt_dscnt 0xa01
	v_mul_f64_e32 v[202:203], v[4:5], v[176:177]
	v_mul_f64_e32 v[176:177], v[6:7], v[176:177]
	v_fmac_f64_e32 v[198:199], v[196:197], v[166:167]
	v_fma_f64 v[166:167], v[194:195], v[166:167], -v[200:201]
	scratch_load_b128 v[194:197], off, off offset:944
	v_add_f64_e32 v[26:27], v[26:27], v[204:205]
	v_add_f64_e32 v[172:173], v[172:173], v[206:207]
	v_fmac_f64_e32 v[202:203], v[6:7], v[174:175]
	v_fma_f64 v[176:177], v[4:5], v[174:175], -v[176:177]
	ds_load_b128 v[4:7], v2 offset:1808
	s_wait_loadcnt_dscnt 0xa01
	v_mul_f64_e32 v[204:205], v[178:179], v[10:11]
	v_mul_f64_e32 v[10:11], v[180:181], v[10:11]
	s_wait_loadcnt_dscnt 0x900
	v_mul_f64_e32 v[206:207], v[4:5], v[14:15]
	v_mul_f64_e32 v[14:15], v[6:7], v[14:15]
	v_add_f64_e32 v[26:27], v[26:27], v[166:167]
	v_add_f64_e32 v[166:167], v[172:173], v[198:199]
	scratch_load_b128 v[172:175], off, off offset:960
	ds_load_b128 v[198:201], v2 offset:1824
	v_fmac_f64_e32 v[204:205], v[180:181], v[8:9]
	v_fma_f64 v[178:179], v[178:179], v[8:9], -v[10:11]
	scratch_load_b128 v[8:11], off, off offset:976
	v_fmac_f64_e32 v[206:207], v[6:7], v[12:13]
	v_add_f64_e32 v[26:27], v[26:27], v[176:177]
	v_add_f64_e32 v[166:167], v[166:167], v[202:203]
	v_fma_f64 v[202:203], v[4:5], v[12:13], -v[14:15]
	ds_load_b128 v[4:7], v2 offset:1840
	s_wait_loadcnt_dscnt 0xa01
	v_mul_f64_e32 v[180:181], v[198:199], v[18:19]
	v_mul_f64_e32 v[18:19], v[200:201], v[18:19]
	scratch_load_b128 v[12:15], off, off offset:992
	v_add_f64_e32 v[26:27], v[26:27], v[178:179]
	v_add_f64_e32 v[166:167], v[166:167], v[204:205]
	s_wait_loadcnt_dscnt 0xa00
	v_mul_f64_e32 v[204:205], v[4:5], v[24:25]
	v_mul_f64_e32 v[24:25], v[6:7], v[24:25]
	v_fmac_f64_e32 v[180:181], v[200:201], v[16:17]
	v_fma_f64 v[16:17], v[198:199], v[16:17], -v[18:19]
	ds_load_b128 v[176:179], v2 offset:1856
	v_add_f64_e32 v[18:19], v[26:27], v[202:203]
	v_add_f64_e32 v[26:27], v[166:167], v[206:207]
	s_wait_loadcnt_dscnt 0x900
	v_mul_f64_e32 v[166:167], v[176:177], v[188:189]
	v_mul_f64_e32 v[188:189], v[178:179], v[188:189]
	v_fmac_f64_e32 v[204:205], v[6:7], v[22:23]
	v_fma_f64 v[22:23], v[4:5], v[22:23], -v[24:25]
	v_add_f64_e32 v[24:25], v[18:19], v[16:17]
	v_add_f64_e32 v[26:27], v[26:27], v[180:181]
	ds_load_b128 v[4:7], v2 offset:1872
	ds_load_b128 v[16:19], v2 offset:1888
	v_fmac_f64_e32 v[166:167], v[178:179], v[186:187]
	v_fma_f64 v[176:177], v[176:177], v[186:187], -v[188:189]
	s_wait_loadcnt_dscnt 0x801
	v_mul_f64_e32 v[180:181], v[4:5], v[30:31]
	v_mul_f64_e32 v[30:31], v[6:7], v[30:31]
	v_add_f64_e32 v[22:23], v[24:25], v[22:23]
	v_add_f64_e32 v[24:25], v[26:27], v[204:205]
	s_wait_loadcnt_dscnt 0x700
	v_mul_f64_e32 v[26:27], v[16:17], v[192:193]
	v_mul_f64_e32 v[178:179], v[18:19], v[192:193]
	v_fmac_f64_e32 v[180:181], v[6:7], v[28:29]
	v_fma_f64 v[28:29], v[4:5], v[28:29], -v[30:31]
	v_add_f64_e32 v[30:31], v[22:23], v[176:177]
	v_add_f64_e32 v[166:167], v[24:25], v[166:167]
	ds_load_b128 v[4:7], v2 offset:1904
	ds_load_b128 v[22:25], v2 offset:1920
	v_fmac_f64_e32 v[26:27], v[18:19], v[190:191]
	v_fma_f64 v[16:17], v[16:17], v[190:191], -v[178:179]
	s_wait_loadcnt_dscnt 0x601
	v_mul_f64_e32 v[176:177], v[4:5], v[164:165]
	v_mul_f64_e32 v[164:165], v[6:7], v[164:165]
	;; [unrolled: 16-line block ×3, first 2 shown]
	s_wait_loadcnt_dscnt 0x300
	v_mul_f64_e32 v[158:159], v[16:17], v[196:197]
	v_mul_f64_e32 v[160:161], v[18:19], v[196:197]
	v_add_f64_e32 v[24:25], v[164:165], v[162:163]
	v_add_f64_e32 v[26:27], v[26:27], v[176:177]
	v_fmac_f64_e32 v[28:29], v[6:7], v[168:169]
	v_fma_f64 v[162:163], v[4:5], v[168:169], -v[166:167]
	v_fmac_f64_e32 v[158:159], v[18:19], v[194:195]
	v_fma_f64 v[16:17], v[16:17], v[194:195], -v[160:161]
	v_add_f64_e32 v[164:165], v[24:25], v[22:23]
	v_add_f64_e32 v[26:27], v[26:27], v[30:31]
	ds_load_b128 v[4:7], v2 offset:1968
	ds_load_b128 v[22:25], v2 offset:1984
	s_wait_loadcnt_dscnt 0x201
	v_mul_f64_e32 v[30:31], v[4:5], v[174:175]
	v_mul_f64_e32 v[166:167], v[6:7], v[174:175]
	v_add_f64_e32 v[18:19], v[164:165], v[162:163]
	v_add_f64_e32 v[26:27], v[26:27], v[28:29]
	s_wait_loadcnt_dscnt 0x100
	v_mul_f64_e32 v[28:29], v[22:23], v[10:11]
	v_mul_f64_e32 v[10:11], v[24:25], v[10:11]
	v_fmac_f64_e32 v[30:31], v[6:7], v[172:173]
	v_fma_f64 v[160:161], v[4:5], v[172:173], -v[166:167]
	ds_load_b128 v[4:7], v2 offset:2000
	v_add_f64_e32 v[16:17], v[18:19], v[16:17]
	v_add_f64_e32 v[18:19], v[26:27], v[158:159]
	v_fmac_f64_e32 v[28:29], v[24:25], v[8:9]
	v_fma_f64 v[8:9], v[22:23], v[8:9], -v[10:11]
	s_wait_loadcnt_dscnt 0x0
	v_mul_f64_e32 v[26:27], v[4:5], v[14:15]
	v_mul_f64_e32 v[14:15], v[6:7], v[14:15]
	v_add_f64_e32 v[10:11], v[16:17], v[160:161]
	v_add_f64_e32 v[16:17], v[18:19], v[30:31]
	s_delay_alu instid0(VALU_DEP_4) | instskip(NEXT) | instid1(VALU_DEP_4)
	v_fmac_f64_e32 v[26:27], v[6:7], v[12:13]
	v_fma_f64 v[4:5], v[4:5], v[12:13], -v[14:15]
	s_delay_alu instid0(VALU_DEP_4) | instskip(NEXT) | instid1(VALU_DEP_4)
	v_add_f64_e32 v[6:7], v[10:11], v[8:9]
	v_add_f64_e32 v[8:9], v[16:17], v[28:29]
	s_delay_alu instid0(VALU_DEP_2) | instskip(NEXT) | instid1(VALU_DEP_2)
	v_add_f64_e32 v[4:5], v[6:7], v[4:5]
	v_add_f64_e32 v[6:7], v[8:9], v[26:27]
	s_delay_alu instid0(VALU_DEP_2) | instskip(NEXT) | instid1(VALU_DEP_2)
	v_add_f64_e64 v[4:5], v[182:183], -v[4:5]
	v_add_f64_e64 v[6:7], v[184:185], -v[6:7]
	scratch_store_b128 off, v[4:7], off offset:368
	s_wait_xcnt 0x0
	v_cmpx_lt_u32_e32 22, v1
	s_cbranch_execz .LBB126_359
; %bb.358:
	scratch_load_b128 v[6:9], off, s59
	v_dual_mov_b32 v3, v2 :: v_dual_mov_b32 v4, v2
	v_mov_b32_e32 v5, v2
	scratch_store_b128 off, v[2:5], off offset:352
	s_wait_loadcnt 0x0
	ds_store_b128 v20, v[6:9]
.LBB126_359:
	s_wait_xcnt 0x0
	s_or_b32 exec_lo, exec_lo, s2
	s_wait_storecnt_dscnt 0x0
	s_barrier_signal -1
	s_barrier_wait -1
	s_clause 0x9
	scratch_load_b128 v[4:7], off, off offset:368
	scratch_load_b128 v[8:11], off, off offset:384
	;; [unrolled: 1-line block ×10, first 2 shown]
	ds_load_b128 v[174:177], v2 offset:1376
	ds_load_b128 v[182:185], v2 offset:1392
	s_clause 0x2
	scratch_load_b128 v[178:181], off, off offset:528
	scratch_load_b128 v[186:189], off, off offset:352
	;; [unrolled: 1-line block ×3, first 2 shown]
	s_mov_b32 s2, exec_lo
	s_wait_loadcnt_dscnt 0xc01
	v_mul_f64_e32 v[30:31], v[176:177], v[6:7]
	v_mul_f64_e32 v[198:199], v[174:175], v[6:7]
	s_wait_loadcnt_dscnt 0xb00
	v_mul_f64_e32 v[200:201], v[182:183], v[10:11]
	v_mul_f64_e32 v[10:11], v[184:185], v[10:11]
	s_delay_alu instid0(VALU_DEP_4) | instskip(NEXT) | instid1(VALU_DEP_4)
	v_fma_f64 v[30:31], v[174:175], v[4:5], -v[30:31]
	v_fmac_f64_e32 v[198:199], v[176:177], v[4:5]
	ds_load_b128 v[4:7], v2 offset:1408
	ds_load_b128 v[174:177], v2 offset:1424
	scratch_load_b128 v[194:197], off, off offset:560
	v_fmac_f64_e32 v[200:201], v[184:185], v[8:9]
	v_fma_f64 v[182:183], v[182:183], v[8:9], -v[10:11]
	scratch_load_b128 v[8:11], off, off offset:576
	s_wait_loadcnt_dscnt 0xc01
	v_mul_f64_e32 v[202:203], v[4:5], v[14:15]
	v_mul_f64_e32 v[14:15], v[6:7], v[14:15]
	v_add_f64_e32 v[30:31], 0, v[30:31]
	v_add_f64_e32 v[184:185], 0, v[198:199]
	s_wait_loadcnt_dscnt 0xb00
	v_mul_f64_e32 v[198:199], v[174:175], v[18:19]
	v_mul_f64_e32 v[18:19], v[176:177], v[18:19]
	v_fmac_f64_e32 v[202:203], v[6:7], v[12:13]
	v_fma_f64 v[204:205], v[4:5], v[12:13], -v[14:15]
	ds_load_b128 v[4:7], v2 offset:1440
	ds_load_b128 v[12:15], v2 offset:1456
	v_add_f64_e32 v[30:31], v[30:31], v[182:183]
	v_add_f64_e32 v[200:201], v[184:185], v[200:201]
	scratch_load_b128 v[182:185], off, off offset:592
	v_fmac_f64_e32 v[198:199], v[176:177], v[16:17]
	v_fma_f64 v[174:175], v[174:175], v[16:17], -v[18:19]
	scratch_load_b128 v[16:19], off, off offset:608
	s_wait_loadcnt_dscnt 0xc01
	v_mul_f64_e32 v[206:207], v[4:5], v[24:25]
	v_mul_f64_e32 v[24:25], v[6:7], v[24:25]
	v_add_f64_e32 v[30:31], v[30:31], v[204:205]
	v_add_f64_e32 v[176:177], v[200:201], v[202:203]
	s_wait_loadcnt_dscnt 0xb00
	v_mul_f64_e32 v[200:201], v[12:13], v[28:29]
	v_mul_f64_e32 v[202:203], v[14:15], v[28:29]
	v_fmac_f64_e32 v[206:207], v[6:7], v[22:23]
	v_fma_f64 v[204:205], v[4:5], v[22:23], -v[24:25]
	ds_load_b128 v[4:7], v2 offset:1472
	ds_load_b128 v[22:25], v2 offset:1488
	v_add_f64_e32 v[174:175], v[30:31], v[174:175]
	v_add_f64_e32 v[176:177], v[176:177], v[198:199]
	scratch_load_b128 v[28:31], off, off offset:624
	s_wait_loadcnt_dscnt 0xb01
	v_mul_f64_e32 v[198:199], v[4:5], v[160:161]
	v_mul_f64_e32 v[160:161], v[6:7], v[160:161]
	v_fmac_f64_e32 v[200:201], v[14:15], v[26:27]
	v_fma_f64 v[26:27], v[12:13], v[26:27], -v[202:203]
	scratch_load_b128 v[12:15], off, off offset:640
	s_wait_loadcnt_dscnt 0xb00
	v_mul_f64_e32 v[202:203], v[22:23], v[164:165]
	v_mul_f64_e32 v[164:165], v[24:25], v[164:165]
	v_add_f64_e32 v[174:175], v[174:175], v[204:205]
	v_add_f64_e32 v[176:177], v[176:177], v[206:207]
	v_fmac_f64_e32 v[198:199], v[6:7], v[158:159]
	v_fma_f64 v[204:205], v[4:5], v[158:159], -v[160:161]
	ds_load_b128 v[4:7], v2 offset:1504
	ds_load_b128 v[158:161], v2 offset:1520
	v_fmac_f64_e32 v[202:203], v[24:25], v[162:163]
	v_fma_f64 v[162:163], v[22:23], v[162:163], -v[164:165]
	scratch_load_b128 v[22:25], off, off offset:672
	s_wait_loadcnt_dscnt 0xb01
	v_mul_f64_e32 v[206:207], v[4:5], v[168:169]
	v_mul_f64_e32 v[168:169], v[6:7], v[168:169]
	v_add_f64_e32 v[26:27], v[174:175], v[26:27]
	v_add_f64_e32 v[200:201], v[176:177], v[200:201]
	scratch_load_b128 v[174:177], off, off offset:656
	v_fmac_f64_e32 v[206:207], v[6:7], v[166:167]
	v_add_f64_e32 v[26:27], v[26:27], v[204:205]
	v_add_f64_e32 v[164:165], v[200:201], v[198:199]
	s_wait_loadcnt_dscnt 0xb00
	v_mul_f64_e32 v[198:199], v[158:159], v[172:173]
	v_mul_f64_e32 v[172:173], v[160:161], v[172:173]
	v_fma_f64 v[200:201], v[4:5], v[166:167], -v[168:169]
	v_add_f64_e32 v[26:27], v[26:27], v[162:163]
	v_add_f64_e32 v[202:203], v[164:165], v[202:203]
	ds_load_b128 v[4:7], v2 offset:1536
	ds_load_b128 v[162:165], v2 offset:1552
	scratch_load_b128 v[166:169], off, off offset:688
	v_fmac_f64_e32 v[198:199], v[160:161], v[170:171]
	v_fma_f64 v[170:171], v[158:159], v[170:171], -v[172:173]
	scratch_load_b128 v[158:161], off, off offset:704
	s_wait_loadcnt_dscnt 0xc01
	v_mul_f64_e32 v[204:205], v[4:5], v[180:181]
	v_mul_f64_e32 v[180:181], v[6:7], v[180:181]
	v_add_f64_e32 v[26:27], v[26:27], v[200:201]
	v_add_f64_e32 v[172:173], v[202:203], v[206:207]
	s_wait_loadcnt_dscnt 0xa00
	v_mul_f64_e32 v[200:201], v[162:163], v[192:193]
	v_mul_f64_e32 v[192:193], v[164:165], v[192:193]
	v_fmac_f64_e32 v[204:205], v[6:7], v[178:179]
	v_fma_f64 v[202:203], v[4:5], v[178:179], -v[180:181]
	v_add_f64_e32 v[26:27], v[26:27], v[170:171]
	v_add_f64_e32 v[198:199], v[172:173], v[198:199]
	ds_load_b128 v[4:7], v2 offset:1568
	ds_load_b128 v[170:173], v2 offset:1584
	scratch_load_b128 v[178:181], off, off offset:720
	v_fmac_f64_e32 v[200:201], v[164:165], v[190:191]
	v_fma_f64 v[190:191], v[162:163], v[190:191], -v[192:193]
	scratch_load_b128 v[162:165], off, off offset:736
	s_wait_loadcnt_dscnt 0xb01
	v_mul_f64_e32 v[206:207], v[4:5], v[196:197]
	v_mul_f64_e32 v[196:197], v[6:7], v[196:197]
	v_add_f64_e32 v[26:27], v[26:27], v[202:203]
	v_add_f64_e32 v[192:193], v[198:199], v[204:205]
	s_wait_loadcnt_dscnt 0xa00
	v_mul_f64_e32 v[198:199], v[170:171], v[10:11]
	v_mul_f64_e32 v[10:11], v[172:173], v[10:11]
	v_fmac_f64_e32 v[206:207], v[6:7], v[194:195]
	;; [unrolled: 18-line block ×4, first 2 shown]
	v_fma_f64 v[30:31], v[4:5], v[28:29], -v[30:31]
	v_add_f64_e32 v[202:203], v[26:27], v[190:191]
	v_add_f64_e32 v[200:201], v[192:193], v[200:201]
	ds_load_b128 v[4:7], v2 offset:1664
	ds_load_b128 v[26:29], v2 offset:1680
	scratch_load_b128 v[190:193], off, off offset:816
	v_fmac_f64_e32 v[198:199], v[172:173], v[12:13]
	v_fma_f64 v[170:171], v[170:171], v[12:13], -v[14:15]
	scratch_load_b128 v[12:15], off, off offset:832
	s_wait_loadcnt_dscnt 0xa01
	v_mul_f64_e32 v[204:205], v[4:5], v[176:177]
	v_mul_f64_e32 v[176:177], v[6:7], v[176:177]
	v_add_f64_e32 v[30:31], v[202:203], v[30:31]
	v_add_f64_e32 v[172:173], v[200:201], v[206:207]
	s_wait_dscnt 0x0
	v_mul_f64_e32 v[200:201], v[26:27], v[24:25]
	v_mul_f64_e32 v[24:25], v[28:29], v[24:25]
	v_fmac_f64_e32 v[204:205], v[6:7], v[174:175]
	v_fma_f64 v[202:203], v[4:5], v[174:175], -v[176:177]
	v_add_f64_e32 v[30:31], v[30:31], v[170:171]
	v_add_f64_e32 v[198:199], v[172:173], v[198:199]
	ds_load_b128 v[4:7], v2 offset:1696
	ds_load_b128 v[170:173], v2 offset:1712
	scratch_load_b128 v[174:177], off, off offset:848
	v_fmac_f64_e32 v[200:201], v[28:29], v[22:23]
	v_fma_f64 v[26:27], v[26:27], v[22:23], -v[24:25]
	scratch_load_b128 v[22:25], off, off offset:864
	s_wait_loadcnt_dscnt 0xb01
	v_mul_f64_e32 v[206:207], v[4:5], v[168:169]
	v_mul_f64_e32 v[168:169], v[6:7], v[168:169]
	v_add_f64_e32 v[28:29], v[30:31], v[202:203]
	v_add_f64_e32 v[30:31], v[198:199], v[204:205]
	s_wait_loadcnt_dscnt 0xa00
	v_mul_f64_e32 v[198:199], v[170:171], v[160:161]
	v_mul_f64_e32 v[160:161], v[172:173], v[160:161]
	v_fmac_f64_e32 v[206:207], v[6:7], v[166:167]
	v_fma_f64 v[202:203], v[4:5], v[166:167], -v[168:169]
	v_add_f64_e32 v[204:205], v[28:29], v[26:27]
	v_add_f64_e32 v[30:31], v[30:31], v[200:201]
	ds_load_b128 v[4:7], v2 offset:1728
	ds_load_b128 v[26:29], v2 offset:1744
	scratch_load_b128 v[166:169], off, off offset:880
	v_fmac_f64_e32 v[198:199], v[172:173], v[158:159]
	v_fma_f64 v[170:171], v[170:171], v[158:159], -v[160:161]
	scratch_load_b128 v[158:161], off, off offset:896
	s_wait_loadcnt_dscnt 0xb01
	v_mul_f64_e32 v[200:201], v[4:5], v[180:181]
	v_mul_f64_e32 v[180:181], v[6:7], v[180:181]
	v_add_f64_e32 v[172:173], v[204:205], v[202:203]
	v_add_f64_e32 v[30:31], v[30:31], v[206:207]
	s_wait_loadcnt_dscnt 0xa00
	;; [unrolled: 18-line block ×5, first 2 shown]
	v_mul_f64_e32 v[202:203], v[170:171], v[14:15]
	v_mul_f64_e32 v[14:15], v[172:173], v[14:15]
	v_fmac_f64_e32 v[200:201], v[6:7], v[190:191]
	v_fma_f64 v[190:191], v[4:5], v[190:191], -v[192:193]
	v_add_f64_e32 v[192:193], v[164:165], v[162:163]
	v_add_f64_e32 v[30:31], v[30:31], v[198:199]
	ds_load_b128 v[4:7], v2 offset:1856
	ds_load_b128 v[162:165], v2 offset:1872
	v_fmac_f64_e32 v[202:203], v[172:173], v[12:13]
	v_fma_f64 v[12:13], v[170:171], v[12:13], -v[14:15]
	s_wait_loadcnt_dscnt 0x901
	v_mul_f64_e32 v[198:199], v[4:5], v[176:177]
	v_mul_f64_e32 v[176:177], v[6:7], v[176:177]
	s_wait_loadcnt_dscnt 0x800
	v_mul_f64_e32 v[170:171], v[162:163], v[24:25]
	v_mul_f64_e32 v[24:25], v[164:165], v[24:25]
	v_add_f64_e32 v[14:15], v[192:193], v[190:191]
	v_add_f64_e32 v[30:31], v[30:31], v[200:201]
	v_fmac_f64_e32 v[198:199], v[6:7], v[174:175]
	v_fma_f64 v[172:173], v[4:5], v[174:175], -v[176:177]
	v_fmac_f64_e32 v[170:171], v[164:165], v[22:23]
	v_fma_f64 v[22:23], v[162:163], v[22:23], -v[24:25]
	v_add_f64_e32 v[174:175], v[14:15], v[12:13]
	v_add_f64_e32 v[30:31], v[30:31], v[202:203]
	ds_load_b128 v[4:7], v2 offset:1888
	ds_load_b128 v[12:15], v2 offset:1904
	s_wait_loadcnt_dscnt 0x701
	v_mul_f64_e32 v[176:177], v[4:5], v[168:169]
	v_mul_f64_e32 v[168:169], v[6:7], v[168:169]
	s_wait_loadcnt_dscnt 0x600
	v_mul_f64_e32 v[162:163], v[12:13], v[160:161]
	v_mul_f64_e32 v[160:161], v[14:15], v[160:161]
	v_add_f64_e32 v[24:25], v[174:175], v[172:173]
	v_add_f64_e32 v[30:31], v[30:31], v[198:199]
	v_fmac_f64_e32 v[176:177], v[6:7], v[166:167]
	v_fma_f64 v[164:165], v[4:5], v[166:167], -v[168:169]
	v_fmac_f64_e32 v[162:163], v[14:15], v[158:159]
	v_fma_f64 v[12:13], v[12:13], v[158:159], -v[160:161]
	v_add_f64_e32 v[166:167], v[24:25], v[22:23]
	v_add_f64_e32 v[30:31], v[30:31], v[170:171]
	ds_load_b128 v[4:7], v2 offset:1920
	ds_load_b128 v[22:25], v2 offset:1936
	;; [unrolled: 16-line block ×4, first 2 shown]
	s_wait_loadcnt_dscnt 0x101
	v_mul_f64_e32 v[2:3], v[4:5], v[184:185]
	v_mul_f64_e32 v[158:159], v[6:7], v[184:185]
	s_wait_loadcnt_dscnt 0x0
	v_mul_f64_e32 v[14:15], v[22:23], v[18:19]
	v_mul_f64_e32 v[18:19], v[24:25], v[18:19]
	v_add_f64_e32 v[10:11], v[160:161], v[30:31]
	v_add_f64_e32 v[12:13], v[26:27], v[162:163]
	v_fmac_f64_e32 v[2:3], v[6:7], v[182:183]
	v_fma_f64 v[4:5], v[4:5], v[182:183], -v[158:159]
	v_fmac_f64_e32 v[14:15], v[24:25], v[16:17]
	v_add_f64_e32 v[6:7], v[10:11], v[8:9]
	v_add_f64_e32 v[8:9], v[12:13], v[28:29]
	v_fma_f64 v[10:11], v[22:23], v[16:17], -v[18:19]
	s_delay_alu instid0(VALU_DEP_3) | instskip(NEXT) | instid1(VALU_DEP_3)
	v_add_f64_e32 v[4:5], v[6:7], v[4:5]
	v_add_f64_e32 v[2:3], v[8:9], v[2:3]
	s_delay_alu instid0(VALU_DEP_2) | instskip(NEXT) | instid1(VALU_DEP_2)
	v_add_f64_e32 v[4:5], v[4:5], v[10:11]
	v_add_f64_e32 v[6:7], v[2:3], v[14:15]
	s_delay_alu instid0(VALU_DEP_2) | instskip(NEXT) | instid1(VALU_DEP_2)
	v_add_f64_e64 v[2:3], v[186:187], -v[4:5]
	v_add_f64_e64 v[4:5], v[188:189], -v[6:7]
	scratch_store_b128 off, v[2:5], off offset:352
	s_wait_xcnt 0x0
	v_cmpx_lt_u32_e32 21, v1
	s_cbranch_execz .LBB126_361
; %bb.360:
	scratch_load_b128 v[2:5], off, s60
	v_mov_b32_e32 v6, 0
	s_delay_alu instid0(VALU_DEP_1)
	v_dual_mov_b32 v7, v6 :: v_dual_mov_b32 v8, v6
	v_mov_b32_e32 v9, v6
	scratch_store_b128 off, v[6:9], off offset:336
	s_wait_loadcnt 0x0
	ds_store_b128 v20, v[2:5]
.LBB126_361:
	s_wait_xcnt 0x0
	s_or_b32 exec_lo, exec_lo, s2
	s_wait_storecnt_dscnt 0x0
	s_barrier_signal -1
	s_barrier_wait -1
	s_clause 0x9
	scratch_load_b128 v[4:7], off, off offset:352
	scratch_load_b128 v[8:11], off, off offset:368
	scratch_load_b128 v[12:15], off, off offset:384
	scratch_load_b128 v[16:19], off, off offset:400
	scratch_load_b128 v[22:25], off, off offset:416
	scratch_load_b128 v[26:29], off, off offset:432
	scratch_load_b128 v[158:161], off, off offset:448
	scratch_load_b128 v[162:165], off, off offset:464
	scratch_load_b128 v[166:169], off, off offset:480
	scratch_load_b128 v[170:173], off, off offset:496
	v_mov_b32_e32 v2, 0
	s_mov_b32 s2, exec_lo
	ds_load_b128 v[174:177], v2 offset:1360
	s_clause 0x2
	scratch_load_b128 v[178:181], off, off offset:512
	scratch_load_b128 v[182:185], off, off offset:336
	;; [unrolled: 1-line block ×3, first 2 shown]
	s_wait_loadcnt_dscnt 0xc00
	v_mul_f64_e32 v[30:31], v[176:177], v[6:7]
	v_mul_f64_e32 v[198:199], v[174:175], v[6:7]
	ds_load_b128 v[186:189], v2 offset:1376
	ds_load_b128 v[194:197], v2 offset:1408
	v_fma_f64 v[30:31], v[174:175], v[4:5], -v[30:31]
	v_fmac_f64_e32 v[198:199], v[176:177], v[4:5]
	ds_load_b128 v[4:7], v2 offset:1392
	s_wait_loadcnt_dscnt 0xb02
	v_mul_f64_e32 v[200:201], v[186:187], v[10:11]
	v_mul_f64_e32 v[10:11], v[188:189], v[10:11]
	scratch_load_b128 v[174:177], off, off offset:544
	s_wait_loadcnt_dscnt 0xb00
	v_mul_f64_e32 v[202:203], v[4:5], v[14:15]
	v_mul_f64_e32 v[14:15], v[6:7], v[14:15]
	v_add_f64_e32 v[30:31], 0, v[30:31]
	v_fmac_f64_e32 v[200:201], v[188:189], v[8:9]
	v_fma_f64 v[186:187], v[186:187], v[8:9], -v[10:11]
	v_add_f64_e32 v[188:189], 0, v[198:199]
	scratch_load_b128 v[8:11], off, off offset:560
	v_fmac_f64_e32 v[202:203], v[6:7], v[12:13]
	v_fma_f64 v[204:205], v[4:5], v[12:13], -v[14:15]
	ds_load_b128 v[4:7], v2 offset:1424
	s_wait_loadcnt 0xb
	v_mul_f64_e32 v[198:199], v[194:195], v[18:19]
	v_mul_f64_e32 v[18:19], v[196:197], v[18:19]
	scratch_load_b128 v[12:15], off, off offset:576
	v_add_f64_e32 v[30:31], v[30:31], v[186:187]
	v_add_f64_e32 v[200:201], v[188:189], v[200:201]
	ds_load_b128 v[186:189], v2 offset:1440
	s_wait_loadcnt_dscnt 0xb01
	v_mul_f64_e32 v[206:207], v[4:5], v[24:25]
	v_mul_f64_e32 v[24:25], v[6:7], v[24:25]
	v_fmac_f64_e32 v[198:199], v[196:197], v[16:17]
	v_fma_f64 v[194:195], v[194:195], v[16:17], -v[18:19]
	scratch_load_b128 v[16:19], off, off offset:592
	v_add_f64_e32 v[30:31], v[30:31], v[204:205]
	v_add_f64_e32 v[196:197], v[200:201], v[202:203]
	v_fmac_f64_e32 v[206:207], v[6:7], v[22:23]
	v_fma_f64 v[204:205], v[4:5], v[22:23], -v[24:25]
	ds_load_b128 v[4:7], v2 offset:1456
	s_wait_loadcnt_dscnt 0xb01
	v_mul_f64_e32 v[200:201], v[186:187], v[28:29]
	v_mul_f64_e32 v[202:203], v[188:189], v[28:29]
	scratch_load_b128 v[22:25], off, off offset:608
	v_add_f64_e32 v[194:195], v[30:31], v[194:195]
	v_add_f64_e32 v[196:197], v[196:197], v[198:199]
	s_wait_loadcnt_dscnt 0xb00
	v_mul_f64_e32 v[198:199], v[4:5], v[160:161]
	v_mul_f64_e32 v[160:161], v[6:7], v[160:161]
	ds_load_b128 v[28:31], v2 offset:1472
	v_fmac_f64_e32 v[200:201], v[188:189], v[26:27]
	v_fma_f64 v[26:27], v[186:187], v[26:27], -v[202:203]
	scratch_load_b128 v[186:189], off, off offset:624
	v_add_f64_e32 v[194:195], v[194:195], v[204:205]
	v_add_f64_e32 v[196:197], v[196:197], v[206:207]
	v_fmac_f64_e32 v[198:199], v[6:7], v[158:159]
	v_fma_f64 v[204:205], v[4:5], v[158:159], -v[160:161]
	ds_load_b128 v[4:7], v2 offset:1488
	s_wait_loadcnt_dscnt 0xb01
	v_mul_f64_e32 v[202:203], v[28:29], v[164:165]
	v_mul_f64_e32 v[164:165], v[30:31], v[164:165]
	scratch_load_b128 v[158:161], off, off offset:640
	s_wait_loadcnt_dscnt 0xb00
	v_mul_f64_e32 v[206:207], v[4:5], v[168:169]
	v_mul_f64_e32 v[168:169], v[6:7], v[168:169]
	v_add_f64_e32 v[26:27], v[194:195], v[26:27]
	v_add_f64_e32 v[200:201], v[196:197], v[200:201]
	ds_load_b128 v[194:197], v2 offset:1504
	v_fmac_f64_e32 v[202:203], v[30:31], v[162:163]
	v_fma_f64 v[30:31], v[28:29], v[162:163], -v[164:165]
	v_fmac_f64_e32 v[206:207], v[6:7], v[166:167]
	v_add_f64_e32 v[162:163], v[26:27], v[204:205]
	v_add_f64_e32 v[164:165], v[200:201], v[198:199]
	scratch_load_b128 v[26:29], off, off offset:656
	v_fma_f64 v[200:201], v[4:5], v[166:167], -v[168:169]
	ds_load_b128 v[4:7], v2 offset:1520
	s_wait_loadcnt_dscnt 0xb01
	v_mul_f64_e32 v[198:199], v[194:195], v[172:173]
	v_mul_f64_e32 v[172:173], v[196:197], v[172:173]
	ds_load_b128 v[166:169], v2 offset:1536
	s_wait_loadcnt_dscnt 0xa01
	v_mul_f64_e32 v[204:205], v[4:5], v[180:181]
	v_mul_f64_e32 v[180:181], v[6:7], v[180:181]
	v_add_f64_e32 v[30:31], v[162:163], v[30:31]
	v_add_f64_e32 v[202:203], v[164:165], v[202:203]
	scratch_load_b128 v[162:165], off, off offset:672
	v_fmac_f64_e32 v[198:199], v[196:197], v[170:171]
	v_fma_f64 v[194:195], v[194:195], v[170:171], -v[172:173]
	scratch_load_b128 v[170:173], off, off offset:688
	v_fmac_f64_e32 v[204:205], v[6:7], v[178:179]
	v_add_f64_e32 v[30:31], v[30:31], v[200:201]
	v_add_f64_e32 v[196:197], v[202:203], v[206:207]
	v_fma_f64 v[206:207], v[4:5], v[178:179], -v[180:181]
	ds_load_b128 v[4:7], v2 offset:1552
	s_wait_loadcnt_dscnt 0xa01
	v_mul_f64_e32 v[200:201], v[166:167], v[192:193]
	v_mul_f64_e32 v[202:203], v[168:169], v[192:193]
	scratch_load_b128 v[178:181], off, off offset:704
	v_add_f64_e32 v[30:31], v[30:31], v[194:195]
	v_add_f64_e32 v[196:197], v[196:197], v[198:199]
	s_wait_loadcnt_dscnt 0xa00
	v_mul_f64_e32 v[208:209], v[4:5], v[176:177]
	v_mul_f64_e32 v[176:177], v[6:7], v[176:177]
	v_fmac_f64_e32 v[200:201], v[168:169], v[190:191]
	v_fma_f64 v[190:191], v[166:167], v[190:191], -v[202:203]
	ds_load_b128 v[192:195], v2 offset:1568
	scratch_load_b128 v[166:169], off, off offset:720
	v_add_f64_e32 v[30:31], v[30:31], v[206:207]
	v_add_f64_e32 v[196:197], v[196:197], v[204:205]
	v_fmac_f64_e32 v[208:209], v[6:7], v[174:175]
	v_fma_f64 v[204:205], v[4:5], v[174:175], -v[176:177]
	ds_load_b128 v[4:7], v2 offset:1584
	s_wait_loadcnt_dscnt 0xa01
	v_mul_f64_e32 v[202:203], v[192:193], v[10:11]
	v_mul_f64_e32 v[10:11], v[194:195], v[10:11]
	scratch_load_b128 v[174:177], off, off offset:736
	v_add_f64_e32 v[30:31], v[30:31], v[190:191]
	v_add_f64_e32 v[190:191], v[196:197], v[200:201]
	s_wait_loadcnt_dscnt 0xa00
	v_mul_f64_e32 v[200:201], v[4:5], v[14:15]
	v_mul_f64_e32 v[14:15], v[6:7], v[14:15]
	ds_load_b128 v[196:199], v2 offset:1600
	v_fmac_f64_e32 v[202:203], v[194:195], v[8:9]
	v_fma_f64 v[192:193], v[192:193], v[8:9], -v[10:11]
	scratch_load_b128 v[8:11], off, off offset:752
	v_add_f64_e32 v[30:31], v[30:31], v[204:205]
	v_add_f64_e32 v[190:191], v[190:191], v[208:209]
	v_fmac_f64_e32 v[200:201], v[6:7], v[12:13]
	v_fma_f64 v[204:205], v[4:5], v[12:13], -v[14:15]
	ds_load_b128 v[4:7], v2 offset:1616
	s_wait_loadcnt_dscnt 0xa01
	v_mul_f64_e32 v[194:195], v[196:197], v[18:19]
	v_mul_f64_e32 v[18:19], v[198:199], v[18:19]
	scratch_load_b128 v[12:15], off, off offset:768
	s_wait_loadcnt_dscnt 0xa00
	v_mul_f64_e32 v[206:207], v[4:5], v[24:25]
	v_mul_f64_e32 v[24:25], v[6:7], v[24:25]
	v_add_f64_e32 v[30:31], v[30:31], v[192:193]
	v_add_f64_e32 v[202:203], v[190:191], v[202:203]
	ds_load_b128 v[190:193], v2 offset:1632
	v_fmac_f64_e32 v[194:195], v[198:199], v[16:17]
	v_fma_f64 v[196:197], v[196:197], v[16:17], -v[18:19]
	scratch_load_b128 v[16:19], off, off offset:784
	v_fmac_f64_e32 v[206:207], v[6:7], v[22:23]
	v_add_f64_e32 v[30:31], v[30:31], v[204:205]
	v_add_f64_e32 v[198:199], v[202:203], v[200:201]
	v_fma_f64 v[202:203], v[4:5], v[22:23], -v[24:25]
	ds_load_b128 v[4:7], v2 offset:1648
	s_wait_loadcnt_dscnt 0xa01
	v_mul_f64_e32 v[200:201], v[190:191], v[188:189]
	v_mul_f64_e32 v[188:189], v[192:193], v[188:189]
	scratch_load_b128 v[22:25], off, off offset:800
	s_wait_loadcnt_dscnt 0xa00
	v_mul_f64_e32 v[204:205], v[4:5], v[160:161]
	v_mul_f64_e32 v[160:161], v[6:7], v[160:161]
	v_add_f64_e32 v[30:31], v[30:31], v[196:197]
	v_add_f64_e32 v[198:199], v[198:199], v[194:195]
	ds_load_b128 v[194:197], v2 offset:1664
	v_fmac_f64_e32 v[200:201], v[192:193], v[186:187]
	v_fma_f64 v[190:191], v[190:191], v[186:187], -v[188:189]
	scratch_load_b128 v[186:189], off, off offset:816
	v_fmac_f64_e32 v[204:205], v[6:7], v[158:159]
	v_add_f64_e32 v[30:31], v[30:31], v[202:203]
	v_add_f64_e32 v[192:193], v[198:199], v[206:207]
	v_fma_f64 v[206:207], v[4:5], v[158:159], -v[160:161]
	ds_load_b128 v[4:7], v2 offset:1680
	s_wait_loadcnt_dscnt 0xa01
	v_mul_f64_e32 v[198:199], v[194:195], v[28:29]
	v_mul_f64_e32 v[202:203], v[196:197], v[28:29]
	ds_load_b128 v[158:161], v2 offset:1696
	v_add_f64_e32 v[190:191], v[30:31], v[190:191]
	v_add_f64_e32 v[192:193], v[192:193], v[200:201]
	scratch_load_b128 v[28:31], off, off offset:832
	s_wait_loadcnt_dscnt 0xa01
	v_mul_f64_e32 v[200:201], v[4:5], v[164:165]
	v_mul_f64_e32 v[164:165], v[6:7], v[164:165]
	v_fmac_f64_e32 v[198:199], v[196:197], v[26:27]
	v_fma_f64 v[26:27], v[194:195], v[26:27], -v[202:203]
	v_add_f64_e32 v[194:195], v[190:191], v[206:207]
	v_add_f64_e32 v[196:197], v[192:193], v[204:205]
	scratch_load_b128 v[190:193], off, off offset:848
	v_fmac_f64_e32 v[200:201], v[6:7], v[162:163]
	v_fma_f64 v[204:205], v[4:5], v[162:163], -v[164:165]
	ds_load_b128 v[4:7], v2 offset:1712
	s_wait_loadcnt_dscnt 0xa01
	v_mul_f64_e32 v[202:203], v[158:159], v[172:173]
	v_mul_f64_e32 v[172:173], v[160:161], v[172:173]
	scratch_load_b128 v[162:165], off, off offset:864
	s_wait_loadcnt_dscnt 0xa00
	v_mul_f64_e32 v[206:207], v[4:5], v[180:181]
	v_mul_f64_e32 v[180:181], v[6:7], v[180:181]
	v_add_f64_e32 v[26:27], v[194:195], v[26:27]
	v_add_f64_e32 v[198:199], v[196:197], v[198:199]
	ds_load_b128 v[194:197], v2 offset:1728
	v_fmac_f64_e32 v[202:203], v[160:161], v[170:171]
	v_fma_f64 v[170:171], v[158:159], v[170:171], -v[172:173]
	scratch_load_b128 v[158:161], off, off offset:880
	v_fmac_f64_e32 v[206:207], v[6:7], v[178:179]
	v_add_f64_e32 v[26:27], v[26:27], v[204:205]
	v_add_f64_e32 v[172:173], v[198:199], v[200:201]
	v_fma_f64 v[204:205], v[4:5], v[178:179], -v[180:181]
	ds_load_b128 v[4:7], v2 offset:1744
	s_wait_loadcnt_dscnt 0xa01
	v_mul_f64_e32 v[198:199], v[194:195], v[168:169]
	v_mul_f64_e32 v[200:201], v[196:197], v[168:169]
	ds_load_b128 v[178:181], v2 offset:1760
	v_add_f64_e32 v[26:27], v[26:27], v[170:171]
	v_add_f64_e32 v[172:173], v[172:173], v[202:203]
	scratch_load_b128 v[168:171], off, off offset:896
	s_wait_loadcnt_dscnt 0xa01
	v_mul_f64_e32 v[202:203], v[4:5], v[176:177]
	v_mul_f64_e32 v[176:177], v[6:7], v[176:177]
	v_fmac_f64_e32 v[198:199], v[196:197], v[166:167]
	v_fma_f64 v[166:167], v[194:195], v[166:167], -v[200:201]
	scratch_load_b128 v[194:197], off, off offset:912
	v_add_f64_e32 v[26:27], v[26:27], v[204:205]
	v_add_f64_e32 v[172:173], v[172:173], v[206:207]
	v_fmac_f64_e32 v[202:203], v[6:7], v[174:175]
	v_fma_f64 v[176:177], v[4:5], v[174:175], -v[176:177]
	ds_load_b128 v[4:7], v2 offset:1776
	s_wait_loadcnt_dscnt 0xa01
	v_mul_f64_e32 v[204:205], v[178:179], v[10:11]
	v_mul_f64_e32 v[10:11], v[180:181], v[10:11]
	s_wait_loadcnt_dscnt 0x900
	v_mul_f64_e32 v[206:207], v[4:5], v[14:15]
	v_mul_f64_e32 v[14:15], v[6:7], v[14:15]
	v_add_f64_e32 v[26:27], v[26:27], v[166:167]
	v_add_f64_e32 v[166:167], v[172:173], v[198:199]
	scratch_load_b128 v[172:175], off, off offset:928
	ds_load_b128 v[198:201], v2 offset:1792
	v_fmac_f64_e32 v[204:205], v[180:181], v[8:9]
	v_fma_f64 v[178:179], v[178:179], v[8:9], -v[10:11]
	scratch_load_b128 v[8:11], off, off offset:944
	v_fmac_f64_e32 v[206:207], v[6:7], v[12:13]
	v_add_f64_e32 v[26:27], v[26:27], v[176:177]
	v_add_f64_e32 v[166:167], v[166:167], v[202:203]
	v_fma_f64 v[202:203], v[4:5], v[12:13], -v[14:15]
	ds_load_b128 v[4:7], v2 offset:1808
	s_wait_loadcnt_dscnt 0xa01
	v_mul_f64_e32 v[180:181], v[198:199], v[18:19]
	v_mul_f64_e32 v[18:19], v[200:201], v[18:19]
	scratch_load_b128 v[12:15], off, off offset:960
	v_add_f64_e32 v[26:27], v[26:27], v[178:179]
	v_add_f64_e32 v[166:167], v[166:167], v[204:205]
	s_wait_loadcnt_dscnt 0xa00
	v_mul_f64_e32 v[204:205], v[4:5], v[24:25]
	v_mul_f64_e32 v[24:25], v[6:7], v[24:25]
	v_fmac_f64_e32 v[180:181], v[200:201], v[16:17]
	v_fma_f64 v[198:199], v[198:199], v[16:17], -v[18:19]
	ds_load_b128 v[176:179], v2 offset:1824
	scratch_load_b128 v[16:19], off, off offset:976
	v_add_f64_e32 v[26:27], v[26:27], v[202:203]
	v_add_f64_e32 v[166:167], v[166:167], v[206:207]
	v_fmac_f64_e32 v[204:205], v[6:7], v[22:23]
	v_fma_f64 v[206:207], v[4:5], v[22:23], -v[24:25]
	ds_load_b128 v[4:7], v2 offset:1840
	s_wait_loadcnt_dscnt 0xa01
	v_mul_f64_e32 v[202:203], v[176:177], v[188:189]
	v_mul_f64_e32 v[188:189], v[178:179], v[188:189]
	scratch_load_b128 v[22:25], off, off offset:992
	v_add_f64_e32 v[26:27], v[26:27], v[198:199]
	v_add_f64_e32 v[166:167], v[166:167], v[180:181]
	s_wait_loadcnt_dscnt 0xa00
	v_mul_f64_e32 v[180:181], v[4:5], v[30:31]
	v_mul_f64_e32 v[30:31], v[6:7], v[30:31]
	ds_load_b128 v[198:201], v2 offset:1856
	v_fmac_f64_e32 v[202:203], v[178:179], v[186:187]
	v_fma_f64 v[176:177], v[176:177], v[186:187], -v[188:189]
	v_add_f64_e32 v[26:27], v[26:27], v[206:207]
	v_add_f64_e32 v[166:167], v[166:167], v[204:205]
	s_wait_loadcnt_dscnt 0x900
	v_mul_f64_e32 v[178:179], v[198:199], v[192:193]
	v_mul_f64_e32 v[186:187], v[200:201], v[192:193]
	v_fmac_f64_e32 v[180:181], v[6:7], v[28:29]
	v_fma_f64 v[30:31], v[4:5], v[28:29], -v[30:31]
	v_add_f64_e32 v[176:177], v[26:27], v[176:177]
	v_add_f64_e32 v[166:167], v[166:167], v[202:203]
	ds_load_b128 v[4:7], v2 offset:1872
	ds_load_b128 v[26:29], v2 offset:1888
	v_fmac_f64_e32 v[178:179], v[200:201], v[190:191]
	v_fma_f64 v[186:187], v[198:199], v[190:191], -v[186:187]
	s_wait_loadcnt_dscnt 0x801
	v_mul_f64_e32 v[188:189], v[4:5], v[164:165]
	v_mul_f64_e32 v[164:165], v[6:7], v[164:165]
	v_add_f64_e32 v[30:31], v[176:177], v[30:31]
	v_add_f64_e32 v[166:167], v[166:167], v[180:181]
	s_wait_loadcnt_dscnt 0x700
	v_mul_f64_e32 v[176:177], v[26:27], v[160:161]
	v_mul_f64_e32 v[180:181], v[28:29], v[160:161]
	v_fmac_f64_e32 v[188:189], v[6:7], v[162:163]
	v_fma_f64 v[164:165], v[4:5], v[162:163], -v[164:165]
	ds_load_b128 v[4:7], v2 offset:1904
	ds_load_b128 v[160:163], v2 offset:1920
	v_add_f64_e32 v[30:31], v[30:31], v[186:187]
	v_add_f64_e32 v[166:167], v[166:167], v[178:179]
	v_fmac_f64_e32 v[176:177], v[28:29], v[158:159]
	v_fma_f64 v[26:27], v[26:27], v[158:159], -v[180:181]
	s_wait_loadcnt_dscnt 0x601
	v_mul_f64_e32 v[178:179], v[4:5], v[170:171]
	v_mul_f64_e32 v[170:171], v[6:7], v[170:171]
	s_wait_loadcnt_dscnt 0x500
	v_mul_f64_e32 v[158:159], v[160:161], v[196:197]
	v_add_f64_e32 v[28:29], v[30:31], v[164:165]
	v_add_f64_e32 v[30:31], v[166:167], v[188:189]
	v_mul_f64_e32 v[164:165], v[162:163], v[196:197]
	v_fmac_f64_e32 v[178:179], v[6:7], v[168:169]
	v_fma_f64 v[166:167], v[4:5], v[168:169], -v[170:171]
	v_fmac_f64_e32 v[158:159], v[162:163], v[194:195]
	v_add_f64_e32 v[168:169], v[28:29], v[26:27]
	v_add_f64_e32 v[30:31], v[30:31], v[176:177]
	ds_load_b128 v[4:7], v2 offset:1936
	ds_load_b128 v[26:29], v2 offset:1952
	v_fma_f64 v[160:161], v[160:161], v[194:195], -v[164:165]
	s_wait_loadcnt_dscnt 0x401
	v_mul_f64_e32 v[170:171], v[4:5], v[174:175]
	v_mul_f64_e32 v[174:175], v[6:7], v[174:175]
	s_wait_loadcnt_dscnt 0x300
	v_mul_f64_e32 v[164:165], v[26:27], v[10:11]
	v_mul_f64_e32 v[10:11], v[28:29], v[10:11]
	v_add_f64_e32 v[162:163], v[168:169], v[166:167]
	v_add_f64_e32 v[30:31], v[30:31], v[178:179]
	v_fmac_f64_e32 v[170:171], v[6:7], v[172:173]
	v_fma_f64 v[166:167], v[4:5], v[172:173], -v[174:175]
	v_fmac_f64_e32 v[164:165], v[28:29], v[8:9]
	v_fma_f64 v[8:9], v[26:27], v[8:9], -v[10:11]
	v_add_f64_e32 v[162:163], v[162:163], v[160:161]
	v_add_f64_e32 v[30:31], v[30:31], v[158:159]
	ds_load_b128 v[4:7], v2 offset:1968
	ds_load_b128 v[158:161], v2 offset:1984
	s_wait_loadcnt_dscnt 0x201
	v_mul_f64_e32 v[168:169], v[4:5], v[14:15]
	v_mul_f64_e32 v[14:15], v[6:7], v[14:15]
	s_wait_loadcnt_dscnt 0x100
	v_mul_f64_e32 v[28:29], v[158:159], v[18:19]
	v_mul_f64_e32 v[18:19], v[160:161], v[18:19]
	v_add_f64_e32 v[10:11], v[162:163], v[166:167]
	v_add_f64_e32 v[26:27], v[30:31], v[170:171]
	v_fmac_f64_e32 v[168:169], v[6:7], v[12:13]
	v_fma_f64 v[12:13], v[4:5], v[12:13], -v[14:15]
	ds_load_b128 v[4:7], v2 offset:2000
	v_fmac_f64_e32 v[28:29], v[160:161], v[16:17]
	v_fma_f64 v[16:17], v[158:159], v[16:17], -v[18:19]
	v_add_f64_e32 v[8:9], v[10:11], v[8:9]
	v_add_f64_e32 v[10:11], v[26:27], v[164:165]
	s_wait_loadcnt_dscnt 0x0
	v_mul_f64_e32 v[14:15], v[4:5], v[24:25]
	v_mul_f64_e32 v[24:25], v[6:7], v[24:25]
	s_delay_alu instid0(VALU_DEP_4) | instskip(NEXT) | instid1(VALU_DEP_4)
	v_add_f64_e32 v[8:9], v[8:9], v[12:13]
	v_add_f64_e32 v[10:11], v[10:11], v[168:169]
	s_delay_alu instid0(VALU_DEP_4) | instskip(NEXT) | instid1(VALU_DEP_4)
	v_fmac_f64_e32 v[14:15], v[6:7], v[22:23]
	v_fma_f64 v[4:5], v[4:5], v[22:23], -v[24:25]
	s_delay_alu instid0(VALU_DEP_4) | instskip(NEXT) | instid1(VALU_DEP_4)
	v_add_f64_e32 v[6:7], v[8:9], v[16:17]
	v_add_f64_e32 v[8:9], v[10:11], v[28:29]
	s_delay_alu instid0(VALU_DEP_2) | instskip(NEXT) | instid1(VALU_DEP_2)
	v_add_f64_e32 v[4:5], v[6:7], v[4:5]
	v_add_f64_e32 v[6:7], v[8:9], v[14:15]
	s_delay_alu instid0(VALU_DEP_2) | instskip(NEXT) | instid1(VALU_DEP_2)
	v_add_f64_e64 v[4:5], v[182:183], -v[4:5]
	v_add_f64_e64 v[6:7], v[184:185], -v[6:7]
	scratch_store_b128 off, v[4:7], off offset:336
	s_wait_xcnt 0x0
	v_cmpx_lt_u32_e32 20, v1
	s_cbranch_execz .LBB126_363
; %bb.362:
	scratch_load_b128 v[6:9], off, s61
	v_dual_mov_b32 v3, v2 :: v_dual_mov_b32 v4, v2
	v_mov_b32_e32 v5, v2
	scratch_store_b128 off, v[2:5], off offset:320
	s_wait_loadcnt 0x0
	ds_store_b128 v20, v[6:9]
.LBB126_363:
	s_wait_xcnt 0x0
	s_or_b32 exec_lo, exec_lo, s2
	s_wait_storecnt_dscnt 0x0
	s_barrier_signal -1
	s_barrier_wait -1
	s_clause 0x9
	scratch_load_b128 v[4:7], off, off offset:336
	scratch_load_b128 v[8:11], off, off offset:352
	;; [unrolled: 1-line block ×10, first 2 shown]
	ds_load_b128 v[174:177], v2 offset:1344
	ds_load_b128 v[182:185], v2 offset:1360
	s_clause 0x2
	scratch_load_b128 v[178:181], off, off offset:496
	scratch_load_b128 v[186:189], off, off offset:320
	;; [unrolled: 1-line block ×3, first 2 shown]
	s_mov_b32 s2, exec_lo
	s_wait_loadcnt_dscnt 0xc01
	v_mul_f64_e32 v[30:31], v[176:177], v[6:7]
	v_mul_f64_e32 v[198:199], v[174:175], v[6:7]
	s_wait_loadcnt_dscnt 0xb00
	v_mul_f64_e32 v[200:201], v[182:183], v[10:11]
	v_mul_f64_e32 v[10:11], v[184:185], v[10:11]
	s_delay_alu instid0(VALU_DEP_4) | instskip(NEXT) | instid1(VALU_DEP_4)
	v_fma_f64 v[30:31], v[174:175], v[4:5], -v[30:31]
	v_fmac_f64_e32 v[198:199], v[176:177], v[4:5]
	ds_load_b128 v[4:7], v2 offset:1376
	ds_load_b128 v[174:177], v2 offset:1392
	scratch_load_b128 v[194:197], off, off offset:528
	v_fmac_f64_e32 v[200:201], v[184:185], v[8:9]
	v_fma_f64 v[182:183], v[182:183], v[8:9], -v[10:11]
	scratch_load_b128 v[8:11], off, off offset:544
	s_wait_loadcnt_dscnt 0xc01
	v_mul_f64_e32 v[202:203], v[4:5], v[14:15]
	v_mul_f64_e32 v[14:15], v[6:7], v[14:15]
	v_add_f64_e32 v[30:31], 0, v[30:31]
	v_add_f64_e32 v[184:185], 0, v[198:199]
	s_wait_loadcnt_dscnt 0xb00
	v_mul_f64_e32 v[198:199], v[174:175], v[18:19]
	v_mul_f64_e32 v[18:19], v[176:177], v[18:19]
	v_fmac_f64_e32 v[202:203], v[6:7], v[12:13]
	v_fma_f64 v[204:205], v[4:5], v[12:13], -v[14:15]
	ds_load_b128 v[4:7], v2 offset:1408
	ds_load_b128 v[12:15], v2 offset:1424
	v_add_f64_e32 v[30:31], v[30:31], v[182:183]
	v_add_f64_e32 v[200:201], v[184:185], v[200:201]
	scratch_load_b128 v[182:185], off, off offset:560
	v_fmac_f64_e32 v[198:199], v[176:177], v[16:17]
	v_fma_f64 v[174:175], v[174:175], v[16:17], -v[18:19]
	scratch_load_b128 v[16:19], off, off offset:576
	s_wait_loadcnt_dscnt 0xc01
	v_mul_f64_e32 v[206:207], v[4:5], v[24:25]
	v_mul_f64_e32 v[24:25], v[6:7], v[24:25]
	v_add_f64_e32 v[30:31], v[30:31], v[204:205]
	v_add_f64_e32 v[176:177], v[200:201], v[202:203]
	s_wait_loadcnt_dscnt 0xb00
	v_mul_f64_e32 v[200:201], v[12:13], v[28:29]
	v_mul_f64_e32 v[202:203], v[14:15], v[28:29]
	v_fmac_f64_e32 v[206:207], v[6:7], v[22:23]
	v_fma_f64 v[204:205], v[4:5], v[22:23], -v[24:25]
	ds_load_b128 v[4:7], v2 offset:1440
	ds_load_b128 v[22:25], v2 offset:1456
	v_add_f64_e32 v[174:175], v[30:31], v[174:175]
	v_add_f64_e32 v[176:177], v[176:177], v[198:199]
	scratch_load_b128 v[28:31], off, off offset:592
	s_wait_loadcnt_dscnt 0xb01
	v_mul_f64_e32 v[198:199], v[4:5], v[160:161]
	v_mul_f64_e32 v[160:161], v[6:7], v[160:161]
	v_fmac_f64_e32 v[200:201], v[14:15], v[26:27]
	v_fma_f64 v[26:27], v[12:13], v[26:27], -v[202:203]
	scratch_load_b128 v[12:15], off, off offset:608
	s_wait_loadcnt_dscnt 0xb00
	v_mul_f64_e32 v[202:203], v[22:23], v[164:165]
	v_mul_f64_e32 v[164:165], v[24:25], v[164:165]
	v_add_f64_e32 v[174:175], v[174:175], v[204:205]
	v_add_f64_e32 v[176:177], v[176:177], v[206:207]
	v_fmac_f64_e32 v[198:199], v[6:7], v[158:159]
	v_fma_f64 v[204:205], v[4:5], v[158:159], -v[160:161]
	ds_load_b128 v[4:7], v2 offset:1472
	ds_load_b128 v[158:161], v2 offset:1488
	v_fmac_f64_e32 v[202:203], v[24:25], v[162:163]
	v_fma_f64 v[162:163], v[22:23], v[162:163], -v[164:165]
	scratch_load_b128 v[22:25], off, off offset:640
	s_wait_loadcnt_dscnt 0xb01
	v_mul_f64_e32 v[206:207], v[4:5], v[168:169]
	v_mul_f64_e32 v[168:169], v[6:7], v[168:169]
	v_add_f64_e32 v[26:27], v[174:175], v[26:27]
	v_add_f64_e32 v[200:201], v[176:177], v[200:201]
	scratch_load_b128 v[174:177], off, off offset:624
	v_fmac_f64_e32 v[206:207], v[6:7], v[166:167]
	v_add_f64_e32 v[26:27], v[26:27], v[204:205]
	v_add_f64_e32 v[164:165], v[200:201], v[198:199]
	s_wait_loadcnt_dscnt 0xb00
	v_mul_f64_e32 v[198:199], v[158:159], v[172:173]
	v_mul_f64_e32 v[172:173], v[160:161], v[172:173]
	v_fma_f64 v[200:201], v[4:5], v[166:167], -v[168:169]
	v_add_f64_e32 v[26:27], v[26:27], v[162:163]
	v_add_f64_e32 v[202:203], v[164:165], v[202:203]
	ds_load_b128 v[4:7], v2 offset:1504
	ds_load_b128 v[162:165], v2 offset:1520
	scratch_load_b128 v[166:169], off, off offset:656
	v_fmac_f64_e32 v[198:199], v[160:161], v[170:171]
	v_fma_f64 v[170:171], v[158:159], v[170:171], -v[172:173]
	scratch_load_b128 v[158:161], off, off offset:672
	s_wait_loadcnt_dscnt 0xc01
	v_mul_f64_e32 v[204:205], v[4:5], v[180:181]
	v_mul_f64_e32 v[180:181], v[6:7], v[180:181]
	v_add_f64_e32 v[26:27], v[26:27], v[200:201]
	v_add_f64_e32 v[172:173], v[202:203], v[206:207]
	s_wait_loadcnt_dscnt 0xa00
	v_mul_f64_e32 v[200:201], v[162:163], v[192:193]
	v_mul_f64_e32 v[192:193], v[164:165], v[192:193]
	v_fmac_f64_e32 v[204:205], v[6:7], v[178:179]
	v_fma_f64 v[202:203], v[4:5], v[178:179], -v[180:181]
	v_add_f64_e32 v[26:27], v[26:27], v[170:171]
	v_add_f64_e32 v[198:199], v[172:173], v[198:199]
	ds_load_b128 v[4:7], v2 offset:1536
	ds_load_b128 v[170:173], v2 offset:1552
	scratch_load_b128 v[178:181], off, off offset:688
	v_fmac_f64_e32 v[200:201], v[164:165], v[190:191]
	v_fma_f64 v[190:191], v[162:163], v[190:191], -v[192:193]
	scratch_load_b128 v[162:165], off, off offset:704
	s_wait_loadcnt_dscnt 0xb01
	v_mul_f64_e32 v[206:207], v[4:5], v[196:197]
	v_mul_f64_e32 v[196:197], v[6:7], v[196:197]
	v_add_f64_e32 v[26:27], v[26:27], v[202:203]
	v_add_f64_e32 v[192:193], v[198:199], v[204:205]
	s_wait_loadcnt_dscnt 0xa00
	v_mul_f64_e32 v[198:199], v[170:171], v[10:11]
	v_mul_f64_e32 v[10:11], v[172:173], v[10:11]
	v_fmac_f64_e32 v[206:207], v[6:7], v[194:195]
	;; [unrolled: 18-line block ×4, first 2 shown]
	v_fma_f64 v[30:31], v[4:5], v[28:29], -v[30:31]
	v_add_f64_e32 v[202:203], v[26:27], v[190:191]
	v_add_f64_e32 v[200:201], v[192:193], v[200:201]
	ds_load_b128 v[4:7], v2 offset:1632
	ds_load_b128 v[26:29], v2 offset:1648
	scratch_load_b128 v[190:193], off, off offset:784
	v_fmac_f64_e32 v[198:199], v[172:173], v[12:13]
	v_fma_f64 v[170:171], v[170:171], v[12:13], -v[14:15]
	scratch_load_b128 v[12:15], off, off offset:800
	s_wait_loadcnt_dscnt 0xa01
	v_mul_f64_e32 v[204:205], v[4:5], v[176:177]
	v_mul_f64_e32 v[176:177], v[6:7], v[176:177]
	v_add_f64_e32 v[30:31], v[202:203], v[30:31]
	v_add_f64_e32 v[172:173], v[200:201], v[206:207]
	s_wait_dscnt 0x0
	v_mul_f64_e32 v[200:201], v[26:27], v[24:25]
	v_mul_f64_e32 v[24:25], v[28:29], v[24:25]
	v_fmac_f64_e32 v[204:205], v[6:7], v[174:175]
	v_fma_f64 v[202:203], v[4:5], v[174:175], -v[176:177]
	v_add_f64_e32 v[30:31], v[30:31], v[170:171]
	v_add_f64_e32 v[198:199], v[172:173], v[198:199]
	ds_load_b128 v[4:7], v2 offset:1664
	ds_load_b128 v[170:173], v2 offset:1680
	scratch_load_b128 v[174:177], off, off offset:816
	v_fmac_f64_e32 v[200:201], v[28:29], v[22:23]
	v_fma_f64 v[26:27], v[26:27], v[22:23], -v[24:25]
	scratch_load_b128 v[22:25], off, off offset:832
	s_wait_loadcnt_dscnt 0xb01
	v_mul_f64_e32 v[206:207], v[4:5], v[168:169]
	v_mul_f64_e32 v[168:169], v[6:7], v[168:169]
	v_add_f64_e32 v[28:29], v[30:31], v[202:203]
	v_add_f64_e32 v[30:31], v[198:199], v[204:205]
	s_wait_loadcnt_dscnt 0xa00
	v_mul_f64_e32 v[198:199], v[170:171], v[160:161]
	v_mul_f64_e32 v[160:161], v[172:173], v[160:161]
	v_fmac_f64_e32 v[206:207], v[6:7], v[166:167]
	v_fma_f64 v[202:203], v[4:5], v[166:167], -v[168:169]
	v_add_f64_e32 v[204:205], v[28:29], v[26:27]
	v_add_f64_e32 v[30:31], v[30:31], v[200:201]
	ds_load_b128 v[4:7], v2 offset:1696
	ds_load_b128 v[26:29], v2 offset:1712
	scratch_load_b128 v[166:169], off, off offset:848
	v_fmac_f64_e32 v[198:199], v[172:173], v[158:159]
	v_fma_f64 v[170:171], v[170:171], v[158:159], -v[160:161]
	scratch_load_b128 v[158:161], off, off offset:864
	s_wait_loadcnt_dscnt 0xb01
	v_mul_f64_e32 v[200:201], v[4:5], v[180:181]
	v_mul_f64_e32 v[180:181], v[6:7], v[180:181]
	v_add_f64_e32 v[172:173], v[204:205], v[202:203]
	v_add_f64_e32 v[30:31], v[30:31], v[206:207]
	s_wait_loadcnt_dscnt 0xa00
	;; [unrolled: 18-line block ×6, first 2 shown]
	v_mul_f64_e32 v[200:201], v[162:163], v[24:25]
	v_mul_f64_e32 v[24:25], v[164:165], v[24:25]
	v_fmac_f64_e32 v[198:199], v[6:7], v[174:175]
	v_fma_f64 v[174:175], v[4:5], v[174:175], -v[176:177]
	v_add_f64_e32 v[176:177], v[172:173], v[170:171]
	v_add_f64_e32 v[30:31], v[30:31], v[202:203]
	ds_load_b128 v[4:7], v2 offset:1856
	ds_load_b128 v[170:173], v2 offset:1872
	v_fmac_f64_e32 v[200:201], v[164:165], v[22:23]
	v_fma_f64 v[22:23], v[162:163], v[22:23], -v[24:25]
	s_wait_loadcnt_dscnt 0x901
	v_mul_f64_e32 v[202:203], v[4:5], v[168:169]
	v_mul_f64_e32 v[168:169], v[6:7], v[168:169]
	s_wait_loadcnt_dscnt 0x800
	v_mul_f64_e32 v[162:163], v[170:171], v[160:161]
	v_mul_f64_e32 v[160:161], v[172:173], v[160:161]
	v_add_f64_e32 v[24:25], v[176:177], v[174:175]
	v_add_f64_e32 v[30:31], v[30:31], v[198:199]
	v_fmac_f64_e32 v[202:203], v[6:7], v[166:167]
	v_fma_f64 v[164:165], v[4:5], v[166:167], -v[168:169]
	v_fmac_f64_e32 v[162:163], v[172:173], v[158:159]
	v_fma_f64 v[158:159], v[170:171], v[158:159], -v[160:161]
	v_add_f64_e32 v[166:167], v[24:25], v[22:23]
	v_add_f64_e32 v[30:31], v[30:31], v[200:201]
	ds_load_b128 v[4:7], v2 offset:1888
	ds_load_b128 v[22:25], v2 offset:1904
	s_wait_loadcnt_dscnt 0x701
	v_mul_f64_e32 v[168:169], v[4:5], v[180:181]
	v_mul_f64_e32 v[174:175], v[6:7], v[180:181]
	v_add_f64_e32 v[160:161], v[166:167], v[164:165]
	v_add_f64_e32 v[30:31], v[30:31], v[202:203]
	s_wait_loadcnt_dscnt 0x600
	v_mul_f64_e32 v[164:165], v[22:23], v[28:29]
	v_mul_f64_e32 v[166:167], v[24:25], v[28:29]
	v_fmac_f64_e32 v[168:169], v[6:7], v[178:179]
	v_fma_f64 v[170:171], v[4:5], v[178:179], -v[174:175]
	v_add_f64_e32 v[158:159], v[160:161], v[158:159]
	v_add_f64_e32 v[160:161], v[30:31], v[162:163]
	ds_load_b128 v[4:7], v2 offset:1920
	ds_load_b128 v[28:31], v2 offset:1936
	v_fmac_f64_e32 v[164:165], v[24:25], v[26:27]
	v_fma_f64 v[22:23], v[22:23], v[26:27], -v[166:167]
	s_wait_loadcnt_dscnt 0x501
	v_mul_f64_e32 v[162:163], v[4:5], v[196:197]
	v_mul_f64_e32 v[172:173], v[6:7], v[196:197]
	v_add_f64_e32 v[24:25], v[158:159], v[170:171]
	v_add_f64_e32 v[26:27], v[160:161], v[168:169]
	s_wait_loadcnt_dscnt 0x400
	v_mul_f64_e32 v[158:159], v[28:29], v[10:11]
	v_mul_f64_e32 v[10:11], v[30:31], v[10:11]
	v_fmac_f64_e32 v[162:163], v[6:7], v[194:195]
	v_fma_f64 v[160:161], v[4:5], v[194:195], -v[172:173]
	v_add_f64_e32 v[166:167], v[24:25], v[22:23]
	v_add_f64_e32 v[26:27], v[26:27], v[164:165]
	ds_load_b128 v[4:7], v2 offset:1952
	ds_load_b128 v[22:25], v2 offset:1968
	v_fmac_f64_e32 v[158:159], v[30:31], v[8:9]
	v_fma_f64 v[8:9], v[28:29], v[8:9], -v[10:11]
	s_wait_loadcnt_dscnt 0x301
	v_mul_f64_e32 v[164:165], v[4:5], v[184:185]
	v_mul_f64_e32 v[168:169], v[6:7], v[184:185]
	s_wait_loadcnt_dscnt 0x200
	v_mul_f64_e32 v[28:29], v[22:23], v[18:19]
	v_mul_f64_e32 v[18:19], v[24:25], v[18:19]
	v_add_f64_e32 v[10:11], v[166:167], v[160:161]
	v_add_f64_e32 v[26:27], v[26:27], v[162:163]
	v_fmac_f64_e32 v[164:165], v[6:7], v[182:183]
	v_fma_f64 v[30:31], v[4:5], v[182:183], -v[168:169]
	v_fmac_f64_e32 v[28:29], v[24:25], v[16:17]
	v_fma_f64 v[16:17], v[22:23], v[16:17], -v[18:19]
	v_add_f64_e32 v[160:161], v[10:11], v[8:9]
	v_add_f64_e32 v[26:27], v[26:27], v[158:159]
	ds_load_b128 v[4:7], v2 offset:1984
	ds_load_b128 v[8:11], v2 offset:2000
	s_wait_loadcnt_dscnt 0x101
	v_mul_f64_e32 v[2:3], v[4:5], v[192:193]
	v_mul_f64_e32 v[158:159], v[6:7], v[192:193]
	s_wait_loadcnt_dscnt 0x0
	v_mul_f64_e32 v[24:25], v[8:9], v[14:15]
	v_mul_f64_e32 v[14:15], v[10:11], v[14:15]
	v_add_f64_e32 v[18:19], v[160:161], v[30:31]
	v_add_f64_e32 v[22:23], v[26:27], v[164:165]
	v_fmac_f64_e32 v[2:3], v[6:7], v[190:191]
	v_fma_f64 v[4:5], v[4:5], v[190:191], -v[158:159]
	v_fmac_f64_e32 v[24:25], v[10:11], v[12:13]
	v_fma_f64 v[8:9], v[8:9], v[12:13], -v[14:15]
	v_add_f64_e32 v[6:7], v[18:19], v[16:17]
	v_add_f64_e32 v[16:17], v[22:23], v[28:29]
	s_delay_alu instid0(VALU_DEP_2) | instskip(NEXT) | instid1(VALU_DEP_2)
	v_add_f64_e32 v[4:5], v[6:7], v[4:5]
	v_add_f64_e32 v[2:3], v[16:17], v[2:3]
	s_delay_alu instid0(VALU_DEP_2) | instskip(NEXT) | instid1(VALU_DEP_2)
	;; [unrolled: 3-line block ×3, first 2 shown]
	v_add_f64_e64 v[2:3], v[186:187], -v[4:5]
	v_add_f64_e64 v[4:5], v[188:189], -v[6:7]
	scratch_store_b128 off, v[2:5], off offset:320
	s_wait_xcnt 0x0
	v_cmpx_lt_u32_e32 19, v1
	s_cbranch_execz .LBB126_365
; %bb.364:
	scratch_load_b128 v[2:5], off, s62
	v_mov_b32_e32 v6, 0
	s_delay_alu instid0(VALU_DEP_1)
	v_dual_mov_b32 v7, v6 :: v_dual_mov_b32 v8, v6
	v_mov_b32_e32 v9, v6
	scratch_store_b128 off, v[6:9], off offset:304
	s_wait_loadcnt 0x0
	ds_store_b128 v20, v[2:5]
.LBB126_365:
	s_wait_xcnt 0x0
	s_or_b32 exec_lo, exec_lo, s2
	s_wait_storecnt_dscnt 0x0
	s_barrier_signal -1
	s_barrier_wait -1
	s_clause 0x9
	scratch_load_b128 v[4:7], off, off offset:320
	scratch_load_b128 v[8:11], off, off offset:336
	;; [unrolled: 1-line block ×10, first 2 shown]
	v_mov_b32_e32 v2, 0
	s_mov_b32 s2, exec_lo
	ds_load_b128 v[174:177], v2 offset:1328
	s_clause 0x2
	scratch_load_b128 v[178:181], off, off offset:480
	scratch_load_b128 v[182:185], off, off offset:304
	;; [unrolled: 1-line block ×3, first 2 shown]
	s_wait_loadcnt_dscnt 0xc00
	v_mul_f64_e32 v[30:31], v[176:177], v[6:7]
	v_mul_f64_e32 v[198:199], v[174:175], v[6:7]
	ds_load_b128 v[186:189], v2 offset:1344
	ds_load_b128 v[194:197], v2 offset:1376
	v_fma_f64 v[30:31], v[174:175], v[4:5], -v[30:31]
	v_fmac_f64_e32 v[198:199], v[176:177], v[4:5]
	ds_load_b128 v[4:7], v2 offset:1360
	s_wait_loadcnt_dscnt 0xb02
	v_mul_f64_e32 v[200:201], v[186:187], v[10:11]
	v_mul_f64_e32 v[10:11], v[188:189], v[10:11]
	scratch_load_b128 v[174:177], off, off offset:512
	s_wait_loadcnt_dscnt 0xb00
	v_mul_f64_e32 v[202:203], v[4:5], v[14:15]
	v_mul_f64_e32 v[14:15], v[6:7], v[14:15]
	v_add_f64_e32 v[30:31], 0, v[30:31]
	v_fmac_f64_e32 v[200:201], v[188:189], v[8:9]
	v_fma_f64 v[186:187], v[186:187], v[8:9], -v[10:11]
	v_add_f64_e32 v[188:189], 0, v[198:199]
	scratch_load_b128 v[8:11], off, off offset:528
	v_fmac_f64_e32 v[202:203], v[6:7], v[12:13]
	v_fma_f64 v[204:205], v[4:5], v[12:13], -v[14:15]
	ds_load_b128 v[4:7], v2 offset:1392
	s_wait_loadcnt 0xb
	v_mul_f64_e32 v[198:199], v[194:195], v[18:19]
	v_mul_f64_e32 v[18:19], v[196:197], v[18:19]
	scratch_load_b128 v[12:15], off, off offset:544
	v_add_f64_e32 v[30:31], v[30:31], v[186:187]
	v_add_f64_e32 v[200:201], v[188:189], v[200:201]
	ds_load_b128 v[186:189], v2 offset:1408
	s_wait_loadcnt_dscnt 0xb01
	v_mul_f64_e32 v[206:207], v[4:5], v[24:25]
	v_mul_f64_e32 v[24:25], v[6:7], v[24:25]
	v_fmac_f64_e32 v[198:199], v[196:197], v[16:17]
	v_fma_f64 v[194:195], v[194:195], v[16:17], -v[18:19]
	scratch_load_b128 v[16:19], off, off offset:560
	v_add_f64_e32 v[30:31], v[30:31], v[204:205]
	v_add_f64_e32 v[196:197], v[200:201], v[202:203]
	v_fmac_f64_e32 v[206:207], v[6:7], v[22:23]
	v_fma_f64 v[204:205], v[4:5], v[22:23], -v[24:25]
	ds_load_b128 v[4:7], v2 offset:1424
	s_wait_loadcnt_dscnt 0xb01
	v_mul_f64_e32 v[200:201], v[186:187], v[28:29]
	v_mul_f64_e32 v[202:203], v[188:189], v[28:29]
	scratch_load_b128 v[22:25], off, off offset:576
	v_add_f64_e32 v[194:195], v[30:31], v[194:195]
	v_add_f64_e32 v[196:197], v[196:197], v[198:199]
	s_wait_loadcnt_dscnt 0xb00
	v_mul_f64_e32 v[198:199], v[4:5], v[160:161]
	v_mul_f64_e32 v[160:161], v[6:7], v[160:161]
	ds_load_b128 v[28:31], v2 offset:1440
	v_fmac_f64_e32 v[200:201], v[188:189], v[26:27]
	v_fma_f64 v[26:27], v[186:187], v[26:27], -v[202:203]
	scratch_load_b128 v[186:189], off, off offset:592
	v_add_f64_e32 v[194:195], v[194:195], v[204:205]
	v_add_f64_e32 v[196:197], v[196:197], v[206:207]
	v_fmac_f64_e32 v[198:199], v[6:7], v[158:159]
	v_fma_f64 v[204:205], v[4:5], v[158:159], -v[160:161]
	ds_load_b128 v[4:7], v2 offset:1456
	s_wait_loadcnt_dscnt 0xb01
	v_mul_f64_e32 v[202:203], v[28:29], v[164:165]
	v_mul_f64_e32 v[164:165], v[30:31], v[164:165]
	scratch_load_b128 v[158:161], off, off offset:608
	s_wait_loadcnt_dscnt 0xb00
	v_mul_f64_e32 v[206:207], v[4:5], v[168:169]
	v_mul_f64_e32 v[168:169], v[6:7], v[168:169]
	v_add_f64_e32 v[26:27], v[194:195], v[26:27]
	v_add_f64_e32 v[200:201], v[196:197], v[200:201]
	ds_load_b128 v[194:197], v2 offset:1472
	v_fmac_f64_e32 v[202:203], v[30:31], v[162:163]
	v_fma_f64 v[30:31], v[28:29], v[162:163], -v[164:165]
	v_fmac_f64_e32 v[206:207], v[6:7], v[166:167]
	v_add_f64_e32 v[162:163], v[26:27], v[204:205]
	v_add_f64_e32 v[164:165], v[200:201], v[198:199]
	scratch_load_b128 v[26:29], off, off offset:624
	v_fma_f64 v[200:201], v[4:5], v[166:167], -v[168:169]
	ds_load_b128 v[4:7], v2 offset:1488
	s_wait_loadcnt_dscnt 0xb01
	v_mul_f64_e32 v[198:199], v[194:195], v[172:173]
	v_mul_f64_e32 v[172:173], v[196:197], v[172:173]
	ds_load_b128 v[166:169], v2 offset:1504
	s_wait_loadcnt_dscnt 0xa01
	v_mul_f64_e32 v[204:205], v[4:5], v[180:181]
	v_mul_f64_e32 v[180:181], v[6:7], v[180:181]
	v_add_f64_e32 v[30:31], v[162:163], v[30:31]
	v_add_f64_e32 v[202:203], v[164:165], v[202:203]
	scratch_load_b128 v[162:165], off, off offset:640
	v_fmac_f64_e32 v[198:199], v[196:197], v[170:171]
	v_fma_f64 v[194:195], v[194:195], v[170:171], -v[172:173]
	scratch_load_b128 v[170:173], off, off offset:656
	v_fmac_f64_e32 v[204:205], v[6:7], v[178:179]
	v_add_f64_e32 v[30:31], v[30:31], v[200:201]
	v_add_f64_e32 v[196:197], v[202:203], v[206:207]
	v_fma_f64 v[206:207], v[4:5], v[178:179], -v[180:181]
	ds_load_b128 v[4:7], v2 offset:1520
	s_wait_loadcnt_dscnt 0xa01
	v_mul_f64_e32 v[200:201], v[166:167], v[192:193]
	v_mul_f64_e32 v[202:203], v[168:169], v[192:193]
	scratch_load_b128 v[178:181], off, off offset:672
	v_add_f64_e32 v[30:31], v[30:31], v[194:195]
	v_add_f64_e32 v[196:197], v[196:197], v[198:199]
	s_wait_loadcnt_dscnt 0xa00
	v_mul_f64_e32 v[208:209], v[4:5], v[176:177]
	v_mul_f64_e32 v[176:177], v[6:7], v[176:177]
	v_fmac_f64_e32 v[200:201], v[168:169], v[190:191]
	v_fma_f64 v[190:191], v[166:167], v[190:191], -v[202:203]
	ds_load_b128 v[192:195], v2 offset:1536
	scratch_load_b128 v[166:169], off, off offset:688
	v_add_f64_e32 v[30:31], v[30:31], v[206:207]
	v_add_f64_e32 v[196:197], v[196:197], v[204:205]
	v_fmac_f64_e32 v[208:209], v[6:7], v[174:175]
	v_fma_f64 v[204:205], v[4:5], v[174:175], -v[176:177]
	ds_load_b128 v[4:7], v2 offset:1552
	s_wait_loadcnt_dscnt 0xa01
	v_mul_f64_e32 v[202:203], v[192:193], v[10:11]
	v_mul_f64_e32 v[10:11], v[194:195], v[10:11]
	scratch_load_b128 v[174:177], off, off offset:704
	v_add_f64_e32 v[30:31], v[30:31], v[190:191]
	v_add_f64_e32 v[190:191], v[196:197], v[200:201]
	s_wait_loadcnt_dscnt 0xa00
	v_mul_f64_e32 v[200:201], v[4:5], v[14:15]
	v_mul_f64_e32 v[14:15], v[6:7], v[14:15]
	ds_load_b128 v[196:199], v2 offset:1568
	v_fmac_f64_e32 v[202:203], v[194:195], v[8:9]
	v_fma_f64 v[192:193], v[192:193], v[8:9], -v[10:11]
	scratch_load_b128 v[8:11], off, off offset:720
	v_add_f64_e32 v[30:31], v[30:31], v[204:205]
	v_add_f64_e32 v[190:191], v[190:191], v[208:209]
	v_fmac_f64_e32 v[200:201], v[6:7], v[12:13]
	v_fma_f64 v[204:205], v[4:5], v[12:13], -v[14:15]
	ds_load_b128 v[4:7], v2 offset:1584
	s_wait_loadcnt_dscnt 0xa01
	v_mul_f64_e32 v[194:195], v[196:197], v[18:19]
	v_mul_f64_e32 v[18:19], v[198:199], v[18:19]
	scratch_load_b128 v[12:15], off, off offset:736
	s_wait_loadcnt_dscnt 0xa00
	v_mul_f64_e32 v[206:207], v[4:5], v[24:25]
	v_mul_f64_e32 v[24:25], v[6:7], v[24:25]
	v_add_f64_e32 v[30:31], v[30:31], v[192:193]
	v_add_f64_e32 v[202:203], v[190:191], v[202:203]
	ds_load_b128 v[190:193], v2 offset:1600
	v_fmac_f64_e32 v[194:195], v[198:199], v[16:17]
	v_fma_f64 v[196:197], v[196:197], v[16:17], -v[18:19]
	scratch_load_b128 v[16:19], off, off offset:752
	v_fmac_f64_e32 v[206:207], v[6:7], v[22:23]
	v_add_f64_e32 v[30:31], v[30:31], v[204:205]
	v_add_f64_e32 v[198:199], v[202:203], v[200:201]
	v_fma_f64 v[202:203], v[4:5], v[22:23], -v[24:25]
	ds_load_b128 v[4:7], v2 offset:1616
	s_wait_loadcnt_dscnt 0xa01
	v_mul_f64_e32 v[200:201], v[190:191], v[188:189]
	v_mul_f64_e32 v[188:189], v[192:193], v[188:189]
	scratch_load_b128 v[22:25], off, off offset:768
	s_wait_loadcnt_dscnt 0xa00
	v_mul_f64_e32 v[204:205], v[4:5], v[160:161]
	v_mul_f64_e32 v[160:161], v[6:7], v[160:161]
	v_add_f64_e32 v[30:31], v[30:31], v[196:197]
	v_add_f64_e32 v[198:199], v[198:199], v[194:195]
	ds_load_b128 v[194:197], v2 offset:1632
	v_fmac_f64_e32 v[200:201], v[192:193], v[186:187]
	v_fma_f64 v[190:191], v[190:191], v[186:187], -v[188:189]
	scratch_load_b128 v[186:189], off, off offset:784
	v_fmac_f64_e32 v[204:205], v[6:7], v[158:159]
	v_add_f64_e32 v[30:31], v[30:31], v[202:203]
	v_add_f64_e32 v[192:193], v[198:199], v[206:207]
	v_fma_f64 v[206:207], v[4:5], v[158:159], -v[160:161]
	ds_load_b128 v[4:7], v2 offset:1648
	s_wait_loadcnt_dscnt 0xa01
	v_mul_f64_e32 v[198:199], v[194:195], v[28:29]
	v_mul_f64_e32 v[202:203], v[196:197], v[28:29]
	ds_load_b128 v[158:161], v2 offset:1664
	v_add_f64_e32 v[190:191], v[30:31], v[190:191]
	v_add_f64_e32 v[192:193], v[192:193], v[200:201]
	scratch_load_b128 v[28:31], off, off offset:800
	s_wait_loadcnt_dscnt 0xa01
	v_mul_f64_e32 v[200:201], v[4:5], v[164:165]
	v_mul_f64_e32 v[164:165], v[6:7], v[164:165]
	v_fmac_f64_e32 v[198:199], v[196:197], v[26:27]
	v_fma_f64 v[26:27], v[194:195], v[26:27], -v[202:203]
	v_add_f64_e32 v[194:195], v[190:191], v[206:207]
	v_add_f64_e32 v[196:197], v[192:193], v[204:205]
	scratch_load_b128 v[190:193], off, off offset:816
	v_fmac_f64_e32 v[200:201], v[6:7], v[162:163]
	v_fma_f64 v[204:205], v[4:5], v[162:163], -v[164:165]
	ds_load_b128 v[4:7], v2 offset:1680
	s_wait_loadcnt_dscnt 0xa01
	v_mul_f64_e32 v[202:203], v[158:159], v[172:173]
	v_mul_f64_e32 v[172:173], v[160:161], v[172:173]
	scratch_load_b128 v[162:165], off, off offset:832
	s_wait_loadcnt_dscnt 0xa00
	v_mul_f64_e32 v[206:207], v[4:5], v[180:181]
	v_mul_f64_e32 v[180:181], v[6:7], v[180:181]
	v_add_f64_e32 v[26:27], v[194:195], v[26:27]
	v_add_f64_e32 v[198:199], v[196:197], v[198:199]
	ds_load_b128 v[194:197], v2 offset:1696
	v_fmac_f64_e32 v[202:203], v[160:161], v[170:171]
	v_fma_f64 v[170:171], v[158:159], v[170:171], -v[172:173]
	scratch_load_b128 v[158:161], off, off offset:848
	v_fmac_f64_e32 v[206:207], v[6:7], v[178:179]
	v_add_f64_e32 v[26:27], v[26:27], v[204:205]
	v_add_f64_e32 v[172:173], v[198:199], v[200:201]
	v_fma_f64 v[204:205], v[4:5], v[178:179], -v[180:181]
	ds_load_b128 v[4:7], v2 offset:1712
	s_wait_loadcnt_dscnt 0xa01
	v_mul_f64_e32 v[198:199], v[194:195], v[168:169]
	v_mul_f64_e32 v[200:201], v[196:197], v[168:169]
	ds_load_b128 v[178:181], v2 offset:1728
	v_add_f64_e32 v[26:27], v[26:27], v[170:171]
	v_add_f64_e32 v[172:173], v[172:173], v[202:203]
	scratch_load_b128 v[168:171], off, off offset:864
	s_wait_loadcnt_dscnt 0xa01
	v_mul_f64_e32 v[202:203], v[4:5], v[176:177]
	v_mul_f64_e32 v[176:177], v[6:7], v[176:177]
	v_fmac_f64_e32 v[198:199], v[196:197], v[166:167]
	v_fma_f64 v[166:167], v[194:195], v[166:167], -v[200:201]
	scratch_load_b128 v[194:197], off, off offset:880
	v_add_f64_e32 v[26:27], v[26:27], v[204:205]
	v_add_f64_e32 v[172:173], v[172:173], v[206:207]
	v_fmac_f64_e32 v[202:203], v[6:7], v[174:175]
	v_fma_f64 v[176:177], v[4:5], v[174:175], -v[176:177]
	ds_load_b128 v[4:7], v2 offset:1744
	s_wait_loadcnt_dscnt 0xa01
	v_mul_f64_e32 v[204:205], v[178:179], v[10:11]
	v_mul_f64_e32 v[10:11], v[180:181], v[10:11]
	s_wait_loadcnt_dscnt 0x900
	v_mul_f64_e32 v[206:207], v[4:5], v[14:15]
	v_mul_f64_e32 v[14:15], v[6:7], v[14:15]
	v_add_f64_e32 v[26:27], v[26:27], v[166:167]
	v_add_f64_e32 v[166:167], v[172:173], v[198:199]
	scratch_load_b128 v[172:175], off, off offset:896
	ds_load_b128 v[198:201], v2 offset:1760
	v_fmac_f64_e32 v[204:205], v[180:181], v[8:9]
	v_fma_f64 v[178:179], v[178:179], v[8:9], -v[10:11]
	scratch_load_b128 v[8:11], off, off offset:912
	v_fmac_f64_e32 v[206:207], v[6:7], v[12:13]
	v_add_f64_e32 v[26:27], v[26:27], v[176:177]
	v_add_f64_e32 v[166:167], v[166:167], v[202:203]
	v_fma_f64 v[202:203], v[4:5], v[12:13], -v[14:15]
	ds_load_b128 v[4:7], v2 offset:1776
	s_wait_loadcnt_dscnt 0xa01
	v_mul_f64_e32 v[180:181], v[198:199], v[18:19]
	v_mul_f64_e32 v[18:19], v[200:201], v[18:19]
	scratch_load_b128 v[12:15], off, off offset:928
	v_add_f64_e32 v[26:27], v[26:27], v[178:179]
	v_add_f64_e32 v[166:167], v[166:167], v[204:205]
	s_wait_loadcnt_dscnt 0xa00
	v_mul_f64_e32 v[204:205], v[4:5], v[24:25]
	v_mul_f64_e32 v[24:25], v[6:7], v[24:25]
	v_fmac_f64_e32 v[180:181], v[200:201], v[16:17]
	v_fma_f64 v[198:199], v[198:199], v[16:17], -v[18:19]
	ds_load_b128 v[176:179], v2 offset:1792
	scratch_load_b128 v[16:19], off, off offset:944
	v_add_f64_e32 v[26:27], v[26:27], v[202:203]
	v_add_f64_e32 v[166:167], v[166:167], v[206:207]
	v_fmac_f64_e32 v[204:205], v[6:7], v[22:23]
	v_fma_f64 v[206:207], v[4:5], v[22:23], -v[24:25]
	ds_load_b128 v[4:7], v2 offset:1808
	s_wait_loadcnt_dscnt 0xa01
	v_mul_f64_e32 v[202:203], v[176:177], v[188:189]
	v_mul_f64_e32 v[188:189], v[178:179], v[188:189]
	scratch_load_b128 v[22:25], off, off offset:960
	v_add_f64_e32 v[26:27], v[26:27], v[198:199]
	v_add_f64_e32 v[166:167], v[166:167], v[180:181]
	s_wait_loadcnt_dscnt 0xa00
	v_mul_f64_e32 v[180:181], v[4:5], v[30:31]
	v_mul_f64_e32 v[30:31], v[6:7], v[30:31]
	ds_load_b128 v[198:201], v2 offset:1824
	v_fmac_f64_e32 v[202:203], v[178:179], v[186:187]
	v_fma_f64 v[186:187], v[176:177], v[186:187], -v[188:189]
	scratch_load_b128 v[176:179], off, off offset:976
	v_add_f64_e32 v[26:27], v[26:27], v[206:207]
	v_add_f64_e32 v[166:167], v[166:167], v[204:205]
	v_fmac_f64_e32 v[180:181], v[6:7], v[28:29]
	v_fma_f64 v[30:31], v[4:5], v[28:29], -v[30:31]
	ds_load_b128 v[4:7], v2 offset:1840
	s_wait_loadcnt_dscnt 0xa01
	v_mul_f64_e32 v[204:205], v[198:199], v[192:193]
	v_mul_f64_e32 v[192:193], v[200:201], v[192:193]
	v_add_f64_e32 v[206:207], v[26:27], v[186:187]
	v_add_f64_e32 v[166:167], v[166:167], v[202:203]
	scratch_load_b128 v[26:29], off, off offset:992
	s_wait_loadcnt_dscnt 0xa00
	v_mul_f64_e32 v[202:203], v[4:5], v[164:165]
	v_mul_f64_e32 v[164:165], v[6:7], v[164:165]
	v_fmac_f64_e32 v[204:205], v[200:201], v[190:191]
	v_fma_f64 v[190:191], v[198:199], v[190:191], -v[192:193]
	ds_load_b128 v[186:189], v2 offset:1856
	s_wait_loadcnt_dscnt 0x900
	v_mul_f64_e32 v[192:193], v[188:189], v[160:161]
	v_add_f64_e32 v[30:31], v[206:207], v[30:31]
	v_add_f64_e32 v[166:167], v[166:167], v[180:181]
	v_mul_f64_e32 v[180:181], v[186:187], v[160:161]
	v_fmac_f64_e32 v[202:203], v[6:7], v[162:163]
	v_fma_f64 v[164:165], v[4:5], v[162:163], -v[164:165]
	ds_load_b128 v[4:7], v2 offset:1872
	ds_load_b128 v[160:163], v2 offset:1888
	v_add_f64_e32 v[30:31], v[30:31], v[190:191]
	v_add_f64_e32 v[166:167], v[166:167], v[204:205]
	s_wait_loadcnt_dscnt 0x801
	v_mul_f64_e32 v[190:191], v[4:5], v[170:171]
	v_mul_f64_e32 v[170:171], v[6:7], v[170:171]
	v_fmac_f64_e32 v[180:181], v[188:189], v[158:159]
	v_fma_f64 v[158:159], v[186:187], v[158:159], -v[192:193]
	s_wait_loadcnt_dscnt 0x700
	v_mul_f64_e32 v[186:187], v[160:161], v[196:197]
	v_mul_f64_e32 v[188:189], v[162:163], v[196:197]
	v_add_f64_e32 v[30:31], v[30:31], v[164:165]
	v_add_f64_e32 v[164:165], v[166:167], v[202:203]
	v_fmac_f64_e32 v[190:191], v[6:7], v[168:169]
	v_fma_f64 v[168:169], v[4:5], v[168:169], -v[170:171]
	v_fmac_f64_e32 v[186:187], v[162:163], v[194:195]
	v_fma_f64 v[160:161], v[160:161], v[194:195], -v[188:189]
	v_add_f64_e32 v[30:31], v[30:31], v[158:159]
	v_add_f64_e32 v[158:159], v[164:165], v[180:181]
	ds_load_b128 v[4:7], v2 offset:1904
	ds_load_b128 v[164:167], v2 offset:1920
	s_wait_loadcnt_dscnt 0x601
	v_mul_f64_e32 v[170:171], v[4:5], v[174:175]
	v_mul_f64_e32 v[174:175], v[6:7], v[174:175]
	s_wait_loadcnt_dscnt 0x500
	v_mul_f64_e32 v[162:163], v[164:165], v[10:11]
	v_mul_f64_e32 v[10:11], v[166:167], v[10:11]
	v_add_f64_e32 v[30:31], v[30:31], v[168:169]
	v_add_f64_e32 v[158:159], v[158:159], v[190:191]
	v_fmac_f64_e32 v[170:171], v[6:7], v[172:173]
	v_fma_f64 v[168:169], v[4:5], v[172:173], -v[174:175]
	v_fmac_f64_e32 v[162:163], v[166:167], v[8:9]
	v_fma_f64 v[8:9], v[164:165], v[8:9], -v[10:11]
	v_add_f64_e32 v[30:31], v[30:31], v[160:161]
	v_add_f64_e32 v[172:173], v[158:159], v[186:187]
	ds_load_b128 v[4:7], v2 offset:1936
	ds_load_b128 v[158:161], v2 offset:1952
	s_wait_loadcnt_dscnt 0x401
	v_mul_f64_e32 v[174:175], v[4:5], v[14:15]
	v_mul_f64_e32 v[14:15], v[6:7], v[14:15]
	;; [unrolled: 16-line block ×3, first 2 shown]
	s_wait_loadcnt_dscnt 0x100
	v_mul_f64_e32 v[18:19], v[8:9], v[178:179]
	v_add_f64_e32 v[12:13], v[14:15], v[12:13]
	v_add_f64_e32 v[14:15], v[30:31], v[174:175]
	v_mul_f64_e32 v[30:31], v[10:11], v[178:179]
	v_fmac_f64_e32 v[162:163], v[6:7], v[22:23]
	v_fma_f64 v[22:23], v[4:5], v[22:23], -v[24:25]
	ds_load_b128 v[4:7], v2 offset:2000
	v_fmac_f64_e32 v[18:19], v[10:11], v[176:177]
	v_add_f64_e32 v[12:13], v[12:13], v[16:17]
	v_add_f64_e32 v[14:15], v[14:15], v[164:165]
	v_fma_f64 v[8:9], v[8:9], v[176:177], -v[30:31]
	s_wait_loadcnt_dscnt 0x0
	v_mul_f64_e32 v[16:17], v[4:5], v[28:29]
	v_mul_f64_e32 v[24:25], v[6:7], v[28:29]
	v_add_f64_e32 v[10:11], v[12:13], v[22:23]
	v_add_f64_e32 v[12:13], v[14:15], v[162:163]
	s_delay_alu instid0(VALU_DEP_4) | instskip(NEXT) | instid1(VALU_DEP_4)
	v_fmac_f64_e32 v[16:17], v[6:7], v[26:27]
	v_fma_f64 v[4:5], v[4:5], v[26:27], -v[24:25]
	s_delay_alu instid0(VALU_DEP_4) | instskip(NEXT) | instid1(VALU_DEP_4)
	v_add_f64_e32 v[6:7], v[10:11], v[8:9]
	v_add_f64_e32 v[8:9], v[12:13], v[18:19]
	s_delay_alu instid0(VALU_DEP_2) | instskip(NEXT) | instid1(VALU_DEP_2)
	v_add_f64_e32 v[4:5], v[6:7], v[4:5]
	v_add_f64_e32 v[6:7], v[8:9], v[16:17]
	s_delay_alu instid0(VALU_DEP_2) | instskip(NEXT) | instid1(VALU_DEP_2)
	v_add_f64_e64 v[4:5], v[182:183], -v[4:5]
	v_add_f64_e64 v[6:7], v[184:185], -v[6:7]
	scratch_store_b128 off, v[4:7], off offset:304
	s_wait_xcnt 0x0
	v_cmpx_lt_u32_e32 18, v1
	s_cbranch_execz .LBB126_367
; %bb.366:
	scratch_load_b128 v[6:9], off, s63
	v_dual_mov_b32 v3, v2 :: v_dual_mov_b32 v4, v2
	v_mov_b32_e32 v5, v2
	scratch_store_b128 off, v[2:5], off offset:288
	s_wait_loadcnt 0x0
	ds_store_b128 v20, v[6:9]
.LBB126_367:
	s_wait_xcnt 0x0
	s_or_b32 exec_lo, exec_lo, s2
	s_wait_storecnt_dscnt 0x0
	s_barrier_signal -1
	s_barrier_wait -1
	s_clause 0x9
	scratch_load_b128 v[4:7], off, off offset:304
	scratch_load_b128 v[8:11], off, off offset:320
	;; [unrolled: 1-line block ×10, first 2 shown]
	ds_load_b128 v[174:177], v2 offset:1312
	ds_load_b128 v[182:185], v2 offset:1328
	s_clause 0x2
	scratch_load_b128 v[178:181], off, off offset:464
	scratch_load_b128 v[186:189], off, off offset:288
	;; [unrolled: 1-line block ×3, first 2 shown]
	s_mov_b32 s2, exec_lo
	s_wait_loadcnt_dscnt 0xc01
	v_mul_f64_e32 v[30:31], v[176:177], v[6:7]
	v_mul_f64_e32 v[198:199], v[174:175], v[6:7]
	s_wait_loadcnt_dscnt 0xb00
	v_mul_f64_e32 v[200:201], v[182:183], v[10:11]
	v_mul_f64_e32 v[10:11], v[184:185], v[10:11]
	s_delay_alu instid0(VALU_DEP_4) | instskip(NEXT) | instid1(VALU_DEP_4)
	v_fma_f64 v[30:31], v[174:175], v[4:5], -v[30:31]
	v_fmac_f64_e32 v[198:199], v[176:177], v[4:5]
	ds_load_b128 v[4:7], v2 offset:1344
	ds_load_b128 v[174:177], v2 offset:1360
	scratch_load_b128 v[194:197], off, off offset:496
	v_fmac_f64_e32 v[200:201], v[184:185], v[8:9]
	v_fma_f64 v[182:183], v[182:183], v[8:9], -v[10:11]
	scratch_load_b128 v[8:11], off, off offset:512
	s_wait_loadcnt_dscnt 0xc01
	v_mul_f64_e32 v[202:203], v[4:5], v[14:15]
	v_mul_f64_e32 v[14:15], v[6:7], v[14:15]
	v_add_f64_e32 v[30:31], 0, v[30:31]
	v_add_f64_e32 v[184:185], 0, v[198:199]
	s_wait_loadcnt_dscnt 0xb00
	v_mul_f64_e32 v[198:199], v[174:175], v[18:19]
	v_mul_f64_e32 v[18:19], v[176:177], v[18:19]
	v_fmac_f64_e32 v[202:203], v[6:7], v[12:13]
	v_fma_f64 v[204:205], v[4:5], v[12:13], -v[14:15]
	ds_load_b128 v[4:7], v2 offset:1376
	ds_load_b128 v[12:15], v2 offset:1392
	v_add_f64_e32 v[30:31], v[30:31], v[182:183]
	v_add_f64_e32 v[200:201], v[184:185], v[200:201]
	scratch_load_b128 v[182:185], off, off offset:528
	v_fmac_f64_e32 v[198:199], v[176:177], v[16:17]
	v_fma_f64 v[174:175], v[174:175], v[16:17], -v[18:19]
	scratch_load_b128 v[16:19], off, off offset:544
	s_wait_loadcnt_dscnt 0xc01
	v_mul_f64_e32 v[206:207], v[4:5], v[24:25]
	v_mul_f64_e32 v[24:25], v[6:7], v[24:25]
	v_add_f64_e32 v[30:31], v[30:31], v[204:205]
	v_add_f64_e32 v[176:177], v[200:201], v[202:203]
	s_wait_loadcnt_dscnt 0xb00
	v_mul_f64_e32 v[200:201], v[12:13], v[28:29]
	v_mul_f64_e32 v[202:203], v[14:15], v[28:29]
	v_fmac_f64_e32 v[206:207], v[6:7], v[22:23]
	v_fma_f64 v[204:205], v[4:5], v[22:23], -v[24:25]
	ds_load_b128 v[4:7], v2 offset:1408
	ds_load_b128 v[22:25], v2 offset:1424
	v_add_f64_e32 v[174:175], v[30:31], v[174:175]
	v_add_f64_e32 v[176:177], v[176:177], v[198:199]
	scratch_load_b128 v[28:31], off, off offset:560
	s_wait_loadcnt_dscnt 0xb01
	v_mul_f64_e32 v[198:199], v[4:5], v[160:161]
	v_mul_f64_e32 v[160:161], v[6:7], v[160:161]
	v_fmac_f64_e32 v[200:201], v[14:15], v[26:27]
	v_fma_f64 v[26:27], v[12:13], v[26:27], -v[202:203]
	scratch_load_b128 v[12:15], off, off offset:576
	s_wait_loadcnt_dscnt 0xb00
	v_mul_f64_e32 v[202:203], v[22:23], v[164:165]
	v_mul_f64_e32 v[164:165], v[24:25], v[164:165]
	v_add_f64_e32 v[174:175], v[174:175], v[204:205]
	v_add_f64_e32 v[176:177], v[176:177], v[206:207]
	v_fmac_f64_e32 v[198:199], v[6:7], v[158:159]
	v_fma_f64 v[204:205], v[4:5], v[158:159], -v[160:161]
	ds_load_b128 v[4:7], v2 offset:1440
	ds_load_b128 v[158:161], v2 offset:1456
	v_fmac_f64_e32 v[202:203], v[24:25], v[162:163]
	v_fma_f64 v[162:163], v[22:23], v[162:163], -v[164:165]
	scratch_load_b128 v[22:25], off, off offset:608
	s_wait_loadcnt_dscnt 0xb01
	v_mul_f64_e32 v[206:207], v[4:5], v[168:169]
	v_mul_f64_e32 v[168:169], v[6:7], v[168:169]
	v_add_f64_e32 v[26:27], v[174:175], v[26:27]
	v_add_f64_e32 v[200:201], v[176:177], v[200:201]
	scratch_load_b128 v[174:177], off, off offset:592
	v_fmac_f64_e32 v[206:207], v[6:7], v[166:167]
	v_add_f64_e32 v[26:27], v[26:27], v[204:205]
	v_add_f64_e32 v[164:165], v[200:201], v[198:199]
	s_wait_loadcnt_dscnt 0xb00
	v_mul_f64_e32 v[198:199], v[158:159], v[172:173]
	v_mul_f64_e32 v[172:173], v[160:161], v[172:173]
	v_fma_f64 v[200:201], v[4:5], v[166:167], -v[168:169]
	v_add_f64_e32 v[26:27], v[26:27], v[162:163]
	v_add_f64_e32 v[202:203], v[164:165], v[202:203]
	ds_load_b128 v[4:7], v2 offset:1472
	ds_load_b128 v[162:165], v2 offset:1488
	scratch_load_b128 v[166:169], off, off offset:624
	v_fmac_f64_e32 v[198:199], v[160:161], v[170:171]
	v_fma_f64 v[170:171], v[158:159], v[170:171], -v[172:173]
	scratch_load_b128 v[158:161], off, off offset:640
	s_wait_loadcnt_dscnt 0xc01
	v_mul_f64_e32 v[204:205], v[4:5], v[180:181]
	v_mul_f64_e32 v[180:181], v[6:7], v[180:181]
	v_add_f64_e32 v[26:27], v[26:27], v[200:201]
	v_add_f64_e32 v[172:173], v[202:203], v[206:207]
	s_wait_loadcnt_dscnt 0xa00
	v_mul_f64_e32 v[200:201], v[162:163], v[192:193]
	v_mul_f64_e32 v[192:193], v[164:165], v[192:193]
	v_fmac_f64_e32 v[204:205], v[6:7], v[178:179]
	v_fma_f64 v[202:203], v[4:5], v[178:179], -v[180:181]
	v_add_f64_e32 v[26:27], v[26:27], v[170:171]
	v_add_f64_e32 v[198:199], v[172:173], v[198:199]
	ds_load_b128 v[4:7], v2 offset:1504
	ds_load_b128 v[170:173], v2 offset:1520
	scratch_load_b128 v[178:181], off, off offset:656
	v_fmac_f64_e32 v[200:201], v[164:165], v[190:191]
	v_fma_f64 v[190:191], v[162:163], v[190:191], -v[192:193]
	scratch_load_b128 v[162:165], off, off offset:672
	s_wait_loadcnt_dscnt 0xb01
	v_mul_f64_e32 v[206:207], v[4:5], v[196:197]
	v_mul_f64_e32 v[196:197], v[6:7], v[196:197]
	v_add_f64_e32 v[26:27], v[26:27], v[202:203]
	v_add_f64_e32 v[192:193], v[198:199], v[204:205]
	s_wait_loadcnt_dscnt 0xa00
	v_mul_f64_e32 v[198:199], v[170:171], v[10:11]
	v_mul_f64_e32 v[10:11], v[172:173], v[10:11]
	v_fmac_f64_e32 v[206:207], v[6:7], v[194:195]
	;; [unrolled: 18-line block ×4, first 2 shown]
	v_fma_f64 v[30:31], v[4:5], v[28:29], -v[30:31]
	v_add_f64_e32 v[202:203], v[26:27], v[190:191]
	v_add_f64_e32 v[200:201], v[192:193], v[200:201]
	ds_load_b128 v[4:7], v2 offset:1600
	ds_load_b128 v[26:29], v2 offset:1616
	scratch_load_b128 v[190:193], off, off offset:752
	v_fmac_f64_e32 v[198:199], v[172:173], v[12:13]
	v_fma_f64 v[170:171], v[170:171], v[12:13], -v[14:15]
	scratch_load_b128 v[12:15], off, off offset:768
	s_wait_loadcnt_dscnt 0xa01
	v_mul_f64_e32 v[204:205], v[4:5], v[176:177]
	v_mul_f64_e32 v[176:177], v[6:7], v[176:177]
	v_add_f64_e32 v[30:31], v[202:203], v[30:31]
	v_add_f64_e32 v[172:173], v[200:201], v[206:207]
	s_wait_dscnt 0x0
	v_mul_f64_e32 v[200:201], v[26:27], v[24:25]
	v_mul_f64_e32 v[24:25], v[28:29], v[24:25]
	v_fmac_f64_e32 v[204:205], v[6:7], v[174:175]
	v_fma_f64 v[202:203], v[4:5], v[174:175], -v[176:177]
	v_add_f64_e32 v[30:31], v[30:31], v[170:171]
	v_add_f64_e32 v[198:199], v[172:173], v[198:199]
	ds_load_b128 v[4:7], v2 offset:1632
	ds_load_b128 v[170:173], v2 offset:1648
	scratch_load_b128 v[174:177], off, off offset:784
	v_fmac_f64_e32 v[200:201], v[28:29], v[22:23]
	v_fma_f64 v[26:27], v[26:27], v[22:23], -v[24:25]
	scratch_load_b128 v[22:25], off, off offset:800
	s_wait_loadcnt_dscnt 0xb01
	v_mul_f64_e32 v[206:207], v[4:5], v[168:169]
	v_mul_f64_e32 v[168:169], v[6:7], v[168:169]
	v_add_f64_e32 v[28:29], v[30:31], v[202:203]
	v_add_f64_e32 v[30:31], v[198:199], v[204:205]
	s_wait_loadcnt_dscnt 0xa00
	v_mul_f64_e32 v[198:199], v[170:171], v[160:161]
	v_mul_f64_e32 v[160:161], v[172:173], v[160:161]
	v_fmac_f64_e32 v[206:207], v[6:7], v[166:167]
	v_fma_f64 v[202:203], v[4:5], v[166:167], -v[168:169]
	v_add_f64_e32 v[204:205], v[28:29], v[26:27]
	v_add_f64_e32 v[30:31], v[30:31], v[200:201]
	ds_load_b128 v[4:7], v2 offset:1664
	ds_load_b128 v[26:29], v2 offset:1680
	scratch_load_b128 v[166:169], off, off offset:816
	v_fmac_f64_e32 v[198:199], v[172:173], v[158:159]
	v_fma_f64 v[170:171], v[170:171], v[158:159], -v[160:161]
	scratch_load_b128 v[158:161], off, off offset:832
	s_wait_loadcnt_dscnt 0xb01
	v_mul_f64_e32 v[200:201], v[4:5], v[180:181]
	v_mul_f64_e32 v[180:181], v[6:7], v[180:181]
	v_add_f64_e32 v[172:173], v[204:205], v[202:203]
	v_add_f64_e32 v[30:31], v[30:31], v[206:207]
	s_wait_loadcnt_dscnt 0xa00
	v_mul_f64_e32 v[202:203], v[26:27], v[164:165]
	v_mul_f64_e32 v[164:165], v[28:29], v[164:165]
	v_fmac_f64_e32 v[200:201], v[6:7], v[178:179]
	v_fma_f64 v[204:205], v[4:5], v[178:179], -v[180:181]
	v_add_f64_e32 v[206:207], v[172:173], v[170:171]
	v_add_f64_e32 v[30:31], v[30:31], v[198:199]
	ds_load_b128 v[4:7], v2 offset:1696
	ds_load_b128 v[170:173], v2 offset:1712
	scratch_load_b128 v[178:181], off, off offset:848
	v_fmac_f64_e32 v[202:203], v[28:29], v[162:163]
	v_fma_f64 v[162:163], v[26:27], v[162:163], -v[164:165]
	scratch_load_b128 v[26:29], off, off offset:864
	s_wait_loadcnt_dscnt 0xb01
	v_mul_f64_e32 v[198:199], v[4:5], v[196:197]
	v_mul_f64_e32 v[196:197], v[6:7], v[196:197]
	v_add_f64_e32 v[164:165], v[206:207], v[204:205]
	v_add_f64_e32 v[30:31], v[30:31], v[200:201]
	s_wait_loadcnt_dscnt 0xa00
	v_mul_f64_e32 v[200:201], v[170:171], v[10:11]
	v_mul_f64_e32 v[10:11], v[172:173], v[10:11]
	v_fmac_f64_e32 v[198:199], v[6:7], v[194:195]
	v_fma_f64 v[204:205], v[4:5], v[194:195], -v[196:197]
	v_add_f64_e32 v[206:207], v[164:165], v[162:163]
	v_add_f64_e32 v[30:31], v[30:31], v[202:203]
	ds_load_b128 v[4:7], v2 offset:1728
	ds_load_b128 v[162:165], v2 offset:1744
	scratch_load_b128 v[194:197], off, off offset:880
	v_fmac_f64_e32 v[200:201], v[172:173], v[8:9]
	v_fma_f64 v[170:171], v[170:171], v[8:9], -v[10:11]
	scratch_load_b128 v[8:11], off, off offset:896
	s_wait_loadcnt_dscnt 0xb01
	v_mul_f64_e32 v[202:203], v[4:5], v[184:185]
	v_mul_f64_e32 v[184:185], v[6:7], v[184:185]
	v_add_f64_e32 v[172:173], v[206:207], v[204:205]
	v_add_f64_e32 v[30:31], v[30:31], v[198:199]
	s_wait_loadcnt_dscnt 0xa00
	v_mul_f64_e32 v[198:199], v[162:163], v[18:19]
	v_mul_f64_e32 v[18:19], v[164:165], v[18:19]
	v_fmac_f64_e32 v[202:203], v[6:7], v[182:183]
	v_fma_f64 v[204:205], v[4:5], v[182:183], -v[184:185]
	v_add_f64_e32 v[206:207], v[172:173], v[170:171]
	v_add_f64_e32 v[30:31], v[30:31], v[200:201]
	ds_load_b128 v[4:7], v2 offset:1760
	ds_load_b128 v[170:173], v2 offset:1776
	scratch_load_b128 v[182:185], off, off offset:912
	v_fmac_f64_e32 v[198:199], v[164:165], v[16:17]
	v_fma_f64 v[162:163], v[162:163], v[16:17], -v[18:19]
	scratch_load_b128 v[16:19], off, off offset:928
	s_wait_loadcnt_dscnt 0xb01
	v_mul_f64_e32 v[200:201], v[4:5], v[192:193]
	v_mul_f64_e32 v[192:193], v[6:7], v[192:193]
	v_add_f64_e32 v[164:165], v[206:207], v[204:205]
	v_add_f64_e32 v[30:31], v[30:31], v[202:203]
	s_wait_loadcnt_dscnt 0xa00
	v_mul_f64_e32 v[202:203], v[170:171], v[14:15]
	v_mul_f64_e32 v[14:15], v[172:173], v[14:15]
	v_fmac_f64_e32 v[200:201], v[6:7], v[190:191]
	v_fma_f64 v[204:205], v[4:5], v[190:191], -v[192:193]
	v_add_f64_e32 v[206:207], v[164:165], v[162:163]
	v_add_f64_e32 v[30:31], v[30:31], v[198:199]
	ds_load_b128 v[4:7], v2 offset:1792
	ds_load_b128 v[162:165], v2 offset:1808
	scratch_load_b128 v[190:193], off, off offset:944
	v_fmac_f64_e32 v[202:203], v[172:173], v[12:13]
	v_fma_f64 v[170:171], v[170:171], v[12:13], -v[14:15]
	scratch_load_b128 v[12:15], off, off offset:960
	s_wait_loadcnt_dscnt 0xb01
	v_mul_f64_e32 v[198:199], v[4:5], v[176:177]
	v_mul_f64_e32 v[176:177], v[6:7], v[176:177]
	v_add_f64_e32 v[172:173], v[206:207], v[204:205]
	v_add_f64_e32 v[30:31], v[30:31], v[200:201]
	s_wait_loadcnt_dscnt 0xa00
	v_mul_f64_e32 v[200:201], v[162:163], v[24:25]
	v_mul_f64_e32 v[24:25], v[164:165], v[24:25]
	v_fmac_f64_e32 v[198:199], v[6:7], v[174:175]
	v_fma_f64 v[204:205], v[4:5], v[174:175], -v[176:177]
	v_add_f64_e32 v[206:207], v[172:173], v[170:171]
	v_add_f64_e32 v[30:31], v[30:31], v[202:203]
	ds_load_b128 v[4:7], v2 offset:1824
	ds_load_b128 v[170:173], v2 offset:1840
	scratch_load_b128 v[174:177], off, off offset:976
	v_fmac_f64_e32 v[200:201], v[164:165], v[22:23]
	v_fma_f64 v[162:163], v[162:163], v[22:23], -v[24:25]
	scratch_load_b128 v[22:25], off, off offset:992
	s_wait_loadcnt_dscnt 0xb01
	v_mul_f64_e32 v[202:203], v[4:5], v[168:169]
	v_mul_f64_e32 v[168:169], v[6:7], v[168:169]
	v_add_f64_e32 v[164:165], v[206:207], v[204:205]
	v_add_f64_e32 v[30:31], v[30:31], v[198:199]
	s_wait_loadcnt_dscnt 0xa00
	v_mul_f64_e32 v[198:199], v[170:171], v[160:161]
	v_mul_f64_e32 v[204:205], v[172:173], v[160:161]
	v_fmac_f64_e32 v[202:203], v[6:7], v[166:167]
	v_fma_f64 v[166:167], v[4:5], v[166:167], -v[168:169]
	v_add_f64_e32 v[164:165], v[164:165], v[162:163]
	v_add_f64_e32 v[30:31], v[30:31], v[200:201]
	ds_load_b128 v[4:7], v2 offset:1856
	ds_load_b128 v[160:163], v2 offset:1872
	v_fmac_f64_e32 v[198:199], v[172:173], v[158:159]
	v_fma_f64 v[158:159], v[170:171], v[158:159], -v[204:205]
	s_wait_loadcnt_dscnt 0x901
	v_mul_f64_e32 v[168:169], v[4:5], v[180:181]
	v_mul_f64_e32 v[180:181], v[6:7], v[180:181]
	s_wait_loadcnt_dscnt 0x800
	v_mul_f64_e32 v[170:171], v[162:163], v[28:29]
	v_add_f64_e32 v[164:165], v[164:165], v[166:167]
	v_add_f64_e32 v[30:31], v[30:31], v[202:203]
	v_mul_f64_e32 v[166:167], v[160:161], v[28:29]
	v_fmac_f64_e32 v[168:169], v[6:7], v[178:179]
	v_fma_f64 v[172:173], v[4:5], v[178:179], -v[180:181]
	v_add_f64_e32 v[158:159], v[164:165], v[158:159]
	v_add_f64_e32 v[164:165], v[30:31], v[198:199]
	ds_load_b128 v[4:7], v2 offset:1888
	ds_load_b128 v[28:31], v2 offset:1904
	v_fmac_f64_e32 v[166:167], v[162:163], v[26:27]
	v_fma_f64 v[26:27], v[160:161], v[26:27], -v[170:171]
	s_wait_loadcnt_dscnt 0x701
	v_mul_f64_e32 v[178:179], v[4:5], v[196:197]
	v_mul_f64_e32 v[180:181], v[6:7], v[196:197]
	s_wait_loadcnt_dscnt 0x600
	v_mul_f64_e32 v[162:163], v[28:29], v[10:11]
	v_mul_f64_e32 v[10:11], v[30:31], v[10:11]
	v_add_f64_e32 v[158:159], v[158:159], v[172:173]
	v_add_f64_e32 v[160:161], v[164:165], v[168:169]
	v_fmac_f64_e32 v[178:179], v[6:7], v[194:195]
	v_fma_f64 v[164:165], v[4:5], v[194:195], -v[180:181]
	v_fmac_f64_e32 v[162:163], v[30:31], v[8:9]
	v_fma_f64 v[8:9], v[28:29], v[8:9], -v[10:11]
	v_add_f64_e32 v[26:27], v[158:159], v[26:27]
	v_add_f64_e32 v[166:167], v[160:161], v[166:167]
	ds_load_b128 v[4:7], v2 offset:1920
	ds_load_b128 v[158:161], v2 offset:1936
	s_wait_loadcnt_dscnt 0x501
	v_mul_f64_e32 v[168:169], v[4:5], v[184:185]
	v_mul_f64_e32 v[170:171], v[6:7], v[184:185]
	s_wait_loadcnt_dscnt 0x400
	v_mul_f64_e32 v[28:29], v[158:159], v[18:19]
	v_mul_f64_e32 v[18:19], v[160:161], v[18:19]
	v_add_f64_e32 v[10:11], v[26:27], v[164:165]
	v_add_f64_e32 v[26:27], v[166:167], v[178:179]
	v_fmac_f64_e32 v[168:169], v[6:7], v[182:183]
	v_fma_f64 v[30:31], v[4:5], v[182:183], -v[170:171]
	v_fmac_f64_e32 v[28:29], v[160:161], v[16:17]
	v_fma_f64 v[16:17], v[158:159], v[16:17], -v[18:19]
	v_add_f64_e32 v[164:165], v[10:11], v[8:9]
	v_add_f64_e32 v[26:27], v[26:27], v[162:163]
	ds_load_b128 v[4:7], v2 offset:1952
	ds_load_b128 v[8:11], v2 offset:1968
	s_wait_loadcnt_dscnt 0x301
	v_mul_f64_e32 v[162:163], v[4:5], v[192:193]
	v_mul_f64_e32 v[166:167], v[6:7], v[192:193]
	s_wait_loadcnt_dscnt 0x200
	v_mul_f64_e32 v[158:159], v[10:11], v[14:15]
	v_add_f64_e32 v[18:19], v[164:165], v[30:31]
	v_add_f64_e32 v[26:27], v[26:27], v[168:169]
	v_mul_f64_e32 v[30:31], v[8:9], v[14:15]
	v_fmac_f64_e32 v[162:163], v[6:7], v[190:191]
	v_fma_f64 v[160:161], v[4:5], v[190:191], -v[166:167]
	v_fma_f64 v[8:9], v[8:9], v[12:13], -v[158:159]
	v_add_f64_e32 v[18:19], v[18:19], v[16:17]
	v_add_f64_e32 v[26:27], v[26:27], v[28:29]
	ds_load_b128 v[4:7], v2 offset:1984
	ds_load_b128 v[14:17], v2 offset:2000
	v_fmac_f64_e32 v[30:31], v[10:11], v[12:13]
	s_wait_loadcnt_dscnt 0x101
	v_mul_f64_e32 v[2:3], v[4:5], v[176:177]
	v_mul_f64_e32 v[28:29], v[6:7], v[176:177]
	v_add_f64_e32 v[10:11], v[18:19], v[160:161]
	v_add_f64_e32 v[12:13], v[26:27], v[162:163]
	s_wait_loadcnt_dscnt 0x0
	v_mul_f64_e32 v[18:19], v[14:15], v[24:25]
	v_mul_f64_e32 v[24:25], v[16:17], v[24:25]
	v_fmac_f64_e32 v[2:3], v[6:7], v[174:175]
	v_fma_f64 v[4:5], v[4:5], v[174:175], -v[28:29]
	v_add_f64_e32 v[6:7], v[10:11], v[8:9]
	v_add_f64_e32 v[8:9], v[12:13], v[30:31]
	v_fmac_f64_e32 v[18:19], v[16:17], v[22:23]
	v_fma_f64 v[10:11], v[14:15], v[22:23], -v[24:25]
	s_delay_alu instid0(VALU_DEP_4) | instskip(NEXT) | instid1(VALU_DEP_4)
	v_add_f64_e32 v[4:5], v[6:7], v[4:5]
	v_add_f64_e32 v[2:3], v[8:9], v[2:3]
	s_delay_alu instid0(VALU_DEP_2) | instskip(NEXT) | instid1(VALU_DEP_2)
	v_add_f64_e32 v[4:5], v[4:5], v[10:11]
	v_add_f64_e32 v[6:7], v[2:3], v[18:19]
	s_delay_alu instid0(VALU_DEP_2) | instskip(NEXT) | instid1(VALU_DEP_2)
	v_add_f64_e64 v[2:3], v[186:187], -v[4:5]
	v_add_f64_e64 v[4:5], v[188:189], -v[6:7]
	scratch_store_b128 off, v[2:5], off offset:288
	s_wait_xcnt 0x0
	v_cmpx_lt_u32_e32 17, v1
	s_cbranch_execz .LBB126_369
; %bb.368:
	scratch_load_b128 v[2:5], off, s64
	v_mov_b32_e32 v6, 0
	s_delay_alu instid0(VALU_DEP_1)
	v_dual_mov_b32 v7, v6 :: v_dual_mov_b32 v8, v6
	v_mov_b32_e32 v9, v6
	scratch_store_b128 off, v[6:9], off offset:272
	s_wait_loadcnt 0x0
	ds_store_b128 v20, v[2:5]
.LBB126_369:
	s_wait_xcnt 0x0
	s_or_b32 exec_lo, exec_lo, s2
	s_wait_storecnt_dscnt 0x0
	s_barrier_signal -1
	s_barrier_wait -1
	s_clause 0x9
	scratch_load_b128 v[4:7], off, off offset:288
	scratch_load_b128 v[8:11], off, off offset:304
	;; [unrolled: 1-line block ×10, first 2 shown]
	v_mov_b32_e32 v2, 0
	s_mov_b32 s2, exec_lo
	ds_load_b128 v[174:177], v2 offset:1296
	s_clause 0x2
	scratch_load_b128 v[178:181], off, off offset:448
	scratch_load_b128 v[182:185], off, off offset:272
	;; [unrolled: 1-line block ×3, first 2 shown]
	s_wait_loadcnt_dscnt 0xc00
	v_mul_f64_e32 v[30:31], v[176:177], v[6:7]
	v_mul_f64_e32 v[198:199], v[174:175], v[6:7]
	ds_load_b128 v[186:189], v2 offset:1312
	ds_load_b128 v[194:197], v2 offset:1344
	v_fma_f64 v[30:31], v[174:175], v[4:5], -v[30:31]
	v_fmac_f64_e32 v[198:199], v[176:177], v[4:5]
	ds_load_b128 v[4:7], v2 offset:1328
	s_wait_loadcnt_dscnt 0xb02
	v_mul_f64_e32 v[200:201], v[186:187], v[10:11]
	v_mul_f64_e32 v[10:11], v[188:189], v[10:11]
	scratch_load_b128 v[174:177], off, off offset:480
	s_wait_loadcnt_dscnt 0xb00
	v_mul_f64_e32 v[202:203], v[4:5], v[14:15]
	v_mul_f64_e32 v[14:15], v[6:7], v[14:15]
	v_add_f64_e32 v[30:31], 0, v[30:31]
	v_fmac_f64_e32 v[200:201], v[188:189], v[8:9]
	v_fma_f64 v[186:187], v[186:187], v[8:9], -v[10:11]
	v_add_f64_e32 v[188:189], 0, v[198:199]
	scratch_load_b128 v[8:11], off, off offset:496
	v_fmac_f64_e32 v[202:203], v[6:7], v[12:13]
	v_fma_f64 v[204:205], v[4:5], v[12:13], -v[14:15]
	ds_load_b128 v[4:7], v2 offset:1360
	s_wait_loadcnt 0xb
	v_mul_f64_e32 v[198:199], v[194:195], v[18:19]
	v_mul_f64_e32 v[18:19], v[196:197], v[18:19]
	scratch_load_b128 v[12:15], off, off offset:512
	v_add_f64_e32 v[30:31], v[30:31], v[186:187]
	v_add_f64_e32 v[200:201], v[188:189], v[200:201]
	ds_load_b128 v[186:189], v2 offset:1376
	s_wait_loadcnt_dscnt 0xb01
	v_mul_f64_e32 v[206:207], v[4:5], v[24:25]
	v_mul_f64_e32 v[24:25], v[6:7], v[24:25]
	v_fmac_f64_e32 v[198:199], v[196:197], v[16:17]
	v_fma_f64 v[194:195], v[194:195], v[16:17], -v[18:19]
	scratch_load_b128 v[16:19], off, off offset:528
	v_add_f64_e32 v[30:31], v[30:31], v[204:205]
	v_add_f64_e32 v[196:197], v[200:201], v[202:203]
	v_fmac_f64_e32 v[206:207], v[6:7], v[22:23]
	v_fma_f64 v[204:205], v[4:5], v[22:23], -v[24:25]
	ds_load_b128 v[4:7], v2 offset:1392
	s_wait_loadcnt_dscnt 0xb01
	v_mul_f64_e32 v[200:201], v[186:187], v[28:29]
	v_mul_f64_e32 v[202:203], v[188:189], v[28:29]
	scratch_load_b128 v[22:25], off, off offset:544
	v_add_f64_e32 v[194:195], v[30:31], v[194:195]
	v_add_f64_e32 v[196:197], v[196:197], v[198:199]
	s_wait_loadcnt_dscnt 0xb00
	v_mul_f64_e32 v[198:199], v[4:5], v[160:161]
	v_mul_f64_e32 v[160:161], v[6:7], v[160:161]
	ds_load_b128 v[28:31], v2 offset:1408
	v_fmac_f64_e32 v[200:201], v[188:189], v[26:27]
	v_fma_f64 v[26:27], v[186:187], v[26:27], -v[202:203]
	scratch_load_b128 v[186:189], off, off offset:560
	v_add_f64_e32 v[194:195], v[194:195], v[204:205]
	v_add_f64_e32 v[196:197], v[196:197], v[206:207]
	v_fmac_f64_e32 v[198:199], v[6:7], v[158:159]
	v_fma_f64 v[204:205], v[4:5], v[158:159], -v[160:161]
	ds_load_b128 v[4:7], v2 offset:1424
	s_wait_loadcnt_dscnt 0xb01
	v_mul_f64_e32 v[202:203], v[28:29], v[164:165]
	v_mul_f64_e32 v[164:165], v[30:31], v[164:165]
	scratch_load_b128 v[158:161], off, off offset:576
	s_wait_loadcnt_dscnt 0xb00
	v_mul_f64_e32 v[206:207], v[4:5], v[168:169]
	v_mul_f64_e32 v[168:169], v[6:7], v[168:169]
	v_add_f64_e32 v[26:27], v[194:195], v[26:27]
	v_add_f64_e32 v[200:201], v[196:197], v[200:201]
	ds_load_b128 v[194:197], v2 offset:1440
	v_fmac_f64_e32 v[202:203], v[30:31], v[162:163]
	v_fma_f64 v[30:31], v[28:29], v[162:163], -v[164:165]
	v_fmac_f64_e32 v[206:207], v[6:7], v[166:167]
	v_add_f64_e32 v[162:163], v[26:27], v[204:205]
	v_add_f64_e32 v[164:165], v[200:201], v[198:199]
	scratch_load_b128 v[26:29], off, off offset:592
	v_fma_f64 v[200:201], v[4:5], v[166:167], -v[168:169]
	ds_load_b128 v[4:7], v2 offset:1456
	s_wait_loadcnt_dscnt 0xb01
	v_mul_f64_e32 v[198:199], v[194:195], v[172:173]
	v_mul_f64_e32 v[172:173], v[196:197], v[172:173]
	ds_load_b128 v[166:169], v2 offset:1472
	s_wait_loadcnt_dscnt 0xa01
	v_mul_f64_e32 v[204:205], v[4:5], v[180:181]
	v_mul_f64_e32 v[180:181], v[6:7], v[180:181]
	v_add_f64_e32 v[30:31], v[162:163], v[30:31]
	v_add_f64_e32 v[202:203], v[164:165], v[202:203]
	scratch_load_b128 v[162:165], off, off offset:608
	v_fmac_f64_e32 v[198:199], v[196:197], v[170:171]
	v_fma_f64 v[194:195], v[194:195], v[170:171], -v[172:173]
	scratch_load_b128 v[170:173], off, off offset:624
	v_fmac_f64_e32 v[204:205], v[6:7], v[178:179]
	v_add_f64_e32 v[30:31], v[30:31], v[200:201]
	v_add_f64_e32 v[196:197], v[202:203], v[206:207]
	v_fma_f64 v[206:207], v[4:5], v[178:179], -v[180:181]
	ds_load_b128 v[4:7], v2 offset:1488
	s_wait_loadcnt_dscnt 0xa01
	v_mul_f64_e32 v[200:201], v[166:167], v[192:193]
	v_mul_f64_e32 v[202:203], v[168:169], v[192:193]
	scratch_load_b128 v[178:181], off, off offset:640
	v_add_f64_e32 v[30:31], v[30:31], v[194:195]
	v_add_f64_e32 v[196:197], v[196:197], v[198:199]
	s_wait_loadcnt_dscnt 0xa00
	v_mul_f64_e32 v[208:209], v[4:5], v[176:177]
	v_mul_f64_e32 v[176:177], v[6:7], v[176:177]
	v_fmac_f64_e32 v[200:201], v[168:169], v[190:191]
	v_fma_f64 v[190:191], v[166:167], v[190:191], -v[202:203]
	ds_load_b128 v[192:195], v2 offset:1504
	scratch_load_b128 v[166:169], off, off offset:656
	v_add_f64_e32 v[30:31], v[30:31], v[206:207]
	v_add_f64_e32 v[196:197], v[196:197], v[204:205]
	v_fmac_f64_e32 v[208:209], v[6:7], v[174:175]
	v_fma_f64 v[204:205], v[4:5], v[174:175], -v[176:177]
	ds_load_b128 v[4:7], v2 offset:1520
	s_wait_loadcnt_dscnt 0xa01
	v_mul_f64_e32 v[202:203], v[192:193], v[10:11]
	v_mul_f64_e32 v[10:11], v[194:195], v[10:11]
	scratch_load_b128 v[174:177], off, off offset:672
	v_add_f64_e32 v[30:31], v[30:31], v[190:191]
	v_add_f64_e32 v[190:191], v[196:197], v[200:201]
	s_wait_loadcnt_dscnt 0xa00
	v_mul_f64_e32 v[200:201], v[4:5], v[14:15]
	v_mul_f64_e32 v[14:15], v[6:7], v[14:15]
	ds_load_b128 v[196:199], v2 offset:1536
	v_fmac_f64_e32 v[202:203], v[194:195], v[8:9]
	v_fma_f64 v[192:193], v[192:193], v[8:9], -v[10:11]
	scratch_load_b128 v[8:11], off, off offset:688
	v_add_f64_e32 v[30:31], v[30:31], v[204:205]
	v_add_f64_e32 v[190:191], v[190:191], v[208:209]
	v_fmac_f64_e32 v[200:201], v[6:7], v[12:13]
	v_fma_f64 v[204:205], v[4:5], v[12:13], -v[14:15]
	ds_load_b128 v[4:7], v2 offset:1552
	s_wait_loadcnt_dscnt 0xa01
	v_mul_f64_e32 v[194:195], v[196:197], v[18:19]
	v_mul_f64_e32 v[18:19], v[198:199], v[18:19]
	scratch_load_b128 v[12:15], off, off offset:704
	s_wait_loadcnt_dscnt 0xa00
	v_mul_f64_e32 v[206:207], v[4:5], v[24:25]
	v_mul_f64_e32 v[24:25], v[6:7], v[24:25]
	v_add_f64_e32 v[30:31], v[30:31], v[192:193]
	v_add_f64_e32 v[202:203], v[190:191], v[202:203]
	ds_load_b128 v[190:193], v2 offset:1568
	v_fmac_f64_e32 v[194:195], v[198:199], v[16:17]
	v_fma_f64 v[196:197], v[196:197], v[16:17], -v[18:19]
	scratch_load_b128 v[16:19], off, off offset:720
	v_fmac_f64_e32 v[206:207], v[6:7], v[22:23]
	v_add_f64_e32 v[30:31], v[30:31], v[204:205]
	v_add_f64_e32 v[198:199], v[202:203], v[200:201]
	v_fma_f64 v[202:203], v[4:5], v[22:23], -v[24:25]
	ds_load_b128 v[4:7], v2 offset:1584
	s_wait_loadcnt_dscnt 0xa01
	v_mul_f64_e32 v[200:201], v[190:191], v[188:189]
	v_mul_f64_e32 v[188:189], v[192:193], v[188:189]
	scratch_load_b128 v[22:25], off, off offset:736
	s_wait_loadcnt_dscnt 0xa00
	v_mul_f64_e32 v[204:205], v[4:5], v[160:161]
	v_mul_f64_e32 v[160:161], v[6:7], v[160:161]
	v_add_f64_e32 v[30:31], v[30:31], v[196:197]
	v_add_f64_e32 v[198:199], v[198:199], v[194:195]
	ds_load_b128 v[194:197], v2 offset:1600
	v_fmac_f64_e32 v[200:201], v[192:193], v[186:187]
	v_fma_f64 v[190:191], v[190:191], v[186:187], -v[188:189]
	scratch_load_b128 v[186:189], off, off offset:752
	v_fmac_f64_e32 v[204:205], v[6:7], v[158:159]
	v_add_f64_e32 v[30:31], v[30:31], v[202:203]
	v_add_f64_e32 v[192:193], v[198:199], v[206:207]
	v_fma_f64 v[206:207], v[4:5], v[158:159], -v[160:161]
	ds_load_b128 v[4:7], v2 offset:1616
	s_wait_loadcnt_dscnt 0xa01
	v_mul_f64_e32 v[198:199], v[194:195], v[28:29]
	v_mul_f64_e32 v[202:203], v[196:197], v[28:29]
	ds_load_b128 v[158:161], v2 offset:1632
	v_add_f64_e32 v[190:191], v[30:31], v[190:191]
	v_add_f64_e32 v[192:193], v[192:193], v[200:201]
	scratch_load_b128 v[28:31], off, off offset:768
	s_wait_loadcnt_dscnt 0xa01
	v_mul_f64_e32 v[200:201], v[4:5], v[164:165]
	v_mul_f64_e32 v[164:165], v[6:7], v[164:165]
	v_fmac_f64_e32 v[198:199], v[196:197], v[26:27]
	v_fma_f64 v[26:27], v[194:195], v[26:27], -v[202:203]
	v_add_f64_e32 v[194:195], v[190:191], v[206:207]
	v_add_f64_e32 v[196:197], v[192:193], v[204:205]
	scratch_load_b128 v[190:193], off, off offset:784
	v_fmac_f64_e32 v[200:201], v[6:7], v[162:163]
	v_fma_f64 v[204:205], v[4:5], v[162:163], -v[164:165]
	ds_load_b128 v[4:7], v2 offset:1648
	s_wait_loadcnt_dscnt 0xa01
	v_mul_f64_e32 v[202:203], v[158:159], v[172:173]
	v_mul_f64_e32 v[172:173], v[160:161], v[172:173]
	scratch_load_b128 v[162:165], off, off offset:800
	s_wait_loadcnt_dscnt 0xa00
	v_mul_f64_e32 v[206:207], v[4:5], v[180:181]
	v_mul_f64_e32 v[180:181], v[6:7], v[180:181]
	v_add_f64_e32 v[26:27], v[194:195], v[26:27]
	v_add_f64_e32 v[198:199], v[196:197], v[198:199]
	ds_load_b128 v[194:197], v2 offset:1664
	v_fmac_f64_e32 v[202:203], v[160:161], v[170:171]
	v_fma_f64 v[170:171], v[158:159], v[170:171], -v[172:173]
	scratch_load_b128 v[158:161], off, off offset:816
	v_fmac_f64_e32 v[206:207], v[6:7], v[178:179]
	v_add_f64_e32 v[26:27], v[26:27], v[204:205]
	v_add_f64_e32 v[172:173], v[198:199], v[200:201]
	v_fma_f64 v[204:205], v[4:5], v[178:179], -v[180:181]
	ds_load_b128 v[4:7], v2 offset:1680
	s_wait_loadcnt_dscnt 0xa01
	v_mul_f64_e32 v[198:199], v[194:195], v[168:169]
	v_mul_f64_e32 v[200:201], v[196:197], v[168:169]
	ds_load_b128 v[178:181], v2 offset:1696
	v_add_f64_e32 v[26:27], v[26:27], v[170:171]
	v_add_f64_e32 v[172:173], v[172:173], v[202:203]
	scratch_load_b128 v[168:171], off, off offset:832
	s_wait_loadcnt_dscnt 0xa01
	v_mul_f64_e32 v[202:203], v[4:5], v[176:177]
	v_mul_f64_e32 v[176:177], v[6:7], v[176:177]
	v_fmac_f64_e32 v[198:199], v[196:197], v[166:167]
	v_fma_f64 v[166:167], v[194:195], v[166:167], -v[200:201]
	scratch_load_b128 v[194:197], off, off offset:848
	v_add_f64_e32 v[26:27], v[26:27], v[204:205]
	v_add_f64_e32 v[172:173], v[172:173], v[206:207]
	v_fmac_f64_e32 v[202:203], v[6:7], v[174:175]
	v_fma_f64 v[176:177], v[4:5], v[174:175], -v[176:177]
	ds_load_b128 v[4:7], v2 offset:1712
	s_wait_loadcnt_dscnt 0xa01
	v_mul_f64_e32 v[204:205], v[178:179], v[10:11]
	v_mul_f64_e32 v[10:11], v[180:181], v[10:11]
	s_wait_loadcnt_dscnt 0x900
	v_mul_f64_e32 v[206:207], v[4:5], v[14:15]
	v_mul_f64_e32 v[14:15], v[6:7], v[14:15]
	v_add_f64_e32 v[26:27], v[26:27], v[166:167]
	v_add_f64_e32 v[166:167], v[172:173], v[198:199]
	scratch_load_b128 v[172:175], off, off offset:864
	ds_load_b128 v[198:201], v2 offset:1728
	v_fmac_f64_e32 v[204:205], v[180:181], v[8:9]
	v_fma_f64 v[178:179], v[178:179], v[8:9], -v[10:11]
	scratch_load_b128 v[8:11], off, off offset:880
	v_fmac_f64_e32 v[206:207], v[6:7], v[12:13]
	v_add_f64_e32 v[26:27], v[26:27], v[176:177]
	v_add_f64_e32 v[166:167], v[166:167], v[202:203]
	v_fma_f64 v[202:203], v[4:5], v[12:13], -v[14:15]
	ds_load_b128 v[4:7], v2 offset:1744
	s_wait_loadcnt_dscnt 0xa01
	v_mul_f64_e32 v[180:181], v[198:199], v[18:19]
	v_mul_f64_e32 v[18:19], v[200:201], v[18:19]
	scratch_load_b128 v[12:15], off, off offset:896
	v_add_f64_e32 v[26:27], v[26:27], v[178:179]
	v_add_f64_e32 v[166:167], v[166:167], v[204:205]
	s_wait_loadcnt_dscnt 0xa00
	v_mul_f64_e32 v[204:205], v[4:5], v[24:25]
	v_mul_f64_e32 v[24:25], v[6:7], v[24:25]
	v_fmac_f64_e32 v[180:181], v[200:201], v[16:17]
	v_fma_f64 v[198:199], v[198:199], v[16:17], -v[18:19]
	ds_load_b128 v[176:179], v2 offset:1760
	scratch_load_b128 v[16:19], off, off offset:912
	v_add_f64_e32 v[26:27], v[26:27], v[202:203]
	v_add_f64_e32 v[166:167], v[166:167], v[206:207]
	v_fmac_f64_e32 v[204:205], v[6:7], v[22:23]
	v_fma_f64 v[206:207], v[4:5], v[22:23], -v[24:25]
	ds_load_b128 v[4:7], v2 offset:1776
	s_wait_loadcnt_dscnt 0xa01
	v_mul_f64_e32 v[202:203], v[176:177], v[188:189]
	v_mul_f64_e32 v[188:189], v[178:179], v[188:189]
	scratch_load_b128 v[22:25], off, off offset:928
	v_add_f64_e32 v[26:27], v[26:27], v[198:199]
	v_add_f64_e32 v[166:167], v[166:167], v[180:181]
	s_wait_loadcnt_dscnt 0xa00
	v_mul_f64_e32 v[180:181], v[4:5], v[30:31]
	v_mul_f64_e32 v[30:31], v[6:7], v[30:31]
	ds_load_b128 v[198:201], v2 offset:1792
	v_fmac_f64_e32 v[202:203], v[178:179], v[186:187]
	v_fma_f64 v[186:187], v[176:177], v[186:187], -v[188:189]
	scratch_load_b128 v[176:179], off, off offset:944
	v_add_f64_e32 v[26:27], v[26:27], v[206:207]
	v_add_f64_e32 v[166:167], v[166:167], v[204:205]
	v_fmac_f64_e32 v[180:181], v[6:7], v[28:29]
	v_fma_f64 v[30:31], v[4:5], v[28:29], -v[30:31]
	ds_load_b128 v[4:7], v2 offset:1808
	s_wait_loadcnt_dscnt 0xa01
	v_mul_f64_e32 v[204:205], v[198:199], v[192:193]
	v_mul_f64_e32 v[192:193], v[200:201], v[192:193]
	s_wait_loadcnt_dscnt 0x900
	v_mul_f64_e32 v[208:209], v[6:7], v[164:165]
	v_add_f64_e32 v[206:207], v[26:27], v[186:187]
	v_add_f64_e32 v[166:167], v[166:167], v[202:203]
	scratch_load_b128 v[26:29], off, off offset:960
	v_mul_f64_e32 v[202:203], v[4:5], v[164:165]
	ds_load_b128 v[186:189], v2 offset:1824
	v_fmac_f64_e32 v[204:205], v[200:201], v[190:191]
	v_fma_f64 v[190:191], v[198:199], v[190:191], -v[192:193]
	v_add_f64_e32 v[30:31], v[206:207], v[30:31]
	v_add_f64_e32 v[180:181], v[166:167], v[180:181]
	scratch_load_b128 v[164:167], off, off offset:976
	v_fmac_f64_e32 v[202:203], v[6:7], v[162:163]
	v_fma_f64 v[206:207], v[4:5], v[162:163], -v[208:209]
	ds_load_b128 v[4:7], v2 offset:1840
	s_wait_loadcnt_dscnt 0xa01
	v_mul_f64_e32 v[198:199], v[186:187], v[160:161]
	v_mul_f64_e32 v[200:201], v[188:189], v[160:161]
	scratch_load_b128 v[160:163], off, off offset:992
	v_add_f64_e32 v[30:31], v[30:31], v[190:191]
	v_add_f64_e32 v[180:181], v[180:181], v[204:205]
	s_wait_loadcnt_dscnt 0xa00
	v_mul_f64_e32 v[204:205], v[4:5], v[170:171]
	v_mul_f64_e32 v[170:171], v[6:7], v[170:171]
	ds_load_b128 v[190:193], v2 offset:1856
	v_fmac_f64_e32 v[198:199], v[188:189], v[158:159]
	v_fma_f64 v[158:159], v[186:187], v[158:159], -v[200:201]
	s_wait_loadcnt_dscnt 0x900
	v_mul_f64_e32 v[186:187], v[190:191], v[196:197]
	v_mul_f64_e32 v[188:189], v[192:193], v[196:197]
	v_add_f64_e32 v[30:31], v[30:31], v[206:207]
	v_add_f64_e32 v[180:181], v[180:181], v[202:203]
	v_fmac_f64_e32 v[204:205], v[6:7], v[168:169]
	v_fma_f64 v[196:197], v[4:5], v[168:169], -v[170:171]
	ds_load_b128 v[4:7], v2 offset:1872
	ds_load_b128 v[168:171], v2 offset:1888
	v_fmac_f64_e32 v[186:187], v[192:193], v[194:195]
	v_fma_f64 v[188:189], v[190:191], v[194:195], -v[188:189]
	v_add_f64_e32 v[30:31], v[30:31], v[158:159]
	v_add_f64_e32 v[158:159], v[180:181], v[198:199]
	s_wait_loadcnt_dscnt 0x801
	v_mul_f64_e32 v[180:181], v[4:5], v[174:175]
	v_mul_f64_e32 v[174:175], v[6:7], v[174:175]
	s_wait_loadcnt_dscnt 0x700
	v_mul_f64_e32 v[190:191], v[168:169], v[10:11]
	v_mul_f64_e32 v[10:11], v[170:171], v[10:11]
	v_add_f64_e32 v[30:31], v[30:31], v[196:197]
	v_add_f64_e32 v[158:159], v[158:159], v[204:205]
	v_fmac_f64_e32 v[180:181], v[6:7], v[172:173]
	v_fma_f64 v[192:193], v[4:5], v[172:173], -v[174:175]
	ds_load_b128 v[4:7], v2 offset:1904
	ds_load_b128 v[172:175], v2 offset:1920
	v_fmac_f64_e32 v[190:191], v[170:171], v[8:9]
	v_fma_f64 v[8:9], v[168:169], v[8:9], -v[10:11]
	v_add_f64_e32 v[30:31], v[30:31], v[188:189]
	v_add_f64_e32 v[158:159], v[158:159], v[186:187]
	s_wait_loadcnt_dscnt 0x601
	v_mul_f64_e32 v[186:187], v[4:5], v[14:15]
	v_mul_f64_e32 v[14:15], v[6:7], v[14:15]
	s_delay_alu instid0(VALU_DEP_4) | instskip(NEXT) | instid1(VALU_DEP_4)
	v_add_f64_e32 v[10:11], v[30:31], v[192:193]
	v_add_f64_e32 v[30:31], v[158:159], v[180:181]
	s_wait_loadcnt_dscnt 0x500
	v_mul_f64_e32 v[158:159], v[172:173], v[18:19]
	v_mul_f64_e32 v[18:19], v[174:175], v[18:19]
	v_fmac_f64_e32 v[186:187], v[6:7], v[12:13]
	v_fma_f64 v[12:13], v[4:5], v[12:13], -v[14:15]
	v_add_f64_e32 v[14:15], v[10:11], v[8:9]
	v_add_f64_e32 v[30:31], v[30:31], v[190:191]
	ds_load_b128 v[4:7], v2 offset:1936
	ds_load_b128 v[8:11], v2 offset:1952
	v_fmac_f64_e32 v[158:159], v[174:175], v[16:17]
	v_fma_f64 v[16:17], v[172:173], v[16:17], -v[18:19]
	s_wait_loadcnt_dscnt 0x401
	v_mul_f64_e32 v[168:169], v[4:5], v[24:25]
	v_mul_f64_e32 v[24:25], v[6:7], v[24:25]
	s_wait_loadcnt_dscnt 0x300
	v_mul_f64_e32 v[18:19], v[8:9], v[178:179]
	v_add_f64_e32 v[12:13], v[14:15], v[12:13]
	v_add_f64_e32 v[14:15], v[30:31], v[186:187]
	v_mul_f64_e32 v[30:31], v[10:11], v[178:179]
	v_fmac_f64_e32 v[168:169], v[6:7], v[22:23]
	v_fma_f64 v[22:23], v[4:5], v[22:23], -v[24:25]
	v_fmac_f64_e32 v[18:19], v[10:11], v[176:177]
	v_add_f64_e32 v[16:17], v[12:13], v[16:17]
	v_add_f64_e32 v[24:25], v[14:15], v[158:159]
	ds_load_b128 v[4:7], v2 offset:1968
	ds_load_b128 v[12:15], v2 offset:1984
	v_fma_f64 v[8:9], v[8:9], v[176:177], -v[30:31]
	s_wait_loadcnt_dscnt 0x201
	v_mul_f64_e32 v[158:159], v[4:5], v[28:29]
	v_mul_f64_e32 v[28:29], v[6:7], v[28:29]
	v_add_f64_e32 v[10:11], v[16:17], v[22:23]
	v_add_f64_e32 v[16:17], v[24:25], v[168:169]
	s_wait_loadcnt_dscnt 0x100
	v_mul_f64_e32 v[22:23], v[12:13], v[166:167]
	v_mul_f64_e32 v[24:25], v[14:15], v[166:167]
	v_fmac_f64_e32 v[158:159], v[6:7], v[26:27]
	v_fma_f64 v[26:27], v[4:5], v[26:27], -v[28:29]
	ds_load_b128 v[4:7], v2 offset:2000
	v_add_f64_e32 v[8:9], v[10:11], v[8:9]
	v_add_f64_e32 v[10:11], v[16:17], v[18:19]
	v_fmac_f64_e32 v[22:23], v[14:15], v[164:165]
	v_fma_f64 v[12:13], v[12:13], v[164:165], -v[24:25]
	s_wait_loadcnt_dscnt 0x0
	v_mul_f64_e32 v[16:17], v[4:5], v[162:163]
	v_mul_f64_e32 v[18:19], v[6:7], v[162:163]
	v_add_f64_e32 v[8:9], v[8:9], v[26:27]
	v_add_f64_e32 v[10:11], v[10:11], v[158:159]
	s_delay_alu instid0(VALU_DEP_4) | instskip(NEXT) | instid1(VALU_DEP_4)
	v_fmac_f64_e32 v[16:17], v[6:7], v[160:161]
	v_fma_f64 v[4:5], v[4:5], v[160:161], -v[18:19]
	s_delay_alu instid0(VALU_DEP_4) | instskip(NEXT) | instid1(VALU_DEP_4)
	v_add_f64_e32 v[6:7], v[8:9], v[12:13]
	v_add_f64_e32 v[8:9], v[10:11], v[22:23]
	s_delay_alu instid0(VALU_DEP_2) | instskip(NEXT) | instid1(VALU_DEP_2)
	v_add_f64_e32 v[4:5], v[6:7], v[4:5]
	v_add_f64_e32 v[6:7], v[8:9], v[16:17]
	s_delay_alu instid0(VALU_DEP_2) | instskip(NEXT) | instid1(VALU_DEP_2)
	v_add_f64_e64 v[4:5], v[182:183], -v[4:5]
	v_add_f64_e64 v[6:7], v[184:185], -v[6:7]
	scratch_store_b128 off, v[4:7], off offset:272
	s_wait_xcnt 0x0
	v_cmpx_lt_u32_e32 16, v1
	s_cbranch_execz .LBB126_371
; %bb.370:
	scratch_load_b128 v[6:9], off, s65
	v_dual_mov_b32 v3, v2 :: v_dual_mov_b32 v4, v2
	v_mov_b32_e32 v5, v2
	scratch_store_b128 off, v[2:5], off offset:256
	s_wait_loadcnt 0x0
	ds_store_b128 v20, v[6:9]
.LBB126_371:
	s_wait_xcnt 0x0
	s_or_b32 exec_lo, exec_lo, s2
	s_wait_storecnt_dscnt 0x0
	s_barrier_signal -1
	s_barrier_wait -1
	s_clause 0x9
	scratch_load_b128 v[4:7], off, off offset:272
	scratch_load_b128 v[8:11], off, off offset:288
	;; [unrolled: 1-line block ×10, first 2 shown]
	ds_load_b128 v[174:177], v2 offset:1280
	ds_load_b128 v[182:185], v2 offset:1296
	s_clause 0x2
	scratch_load_b128 v[178:181], off, off offset:432
	scratch_load_b128 v[186:189], off, off offset:256
	;; [unrolled: 1-line block ×3, first 2 shown]
	s_mov_b32 s2, exec_lo
	s_wait_loadcnt_dscnt 0xc01
	v_mul_f64_e32 v[30:31], v[176:177], v[6:7]
	v_mul_f64_e32 v[198:199], v[174:175], v[6:7]
	s_wait_loadcnt_dscnt 0xb00
	v_mul_f64_e32 v[200:201], v[182:183], v[10:11]
	v_mul_f64_e32 v[10:11], v[184:185], v[10:11]
	s_delay_alu instid0(VALU_DEP_4) | instskip(NEXT) | instid1(VALU_DEP_4)
	v_fma_f64 v[30:31], v[174:175], v[4:5], -v[30:31]
	v_fmac_f64_e32 v[198:199], v[176:177], v[4:5]
	ds_load_b128 v[4:7], v2 offset:1312
	ds_load_b128 v[174:177], v2 offset:1328
	scratch_load_b128 v[194:197], off, off offset:464
	v_fmac_f64_e32 v[200:201], v[184:185], v[8:9]
	v_fma_f64 v[182:183], v[182:183], v[8:9], -v[10:11]
	scratch_load_b128 v[8:11], off, off offset:480
	s_wait_loadcnt_dscnt 0xc01
	v_mul_f64_e32 v[202:203], v[4:5], v[14:15]
	v_mul_f64_e32 v[14:15], v[6:7], v[14:15]
	v_add_f64_e32 v[30:31], 0, v[30:31]
	v_add_f64_e32 v[184:185], 0, v[198:199]
	s_wait_loadcnt_dscnt 0xb00
	v_mul_f64_e32 v[198:199], v[174:175], v[18:19]
	v_mul_f64_e32 v[18:19], v[176:177], v[18:19]
	v_fmac_f64_e32 v[202:203], v[6:7], v[12:13]
	v_fma_f64 v[204:205], v[4:5], v[12:13], -v[14:15]
	ds_load_b128 v[4:7], v2 offset:1344
	ds_load_b128 v[12:15], v2 offset:1360
	v_add_f64_e32 v[30:31], v[30:31], v[182:183]
	v_add_f64_e32 v[200:201], v[184:185], v[200:201]
	scratch_load_b128 v[182:185], off, off offset:496
	v_fmac_f64_e32 v[198:199], v[176:177], v[16:17]
	v_fma_f64 v[174:175], v[174:175], v[16:17], -v[18:19]
	scratch_load_b128 v[16:19], off, off offset:512
	s_wait_loadcnt_dscnt 0xc01
	v_mul_f64_e32 v[206:207], v[4:5], v[24:25]
	v_mul_f64_e32 v[24:25], v[6:7], v[24:25]
	v_add_f64_e32 v[30:31], v[30:31], v[204:205]
	v_add_f64_e32 v[176:177], v[200:201], v[202:203]
	s_wait_loadcnt_dscnt 0xb00
	v_mul_f64_e32 v[200:201], v[12:13], v[28:29]
	v_mul_f64_e32 v[202:203], v[14:15], v[28:29]
	v_fmac_f64_e32 v[206:207], v[6:7], v[22:23]
	v_fma_f64 v[204:205], v[4:5], v[22:23], -v[24:25]
	ds_load_b128 v[4:7], v2 offset:1376
	ds_load_b128 v[22:25], v2 offset:1392
	v_add_f64_e32 v[174:175], v[30:31], v[174:175]
	v_add_f64_e32 v[176:177], v[176:177], v[198:199]
	scratch_load_b128 v[28:31], off, off offset:528
	s_wait_loadcnt_dscnt 0xb01
	v_mul_f64_e32 v[198:199], v[4:5], v[160:161]
	v_mul_f64_e32 v[160:161], v[6:7], v[160:161]
	v_fmac_f64_e32 v[200:201], v[14:15], v[26:27]
	v_fma_f64 v[26:27], v[12:13], v[26:27], -v[202:203]
	scratch_load_b128 v[12:15], off, off offset:544
	s_wait_loadcnt_dscnt 0xb00
	v_mul_f64_e32 v[202:203], v[22:23], v[164:165]
	v_mul_f64_e32 v[164:165], v[24:25], v[164:165]
	v_add_f64_e32 v[174:175], v[174:175], v[204:205]
	v_add_f64_e32 v[176:177], v[176:177], v[206:207]
	v_fmac_f64_e32 v[198:199], v[6:7], v[158:159]
	v_fma_f64 v[204:205], v[4:5], v[158:159], -v[160:161]
	ds_load_b128 v[4:7], v2 offset:1408
	ds_load_b128 v[158:161], v2 offset:1424
	v_fmac_f64_e32 v[202:203], v[24:25], v[162:163]
	v_fma_f64 v[162:163], v[22:23], v[162:163], -v[164:165]
	scratch_load_b128 v[22:25], off, off offset:576
	s_wait_loadcnt_dscnt 0xb01
	v_mul_f64_e32 v[206:207], v[4:5], v[168:169]
	v_mul_f64_e32 v[168:169], v[6:7], v[168:169]
	v_add_f64_e32 v[26:27], v[174:175], v[26:27]
	v_add_f64_e32 v[200:201], v[176:177], v[200:201]
	scratch_load_b128 v[174:177], off, off offset:560
	v_fmac_f64_e32 v[206:207], v[6:7], v[166:167]
	v_add_f64_e32 v[26:27], v[26:27], v[204:205]
	v_add_f64_e32 v[164:165], v[200:201], v[198:199]
	s_wait_loadcnt_dscnt 0xb00
	v_mul_f64_e32 v[198:199], v[158:159], v[172:173]
	v_mul_f64_e32 v[172:173], v[160:161], v[172:173]
	v_fma_f64 v[200:201], v[4:5], v[166:167], -v[168:169]
	v_add_f64_e32 v[26:27], v[26:27], v[162:163]
	v_add_f64_e32 v[202:203], v[164:165], v[202:203]
	ds_load_b128 v[4:7], v2 offset:1440
	ds_load_b128 v[162:165], v2 offset:1456
	scratch_load_b128 v[166:169], off, off offset:592
	v_fmac_f64_e32 v[198:199], v[160:161], v[170:171]
	v_fma_f64 v[170:171], v[158:159], v[170:171], -v[172:173]
	scratch_load_b128 v[158:161], off, off offset:608
	s_wait_loadcnt_dscnt 0xc01
	v_mul_f64_e32 v[204:205], v[4:5], v[180:181]
	v_mul_f64_e32 v[180:181], v[6:7], v[180:181]
	v_add_f64_e32 v[26:27], v[26:27], v[200:201]
	v_add_f64_e32 v[172:173], v[202:203], v[206:207]
	s_wait_loadcnt_dscnt 0xa00
	v_mul_f64_e32 v[200:201], v[162:163], v[192:193]
	v_mul_f64_e32 v[192:193], v[164:165], v[192:193]
	v_fmac_f64_e32 v[204:205], v[6:7], v[178:179]
	v_fma_f64 v[202:203], v[4:5], v[178:179], -v[180:181]
	v_add_f64_e32 v[26:27], v[26:27], v[170:171]
	v_add_f64_e32 v[198:199], v[172:173], v[198:199]
	ds_load_b128 v[4:7], v2 offset:1472
	ds_load_b128 v[170:173], v2 offset:1488
	scratch_load_b128 v[178:181], off, off offset:624
	v_fmac_f64_e32 v[200:201], v[164:165], v[190:191]
	v_fma_f64 v[190:191], v[162:163], v[190:191], -v[192:193]
	scratch_load_b128 v[162:165], off, off offset:640
	s_wait_loadcnt_dscnt 0xb01
	v_mul_f64_e32 v[206:207], v[4:5], v[196:197]
	v_mul_f64_e32 v[196:197], v[6:7], v[196:197]
	v_add_f64_e32 v[26:27], v[26:27], v[202:203]
	v_add_f64_e32 v[192:193], v[198:199], v[204:205]
	s_wait_loadcnt_dscnt 0xa00
	v_mul_f64_e32 v[198:199], v[170:171], v[10:11]
	v_mul_f64_e32 v[10:11], v[172:173], v[10:11]
	v_fmac_f64_e32 v[206:207], v[6:7], v[194:195]
	;; [unrolled: 18-line block ×4, first 2 shown]
	v_fma_f64 v[30:31], v[4:5], v[28:29], -v[30:31]
	v_add_f64_e32 v[202:203], v[26:27], v[190:191]
	v_add_f64_e32 v[200:201], v[192:193], v[200:201]
	ds_load_b128 v[4:7], v2 offset:1568
	ds_load_b128 v[26:29], v2 offset:1584
	scratch_load_b128 v[190:193], off, off offset:720
	v_fmac_f64_e32 v[198:199], v[172:173], v[12:13]
	v_fma_f64 v[170:171], v[170:171], v[12:13], -v[14:15]
	scratch_load_b128 v[12:15], off, off offset:736
	s_wait_loadcnt_dscnt 0xa01
	v_mul_f64_e32 v[204:205], v[4:5], v[176:177]
	v_mul_f64_e32 v[176:177], v[6:7], v[176:177]
	v_add_f64_e32 v[30:31], v[202:203], v[30:31]
	v_add_f64_e32 v[172:173], v[200:201], v[206:207]
	s_wait_dscnt 0x0
	v_mul_f64_e32 v[200:201], v[26:27], v[24:25]
	v_mul_f64_e32 v[24:25], v[28:29], v[24:25]
	v_fmac_f64_e32 v[204:205], v[6:7], v[174:175]
	v_fma_f64 v[202:203], v[4:5], v[174:175], -v[176:177]
	v_add_f64_e32 v[30:31], v[30:31], v[170:171]
	v_add_f64_e32 v[198:199], v[172:173], v[198:199]
	ds_load_b128 v[4:7], v2 offset:1600
	ds_load_b128 v[170:173], v2 offset:1616
	scratch_load_b128 v[174:177], off, off offset:752
	v_fmac_f64_e32 v[200:201], v[28:29], v[22:23]
	v_fma_f64 v[26:27], v[26:27], v[22:23], -v[24:25]
	scratch_load_b128 v[22:25], off, off offset:768
	s_wait_loadcnt_dscnt 0xb01
	v_mul_f64_e32 v[206:207], v[4:5], v[168:169]
	v_mul_f64_e32 v[168:169], v[6:7], v[168:169]
	v_add_f64_e32 v[28:29], v[30:31], v[202:203]
	v_add_f64_e32 v[30:31], v[198:199], v[204:205]
	s_wait_loadcnt_dscnt 0xa00
	v_mul_f64_e32 v[198:199], v[170:171], v[160:161]
	v_mul_f64_e32 v[160:161], v[172:173], v[160:161]
	v_fmac_f64_e32 v[206:207], v[6:7], v[166:167]
	v_fma_f64 v[202:203], v[4:5], v[166:167], -v[168:169]
	v_add_f64_e32 v[204:205], v[28:29], v[26:27]
	v_add_f64_e32 v[30:31], v[30:31], v[200:201]
	ds_load_b128 v[4:7], v2 offset:1632
	ds_load_b128 v[26:29], v2 offset:1648
	scratch_load_b128 v[166:169], off, off offset:784
	v_fmac_f64_e32 v[198:199], v[172:173], v[158:159]
	v_fma_f64 v[170:171], v[170:171], v[158:159], -v[160:161]
	scratch_load_b128 v[158:161], off, off offset:800
	s_wait_loadcnt_dscnt 0xb01
	v_mul_f64_e32 v[200:201], v[4:5], v[180:181]
	v_mul_f64_e32 v[180:181], v[6:7], v[180:181]
	v_add_f64_e32 v[172:173], v[204:205], v[202:203]
	v_add_f64_e32 v[30:31], v[30:31], v[206:207]
	s_wait_loadcnt_dscnt 0xa00
	;; [unrolled: 18-line block ×7, first 2 shown]
	v_mul_f64_e32 v[198:199], v[170:171], v[160:161]
	v_mul_f64_e32 v[204:205], v[172:173], v[160:161]
	v_fmac_f64_e32 v[202:203], v[6:7], v[166:167]
	v_fma_f64 v[168:169], v[4:5], v[166:167], -v[168:169]
	v_add_f64_e32 v[206:207], v[164:165], v[162:163]
	v_add_f64_e32 v[30:31], v[30:31], v[200:201]
	ds_load_b128 v[4:7], v2 offset:1824
	ds_load_b128 v[160:163], v2 offset:1840
	scratch_load_b128 v[164:167], off, off offset:976
	v_fmac_f64_e32 v[198:199], v[172:173], v[158:159]
	v_fma_f64 v[158:159], v[170:171], v[158:159], -v[204:205]
	s_wait_loadcnt_dscnt 0xa01
	v_mul_f64_e32 v[200:201], v[4:5], v[180:181]
	v_mul_f64_e32 v[180:181], v[6:7], v[180:181]
	s_wait_loadcnt_dscnt 0x900
	v_mul_f64_e32 v[204:205], v[162:163], v[28:29]
	v_add_f64_e32 v[172:173], v[206:207], v[168:169]
	v_add_f64_e32 v[30:31], v[30:31], v[202:203]
	scratch_load_b128 v[168:171], off, off offset:992
	v_mul_f64_e32 v[202:203], v[160:161], v[28:29]
	v_fmac_f64_e32 v[200:201], v[6:7], v[178:179]
	v_fma_f64 v[178:179], v[4:5], v[178:179], -v[180:181]
	v_add_f64_e32 v[158:159], v[172:173], v[158:159]
	v_add_f64_e32 v[172:173], v[30:31], v[198:199]
	ds_load_b128 v[4:7], v2 offset:1856
	ds_load_b128 v[28:31], v2 offset:1872
	v_fmac_f64_e32 v[202:203], v[162:163], v[26:27]
	v_fma_f64 v[26:27], v[160:161], v[26:27], -v[204:205]
	s_wait_loadcnt_dscnt 0x901
	v_mul_f64_e32 v[180:181], v[4:5], v[196:197]
	v_mul_f64_e32 v[196:197], v[6:7], v[196:197]
	s_wait_loadcnt_dscnt 0x800
	v_mul_f64_e32 v[162:163], v[28:29], v[10:11]
	v_mul_f64_e32 v[10:11], v[30:31], v[10:11]
	v_add_f64_e32 v[158:159], v[158:159], v[178:179]
	v_add_f64_e32 v[160:161], v[172:173], v[200:201]
	v_fmac_f64_e32 v[180:181], v[6:7], v[194:195]
	v_fma_f64 v[172:173], v[4:5], v[194:195], -v[196:197]
	v_fmac_f64_e32 v[162:163], v[30:31], v[8:9]
	v_fma_f64 v[8:9], v[28:29], v[8:9], -v[10:11]
	v_add_f64_e32 v[26:27], v[158:159], v[26:27]
	v_add_f64_e32 v[178:179], v[160:161], v[202:203]
	ds_load_b128 v[4:7], v2 offset:1888
	ds_load_b128 v[158:161], v2 offset:1904
	s_wait_loadcnt_dscnt 0x701
	v_mul_f64_e32 v[194:195], v[4:5], v[184:185]
	v_mul_f64_e32 v[184:185], v[6:7], v[184:185]
	s_wait_loadcnt_dscnt 0x600
	v_mul_f64_e32 v[28:29], v[158:159], v[18:19]
	v_mul_f64_e32 v[18:19], v[160:161], v[18:19]
	v_add_f64_e32 v[10:11], v[26:27], v[172:173]
	v_add_f64_e32 v[26:27], v[178:179], v[180:181]
	v_fmac_f64_e32 v[194:195], v[6:7], v[182:183]
	v_fma_f64 v[30:31], v[4:5], v[182:183], -v[184:185]
	v_fmac_f64_e32 v[28:29], v[160:161], v[16:17]
	v_fma_f64 v[16:17], v[158:159], v[16:17], -v[18:19]
	v_add_f64_e32 v[172:173], v[10:11], v[8:9]
	v_add_f64_e32 v[26:27], v[26:27], v[162:163]
	ds_load_b128 v[4:7], v2 offset:1920
	ds_load_b128 v[8:11], v2 offset:1936
	s_wait_loadcnt_dscnt 0x501
	v_mul_f64_e32 v[162:163], v[4:5], v[192:193]
	v_mul_f64_e32 v[178:179], v[6:7], v[192:193]
	s_wait_loadcnt_dscnt 0x400
	v_mul_f64_e32 v[158:159], v[10:11], v[14:15]
	v_add_f64_e32 v[18:19], v[172:173], v[30:31]
	v_add_f64_e32 v[26:27], v[26:27], v[194:195]
	v_mul_f64_e32 v[30:31], v[8:9], v[14:15]
	v_fmac_f64_e32 v[162:163], v[6:7], v[190:191]
	v_fma_f64 v[160:161], v[4:5], v[190:191], -v[178:179]
	v_fma_f64 v[8:9], v[8:9], v[12:13], -v[158:159]
	v_add_f64_e32 v[18:19], v[18:19], v[16:17]
	v_add_f64_e32 v[26:27], v[26:27], v[28:29]
	ds_load_b128 v[4:7], v2 offset:1952
	ds_load_b128 v[14:17], v2 offset:1968
	v_fmac_f64_e32 v[30:31], v[10:11], v[12:13]
	s_wait_loadcnt_dscnt 0x301
	v_mul_f64_e32 v[28:29], v[4:5], v[176:177]
	v_mul_f64_e32 v[172:173], v[6:7], v[176:177]
	v_add_f64_e32 v[10:11], v[18:19], v[160:161]
	v_add_f64_e32 v[12:13], v[26:27], v[162:163]
	s_wait_loadcnt_dscnt 0x200
	v_mul_f64_e32 v[18:19], v[14:15], v[24:25]
	v_mul_f64_e32 v[24:25], v[16:17], v[24:25]
	v_fmac_f64_e32 v[28:29], v[6:7], v[174:175]
	v_fma_f64 v[26:27], v[4:5], v[174:175], -v[172:173]
	v_add_f64_e32 v[158:159], v[10:11], v[8:9]
	v_add_f64_e32 v[12:13], v[12:13], v[30:31]
	ds_load_b128 v[4:7], v2 offset:1984
	ds_load_b128 v[8:11], v2 offset:2000
	v_fmac_f64_e32 v[18:19], v[16:17], v[22:23]
	v_fma_f64 v[14:15], v[14:15], v[22:23], -v[24:25]
	s_wait_loadcnt_dscnt 0x101
	v_mul_f64_e32 v[2:3], v[4:5], v[166:167]
	v_mul_f64_e32 v[30:31], v[6:7], v[166:167]
	v_add_f64_e32 v[16:17], v[158:159], v[26:27]
	v_add_f64_e32 v[12:13], v[12:13], v[28:29]
	s_wait_loadcnt_dscnt 0x0
	v_mul_f64_e32 v[22:23], v[8:9], v[170:171]
	v_mul_f64_e32 v[24:25], v[10:11], v[170:171]
	v_fmac_f64_e32 v[2:3], v[6:7], v[164:165]
	v_fma_f64 v[4:5], v[4:5], v[164:165], -v[30:31]
	v_add_f64_e32 v[6:7], v[16:17], v[14:15]
	v_add_f64_e32 v[12:13], v[12:13], v[18:19]
	v_fmac_f64_e32 v[22:23], v[10:11], v[168:169]
	v_fma_f64 v[8:9], v[8:9], v[168:169], -v[24:25]
	s_delay_alu instid0(VALU_DEP_4) | instskip(NEXT) | instid1(VALU_DEP_4)
	v_add_f64_e32 v[4:5], v[6:7], v[4:5]
	v_add_f64_e32 v[2:3], v[12:13], v[2:3]
	s_delay_alu instid0(VALU_DEP_2) | instskip(NEXT) | instid1(VALU_DEP_2)
	v_add_f64_e32 v[4:5], v[4:5], v[8:9]
	v_add_f64_e32 v[6:7], v[2:3], v[22:23]
	s_delay_alu instid0(VALU_DEP_2) | instskip(NEXT) | instid1(VALU_DEP_2)
	v_add_f64_e64 v[2:3], v[186:187], -v[4:5]
	v_add_f64_e64 v[4:5], v[188:189], -v[6:7]
	scratch_store_b128 off, v[2:5], off offset:256
	s_wait_xcnt 0x0
	v_cmpx_lt_u32_e32 15, v1
	s_cbranch_execz .LBB126_373
; %bb.372:
	scratch_load_b128 v[2:5], off, s66
	v_mov_b32_e32 v6, 0
	s_delay_alu instid0(VALU_DEP_1)
	v_dual_mov_b32 v7, v6 :: v_dual_mov_b32 v8, v6
	v_mov_b32_e32 v9, v6
	scratch_store_b128 off, v[6:9], off offset:240
	s_wait_loadcnt 0x0
	ds_store_b128 v20, v[2:5]
.LBB126_373:
	s_wait_xcnt 0x0
	s_or_b32 exec_lo, exec_lo, s2
	s_wait_storecnt_dscnt 0x0
	s_barrier_signal -1
	s_barrier_wait -1
	s_clause 0x9
	scratch_load_b128 v[4:7], off, off offset:256
	scratch_load_b128 v[8:11], off, off offset:272
	;; [unrolled: 1-line block ×10, first 2 shown]
	v_mov_b32_e32 v2, 0
	s_mov_b32 s2, exec_lo
	ds_load_b128 v[174:177], v2 offset:1264
	s_clause 0x2
	scratch_load_b128 v[178:181], off, off offset:416
	scratch_load_b128 v[182:185], off, off offset:240
	;; [unrolled: 1-line block ×3, first 2 shown]
	s_wait_loadcnt_dscnt 0xc00
	v_mul_f64_e32 v[30:31], v[176:177], v[6:7]
	v_mul_f64_e32 v[198:199], v[174:175], v[6:7]
	ds_load_b128 v[186:189], v2 offset:1280
	ds_load_b128 v[194:197], v2 offset:1312
	v_fma_f64 v[30:31], v[174:175], v[4:5], -v[30:31]
	v_fmac_f64_e32 v[198:199], v[176:177], v[4:5]
	ds_load_b128 v[4:7], v2 offset:1296
	s_wait_loadcnt_dscnt 0xb02
	v_mul_f64_e32 v[200:201], v[186:187], v[10:11]
	v_mul_f64_e32 v[10:11], v[188:189], v[10:11]
	scratch_load_b128 v[174:177], off, off offset:448
	s_wait_loadcnt_dscnt 0xb00
	v_mul_f64_e32 v[202:203], v[4:5], v[14:15]
	v_mul_f64_e32 v[14:15], v[6:7], v[14:15]
	v_add_f64_e32 v[30:31], 0, v[30:31]
	v_fmac_f64_e32 v[200:201], v[188:189], v[8:9]
	v_fma_f64 v[186:187], v[186:187], v[8:9], -v[10:11]
	v_add_f64_e32 v[188:189], 0, v[198:199]
	scratch_load_b128 v[8:11], off, off offset:464
	v_fmac_f64_e32 v[202:203], v[6:7], v[12:13]
	v_fma_f64 v[204:205], v[4:5], v[12:13], -v[14:15]
	ds_load_b128 v[4:7], v2 offset:1328
	s_wait_loadcnt 0xb
	v_mul_f64_e32 v[198:199], v[194:195], v[18:19]
	v_mul_f64_e32 v[18:19], v[196:197], v[18:19]
	scratch_load_b128 v[12:15], off, off offset:480
	v_add_f64_e32 v[30:31], v[30:31], v[186:187]
	v_add_f64_e32 v[200:201], v[188:189], v[200:201]
	ds_load_b128 v[186:189], v2 offset:1344
	s_wait_loadcnt_dscnt 0xb01
	v_mul_f64_e32 v[206:207], v[4:5], v[24:25]
	v_mul_f64_e32 v[24:25], v[6:7], v[24:25]
	v_fmac_f64_e32 v[198:199], v[196:197], v[16:17]
	v_fma_f64 v[194:195], v[194:195], v[16:17], -v[18:19]
	scratch_load_b128 v[16:19], off, off offset:496
	v_add_f64_e32 v[30:31], v[30:31], v[204:205]
	v_add_f64_e32 v[196:197], v[200:201], v[202:203]
	v_fmac_f64_e32 v[206:207], v[6:7], v[22:23]
	v_fma_f64 v[204:205], v[4:5], v[22:23], -v[24:25]
	ds_load_b128 v[4:7], v2 offset:1360
	s_wait_loadcnt_dscnt 0xb01
	v_mul_f64_e32 v[200:201], v[186:187], v[28:29]
	v_mul_f64_e32 v[202:203], v[188:189], v[28:29]
	scratch_load_b128 v[22:25], off, off offset:512
	v_add_f64_e32 v[194:195], v[30:31], v[194:195]
	v_add_f64_e32 v[196:197], v[196:197], v[198:199]
	s_wait_loadcnt_dscnt 0xb00
	v_mul_f64_e32 v[198:199], v[4:5], v[160:161]
	v_mul_f64_e32 v[160:161], v[6:7], v[160:161]
	ds_load_b128 v[28:31], v2 offset:1376
	v_fmac_f64_e32 v[200:201], v[188:189], v[26:27]
	v_fma_f64 v[26:27], v[186:187], v[26:27], -v[202:203]
	scratch_load_b128 v[186:189], off, off offset:528
	v_add_f64_e32 v[194:195], v[194:195], v[204:205]
	v_add_f64_e32 v[196:197], v[196:197], v[206:207]
	v_fmac_f64_e32 v[198:199], v[6:7], v[158:159]
	v_fma_f64 v[204:205], v[4:5], v[158:159], -v[160:161]
	ds_load_b128 v[4:7], v2 offset:1392
	s_wait_loadcnt_dscnt 0xb01
	v_mul_f64_e32 v[202:203], v[28:29], v[164:165]
	v_mul_f64_e32 v[164:165], v[30:31], v[164:165]
	scratch_load_b128 v[158:161], off, off offset:544
	s_wait_loadcnt_dscnt 0xb00
	v_mul_f64_e32 v[206:207], v[4:5], v[168:169]
	v_mul_f64_e32 v[168:169], v[6:7], v[168:169]
	v_add_f64_e32 v[26:27], v[194:195], v[26:27]
	v_add_f64_e32 v[200:201], v[196:197], v[200:201]
	ds_load_b128 v[194:197], v2 offset:1408
	v_fmac_f64_e32 v[202:203], v[30:31], v[162:163]
	v_fma_f64 v[30:31], v[28:29], v[162:163], -v[164:165]
	v_fmac_f64_e32 v[206:207], v[6:7], v[166:167]
	v_add_f64_e32 v[162:163], v[26:27], v[204:205]
	v_add_f64_e32 v[164:165], v[200:201], v[198:199]
	scratch_load_b128 v[26:29], off, off offset:560
	v_fma_f64 v[200:201], v[4:5], v[166:167], -v[168:169]
	ds_load_b128 v[4:7], v2 offset:1424
	s_wait_loadcnt_dscnt 0xb01
	v_mul_f64_e32 v[198:199], v[194:195], v[172:173]
	v_mul_f64_e32 v[172:173], v[196:197], v[172:173]
	ds_load_b128 v[166:169], v2 offset:1440
	s_wait_loadcnt_dscnt 0xa01
	v_mul_f64_e32 v[204:205], v[4:5], v[180:181]
	v_mul_f64_e32 v[180:181], v[6:7], v[180:181]
	v_add_f64_e32 v[30:31], v[162:163], v[30:31]
	v_add_f64_e32 v[202:203], v[164:165], v[202:203]
	scratch_load_b128 v[162:165], off, off offset:576
	v_fmac_f64_e32 v[198:199], v[196:197], v[170:171]
	v_fma_f64 v[194:195], v[194:195], v[170:171], -v[172:173]
	scratch_load_b128 v[170:173], off, off offset:592
	v_fmac_f64_e32 v[204:205], v[6:7], v[178:179]
	v_add_f64_e32 v[30:31], v[30:31], v[200:201]
	v_add_f64_e32 v[196:197], v[202:203], v[206:207]
	v_fma_f64 v[206:207], v[4:5], v[178:179], -v[180:181]
	ds_load_b128 v[4:7], v2 offset:1456
	s_wait_loadcnt_dscnt 0xa01
	v_mul_f64_e32 v[200:201], v[166:167], v[192:193]
	v_mul_f64_e32 v[202:203], v[168:169], v[192:193]
	scratch_load_b128 v[178:181], off, off offset:608
	v_add_f64_e32 v[30:31], v[30:31], v[194:195]
	v_add_f64_e32 v[196:197], v[196:197], v[198:199]
	s_wait_loadcnt_dscnt 0xa00
	v_mul_f64_e32 v[208:209], v[4:5], v[176:177]
	v_mul_f64_e32 v[176:177], v[6:7], v[176:177]
	v_fmac_f64_e32 v[200:201], v[168:169], v[190:191]
	v_fma_f64 v[190:191], v[166:167], v[190:191], -v[202:203]
	ds_load_b128 v[192:195], v2 offset:1472
	scratch_load_b128 v[166:169], off, off offset:624
	v_add_f64_e32 v[30:31], v[30:31], v[206:207]
	v_add_f64_e32 v[196:197], v[196:197], v[204:205]
	v_fmac_f64_e32 v[208:209], v[6:7], v[174:175]
	v_fma_f64 v[204:205], v[4:5], v[174:175], -v[176:177]
	ds_load_b128 v[4:7], v2 offset:1488
	s_wait_loadcnt_dscnt 0xa01
	v_mul_f64_e32 v[202:203], v[192:193], v[10:11]
	v_mul_f64_e32 v[10:11], v[194:195], v[10:11]
	scratch_load_b128 v[174:177], off, off offset:640
	v_add_f64_e32 v[30:31], v[30:31], v[190:191]
	v_add_f64_e32 v[190:191], v[196:197], v[200:201]
	s_wait_loadcnt_dscnt 0xa00
	v_mul_f64_e32 v[200:201], v[4:5], v[14:15]
	v_mul_f64_e32 v[14:15], v[6:7], v[14:15]
	ds_load_b128 v[196:199], v2 offset:1504
	v_fmac_f64_e32 v[202:203], v[194:195], v[8:9]
	v_fma_f64 v[192:193], v[192:193], v[8:9], -v[10:11]
	scratch_load_b128 v[8:11], off, off offset:656
	v_add_f64_e32 v[30:31], v[30:31], v[204:205]
	v_add_f64_e32 v[190:191], v[190:191], v[208:209]
	v_fmac_f64_e32 v[200:201], v[6:7], v[12:13]
	v_fma_f64 v[204:205], v[4:5], v[12:13], -v[14:15]
	ds_load_b128 v[4:7], v2 offset:1520
	s_wait_loadcnt_dscnt 0xa01
	v_mul_f64_e32 v[194:195], v[196:197], v[18:19]
	v_mul_f64_e32 v[18:19], v[198:199], v[18:19]
	scratch_load_b128 v[12:15], off, off offset:672
	s_wait_loadcnt_dscnt 0xa00
	v_mul_f64_e32 v[206:207], v[4:5], v[24:25]
	v_mul_f64_e32 v[24:25], v[6:7], v[24:25]
	v_add_f64_e32 v[30:31], v[30:31], v[192:193]
	v_add_f64_e32 v[202:203], v[190:191], v[202:203]
	ds_load_b128 v[190:193], v2 offset:1536
	v_fmac_f64_e32 v[194:195], v[198:199], v[16:17]
	v_fma_f64 v[196:197], v[196:197], v[16:17], -v[18:19]
	scratch_load_b128 v[16:19], off, off offset:688
	v_fmac_f64_e32 v[206:207], v[6:7], v[22:23]
	v_add_f64_e32 v[30:31], v[30:31], v[204:205]
	v_add_f64_e32 v[198:199], v[202:203], v[200:201]
	v_fma_f64 v[202:203], v[4:5], v[22:23], -v[24:25]
	ds_load_b128 v[4:7], v2 offset:1552
	s_wait_loadcnt_dscnt 0xa01
	v_mul_f64_e32 v[200:201], v[190:191], v[188:189]
	v_mul_f64_e32 v[188:189], v[192:193], v[188:189]
	scratch_load_b128 v[22:25], off, off offset:704
	s_wait_loadcnt_dscnt 0xa00
	v_mul_f64_e32 v[204:205], v[4:5], v[160:161]
	v_mul_f64_e32 v[160:161], v[6:7], v[160:161]
	v_add_f64_e32 v[30:31], v[30:31], v[196:197]
	v_add_f64_e32 v[198:199], v[198:199], v[194:195]
	ds_load_b128 v[194:197], v2 offset:1568
	v_fmac_f64_e32 v[200:201], v[192:193], v[186:187]
	v_fma_f64 v[190:191], v[190:191], v[186:187], -v[188:189]
	scratch_load_b128 v[186:189], off, off offset:720
	v_fmac_f64_e32 v[204:205], v[6:7], v[158:159]
	v_add_f64_e32 v[30:31], v[30:31], v[202:203]
	v_add_f64_e32 v[192:193], v[198:199], v[206:207]
	v_fma_f64 v[206:207], v[4:5], v[158:159], -v[160:161]
	ds_load_b128 v[4:7], v2 offset:1584
	s_wait_loadcnt_dscnt 0xa01
	v_mul_f64_e32 v[198:199], v[194:195], v[28:29]
	v_mul_f64_e32 v[202:203], v[196:197], v[28:29]
	ds_load_b128 v[158:161], v2 offset:1600
	v_add_f64_e32 v[190:191], v[30:31], v[190:191]
	v_add_f64_e32 v[192:193], v[192:193], v[200:201]
	scratch_load_b128 v[28:31], off, off offset:736
	s_wait_loadcnt_dscnt 0xa01
	v_mul_f64_e32 v[200:201], v[4:5], v[164:165]
	v_mul_f64_e32 v[164:165], v[6:7], v[164:165]
	v_fmac_f64_e32 v[198:199], v[196:197], v[26:27]
	v_fma_f64 v[26:27], v[194:195], v[26:27], -v[202:203]
	v_add_f64_e32 v[194:195], v[190:191], v[206:207]
	v_add_f64_e32 v[196:197], v[192:193], v[204:205]
	scratch_load_b128 v[190:193], off, off offset:752
	v_fmac_f64_e32 v[200:201], v[6:7], v[162:163]
	v_fma_f64 v[204:205], v[4:5], v[162:163], -v[164:165]
	ds_load_b128 v[4:7], v2 offset:1616
	s_wait_loadcnt_dscnt 0xa01
	v_mul_f64_e32 v[202:203], v[158:159], v[172:173]
	v_mul_f64_e32 v[172:173], v[160:161], v[172:173]
	scratch_load_b128 v[162:165], off, off offset:768
	s_wait_loadcnt_dscnt 0xa00
	v_mul_f64_e32 v[206:207], v[4:5], v[180:181]
	v_mul_f64_e32 v[180:181], v[6:7], v[180:181]
	v_add_f64_e32 v[26:27], v[194:195], v[26:27]
	v_add_f64_e32 v[198:199], v[196:197], v[198:199]
	ds_load_b128 v[194:197], v2 offset:1632
	v_fmac_f64_e32 v[202:203], v[160:161], v[170:171]
	v_fma_f64 v[170:171], v[158:159], v[170:171], -v[172:173]
	scratch_load_b128 v[158:161], off, off offset:784
	v_fmac_f64_e32 v[206:207], v[6:7], v[178:179]
	v_add_f64_e32 v[26:27], v[26:27], v[204:205]
	v_add_f64_e32 v[172:173], v[198:199], v[200:201]
	v_fma_f64 v[204:205], v[4:5], v[178:179], -v[180:181]
	ds_load_b128 v[4:7], v2 offset:1648
	s_wait_loadcnt_dscnt 0xa01
	v_mul_f64_e32 v[198:199], v[194:195], v[168:169]
	v_mul_f64_e32 v[200:201], v[196:197], v[168:169]
	ds_load_b128 v[178:181], v2 offset:1664
	v_add_f64_e32 v[26:27], v[26:27], v[170:171]
	v_add_f64_e32 v[172:173], v[172:173], v[202:203]
	scratch_load_b128 v[168:171], off, off offset:800
	s_wait_loadcnt_dscnt 0xa01
	v_mul_f64_e32 v[202:203], v[4:5], v[176:177]
	v_mul_f64_e32 v[176:177], v[6:7], v[176:177]
	v_fmac_f64_e32 v[198:199], v[196:197], v[166:167]
	v_fma_f64 v[166:167], v[194:195], v[166:167], -v[200:201]
	scratch_load_b128 v[194:197], off, off offset:816
	v_add_f64_e32 v[26:27], v[26:27], v[204:205]
	v_add_f64_e32 v[172:173], v[172:173], v[206:207]
	v_fmac_f64_e32 v[202:203], v[6:7], v[174:175]
	v_fma_f64 v[176:177], v[4:5], v[174:175], -v[176:177]
	ds_load_b128 v[4:7], v2 offset:1680
	s_wait_loadcnt_dscnt 0xa01
	v_mul_f64_e32 v[204:205], v[178:179], v[10:11]
	v_mul_f64_e32 v[10:11], v[180:181], v[10:11]
	s_wait_loadcnt_dscnt 0x900
	v_mul_f64_e32 v[206:207], v[4:5], v[14:15]
	v_mul_f64_e32 v[14:15], v[6:7], v[14:15]
	v_add_f64_e32 v[26:27], v[26:27], v[166:167]
	v_add_f64_e32 v[166:167], v[172:173], v[198:199]
	scratch_load_b128 v[172:175], off, off offset:832
	ds_load_b128 v[198:201], v2 offset:1696
	v_fmac_f64_e32 v[204:205], v[180:181], v[8:9]
	v_fma_f64 v[178:179], v[178:179], v[8:9], -v[10:11]
	scratch_load_b128 v[8:11], off, off offset:848
	v_fmac_f64_e32 v[206:207], v[6:7], v[12:13]
	v_add_f64_e32 v[26:27], v[26:27], v[176:177]
	v_add_f64_e32 v[166:167], v[166:167], v[202:203]
	v_fma_f64 v[202:203], v[4:5], v[12:13], -v[14:15]
	ds_load_b128 v[4:7], v2 offset:1712
	s_wait_loadcnt_dscnt 0xa01
	v_mul_f64_e32 v[180:181], v[198:199], v[18:19]
	v_mul_f64_e32 v[18:19], v[200:201], v[18:19]
	scratch_load_b128 v[12:15], off, off offset:864
	v_add_f64_e32 v[26:27], v[26:27], v[178:179]
	v_add_f64_e32 v[166:167], v[166:167], v[204:205]
	s_wait_loadcnt_dscnt 0xa00
	v_mul_f64_e32 v[204:205], v[4:5], v[24:25]
	v_mul_f64_e32 v[24:25], v[6:7], v[24:25]
	v_fmac_f64_e32 v[180:181], v[200:201], v[16:17]
	v_fma_f64 v[198:199], v[198:199], v[16:17], -v[18:19]
	ds_load_b128 v[176:179], v2 offset:1728
	scratch_load_b128 v[16:19], off, off offset:880
	v_add_f64_e32 v[26:27], v[26:27], v[202:203]
	v_add_f64_e32 v[166:167], v[166:167], v[206:207]
	v_fmac_f64_e32 v[204:205], v[6:7], v[22:23]
	v_fma_f64 v[206:207], v[4:5], v[22:23], -v[24:25]
	ds_load_b128 v[4:7], v2 offset:1744
	s_wait_loadcnt_dscnt 0xa01
	v_mul_f64_e32 v[202:203], v[176:177], v[188:189]
	v_mul_f64_e32 v[188:189], v[178:179], v[188:189]
	scratch_load_b128 v[22:25], off, off offset:896
	v_add_f64_e32 v[26:27], v[26:27], v[198:199]
	v_add_f64_e32 v[166:167], v[166:167], v[180:181]
	s_wait_loadcnt_dscnt 0xa00
	v_mul_f64_e32 v[180:181], v[4:5], v[30:31]
	v_mul_f64_e32 v[30:31], v[6:7], v[30:31]
	ds_load_b128 v[198:201], v2 offset:1760
	v_fmac_f64_e32 v[202:203], v[178:179], v[186:187]
	v_fma_f64 v[186:187], v[176:177], v[186:187], -v[188:189]
	scratch_load_b128 v[176:179], off, off offset:912
	v_add_f64_e32 v[26:27], v[26:27], v[206:207]
	v_add_f64_e32 v[166:167], v[166:167], v[204:205]
	v_fmac_f64_e32 v[180:181], v[6:7], v[28:29]
	v_fma_f64 v[30:31], v[4:5], v[28:29], -v[30:31]
	ds_load_b128 v[4:7], v2 offset:1776
	s_wait_loadcnt_dscnt 0xa01
	v_mul_f64_e32 v[204:205], v[198:199], v[192:193]
	v_mul_f64_e32 v[192:193], v[200:201], v[192:193]
	s_wait_loadcnt_dscnt 0x900
	v_mul_f64_e32 v[208:209], v[6:7], v[164:165]
	v_add_f64_e32 v[206:207], v[26:27], v[186:187]
	v_add_f64_e32 v[166:167], v[166:167], v[202:203]
	scratch_load_b128 v[26:29], off, off offset:928
	v_mul_f64_e32 v[202:203], v[4:5], v[164:165]
	ds_load_b128 v[186:189], v2 offset:1792
	v_fmac_f64_e32 v[204:205], v[200:201], v[190:191]
	v_fma_f64 v[190:191], v[198:199], v[190:191], -v[192:193]
	v_add_f64_e32 v[30:31], v[206:207], v[30:31]
	v_add_f64_e32 v[180:181], v[166:167], v[180:181]
	scratch_load_b128 v[164:167], off, off offset:944
	v_fmac_f64_e32 v[202:203], v[6:7], v[162:163]
	v_fma_f64 v[206:207], v[4:5], v[162:163], -v[208:209]
	ds_load_b128 v[4:7], v2 offset:1808
	s_wait_loadcnt_dscnt 0xa01
	v_mul_f64_e32 v[198:199], v[186:187], v[160:161]
	v_mul_f64_e32 v[200:201], v[188:189], v[160:161]
	scratch_load_b128 v[160:163], off, off offset:960
	v_add_f64_e32 v[30:31], v[30:31], v[190:191]
	v_add_f64_e32 v[180:181], v[180:181], v[204:205]
	s_wait_loadcnt_dscnt 0xa00
	v_mul_f64_e32 v[204:205], v[4:5], v[170:171]
	v_mul_f64_e32 v[170:171], v[6:7], v[170:171]
	ds_load_b128 v[190:193], v2 offset:1824
	v_fmac_f64_e32 v[198:199], v[188:189], v[158:159]
	v_fma_f64 v[158:159], v[186:187], v[158:159], -v[200:201]
	scratch_load_b128 v[186:189], off, off offset:976
	v_add_f64_e32 v[30:31], v[30:31], v[206:207]
	v_add_f64_e32 v[180:181], v[180:181], v[202:203]
	v_fmac_f64_e32 v[204:205], v[6:7], v[168:169]
	v_fma_f64 v[206:207], v[4:5], v[168:169], -v[170:171]
	ds_load_b128 v[4:7], v2 offset:1840
	s_wait_loadcnt_dscnt 0xa01
	v_mul_f64_e32 v[200:201], v[190:191], v[196:197]
	v_mul_f64_e32 v[202:203], v[192:193], v[196:197]
	scratch_load_b128 v[168:171], off, off offset:992
	v_add_f64_e32 v[30:31], v[30:31], v[158:159]
	v_add_f64_e32 v[158:159], v[180:181], v[198:199]
	s_wait_loadcnt_dscnt 0xa00
	v_mul_f64_e32 v[180:181], v[4:5], v[174:175]
	v_mul_f64_e32 v[174:175], v[6:7], v[174:175]
	ds_load_b128 v[196:199], v2 offset:1856
	v_fmac_f64_e32 v[200:201], v[192:193], v[194:195]
	v_fma_f64 v[190:191], v[190:191], v[194:195], -v[202:203]
	s_wait_loadcnt_dscnt 0x900
	v_mul_f64_e32 v[192:193], v[196:197], v[10:11]
	v_mul_f64_e32 v[10:11], v[198:199], v[10:11]
	v_add_f64_e32 v[30:31], v[30:31], v[206:207]
	v_add_f64_e32 v[158:159], v[158:159], v[204:205]
	v_fmac_f64_e32 v[180:181], v[6:7], v[172:173]
	v_fma_f64 v[194:195], v[4:5], v[172:173], -v[174:175]
	ds_load_b128 v[4:7], v2 offset:1872
	ds_load_b128 v[172:175], v2 offset:1888
	v_fmac_f64_e32 v[192:193], v[198:199], v[8:9]
	v_fma_f64 v[8:9], v[196:197], v[8:9], -v[10:11]
	v_add_f64_e32 v[30:31], v[30:31], v[190:191]
	v_add_f64_e32 v[158:159], v[158:159], v[200:201]
	s_wait_loadcnt_dscnt 0x801
	v_mul_f64_e32 v[190:191], v[4:5], v[14:15]
	v_mul_f64_e32 v[14:15], v[6:7], v[14:15]
	s_delay_alu instid0(VALU_DEP_4) | instskip(NEXT) | instid1(VALU_DEP_4)
	v_add_f64_e32 v[10:11], v[30:31], v[194:195]
	v_add_f64_e32 v[30:31], v[158:159], v[180:181]
	s_wait_loadcnt_dscnt 0x700
	v_mul_f64_e32 v[158:159], v[172:173], v[18:19]
	v_mul_f64_e32 v[18:19], v[174:175], v[18:19]
	v_fmac_f64_e32 v[190:191], v[6:7], v[12:13]
	v_fma_f64 v[12:13], v[4:5], v[12:13], -v[14:15]
	v_add_f64_e32 v[14:15], v[10:11], v[8:9]
	v_add_f64_e32 v[30:31], v[30:31], v[192:193]
	ds_load_b128 v[4:7], v2 offset:1904
	ds_load_b128 v[8:11], v2 offset:1920
	v_fmac_f64_e32 v[158:159], v[174:175], v[16:17]
	v_fma_f64 v[16:17], v[172:173], v[16:17], -v[18:19]
	s_wait_loadcnt_dscnt 0x601
	v_mul_f64_e32 v[180:181], v[4:5], v[24:25]
	v_mul_f64_e32 v[24:25], v[6:7], v[24:25]
	s_wait_loadcnt_dscnt 0x500
	v_mul_f64_e32 v[18:19], v[8:9], v[178:179]
	v_add_f64_e32 v[12:13], v[14:15], v[12:13]
	v_add_f64_e32 v[14:15], v[30:31], v[190:191]
	v_mul_f64_e32 v[30:31], v[10:11], v[178:179]
	v_fmac_f64_e32 v[180:181], v[6:7], v[22:23]
	v_fma_f64 v[22:23], v[4:5], v[22:23], -v[24:25]
	v_fmac_f64_e32 v[18:19], v[10:11], v[176:177]
	v_add_f64_e32 v[16:17], v[12:13], v[16:17]
	v_add_f64_e32 v[24:25], v[14:15], v[158:159]
	ds_load_b128 v[4:7], v2 offset:1936
	ds_load_b128 v[12:15], v2 offset:1952
	v_fma_f64 v[8:9], v[8:9], v[176:177], -v[30:31]
	s_wait_loadcnt_dscnt 0x401
	v_mul_f64_e32 v[158:159], v[4:5], v[28:29]
	v_mul_f64_e32 v[28:29], v[6:7], v[28:29]
	v_add_f64_e32 v[10:11], v[16:17], v[22:23]
	v_add_f64_e32 v[16:17], v[24:25], v[180:181]
	s_wait_loadcnt_dscnt 0x300
	v_mul_f64_e32 v[22:23], v[12:13], v[166:167]
	v_mul_f64_e32 v[24:25], v[14:15], v[166:167]
	v_fmac_f64_e32 v[158:159], v[6:7], v[26:27]
	v_fma_f64 v[26:27], v[4:5], v[26:27], -v[28:29]
	v_add_f64_e32 v[28:29], v[10:11], v[8:9]
	v_add_f64_e32 v[16:17], v[16:17], v[18:19]
	ds_load_b128 v[4:7], v2 offset:1968
	ds_load_b128 v[8:11], v2 offset:1984
	v_fmac_f64_e32 v[22:23], v[14:15], v[164:165]
	v_fma_f64 v[12:13], v[12:13], v[164:165], -v[24:25]
	s_wait_loadcnt_dscnt 0x201
	v_mul_f64_e32 v[18:19], v[4:5], v[162:163]
	v_mul_f64_e32 v[30:31], v[6:7], v[162:163]
	s_wait_loadcnt_dscnt 0x100
	v_mul_f64_e32 v[24:25], v[8:9], v[188:189]
	v_add_f64_e32 v[14:15], v[28:29], v[26:27]
	v_add_f64_e32 v[16:17], v[16:17], v[158:159]
	v_mul_f64_e32 v[26:27], v[10:11], v[188:189]
	v_fmac_f64_e32 v[18:19], v[6:7], v[160:161]
	v_fma_f64 v[28:29], v[4:5], v[160:161], -v[30:31]
	ds_load_b128 v[4:7], v2 offset:2000
	v_fmac_f64_e32 v[24:25], v[10:11], v[186:187]
	v_add_f64_e32 v[12:13], v[14:15], v[12:13]
	v_add_f64_e32 v[14:15], v[16:17], v[22:23]
	v_fma_f64 v[8:9], v[8:9], v[186:187], -v[26:27]
	s_wait_loadcnt_dscnt 0x0
	v_mul_f64_e32 v[16:17], v[4:5], v[170:171]
	v_mul_f64_e32 v[22:23], v[6:7], v[170:171]
	v_add_f64_e32 v[10:11], v[12:13], v[28:29]
	v_add_f64_e32 v[12:13], v[14:15], v[18:19]
	s_delay_alu instid0(VALU_DEP_4) | instskip(NEXT) | instid1(VALU_DEP_4)
	v_fmac_f64_e32 v[16:17], v[6:7], v[168:169]
	v_fma_f64 v[4:5], v[4:5], v[168:169], -v[22:23]
	s_delay_alu instid0(VALU_DEP_4) | instskip(NEXT) | instid1(VALU_DEP_4)
	v_add_f64_e32 v[6:7], v[10:11], v[8:9]
	v_add_f64_e32 v[8:9], v[12:13], v[24:25]
	s_delay_alu instid0(VALU_DEP_2) | instskip(NEXT) | instid1(VALU_DEP_2)
	v_add_f64_e32 v[4:5], v[6:7], v[4:5]
	v_add_f64_e32 v[6:7], v[8:9], v[16:17]
	s_delay_alu instid0(VALU_DEP_2) | instskip(NEXT) | instid1(VALU_DEP_2)
	v_add_f64_e64 v[4:5], v[182:183], -v[4:5]
	v_add_f64_e64 v[6:7], v[184:185], -v[6:7]
	scratch_store_b128 off, v[4:7], off offset:240
	s_wait_xcnt 0x0
	v_cmpx_lt_u32_e32 14, v1
	s_cbranch_execz .LBB126_375
; %bb.374:
	scratch_load_b128 v[6:9], off, s67
	v_dual_mov_b32 v3, v2 :: v_dual_mov_b32 v4, v2
	v_mov_b32_e32 v5, v2
	scratch_store_b128 off, v[2:5], off offset:224
	s_wait_loadcnt 0x0
	ds_store_b128 v20, v[6:9]
.LBB126_375:
	s_wait_xcnt 0x0
	s_or_b32 exec_lo, exec_lo, s2
	s_wait_storecnt_dscnt 0x0
	s_barrier_signal -1
	s_barrier_wait -1
	s_clause 0x9
	scratch_load_b128 v[4:7], off, off offset:240
	scratch_load_b128 v[8:11], off, off offset:256
	scratch_load_b128 v[12:15], off, off offset:272
	scratch_load_b128 v[16:19], off, off offset:288
	scratch_load_b128 v[22:25], off, off offset:304
	scratch_load_b128 v[26:29], off, off offset:320
	scratch_load_b128 v[158:161], off, off offset:336
	scratch_load_b128 v[162:165], off, off offset:352
	scratch_load_b128 v[166:169], off, off offset:368
	scratch_load_b128 v[170:173], off, off offset:384
	ds_load_b128 v[174:177], v2 offset:1248
	ds_load_b128 v[182:185], v2 offset:1264
	s_clause 0x2
	scratch_load_b128 v[178:181], off, off offset:400
	scratch_load_b128 v[186:189], off, off offset:224
	;; [unrolled: 1-line block ×3, first 2 shown]
	s_mov_b32 s2, exec_lo
	s_wait_loadcnt_dscnt 0xc01
	v_mul_f64_e32 v[30:31], v[176:177], v[6:7]
	v_mul_f64_e32 v[198:199], v[174:175], v[6:7]
	s_wait_loadcnt_dscnt 0xb00
	v_mul_f64_e32 v[200:201], v[182:183], v[10:11]
	v_mul_f64_e32 v[10:11], v[184:185], v[10:11]
	s_delay_alu instid0(VALU_DEP_4) | instskip(NEXT) | instid1(VALU_DEP_4)
	v_fma_f64 v[30:31], v[174:175], v[4:5], -v[30:31]
	v_fmac_f64_e32 v[198:199], v[176:177], v[4:5]
	ds_load_b128 v[4:7], v2 offset:1280
	ds_load_b128 v[174:177], v2 offset:1296
	scratch_load_b128 v[194:197], off, off offset:432
	v_fmac_f64_e32 v[200:201], v[184:185], v[8:9]
	v_fma_f64 v[182:183], v[182:183], v[8:9], -v[10:11]
	scratch_load_b128 v[8:11], off, off offset:448
	s_wait_loadcnt_dscnt 0xc01
	v_mul_f64_e32 v[202:203], v[4:5], v[14:15]
	v_mul_f64_e32 v[14:15], v[6:7], v[14:15]
	v_add_f64_e32 v[30:31], 0, v[30:31]
	v_add_f64_e32 v[184:185], 0, v[198:199]
	s_wait_loadcnt_dscnt 0xb00
	v_mul_f64_e32 v[198:199], v[174:175], v[18:19]
	v_mul_f64_e32 v[18:19], v[176:177], v[18:19]
	v_fmac_f64_e32 v[202:203], v[6:7], v[12:13]
	v_fma_f64 v[204:205], v[4:5], v[12:13], -v[14:15]
	ds_load_b128 v[4:7], v2 offset:1312
	ds_load_b128 v[12:15], v2 offset:1328
	v_add_f64_e32 v[30:31], v[30:31], v[182:183]
	v_add_f64_e32 v[200:201], v[184:185], v[200:201]
	scratch_load_b128 v[182:185], off, off offset:464
	v_fmac_f64_e32 v[198:199], v[176:177], v[16:17]
	v_fma_f64 v[174:175], v[174:175], v[16:17], -v[18:19]
	scratch_load_b128 v[16:19], off, off offset:480
	s_wait_loadcnt_dscnt 0xc01
	v_mul_f64_e32 v[206:207], v[4:5], v[24:25]
	v_mul_f64_e32 v[24:25], v[6:7], v[24:25]
	v_add_f64_e32 v[30:31], v[30:31], v[204:205]
	v_add_f64_e32 v[176:177], v[200:201], v[202:203]
	s_wait_loadcnt_dscnt 0xb00
	v_mul_f64_e32 v[200:201], v[12:13], v[28:29]
	v_mul_f64_e32 v[202:203], v[14:15], v[28:29]
	v_fmac_f64_e32 v[206:207], v[6:7], v[22:23]
	v_fma_f64 v[204:205], v[4:5], v[22:23], -v[24:25]
	ds_load_b128 v[4:7], v2 offset:1344
	ds_load_b128 v[22:25], v2 offset:1360
	v_add_f64_e32 v[174:175], v[30:31], v[174:175]
	v_add_f64_e32 v[176:177], v[176:177], v[198:199]
	scratch_load_b128 v[28:31], off, off offset:496
	s_wait_loadcnt_dscnt 0xb01
	v_mul_f64_e32 v[198:199], v[4:5], v[160:161]
	v_mul_f64_e32 v[160:161], v[6:7], v[160:161]
	v_fmac_f64_e32 v[200:201], v[14:15], v[26:27]
	v_fma_f64 v[26:27], v[12:13], v[26:27], -v[202:203]
	scratch_load_b128 v[12:15], off, off offset:512
	s_wait_loadcnt_dscnt 0xb00
	v_mul_f64_e32 v[202:203], v[22:23], v[164:165]
	v_mul_f64_e32 v[164:165], v[24:25], v[164:165]
	v_add_f64_e32 v[174:175], v[174:175], v[204:205]
	v_add_f64_e32 v[176:177], v[176:177], v[206:207]
	v_fmac_f64_e32 v[198:199], v[6:7], v[158:159]
	v_fma_f64 v[204:205], v[4:5], v[158:159], -v[160:161]
	ds_load_b128 v[4:7], v2 offset:1376
	ds_load_b128 v[158:161], v2 offset:1392
	v_fmac_f64_e32 v[202:203], v[24:25], v[162:163]
	v_fma_f64 v[162:163], v[22:23], v[162:163], -v[164:165]
	scratch_load_b128 v[22:25], off, off offset:544
	s_wait_loadcnt_dscnt 0xb01
	v_mul_f64_e32 v[206:207], v[4:5], v[168:169]
	v_mul_f64_e32 v[168:169], v[6:7], v[168:169]
	v_add_f64_e32 v[26:27], v[174:175], v[26:27]
	v_add_f64_e32 v[200:201], v[176:177], v[200:201]
	scratch_load_b128 v[174:177], off, off offset:528
	v_fmac_f64_e32 v[206:207], v[6:7], v[166:167]
	v_add_f64_e32 v[26:27], v[26:27], v[204:205]
	v_add_f64_e32 v[164:165], v[200:201], v[198:199]
	s_wait_loadcnt_dscnt 0xb00
	v_mul_f64_e32 v[198:199], v[158:159], v[172:173]
	v_mul_f64_e32 v[172:173], v[160:161], v[172:173]
	v_fma_f64 v[200:201], v[4:5], v[166:167], -v[168:169]
	v_add_f64_e32 v[26:27], v[26:27], v[162:163]
	v_add_f64_e32 v[202:203], v[164:165], v[202:203]
	ds_load_b128 v[4:7], v2 offset:1408
	ds_load_b128 v[162:165], v2 offset:1424
	scratch_load_b128 v[166:169], off, off offset:560
	v_fmac_f64_e32 v[198:199], v[160:161], v[170:171]
	v_fma_f64 v[170:171], v[158:159], v[170:171], -v[172:173]
	scratch_load_b128 v[158:161], off, off offset:576
	s_wait_loadcnt_dscnt 0xc01
	v_mul_f64_e32 v[204:205], v[4:5], v[180:181]
	v_mul_f64_e32 v[180:181], v[6:7], v[180:181]
	v_add_f64_e32 v[26:27], v[26:27], v[200:201]
	v_add_f64_e32 v[172:173], v[202:203], v[206:207]
	s_wait_loadcnt_dscnt 0xa00
	v_mul_f64_e32 v[200:201], v[162:163], v[192:193]
	v_mul_f64_e32 v[192:193], v[164:165], v[192:193]
	v_fmac_f64_e32 v[204:205], v[6:7], v[178:179]
	v_fma_f64 v[202:203], v[4:5], v[178:179], -v[180:181]
	v_add_f64_e32 v[26:27], v[26:27], v[170:171]
	v_add_f64_e32 v[198:199], v[172:173], v[198:199]
	ds_load_b128 v[4:7], v2 offset:1440
	ds_load_b128 v[170:173], v2 offset:1456
	scratch_load_b128 v[178:181], off, off offset:592
	v_fmac_f64_e32 v[200:201], v[164:165], v[190:191]
	v_fma_f64 v[190:191], v[162:163], v[190:191], -v[192:193]
	scratch_load_b128 v[162:165], off, off offset:608
	s_wait_loadcnt_dscnt 0xb01
	v_mul_f64_e32 v[206:207], v[4:5], v[196:197]
	v_mul_f64_e32 v[196:197], v[6:7], v[196:197]
	v_add_f64_e32 v[26:27], v[26:27], v[202:203]
	v_add_f64_e32 v[192:193], v[198:199], v[204:205]
	s_wait_loadcnt_dscnt 0xa00
	v_mul_f64_e32 v[198:199], v[170:171], v[10:11]
	v_mul_f64_e32 v[10:11], v[172:173], v[10:11]
	v_fmac_f64_e32 v[206:207], v[6:7], v[194:195]
	;; [unrolled: 18-line block ×4, first 2 shown]
	v_fma_f64 v[30:31], v[4:5], v[28:29], -v[30:31]
	v_add_f64_e32 v[202:203], v[26:27], v[190:191]
	v_add_f64_e32 v[200:201], v[192:193], v[200:201]
	ds_load_b128 v[4:7], v2 offset:1536
	ds_load_b128 v[26:29], v2 offset:1552
	scratch_load_b128 v[190:193], off, off offset:688
	v_fmac_f64_e32 v[198:199], v[172:173], v[12:13]
	v_fma_f64 v[170:171], v[170:171], v[12:13], -v[14:15]
	scratch_load_b128 v[12:15], off, off offset:704
	s_wait_loadcnt_dscnt 0xa01
	v_mul_f64_e32 v[204:205], v[4:5], v[176:177]
	v_mul_f64_e32 v[176:177], v[6:7], v[176:177]
	v_add_f64_e32 v[30:31], v[202:203], v[30:31]
	v_add_f64_e32 v[172:173], v[200:201], v[206:207]
	s_wait_dscnt 0x0
	v_mul_f64_e32 v[200:201], v[26:27], v[24:25]
	v_mul_f64_e32 v[24:25], v[28:29], v[24:25]
	v_fmac_f64_e32 v[204:205], v[6:7], v[174:175]
	v_fma_f64 v[202:203], v[4:5], v[174:175], -v[176:177]
	v_add_f64_e32 v[30:31], v[30:31], v[170:171]
	v_add_f64_e32 v[198:199], v[172:173], v[198:199]
	ds_load_b128 v[4:7], v2 offset:1568
	ds_load_b128 v[170:173], v2 offset:1584
	scratch_load_b128 v[174:177], off, off offset:720
	v_fmac_f64_e32 v[200:201], v[28:29], v[22:23]
	v_fma_f64 v[26:27], v[26:27], v[22:23], -v[24:25]
	scratch_load_b128 v[22:25], off, off offset:736
	s_wait_loadcnt_dscnt 0xb01
	v_mul_f64_e32 v[206:207], v[4:5], v[168:169]
	v_mul_f64_e32 v[168:169], v[6:7], v[168:169]
	v_add_f64_e32 v[28:29], v[30:31], v[202:203]
	v_add_f64_e32 v[30:31], v[198:199], v[204:205]
	s_wait_loadcnt_dscnt 0xa00
	v_mul_f64_e32 v[198:199], v[170:171], v[160:161]
	v_mul_f64_e32 v[160:161], v[172:173], v[160:161]
	v_fmac_f64_e32 v[206:207], v[6:7], v[166:167]
	v_fma_f64 v[202:203], v[4:5], v[166:167], -v[168:169]
	v_add_f64_e32 v[204:205], v[28:29], v[26:27]
	v_add_f64_e32 v[30:31], v[30:31], v[200:201]
	ds_load_b128 v[4:7], v2 offset:1600
	ds_load_b128 v[26:29], v2 offset:1616
	scratch_load_b128 v[166:169], off, off offset:752
	v_fmac_f64_e32 v[198:199], v[172:173], v[158:159]
	v_fma_f64 v[170:171], v[170:171], v[158:159], -v[160:161]
	scratch_load_b128 v[158:161], off, off offset:768
	s_wait_loadcnt_dscnt 0xb01
	v_mul_f64_e32 v[200:201], v[4:5], v[180:181]
	v_mul_f64_e32 v[180:181], v[6:7], v[180:181]
	v_add_f64_e32 v[172:173], v[204:205], v[202:203]
	v_add_f64_e32 v[30:31], v[30:31], v[206:207]
	s_wait_loadcnt_dscnt 0xa00
	;; [unrolled: 18-line block ×7, first 2 shown]
	v_mul_f64_e32 v[198:199], v[170:171], v[160:161]
	v_mul_f64_e32 v[204:205], v[172:173], v[160:161]
	v_fmac_f64_e32 v[202:203], v[6:7], v[166:167]
	v_fma_f64 v[168:169], v[4:5], v[166:167], -v[168:169]
	v_add_f64_e32 v[206:207], v[164:165], v[162:163]
	v_add_f64_e32 v[30:31], v[30:31], v[200:201]
	ds_load_b128 v[4:7], v2 offset:1792
	ds_load_b128 v[160:163], v2 offset:1808
	scratch_load_b128 v[164:167], off, off offset:944
	v_fmac_f64_e32 v[198:199], v[172:173], v[158:159]
	v_fma_f64 v[158:159], v[170:171], v[158:159], -v[204:205]
	s_wait_loadcnt_dscnt 0xa01
	v_mul_f64_e32 v[200:201], v[4:5], v[180:181]
	v_mul_f64_e32 v[180:181], v[6:7], v[180:181]
	s_wait_loadcnt_dscnt 0x900
	v_mul_f64_e32 v[204:205], v[162:163], v[28:29]
	v_add_f64_e32 v[172:173], v[206:207], v[168:169]
	v_add_f64_e32 v[30:31], v[30:31], v[202:203]
	scratch_load_b128 v[168:171], off, off offset:960
	v_mul_f64_e32 v[202:203], v[160:161], v[28:29]
	v_fmac_f64_e32 v[200:201], v[6:7], v[178:179]
	v_fma_f64 v[206:207], v[4:5], v[178:179], -v[180:181]
	v_add_f64_e32 v[158:159], v[172:173], v[158:159]
	v_add_f64_e32 v[172:173], v[30:31], v[198:199]
	ds_load_b128 v[4:7], v2 offset:1824
	ds_load_b128 v[28:31], v2 offset:1840
	scratch_load_b128 v[178:181], off, off offset:976
	v_fmac_f64_e32 v[202:203], v[162:163], v[26:27]
	v_fma_f64 v[26:27], v[160:161], v[26:27], -v[204:205]
	s_wait_loadcnt_dscnt 0xa01
	v_mul_f64_e32 v[198:199], v[4:5], v[196:197]
	v_mul_f64_e32 v[196:197], v[6:7], v[196:197]
	v_add_f64_e32 v[162:163], v[158:159], v[206:207]
	v_add_f64_e32 v[172:173], v[172:173], v[200:201]
	scratch_load_b128 v[158:161], off, off offset:992
	s_wait_loadcnt_dscnt 0xa00
	v_mul_f64_e32 v[200:201], v[28:29], v[10:11]
	v_mul_f64_e32 v[10:11], v[30:31], v[10:11]
	v_fmac_f64_e32 v[198:199], v[6:7], v[194:195]
	v_fma_f64 v[204:205], v[4:5], v[194:195], -v[196:197]
	ds_load_b128 v[4:7], v2 offset:1856
	ds_load_b128 v[194:197], v2 offset:1872
	v_add_f64_e32 v[26:27], v[162:163], v[26:27]
	v_add_f64_e32 v[162:163], v[172:173], v[202:203]
	v_fmac_f64_e32 v[200:201], v[30:31], v[8:9]
	v_fma_f64 v[8:9], v[28:29], v[8:9], -v[10:11]
	s_wait_loadcnt_dscnt 0x901
	v_mul_f64_e32 v[172:173], v[4:5], v[184:185]
	v_mul_f64_e32 v[184:185], v[6:7], v[184:185]
	s_wait_loadcnt_dscnt 0x800
	v_mul_f64_e32 v[28:29], v[194:195], v[18:19]
	v_mul_f64_e32 v[18:19], v[196:197], v[18:19]
	v_add_f64_e32 v[10:11], v[26:27], v[204:205]
	v_add_f64_e32 v[26:27], v[162:163], v[198:199]
	v_fmac_f64_e32 v[172:173], v[6:7], v[182:183]
	v_fma_f64 v[30:31], v[4:5], v[182:183], -v[184:185]
	v_fmac_f64_e32 v[28:29], v[196:197], v[16:17]
	v_fma_f64 v[16:17], v[194:195], v[16:17], -v[18:19]
	v_add_f64_e32 v[162:163], v[10:11], v[8:9]
	v_add_f64_e32 v[26:27], v[26:27], v[200:201]
	ds_load_b128 v[4:7], v2 offset:1888
	ds_load_b128 v[8:11], v2 offset:1904
	s_wait_loadcnt_dscnt 0x701
	v_mul_f64_e32 v[182:183], v[4:5], v[192:193]
	v_mul_f64_e32 v[184:185], v[6:7], v[192:193]
	v_add_f64_e32 v[18:19], v[162:163], v[30:31]
	v_add_f64_e32 v[26:27], v[26:27], v[172:173]
	s_wait_loadcnt_dscnt 0x600
	v_mul_f64_e32 v[30:31], v[8:9], v[14:15]
	v_mul_f64_e32 v[162:163], v[10:11], v[14:15]
	v_fmac_f64_e32 v[182:183], v[6:7], v[190:191]
	v_fma_f64 v[172:173], v[4:5], v[190:191], -v[184:185]
	v_add_f64_e32 v[18:19], v[18:19], v[16:17]
	v_add_f64_e32 v[26:27], v[26:27], v[28:29]
	ds_load_b128 v[4:7], v2 offset:1920
	ds_load_b128 v[14:17], v2 offset:1936
	v_fmac_f64_e32 v[30:31], v[10:11], v[12:13]
	v_fma_f64 v[8:9], v[8:9], v[12:13], -v[162:163]
	s_wait_loadcnt_dscnt 0x501
	v_mul_f64_e32 v[28:29], v[4:5], v[176:177]
	v_mul_f64_e32 v[176:177], v[6:7], v[176:177]
	v_add_f64_e32 v[10:11], v[18:19], v[172:173]
	v_add_f64_e32 v[12:13], v[26:27], v[182:183]
	s_wait_loadcnt_dscnt 0x400
	v_mul_f64_e32 v[18:19], v[14:15], v[24:25]
	v_mul_f64_e32 v[24:25], v[16:17], v[24:25]
	v_fmac_f64_e32 v[28:29], v[6:7], v[174:175]
	v_fma_f64 v[26:27], v[4:5], v[174:175], -v[176:177]
	v_add_f64_e32 v[162:163], v[10:11], v[8:9]
	v_add_f64_e32 v[12:13], v[12:13], v[30:31]
	ds_load_b128 v[4:7], v2 offset:1952
	ds_load_b128 v[8:11], v2 offset:1968
	v_fmac_f64_e32 v[18:19], v[16:17], v[22:23]
	v_fma_f64 v[14:15], v[14:15], v[22:23], -v[24:25]
	;; [unrolled: 16-line block ×3, first 2 shown]
	s_wait_loadcnt_dscnt 0x101
	v_mul_f64_e32 v[2:3], v[4:5], v[180:181]
	v_mul_f64_e32 v[28:29], v[6:7], v[180:181]
	v_add_f64_e32 v[10:11], v[16:17], v[26:27]
	v_add_f64_e32 v[16:17], v[18:19], v[30:31]
	s_wait_loadcnt_dscnt 0x0
	v_mul_f64_e32 v[18:19], v[12:13], v[160:161]
	v_mul_f64_e32 v[24:25], v[14:15], v[160:161]
	v_fmac_f64_e32 v[2:3], v[6:7], v[178:179]
	v_fma_f64 v[4:5], v[4:5], v[178:179], -v[28:29]
	v_add_f64_e32 v[6:7], v[10:11], v[8:9]
	v_add_f64_e32 v[8:9], v[16:17], v[22:23]
	v_fmac_f64_e32 v[18:19], v[14:15], v[158:159]
	v_fma_f64 v[10:11], v[12:13], v[158:159], -v[24:25]
	s_delay_alu instid0(VALU_DEP_4) | instskip(NEXT) | instid1(VALU_DEP_4)
	v_add_f64_e32 v[4:5], v[6:7], v[4:5]
	v_add_f64_e32 v[2:3], v[8:9], v[2:3]
	s_delay_alu instid0(VALU_DEP_2) | instskip(NEXT) | instid1(VALU_DEP_2)
	v_add_f64_e32 v[4:5], v[4:5], v[10:11]
	v_add_f64_e32 v[6:7], v[2:3], v[18:19]
	s_delay_alu instid0(VALU_DEP_2) | instskip(NEXT) | instid1(VALU_DEP_2)
	v_add_f64_e64 v[2:3], v[186:187], -v[4:5]
	v_add_f64_e64 v[4:5], v[188:189], -v[6:7]
	scratch_store_b128 off, v[2:5], off offset:224
	s_wait_xcnt 0x0
	v_cmpx_lt_u32_e32 13, v1
	s_cbranch_execz .LBB126_377
; %bb.376:
	scratch_load_b128 v[2:5], off, s68
	v_mov_b32_e32 v6, 0
	s_delay_alu instid0(VALU_DEP_1)
	v_dual_mov_b32 v7, v6 :: v_dual_mov_b32 v8, v6
	v_mov_b32_e32 v9, v6
	scratch_store_b128 off, v[6:9], off offset:208
	s_wait_loadcnt 0x0
	ds_store_b128 v20, v[2:5]
.LBB126_377:
	s_wait_xcnt 0x0
	s_or_b32 exec_lo, exec_lo, s2
	s_wait_storecnt_dscnt 0x0
	s_barrier_signal -1
	s_barrier_wait -1
	s_clause 0x9
	scratch_load_b128 v[4:7], off, off offset:224
	scratch_load_b128 v[8:11], off, off offset:240
	scratch_load_b128 v[12:15], off, off offset:256
	scratch_load_b128 v[16:19], off, off offset:272
	scratch_load_b128 v[22:25], off, off offset:288
	scratch_load_b128 v[26:29], off, off offset:304
	scratch_load_b128 v[158:161], off, off offset:320
	scratch_load_b128 v[162:165], off, off offset:336
	scratch_load_b128 v[166:169], off, off offset:352
	scratch_load_b128 v[170:173], off, off offset:368
	v_mov_b32_e32 v2, 0
	s_mov_b32 s2, exec_lo
	ds_load_b128 v[174:177], v2 offset:1232
	s_clause 0x2
	scratch_load_b128 v[178:181], off, off offset:384
	scratch_load_b128 v[182:185], off, off offset:208
	;; [unrolled: 1-line block ×3, first 2 shown]
	s_wait_loadcnt_dscnt 0xc00
	v_mul_f64_e32 v[30:31], v[176:177], v[6:7]
	v_mul_f64_e32 v[198:199], v[174:175], v[6:7]
	ds_load_b128 v[186:189], v2 offset:1248
	ds_load_b128 v[194:197], v2 offset:1280
	v_fma_f64 v[30:31], v[174:175], v[4:5], -v[30:31]
	v_fmac_f64_e32 v[198:199], v[176:177], v[4:5]
	ds_load_b128 v[4:7], v2 offset:1264
	s_wait_loadcnt_dscnt 0xb02
	v_mul_f64_e32 v[200:201], v[186:187], v[10:11]
	v_mul_f64_e32 v[10:11], v[188:189], v[10:11]
	scratch_load_b128 v[174:177], off, off offset:416
	s_wait_loadcnt_dscnt 0xb00
	v_mul_f64_e32 v[202:203], v[4:5], v[14:15]
	v_mul_f64_e32 v[14:15], v[6:7], v[14:15]
	v_add_f64_e32 v[30:31], 0, v[30:31]
	v_fmac_f64_e32 v[200:201], v[188:189], v[8:9]
	v_fma_f64 v[186:187], v[186:187], v[8:9], -v[10:11]
	v_add_f64_e32 v[188:189], 0, v[198:199]
	scratch_load_b128 v[8:11], off, off offset:432
	v_fmac_f64_e32 v[202:203], v[6:7], v[12:13]
	v_fma_f64 v[204:205], v[4:5], v[12:13], -v[14:15]
	ds_load_b128 v[4:7], v2 offset:1296
	s_wait_loadcnt 0xb
	v_mul_f64_e32 v[198:199], v[194:195], v[18:19]
	v_mul_f64_e32 v[18:19], v[196:197], v[18:19]
	scratch_load_b128 v[12:15], off, off offset:448
	v_add_f64_e32 v[30:31], v[30:31], v[186:187]
	v_add_f64_e32 v[200:201], v[188:189], v[200:201]
	ds_load_b128 v[186:189], v2 offset:1312
	s_wait_loadcnt_dscnt 0xb01
	v_mul_f64_e32 v[206:207], v[4:5], v[24:25]
	v_mul_f64_e32 v[24:25], v[6:7], v[24:25]
	v_fmac_f64_e32 v[198:199], v[196:197], v[16:17]
	v_fma_f64 v[194:195], v[194:195], v[16:17], -v[18:19]
	scratch_load_b128 v[16:19], off, off offset:464
	v_add_f64_e32 v[30:31], v[30:31], v[204:205]
	v_add_f64_e32 v[196:197], v[200:201], v[202:203]
	v_fmac_f64_e32 v[206:207], v[6:7], v[22:23]
	v_fma_f64 v[204:205], v[4:5], v[22:23], -v[24:25]
	ds_load_b128 v[4:7], v2 offset:1328
	s_wait_loadcnt_dscnt 0xb01
	v_mul_f64_e32 v[200:201], v[186:187], v[28:29]
	v_mul_f64_e32 v[202:203], v[188:189], v[28:29]
	scratch_load_b128 v[22:25], off, off offset:480
	v_add_f64_e32 v[194:195], v[30:31], v[194:195]
	v_add_f64_e32 v[196:197], v[196:197], v[198:199]
	s_wait_loadcnt_dscnt 0xb00
	v_mul_f64_e32 v[198:199], v[4:5], v[160:161]
	v_mul_f64_e32 v[160:161], v[6:7], v[160:161]
	ds_load_b128 v[28:31], v2 offset:1344
	v_fmac_f64_e32 v[200:201], v[188:189], v[26:27]
	v_fma_f64 v[26:27], v[186:187], v[26:27], -v[202:203]
	scratch_load_b128 v[186:189], off, off offset:496
	v_add_f64_e32 v[194:195], v[194:195], v[204:205]
	v_add_f64_e32 v[196:197], v[196:197], v[206:207]
	v_fmac_f64_e32 v[198:199], v[6:7], v[158:159]
	v_fma_f64 v[204:205], v[4:5], v[158:159], -v[160:161]
	ds_load_b128 v[4:7], v2 offset:1360
	s_wait_loadcnt_dscnt 0xb01
	v_mul_f64_e32 v[202:203], v[28:29], v[164:165]
	v_mul_f64_e32 v[164:165], v[30:31], v[164:165]
	scratch_load_b128 v[158:161], off, off offset:512
	s_wait_loadcnt_dscnt 0xb00
	v_mul_f64_e32 v[206:207], v[4:5], v[168:169]
	v_mul_f64_e32 v[168:169], v[6:7], v[168:169]
	v_add_f64_e32 v[26:27], v[194:195], v[26:27]
	v_add_f64_e32 v[200:201], v[196:197], v[200:201]
	ds_load_b128 v[194:197], v2 offset:1376
	v_fmac_f64_e32 v[202:203], v[30:31], v[162:163]
	v_fma_f64 v[30:31], v[28:29], v[162:163], -v[164:165]
	v_fmac_f64_e32 v[206:207], v[6:7], v[166:167]
	v_add_f64_e32 v[162:163], v[26:27], v[204:205]
	v_add_f64_e32 v[164:165], v[200:201], v[198:199]
	scratch_load_b128 v[26:29], off, off offset:528
	v_fma_f64 v[200:201], v[4:5], v[166:167], -v[168:169]
	ds_load_b128 v[4:7], v2 offset:1392
	s_wait_loadcnt_dscnt 0xb01
	v_mul_f64_e32 v[198:199], v[194:195], v[172:173]
	v_mul_f64_e32 v[172:173], v[196:197], v[172:173]
	ds_load_b128 v[166:169], v2 offset:1408
	s_wait_loadcnt_dscnt 0xa01
	v_mul_f64_e32 v[204:205], v[4:5], v[180:181]
	v_mul_f64_e32 v[180:181], v[6:7], v[180:181]
	v_add_f64_e32 v[30:31], v[162:163], v[30:31]
	v_add_f64_e32 v[202:203], v[164:165], v[202:203]
	scratch_load_b128 v[162:165], off, off offset:544
	v_fmac_f64_e32 v[198:199], v[196:197], v[170:171]
	v_fma_f64 v[194:195], v[194:195], v[170:171], -v[172:173]
	scratch_load_b128 v[170:173], off, off offset:560
	v_fmac_f64_e32 v[204:205], v[6:7], v[178:179]
	v_add_f64_e32 v[30:31], v[30:31], v[200:201]
	v_add_f64_e32 v[196:197], v[202:203], v[206:207]
	v_fma_f64 v[206:207], v[4:5], v[178:179], -v[180:181]
	ds_load_b128 v[4:7], v2 offset:1424
	s_wait_loadcnt_dscnt 0xa01
	v_mul_f64_e32 v[200:201], v[166:167], v[192:193]
	v_mul_f64_e32 v[202:203], v[168:169], v[192:193]
	scratch_load_b128 v[178:181], off, off offset:576
	v_add_f64_e32 v[30:31], v[30:31], v[194:195]
	v_add_f64_e32 v[196:197], v[196:197], v[198:199]
	s_wait_loadcnt_dscnt 0xa00
	v_mul_f64_e32 v[208:209], v[4:5], v[176:177]
	v_mul_f64_e32 v[176:177], v[6:7], v[176:177]
	v_fmac_f64_e32 v[200:201], v[168:169], v[190:191]
	v_fma_f64 v[190:191], v[166:167], v[190:191], -v[202:203]
	ds_load_b128 v[192:195], v2 offset:1440
	scratch_load_b128 v[166:169], off, off offset:592
	v_add_f64_e32 v[30:31], v[30:31], v[206:207]
	v_add_f64_e32 v[196:197], v[196:197], v[204:205]
	v_fmac_f64_e32 v[208:209], v[6:7], v[174:175]
	v_fma_f64 v[204:205], v[4:5], v[174:175], -v[176:177]
	ds_load_b128 v[4:7], v2 offset:1456
	s_wait_loadcnt_dscnt 0xa01
	v_mul_f64_e32 v[202:203], v[192:193], v[10:11]
	v_mul_f64_e32 v[10:11], v[194:195], v[10:11]
	scratch_load_b128 v[174:177], off, off offset:608
	v_add_f64_e32 v[30:31], v[30:31], v[190:191]
	v_add_f64_e32 v[190:191], v[196:197], v[200:201]
	s_wait_loadcnt_dscnt 0xa00
	v_mul_f64_e32 v[200:201], v[4:5], v[14:15]
	v_mul_f64_e32 v[14:15], v[6:7], v[14:15]
	ds_load_b128 v[196:199], v2 offset:1472
	v_fmac_f64_e32 v[202:203], v[194:195], v[8:9]
	v_fma_f64 v[192:193], v[192:193], v[8:9], -v[10:11]
	scratch_load_b128 v[8:11], off, off offset:624
	v_add_f64_e32 v[30:31], v[30:31], v[204:205]
	v_add_f64_e32 v[190:191], v[190:191], v[208:209]
	v_fmac_f64_e32 v[200:201], v[6:7], v[12:13]
	v_fma_f64 v[204:205], v[4:5], v[12:13], -v[14:15]
	ds_load_b128 v[4:7], v2 offset:1488
	s_wait_loadcnt_dscnt 0xa01
	v_mul_f64_e32 v[194:195], v[196:197], v[18:19]
	v_mul_f64_e32 v[18:19], v[198:199], v[18:19]
	scratch_load_b128 v[12:15], off, off offset:640
	s_wait_loadcnt_dscnt 0xa00
	v_mul_f64_e32 v[206:207], v[4:5], v[24:25]
	v_mul_f64_e32 v[24:25], v[6:7], v[24:25]
	v_add_f64_e32 v[30:31], v[30:31], v[192:193]
	v_add_f64_e32 v[202:203], v[190:191], v[202:203]
	ds_load_b128 v[190:193], v2 offset:1504
	v_fmac_f64_e32 v[194:195], v[198:199], v[16:17]
	v_fma_f64 v[196:197], v[196:197], v[16:17], -v[18:19]
	scratch_load_b128 v[16:19], off, off offset:656
	v_fmac_f64_e32 v[206:207], v[6:7], v[22:23]
	v_add_f64_e32 v[30:31], v[30:31], v[204:205]
	v_add_f64_e32 v[198:199], v[202:203], v[200:201]
	v_fma_f64 v[202:203], v[4:5], v[22:23], -v[24:25]
	ds_load_b128 v[4:7], v2 offset:1520
	s_wait_loadcnt_dscnt 0xa01
	v_mul_f64_e32 v[200:201], v[190:191], v[188:189]
	v_mul_f64_e32 v[188:189], v[192:193], v[188:189]
	scratch_load_b128 v[22:25], off, off offset:672
	s_wait_loadcnt_dscnt 0xa00
	v_mul_f64_e32 v[204:205], v[4:5], v[160:161]
	v_mul_f64_e32 v[160:161], v[6:7], v[160:161]
	v_add_f64_e32 v[30:31], v[30:31], v[196:197]
	v_add_f64_e32 v[198:199], v[198:199], v[194:195]
	ds_load_b128 v[194:197], v2 offset:1536
	v_fmac_f64_e32 v[200:201], v[192:193], v[186:187]
	v_fma_f64 v[190:191], v[190:191], v[186:187], -v[188:189]
	scratch_load_b128 v[186:189], off, off offset:688
	v_fmac_f64_e32 v[204:205], v[6:7], v[158:159]
	v_add_f64_e32 v[30:31], v[30:31], v[202:203]
	v_add_f64_e32 v[192:193], v[198:199], v[206:207]
	v_fma_f64 v[206:207], v[4:5], v[158:159], -v[160:161]
	ds_load_b128 v[4:7], v2 offset:1552
	s_wait_loadcnt_dscnt 0xa01
	v_mul_f64_e32 v[198:199], v[194:195], v[28:29]
	v_mul_f64_e32 v[202:203], v[196:197], v[28:29]
	ds_load_b128 v[158:161], v2 offset:1568
	v_add_f64_e32 v[190:191], v[30:31], v[190:191]
	v_add_f64_e32 v[192:193], v[192:193], v[200:201]
	scratch_load_b128 v[28:31], off, off offset:704
	s_wait_loadcnt_dscnt 0xa01
	v_mul_f64_e32 v[200:201], v[4:5], v[164:165]
	v_mul_f64_e32 v[164:165], v[6:7], v[164:165]
	v_fmac_f64_e32 v[198:199], v[196:197], v[26:27]
	v_fma_f64 v[26:27], v[194:195], v[26:27], -v[202:203]
	v_add_f64_e32 v[194:195], v[190:191], v[206:207]
	v_add_f64_e32 v[196:197], v[192:193], v[204:205]
	scratch_load_b128 v[190:193], off, off offset:720
	v_fmac_f64_e32 v[200:201], v[6:7], v[162:163]
	v_fma_f64 v[204:205], v[4:5], v[162:163], -v[164:165]
	ds_load_b128 v[4:7], v2 offset:1584
	s_wait_loadcnt_dscnt 0xa01
	v_mul_f64_e32 v[202:203], v[158:159], v[172:173]
	v_mul_f64_e32 v[172:173], v[160:161], v[172:173]
	scratch_load_b128 v[162:165], off, off offset:736
	s_wait_loadcnt_dscnt 0xa00
	v_mul_f64_e32 v[206:207], v[4:5], v[180:181]
	v_mul_f64_e32 v[180:181], v[6:7], v[180:181]
	v_add_f64_e32 v[26:27], v[194:195], v[26:27]
	v_add_f64_e32 v[198:199], v[196:197], v[198:199]
	ds_load_b128 v[194:197], v2 offset:1600
	v_fmac_f64_e32 v[202:203], v[160:161], v[170:171]
	v_fma_f64 v[170:171], v[158:159], v[170:171], -v[172:173]
	scratch_load_b128 v[158:161], off, off offset:752
	v_fmac_f64_e32 v[206:207], v[6:7], v[178:179]
	v_add_f64_e32 v[26:27], v[26:27], v[204:205]
	v_add_f64_e32 v[172:173], v[198:199], v[200:201]
	v_fma_f64 v[204:205], v[4:5], v[178:179], -v[180:181]
	ds_load_b128 v[4:7], v2 offset:1616
	s_wait_loadcnt_dscnt 0xa01
	v_mul_f64_e32 v[198:199], v[194:195], v[168:169]
	v_mul_f64_e32 v[200:201], v[196:197], v[168:169]
	ds_load_b128 v[178:181], v2 offset:1632
	v_add_f64_e32 v[26:27], v[26:27], v[170:171]
	v_add_f64_e32 v[172:173], v[172:173], v[202:203]
	scratch_load_b128 v[168:171], off, off offset:768
	s_wait_loadcnt_dscnt 0xa01
	v_mul_f64_e32 v[202:203], v[4:5], v[176:177]
	v_mul_f64_e32 v[176:177], v[6:7], v[176:177]
	v_fmac_f64_e32 v[198:199], v[196:197], v[166:167]
	v_fma_f64 v[166:167], v[194:195], v[166:167], -v[200:201]
	scratch_load_b128 v[194:197], off, off offset:784
	v_add_f64_e32 v[26:27], v[26:27], v[204:205]
	v_add_f64_e32 v[172:173], v[172:173], v[206:207]
	v_fmac_f64_e32 v[202:203], v[6:7], v[174:175]
	v_fma_f64 v[176:177], v[4:5], v[174:175], -v[176:177]
	ds_load_b128 v[4:7], v2 offset:1648
	s_wait_loadcnt_dscnt 0xa01
	v_mul_f64_e32 v[204:205], v[178:179], v[10:11]
	v_mul_f64_e32 v[10:11], v[180:181], v[10:11]
	s_wait_loadcnt_dscnt 0x900
	v_mul_f64_e32 v[206:207], v[4:5], v[14:15]
	v_mul_f64_e32 v[14:15], v[6:7], v[14:15]
	v_add_f64_e32 v[26:27], v[26:27], v[166:167]
	v_add_f64_e32 v[166:167], v[172:173], v[198:199]
	scratch_load_b128 v[172:175], off, off offset:800
	ds_load_b128 v[198:201], v2 offset:1664
	v_fmac_f64_e32 v[204:205], v[180:181], v[8:9]
	v_fma_f64 v[178:179], v[178:179], v[8:9], -v[10:11]
	scratch_load_b128 v[8:11], off, off offset:816
	v_fmac_f64_e32 v[206:207], v[6:7], v[12:13]
	v_add_f64_e32 v[26:27], v[26:27], v[176:177]
	v_add_f64_e32 v[166:167], v[166:167], v[202:203]
	v_fma_f64 v[202:203], v[4:5], v[12:13], -v[14:15]
	ds_load_b128 v[4:7], v2 offset:1680
	s_wait_loadcnt_dscnt 0xa01
	v_mul_f64_e32 v[180:181], v[198:199], v[18:19]
	v_mul_f64_e32 v[18:19], v[200:201], v[18:19]
	scratch_load_b128 v[12:15], off, off offset:832
	v_add_f64_e32 v[26:27], v[26:27], v[178:179]
	v_add_f64_e32 v[166:167], v[166:167], v[204:205]
	s_wait_loadcnt_dscnt 0xa00
	v_mul_f64_e32 v[204:205], v[4:5], v[24:25]
	v_mul_f64_e32 v[24:25], v[6:7], v[24:25]
	v_fmac_f64_e32 v[180:181], v[200:201], v[16:17]
	v_fma_f64 v[198:199], v[198:199], v[16:17], -v[18:19]
	ds_load_b128 v[176:179], v2 offset:1696
	scratch_load_b128 v[16:19], off, off offset:848
	v_add_f64_e32 v[26:27], v[26:27], v[202:203]
	v_add_f64_e32 v[166:167], v[166:167], v[206:207]
	v_fmac_f64_e32 v[204:205], v[6:7], v[22:23]
	v_fma_f64 v[206:207], v[4:5], v[22:23], -v[24:25]
	ds_load_b128 v[4:7], v2 offset:1712
	s_wait_loadcnt_dscnt 0xa01
	v_mul_f64_e32 v[202:203], v[176:177], v[188:189]
	v_mul_f64_e32 v[188:189], v[178:179], v[188:189]
	scratch_load_b128 v[22:25], off, off offset:864
	v_add_f64_e32 v[26:27], v[26:27], v[198:199]
	v_add_f64_e32 v[166:167], v[166:167], v[180:181]
	s_wait_loadcnt_dscnt 0xa00
	v_mul_f64_e32 v[180:181], v[4:5], v[30:31]
	v_mul_f64_e32 v[30:31], v[6:7], v[30:31]
	ds_load_b128 v[198:201], v2 offset:1728
	v_fmac_f64_e32 v[202:203], v[178:179], v[186:187]
	v_fma_f64 v[186:187], v[176:177], v[186:187], -v[188:189]
	scratch_load_b128 v[176:179], off, off offset:880
	v_add_f64_e32 v[26:27], v[26:27], v[206:207]
	v_add_f64_e32 v[166:167], v[166:167], v[204:205]
	v_fmac_f64_e32 v[180:181], v[6:7], v[28:29]
	v_fma_f64 v[30:31], v[4:5], v[28:29], -v[30:31]
	ds_load_b128 v[4:7], v2 offset:1744
	s_wait_loadcnt_dscnt 0xa01
	v_mul_f64_e32 v[204:205], v[198:199], v[192:193]
	v_mul_f64_e32 v[192:193], v[200:201], v[192:193]
	s_wait_loadcnt_dscnt 0x900
	v_mul_f64_e32 v[208:209], v[6:7], v[164:165]
	v_add_f64_e32 v[206:207], v[26:27], v[186:187]
	v_add_f64_e32 v[166:167], v[166:167], v[202:203]
	scratch_load_b128 v[26:29], off, off offset:896
	v_mul_f64_e32 v[202:203], v[4:5], v[164:165]
	ds_load_b128 v[186:189], v2 offset:1760
	v_fmac_f64_e32 v[204:205], v[200:201], v[190:191]
	v_fma_f64 v[190:191], v[198:199], v[190:191], -v[192:193]
	v_add_f64_e32 v[30:31], v[206:207], v[30:31]
	v_add_f64_e32 v[180:181], v[166:167], v[180:181]
	scratch_load_b128 v[164:167], off, off offset:912
	v_fmac_f64_e32 v[202:203], v[6:7], v[162:163]
	v_fma_f64 v[206:207], v[4:5], v[162:163], -v[208:209]
	ds_load_b128 v[4:7], v2 offset:1776
	s_wait_loadcnt_dscnt 0xa01
	v_mul_f64_e32 v[198:199], v[186:187], v[160:161]
	v_mul_f64_e32 v[200:201], v[188:189], v[160:161]
	scratch_load_b128 v[160:163], off, off offset:928
	v_add_f64_e32 v[30:31], v[30:31], v[190:191]
	v_add_f64_e32 v[180:181], v[180:181], v[204:205]
	s_wait_loadcnt_dscnt 0xa00
	v_mul_f64_e32 v[204:205], v[4:5], v[170:171]
	v_mul_f64_e32 v[170:171], v[6:7], v[170:171]
	ds_load_b128 v[190:193], v2 offset:1792
	v_fmac_f64_e32 v[198:199], v[188:189], v[158:159]
	v_fma_f64 v[158:159], v[186:187], v[158:159], -v[200:201]
	scratch_load_b128 v[186:189], off, off offset:944
	v_add_f64_e32 v[30:31], v[30:31], v[206:207]
	v_add_f64_e32 v[180:181], v[180:181], v[202:203]
	v_fmac_f64_e32 v[204:205], v[6:7], v[168:169]
	v_fma_f64 v[206:207], v[4:5], v[168:169], -v[170:171]
	ds_load_b128 v[4:7], v2 offset:1808
	s_wait_loadcnt_dscnt 0xa01
	v_mul_f64_e32 v[200:201], v[190:191], v[196:197]
	v_mul_f64_e32 v[202:203], v[192:193], v[196:197]
	scratch_load_b128 v[168:171], off, off offset:960
	v_add_f64_e32 v[30:31], v[30:31], v[158:159]
	v_add_f64_e32 v[158:159], v[180:181], v[198:199]
	s_wait_loadcnt_dscnt 0xa00
	v_mul_f64_e32 v[180:181], v[4:5], v[174:175]
	v_mul_f64_e32 v[174:175], v[6:7], v[174:175]
	ds_load_b128 v[196:199], v2 offset:1824
	v_fmac_f64_e32 v[200:201], v[192:193], v[194:195]
	v_fma_f64 v[194:195], v[190:191], v[194:195], -v[202:203]
	scratch_load_b128 v[190:193], off, off offset:976
	v_add_f64_e32 v[30:31], v[30:31], v[206:207]
	v_add_f64_e32 v[158:159], v[158:159], v[204:205]
	v_fmac_f64_e32 v[180:181], v[6:7], v[172:173]
	v_fma_f64 v[206:207], v[4:5], v[172:173], -v[174:175]
	ds_load_b128 v[4:7], v2 offset:1840
	s_wait_loadcnt_dscnt 0xa01
	v_mul_f64_e32 v[204:205], v[196:197], v[10:11]
	v_mul_f64_e32 v[10:11], v[198:199], v[10:11]
	scratch_load_b128 v[172:175], off, off offset:992
	v_add_f64_e32 v[30:31], v[30:31], v[194:195]
	v_add_f64_e32 v[158:159], v[158:159], v[200:201]
	s_wait_loadcnt_dscnt 0xa00
	v_mul_f64_e32 v[194:195], v[4:5], v[14:15]
	v_mul_f64_e32 v[14:15], v[6:7], v[14:15]
	ds_load_b128 v[200:203], v2 offset:1856
	v_fmac_f64_e32 v[204:205], v[198:199], v[8:9]
	v_fma_f64 v[8:9], v[196:197], v[8:9], -v[10:11]
	v_add_f64_e32 v[10:11], v[30:31], v[206:207]
	v_add_f64_e32 v[30:31], v[158:159], v[180:181]
	s_wait_loadcnt_dscnt 0x900
	v_mul_f64_e32 v[158:159], v[200:201], v[18:19]
	v_mul_f64_e32 v[18:19], v[202:203], v[18:19]
	v_fmac_f64_e32 v[194:195], v[6:7], v[12:13]
	v_fma_f64 v[12:13], v[4:5], v[12:13], -v[14:15]
	v_add_f64_e32 v[14:15], v[10:11], v[8:9]
	v_add_f64_e32 v[30:31], v[30:31], v[204:205]
	ds_load_b128 v[4:7], v2 offset:1872
	ds_load_b128 v[8:11], v2 offset:1888
	v_fmac_f64_e32 v[158:159], v[202:203], v[16:17]
	v_fma_f64 v[16:17], v[200:201], v[16:17], -v[18:19]
	s_wait_loadcnt_dscnt 0x801
	v_mul_f64_e32 v[180:181], v[4:5], v[24:25]
	v_mul_f64_e32 v[24:25], v[6:7], v[24:25]
	s_wait_loadcnt_dscnt 0x700
	v_mul_f64_e32 v[18:19], v[8:9], v[178:179]
	v_add_f64_e32 v[12:13], v[14:15], v[12:13]
	v_add_f64_e32 v[14:15], v[30:31], v[194:195]
	v_mul_f64_e32 v[30:31], v[10:11], v[178:179]
	v_fmac_f64_e32 v[180:181], v[6:7], v[22:23]
	v_fma_f64 v[22:23], v[4:5], v[22:23], -v[24:25]
	v_fmac_f64_e32 v[18:19], v[10:11], v[176:177]
	v_add_f64_e32 v[16:17], v[12:13], v[16:17]
	v_add_f64_e32 v[24:25], v[14:15], v[158:159]
	ds_load_b128 v[4:7], v2 offset:1904
	ds_load_b128 v[12:15], v2 offset:1920
	v_fma_f64 v[8:9], v[8:9], v[176:177], -v[30:31]
	s_wait_loadcnt_dscnt 0x601
	v_mul_f64_e32 v[158:159], v[4:5], v[28:29]
	v_mul_f64_e32 v[28:29], v[6:7], v[28:29]
	v_add_f64_e32 v[10:11], v[16:17], v[22:23]
	v_add_f64_e32 v[16:17], v[24:25], v[180:181]
	s_wait_loadcnt_dscnt 0x500
	v_mul_f64_e32 v[22:23], v[12:13], v[166:167]
	v_mul_f64_e32 v[24:25], v[14:15], v[166:167]
	v_fmac_f64_e32 v[158:159], v[6:7], v[26:27]
	v_fma_f64 v[26:27], v[4:5], v[26:27], -v[28:29]
	v_add_f64_e32 v[28:29], v[10:11], v[8:9]
	v_add_f64_e32 v[16:17], v[16:17], v[18:19]
	ds_load_b128 v[4:7], v2 offset:1936
	ds_load_b128 v[8:11], v2 offset:1952
	v_fmac_f64_e32 v[22:23], v[14:15], v[164:165]
	v_fma_f64 v[12:13], v[12:13], v[164:165], -v[24:25]
	s_wait_loadcnt_dscnt 0x401
	v_mul_f64_e32 v[18:19], v[4:5], v[162:163]
	v_mul_f64_e32 v[30:31], v[6:7], v[162:163]
	s_wait_loadcnt_dscnt 0x300
	v_mul_f64_e32 v[24:25], v[8:9], v[188:189]
	v_add_f64_e32 v[14:15], v[28:29], v[26:27]
	v_add_f64_e32 v[16:17], v[16:17], v[158:159]
	v_mul_f64_e32 v[26:27], v[10:11], v[188:189]
	v_fmac_f64_e32 v[18:19], v[6:7], v[160:161]
	v_fma_f64 v[28:29], v[4:5], v[160:161], -v[30:31]
	v_fmac_f64_e32 v[24:25], v[10:11], v[186:187]
	v_add_f64_e32 v[30:31], v[14:15], v[12:13]
	v_add_f64_e32 v[16:17], v[16:17], v[22:23]
	ds_load_b128 v[4:7], v2 offset:1968
	ds_load_b128 v[12:15], v2 offset:1984
	v_fma_f64 v[8:9], v[8:9], v[186:187], -v[26:27]
	s_wait_loadcnt_dscnt 0x201
	v_mul_f64_e32 v[22:23], v[4:5], v[170:171]
	v_mul_f64_e32 v[158:159], v[6:7], v[170:171]
	s_wait_loadcnt_dscnt 0x100
	v_mul_f64_e32 v[26:27], v[14:15], v[192:193]
	v_add_f64_e32 v[10:11], v[30:31], v[28:29]
	v_add_f64_e32 v[16:17], v[16:17], v[18:19]
	v_mul_f64_e32 v[18:19], v[12:13], v[192:193]
	v_fmac_f64_e32 v[22:23], v[6:7], v[168:169]
	v_fma_f64 v[28:29], v[4:5], v[168:169], -v[158:159]
	ds_load_b128 v[4:7], v2 offset:2000
	v_fma_f64 v[12:13], v[12:13], v[190:191], -v[26:27]
	v_add_f64_e32 v[8:9], v[10:11], v[8:9]
	v_add_f64_e32 v[10:11], v[16:17], v[24:25]
	v_fmac_f64_e32 v[18:19], v[14:15], v[190:191]
	s_wait_loadcnt_dscnt 0x0
	v_mul_f64_e32 v[16:17], v[4:5], v[174:175]
	v_mul_f64_e32 v[24:25], v[6:7], v[174:175]
	v_add_f64_e32 v[8:9], v[8:9], v[28:29]
	v_add_f64_e32 v[10:11], v[10:11], v[22:23]
	s_delay_alu instid0(VALU_DEP_4) | instskip(NEXT) | instid1(VALU_DEP_4)
	v_fmac_f64_e32 v[16:17], v[6:7], v[172:173]
	v_fma_f64 v[4:5], v[4:5], v[172:173], -v[24:25]
	s_delay_alu instid0(VALU_DEP_4) | instskip(NEXT) | instid1(VALU_DEP_4)
	v_add_f64_e32 v[6:7], v[8:9], v[12:13]
	v_add_f64_e32 v[8:9], v[10:11], v[18:19]
	s_delay_alu instid0(VALU_DEP_2) | instskip(NEXT) | instid1(VALU_DEP_2)
	v_add_f64_e32 v[4:5], v[6:7], v[4:5]
	v_add_f64_e32 v[6:7], v[8:9], v[16:17]
	s_delay_alu instid0(VALU_DEP_2) | instskip(NEXT) | instid1(VALU_DEP_2)
	v_add_f64_e64 v[4:5], v[182:183], -v[4:5]
	v_add_f64_e64 v[6:7], v[184:185], -v[6:7]
	scratch_store_b128 off, v[4:7], off offset:208
	s_wait_xcnt 0x0
	v_cmpx_lt_u32_e32 12, v1
	s_cbranch_execz .LBB126_379
; %bb.378:
	scratch_load_b128 v[6:9], off, s69
	v_dual_mov_b32 v3, v2 :: v_dual_mov_b32 v4, v2
	v_mov_b32_e32 v5, v2
	scratch_store_b128 off, v[2:5], off offset:192
	s_wait_loadcnt 0x0
	ds_store_b128 v20, v[6:9]
.LBB126_379:
	s_wait_xcnt 0x0
	s_or_b32 exec_lo, exec_lo, s2
	s_wait_storecnt_dscnt 0x0
	s_barrier_signal -1
	s_barrier_wait -1
	s_clause 0x9
	scratch_load_b128 v[4:7], off, off offset:208
	scratch_load_b128 v[8:11], off, off offset:224
	scratch_load_b128 v[12:15], off, off offset:240
	scratch_load_b128 v[16:19], off, off offset:256
	scratch_load_b128 v[22:25], off, off offset:272
	scratch_load_b128 v[26:29], off, off offset:288
	scratch_load_b128 v[158:161], off, off offset:304
	scratch_load_b128 v[162:165], off, off offset:320
	scratch_load_b128 v[166:169], off, off offset:336
	scratch_load_b128 v[170:173], off, off offset:352
	ds_load_b128 v[174:177], v2 offset:1216
	ds_load_b128 v[182:185], v2 offset:1232
	s_clause 0x2
	scratch_load_b128 v[178:181], off, off offset:368
	scratch_load_b128 v[186:189], off, off offset:192
	;; [unrolled: 1-line block ×3, first 2 shown]
	s_mov_b32 s2, exec_lo
	s_wait_loadcnt_dscnt 0xc01
	v_mul_f64_e32 v[30:31], v[176:177], v[6:7]
	v_mul_f64_e32 v[198:199], v[174:175], v[6:7]
	s_wait_loadcnt_dscnt 0xb00
	v_mul_f64_e32 v[200:201], v[182:183], v[10:11]
	v_mul_f64_e32 v[10:11], v[184:185], v[10:11]
	s_delay_alu instid0(VALU_DEP_4) | instskip(NEXT) | instid1(VALU_DEP_4)
	v_fma_f64 v[30:31], v[174:175], v[4:5], -v[30:31]
	v_fmac_f64_e32 v[198:199], v[176:177], v[4:5]
	ds_load_b128 v[4:7], v2 offset:1248
	ds_load_b128 v[174:177], v2 offset:1264
	scratch_load_b128 v[194:197], off, off offset:400
	v_fmac_f64_e32 v[200:201], v[184:185], v[8:9]
	v_fma_f64 v[182:183], v[182:183], v[8:9], -v[10:11]
	scratch_load_b128 v[8:11], off, off offset:416
	s_wait_loadcnt_dscnt 0xc01
	v_mul_f64_e32 v[202:203], v[4:5], v[14:15]
	v_mul_f64_e32 v[14:15], v[6:7], v[14:15]
	v_add_f64_e32 v[30:31], 0, v[30:31]
	v_add_f64_e32 v[184:185], 0, v[198:199]
	s_wait_loadcnt_dscnt 0xb00
	v_mul_f64_e32 v[198:199], v[174:175], v[18:19]
	v_mul_f64_e32 v[18:19], v[176:177], v[18:19]
	v_fmac_f64_e32 v[202:203], v[6:7], v[12:13]
	v_fma_f64 v[204:205], v[4:5], v[12:13], -v[14:15]
	ds_load_b128 v[4:7], v2 offset:1280
	ds_load_b128 v[12:15], v2 offset:1296
	v_add_f64_e32 v[30:31], v[30:31], v[182:183]
	v_add_f64_e32 v[200:201], v[184:185], v[200:201]
	scratch_load_b128 v[182:185], off, off offset:432
	v_fmac_f64_e32 v[198:199], v[176:177], v[16:17]
	v_fma_f64 v[174:175], v[174:175], v[16:17], -v[18:19]
	scratch_load_b128 v[16:19], off, off offset:448
	s_wait_loadcnt_dscnt 0xc01
	v_mul_f64_e32 v[206:207], v[4:5], v[24:25]
	v_mul_f64_e32 v[24:25], v[6:7], v[24:25]
	v_add_f64_e32 v[30:31], v[30:31], v[204:205]
	v_add_f64_e32 v[176:177], v[200:201], v[202:203]
	s_wait_loadcnt_dscnt 0xb00
	v_mul_f64_e32 v[200:201], v[12:13], v[28:29]
	v_mul_f64_e32 v[202:203], v[14:15], v[28:29]
	v_fmac_f64_e32 v[206:207], v[6:7], v[22:23]
	v_fma_f64 v[204:205], v[4:5], v[22:23], -v[24:25]
	ds_load_b128 v[4:7], v2 offset:1312
	ds_load_b128 v[22:25], v2 offset:1328
	v_add_f64_e32 v[174:175], v[30:31], v[174:175]
	v_add_f64_e32 v[176:177], v[176:177], v[198:199]
	scratch_load_b128 v[28:31], off, off offset:464
	s_wait_loadcnt_dscnt 0xb01
	v_mul_f64_e32 v[198:199], v[4:5], v[160:161]
	v_mul_f64_e32 v[160:161], v[6:7], v[160:161]
	v_fmac_f64_e32 v[200:201], v[14:15], v[26:27]
	v_fma_f64 v[26:27], v[12:13], v[26:27], -v[202:203]
	scratch_load_b128 v[12:15], off, off offset:480
	s_wait_loadcnt_dscnt 0xb00
	v_mul_f64_e32 v[202:203], v[22:23], v[164:165]
	v_mul_f64_e32 v[164:165], v[24:25], v[164:165]
	v_add_f64_e32 v[174:175], v[174:175], v[204:205]
	v_add_f64_e32 v[176:177], v[176:177], v[206:207]
	v_fmac_f64_e32 v[198:199], v[6:7], v[158:159]
	v_fma_f64 v[204:205], v[4:5], v[158:159], -v[160:161]
	ds_load_b128 v[4:7], v2 offset:1344
	ds_load_b128 v[158:161], v2 offset:1360
	v_fmac_f64_e32 v[202:203], v[24:25], v[162:163]
	v_fma_f64 v[162:163], v[22:23], v[162:163], -v[164:165]
	scratch_load_b128 v[22:25], off, off offset:512
	s_wait_loadcnt_dscnt 0xb01
	v_mul_f64_e32 v[206:207], v[4:5], v[168:169]
	v_mul_f64_e32 v[168:169], v[6:7], v[168:169]
	v_add_f64_e32 v[26:27], v[174:175], v[26:27]
	v_add_f64_e32 v[200:201], v[176:177], v[200:201]
	scratch_load_b128 v[174:177], off, off offset:496
	v_fmac_f64_e32 v[206:207], v[6:7], v[166:167]
	v_add_f64_e32 v[26:27], v[26:27], v[204:205]
	v_add_f64_e32 v[164:165], v[200:201], v[198:199]
	s_wait_loadcnt_dscnt 0xb00
	v_mul_f64_e32 v[198:199], v[158:159], v[172:173]
	v_mul_f64_e32 v[172:173], v[160:161], v[172:173]
	v_fma_f64 v[200:201], v[4:5], v[166:167], -v[168:169]
	v_add_f64_e32 v[26:27], v[26:27], v[162:163]
	v_add_f64_e32 v[202:203], v[164:165], v[202:203]
	ds_load_b128 v[4:7], v2 offset:1376
	ds_load_b128 v[162:165], v2 offset:1392
	scratch_load_b128 v[166:169], off, off offset:528
	v_fmac_f64_e32 v[198:199], v[160:161], v[170:171]
	v_fma_f64 v[170:171], v[158:159], v[170:171], -v[172:173]
	scratch_load_b128 v[158:161], off, off offset:544
	s_wait_loadcnt_dscnt 0xc01
	v_mul_f64_e32 v[204:205], v[4:5], v[180:181]
	v_mul_f64_e32 v[180:181], v[6:7], v[180:181]
	v_add_f64_e32 v[26:27], v[26:27], v[200:201]
	v_add_f64_e32 v[172:173], v[202:203], v[206:207]
	s_wait_loadcnt_dscnt 0xa00
	v_mul_f64_e32 v[200:201], v[162:163], v[192:193]
	v_mul_f64_e32 v[192:193], v[164:165], v[192:193]
	v_fmac_f64_e32 v[204:205], v[6:7], v[178:179]
	v_fma_f64 v[202:203], v[4:5], v[178:179], -v[180:181]
	v_add_f64_e32 v[26:27], v[26:27], v[170:171]
	v_add_f64_e32 v[198:199], v[172:173], v[198:199]
	ds_load_b128 v[4:7], v2 offset:1408
	ds_load_b128 v[170:173], v2 offset:1424
	scratch_load_b128 v[178:181], off, off offset:560
	v_fmac_f64_e32 v[200:201], v[164:165], v[190:191]
	v_fma_f64 v[190:191], v[162:163], v[190:191], -v[192:193]
	scratch_load_b128 v[162:165], off, off offset:576
	s_wait_loadcnt_dscnt 0xb01
	v_mul_f64_e32 v[206:207], v[4:5], v[196:197]
	v_mul_f64_e32 v[196:197], v[6:7], v[196:197]
	v_add_f64_e32 v[26:27], v[26:27], v[202:203]
	v_add_f64_e32 v[192:193], v[198:199], v[204:205]
	s_wait_loadcnt_dscnt 0xa00
	v_mul_f64_e32 v[198:199], v[170:171], v[10:11]
	v_mul_f64_e32 v[10:11], v[172:173], v[10:11]
	v_fmac_f64_e32 v[206:207], v[6:7], v[194:195]
	;; [unrolled: 18-line block ×4, first 2 shown]
	v_fma_f64 v[30:31], v[4:5], v[28:29], -v[30:31]
	v_add_f64_e32 v[202:203], v[26:27], v[190:191]
	v_add_f64_e32 v[200:201], v[192:193], v[200:201]
	ds_load_b128 v[4:7], v2 offset:1504
	ds_load_b128 v[26:29], v2 offset:1520
	scratch_load_b128 v[190:193], off, off offset:656
	v_fmac_f64_e32 v[198:199], v[172:173], v[12:13]
	v_fma_f64 v[170:171], v[170:171], v[12:13], -v[14:15]
	scratch_load_b128 v[12:15], off, off offset:672
	s_wait_loadcnt_dscnt 0xa01
	v_mul_f64_e32 v[204:205], v[4:5], v[176:177]
	v_mul_f64_e32 v[176:177], v[6:7], v[176:177]
	v_add_f64_e32 v[30:31], v[202:203], v[30:31]
	v_add_f64_e32 v[172:173], v[200:201], v[206:207]
	s_wait_dscnt 0x0
	v_mul_f64_e32 v[200:201], v[26:27], v[24:25]
	v_mul_f64_e32 v[24:25], v[28:29], v[24:25]
	v_fmac_f64_e32 v[204:205], v[6:7], v[174:175]
	v_fma_f64 v[202:203], v[4:5], v[174:175], -v[176:177]
	v_add_f64_e32 v[30:31], v[30:31], v[170:171]
	v_add_f64_e32 v[198:199], v[172:173], v[198:199]
	ds_load_b128 v[4:7], v2 offset:1536
	ds_load_b128 v[170:173], v2 offset:1552
	scratch_load_b128 v[174:177], off, off offset:688
	v_fmac_f64_e32 v[200:201], v[28:29], v[22:23]
	v_fma_f64 v[26:27], v[26:27], v[22:23], -v[24:25]
	scratch_load_b128 v[22:25], off, off offset:704
	s_wait_loadcnt_dscnt 0xb01
	v_mul_f64_e32 v[206:207], v[4:5], v[168:169]
	v_mul_f64_e32 v[168:169], v[6:7], v[168:169]
	v_add_f64_e32 v[28:29], v[30:31], v[202:203]
	v_add_f64_e32 v[30:31], v[198:199], v[204:205]
	s_wait_loadcnt_dscnt 0xa00
	v_mul_f64_e32 v[198:199], v[170:171], v[160:161]
	v_mul_f64_e32 v[160:161], v[172:173], v[160:161]
	v_fmac_f64_e32 v[206:207], v[6:7], v[166:167]
	v_fma_f64 v[202:203], v[4:5], v[166:167], -v[168:169]
	v_add_f64_e32 v[204:205], v[28:29], v[26:27]
	v_add_f64_e32 v[30:31], v[30:31], v[200:201]
	ds_load_b128 v[4:7], v2 offset:1568
	ds_load_b128 v[26:29], v2 offset:1584
	scratch_load_b128 v[166:169], off, off offset:720
	v_fmac_f64_e32 v[198:199], v[172:173], v[158:159]
	v_fma_f64 v[170:171], v[170:171], v[158:159], -v[160:161]
	scratch_load_b128 v[158:161], off, off offset:736
	s_wait_loadcnt_dscnt 0xb01
	v_mul_f64_e32 v[200:201], v[4:5], v[180:181]
	v_mul_f64_e32 v[180:181], v[6:7], v[180:181]
	v_add_f64_e32 v[172:173], v[204:205], v[202:203]
	v_add_f64_e32 v[30:31], v[30:31], v[206:207]
	s_wait_loadcnt_dscnt 0xa00
	;; [unrolled: 18-line block ×7, first 2 shown]
	v_mul_f64_e32 v[198:199], v[170:171], v[160:161]
	v_mul_f64_e32 v[204:205], v[172:173], v[160:161]
	v_fmac_f64_e32 v[202:203], v[6:7], v[166:167]
	v_fma_f64 v[168:169], v[4:5], v[166:167], -v[168:169]
	v_add_f64_e32 v[206:207], v[164:165], v[162:163]
	v_add_f64_e32 v[30:31], v[30:31], v[200:201]
	ds_load_b128 v[4:7], v2 offset:1760
	ds_load_b128 v[160:163], v2 offset:1776
	scratch_load_b128 v[164:167], off, off offset:912
	v_fmac_f64_e32 v[198:199], v[172:173], v[158:159]
	v_fma_f64 v[158:159], v[170:171], v[158:159], -v[204:205]
	s_wait_loadcnt_dscnt 0xa01
	v_mul_f64_e32 v[200:201], v[4:5], v[180:181]
	v_mul_f64_e32 v[180:181], v[6:7], v[180:181]
	s_wait_loadcnt_dscnt 0x900
	v_mul_f64_e32 v[204:205], v[162:163], v[28:29]
	v_add_f64_e32 v[172:173], v[206:207], v[168:169]
	v_add_f64_e32 v[30:31], v[30:31], v[202:203]
	scratch_load_b128 v[168:171], off, off offset:928
	v_mul_f64_e32 v[202:203], v[160:161], v[28:29]
	v_fmac_f64_e32 v[200:201], v[6:7], v[178:179]
	v_fma_f64 v[206:207], v[4:5], v[178:179], -v[180:181]
	v_add_f64_e32 v[158:159], v[172:173], v[158:159]
	v_add_f64_e32 v[172:173], v[30:31], v[198:199]
	ds_load_b128 v[4:7], v2 offset:1792
	ds_load_b128 v[28:31], v2 offset:1808
	scratch_load_b128 v[178:181], off, off offset:944
	v_fmac_f64_e32 v[202:203], v[162:163], v[26:27]
	v_fma_f64 v[26:27], v[160:161], v[26:27], -v[204:205]
	s_wait_loadcnt_dscnt 0xa01
	v_mul_f64_e32 v[208:209], v[4:5], v[196:197]
	v_mul_f64_e32 v[196:197], v[6:7], v[196:197]
	s_wait_loadcnt_dscnt 0x900
	v_mul_f64_e32 v[204:205], v[28:29], v[10:11]
	v_mul_f64_e32 v[10:11], v[30:31], v[10:11]
	v_add_f64_e32 v[162:163], v[158:159], v[206:207]
	v_add_f64_e32 v[172:173], v[172:173], v[200:201]
	scratch_load_b128 v[158:161], off, off offset:960
	v_fmac_f64_e32 v[208:209], v[6:7], v[194:195]
	v_fma_f64 v[206:207], v[4:5], v[194:195], -v[196:197]
	ds_load_b128 v[4:7], v2 offset:1824
	ds_load_b128 v[194:197], v2 offset:1840
	scratch_load_b128 v[198:201], off, off offset:976
	v_fmac_f64_e32 v[204:205], v[30:31], v[8:9]
	v_fma_f64 v[28:29], v[28:29], v[8:9], -v[10:11]
	scratch_load_b128 v[8:11], off, off offset:992
	v_add_f64_e32 v[26:27], v[162:163], v[26:27]
	v_add_f64_e32 v[162:163], v[172:173], v[202:203]
	s_wait_loadcnt_dscnt 0xb01
	v_mul_f64_e32 v[172:173], v[4:5], v[184:185]
	v_mul_f64_e32 v[184:185], v[6:7], v[184:185]
	s_delay_alu instid0(VALU_DEP_4) | instskip(NEXT) | instid1(VALU_DEP_4)
	v_add_f64_e32 v[26:27], v[26:27], v[206:207]
	v_add_f64_e32 v[30:31], v[162:163], v[208:209]
	s_wait_loadcnt_dscnt 0xa00
	v_mul_f64_e32 v[162:163], v[194:195], v[18:19]
	v_mul_f64_e32 v[18:19], v[196:197], v[18:19]
	v_fmac_f64_e32 v[172:173], v[6:7], v[182:183]
	v_fma_f64 v[182:183], v[4:5], v[182:183], -v[184:185]
	v_add_f64_e32 v[184:185], v[26:27], v[28:29]
	v_add_f64_e32 v[30:31], v[30:31], v[204:205]
	ds_load_b128 v[4:7], v2 offset:1856
	ds_load_b128 v[26:29], v2 offset:1872
	v_fmac_f64_e32 v[162:163], v[196:197], v[16:17]
	v_fma_f64 v[16:17], v[194:195], v[16:17], -v[18:19]
	s_wait_loadcnt_dscnt 0x901
	v_mul_f64_e32 v[202:203], v[4:5], v[192:193]
	v_mul_f64_e32 v[192:193], v[6:7], v[192:193]
	v_add_f64_e32 v[18:19], v[184:185], v[182:183]
	v_add_f64_e32 v[30:31], v[30:31], v[172:173]
	s_wait_loadcnt_dscnt 0x800
	v_mul_f64_e32 v[172:173], v[26:27], v[14:15]
	v_mul_f64_e32 v[182:183], v[28:29], v[14:15]
	v_fmac_f64_e32 v[202:203], v[6:7], v[190:191]
	v_fma_f64 v[184:185], v[4:5], v[190:191], -v[192:193]
	v_add_f64_e32 v[18:19], v[18:19], v[16:17]
	v_add_f64_e32 v[30:31], v[30:31], v[162:163]
	ds_load_b128 v[4:7], v2 offset:1888
	ds_load_b128 v[14:17], v2 offset:1904
	v_fmac_f64_e32 v[172:173], v[28:29], v[12:13]
	v_fma_f64 v[12:13], v[26:27], v[12:13], -v[182:183]
	s_wait_loadcnt_dscnt 0x701
	v_mul_f64_e32 v[162:163], v[4:5], v[176:177]
	v_mul_f64_e32 v[176:177], v[6:7], v[176:177]
	s_wait_loadcnt_dscnt 0x600
	v_mul_f64_e32 v[28:29], v[14:15], v[24:25]
	v_add_f64_e32 v[18:19], v[18:19], v[184:185]
	v_add_f64_e32 v[26:27], v[30:31], v[202:203]
	v_mul_f64_e32 v[30:31], v[16:17], v[24:25]
	v_fmac_f64_e32 v[162:163], v[6:7], v[174:175]
	v_fma_f64 v[174:175], v[4:5], v[174:175], -v[176:177]
	v_fmac_f64_e32 v[28:29], v[16:17], v[22:23]
	v_add_f64_e32 v[12:13], v[18:19], v[12:13]
	v_add_f64_e32 v[18:19], v[26:27], v[172:173]
	ds_load_b128 v[4:7], v2 offset:1920
	ds_load_b128 v[24:27], v2 offset:1936
	v_fma_f64 v[14:15], v[14:15], v[22:23], -v[30:31]
	s_wait_loadcnt_dscnt 0x501
	v_mul_f64_e32 v[172:173], v[4:5], v[166:167]
	v_mul_f64_e32 v[166:167], v[6:7], v[166:167]
	v_add_f64_e32 v[12:13], v[12:13], v[174:175]
	v_add_f64_e32 v[16:17], v[18:19], v[162:163]
	s_wait_loadcnt_dscnt 0x400
	v_mul_f64_e32 v[18:19], v[24:25], v[170:171]
	v_mul_f64_e32 v[22:23], v[26:27], v[170:171]
	v_fmac_f64_e32 v[172:173], v[6:7], v[164:165]
	v_fma_f64 v[30:31], v[4:5], v[164:165], -v[166:167]
	v_add_f64_e32 v[162:163], v[12:13], v[14:15]
	v_add_f64_e32 v[16:17], v[16:17], v[28:29]
	ds_load_b128 v[4:7], v2 offset:1952
	ds_load_b128 v[12:15], v2 offset:1968
	v_fmac_f64_e32 v[18:19], v[26:27], v[168:169]
	v_fma_f64 v[22:23], v[24:25], v[168:169], -v[22:23]
	s_wait_loadcnt_dscnt 0x301
	v_mul_f64_e32 v[28:29], v[4:5], v[180:181]
	v_mul_f64_e32 v[164:165], v[6:7], v[180:181]
	v_add_f64_e32 v[24:25], v[162:163], v[30:31]
	v_add_f64_e32 v[16:17], v[16:17], v[172:173]
	s_wait_loadcnt_dscnt 0x200
	v_mul_f64_e32 v[26:27], v[12:13], v[160:161]
	v_mul_f64_e32 v[30:31], v[14:15], v[160:161]
	v_fmac_f64_e32 v[28:29], v[6:7], v[178:179]
	v_fma_f64 v[160:161], v[4:5], v[178:179], -v[164:165]
	v_add_f64_e32 v[22:23], v[24:25], v[22:23]
	v_add_f64_e32 v[24:25], v[16:17], v[18:19]
	ds_load_b128 v[4:7], v2 offset:1984
	ds_load_b128 v[16:19], v2 offset:2000
	v_fmac_f64_e32 v[26:27], v[14:15], v[158:159]
	v_fma_f64 v[12:13], v[12:13], v[158:159], -v[30:31]
	s_wait_loadcnt_dscnt 0x101
	v_mul_f64_e32 v[2:3], v[4:5], v[200:201]
	v_mul_f64_e32 v[162:163], v[6:7], v[200:201]
	v_add_f64_e32 v[14:15], v[22:23], v[160:161]
	v_add_f64_e32 v[22:23], v[24:25], v[28:29]
	s_wait_loadcnt_dscnt 0x0
	v_mul_f64_e32 v[24:25], v[16:17], v[10:11]
	v_mul_f64_e32 v[10:11], v[18:19], v[10:11]
	v_fmac_f64_e32 v[2:3], v[6:7], v[198:199]
	v_fma_f64 v[4:5], v[4:5], v[198:199], -v[162:163]
	v_add_f64_e32 v[6:7], v[14:15], v[12:13]
	v_add_f64_e32 v[12:13], v[22:23], v[26:27]
	v_fmac_f64_e32 v[24:25], v[18:19], v[8:9]
	v_fma_f64 v[8:9], v[16:17], v[8:9], -v[10:11]
	s_delay_alu instid0(VALU_DEP_4) | instskip(NEXT) | instid1(VALU_DEP_4)
	v_add_f64_e32 v[4:5], v[6:7], v[4:5]
	v_add_f64_e32 v[2:3], v[12:13], v[2:3]
	s_delay_alu instid0(VALU_DEP_2) | instskip(NEXT) | instid1(VALU_DEP_2)
	v_add_f64_e32 v[4:5], v[4:5], v[8:9]
	v_add_f64_e32 v[6:7], v[2:3], v[24:25]
	s_delay_alu instid0(VALU_DEP_2) | instskip(NEXT) | instid1(VALU_DEP_2)
	v_add_f64_e64 v[2:3], v[186:187], -v[4:5]
	v_add_f64_e64 v[4:5], v[188:189], -v[6:7]
	scratch_store_b128 off, v[2:5], off offset:192
	s_wait_xcnt 0x0
	v_cmpx_lt_u32_e32 11, v1
	s_cbranch_execz .LBB126_381
; %bb.380:
	scratch_load_b128 v[2:5], off, s70
	v_mov_b32_e32 v6, 0
	s_delay_alu instid0(VALU_DEP_1)
	v_dual_mov_b32 v7, v6 :: v_dual_mov_b32 v8, v6
	v_mov_b32_e32 v9, v6
	scratch_store_b128 off, v[6:9], off offset:176
	s_wait_loadcnt 0x0
	ds_store_b128 v20, v[2:5]
.LBB126_381:
	s_wait_xcnt 0x0
	s_or_b32 exec_lo, exec_lo, s2
	s_wait_storecnt_dscnt 0x0
	s_barrier_signal -1
	s_barrier_wait -1
	s_clause 0x9
	scratch_load_b128 v[4:7], off, off offset:192
	scratch_load_b128 v[8:11], off, off offset:208
	;; [unrolled: 1-line block ×10, first 2 shown]
	v_mov_b32_e32 v2, 0
	s_mov_b32 s2, exec_lo
	ds_load_b128 v[174:177], v2 offset:1200
	s_clause 0x2
	scratch_load_b128 v[178:181], off, off offset:352
	scratch_load_b128 v[182:185], off, off offset:176
	;; [unrolled: 1-line block ×3, first 2 shown]
	s_wait_loadcnt_dscnt 0xc00
	v_mul_f64_e32 v[30:31], v[176:177], v[6:7]
	v_mul_f64_e32 v[198:199], v[174:175], v[6:7]
	ds_load_b128 v[186:189], v2 offset:1216
	ds_load_b128 v[194:197], v2 offset:1248
	v_fma_f64 v[30:31], v[174:175], v[4:5], -v[30:31]
	v_fmac_f64_e32 v[198:199], v[176:177], v[4:5]
	ds_load_b128 v[4:7], v2 offset:1232
	s_wait_loadcnt_dscnt 0xb02
	v_mul_f64_e32 v[200:201], v[186:187], v[10:11]
	v_mul_f64_e32 v[10:11], v[188:189], v[10:11]
	scratch_load_b128 v[174:177], off, off offset:384
	s_wait_loadcnt_dscnt 0xb00
	v_mul_f64_e32 v[202:203], v[4:5], v[14:15]
	v_mul_f64_e32 v[14:15], v[6:7], v[14:15]
	v_add_f64_e32 v[30:31], 0, v[30:31]
	v_fmac_f64_e32 v[200:201], v[188:189], v[8:9]
	v_fma_f64 v[186:187], v[186:187], v[8:9], -v[10:11]
	v_add_f64_e32 v[188:189], 0, v[198:199]
	scratch_load_b128 v[8:11], off, off offset:400
	v_fmac_f64_e32 v[202:203], v[6:7], v[12:13]
	v_fma_f64 v[204:205], v[4:5], v[12:13], -v[14:15]
	ds_load_b128 v[4:7], v2 offset:1264
	s_wait_loadcnt 0xb
	v_mul_f64_e32 v[198:199], v[194:195], v[18:19]
	v_mul_f64_e32 v[18:19], v[196:197], v[18:19]
	scratch_load_b128 v[12:15], off, off offset:416
	v_add_f64_e32 v[30:31], v[30:31], v[186:187]
	v_add_f64_e32 v[200:201], v[188:189], v[200:201]
	ds_load_b128 v[186:189], v2 offset:1280
	s_wait_loadcnt_dscnt 0xb01
	v_mul_f64_e32 v[206:207], v[4:5], v[24:25]
	v_mul_f64_e32 v[24:25], v[6:7], v[24:25]
	v_fmac_f64_e32 v[198:199], v[196:197], v[16:17]
	v_fma_f64 v[194:195], v[194:195], v[16:17], -v[18:19]
	scratch_load_b128 v[16:19], off, off offset:432
	v_add_f64_e32 v[30:31], v[30:31], v[204:205]
	v_add_f64_e32 v[196:197], v[200:201], v[202:203]
	v_fmac_f64_e32 v[206:207], v[6:7], v[22:23]
	v_fma_f64 v[204:205], v[4:5], v[22:23], -v[24:25]
	ds_load_b128 v[4:7], v2 offset:1296
	s_wait_loadcnt_dscnt 0xb01
	v_mul_f64_e32 v[200:201], v[186:187], v[28:29]
	v_mul_f64_e32 v[202:203], v[188:189], v[28:29]
	scratch_load_b128 v[22:25], off, off offset:448
	v_add_f64_e32 v[194:195], v[30:31], v[194:195]
	v_add_f64_e32 v[196:197], v[196:197], v[198:199]
	s_wait_loadcnt_dscnt 0xb00
	v_mul_f64_e32 v[198:199], v[4:5], v[160:161]
	v_mul_f64_e32 v[160:161], v[6:7], v[160:161]
	ds_load_b128 v[28:31], v2 offset:1312
	v_fmac_f64_e32 v[200:201], v[188:189], v[26:27]
	v_fma_f64 v[26:27], v[186:187], v[26:27], -v[202:203]
	scratch_load_b128 v[186:189], off, off offset:464
	v_add_f64_e32 v[194:195], v[194:195], v[204:205]
	v_add_f64_e32 v[196:197], v[196:197], v[206:207]
	v_fmac_f64_e32 v[198:199], v[6:7], v[158:159]
	v_fma_f64 v[204:205], v[4:5], v[158:159], -v[160:161]
	ds_load_b128 v[4:7], v2 offset:1328
	s_wait_loadcnt_dscnt 0xb01
	v_mul_f64_e32 v[202:203], v[28:29], v[164:165]
	v_mul_f64_e32 v[164:165], v[30:31], v[164:165]
	scratch_load_b128 v[158:161], off, off offset:480
	s_wait_loadcnt_dscnt 0xb00
	v_mul_f64_e32 v[206:207], v[4:5], v[168:169]
	v_mul_f64_e32 v[168:169], v[6:7], v[168:169]
	v_add_f64_e32 v[26:27], v[194:195], v[26:27]
	v_add_f64_e32 v[200:201], v[196:197], v[200:201]
	ds_load_b128 v[194:197], v2 offset:1344
	v_fmac_f64_e32 v[202:203], v[30:31], v[162:163]
	v_fma_f64 v[30:31], v[28:29], v[162:163], -v[164:165]
	v_fmac_f64_e32 v[206:207], v[6:7], v[166:167]
	v_add_f64_e32 v[162:163], v[26:27], v[204:205]
	v_add_f64_e32 v[164:165], v[200:201], v[198:199]
	scratch_load_b128 v[26:29], off, off offset:496
	v_fma_f64 v[200:201], v[4:5], v[166:167], -v[168:169]
	ds_load_b128 v[4:7], v2 offset:1360
	s_wait_loadcnt_dscnt 0xb01
	v_mul_f64_e32 v[198:199], v[194:195], v[172:173]
	v_mul_f64_e32 v[172:173], v[196:197], v[172:173]
	ds_load_b128 v[166:169], v2 offset:1376
	s_wait_loadcnt_dscnt 0xa01
	v_mul_f64_e32 v[204:205], v[4:5], v[180:181]
	v_mul_f64_e32 v[180:181], v[6:7], v[180:181]
	v_add_f64_e32 v[30:31], v[162:163], v[30:31]
	v_add_f64_e32 v[202:203], v[164:165], v[202:203]
	scratch_load_b128 v[162:165], off, off offset:512
	v_fmac_f64_e32 v[198:199], v[196:197], v[170:171]
	v_fma_f64 v[194:195], v[194:195], v[170:171], -v[172:173]
	scratch_load_b128 v[170:173], off, off offset:528
	v_fmac_f64_e32 v[204:205], v[6:7], v[178:179]
	v_add_f64_e32 v[30:31], v[30:31], v[200:201]
	v_add_f64_e32 v[196:197], v[202:203], v[206:207]
	v_fma_f64 v[206:207], v[4:5], v[178:179], -v[180:181]
	ds_load_b128 v[4:7], v2 offset:1392
	s_wait_loadcnt_dscnt 0xa01
	v_mul_f64_e32 v[200:201], v[166:167], v[192:193]
	v_mul_f64_e32 v[202:203], v[168:169], v[192:193]
	scratch_load_b128 v[178:181], off, off offset:544
	v_add_f64_e32 v[30:31], v[30:31], v[194:195]
	v_add_f64_e32 v[196:197], v[196:197], v[198:199]
	s_wait_loadcnt_dscnt 0xa00
	v_mul_f64_e32 v[208:209], v[4:5], v[176:177]
	v_mul_f64_e32 v[176:177], v[6:7], v[176:177]
	v_fmac_f64_e32 v[200:201], v[168:169], v[190:191]
	v_fma_f64 v[190:191], v[166:167], v[190:191], -v[202:203]
	ds_load_b128 v[192:195], v2 offset:1408
	scratch_load_b128 v[166:169], off, off offset:560
	v_add_f64_e32 v[30:31], v[30:31], v[206:207]
	v_add_f64_e32 v[196:197], v[196:197], v[204:205]
	v_fmac_f64_e32 v[208:209], v[6:7], v[174:175]
	v_fma_f64 v[204:205], v[4:5], v[174:175], -v[176:177]
	ds_load_b128 v[4:7], v2 offset:1424
	s_wait_loadcnt_dscnt 0xa01
	v_mul_f64_e32 v[202:203], v[192:193], v[10:11]
	v_mul_f64_e32 v[10:11], v[194:195], v[10:11]
	scratch_load_b128 v[174:177], off, off offset:576
	v_add_f64_e32 v[30:31], v[30:31], v[190:191]
	v_add_f64_e32 v[190:191], v[196:197], v[200:201]
	s_wait_loadcnt_dscnt 0xa00
	v_mul_f64_e32 v[200:201], v[4:5], v[14:15]
	v_mul_f64_e32 v[14:15], v[6:7], v[14:15]
	ds_load_b128 v[196:199], v2 offset:1440
	v_fmac_f64_e32 v[202:203], v[194:195], v[8:9]
	v_fma_f64 v[192:193], v[192:193], v[8:9], -v[10:11]
	scratch_load_b128 v[8:11], off, off offset:592
	v_add_f64_e32 v[30:31], v[30:31], v[204:205]
	v_add_f64_e32 v[190:191], v[190:191], v[208:209]
	v_fmac_f64_e32 v[200:201], v[6:7], v[12:13]
	v_fma_f64 v[204:205], v[4:5], v[12:13], -v[14:15]
	ds_load_b128 v[4:7], v2 offset:1456
	s_wait_loadcnt_dscnt 0xa01
	v_mul_f64_e32 v[194:195], v[196:197], v[18:19]
	v_mul_f64_e32 v[18:19], v[198:199], v[18:19]
	scratch_load_b128 v[12:15], off, off offset:608
	s_wait_loadcnt_dscnt 0xa00
	v_mul_f64_e32 v[206:207], v[4:5], v[24:25]
	v_mul_f64_e32 v[24:25], v[6:7], v[24:25]
	v_add_f64_e32 v[30:31], v[30:31], v[192:193]
	v_add_f64_e32 v[202:203], v[190:191], v[202:203]
	ds_load_b128 v[190:193], v2 offset:1472
	v_fmac_f64_e32 v[194:195], v[198:199], v[16:17]
	v_fma_f64 v[196:197], v[196:197], v[16:17], -v[18:19]
	scratch_load_b128 v[16:19], off, off offset:624
	v_fmac_f64_e32 v[206:207], v[6:7], v[22:23]
	v_add_f64_e32 v[30:31], v[30:31], v[204:205]
	v_add_f64_e32 v[198:199], v[202:203], v[200:201]
	v_fma_f64 v[202:203], v[4:5], v[22:23], -v[24:25]
	ds_load_b128 v[4:7], v2 offset:1488
	s_wait_loadcnt_dscnt 0xa01
	v_mul_f64_e32 v[200:201], v[190:191], v[188:189]
	v_mul_f64_e32 v[188:189], v[192:193], v[188:189]
	scratch_load_b128 v[22:25], off, off offset:640
	s_wait_loadcnt_dscnt 0xa00
	v_mul_f64_e32 v[204:205], v[4:5], v[160:161]
	v_mul_f64_e32 v[160:161], v[6:7], v[160:161]
	v_add_f64_e32 v[30:31], v[30:31], v[196:197]
	v_add_f64_e32 v[198:199], v[198:199], v[194:195]
	ds_load_b128 v[194:197], v2 offset:1504
	v_fmac_f64_e32 v[200:201], v[192:193], v[186:187]
	v_fma_f64 v[190:191], v[190:191], v[186:187], -v[188:189]
	scratch_load_b128 v[186:189], off, off offset:656
	v_fmac_f64_e32 v[204:205], v[6:7], v[158:159]
	v_add_f64_e32 v[30:31], v[30:31], v[202:203]
	v_add_f64_e32 v[192:193], v[198:199], v[206:207]
	v_fma_f64 v[206:207], v[4:5], v[158:159], -v[160:161]
	ds_load_b128 v[4:7], v2 offset:1520
	s_wait_loadcnt_dscnt 0xa01
	v_mul_f64_e32 v[198:199], v[194:195], v[28:29]
	v_mul_f64_e32 v[202:203], v[196:197], v[28:29]
	ds_load_b128 v[158:161], v2 offset:1536
	v_add_f64_e32 v[190:191], v[30:31], v[190:191]
	v_add_f64_e32 v[192:193], v[192:193], v[200:201]
	scratch_load_b128 v[28:31], off, off offset:672
	s_wait_loadcnt_dscnt 0xa01
	v_mul_f64_e32 v[200:201], v[4:5], v[164:165]
	v_mul_f64_e32 v[164:165], v[6:7], v[164:165]
	v_fmac_f64_e32 v[198:199], v[196:197], v[26:27]
	v_fma_f64 v[26:27], v[194:195], v[26:27], -v[202:203]
	v_add_f64_e32 v[194:195], v[190:191], v[206:207]
	v_add_f64_e32 v[196:197], v[192:193], v[204:205]
	scratch_load_b128 v[190:193], off, off offset:688
	v_fmac_f64_e32 v[200:201], v[6:7], v[162:163]
	v_fma_f64 v[204:205], v[4:5], v[162:163], -v[164:165]
	ds_load_b128 v[4:7], v2 offset:1552
	s_wait_loadcnt_dscnt 0xa01
	v_mul_f64_e32 v[202:203], v[158:159], v[172:173]
	v_mul_f64_e32 v[172:173], v[160:161], v[172:173]
	scratch_load_b128 v[162:165], off, off offset:704
	s_wait_loadcnt_dscnt 0xa00
	v_mul_f64_e32 v[206:207], v[4:5], v[180:181]
	v_mul_f64_e32 v[180:181], v[6:7], v[180:181]
	v_add_f64_e32 v[26:27], v[194:195], v[26:27]
	v_add_f64_e32 v[198:199], v[196:197], v[198:199]
	ds_load_b128 v[194:197], v2 offset:1568
	v_fmac_f64_e32 v[202:203], v[160:161], v[170:171]
	v_fma_f64 v[170:171], v[158:159], v[170:171], -v[172:173]
	scratch_load_b128 v[158:161], off, off offset:720
	v_fmac_f64_e32 v[206:207], v[6:7], v[178:179]
	v_add_f64_e32 v[26:27], v[26:27], v[204:205]
	v_add_f64_e32 v[172:173], v[198:199], v[200:201]
	v_fma_f64 v[204:205], v[4:5], v[178:179], -v[180:181]
	ds_load_b128 v[4:7], v2 offset:1584
	s_wait_loadcnt_dscnt 0xa01
	v_mul_f64_e32 v[198:199], v[194:195], v[168:169]
	v_mul_f64_e32 v[200:201], v[196:197], v[168:169]
	ds_load_b128 v[178:181], v2 offset:1600
	v_add_f64_e32 v[26:27], v[26:27], v[170:171]
	v_add_f64_e32 v[172:173], v[172:173], v[202:203]
	scratch_load_b128 v[168:171], off, off offset:736
	s_wait_loadcnt_dscnt 0xa01
	v_mul_f64_e32 v[202:203], v[4:5], v[176:177]
	v_mul_f64_e32 v[176:177], v[6:7], v[176:177]
	v_fmac_f64_e32 v[198:199], v[196:197], v[166:167]
	v_fma_f64 v[166:167], v[194:195], v[166:167], -v[200:201]
	scratch_load_b128 v[194:197], off, off offset:752
	v_add_f64_e32 v[26:27], v[26:27], v[204:205]
	v_add_f64_e32 v[172:173], v[172:173], v[206:207]
	v_fmac_f64_e32 v[202:203], v[6:7], v[174:175]
	v_fma_f64 v[176:177], v[4:5], v[174:175], -v[176:177]
	ds_load_b128 v[4:7], v2 offset:1616
	s_wait_loadcnt_dscnt 0xa01
	v_mul_f64_e32 v[204:205], v[178:179], v[10:11]
	v_mul_f64_e32 v[10:11], v[180:181], v[10:11]
	s_wait_loadcnt_dscnt 0x900
	v_mul_f64_e32 v[206:207], v[4:5], v[14:15]
	v_mul_f64_e32 v[14:15], v[6:7], v[14:15]
	v_add_f64_e32 v[26:27], v[26:27], v[166:167]
	v_add_f64_e32 v[166:167], v[172:173], v[198:199]
	scratch_load_b128 v[172:175], off, off offset:768
	ds_load_b128 v[198:201], v2 offset:1632
	v_fmac_f64_e32 v[204:205], v[180:181], v[8:9]
	v_fma_f64 v[178:179], v[178:179], v[8:9], -v[10:11]
	scratch_load_b128 v[8:11], off, off offset:784
	v_fmac_f64_e32 v[206:207], v[6:7], v[12:13]
	v_add_f64_e32 v[26:27], v[26:27], v[176:177]
	v_add_f64_e32 v[166:167], v[166:167], v[202:203]
	v_fma_f64 v[202:203], v[4:5], v[12:13], -v[14:15]
	ds_load_b128 v[4:7], v2 offset:1648
	s_wait_loadcnt_dscnt 0xa01
	v_mul_f64_e32 v[180:181], v[198:199], v[18:19]
	v_mul_f64_e32 v[18:19], v[200:201], v[18:19]
	scratch_load_b128 v[12:15], off, off offset:800
	v_add_f64_e32 v[26:27], v[26:27], v[178:179]
	v_add_f64_e32 v[166:167], v[166:167], v[204:205]
	s_wait_loadcnt_dscnt 0xa00
	v_mul_f64_e32 v[204:205], v[4:5], v[24:25]
	v_mul_f64_e32 v[24:25], v[6:7], v[24:25]
	v_fmac_f64_e32 v[180:181], v[200:201], v[16:17]
	v_fma_f64 v[198:199], v[198:199], v[16:17], -v[18:19]
	ds_load_b128 v[176:179], v2 offset:1664
	scratch_load_b128 v[16:19], off, off offset:816
	v_add_f64_e32 v[26:27], v[26:27], v[202:203]
	v_add_f64_e32 v[166:167], v[166:167], v[206:207]
	v_fmac_f64_e32 v[204:205], v[6:7], v[22:23]
	v_fma_f64 v[206:207], v[4:5], v[22:23], -v[24:25]
	ds_load_b128 v[4:7], v2 offset:1680
	s_wait_loadcnt_dscnt 0xa01
	v_mul_f64_e32 v[202:203], v[176:177], v[188:189]
	v_mul_f64_e32 v[188:189], v[178:179], v[188:189]
	scratch_load_b128 v[22:25], off, off offset:832
	v_add_f64_e32 v[26:27], v[26:27], v[198:199]
	v_add_f64_e32 v[166:167], v[166:167], v[180:181]
	s_wait_loadcnt_dscnt 0xa00
	v_mul_f64_e32 v[180:181], v[4:5], v[30:31]
	v_mul_f64_e32 v[30:31], v[6:7], v[30:31]
	ds_load_b128 v[198:201], v2 offset:1696
	v_fmac_f64_e32 v[202:203], v[178:179], v[186:187]
	v_fma_f64 v[186:187], v[176:177], v[186:187], -v[188:189]
	scratch_load_b128 v[176:179], off, off offset:848
	v_add_f64_e32 v[26:27], v[26:27], v[206:207]
	v_add_f64_e32 v[166:167], v[166:167], v[204:205]
	v_fmac_f64_e32 v[180:181], v[6:7], v[28:29]
	v_fma_f64 v[30:31], v[4:5], v[28:29], -v[30:31]
	ds_load_b128 v[4:7], v2 offset:1712
	s_wait_loadcnt_dscnt 0xa01
	v_mul_f64_e32 v[204:205], v[198:199], v[192:193]
	v_mul_f64_e32 v[192:193], v[200:201], v[192:193]
	s_wait_loadcnt_dscnt 0x900
	v_mul_f64_e32 v[208:209], v[6:7], v[164:165]
	v_add_f64_e32 v[206:207], v[26:27], v[186:187]
	v_add_f64_e32 v[166:167], v[166:167], v[202:203]
	scratch_load_b128 v[26:29], off, off offset:864
	v_mul_f64_e32 v[202:203], v[4:5], v[164:165]
	ds_load_b128 v[186:189], v2 offset:1728
	v_fmac_f64_e32 v[204:205], v[200:201], v[190:191]
	v_fma_f64 v[190:191], v[198:199], v[190:191], -v[192:193]
	v_add_f64_e32 v[30:31], v[206:207], v[30:31]
	v_add_f64_e32 v[180:181], v[166:167], v[180:181]
	scratch_load_b128 v[164:167], off, off offset:880
	v_fmac_f64_e32 v[202:203], v[6:7], v[162:163]
	v_fma_f64 v[206:207], v[4:5], v[162:163], -v[208:209]
	ds_load_b128 v[4:7], v2 offset:1744
	s_wait_loadcnt_dscnt 0xa01
	v_mul_f64_e32 v[198:199], v[186:187], v[160:161]
	v_mul_f64_e32 v[200:201], v[188:189], v[160:161]
	scratch_load_b128 v[160:163], off, off offset:896
	v_add_f64_e32 v[30:31], v[30:31], v[190:191]
	v_add_f64_e32 v[180:181], v[180:181], v[204:205]
	s_wait_loadcnt_dscnt 0xa00
	v_mul_f64_e32 v[204:205], v[4:5], v[170:171]
	v_mul_f64_e32 v[170:171], v[6:7], v[170:171]
	ds_load_b128 v[190:193], v2 offset:1760
	v_fmac_f64_e32 v[198:199], v[188:189], v[158:159]
	v_fma_f64 v[158:159], v[186:187], v[158:159], -v[200:201]
	scratch_load_b128 v[186:189], off, off offset:912
	v_add_f64_e32 v[30:31], v[30:31], v[206:207]
	v_add_f64_e32 v[180:181], v[180:181], v[202:203]
	v_fmac_f64_e32 v[204:205], v[6:7], v[168:169]
	v_fma_f64 v[206:207], v[4:5], v[168:169], -v[170:171]
	ds_load_b128 v[4:7], v2 offset:1776
	s_wait_loadcnt_dscnt 0xa01
	v_mul_f64_e32 v[200:201], v[190:191], v[196:197]
	v_mul_f64_e32 v[202:203], v[192:193], v[196:197]
	scratch_load_b128 v[168:171], off, off offset:928
	v_add_f64_e32 v[30:31], v[30:31], v[158:159]
	v_add_f64_e32 v[158:159], v[180:181], v[198:199]
	s_wait_loadcnt_dscnt 0xa00
	v_mul_f64_e32 v[180:181], v[4:5], v[174:175]
	v_mul_f64_e32 v[174:175], v[6:7], v[174:175]
	ds_load_b128 v[196:199], v2 offset:1792
	v_fmac_f64_e32 v[200:201], v[192:193], v[194:195]
	v_fma_f64 v[194:195], v[190:191], v[194:195], -v[202:203]
	scratch_load_b128 v[190:193], off, off offset:944
	v_add_f64_e32 v[30:31], v[30:31], v[206:207]
	v_add_f64_e32 v[158:159], v[158:159], v[204:205]
	v_fmac_f64_e32 v[180:181], v[6:7], v[172:173]
	v_fma_f64 v[206:207], v[4:5], v[172:173], -v[174:175]
	ds_load_b128 v[4:7], v2 offset:1808
	s_wait_loadcnt_dscnt 0xa01
	v_mul_f64_e32 v[204:205], v[196:197], v[10:11]
	v_mul_f64_e32 v[10:11], v[198:199], v[10:11]
	scratch_load_b128 v[172:175], off, off offset:960
	s_wait_loadcnt_dscnt 0xa00
	v_mul_f64_e32 v[208:209], v[4:5], v[14:15]
	v_mul_f64_e32 v[14:15], v[6:7], v[14:15]
	v_add_f64_e32 v[30:31], v[30:31], v[194:195]
	v_add_f64_e32 v[158:159], v[158:159], v[200:201]
	ds_load_b128 v[200:203], v2 offset:1824
	v_fmac_f64_e32 v[204:205], v[198:199], v[8:9]
	v_fma_f64 v[194:195], v[196:197], v[8:9], -v[10:11]
	scratch_load_b128 v[8:11], off, off offset:976
	v_fmac_f64_e32 v[208:209], v[6:7], v[12:13]
	v_fma_f64 v[198:199], v[4:5], v[12:13], -v[14:15]
	ds_load_b128 v[4:7], v2 offset:1840
	scratch_load_b128 v[12:15], off, off offset:992
	v_add_f64_e32 v[30:31], v[30:31], v[206:207]
	v_add_f64_e32 v[158:159], v[158:159], v[180:181]
	s_wait_loadcnt_dscnt 0xb01
	v_mul_f64_e32 v[180:181], v[200:201], v[18:19]
	v_mul_f64_e32 v[18:19], v[202:203], v[18:19]
	s_delay_alu instid0(VALU_DEP_4) | instskip(NEXT) | instid1(VALU_DEP_4)
	v_add_f64_e32 v[30:31], v[30:31], v[194:195]
	v_add_f64_e32 v[158:159], v[158:159], v[204:205]
	s_wait_loadcnt_dscnt 0xa00
	v_mul_f64_e32 v[204:205], v[4:5], v[24:25]
	v_mul_f64_e32 v[24:25], v[6:7], v[24:25]
	v_fmac_f64_e32 v[180:181], v[202:203], v[16:17]
	v_fma_f64 v[16:17], v[200:201], v[16:17], -v[18:19]
	ds_load_b128 v[194:197], v2 offset:1856
	v_add_f64_e32 v[18:19], v[30:31], v[198:199]
	v_add_f64_e32 v[30:31], v[158:159], v[208:209]
	s_wait_loadcnt_dscnt 0x900
	v_mul_f64_e32 v[158:159], v[194:195], v[178:179]
	v_mul_f64_e32 v[178:179], v[196:197], v[178:179]
	v_fmac_f64_e32 v[204:205], v[6:7], v[22:23]
	v_fma_f64 v[22:23], v[4:5], v[22:23], -v[24:25]
	v_add_f64_e32 v[24:25], v[18:19], v[16:17]
	v_add_f64_e32 v[30:31], v[30:31], v[180:181]
	ds_load_b128 v[4:7], v2 offset:1872
	ds_load_b128 v[16:19], v2 offset:1888
	v_fmac_f64_e32 v[158:159], v[196:197], v[176:177]
	v_fma_f64 v[176:177], v[194:195], v[176:177], -v[178:179]
	s_wait_loadcnt_dscnt 0x801
	v_mul_f64_e32 v[180:181], v[4:5], v[28:29]
	v_mul_f64_e32 v[28:29], v[6:7], v[28:29]
	v_add_f64_e32 v[22:23], v[24:25], v[22:23]
	v_add_f64_e32 v[24:25], v[30:31], v[204:205]
	s_wait_loadcnt_dscnt 0x700
	v_mul_f64_e32 v[30:31], v[16:17], v[166:167]
	v_mul_f64_e32 v[166:167], v[18:19], v[166:167]
	v_fmac_f64_e32 v[180:181], v[6:7], v[26:27]
	v_fma_f64 v[26:27], v[4:5], v[26:27], -v[28:29]
	v_add_f64_e32 v[28:29], v[22:23], v[176:177]
	v_add_f64_e32 v[158:159], v[24:25], v[158:159]
	ds_load_b128 v[4:7], v2 offset:1904
	ds_load_b128 v[22:25], v2 offset:1920
	v_fmac_f64_e32 v[30:31], v[18:19], v[164:165]
	v_fma_f64 v[16:17], v[16:17], v[164:165], -v[166:167]
	s_wait_loadcnt_dscnt 0x601
	v_mul_f64_e32 v[176:177], v[4:5], v[162:163]
	v_mul_f64_e32 v[162:163], v[6:7], v[162:163]
	;; [unrolled: 16-line block ×3, first 2 shown]
	s_wait_loadcnt_dscnt 0x300
	v_mul_f64_e32 v[158:159], v[16:17], v[192:193]
	v_add_f64_e32 v[24:25], v[162:163], v[160:161]
	v_add_f64_e32 v[26:27], v[26:27], v[176:177]
	v_mul_f64_e32 v[160:161], v[18:19], v[192:193]
	v_fmac_f64_e32 v[30:31], v[6:7], v[168:169]
	v_fma_f64 v[162:163], v[4:5], v[168:169], -v[164:165]
	v_fmac_f64_e32 v[158:159], v[18:19], v[190:191]
	v_add_f64_e32 v[164:165], v[24:25], v[22:23]
	v_add_f64_e32 v[26:27], v[26:27], v[28:29]
	ds_load_b128 v[4:7], v2 offset:1968
	ds_load_b128 v[22:25], v2 offset:1984
	v_fma_f64 v[16:17], v[16:17], v[190:191], -v[160:161]
	s_wait_loadcnt_dscnt 0x201
	v_mul_f64_e32 v[28:29], v[4:5], v[174:175]
	v_mul_f64_e32 v[166:167], v[6:7], v[174:175]
	v_add_f64_e32 v[18:19], v[164:165], v[162:163]
	v_add_f64_e32 v[26:27], v[26:27], v[30:31]
	s_wait_loadcnt_dscnt 0x100
	v_mul_f64_e32 v[30:31], v[22:23], v[10:11]
	v_mul_f64_e32 v[10:11], v[24:25], v[10:11]
	v_fmac_f64_e32 v[28:29], v[6:7], v[172:173]
	v_fma_f64 v[160:161], v[4:5], v[172:173], -v[166:167]
	ds_load_b128 v[4:7], v2 offset:2000
	v_add_f64_e32 v[16:17], v[18:19], v[16:17]
	v_add_f64_e32 v[18:19], v[26:27], v[158:159]
	v_fmac_f64_e32 v[30:31], v[24:25], v[8:9]
	v_fma_f64 v[8:9], v[22:23], v[8:9], -v[10:11]
	s_wait_loadcnt_dscnt 0x0
	v_mul_f64_e32 v[26:27], v[4:5], v[14:15]
	v_mul_f64_e32 v[14:15], v[6:7], v[14:15]
	v_add_f64_e32 v[10:11], v[16:17], v[160:161]
	v_add_f64_e32 v[16:17], v[18:19], v[28:29]
	s_delay_alu instid0(VALU_DEP_4) | instskip(NEXT) | instid1(VALU_DEP_4)
	v_fmac_f64_e32 v[26:27], v[6:7], v[12:13]
	v_fma_f64 v[4:5], v[4:5], v[12:13], -v[14:15]
	s_delay_alu instid0(VALU_DEP_4) | instskip(NEXT) | instid1(VALU_DEP_4)
	v_add_f64_e32 v[6:7], v[10:11], v[8:9]
	v_add_f64_e32 v[8:9], v[16:17], v[30:31]
	s_delay_alu instid0(VALU_DEP_2) | instskip(NEXT) | instid1(VALU_DEP_2)
	v_add_f64_e32 v[4:5], v[6:7], v[4:5]
	v_add_f64_e32 v[6:7], v[8:9], v[26:27]
	s_delay_alu instid0(VALU_DEP_2) | instskip(NEXT) | instid1(VALU_DEP_2)
	v_add_f64_e64 v[4:5], v[182:183], -v[4:5]
	v_add_f64_e64 v[6:7], v[184:185], -v[6:7]
	scratch_store_b128 off, v[4:7], off offset:176
	s_wait_xcnt 0x0
	v_cmpx_lt_u32_e32 10, v1
	s_cbranch_execz .LBB126_383
; %bb.382:
	scratch_load_b128 v[6:9], off, s71
	v_dual_mov_b32 v3, v2 :: v_dual_mov_b32 v4, v2
	v_mov_b32_e32 v5, v2
	scratch_store_b128 off, v[2:5], off offset:160
	s_wait_loadcnt 0x0
	ds_store_b128 v20, v[6:9]
.LBB126_383:
	s_wait_xcnt 0x0
	s_or_b32 exec_lo, exec_lo, s2
	s_wait_storecnt_dscnt 0x0
	s_barrier_signal -1
	s_barrier_wait -1
	s_clause 0x9
	scratch_load_b128 v[4:7], off, off offset:176
	scratch_load_b128 v[8:11], off, off offset:192
	;; [unrolled: 1-line block ×10, first 2 shown]
	ds_load_b128 v[174:177], v2 offset:1184
	ds_load_b128 v[182:185], v2 offset:1200
	s_clause 0x2
	scratch_load_b128 v[178:181], off, off offset:336
	scratch_load_b128 v[186:189], off, off offset:160
	;; [unrolled: 1-line block ×3, first 2 shown]
	s_mov_b32 s2, exec_lo
	s_wait_loadcnt_dscnt 0xc01
	v_mul_f64_e32 v[30:31], v[176:177], v[6:7]
	v_mul_f64_e32 v[198:199], v[174:175], v[6:7]
	s_wait_loadcnt_dscnt 0xb00
	v_mul_f64_e32 v[200:201], v[182:183], v[10:11]
	v_mul_f64_e32 v[10:11], v[184:185], v[10:11]
	s_delay_alu instid0(VALU_DEP_4) | instskip(NEXT) | instid1(VALU_DEP_4)
	v_fma_f64 v[30:31], v[174:175], v[4:5], -v[30:31]
	v_fmac_f64_e32 v[198:199], v[176:177], v[4:5]
	ds_load_b128 v[4:7], v2 offset:1216
	ds_load_b128 v[174:177], v2 offset:1232
	scratch_load_b128 v[194:197], off, off offset:368
	v_fmac_f64_e32 v[200:201], v[184:185], v[8:9]
	v_fma_f64 v[182:183], v[182:183], v[8:9], -v[10:11]
	scratch_load_b128 v[8:11], off, off offset:384
	s_wait_loadcnt_dscnt 0xc01
	v_mul_f64_e32 v[202:203], v[4:5], v[14:15]
	v_mul_f64_e32 v[14:15], v[6:7], v[14:15]
	v_add_f64_e32 v[30:31], 0, v[30:31]
	v_add_f64_e32 v[184:185], 0, v[198:199]
	s_wait_loadcnt_dscnt 0xb00
	v_mul_f64_e32 v[198:199], v[174:175], v[18:19]
	v_mul_f64_e32 v[18:19], v[176:177], v[18:19]
	v_fmac_f64_e32 v[202:203], v[6:7], v[12:13]
	v_fma_f64 v[204:205], v[4:5], v[12:13], -v[14:15]
	ds_load_b128 v[4:7], v2 offset:1248
	ds_load_b128 v[12:15], v2 offset:1264
	v_add_f64_e32 v[30:31], v[30:31], v[182:183]
	v_add_f64_e32 v[200:201], v[184:185], v[200:201]
	scratch_load_b128 v[182:185], off, off offset:400
	v_fmac_f64_e32 v[198:199], v[176:177], v[16:17]
	v_fma_f64 v[174:175], v[174:175], v[16:17], -v[18:19]
	scratch_load_b128 v[16:19], off, off offset:416
	s_wait_loadcnt_dscnt 0xc01
	v_mul_f64_e32 v[206:207], v[4:5], v[24:25]
	v_mul_f64_e32 v[24:25], v[6:7], v[24:25]
	v_add_f64_e32 v[30:31], v[30:31], v[204:205]
	v_add_f64_e32 v[176:177], v[200:201], v[202:203]
	s_wait_loadcnt_dscnt 0xb00
	v_mul_f64_e32 v[200:201], v[12:13], v[28:29]
	v_mul_f64_e32 v[202:203], v[14:15], v[28:29]
	v_fmac_f64_e32 v[206:207], v[6:7], v[22:23]
	v_fma_f64 v[204:205], v[4:5], v[22:23], -v[24:25]
	ds_load_b128 v[4:7], v2 offset:1280
	ds_load_b128 v[22:25], v2 offset:1296
	v_add_f64_e32 v[174:175], v[30:31], v[174:175]
	v_add_f64_e32 v[176:177], v[176:177], v[198:199]
	scratch_load_b128 v[28:31], off, off offset:432
	s_wait_loadcnt_dscnt 0xb01
	v_mul_f64_e32 v[198:199], v[4:5], v[160:161]
	v_mul_f64_e32 v[160:161], v[6:7], v[160:161]
	v_fmac_f64_e32 v[200:201], v[14:15], v[26:27]
	v_fma_f64 v[26:27], v[12:13], v[26:27], -v[202:203]
	scratch_load_b128 v[12:15], off, off offset:448
	s_wait_loadcnt_dscnt 0xb00
	v_mul_f64_e32 v[202:203], v[22:23], v[164:165]
	v_mul_f64_e32 v[164:165], v[24:25], v[164:165]
	v_add_f64_e32 v[174:175], v[174:175], v[204:205]
	v_add_f64_e32 v[176:177], v[176:177], v[206:207]
	v_fmac_f64_e32 v[198:199], v[6:7], v[158:159]
	v_fma_f64 v[204:205], v[4:5], v[158:159], -v[160:161]
	ds_load_b128 v[4:7], v2 offset:1312
	ds_load_b128 v[158:161], v2 offset:1328
	v_fmac_f64_e32 v[202:203], v[24:25], v[162:163]
	v_fma_f64 v[162:163], v[22:23], v[162:163], -v[164:165]
	scratch_load_b128 v[22:25], off, off offset:480
	s_wait_loadcnt_dscnt 0xb01
	v_mul_f64_e32 v[206:207], v[4:5], v[168:169]
	v_mul_f64_e32 v[168:169], v[6:7], v[168:169]
	v_add_f64_e32 v[26:27], v[174:175], v[26:27]
	v_add_f64_e32 v[200:201], v[176:177], v[200:201]
	scratch_load_b128 v[174:177], off, off offset:464
	v_fmac_f64_e32 v[206:207], v[6:7], v[166:167]
	v_add_f64_e32 v[26:27], v[26:27], v[204:205]
	v_add_f64_e32 v[164:165], v[200:201], v[198:199]
	s_wait_loadcnt_dscnt 0xb00
	v_mul_f64_e32 v[198:199], v[158:159], v[172:173]
	v_mul_f64_e32 v[172:173], v[160:161], v[172:173]
	v_fma_f64 v[200:201], v[4:5], v[166:167], -v[168:169]
	v_add_f64_e32 v[26:27], v[26:27], v[162:163]
	v_add_f64_e32 v[202:203], v[164:165], v[202:203]
	ds_load_b128 v[4:7], v2 offset:1344
	ds_load_b128 v[162:165], v2 offset:1360
	scratch_load_b128 v[166:169], off, off offset:496
	v_fmac_f64_e32 v[198:199], v[160:161], v[170:171]
	v_fma_f64 v[170:171], v[158:159], v[170:171], -v[172:173]
	scratch_load_b128 v[158:161], off, off offset:512
	s_wait_loadcnt_dscnt 0xc01
	v_mul_f64_e32 v[204:205], v[4:5], v[180:181]
	v_mul_f64_e32 v[180:181], v[6:7], v[180:181]
	v_add_f64_e32 v[26:27], v[26:27], v[200:201]
	v_add_f64_e32 v[172:173], v[202:203], v[206:207]
	s_wait_loadcnt_dscnt 0xa00
	v_mul_f64_e32 v[200:201], v[162:163], v[192:193]
	v_mul_f64_e32 v[192:193], v[164:165], v[192:193]
	v_fmac_f64_e32 v[204:205], v[6:7], v[178:179]
	v_fma_f64 v[202:203], v[4:5], v[178:179], -v[180:181]
	v_add_f64_e32 v[26:27], v[26:27], v[170:171]
	v_add_f64_e32 v[198:199], v[172:173], v[198:199]
	ds_load_b128 v[4:7], v2 offset:1376
	ds_load_b128 v[170:173], v2 offset:1392
	scratch_load_b128 v[178:181], off, off offset:528
	v_fmac_f64_e32 v[200:201], v[164:165], v[190:191]
	v_fma_f64 v[190:191], v[162:163], v[190:191], -v[192:193]
	scratch_load_b128 v[162:165], off, off offset:544
	s_wait_loadcnt_dscnt 0xb01
	v_mul_f64_e32 v[206:207], v[4:5], v[196:197]
	v_mul_f64_e32 v[196:197], v[6:7], v[196:197]
	v_add_f64_e32 v[26:27], v[26:27], v[202:203]
	v_add_f64_e32 v[192:193], v[198:199], v[204:205]
	s_wait_loadcnt_dscnt 0xa00
	v_mul_f64_e32 v[198:199], v[170:171], v[10:11]
	v_mul_f64_e32 v[10:11], v[172:173], v[10:11]
	v_fmac_f64_e32 v[206:207], v[6:7], v[194:195]
	;; [unrolled: 18-line block ×4, first 2 shown]
	v_fma_f64 v[30:31], v[4:5], v[28:29], -v[30:31]
	v_add_f64_e32 v[202:203], v[26:27], v[190:191]
	v_add_f64_e32 v[200:201], v[192:193], v[200:201]
	ds_load_b128 v[4:7], v2 offset:1472
	ds_load_b128 v[26:29], v2 offset:1488
	scratch_load_b128 v[190:193], off, off offset:624
	v_fmac_f64_e32 v[198:199], v[172:173], v[12:13]
	v_fma_f64 v[170:171], v[170:171], v[12:13], -v[14:15]
	scratch_load_b128 v[12:15], off, off offset:640
	s_wait_loadcnt_dscnt 0xa01
	v_mul_f64_e32 v[204:205], v[4:5], v[176:177]
	v_mul_f64_e32 v[176:177], v[6:7], v[176:177]
	v_add_f64_e32 v[30:31], v[202:203], v[30:31]
	v_add_f64_e32 v[172:173], v[200:201], v[206:207]
	s_wait_dscnt 0x0
	v_mul_f64_e32 v[200:201], v[26:27], v[24:25]
	v_mul_f64_e32 v[24:25], v[28:29], v[24:25]
	v_fmac_f64_e32 v[204:205], v[6:7], v[174:175]
	v_fma_f64 v[202:203], v[4:5], v[174:175], -v[176:177]
	v_add_f64_e32 v[30:31], v[30:31], v[170:171]
	v_add_f64_e32 v[198:199], v[172:173], v[198:199]
	ds_load_b128 v[4:7], v2 offset:1504
	ds_load_b128 v[170:173], v2 offset:1520
	scratch_load_b128 v[174:177], off, off offset:656
	v_fmac_f64_e32 v[200:201], v[28:29], v[22:23]
	v_fma_f64 v[26:27], v[26:27], v[22:23], -v[24:25]
	scratch_load_b128 v[22:25], off, off offset:672
	s_wait_loadcnt_dscnt 0xb01
	v_mul_f64_e32 v[206:207], v[4:5], v[168:169]
	v_mul_f64_e32 v[168:169], v[6:7], v[168:169]
	v_add_f64_e32 v[28:29], v[30:31], v[202:203]
	v_add_f64_e32 v[30:31], v[198:199], v[204:205]
	s_wait_loadcnt_dscnt 0xa00
	v_mul_f64_e32 v[198:199], v[170:171], v[160:161]
	v_mul_f64_e32 v[160:161], v[172:173], v[160:161]
	v_fmac_f64_e32 v[206:207], v[6:7], v[166:167]
	v_fma_f64 v[202:203], v[4:5], v[166:167], -v[168:169]
	v_add_f64_e32 v[204:205], v[28:29], v[26:27]
	v_add_f64_e32 v[30:31], v[30:31], v[200:201]
	ds_load_b128 v[4:7], v2 offset:1536
	ds_load_b128 v[26:29], v2 offset:1552
	scratch_load_b128 v[166:169], off, off offset:688
	v_fmac_f64_e32 v[198:199], v[172:173], v[158:159]
	v_fma_f64 v[170:171], v[170:171], v[158:159], -v[160:161]
	scratch_load_b128 v[158:161], off, off offset:704
	s_wait_loadcnt_dscnt 0xb01
	v_mul_f64_e32 v[200:201], v[4:5], v[180:181]
	v_mul_f64_e32 v[180:181], v[6:7], v[180:181]
	v_add_f64_e32 v[172:173], v[204:205], v[202:203]
	v_add_f64_e32 v[30:31], v[30:31], v[206:207]
	s_wait_loadcnt_dscnt 0xa00
	;; [unrolled: 18-line block ×7, first 2 shown]
	v_mul_f64_e32 v[198:199], v[170:171], v[160:161]
	v_mul_f64_e32 v[204:205], v[172:173], v[160:161]
	v_fmac_f64_e32 v[202:203], v[6:7], v[166:167]
	v_fma_f64 v[168:169], v[4:5], v[166:167], -v[168:169]
	v_add_f64_e32 v[206:207], v[164:165], v[162:163]
	v_add_f64_e32 v[30:31], v[30:31], v[200:201]
	ds_load_b128 v[4:7], v2 offset:1728
	ds_load_b128 v[160:163], v2 offset:1744
	scratch_load_b128 v[164:167], off, off offset:880
	v_fmac_f64_e32 v[198:199], v[172:173], v[158:159]
	v_fma_f64 v[158:159], v[170:171], v[158:159], -v[204:205]
	s_wait_loadcnt_dscnt 0xa01
	v_mul_f64_e32 v[200:201], v[4:5], v[180:181]
	v_mul_f64_e32 v[180:181], v[6:7], v[180:181]
	s_wait_loadcnt_dscnt 0x900
	v_mul_f64_e32 v[204:205], v[162:163], v[28:29]
	v_add_f64_e32 v[172:173], v[206:207], v[168:169]
	v_add_f64_e32 v[30:31], v[30:31], v[202:203]
	scratch_load_b128 v[168:171], off, off offset:896
	v_mul_f64_e32 v[202:203], v[160:161], v[28:29]
	v_fmac_f64_e32 v[200:201], v[6:7], v[178:179]
	v_fma_f64 v[206:207], v[4:5], v[178:179], -v[180:181]
	v_add_f64_e32 v[158:159], v[172:173], v[158:159]
	v_add_f64_e32 v[172:173], v[30:31], v[198:199]
	ds_load_b128 v[4:7], v2 offset:1760
	ds_load_b128 v[28:31], v2 offset:1776
	scratch_load_b128 v[178:181], off, off offset:912
	v_fmac_f64_e32 v[202:203], v[162:163], v[26:27]
	v_fma_f64 v[26:27], v[160:161], v[26:27], -v[204:205]
	s_wait_loadcnt_dscnt 0xa01
	v_mul_f64_e32 v[208:209], v[4:5], v[196:197]
	v_mul_f64_e32 v[196:197], v[6:7], v[196:197]
	s_wait_loadcnt_dscnt 0x900
	v_mul_f64_e32 v[204:205], v[28:29], v[10:11]
	v_mul_f64_e32 v[10:11], v[30:31], v[10:11]
	v_add_f64_e32 v[162:163], v[158:159], v[206:207]
	v_add_f64_e32 v[172:173], v[172:173], v[200:201]
	scratch_load_b128 v[158:161], off, off offset:928
	v_fmac_f64_e32 v[208:209], v[6:7], v[194:195]
	v_fma_f64 v[206:207], v[4:5], v[194:195], -v[196:197]
	ds_load_b128 v[4:7], v2 offset:1792
	ds_load_b128 v[194:197], v2 offset:1808
	scratch_load_b128 v[198:201], off, off offset:944
	v_fmac_f64_e32 v[204:205], v[30:31], v[8:9]
	v_fma_f64 v[28:29], v[28:29], v[8:9], -v[10:11]
	scratch_load_b128 v[8:11], off, off offset:960
	v_add_f64_e32 v[26:27], v[162:163], v[26:27]
	v_add_f64_e32 v[162:163], v[172:173], v[202:203]
	s_wait_loadcnt_dscnt 0xb01
	v_mul_f64_e32 v[172:173], v[4:5], v[184:185]
	v_mul_f64_e32 v[184:185], v[6:7], v[184:185]
	s_delay_alu instid0(VALU_DEP_4) | instskip(NEXT) | instid1(VALU_DEP_4)
	v_add_f64_e32 v[26:27], v[26:27], v[206:207]
	v_add_f64_e32 v[30:31], v[162:163], v[208:209]
	s_wait_loadcnt_dscnt 0xa00
	v_mul_f64_e32 v[162:163], v[194:195], v[18:19]
	v_mul_f64_e32 v[18:19], v[196:197], v[18:19]
	v_fmac_f64_e32 v[172:173], v[6:7], v[182:183]
	v_fma_f64 v[202:203], v[4:5], v[182:183], -v[184:185]
	v_add_f64_e32 v[206:207], v[26:27], v[28:29]
	v_add_f64_e32 v[30:31], v[30:31], v[204:205]
	ds_load_b128 v[4:7], v2 offset:1824
	ds_load_b128 v[26:29], v2 offset:1840
	scratch_load_b128 v[182:185], off, off offset:976
	v_fmac_f64_e32 v[162:163], v[196:197], v[16:17]
	v_fma_f64 v[194:195], v[194:195], v[16:17], -v[18:19]
	scratch_load_b128 v[16:19], off, off offset:992
	s_wait_loadcnt_dscnt 0xb01
	v_mul_f64_e32 v[204:205], v[4:5], v[192:193]
	v_mul_f64_e32 v[192:193], v[6:7], v[192:193]
	v_add_f64_e32 v[196:197], v[206:207], v[202:203]
	v_add_f64_e32 v[30:31], v[30:31], v[172:173]
	s_wait_loadcnt_dscnt 0xa00
	v_mul_f64_e32 v[172:173], v[26:27], v[14:15]
	v_mul_f64_e32 v[14:15], v[28:29], v[14:15]
	v_fmac_f64_e32 v[204:205], v[6:7], v[190:191]
	v_fma_f64 v[202:203], v[4:5], v[190:191], -v[192:193]
	ds_load_b128 v[4:7], v2 offset:1856
	ds_load_b128 v[190:193], v2 offset:1872
	v_add_f64_e32 v[194:195], v[196:197], v[194:195]
	v_add_f64_e32 v[30:31], v[30:31], v[162:163]
	v_fmac_f64_e32 v[172:173], v[28:29], v[12:13]
	v_fma_f64 v[12:13], v[26:27], v[12:13], -v[14:15]
	s_wait_loadcnt_dscnt 0x901
	v_mul_f64_e32 v[162:163], v[4:5], v[176:177]
	v_mul_f64_e32 v[176:177], v[6:7], v[176:177]
	s_wait_loadcnt_dscnt 0x800
	v_mul_f64_e32 v[28:29], v[190:191], v[24:25]
	v_mul_f64_e32 v[24:25], v[192:193], v[24:25]
	v_add_f64_e32 v[14:15], v[194:195], v[202:203]
	v_add_f64_e32 v[26:27], v[30:31], v[204:205]
	v_fmac_f64_e32 v[162:163], v[6:7], v[174:175]
	v_fma_f64 v[30:31], v[4:5], v[174:175], -v[176:177]
	v_fmac_f64_e32 v[28:29], v[192:193], v[22:23]
	v_fma_f64 v[22:23], v[190:191], v[22:23], -v[24:25]
	v_add_f64_e32 v[174:175], v[14:15], v[12:13]
	v_add_f64_e32 v[26:27], v[26:27], v[172:173]
	ds_load_b128 v[4:7], v2 offset:1888
	ds_load_b128 v[12:15], v2 offset:1904
	s_wait_loadcnt_dscnt 0x701
	v_mul_f64_e32 v[172:173], v[4:5], v[166:167]
	v_mul_f64_e32 v[166:167], v[6:7], v[166:167]
	v_add_f64_e32 v[24:25], v[174:175], v[30:31]
	v_add_f64_e32 v[26:27], v[26:27], v[162:163]
	s_wait_loadcnt_dscnt 0x600
	v_mul_f64_e32 v[30:31], v[12:13], v[170:171]
	v_mul_f64_e32 v[162:163], v[14:15], v[170:171]
	v_fmac_f64_e32 v[172:173], v[6:7], v[164:165]
	v_fma_f64 v[164:165], v[4:5], v[164:165], -v[166:167]
	v_add_f64_e32 v[166:167], v[24:25], v[22:23]
	v_add_f64_e32 v[26:27], v[26:27], v[28:29]
	ds_load_b128 v[4:7], v2 offset:1920
	ds_load_b128 v[22:25], v2 offset:1936
	v_fmac_f64_e32 v[30:31], v[14:15], v[168:169]
	v_fma_f64 v[12:13], v[12:13], v[168:169], -v[162:163]
	s_wait_loadcnt_dscnt 0x501
	v_mul_f64_e32 v[28:29], v[4:5], v[180:181]
	v_mul_f64_e32 v[170:171], v[6:7], v[180:181]
	v_add_f64_e32 v[14:15], v[166:167], v[164:165]
	v_add_f64_e32 v[26:27], v[26:27], v[172:173]
	s_wait_loadcnt_dscnt 0x400
	v_mul_f64_e32 v[162:163], v[22:23], v[160:161]
	v_mul_f64_e32 v[160:161], v[24:25], v[160:161]
	v_fmac_f64_e32 v[28:29], v[6:7], v[178:179]
	v_fma_f64 v[164:165], v[4:5], v[178:179], -v[170:171]
	v_add_f64_e32 v[166:167], v[14:15], v[12:13]
	v_add_f64_e32 v[26:27], v[26:27], v[30:31]
	ds_load_b128 v[4:7], v2 offset:1952
	ds_load_b128 v[12:15], v2 offset:1968
	v_fmac_f64_e32 v[162:163], v[24:25], v[158:159]
	v_fma_f64 v[22:23], v[22:23], v[158:159], -v[160:161]
	;; [unrolled: 16-line block ×3, first 2 shown]
	s_wait_loadcnt_dscnt 0x101
	v_mul_f64_e32 v[2:3], v[4:5], v[184:185]
	v_mul_f64_e32 v[162:163], v[6:7], v[184:185]
	s_wait_loadcnt_dscnt 0x0
	v_mul_f64_e32 v[14:15], v[22:23], v[18:19]
	v_mul_f64_e32 v[18:19], v[24:25], v[18:19]
	v_add_f64_e32 v[10:11], v[160:161], v[158:159]
	v_add_f64_e32 v[12:13], v[26:27], v[30:31]
	v_fmac_f64_e32 v[2:3], v[6:7], v[182:183]
	v_fma_f64 v[4:5], v[4:5], v[182:183], -v[162:163]
	v_fmac_f64_e32 v[14:15], v[24:25], v[16:17]
	v_add_f64_e32 v[6:7], v[10:11], v[8:9]
	v_add_f64_e32 v[8:9], v[12:13], v[28:29]
	v_fma_f64 v[10:11], v[22:23], v[16:17], -v[18:19]
	s_delay_alu instid0(VALU_DEP_3) | instskip(NEXT) | instid1(VALU_DEP_3)
	v_add_f64_e32 v[4:5], v[6:7], v[4:5]
	v_add_f64_e32 v[2:3], v[8:9], v[2:3]
	s_delay_alu instid0(VALU_DEP_2) | instskip(NEXT) | instid1(VALU_DEP_2)
	v_add_f64_e32 v[4:5], v[4:5], v[10:11]
	v_add_f64_e32 v[6:7], v[2:3], v[14:15]
	s_delay_alu instid0(VALU_DEP_2) | instskip(NEXT) | instid1(VALU_DEP_2)
	v_add_f64_e64 v[2:3], v[186:187], -v[4:5]
	v_add_f64_e64 v[4:5], v[188:189], -v[6:7]
	scratch_store_b128 off, v[2:5], off offset:160
	s_wait_xcnt 0x0
	v_cmpx_lt_u32_e32 9, v1
	s_cbranch_execz .LBB126_385
; %bb.384:
	scratch_load_b128 v[2:5], off, s72
	v_mov_b32_e32 v6, 0
	s_delay_alu instid0(VALU_DEP_1)
	v_dual_mov_b32 v7, v6 :: v_dual_mov_b32 v8, v6
	v_mov_b32_e32 v9, v6
	scratch_store_b128 off, v[6:9], off offset:144
	s_wait_loadcnt 0x0
	ds_store_b128 v20, v[2:5]
.LBB126_385:
	s_wait_xcnt 0x0
	s_or_b32 exec_lo, exec_lo, s2
	s_wait_storecnt_dscnt 0x0
	s_barrier_signal -1
	s_barrier_wait -1
	s_clause 0x9
	scratch_load_b128 v[4:7], off, off offset:160
	scratch_load_b128 v[8:11], off, off offset:176
	;; [unrolled: 1-line block ×10, first 2 shown]
	v_mov_b32_e32 v2, 0
	s_mov_b32 s2, exec_lo
	ds_load_b128 v[174:177], v2 offset:1168
	s_clause 0x2
	scratch_load_b128 v[178:181], off, off offset:320
	scratch_load_b128 v[182:185], off, off offset:144
	;; [unrolled: 1-line block ×3, first 2 shown]
	s_wait_loadcnt_dscnt 0xc00
	v_mul_f64_e32 v[30:31], v[176:177], v[6:7]
	v_mul_f64_e32 v[198:199], v[174:175], v[6:7]
	ds_load_b128 v[186:189], v2 offset:1184
	ds_load_b128 v[194:197], v2 offset:1216
	v_fma_f64 v[30:31], v[174:175], v[4:5], -v[30:31]
	v_fmac_f64_e32 v[198:199], v[176:177], v[4:5]
	ds_load_b128 v[4:7], v2 offset:1200
	s_wait_loadcnt_dscnt 0xb02
	v_mul_f64_e32 v[200:201], v[186:187], v[10:11]
	v_mul_f64_e32 v[10:11], v[188:189], v[10:11]
	scratch_load_b128 v[174:177], off, off offset:352
	s_wait_loadcnt_dscnt 0xb00
	v_mul_f64_e32 v[202:203], v[4:5], v[14:15]
	v_mul_f64_e32 v[14:15], v[6:7], v[14:15]
	v_add_f64_e32 v[30:31], 0, v[30:31]
	v_fmac_f64_e32 v[200:201], v[188:189], v[8:9]
	v_fma_f64 v[186:187], v[186:187], v[8:9], -v[10:11]
	v_add_f64_e32 v[188:189], 0, v[198:199]
	scratch_load_b128 v[8:11], off, off offset:368
	v_fmac_f64_e32 v[202:203], v[6:7], v[12:13]
	v_fma_f64 v[204:205], v[4:5], v[12:13], -v[14:15]
	ds_load_b128 v[4:7], v2 offset:1232
	s_wait_loadcnt 0xb
	v_mul_f64_e32 v[198:199], v[194:195], v[18:19]
	v_mul_f64_e32 v[18:19], v[196:197], v[18:19]
	scratch_load_b128 v[12:15], off, off offset:384
	v_add_f64_e32 v[30:31], v[30:31], v[186:187]
	v_add_f64_e32 v[200:201], v[188:189], v[200:201]
	ds_load_b128 v[186:189], v2 offset:1248
	s_wait_loadcnt_dscnt 0xb01
	v_mul_f64_e32 v[206:207], v[4:5], v[24:25]
	v_mul_f64_e32 v[24:25], v[6:7], v[24:25]
	v_fmac_f64_e32 v[198:199], v[196:197], v[16:17]
	v_fma_f64 v[194:195], v[194:195], v[16:17], -v[18:19]
	scratch_load_b128 v[16:19], off, off offset:400
	v_add_f64_e32 v[30:31], v[30:31], v[204:205]
	v_add_f64_e32 v[196:197], v[200:201], v[202:203]
	v_fmac_f64_e32 v[206:207], v[6:7], v[22:23]
	v_fma_f64 v[204:205], v[4:5], v[22:23], -v[24:25]
	ds_load_b128 v[4:7], v2 offset:1264
	s_wait_loadcnt_dscnt 0xb01
	v_mul_f64_e32 v[200:201], v[186:187], v[28:29]
	v_mul_f64_e32 v[202:203], v[188:189], v[28:29]
	scratch_load_b128 v[22:25], off, off offset:416
	v_add_f64_e32 v[194:195], v[30:31], v[194:195]
	v_add_f64_e32 v[196:197], v[196:197], v[198:199]
	s_wait_loadcnt_dscnt 0xb00
	v_mul_f64_e32 v[198:199], v[4:5], v[160:161]
	v_mul_f64_e32 v[160:161], v[6:7], v[160:161]
	ds_load_b128 v[28:31], v2 offset:1280
	v_fmac_f64_e32 v[200:201], v[188:189], v[26:27]
	v_fma_f64 v[26:27], v[186:187], v[26:27], -v[202:203]
	scratch_load_b128 v[186:189], off, off offset:432
	v_add_f64_e32 v[194:195], v[194:195], v[204:205]
	v_add_f64_e32 v[196:197], v[196:197], v[206:207]
	v_fmac_f64_e32 v[198:199], v[6:7], v[158:159]
	v_fma_f64 v[204:205], v[4:5], v[158:159], -v[160:161]
	ds_load_b128 v[4:7], v2 offset:1296
	s_wait_loadcnt_dscnt 0xb01
	v_mul_f64_e32 v[202:203], v[28:29], v[164:165]
	v_mul_f64_e32 v[164:165], v[30:31], v[164:165]
	scratch_load_b128 v[158:161], off, off offset:448
	s_wait_loadcnt_dscnt 0xb00
	v_mul_f64_e32 v[206:207], v[4:5], v[168:169]
	v_mul_f64_e32 v[168:169], v[6:7], v[168:169]
	v_add_f64_e32 v[26:27], v[194:195], v[26:27]
	v_add_f64_e32 v[200:201], v[196:197], v[200:201]
	ds_load_b128 v[194:197], v2 offset:1312
	v_fmac_f64_e32 v[202:203], v[30:31], v[162:163]
	v_fma_f64 v[30:31], v[28:29], v[162:163], -v[164:165]
	v_fmac_f64_e32 v[206:207], v[6:7], v[166:167]
	v_add_f64_e32 v[162:163], v[26:27], v[204:205]
	v_add_f64_e32 v[164:165], v[200:201], v[198:199]
	scratch_load_b128 v[26:29], off, off offset:464
	v_fma_f64 v[200:201], v[4:5], v[166:167], -v[168:169]
	ds_load_b128 v[4:7], v2 offset:1328
	s_wait_loadcnt_dscnt 0xb01
	v_mul_f64_e32 v[198:199], v[194:195], v[172:173]
	v_mul_f64_e32 v[172:173], v[196:197], v[172:173]
	ds_load_b128 v[166:169], v2 offset:1344
	s_wait_loadcnt_dscnt 0xa01
	v_mul_f64_e32 v[204:205], v[4:5], v[180:181]
	v_mul_f64_e32 v[180:181], v[6:7], v[180:181]
	v_add_f64_e32 v[30:31], v[162:163], v[30:31]
	v_add_f64_e32 v[202:203], v[164:165], v[202:203]
	scratch_load_b128 v[162:165], off, off offset:480
	v_fmac_f64_e32 v[198:199], v[196:197], v[170:171]
	v_fma_f64 v[194:195], v[194:195], v[170:171], -v[172:173]
	scratch_load_b128 v[170:173], off, off offset:496
	v_fmac_f64_e32 v[204:205], v[6:7], v[178:179]
	v_add_f64_e32 v[30:31], v[30:31], v[200:201]
	v_add_f64_e32 v[196:197], v[202:203], v[206:207]
	v_fma_f64 v[206:207], v[4:5], v[178:179], -v[180:181]
	ds_load_b128 v[4:7], v2 offset:1360
	s_wait_loadcnt_dscnt 0xa01
	v_mul_f64_e32 v[200:201], v[166:167], v[192:193]
	v_mul_f64_e32 v[202:203], v[168:169], v[192:193]
	scratch_load_b128 v[178:181], off, off offset:512
	v_add_f64_e32 v[30:31], v[30:31], v[194:195]
	v_add_f64_e32 v[196:197], v[196:197], v[198:199]
	s_wait_loadcnt_dscnt 0xa00
	v_mul_f64_e32 v[208:209], v[4:5], v[176:177]
	v_mul_f64_e32 v[176:177], v[6:7], v[176:177]
	v_fmac_f64_e32 v[200:201], v[168:169], v[190:191]
	v_fma_f64 v[190:191], v[166:167], v[190:191], -v[202:203]
	ds_load_b128 v[192:195], v2 offset:1376
	scratch_load_b128 v[166:169], off, off offset:528
	v_add_f64_e32 v[30:31], v[30:31], v[206:207]
	v_add_f64_e32 v[196:197], v[196:197], v[204:205]
	v_fmac_f64_e32 v[208:209], v[6:7], v[174:175]
	v_fma_f64 v[204:205], v[4:5], v[174:175], -v[176:177]
	ds_load_b128 v[4:7], v2 offset:1392
	s_wait_loadcnt_dscnt 0xa01
	v_mul_f64_e32 v[202:203], v[192:193], v[10:11]
	v_mul_f64_e32 v[10:11], v[194:195], v[10:11]
	scratch_load_b128 v[174:177], off, off offset:544
	v_add_f64_e32 v[30:31], v[30:31], v[190:191]
	v_add_f64_e32 v[190:191], v[196:197], v[200:201]
	s_wait_loadcnt_dscnt 0xa00
	v_mul_f64_e32 v[200:201], v[4:5], v[14:15]
	v_mul_f64_e32 v[14:15], v[6:7], v[14:15]
	ds_load_b128 v[196:199], v2 offset:1408
	v_fmac_f64_e32 v[202:203], v[194:195], v[8:9]
	v_fma_f64 v[192:193], v[192:193], v[8:9], -v[10:11]
	scratch_load_b128 v[8:11], off, off offset:560
	v_add_f64_e32 v[30:31], v[30:31], v[204:205]
	v_add_f64_e32 v[190:191], v[190:191], v[208:209]
	v_fmac_f64_e32 v[200:201], v[6:7], v[12:13]
	v_fma_f64 v[204:205], v[4:5], v[12:13], -v[14:15]
	ds_load_b128 v[4:7], v2 offset:1424
	s_wait_loadcnt_dscnt 0xa01
	v_mul_f64_e32 v[194:195], v[196:197], v[18:19]
	v_mul_f64_e32 v[18:19], v[198:199], v[18:19]
	scratch_load_b128 v[12:15], off, off offset:576
	s_wait_loadcnt_dscnt 0xa00
	v_mul_f64_e32 v[206:207], v[4:5], v[24:25]
	v_mul_f64_e32 v[24:25], v[6:7], v[24:25]
	v_add_f64_e32 v[30:31], v[30:31], v[192:193]
	v_add_f64_e32 v[202:203], v[190:191], v[202:203]
	ds_load_b128 v[190:193], v2 offset:1440
	v_fmac_f64_e32 v[194:195], v[198:199], v[16:17]
	v_fma_f64 v[196:197], v[196:197], v[16:17], -v[18:19]
	scratch_load_b128 v[16:19], off, off offset:592
	v_fmac_f64_e32 v[206:207], v[6:7], v[22:23]
	v_add_f64_e32 v[30:31], v[30:31], v[204:205]
	v_add_f64_e32 v[198:199], v[202:203], v[200:201]
	v_fma_f64 v[202:203], v[4:5], v[22:23], -v[24:25]
	ds_load_b128 v[4:7], v2 offset:1456
	s_wait_loadcnt_dscnt 0xa01
	v_mul_f64_e32 v[200:201], v[190:191], v[188:189]
	v_mul_f64_e32 v[188:189], v[192:193], v[188:189]
	scratch_load_b128 v[22:25], off, off offset:608
	s_wait_loadcnt_dscnt 0xa00
	v_mul_f64_e32 v[204:205], v[4:5], v[160:161]
	v_mul_f64_e32 v[160:161], v[6:7], v[160:161]
	v_add_f64_e32 v[30:31], v[30:31], v[196:197]
	v_add_f64_e32 v[198:199], v[198:199], v[194:195]
	ds_load_b128 v[194:197], v2 offset:1472
	v_fmac_f64_e32 v[200:201], v[192:193], v[186:187]
	v_fma_f64 v[190:191], v[190:191], v[186:187], -v[188:189]
	scratch_load_b128 v[186:189], off, off offset:624
	v_fmac_f64_e32 v[204:205], v[6:7], v[158:159]
	v_add_f64_e32 v[30:31], v[30:31], v[202:203]
	v_add_f64_e32 v[192:193], v[198:199], v[206:207]
	v_fma_f64 v[206:207], v[4:5], v[158:159], -v[160:161]
	ds_load_b128 v[4:7], v2 offset:1488
	s_wait_loadcnt_dscnt 0xa01
	v_mul_f64_e32 v[198:199], v[194:195], v[28:29]
	v_mul_f64_e32 v[202:203], v[196:197], v[28:29]
	ds_load_b128 v[158:161], v2 offset:1504
	v_add_f64_e32 v[190:191], v[30:31], v[190:191]
	v_add_f64_e32 v[192:193], v[192:193], v[200:201]
	scratch_load_b128 v[28:31], off, off offset:640
	s_wait_loadcnt_dscnt 0xa01
	v_mul_f64_e32 v[200:201], v[4:5], v[164:165]
	v_mul_f64_e32 v[164:165], v[6:7], v[164:165]
	v_fmac_f64_e32 v[198:199], v[196:197], v[26:27]
	v_fma_f64 v[26:27], v[194:195], v[26:27], -v[202:203]
	v_add_f64_e32 v[194:195], v[190:191], v[206:207]
	v_add_f64_e32 v[196:197], v[192:193], v[204:205]
	scratch_load_b128 v[190:193], off, off offset:656
	v_fmac_f64_e32 v[200:201], v[6:7], v[162:163]
	v_fma_f64 v[204:205], v[4:5], v[162:163], -v[164:165]
	ds_load_b128 v[4:7], v2 offset:1520
	s_wait_loadcnt_dscnt 0xa01
	v_mul_f64_e32 v[202:203], v[158:159], v[172:173]
	v_mul_f64_e32 v[172:173], v[160:161], v[172:173]
	scratch_load_b128 v[162:165], off, off offset:672
	s_wait_loadcnt_dscnt 0xa00
	v_mul_f64_e32 v[206:207], v[4:5], v[180:181]
	v_mul_f64_e32 v[180:181], v[6:7], v[180:181]
	v_add_f64_e32 v[26:27], v[194:195], v[26:27]
	v_add_f64_e32 v[198:199], v[196:197], v[198:199]
	ds_load_b128 v[194:197], v2 offset:1536
	v_fmac_f64_e32 v[202:203], v[160:161], v[170:171]
	v_fma_f64 v[170:171], v[158:159], v[170:171], -v[172:173]
	scratch_load_b128 v[158:161], off, off offset:688
	v_fmac_f64_e32 v[206:207], v[6:7], v[178:179]
	v_add_f64_e32 v[26:27], v[26:27], v[204:205]
	v_add_f64_e32 v[172:173], v[198:199], v[200:201]
	v_fma_f64 v[204:205], v[4:5], v[178:179], -v[180:181]
	ds_load_b128 v[4:7], v2 offset:1552
	s_wait_loadcnt_dscnt 0xa01
	v_mul_f64_e32 v[198:199], v[194:195], v[168:169]
	v_mul_f64_e32 v[200:201], v[196:197], v[168:169]
	ds_load_b128 v[178:181], v2 offset:1568
	v_add_f64_e32 v[26:27], v[26:27], v[170:171]
	v_add_f64_e32 v[172:173], v[172:173], v[202:203]
	scratch_load_b128 v[168:171], off, off offset:704
	s_wait_loadcnt_dscnt 0xa01
	v_mul_f64_e32 v[202:203], v[4:5], v[176:177]
	v_mul_f64_e32 v[176:177], v[6:7], v[176:177]
	v_fmac_f64_e32 v[198:199], v[196:197], v[166:167]
	v_fma_f64 v[166:167], v[194:195], v[166:167], -v[200:201]
	scratch_load_b128 v[194:197], off, off offset:720
	v_add_f64_e32 v[26:27], v[26:27], v[204:205]
	v_add_f64_e32 v[172:173], v[172:173], v[206:207]
	v_fmac_f64_e32 v[202:203], v[6:7], v[174:175]
	v_fma_f64 v[176:177], v[4:5], v[174:175], -v[176:177]
	ds_load_b128 v[4:7], v2 offset:1584
	s_wait_loadcnt_dscnt 0xa01
	v_mul_f64_e32 v[204:205], v[178:179], v[10:11]
	v_mul_f64_e32 v[10:11], v[180:181], v[10:11]
	s_wait_loadcnt_dscnt 0x900
	v_mul_f64_e32 v[206:207], v[4:5], v[14:15]
	v_mul_f64_e32 v[14:15], v[6:7], v[14:15]
	v_add_f64_e32 v[26:27], v[26:27], v[166:167]
	v_add_f64_e32 v[166:167], v[172:173], v[198:199]
	scratch_load_b128 v[172:175], off, off offset:736
	ds_load_b128 v[198:201], v2 offset:1600
	v_fmac_f64_e32 v[204:205], v[180:181], v[8:9]
	v_fma_f64 v[178:179], v[178:179], v[8:9], -v[10:11]
	scratch_load_b128 v[8:11], off, off offset:752
	v_fmac_f64_e32 v[206:207], v[6:7], v[12:13]
	v_add_f64_e32 v[26:27], v[26:27], v[176:177]
	v_add_f64_e32 v[166:167], v[166:167], v[202:203]
	v_fma_f64 v[202:203], v[4:5], v[12:13], -v[14:15]
	ds_load_b128 v[4:7], v2 offset:1616
	s_wait_loadcnt_dscnt 0xa01
	v_mul_f64_e32 v[180:181], v[198:199], v[18:19]
	v_mul_f64_e32 v[18:19], v[200:201], v[18:19]
	scratch_load_b128 v[12:15], off, off offset:768
	v_add_f64_e32 v[26:27], v[26:27], v[178:179]
	v_add_f64_e32 v[166:167], v[166:167], v[204:205]
	s_wait_loadcnt_dscnt 0xa00
	v_mul_f64_e32 v[204:205], v[4:5], v[24:25]
	v_mul_f64_e32 v[24:25], v[6:7], v[24:25]
	v_fmac_f64_e32 v[180:181], v[200:201], v[16:17]
	v_fma_f64 v[198:199], v[198:199], v[16:17], -v[18:19]
	ds_load_b128 v[176:179], v2 offset:1632
	scratch_load_b128 v[16:19], off, off offset:784
	v_add_f64_e32 v[26:27], v[26:27], v[202:203]
	v_add_f64_e32 v[166:167], v[166:167], v[206:207]
	v_fmac_f64_e32 v[204:205], v[6:7], v[22:23]
	v_fma_f64 v[206:207], v[4:5], v[22:23], -v[24:25]
	ds_load_b128 v[4:7], v2 offset:1648
	s_wait_loadcnt_dscnt 0xa01
	v_mul_f64_e32 v[202:203], v[176:177], v[188:189]
	v_mul_f64_e32 v[188:189], v[178:179], v[188:189]
	scratch_load_b128 v[22:25], off, off offset:800
	v_add_f64_e32 v[26:27], v[26:27], v[198:199]
	v_add_f64_e32 v[166:167], v[166:167], v[180:181]
	s_wait_loadcnt_dscnt 0xa00
	v_mul_f64_e32 v[180:181], v[4:5], v[30:31]
	v_mul_f64_e32 v[30:31], v[6:7], v[30:31]
	ds_load_b128 v[198:201], v2 offset:1664
	v_fmac_f64_e32 v[202:203], v[178:179], v[186:187]
	v_fma_f64 v[186:187], v[176:177], v[186:187], -v[188:189]
	scratch_load_b128 v[176:179], off, off offset:816
	v_add_f64_e32 v[26:27], v[26:27], v[206:207]
	v_add_f64_e32 v[166:167], v[166:167], v[204:205]
	v_fmac_f64_e32 v[180:181], v[6:7], v[28:29]
	v_fma_f64 v[30:31], v[4:5], v[28:29], -v[30:31]
	ds_load_b128 v[4:7], v2 offset:1680
	s_wait_loadcnt_dscnt 0xa01
	v_mul_f64_e32 v[204:205], v[198:199], v[192:193]
	v_mul_f64_e32 v[192:193], v[200:201], v[192:193]
	s_wait_loadcnt_dscnt 0x900
	v_mul_f64_e32 v[208:209], v[6:7], v[164:165]
	v_add_f64_e32 v[206:207], v[26:27], v[186:187]
	v_add_f64_e32 v[166:167], v[166:167], v[202:203]
	scratch_load_b128 v[26:29], off, off offset:832
	v_mul_f64_e32 v[202:203], v[4:5], v[164:165]
	ds_load_b128 v[186:189], v2 offset:1696
	v_fmac_f64_e32 v[204:205], v[200:201], v[190:191]
	v_fma_f64 v[190:191], v[198:199], v[190:191], -v[192:193]
	v_add_f64_e32 v[30:31], v[206:207], v[30:31]
	v_add_f64_e32 v[180:181], v[166:167], v[180:181]
	scratch_load_b128 v[164:167], off, off offset:848
	v_fmac_f64_e32 v[202:203], v[6:7], v[162:163]
	v_fma_f64 v[206:207], v[4:5], v[162:163], -v[208:209]
	ds_load_b128 v[4:7], v2 offset:1712
	s_wait_loadcnt_dscnt 0xa01
	v_mul_f64_e32 v[198:199], v[186:187], v[160:161]
	v_mul_f64_e32 v[200:201], v[188:189], v[160:161]
	scratch_load_b128 v[160:163], off, off offset:864
	v_add_f64_e32 v[30:31], v[30:31], v[190:191]
	v_add_f64_e32 v[180:181], v[180:181], v[204:205]
	s_wait_loadcnt_dscnt 0xa00
	v_mul_f64_e32 v[204:205], v[4:5], v[170:171]
	v_mul_f64_e32 v[170:171], v[6:7], v[170:171]
	ds_load_b128 v[190:193], v2 offset:1728
	v_fmac_f64_e32 v[198:199], v[188:189], v[158:159]
	v_fma_f64 v[158:159], v[186:187], v[158:159], -v[200:201]
	scratch_load_b128 v[186:189], off, off offset:880
	v_add_f64_e32 v[30:31], v[30:31], v[206:207]
	v_add_f64_e32 v[180:181], v[180:181], v[202:203]
	v_fmac_f64_e32 v[204:205], v[6:7], v[168:169]
	v_fma_f64 v[206:207], v[4:5], v[168:169], -v[170:171]
	ds_load_b128 v[4:7], v2 offset:1744
	s_wait_loadcnt_dscnt 0xa01
	v_mul_f64_e32 v[200:201], v[190:191], v[196:197]
	v_mul_f64_e32 v[202:203], v[192:193], v[196:197]
	scratch_load_b128 v[168:171], off, off offset:896
	v_add_f64_e32 v[30:31], v[30:31], v[158:159]
	v_add_f64_e32 v[158:159], v[180:181], v[198:199]
	s_wait_loadcnt_dscnt 0xa00
	v_mul_f64_e32 v[180:181], v[4:5], v[174:175]
	v_mul_f64_e32 v[174:175], v[6:7], v[174:175]
	ds_load_b128 v[196:199], v2 offset:1760
	v_fmac_f64_e32 v[200:201], v[192:193], v[194:195]
	v_fma_f64 v[194:195], v[190:191], v[194:195], -v[202:203]
	scratch_load_b128 v[190:193], off, off offset:912
	v_add_f64_e32 v[30:31], v[30:31], v[206:207]
	v_add_f64_e32 v[158:159], v[158:159], v[204:205]
	v_fmac_f64_e32 v[180:181], v[6:7], v[172:173]
	v_fma_f64 v[206:207], v[4:5], v[172:173], -v[174:175]
	ds_load_b128 v[4:7], v2 offset:1776
	s_wait_loadcnt_dscnt 0xa01
	v_mul_f64_e32 v[204:205], v[196:197], v[10:11]
	v_mul_f64_e32 v[10:11], v[198:199], v[10:11]
	scratch_load_b128 v[172:175], off, off offset:928
	s_wait_loadcnt_dscnt 0xa00
	v_mul_f64_e32 v[208:209], v[4:5], v[14:15]
	v_mul_f64_e32 v[14:15], v[6:7], v[14:15]
	v_add_f64_e32 v[30:31], v[30:31], v[194:195]
	v_add_f64_e32 v[158:159], v[158:159], v[200:201]
	ds_load_b128 v[200:203], v2 offset:1792
	v_fmac_f64_e32 v[204:205], v[198:199], v[8:9]
	v_fma_f64 v[194:195], v[196:197], v[8:9], -v[10:11]
	scratch_load_b128 v[8:11], off, off offset:944
	v_fmac_f64_e32 v[208:209], v[6:7], v[12:13]
	v_fma_f64 v[198:199], v[4:5], v[12:13], -v[14:15]
	ds_load_b128 v[4:7], v2 offset:1808
	scratch_load_b128 v[12:15], off, off offset:960
	v_add_f64_e32 v[30:31], v[30:31], v[206:207]
	v_add_f64_e32 v[158:159], v[158:159], v[180:181]
	s_wait_loadcnt_dscnt 0xb01
	v_mul_f64_e32 v[180:181], v[200:201], v[18:19]
	v_mul_f64_e32 v[18:19], v[202:203], v[18:19]
	s_delay_alu instid0(VALU_DEP_4) | instskip(NEXT) | instid1(VALU_DEP_4)
	v_add_f64_e32 v[30:31], v[30:31], v[194:195]
	v_add_f64_e32 v[158:159], v[158:159], v[204:205]
	s_wait_loadcnt_dscnt 0xa00
	v_mul_f64_e32 v[204:205], v[4:5], v[24:25]
	v_mul_f64_e32 v[24:25], v[6:7], v[24:25]
	v_fmac_f64_e32 v[180:181], v[202:203], v[16:17]
	v_fma_f64 v[200:201], v[200:201], v[16:17], -v[18:19]
	ds_load_b128 v[194:197], v2 offset:1824
	scratch_load_b128 v[16:19], off, off offset:976
	v_add_f64_e32 v[30:31], v[30:31], v[198:199]
	v_add_f64_e32 v[158:159], v[158:159], v[208:209]
	v_fmac_f64_e32 v[204:205], v[6:7], v[22:23]
	v_fma_f64 v[206:207], v[4:5], v[22:23], -v[24:25]
	ds_load_b128 v[4:7], v2 offset:1840
	s_wait_loadcnt_dscnt 0xa01
	v_mul_f64_e32 v[198:199], v[194:195], v[178:179]
	v_mul_f64_e32 v[202:203], v[196:197], v[178:179]
	scratch_load_b128 v[22:25], off, off offset:992
	v_add_f64_e32 v[30:31], v[30:31], v[200:201]
	v_add_f64_e32 v[158:159], v[158:159], v[180:181]
	s_wait_loadcnt_dscnt 0xa00
	v_mul_f64_e32 v[200:201], v[4:5], v[28:29]
	v_mul_f64_e32 v[28:29], v[6:7], v[28:29]
	ds_load_b128 v[178:181], v2 offset:1856
	v_fmac_f64_e32 v[198:199], v[196:197], v[176:177]
	v_fma_f64 v[176:177], v[194:195], v[176:177], -v[202:203]
	v_add_f64_e32 v[30:31], v[30:31], v[206:207]
	v_add_f64_e32 v[158:159], v[158:159], v[204:205]
	s_wait_loadcnt_dscnt 0x900
	v_mul_f64_e32 v[194:195], v[178:179], v[166:167]
	v_mul_f64_e32 v[166:167], v[180:181], v[166:167]
	v_fmac_f64_e32 v[200:201], v[6:7], v[26:27]
	v_fma_f64 v[196:197], v[4:5], v[26:27], -v[28:29]
	ds_load_b128 v[4:7], v2 offset:1872
	ds_load_b128 v[26:29], v2 offset:1888
	v_add_f64_e32 v[30:31], v[30:31], v[176:177]
	v_add_f64_e32 v[158:159], v[158:159], v[198:199]
	s_wait_loadcnt_dscnt 0x801
	v_mul_f64_e32 v[176:177], v[4:5], v[162:163]
	v_mul_f64_e32 v[162:163], v[6:7], v[162:163]
	v_fmac_f64_e32 v[194:195], v[180:181], v[164:165]
	v_fma_f64 v[164:165], v[178:179], v[164:165], -v[166:167]
	s_wait_loadcnt_dscnt 0x700
	v_mul_f64_e32 v[166:167], v[26:27], v[188:189]
	v_mul_f64_e32 v[178:179], v[28:29], v[188:189]
	v_add_f64_e32 v[30:31], v[30:31], v[196:197]
	v_add_f64_e32 v[158:159], v[158:159], v[200:201]
	v_fmac_f64_e32 v[176:177], v[6:7], v[160:161]
	v_fma_f64 v[162:163], v[4:5], v[160:161], -v[162:163]
	v_fmac_f64_e32 v[166:167], v[28:29], v[186:187]
	v_fma_f64 v[26:27], v[26:27], v[186:187], -v[178:179]
	v_add_f64_e32 v[30:31], v[30:31], v[164:165]
	v_add_f64_e32 v[164:165], v[158:159], v[194:195]
	ds_load_b128 v[4:7], v2 offset:1904
	ds_load_b128 v[158:161], v2 offset:1920
	s_wait_loadcnt_dscnt 0x601
	v_mul_f64_e32 v[180:181], v[4:5], v[170:171]
	v_mul_f64_e32 v[170:171], v[6:7], v[170:171]
	v_add_f64_e32 v[28:29], v[30:31], v[162:163]
	v_add_f64_e32 v[30:31], v[164:165], v[176:177]
	s_wait_loadcnt_dscnt 0x500
	v_mul_f64_e32 v[162:163], v[158:159], v[192:193]
	v_mul_f64_e32 v[164:165], v[160:161], v[192:193]
	v_fmac_f64_e32 v[180:181], v[6:7], v[168:169]
	v_fma_f64 v[168:169], v[4:5], v[168:169], -v[170:171]
	v_add_f64_e32 v[170:171], v[28:29], v[26:27]
	v_add_f64_e32 v[30:31], v[30:31], v[166:167]
	ds_load_b128 v[4:7], v2 offset:1936
	ds_load_b128 v[26:29], v2 offset:1952
	v_fmac_f64_e32 v[162:163], v[160:161], v[190:191]
	v_fma_f64 v[158:159], v[158:159], v[190:191], -v[164:165]
	s_wait_loadcnt_dscnt 0x401
	v_mul_f64_e32 v[166:167], v[4:5], v[174:175]
	v_mul_f64_e32 v[174:175], v[6:7], v[174:175]
	s_wait_loadcnt_dscnt 0x300
	v_mul_f64_e32 v[164:165], v[26:27], v[10:11]
	v_mul_f64_e32 v[10:11], v[28:29], v[10:11]
	v_add_f64_e32 v[160:161], v[170:171], v[168:169]
	v_add_f64_e32 v[30:31], v[30:31], v[180:181]
	v_fmac_f64_e32 v[166:167], v[6:7], v[172:173]
	v_fma_f64 v[168:169], v[4:5], v[172:173], -v[174:175]
	v_fmac_f64_e32 v[164:165], v[28:29], v[8:9]
	v_fma_f64 v[8:9], v[26:27], v[8:9], -v[10:11]
	v_add_f64_e32 v[170:171], v[160:161], v[158:159]
	v_add_f64_e32 v[30:31], v[30:31], v[162:163]
	ds_load_b128 v[4:7], v2 offset:1968
	ds_load_b128 v[158:161], v2 offset:1984
	s_wait_loadcnt_dscnt 0x201
	v_mul_f64_e32 v[162:163], v[4:5], v[14:15]
	v_mul_f64_e32 v[14:15], v[6:7], v[14:15]
	s_wait_loadcnt_dscnt 0x100
	v_mul_f64_e32 v[28:29], v[158:159], v[18:19]
	v_mul_f64_e32 v[18:19], v[160:161], v[18:19]
	v_add_f64_e32 v[10:11], v[170:171], v[168:169]
	v_add_f64_e32 v[26:27], v[30:31], v[166:167]
	v_fmac_f64_e32 v[162:163], v[6:7], v[12:13]
	v_fma_f64 v[12:13], v[4:5], v[12:13], -v[14:15]
	ds_load_b128 v[4:7], v2 offset:2000
	v_fmac_f64_e32 v[28:29], v[160:161], v[16:17]
	v_fma_f64 v[16:17], v[158:159], v[16:17], -v[18:19]
	v_add_f64_e32 v[8:9], v[10:11], v[8:9]
	v_add_f64_e32 v[10:11], v[26:27], v[164:165]
	s_wait_loadcnt_dscnt 0x0
	v_mul_f64_e32 v[14:15], v[4:5], v[24:25]
	v_mul_f64_e32 v[24:25], v[6:7], v[24:25]
	s_delay_alu instid0(VALU_DEP_4) | instskip(NEXT) | instid1(VALU_DEP_4)
	v_add_f64_e32 v[8:9], v[8:9], v[12:13]
	v_add_f64_e32 v[10:11], v[10:11], v[162:163]
	s_delay_alu instid0(VALU_DEP_4) | instskip(NEXT) | instid1(VALU_DEP_4)
	v_fmac_f64_e32 v[14:15], v[6:7], v[22:23]
	v_fma_f64 v[4:5], v[4:5], v[22:23], -v[24:25]
	s_delay_alu instid0(VALU_DEP_4) | instskip(NEXT) | instid1(VALU_DEP_4)
	v_add_f64_e32 v[6:7], v[8:9], v[16:17]
	v_add_f64_e32 v[8:9], v[10:11], v[28:29]
	s_delay_alu instid0(VALU_DEP_2) | instskip(NEXT) | instid1(VALU_DEP_2)
	v_add_f64_e32 v[4:5], v[6:7], v[4:5]
	v_add_f64_e32 v[6:7], v[8:9], v[14:15]
	s_delay_alu instid0(VALU_DEP_2) | instskip(NEXT) | instid1(VALU_DEP_2)
	v_add_f64_e64 v[4:5], v[182:183], -v[4:5]
	v_add_f64_e64 v[6:7], v[184:185], -v[6:7]
	scratch_store_b128 off, v[4:7], off offset:144
	s_wait_xcnt 0x0
	v_cmpx_lt_u32_e32 8, v1
	s_cbranch_execz .LBB126_387
; %bb.386:
	scratch_load_b128 v[6:9], off, s73
	v_dual_mov_b32 v3, v2 :: v_dual_mov_b32 v4, v2
	v_mov_b32_e32 v5, v2
	scratch_store_b128 off, v[2:5], off offset:128
	s_wait_loadcnt 0x0
	ds_store_b128 v20, v[6:9]
.LBB126_387:
	s_wait_xcnt 0x0
	s_or_b32 exec_lo, exec_lo, s2
	s_wait_storecnt_dscnt 0x0
	s_barrier_signal -1
	s_barrier_wait -1
	s_clause 0x9
	scratch_load_b128 v[4:7], off, off offset:144
	scratch_load_b128 v[8:11], off, off offset:160
	;; [unrolled: 1-line block ×10, first 2 shown]
	ds_load_b128 v[174:177], v2 offset:1152
	ds_load_b128 v[182:185], v2 offset:1168
	s_clause 0x2
	scratch_load_b128 v[178:181], off, off offset:304
	scratch_load_b128 v[186:189], off, off offset:128
	;; [unrolled: 1-line block ×3, first 2 shown]
	s_mov_b32 s2, exec_lo
	s_wait_loadcnt_dscnt 0xc01
	v_mul_f64_e32 v[30:31], v[176:177], v[6:7]
	v_mul_f64_e32 v[198:199], v[174:175], v[6:7]
	s_wait_loadcnt_dscnt 0xb00
	v_mul_f64_e32 v[200:201], v[182:183], v[10:11]
	v_mul_f64_e32 v[10:11], v[184:185], v[10:11]
	s_delay_alu instid0(VALU_DEP_4) | instskip(NEXT) | instid1(VALU_DEP_4)
	v_fma_f64 v[30:31], v[174:175], v[4:5], -v[30:31]
	v_fmac_f64_e32 v[198:199], v[176:177], v[4:5]
	ds_load_b128 v[4:7], v2 offset:1184
	ds_load_b128 v[174:177], v2 offset:1200
	scratch_load_b128 v[194:197], off, off offset:336
	v_fmac_f64_e32 v[200:201], v[184:185], v[8:9]
	v_fma_f64 v[182:183], v[182:183], v[8:9], -v[10:11]
	scratch_load_b128 v[8:11], off, off offset:352
	s_wait_loadcnt_dscnt 0xc01
	v_mul_f64_e32 v[202:203], v[4:5], v[14:15]
	v_mul_f64_e32 v[14:15], v[6:7], v[14:15]
	v_add_f64_e32 v[30:31], 0, v[30:31]
	v_add_f64_e32 v[184:185], 0, v[198:199]
	s_wait_loadcnt_dscnt 0xb00
	v_mul_f64_e32 v[198:199], v[174:175], v[18:19]
	v_mul_f64_e32 v[18:19], v[176:177], v[18:19]
	v_fmac_f64_e32 v[202:203], v[6:7], v[12:13]
	v_fma_f64 v[204:205], v[4:5], v[12:13], -v[14:15]
	ds_load_b128 v[4:7], v2 offset:1216
	ds_load_b128 v[12:15], v2 offset:1232
	v_add_f64_e32 v[30:31], v[30:31], v[182:183]
	v_add_f64_e32 v[200:201], v[184:185], v[200:201]
	scratch_load_b128 v[182:185], off, off offset:368
	v_fmac_f64_e32 v[198:199], v[176:177], v[16:17]
	v_fma_f64 v[174:175], v[174:175], v[16:17], -v[18:19]
	scratch_load_b128 v[16:19], off, off offset:384
	s_wait_loadcnt_dscnt 0xc01
	v_mul_f64_e32 v[206:207], v[4:5], v[24:25]
	v_mul_f64_e32 v[24:25], v[6:7], v[24:25]
	v_add_f64_e32 v[30:31], v[30:31], v[204:205]
	v_add_f64_e32 v[176:177], v[200:201], v[202:203]
	s_wait_loadcnt_dscnt 0xb00
	v_mul_f64_e32 v[200:201], v[12:13], v[28:29]
	v_mul_f64_e32 v[202:203], v[14:15], v[28:29]
	v_fmac_f64_e32 v[206:207], v[6:7], v[22:23]
	v_fma_f64 v[204:205], v[4:5], v[22:23], -v[24:25]
	ds_load_b128 v[4:7], v2 offset:1248
	ds_load_b128 v[22:25], v2 offset:1264
	v_add_f64_e32 v[174:175], v[30:31], v[174:175]
	v_add_f64_e32 v[176:177], v[176:177], v[198:199]
	scratch_load_b128 v[28:31], off, off offset:400
	s_wait_loadcnt_dscnt 0xb01
	v_mul_f64_e32 v[198:199], v[4:5], v[160:161]
	v_mul_f64_e32 v[160:161], v[6:7], v[160:161]
	v_fmac_f64_e32 v[200:201], v[14:15], v[26:27]
	v_fma_f64 v[26:27], v[12:13], v[26:27], -v[202:203]
	scratch_load_b128 v[12:15], off, off offset:416
	s_wait_loadcnt_dscnt 0xb00
	v_mul_f64_e32 v[202:203], v[22:23], v[164:165]
	v_mul_f64_e32 v[164:165], v[24:25], v[164:165]
	v_add_f64_e32 v[174:175], v[174:175], v[204:205]
	v_add_f64_e32 v[176:177], v[176:177], v[206:207]
	v_fmac_f64_e32 v[198:199], v[6:7], v[158:159]
	v_fma_f64 v[204:205], v[4:5], v[158:159], -v[160:161]
	ds_load_b128 v[4:7], v2 offset:1280
	ds_load_b128 v[158:161], v2 offset:1296
	v_fmac_f64_e32 v[202:203], v[24:25], v[162:163]
	v_fma_f64 v[162:163], v[22:23], v[162:163], -v[164:165]
	scratch_load_b128 v[22:25], off, off offset:448
	s_wait_loadcnt_dscnt 0xb01
	v_mul_f64_e32 v[206:207], v[4:5], v[168:169]
	v_mul_f64_e32 v[168:169], v[6:7], v[168:169]
	v_add_f64_e32 v[26:27], v[174:175], v[26:27]
	v_add_f64_e32 v[200:201], v[176:177], v[200:201]
	scratch_load_b128 v[174:177], off, off offset:432
	v_fmac_f64_e32 v[206:207], v[6:7], v[166:167]
	v_add_f64_e32 v[26:27], v[26:27], v[204:205]
	v_add_f64_e32 v[164:165], v[200:201], v[198:199]
	s_wait_loadcnt_dscnt 0xb00
	v_mul_f64_e32 v[198:199], v[158:159], v[172:173]
	v_mul_f64_e32 v[172:173], v[160:161], v[172:173]
	v_fma_f64 v[200:201], v[4:5], v[166:167], -v[168:169]
	v_add_f64_e32 v[26:27], v[26:27], v[162:163]
	v_add_f64_e32 v[202:203], v[164:165], v[202:203]
	ds_load_b128 v[4:7], v2 offset:1312
	ds_load_b128 v[162:165], v2 offset:1328
	scratch_load_b128 v[166:169], off, off offset:464
	v_fmac_f64_e32 v[198:199], v[160:161], v[170:171]
	v_fma_f64 v[170:171], v[158:159], v[170:171], -v[172:173]
	scratch_load_b128 v[158:161], off, off offset:480
	s_wait_loadcnt_dscnt 0xc01
	v_mul_f64_e32 v[204:205], v[4:5], v[180:181]
	v_mul_f64_e32 v[180:181], v[6:7], v[180:181]
	v_add_f64_e32 v[26:27], v[26:27], v[200:201]
	v_add_f64_e32 v[172:173], v[202:203], v[206:207]
	s_wait_loadcnt_dscnt 0xa00
	v_mul_f64_e32 v[200:201], v[162:163], v[192:193]
	v_mul_f64_e32 v[192:193], v[164:165], v[192:193]
	v_fmac_f64_e32 v[204:205], v[6:7], v[178:179]
	v_fma_f64 v[202:203], v[4:5], v[178:179], -v[180:181]
	v_add_f64_e32 v[26:27], v[26:27], v[170:171]
	v_add_f64_e32 v[198:199], v[172:173], v[198:199]
	ds_load_b128 v[4:7], v2 offset:1344
	ds_load_b128 v[170:173], v2 offset:1360
	scratch_load_b128 v[178:181], off, off offset:496
	v_fmac_f64_e32 v[200:201], v[164:165], v[190:191]
	v_fma_f64 v[190:191], v[162:163], v[190:191], -v[192:193]
	scratch_load_b128 v[162:165], off, off offset:512
	s_wait_loadcnt_dscnt 0xb01
	v_mul_f64_e32 v[206:207], v[4:5], v[196:197]
	v_mul_f64_e32 v[196:197], v[6:7], v[196:197]
	v_add_f64_e32 v[26:27], v[26:27], v[202:203]
	v_add_f64_e32 v[192:193], v[198:199], v[204:205]
	s_wait_loadcnt_dscnt 0xa00
	v_mul_f64_e32 v[198:199], v[170:171], v[10:11]
	v_mul_f64_e32 v[10:11], v[172:173], v[10:11]
	v_fmac_f64_e32 v[206:207], v[6:7], v[194:195]
	;; [unrolled: 18-line block ×4, first 2 shown]
	v_fma_f64 v[30:31], v[4:5], v[28:29], -v[30:31]
	v_add_f64_e32 v[202:203], v[26:27], v[190:191]
	v_add_f64_e32 v[200:201], v[192:193], v[200:201]
	ds_load_b128 v[4:7], v2 offset:1440
	ds_load_b128 v[26:29], v2 offset:1456
	scratch_load_b128 v[190:193], off, off offset:592
	v_fmac_f64_e32 v[198:199], v[172:173], v[12:13]
	v_fma_f64 v[170:171], v[170:171], v[12:13], -v[14:15]
	scratch_load_b128 v[12:15], off, off offset:608
	s_wait_loadcnt_dscnt 0xa01
	v_mul_f64_e32 v[204:205], v[4:5], v[176:177]
	v_mul_f64_e32 v[176:177], v[6:7], v[176:177]
	v_add_f64_e32 v[30:31], v[202:203], v[30:31]
	v_add_f64_e32 v[172:173], v[200:201], v[206:207]
	s_wait_dscnt 0x0
	v_mul_f64_e32 v[200:201], v[26:27], v[24:25]
	v_mul_f64_e32 v[24:25], v[28:29], v[24:25]
	v_fmac_f64_e32 v[204:205], v[6:7], v[174:175]
	v_fma_f64 v[202:203], v[4:5], v[174:175], -v[176:177]
	v_add_f64_e32 v[30:31], v[30:31], v[170:171]
	v_add_f64_e32 v[198:199], v[172:173], v[198:199]
	ds_load_b128 v[4:7], v2 offset:1472
	ds_load_b128 v[170:173], v2 offset:1488
	scratch_load_b128 v[174:177], off, off offset:624
	v_fmac_f64_e32 v[200:201], v[28:29], v[22:23]
	v_fma_f64 v[26:27], v[26:27], v[22:23], -v[24:25]
	scratch_load_b128 v[22:25], off, off offset:640
	s_wait_loadcnt_dscnt 0xb01
	v_mul_f64_e32 v[206:207], v[4:5], v[168:169]
	v_mul_f64_e32 v[168:169], v[6:7], v[168:169]
	v_add_f64_e32 v[28:29], v[30:31], v[202:203]
	v_add_f64_e32 v[30:31], v[198:199], v[204:205]
	s_wait_loadcnt_dscnt 0xa00
	v_mul_f64_e32 v[198:199], v[170:171], v[160:161]
	v_mul_f64_e32 v[160:161], v[172:173], v[160:161]
	v_fmac_f64_e32 v[206:207], v[6:7], v[166:167]
	v_fma_f64 v[202:203], v[4:5], v[166:167], -v[168:169]
	v_add_f64_e32 v[204:205], v[28:29], v[26:27]
	v_add_f64_e32 v[30:31], v[30:31], v[200:201]
	ds_load_b128 v[4:7], v2 offset:1504
	ds_load_b128 v[26:29], v2 offset:1520
	scratch_load_b128 v[166:169], off, off offset:656
	v_fmac_f64_e32 v[198:199], v[172:173], v[158:159]
	v_fma_f64 v[170:171], v[170:171], v[158:159], -v[160:161]
	scratch_load_b128 v[158:161], off, off offset:672
	s_wait_loadcnt_dscnt 0xb01
	v_mul_f64_e32 v[200:201], v[4:5], v[180:181]
	v_mul_f64_e32 v[180:181], v[6:7], v[180:181]
	v_add_f64_e32 v[172:173], v[204:205], v[202:203]
	v_add_f64_e32 v[30:31], v[30:31], v[206:207]
	s_wait_loadcnt_dscnt 0xa00
	;; [unrolled: 18-line block ×7, first 2 shown]
	v_mul_f64_e32 v[198:199], v[170:171], v[160:161]
	v_mul_f64_e32 v[204:205], v[172:173], v[160:161]
	v_fmac_f64_e32 v[202:203], v[6:7], v[166:167]
	v_fma_f64 v[168:169], v[4:5], v[166:167], -v[168:169]
	v_add_f64_e32 v[206:207], v[164:165], v[162:163]
	v_add_f64_e32 v[30:31], v[30:31], v[200:201]
	ds_load_b128 v[4:7], v2 offset:1696
	ds_load_b128 v[160:163], v2 offset:1712
	scratch_load_b128 v[164:167], off, off offset:848
	v_fmac_f64_e32 v[198:199], v[172:173], v[158:159]
	v_fma_f64 v[158:159], v[170:171], v[158:159], -v[204:205]
	s_wait_loadcnt_dscnt 0xa01
	v_mul_f64_e32 v[200:201], v[4:5], v[180:181]
	v_mul_f64_e32 v[180:181], v[6:7], v[180:181]
	s_wait_loadcnt_dscnt 0x900
	v_mul_f64_e32 v[204:205], v[162:163], v[28:29]
	v_add_f64_e32 v[172:173], v[206:207], v[168:169]
	v_add_f64_e32 v[30:31], v[30:31], v[202:203]
	scratch_load_b128 v[168:171], off, off offset:864
	v_mul_f64_e32 v[202:203], v[160:161], v[28:29]
	v_fmac_f64_e32 v[200:201], v[6:7], v[178:179]
	v_fma_f64 v[206:207], v[4:5], v[178:179], -v[180:181]
	v_add_f64_e32 v[158:159], v[172:173], v[158:159]
	v_add_f64_e32 v[172:173], v[30:31], v[198:199]
	ds_load_b128 v[4:7], v2 offset:1728
	ds_load_b128 v[28:31], v2 offset:1744
	scratch_load_b128 v[178:181], off, off offset:880
	v_fmac_f64_e32 v[202:203], v[162:163], v[26:27]
	v_fma_f64 v[26:27], v[160:161], v[26:27], -v[204:205]
	s_wait_loadcnt_dscnt 0xa01
	v_mul_f64_e32 v[208:209], v[4:5], v[196:197]
	v_mul_f64_e32 v[196:197], v[6:7], v[196:197]
	s_wait_loadcnt_dscnt 0x900
	v_mul_f64_e32 v[204:205], v[28:29], v[10:11]
	v_mul_f64_e32 v[10:11], v[30:31], v[10:11]
	v_add_f64_e32 v[162:163], v[158:159], v[206:207]
	v_add_f64_e32 v[172:173], v[172:173], v[200:201]
	scratch_load_b128 v[158:161], off, off offset:896
	v_fmac_f64_e32 v[208:209], v[6:7], v[194:195]
	v_fma_f64 v[206:207], v[4:5], v[194:195], -v[196:197]
	ds_load_b128 v[4:7], v2 offset:1760
	ds_load_b128 v[194:197], v2 offset:1776
	scratch_load_b128 v[198:201], off, off offset:912
	v_fmac_f64_e32 v[204:205], v[30:31], v[8:9]
	v_fma_f64 v[28:29], v[28:29], v[8:9], -v[10:11]
	scratch_load_b128 v[8:11], off, off offset:928
	v_add_f64_e32 v[26:27], v[162:163], v[26:27]
	v_add_f64_e32 v[162:163], v[172:173], v[202:203]
	s_wait_loadcnt_dscnt 0xb01
	v_mul_f64_e32 v[172:173], v[4:5], v[184:185]
	v_mul_f64_e32 v[184:185], v[6:7], v[184:185]
	s_delay_alu instid0(VALU_DEP_4) | instskip(NEXT) | instid1(VALU_DEP_4)
	v_add_f64_e32 v[26:27], v[26:27], v[206:207]
	v_add_f64_e32 v[30:31], v[162:163], v[208:209]
	s_wait_loadcnt_dscnt 0xa00
	v_mul_f64_e32 v[162:163], v[194:195], v[18:19]
	v_mul_f64_e32 v[18:19], v[196:197], v[18:19]
	v_fmac_f64_e32 v[172:173], v[6:7], v[182:183]
	v_fma_f64 v[202:203], v[4:5], v[182:183], -v[184:185]
	v_add_f64_e32 v[206:207], v[26:27], v[28:29]
	v_add_f64_e32 v[30:31], v[30:31], v[204:205]
	ds_load_b128 v[4:7], v2 offset:1792
	ds_load_b128 v[26:29], v2 offset:1808
	scratch_load_b128 v[182:185], off, off offset:944
	v_fmac_f64_e32 v[162:163], v[196:197], v[16:17]
	v_fma_f64 v[194:195], v[194:195], v[16:17], -v[18:19]
	scratch_load_b128 v[16:19], off, off offset:960
	s_wait_loadcnt_dscnt 0xb01
	v_mul_f64_e32 v[204:205], v[4:5], v[192:193]
	v_mul_f64_e32 v[192:193], v[6:7], v[192:193]
	v_add_f64_e32 v[196:197], v[206:207], v[202:203]
	v_add_f64_e32 v[30:31], v[30:31], v[172:173]
	s_wait_loadcnt_dscnt 0xa00
	v_mul_f64_e32 v[172:173], v[26:27], v[14:15]
	v_mul_f64_e32 v[14:15], v[28:29], v[14:15]
	v_fmac_f64_e32 v[204:205], v[6:7], v[190:191]
	v_fma_f64 v[202:203], v[4:5], v[190:191], -v[192:193]
	ds_load_b128 v[4:7], v2 offset:1824
	ds_load_b128 v[190:193], v2 offset:1840
	v_add_f64_e32 v[206:207], v[196:197], v[194:195]
	v_add_f64_e32 v[30:31], v[30:31], v[162:163]
	scratch_load_b128 v[194:197], off, off offset:976
	v_fmac_f64_e32 v[172:173], v[28:29], v[12:13]
	v_fma_f64 v[26:27], v[26:27], v[12:13], -v[14:15]
	scratch_load_b128 v[12:15], off, off offset:992
	s_wait_loadcnt_dscnt 0xb01
	v_mul_f64_e32 v[162:163], v[4:5], v[176:177]
	v_mul_f64_e32 v[176:177], v[6:7], v[176:177]
	v_add_f64_e32 v[28:29], v[206:207], v[202:203]
	v_add_f64_e32 v[30:31], v[30:31], v[204:205]
	s_wait_loadcnt_dscnt 0xa00
	v_mul_f64_e32 v[202:203], v[190:191], v[24:25]
	v_mul_f64_e32 v[204:205], v[192:193], v[24:25]
	v_fmac_f64_e32 v[162:163], v[6:7], v[174:175]
	v_fma_f64 v[174:175], v[4:5], v[174:175], -v[176:177]
	v_add_f64_e32 v[28:29], v[28:29], v[26:27]
	v_add_f64_e32 v[30:31], v[30:31], v[172:173]
	ds_load_b128 v[4:7], v2 offset:1856
	ds_load_b128 v[24:27], v2 offset:1872
	v_fmac_f64_e32 v[202:203], v[192:193], v[22:23]
	v_fma_f64 v[22:23], v[190:191], v[22:23], -v[204:205]
	s_wait_loadcnt_dscnt 0x901
	v_mul_f64_e32 v[172:173], v[4:5], v[166:167]
	v_mul_f64_e32 v[166:167], v[6:7], v[166:167]
	v_add_f64_e32 v[28:29], v[28:29], v[174:175]
	v_add_f64_e32 v[30:31], v[30:31], v[162:163]
	s_wait_loadcnt_dscnt 0x800
	v_mul_f64_e32 v[162:163], v[24:25], v[170:171]
	v_mul_f64_e32 v[170:171], v[26:27], v[170:171]
	v_fmac_f64_e32 v[172:173], v[6:7], v[164:165]
	v_fma_f64 v[164:165], v[4:5], v[164:165], -v[166:167]
	v_add_f64_e32 v[22:23], v[28:29], v[22:23]
	v_add_f64_e32 v[166:167], v[30:31], v[202:203]
	ds_load_b128 v[4:7], v2 offset:1888
	ds_load_b128 v[28:31], v2 offset:1904
	v_fmac_f64_e32 v[162:163], v[26:27], v[168:169]
	v_fma_f64 v[24:25], v[24:25], v[168:169], -v[170:171]
	;; [unrolled: 16-line block ×3, first 2 shown]
	s_wait_loadcnt_dscnt 0x501
	v_mul_f64_e32 v[162:163], v[4:5], v[200:201]
	v_mul_f64_e32 v[170:171], v[6:7], v[200:201]
	s_wait_loadcnt_dscnt 0x400
	v_mul_f64_e32 v[158:159], v[22:23], v[10:11]
	v_mul_f64_e32 v[10:11], v[24:25], v[10:11]
	v_add_f64_e32 v[30:31], v[168:169], v[166:167]
	v_add_f64_e32 v[26:27], v[26:27], v[174:175]
	v_fmac_f64_e32 v[162:163], v[6:7], v[198:199]
	v_fma_f64 v[160:161], v[4:5], v[198:199], -v[170:171]
	v_fmac_f64_e32 v[158:159], v[24:25], v[8:9]
	v_fma_f64 v[8:9], v[22:23], v[8:9], -v[10:11]
	v_add_f64_e32 v[30:31], v[30:31], v[28:29]
	v_add_f64_e32 v[164:165], v[26:27], v[164:165]
	ds_load_b128 v[4:7], v2 offset:1952
	ds_load_b128 v[26:29], v2 offset:1968
	s_wait_loadcnt_dscnt 0x301
	v_mul_f64_e32 v[166:167], v[4:5], v[184:185]
	v_mul_f64_e32 v[168:169], v[6:7], v[184:185]
	s_wait_loadcnt_dscnt 0x200
	v_mul_f64_e32 v[24:25], v[26:27], v[18:19]
	v_mul_f64_e32 v[18:19], v[28:29], v[18:19]
	v_add_f64_e32 v[10:11], v[30:31], v[160:161]
	v_add_f64_e32 v[22:23], v[164:165], v[162:163]
	v_fmac_f64_e32 v[166:167], v[6:7], v[182:183]
	v_fma_f64 v[30:31], v[4:5], v[182:183], -v[168:169]
	v_fmac_f64_e32 v[24:25], v[28:29], v[16:17]
	v_fma_f64 v[16:17], v[26:27], v[16:17], -v[18:19]
	v_add_f64_e32 v[160:161], v[10:11], v[8:9]
	v_add_f64_e32 v[22:23], v[22:23], v[158:159]
	ds_load_b128 v[4:7], v2 offset:1984
	ds_load_b128 v[8:11], v2 offset:2000
	s_wait_loadcnt_dscnt 0x101
	v_mul_f64_e32 v[2:3], v[4:5], v[196:197]
	v_mul_f64_e32 v[158:159], v[6:7], v[196:197]
	s_wait_loadcnt_dscnt 0x0
	v_mul_f64_e32 v[26:27], v[8:9], v[14:15]
	v_mul_f64_e32 v[14:15], v[10:11], v[14:15]
	v_add_f64_e32 v[18:19], v[160:161], v[30:31]
	v_add_f64_e32 v[22:23], v[22:23], v[166:167]
	v_fmac_f64_e32 v[2:3], v[6:7], v[194:195]
	v_fma_f64 v[4:5], v[4:5], v[194:195], -v[158:159]
	v_fmac_f64_e32 v[26:27], v[10:11], v[12:13]
	v_fma_f64 v[8:9], v[8:9], v[12:13], -v[14:15]
	v_add_f64_e32 v[6:7], v[18:19], v[16:17]
	v_add_f64_e32 v[16:17], v[22:23], v[24:25]
	s_delay_alu instid0(VALU_DEP_2) | instskip(NEXT) | instid1(VALU_DEP_2)
	v_add_f64_e32 v[4:5], v[6:7], v[4:5]
	v_add_f64_e32 v[2:3], v[16:17], v[2:3]
	s_delay_alu instid0(VALU_DEP_2) | instskip(NEXT) | instid1(VALU_DEP_2)
	;; [unrolled: 3-line block ×3, first 2 shown]
	v_add_f64_e64 v[2:3], v[186:187], -v[4:5]
	v_add_f64_e64 v[4:5], v[188:189], -v[6:7]
	scratch_store_b128 off, v[2:5], off offset:128
	s_wait_xcnt 0x0
	v_cmpx_lt_u32_e32 7, v1
	s_cbranch_execz .LBB126_389
; %bb.388:
	scratch_load_b128 v[2:5], off, s74
	v_mov_b32_e32 v6, 0
	s_delay_alu instid0(VALU_DEP_1)
	v_dual_mov_b32 v7, v6 :: v_dual_mov_b32 v8, v6
	v_mov_b32_e32 v9, v6
	scratch_store_b128 off, v[6:9], off offset:112
	s_wait_loadcnt 0x0
	ds_store_b128 v20, v[2:5]
.LBB126_389:
	s_wait_xcnt 0x0
	s_or_b32 exec_lo, exec_lo, s2
	s_wait_storecnt_dscnt 0x0
	s_barrier_signal -1
	s_barrier_wait -1
	s_clause 0x9
	scratch_load_b128 v[4:7], off, off offset:128
	scratch_load_b128 v[8:11], off, off offset:144
	;; [unrolled: 1-line block ×10, first 2 shown]
	v_mov_b32_e32 v2, 0
	s_mov_b32 s2, exec_lo
	ds_load_b128 v[174:177], v2 offset:1136
	s_clause 0x2
	scratch_load_b128 v[178:181], off, off offset:288
	scratch_load_b128 v[182:185], off, off offset:112
	;; [unrolled: 1-line block ×3, first 2 shown]
	s_wait_loadcnt_dscnt 0xc00
	v_mul_f64_e32 v[30:31], v[176:177], v[6:7]
	v_mul_f64_e32 v[198:199], v[174:175], v[6:7]
	ds_load_b128 v[186:189], v2 offset:1152
	ds_load_b128 v[194:197], v2 offset:1184
	v_fma_f64 v[30:31], v[174:175], v[4:5], -v[30:31]
	v_fmac_f64_e32 v[198:199], v[176:177], v[4:5]
	ds_load_b128 v[4:7], v2 offset:1168
	s_wait_loadcnt_dscnt 0xb02
	v_mul_f64_e32 v[200:201], v[186:187], v[10:11]
	v_mul_f64_e32 v[10:11], v[188:189], v[10:11]
	scratch_load_b128 v[174:177], off, off offset:320
	s_wait_loadcnt_dscnt 0xb00
	v_mul_f64_e32 v[202:203], v[4:5], v[14:15]
	v_mul_f64_e32 v[14:15], v[6:7], v[14:15]
	v_add_f64_e32 v[30:31], 0, v[30:31]
	v_fmac_f64_e32 v[200:201], v[188:189], v[8:9]
	v_fma_f64 v[186:187], v[186:187], v[8:9], -v[10:11]
	v_add_f64_e32 v[188:189], 0, v[198:199]
	scratch_load_b128 v[8:11], off, off offset:336
	v_fmac_f64_e32 v[202:203], v[6:7], v[12:13]
	v_fma_f64 v[204:205], v[4:5], v[12:13], -v[14:15]
	ds_load_b128 v[4:7], v2 offset:1200
	s_wait_loadcnt 0xb
	v_mul_f64_e32 v[198:199], v[194:195], v[18:19]
	v_mul_f64_e32 v[18:19], v[196:197], v[18:19]
	scratch_load_b128 v[12:15], off, off offset:352
	v_add_f64_e32 v[30:31], v[30:31], v[186:187]
	v_add_f64_e32 v[200:201], v[188:189], v[200:201]
	ds_load_b128 v[186:189], v2 offset:1216
	s_wait_loadcnt_dscnt 0xb01
	v_mul_f64_e32 v[206:207], v[4:5], v[24:25]
	v_mul_f64_e32 v[24:25], v[6:7], v[24:25]
	v_fmac_f64_e32 v[198:199], v[196:197], v[16:17]
	v_fma_f64 v[194:195], v[194:195], v[16:17], -v[18:19]
	scratch_load_b128 v[16:19], off, off offset:368
	v_add_f64_e32 v[30:31], v[30:31], v[204:205]
	v_add_f64_e32 v[196:197], v[200:201], v[202:203]
	v_fmac_f64_e32 v[206:207], v[6:7], v[22:23]
	v_fma_f64 v[204:205], v[4:5], v[22:23], -v[24:25]
	ds_load_b128 v[4:7], v2 offset:1232
	s_wait_loadcnt_dscnt 0xb01
	v_mul_f64_e32 v[200:201], v[186:187], v[28:29]
	v_mul_f64_e32 v[202:203], v[188:189], v[28:29]
	scratch_load_b128 v[22:25], off, off offset:384
	v_add_f64_e32 v[194:195], v[30:31], v[194:195]
	v_add_f64_e32 v[196:197], v[196:197], v[198:199]
	s_wait_loadcnt_dscnt 0xb00
	v_mul_f64_e32 v[198:199], v[4:5], v[160:161]
	v_mul_f64_e32 v[160:161], v[6:7], v[160:161]
	ds_load_b128 v[28:31], v2 offset:1248
	v_fmac_f64_e32 v[200:201], v[188:189], v[26:27]
	v_fma_f64 v[26:27], v[186:187], v[26:27], -v[202:203]
	scratch_load_b128 v[186:189], off, off offset:400
	v_add_f64_e32 v[194:195], v[194:195], v[204:205]
	v_add_f64_e32 v[196:197], v[196:197], v[206:207]
	v_fmac_f64_e32 v[198:199], v[6:7], v[158:159]
	v_fma_f64 v[204:205], v[4:5], v[158:159], -v[160:161]
	ds_load_b128 v[4:7], v2 offset:1264
	s_wait_loadcnt_dscnt 0xb01
	v_mul_f64_e32 v[202:203], v[28:29], v[164:165]
	v_mul_f64_e32 v[164:165], v[30:31], v[164:165]
	scratch_load_b128 v[158:161], off, off offset:416
	s_wait_loadcnt_dscnt 0xb00
	v_mul_f64_e32 v[206:207], v[4:5], v[168:169]
	v_mul_f64_e32 v[168:169], v[6:7], v[168:169]
	v_add_f64_e32 v[26:27], v[194:195], v[26:27]
	v_add_f64_e32 v[200:201], v[196:197], v[200:201]
	ds_load_b128 v[194:197], v2 offset:1280
	v_fmac_f64_e32 v[202:203], v[30:31], v[162:163]
	v_fma_f64 v[30:31], v[28:29], v[162:163], -v[164:165]
	v_fmac_f64_e32 v[206:207], v[6:7], v[166:167]
	v_add_f64_e32 v[162:163], v[26:27], v[204:205]
	v_add_f64_e32 v[164:165], v[200:201], v[198:199]
	scratch_load_b128 v[26:29], off, off offset:432
	v_fma_f64 v[200:201], v[4:5], v[166:167], -v[168:169]
	ds_load_b128 v[4:7], v2 offset:1296
	s_wait_loadcnt_dscnt 0xb01
	v_mul_f64_e32 v[198:199], v[194:195], v[172:173]
	v_mul_f64_e32 v[172:173], v[196:197], v[172:173]
	ds_load_b128 v[166:169], v2 offset:1312
	s_wait_loadcnt_dscnt 0xa01
	v_mul_f64_e32 v[204:205], v[4:5], v[180:181]
	v_mul_f64_e32 v[180:181], v[6:7], v[180:181]
	v_add_f64_e32 v[30:31], v[162:163], v[30:31]
	v_add_f64_e32 v[202:203], v[164:165], v[202:203]
	scratch_load_b128 v[162:165], off, off offset:448
	v_fmac_f64_e32 v[198:199], v[196:197], v[170:171]
	v_fma_f64 v[194:195], v[194:195], v[170:171], -v[172:173]
	scratch_load_b128 v[170:173], off, off offset:464
	v_fmac_f64_e32 v[204:205], v[6:7], v[178:179]
	v_add_f64_e32 v[30:31], v[30:31], v[200:201]
	v_add_f64_e32 v[196:197], v[202:203], v[206:207]
	v_fma_f64 v[206:207], v[4:5], v[178:179], -v[180:181]
	ds_load_b128 v[4:7], v2 offset:1328
	s_wait_loadcnt_dscnt 0xa01
	v_mul_f64_e32 v[200:201], v[166:167], v[192:193]
	v_mul_f64_e32 v[202:203], v[168:169], v[192:193]
	scratch_load_b128 v[178:181], off, off offset:480
	v_add_f64_e32 v[30:31], v[30:31], v[194:195]
	v_add_f64_e32 v[196:197], v[196:197], v[198:199]
	s_wait_loadcnt_dscnt 0xa00
	v_mul_f64_e32 v[208:209], v[4:5], v[176:177]
	v_mul_f64_e32 v[176:177], v[6:7], v[176:177]
	v_fmac_f64_e32 v[200:201], v[168:169], v[190:191]
	v_fma_f64 v[190:191], v[166:167], v[190:191], -v[202:203]
	ds_load_b128 v[192:195], v2 offset:1344
	scratch_load_b128 v[166:169], off, off offset:496
	v_add_f64_e32 v[30:31], v[30:31], v[206:207]
	v_add_f64_e32 v[196:197], v[196:197], v[204:205]
	v_fmac_f64_e32 v[208:209], v[6:7], v[174:175]
	v_fma_f64 v[204:205], v[4:5], v[174:175], -v[176:177]
	ds_load_b128 v[4:7], v2 offset:1360
	s_wait_loadcnt_dscnt 0xa01
	v_mul_f64_e32 v[202:203], v[192:193], v[10:11]
	v_mul_f64_e32 v[10:11], v[194:195], v[10:11]
	scratch_load_b128 v[174:177], off, off offset:512
	v_add_f64_e32 v[30:31], v[30:31], v[190:191]
	v_add_f64_e32 v[190:191], v[196:197], v[200:201]
	s_wait_loadcnt_dscnt 0xa00
	v_mul_f64_e32 v[200:201], v[4:5], v[14:15]
	v_mul_f64_e32 v[14:15], v[6:7], v[14:15]
	ds_load_b128 v[196:199], v2 offset:1376
	v_fmac_f64_e32 v[202:203], v[194:195], v[8:9]
	v_fma_f64 v[192:193], v[192:193], v[8:9], -v[10:11]
	scratch_load_b128 v[8:11], off, off offset:528
	v_add_f64_e32 v[30:31], v[30:31], v[204:205]
	v_add_f64_e32 v[190:191], v[190:191], v[208:209]
	v_fmac_f64_e32 v[200:201], v[6:7], v[12:13]
	v_fma_f64 v[204:205], v[4:5], v[12:13], -v[14:15]
	ds_load_b128 v[4:7], v2 offset:1392
	s_wait_loadcnt_dscnt 0xa01
	v_mul_f64_e32 v[194:195], v[196:197], v[18:19]
	v_mul_f64_e32 v[18:19], v[198:199], v[18:19]
	scratch_load_b128 v[12:15], off, off offset:544
	s_wait_loadcnt_dscnt 0xa00
	v_mul_f64_e32 v[206:207], v[4:5], v[24:25]
	v_mul_f64_e32 v[24:25], v[6:7], v[24:25]
	v_add_f64_e32 v[30:31], v[30:31], v[192:193]
	v_add_f64_e32 v[202:203], v[190:191], v[202:203]
	ds_load_b128 v[190:193], v2 offset:1408
	v_fmac_f64_e32 v[194:195], v[198:199], v[16:17]
	v_fma_f64 v[196:197], v[196:197], v[16:17], -v[18:19]
	scratch_load_b128 v[16:19], off, off offset:560
	v_fmac_f64_e32 v[206:207], v[6:7], v[22:23]
	v_add_f64_e32 v[30:31], v[30:31], v[204:205]
	v_add_f64_e32 v[198:199], v[202:203], v[200:201]
	v_fma_f64 v[202:203], v[4:5], v[22:23], -v[24:25]
	ds_load_b128 v[4:7], v2 offset:1424
	s_wait_loadcnt_dscnt 0xa01
	v_mul_f64_e32 v[200:201], v[190:191], v[188:189]
	v_mul_f64_e32 v[188:189], v[192:193], v[188:189]
	scratch_load_b128 v[22:25], off, off offset:576
	s_wait_loadcnt_dscnt 0xa00
	v_mul_f64_e32 v[204:205], v[4:5], v[160:161]
	v_mul_f64_e32 v[160:161], v[6:7], v[160:161]
	v_add_f64_e32 v[30:31], v[30:31], v[196:197]
	v_add_f64_e32 v[198:199], v[198:199], v[194:195]
	ds_load_b128 v[194:197], v2 offset:1440
	v_fmac_f64_e32 v[200:201], v[192:193], v[186:187]
	v_fma_f64 v[190:191], v[190:191], v[186:187], -v[188:189]
	scratch_load_b128 v[186:189], off, off offset:592
	v_fmac_f64_e32 v[204:205], v[6:7], v[158:159]
	v_add_f64_e32 v[30:31], v[30:31], v[202:203]
	v_add_f64_e32 v[192:193], v[198:199], v[206:207]
	v_fma_f64 v[206:207], v[4:5], v[158:159], -v[160:161]
	ds_load_b128 v[4:7], v2 offset:1456
	s_wait_loadcnt_dscnt 0xa01
	v_mul_f64_e32 v[198:199], v[194:195], v[28:29]
	v_mul_f64_e32 v[202:203], v[196:197], v[28:29]
	ds_load_b128 v[158:161], v2 offset:1472
	v_add_f64_e32 v[190:191], v[30:31], v[190:191]
	v_add_f64_e32 v[192:193], v[192:193], v[200:201]
	scratch_load_b128 v[28:31], off, off offset:608
	s_wait_loadcnt_dscnt 0xa01
	v_mul_f64_e32 v[200:201], v[4:5], v[164:165]
	v_mul_f64_e32 v[164:165], v[6:7], v[164:165]
	v_fmac_f64_e32 v[198:199], v[196:197], v[26:27]
	v_fma_f64 v[26:27], v[194:195], v[26:27], -v[202:203]
	v_add_f64_e32 v[194:195], v[190:191], v[206:207]
	v_add_f64_e32 v[196:197], v[192:193], v[204:205]
	scratch_load_b128 v[190:193], off, off offset:624
	v_fmac_f64_e32 v[200:201], v[6:7], v[162:163]
	v_fma_f64 v[204:205], v[4:5], v[162:163], -v[164:165]
	ds_load_b128 v[4:7], v2 offset:1488
	s_wait_loadcnt_dscnt 0xa01
	v_mul_f64_e32 v[202:203], v[158:159], v[172:173]
	v_mul_f64_e32 v[172:173], v[160:161], v[172:173]
	scratch_load_b128 v[162:165], off, off offset:640
	s_wait_loadcnt_dscnt 0xa00
	v_mul_f64_e32 v[206:207], v[4:5], v[180:181]
	v_mul_f64_e32 v[180:181], v[6:7], v[180:181]
	v_add_f64_e32 v[26:27], v[194:195], v[26:27]
	v_add_f64_e32 v[198:199], v[196:197], v[198:199]
	ds_load_b128 v[194:197], v2 offset:1504
	v_fmac_f64_e32 v[202:203], v[160:161], v[170:171]
	v_fma_f64 v[170:171], v[158:159], v[170:171], -v[172:173]
	scratch_load_b128 v[158:161], off, off offset:656
	v_fmac_f64_e32 v[206:207], v[6:7], v[178:179]
	v_add_f64_e32 v[26:27], v[26:27], v[204:205]
	v_add_f64_e32 v[172:173], v[198:199], v[200:201]
	v_fma_f64 v[204:205], v[4:5], v[178:179], -v[180:181]
	ds_load_b128 v[4:7], v2 offset:1520
	s_wait_loadcnt_dscnt 0xa01
	v_mul_f64_e32 v[198:199], v[194:195], v[168:169]
	v_mul_f64_e32 v[200:201], v[196:197], v[168:169]
	ds_load_b128 v[178:181], v2 offset:1536
	v_add_f64_e32 v[26:27], v[26:27], v[170:171]
	v_add_f64_e32 v[172:173], v[172:173], v[202:203]
	scratch_load_b128 v[168:171], off, off offset:672
	s_wait_loadcnt_dscnt 0xa01
	v_mul_f64_e32 v[202:203], v[4:5], v[176:177]
	v_mul_f64_e32 v[176:177], v[6:7], v[176:177]
	v_fmac_f64_e32 v[198:199], v[196:197], v[166:167]
	v_fma_f64 v[166:167], v[194:195], v[166:167], -v[200:201]
	scratch_load_b128 v[194:197], off, off offset:688
	v_add_f64_e32 v[26:27], v[26:27], v[204:205]
	v_add_f64_e32 v[172:173], v[172:173], v[206:207]
	v_fmac_f64_e32 v[202:203], v[6:7], v[174:175]
	v_fma_f64 v[176:177], v[4:5], v[174:175], -v[176:177]
	ds_load_b128 v[4:7], v2 offset:1552
	s_wait_loadcnt_dscnt 0xa01
	v_mul_f64_e32 v[204:205], v[178:179], v[10:11]
	v_mul_f64_e32 v[10:11], v[180:181], v[10:11]
	s_wait_loadcnt_dscnt 0x900
	v_mul_f64_e32 v[206:207], v[4:5], v[14:15]
	v_mul_f64_e32 v[14:15], v[6:7], v[14:15]
	v_add_f64_e32 v[26:27], v[26:27], v[166:167]
	v_add_f64_e32 v[166:167], v[172:173], v[198:199]
	scratch_load_b128 v[172:175], off, off offset:704
	ds_load_b128 v[198:201], v2 offset:1568
	v_fmac_f64_e32 v[204:205], v[180:181], v[8:9]
	v_fma_f64 v[178:179], v[178:179], v[8:9], -v[10:11]
	scratch_load_b128 v[8:11], off, off offset:720
	v_fmac_f64_e32 v[206:207], v[6:7], v[12:13]
	v_add_f64_e32 v[26:27], v[26:27], v[176:177]
	v_add_f64_e32 v[166:167], v[166:167], v[202:203]
	v_fma_f64 v[202:203], v[4:5], v[12:13], -v[14:15]
	ds_load_b128 v[4:7], v2 offset:1584
	s_wait_loadcnt_dscnt 0xa01
	v_mul_f64_e32 v[180:181], v[198:199], v[18:19]
	v_mul_f64_e32 v[18:19], v[200:201], v[18:19]
	scratch_load_b128 v[12:15], off, off offset:736
	v_add_f64_e32 v[26:27], v[26:27], v[178:179]
	v_add_f64_e32 v[166:167], v[166:167], v[204:205]
	s_wait_loadcnt_dscnt 0xa00
	v_mul_f64_e32 v[204:205], v[4:5], v[24:25]
	v_mul_f64_e32 v[24:25], v[6:7], v[24:25]
	v_fmac_f64_e32 v[180:181], v[200:201], v[16:17]
	v_fma_f64 v[198:199], v[198:199], v[16:17], -v[18:19]
	ds_load_b128 v[176:179], v2 offset:1600
	scratch_load_b128 v[16:19], off, off offset:752
	v_add_f64_e32 v[26:27], v[26:27], v[202:203]
	v_add_f64_e32 v[166:167], v[166:167], v[206:207]
	v_fmac_f64_e32 v[204:205], v[6:7], v[22:23]
	v_fma_f64 v[206:207], v[4:5], v[22:23], -v[24:25]
	ds_load_b128 v[4:7], v2 offset:1616
	s_wait_loadcnt_dscnt 0xa01
	v_mul_f64_e32 v[202:203], v[176:177], v[188:189]
	v_mul_f64_e32 v[188:189], v[178:179], v[188:189]
	scratch_load_b128 v[22:25], off, off offset:768
	v_add_f64_e32 v[26:27], v[26:27], v[198:199]
	v_add_f64_e32 v[166:167], v[166:167], v[180:181]
	s_wait_loadcnt_dscnt 0xa00
	v_mul_f64_e32 v[180:181], v[4:5], v[30:31]
	v_mul_f64_e32 v[30:31], v[6:7], v[30:31]
	ds_load_b128 v[198:201], v2 offset:1632
	v_fmac_f64_e32 v[202:203], v[178:179], v[186:187]
	v_fma_f64 v[186:187], v[176:177], v[186:187], -v[188:189]
	scratch_load_b128 v[176:179], off, off offset:784
	v_add_f64_e32 v[26:27], v[26:27], v[206:207]
	v_add_f64_e32 v[166:167], v[166:167], v[204:205]
	v_fmac_f64_e32 v[180:181], v[6:7], v[28:29]
	v_fma_f64 v[30:31], v[4:5], v[28:29], -v[30:31]
	ds_load_b128 v[4:7], v2 offset:1648
	s_wait_loadcnt_dscnt 0xa01
	v_mul_f64_e32 v[204:205], v[198:199], v[192:193]
	v_mul_f64_e32 v[192:193], v[200:201], v[192:193]
	s_wait_loadcnt_dscnt 0x900
	v_mul_f64_e32 v[208:209], v[6:7], v[164:165]
	v_add_f64_e32 v[206:207], v[26:27], v[186:187]
	v_add_f64_e32 v[166:167], v[166:167], v[202:203]
	scratch_load_b128 v[26:29], off, off offset:800
	v_mul_f64_e32 v[202:203], v[4:5], v[164:165]
	ds_load_b128 v[186:189], v2 offset:1664
	v_fmac_f64_e32 v[204:205], v[200:201], v[190:191]
	v_fma_f64 v[190:191], v[198:199], v[190:191], -v[192:193]
	v_add_f64_e32 v[30:31], v[206:207], v[30:31]
	v_add_f64_e32 v[180:181], v[166:167], v[180:181]
	scratch_load_b128 v[164:167], off, off offset:816
	v_fmac_f64_e32 v[202:203], v[6:7], v[162:163]
	v_fma_f64 v[206:207], v[4:5], v[162:163], -v[208:209]
	ds_load_b128 v[4:7], v2 offset:1680
	s_wait_loadcnt_dscnt 0xa01
	v_mul_f64_e32 v[198:199], v[186:187], v[160:161]
	v_mul_f64_e32 v[200:201], v[188:189], v[160:161]
	scratch_load_b128 v[160:163], off, off offset:832
	v_add_f64_e32 v[30:31], v[30:31], v[190:191]
	v_add_f64_e32 v[180:181], v[180:181], v[204:205]
	s_wait_loadcnt_dscnt 0xa00
	v_mul_f64_e32 v[204:205], v[4:5], v[170:171]
	v_mul_f64_e32 v[170:171], v[6:7], v[170:171]
	ds_load_b128 v[190:193], v2 offset:1696
	v_fmac_f64_e32 v[198:199], v[188:189], v[158:159]
	v_fma_f64 v[158:159], v[186:187], v[158:159], -v[200:201]
	scratch_load_b128 v[186:189], off, off offset:848
	v_add_f64_e32 v[30:31], v[30:31], v[206:207]
	v_add_f64_e32 v[180:181], v[180:181], v[202:203]
	v_fmac_f64_e32 v[204:205], v[6:7], v[168:169]
	v_fma_f64 v[206:207], v[4:5], v[168:169], -v[170:171]
	ds_load_b128 v[4:7], v2 offset:1712
	s_wait_loadcnt_dscnt 0xa01
	v_mul_f64_e32 v[200:201], v[190:191], v[196:197]
	v_mul_f64_e32 v[202:203], v[192:193], v[196:197]
	scratch_load_b128 v[168:171], off, off offset:864
	v_add_f64_e32 v[30:31], v[30:31], v[158:159]
	v_add_f64_e32 v[158:159], v[180:181], v[198:199]
	s_wait_loadcnt_dscnt 0xa00
	v_mul_f64_e32 v[180:181], v[4:5], v[174:175]
	v_mul_f64_e32 v[174:175], v[6:7], v[174:175]
	ds_load_b128 v[196:199], v2 offset:1728
	v_fmac_f64_e32 v[200:201], v[192:193], v[194:195]
	v_fma_f64 v[194:195], v[190:191], v[194:195], -v[202:203]
	scratch_load_b128 v[190:193], off, off offset:880
	v_add_f64_e32 v[30:31], v[30:31], v[206:207]
	v_add_f64_e32 v[158:159], v[158:159], v[204:205]
	v_fmac_f64_e32 v[180:181], v[6:7], v[172:173]
	v_fma_f64 v[206:207], v[4:5], v[172:173], -v[174:175]
	ds_load_b128 v[4:7], v2 offset:1744
	s_wait_loadcnt_dscnt 0xa01
	v_mul_f64_e32 v[204:205], v[196:197], v[10:11]
	v_mul_f64_e32 v[10:11], v[198:199], v[10:11]
	scratch_load_b128 v[172:175], off, off offset:896
	s_wait_loadcnt_dscnt 0xa00
	v_mul_f64_e32 v[208:209], v[4:5], v[14:15]
	v_mul_f64_e32 v[14:15], v[6:7], v[14:15]
	v_add_f64_e32 v[30:31], v[30:31], v[194:195]
	v_add_f64_e32 v[158:159], v[158:159], v[200:201]
	ds_load_b128 v[200:203], v2 offset:1760
	v_fmac_f64_e32 v[204:205], v[198:199], v[8:9]
	v_fma_f64 v[194:195], v[196:197], v[8:9], -v[10:11]
	scratch_load_b128 v[8:11], off, off offset:912
	v_fmac_f64_e32 v[208:209], v[6:7], v[12:13]
	v_fma_f64 v[198:199], v[4:5], v[12:13], -v[14:15]
	ds_load_b128 v[4:7], v2 offset:1776
	scratch_load_b128 v[12:15], off, off offset:928
	v_add_f64_e32 v[30:31], v[30:31], v[206:207]
	v_add_f64_e32 v[158:159], v[158:159], v[180:181]
	s_wait_loadcnt_dscnt 0xb01
	v_mul_f64_e32 v[180:181], v[200:201], v[18:19]
	v_mul_f64_e32 v[18:19], v[202:203], v[18:19]
	s_delay_alu instid0(VALU_DEP_4) | instskip(NEXT) | instid1(VALU_DEP_4)
	v_add_f64_e32 v[30:31], v[30:31], v[194:195]
	v_add_f64_e32 v[158:159], v[158:159], v[204:205]
	s_wait_loadcnt_dscnt 0xa00
	v_mul_f64_e32 v[204:205], v[4:5], v[24:25]
	v_mul_f64_e32 v[24:25], v[6:7], v[24:25]
	v_fmac_f64_e32 v[180:181], v[202:203], v[16:17]
	v_fma_f64 v[200:201], v[200:201], v[16:17], -v[18:19]
	ds_load_b128 v[194:197], v2 offset:1792
	scratch_load_b128 v[16:19], off, off offset:944
	v_add_f64_e32 v[30:31], v[30:31], v[198:199]
	v_add_f64_e32 v[158:159], v[158:159], v[208:209]
	v_fmac_f64_e32 v[204:205], v[6:7], v[22:23]
	v_fma_f64 v[206:207], v[4:5], v[22:23], -v[24:25]
	ds_load_b128 v[4:7], v2 offset:1808
	s_wait_loadcnt_dscnt 0xa01
	v_mul_f64_e32 v[198:199], v[194:195], v[178:179]
	v_mul_f64_e32 v[202:203], v[196:197], v[178:179]
	scratch_load_b128 v[22:25], off, off offset:960
	v_add_f64_e32 v[30:31], v[30:31], v[200:201]
	v_add_f64_e32 v[158:159], v[158:159], v[180:181]
	s_wait_loadcnt_dscnt 0xa00
	v_mul_f64_e32 v[208:209], v[4:5], v[28:29]
	v_mul_f64_e32 v[200:201], v[6:7], v[28:29]
	ds_load_b128 v[178:181], v2 offset:1824
	v_fmac_f64_e32 v[198:199], v[196:197], v[176:177]
	v_fma_f64 v[176:177], v[194:195], v[176:177], -v[202:203]
	v_add_f64_e32 v[194:195], v[30:31], v[206:207]
	v_add_f64_e32 v[158:159], v[158:159], v[204:205]
	scratch_load_b128 v[28:31], off, off offset:976
	v_fmac_f64_e32 v[208:209], v[6:7], v[26:27]
	v_fma_f64 v[26:27], v[4:5], v[26:27], -v[200:201]
	ds_load_b128 v[4:7], v2 offset:1840
	s_wait_loadcnt_dscnt 0xa01
	v_mul_f64_e32 v[202:203], v[178:179], v[166:167]
	v_mul_f64_e32 v[166:167], v[180:181], v[166:167]
	s_wait_loadcnt_dscnt 0x900
	v_mul_f64_e32 v[204:205], v[4:5], v[162:163]
	v_mul_f64_e32 v[162:163], v[6:7], v[162:163]
	v_add_f64_e32 v[176:177], v[194:195], v[176:177]
	v_add_f64_e32 v[158:159], v[158:159], v[198:199]
	scratch_load_b128 v[194:197], off, off offset:992
	ds_load_b128 v[198:201], v2 offset:1856
	v_fmac_f64_e32 v[202:203], v[180:181], v[164:165]
	v_fma_f64 v[164:165], v[178:179], v[164:165], -v[166:167]
	s_wait_loadcnt_dscnt 0x900
	v_mul_f64_e32 v[166:167], v[198:199], v[188:189]
	v_fmac_f64_e32 v[204:205], v[6:7], v[160:161]
	v_fma_f64 v[162:163], v[4:5], v[160:161], -v[162:163]
	v_add_f64_e32 v[26:27], v[176:177], v[26:27]
	v_add_f64_e32 v[158:159], v[158:159], v[208:209]
	v_mul_f64_e32 v[176:177], v[200:201], v[188:189]
	v_fmac_f64_e32 v[166:167], v[200:201], v[186:187]
	s_delay_alu instid0(VALU_DEP_4) | instskip(NEXT) | instid1(VALU_DEP_4)
	v_add_f64_e32 v[26:27], v[26:27], v[164:165]
	v_add_f64_e32 v[164:165], v[158:159], v[202:203]
	ds_load_b128 v[4:7], v2 offset:1872
	ds_load_b128 v[158:161], v2 offset:1888
	v_fma_f64 v[176:177], v[198:199], v[186:187], -v[176:177]
	s_wait_loadcnt_dscnt 0x801
	v_mul_f64_e32 v[178:179], v[4:5], v[170:171]
	v_mul_f64_e32 v[170:171], v[6:7], v[170:171]
	s_wait_loadcnt_dscnt 0x700
	v_mul_f64_e32 v[180:181], v[158:159], v[192:193]
	v_mul_f64_e32 v[186:187], v[160:161], v[192:193]
	v_add_f64_e32 v[26:27], v[26:27], v[162:163]
	v_add_f64_e32 v[162:163], v[164:165], v[204:205]
	v_fmac_f64_e32 v[178:179], v[6:7], v[168:169]
	v_fma_f64 v[168:169], v[4:5], v[168:169], -v[170:171]
	v_fmac_f64_e32 v[180:181], v[160:161], v[190:191]
	v_fma_f64 v[158:159], v[158:159], v[190:191], -v[186:187]
	v_add_f64_e32 v[26:27], v[26:27], v[176:177]
	v_add_f64_e32 v[166:167], v[162:163], v[166:167]
	ds_load_b128 v[4:7], v2 offset:1904
	ds_load_b128 v[162:165], v2 offset:1920
	s_wait_loadcnt_dscnt 0x601
	v_mul_f64_e32 v[170:171], v[4:5], v[174:175]
	v_mul_f64_e32 v[174:175], v[6:7], v[174:175]
	v_add_f64_e32 v[26:27], v[26:27], v[168:169]
	v_add_f64_e32 v[160:161], v[166:167], v[178:179]
	s_wait_loadcnt_dscnt 0x500
	v_mul_f64_e32 v[166:167], v[162:163], v[10:11]
	v_mul_f64_e32 v[10:11], v[164:165], v[10:11]
	v_fmac_f64_e32 v[170:171], v[6:7], v[172:173]
	v_fma_f64 v[168:169], v[4:5], v[172:173], -v[174:175]
	v_add_f64_e32 v[26:27], v[26:27], v[158:159]
	v_add_f64_e32 v[172:173], v[160:161], v[180:181]
	ds_load_b128 v[4:7], v2 offset:1936
	ds_load_b128 v[158:161], v2 offset:1952
	v_fmac_f64_e32 v[166:167], v[164:165], v[8:9]
	v_fma_f64 v[8:9], v[162:163], v[8:9], -v[10:11]
	s_wait_loadcnt_dscnt 0x401
	v_mul_f64_e32 v[174:175], v[4:5], v[14:15]
	v_mul_f64_e32 v[14:15], v[6:7], v[14:15]
	s_wait_loadcnt_dscnt 0x300
	v_mul_f64_e32 v[162:163], v[158:159], v[18:19]
	v_mul_f64_e32 v[18:19], v[160:161], v[18:19]
	v_add_f64_e32 v[10:11], v[26:27], v[168:169]
	v_add_f64_e32 v[26:27], v[172:173], v[170:171]
	v_fmac_f64_e32 v[174:175], v[6:7], v[12:13]
	v_fma_f64 v[12:13], v[4:5], v[12:13], -v[14:15]
	v_fmac_f64_e32 v[162:163], v[160:161], v[16:17]
	v_fma_f64 v[16:17], v[158:159], v[16:17], -v[18:19]
	v_add_f64_e32 v[14:15], v[10:11], v[8:9]
	v_add_f64_e32 v[26:27], v[26:27], v[166:167]
	ds_load_b128 v[4:7], v2 offset:1968
	ds_load_b128 v[8:11], v2 offset:1984
	s_wait_loadcnt_dscnt 0x201
	v_mul_f64_e32 v[164:165], v[4:5], v[24:25]
	v_mul_f64_e32 v[24:25], v[6:7], v[24:25]
	v_add_f64_e32 v[12:13], v[14:15], v[12:13]
	v_add_f64_e32 v[14:15], v[26:27], v[174:175]
	s_wait_loadcnt_dscnt 0x100
	v_mul_f64_e32 v[18:19], v[8:9], v[30:31]
	v_mul_f64_e32 v[26:27], v[10:11], v[30:31]
	v_fmac_f64_e32 v[164:165], v[6:7], v[22:23]
	v_fma_f64 v[22:23], v[4:5], v[22:23], -v[24:25]
	ds_load_b128 v[4:7], v2 offset:2000
	v_add_f64_e32 v[12:13], v[12:13], v[16:17]
	v_add_f64_e32 v[14:15], v[14:15], v[162:163]
	v_fmac_f64_e32 v[18:19], v[10:11], v[28:29]
	v_fma_f64 v[8:9], v[8:9], v[28:29], -v[26:27]
	s_wait_loadcnt_dscnt 0x0
	v_mul_f64_e32 v[16:17], v[4:5], v[196:197]
	v_mul_f64_e32 v[24:25], v[6:7], v[196:197]
	v_add_f64_e32 v[10:11], v[12:13], v[22:23]
	v_add_f64_e32 v[12:13], v[14:15], v[164:165]
	s_delay_alu instid0(VALU_DEP_4) | instskip(NEXT) | instid1(VALU_DEP_4)
	v_fmac_f64_e32 v[16:17], v[6:7], v[194:195]
	v_fma_f64 v[4:5], v[4:5], v[194:195], -v[24:25]
	s_delay_alu instid0(VALU_DEP_4) | instskip(NEXT) | instid1(VALU_DEP_4)
	v_add_f64_e32 v[6:7], v[10:11], v[8:9]
	v_add_f64_e32 v[8:9], v[12:13], v[18:19]
	s_delay_alu instid0(VALU_DEP_2) | instskip(NEXT) | instid1(VALU_DEP_2)
	v_add_f64_e32 v[4:5], v[6:7], v[4:5]
	v_add_f64_e32 v[6:7], v[8:9], v[16:17]
	s_delay_alu instid0(VALU_DEP_2) | instskip(NEXT) | instid1(VALU_DEP_2)
	v_add_f64_e64 v[4:5], v[182:183], -v[4:5]
	v_add_f64_e64 v[6:7], v[184:185], -v[6:7]
	scratch_store_b128 off, v[4:7], off offset:112
	s_wait_xcnt 0x0
	v_cmpx_lt_u32_e32 6, v1
	s_cbranch_execz .LBB126_391
; %bb.390:
	scratch_load_b128 v[6:9], off, s75
	v_dual_mov_b32 v3, v2 :: v_dual_mov_b32 v4, v2
	v_mov_b32_e32 v5, v2
	scratch_store_b128 off, v[2:5], off offset:96
	s_wait_loadcnt 0x0
	ds_store_b128 v20, v[6:9]
.LBB126_391:
	s_wait_xcnt 0x0
	s_or_b32 exec_lo, exec_lo, s2
	s_wait_storecnt_dscnt 0x0
	s_barrier_signal -1
	s_barrier_wait -1
	s_clause 0x9
	scratch_load_b128 v[4:7], off, off offset:112
	scratch_load_b128 v[8:11], off, off offset:128
	;; [unrolled: 1-line block ×10, first 2 shown]
	ds_load_b128 v[174:177], v2 offset:1120
	ds_load_b128 v[182:185], v2 offset:1136
	s_clause 0x2
	scratch_load_b128 v[178:181], off, off offset:272
	scratch_load_b128 v[186:189], off, off offset:96
	;; [unrolled: 1-line block ×3, first 2 shown]
	s_mov_b32 s2, exec_lo
	s_wait_loadcnt_dscnt 0xc01
	v_mul_f64_e32 v[30:31], v[176:177], v[6:7]
	v_mul_f64_e32 v[198:199], v[174:175], v[6:7]
	s_wait_loadcnt_dscnt 0xb00
	v_mul_f64_e32 v[200:201], v[182:183], v[10:11]
	v_mul_f64_e32 v[10:11], v[184:185], v[10:11]
	s_delay_alu instid0(VALU_DEP_4) | instskip(NEXT) | instid1(VALU_DEP_4)
	v_fma_f64 v[30:31], v[174:175], v[4:5], -v[30:31]
	v_fmac_f64_e32 v[198:199], v[176:177], v[4:5]
	ds_load_b128 v[4:7], v2 offset:1152
	ds_load_b128 v[174:177], v2 offset:1168
	scratch_load_b128 v[194:197], off, off offset:304
	v_fmac_f64_e32 v[200:201], v[184:185], v[8:9]
	v_fma_f64 v[182:183], v[182:183], v[8:9], -v[10:11]
	scratch_load_b128 v[8:11], off, off offset:320
	s_wait_loadcnt_dscnt 0xc01
	v_mul_f64_e32 v[202:203], v[4:5], v[14:15]
	v_mul_f64_e32 v[14:15], v[6:7], v[14:15]
	v_add_f64_e32 v[30:31], 0, v[30:31]
	v_add_f64_e32 v[184:185], 0, v[198:199]
	s_wait_loadcnt_dscnt 0xb00
	v_mul_f64_e32 v[198:199], v[174:175], v[18:19]
	v_mul_f64_e32 v[18:19], v[176:177], v[18:19]
	v_fmac_f64_e32 v[202:203], v[6:7], v[12:13]
	v_fma_f64 v[204:205], v[4:5], v[12:13], -v[14:15]
	ds_load_b128 v[4:7], v2 offset:1184
	ds_load_b128 v[12:15], v2 offset:1200
	v_add_f64_e32 v[30:31], v[30:31], v[182:183]
	v_add_f64_e32 v[200:201], v[184:185], v[200:201]
	scratch_load_b128 v[182:185], off, off offset:336
	v_fmac_f64_e32 v[198:199], v[176:177], v[16:17]
	v_fma_f64 v[174:175], v[174:175], v[16:17], -v[18:19]
	scratch_load_b128 v[16:19], off, off offset:352
	s_wait_loadcnt_dscnt 0xc01
	v_mul_f64_e32 v[206:207], v[4:5], v[24:25]
	v_mul_f64_e32 v[24:25], v[6:7], v[24:25]
	v_add_f64_e32 v[30:31], v[30:31], v[204:205]
	v_add_f64_e32 v[176:177], v[200:201], v[202:203]
	s_wait_loadcnt_dscnt 0xb00
	v_mul_f64_e32 v[200:201], v[12:13], v[28:29]
	v_mul_f64_e32 v[202:203], v[14:15], v[28:29]
	v_fmac_f64_e32 v[206:207], v[6:7], v[22:23]
	v_fma_f64 v[204:205], v[4:5], v[22:23], -v[24:25]
	ds_load_b128 v[4:7], v2 offset:1216
	ds_load_b128 v[22:25], v2 offset:1232
	v_add_f64_e32 v[174:175], v[30:31], v[174:175]
	v_add_f64_e32 v[176:177], v[176:177], v[198:199]
	scratch_load_b128 v[28:31], off, off offset:368
	s_wait_loadcnt_dscnt 0xb01
	v_mul_f64_e32 v[198:199], v[4:5], v[160:161]
	v_mul_f64_e32 v[160:161], v[6:7], v[160:161]
	v_fmac_f64_e32 v[200:201], v[14:15], v[26:27]
	v_fma_f64 v[26:27], v[12:13], v[26:27], -v[202:203]
	scratch_load_b128 v[12:15], off, off offset:384
	s_wait_loadcnt_dscnt 0xb00
	v_mul_f64_e32 v[202:203], v[22:23], v[164:165]
	v_mul_f64_e32 v[164:165], v[24:25], v[164:165]
	v_add_f64_e32 v[174:175], v[174:175], v[204:205]
	v_add_f64_e32 v[176:177], v[176:177], v[206:207]
	v_fmac_f64_e32 v[198:199], v[6:7], v[158:159]
	v_fma_f64 v[204:205], v[4:5], v[158:159], -v[160:161]
	ds_load_b128 v[4:7], v2 offset:1248
	ds_load_b128 v[158:161], v2 offset:1264
	v_fmac_f64_e32 v[202:203], v[24:25], v[162:163]
	v_fma_f64 v[162:163], v[22:23], v[162:163], -v[164:165]
	scratch_load_b128 v[22:25], off, off offset:416
	s_wait_loadcnt_dscnt 0xb01
	v_mul_f64_e32 v[206:207], v[4:5], v[168:169]
	v_mul_f64_e32 v[168:169], v[6:7], v[168:169]
	v_add_f64_e32 v[26:27], v[174:175], v[26:27]
	v_add_f64_e32 v[200:201], v[176:177], v[200:201]
	scratch_load_b128 v[174:177], off, off offset:400
	v_fmac_f64_e32 v[206:207], v[6:7], v[166:167]
	v_add_f64_e32 v[26:27], v[26:27], v[204:205]
	v_add_f64_e32 v[164:165], v[200:201], v[198:199]
	s_wait_loadcnt_dscnt 0xb00
	v_mul_f64_e32 v[198:199], v[158:159], v[172:173]
	v_mul_f64_e32 v[172:173], v[160:161], v[172:173]
	v_fma_f64 v[200:201], v[4:5], v[166:167], -v[168:169]
	v_add_f64_e32 v[26:27], v[26:27], v[162:163]
	v_add_f64_e32 v[202:203], v[164:165], v[202:203]
	ds_load_b128 v[4:7], v2 offset:1280
	ds_load_b128 v[162:165], v2 offset:1296
	scratch_load_b128 v[166:169], off, off offset:432
	v_fmac_f64_e32 v[198:199], v[160:161], v[170:171]
	v_fma_f64 v[170:171], v[158:159], v[170:171], -v[172:173]
	scratch_load_b128 v[158:161], off, off offset:448
	s_wait_loadcnt_dscnt 0xc01
	v_mul_f64_e32 v[204:205], v[4:5], v[180:181]
	v_mul_f64_e32 v[180:181], v[6:7], v[180:181]
	v_add_f64_e32 v[26:27], v[26:27], v[200:201]
	v_add_f64_e32 v[172:173], v[202:203], v[206:207]
	s_wait_loadcnt_dscnt 0xa00
	v_mul_f64_e32 v[200:201], v[162:163], v[192:193]
	v_mul_f64_e32 v[192:193], v[164:165], v[192:193]
	v_fmac_f64_e32 v[204:205], v[6:7], v[178:179]
	v_fma_f64 v[202:203], v[4:5], v[178:179], -v[180:181]
	v_add_f64_e32 v[26:27], v[26:27], v[170:171]
	v_add_f64_e32 v[198:199], v[172:173], v[198:199]
	ds_load_b128 v[4:7], v2 offset:1312
	ds_load_b128 v[170:173], v2 offset:1328
	scratch_load_b128 v[178:181], off, off offset:464
	v_fmac_f64_e32 v[200:201], v[164:165], v[190:191]
	v_fma_f64 v[190:191], v[162:163], v[190:191], -v[192:193]
	scratch_load_b128 v[162:165], off, off offset:480
	s_wait_loadcnt_dscnt 0xb01
	v_mul_f64_e32 v[206:207], v[4:5], v[196:197]
	v_mul_f64_e32 v[196:197], v[6:7], v[196:197]
	v_add_f64_e32 v[26:27], v[26:27], v[202:203]
	v_add_f64_e32 v[192:193], v[198:199], v[204:205]
	s_wait_loadcnt_dscnt 0xa00
	v_mul_f64_e32 v[198:199], v[170:171], v[10:11]
	v_mul_f64_e32 v[10:11], v[172:173], v[10:11]
	v_fmac_f64_e32 v[206:207], v[6:7], v[194:195]
	;; [unrolled: 18-line block ×4, first 2 shown]
	v_fma_f64 v[30:31], v[4:5], v[28:29], -v[30:31]
	v_add_f64_e32 v[202:203], v[26:27], v[190:191]
	v_add_f64_e32 v[200:201], v[192:193], v[200:201]
	ds_load_b128 v[4:7], v2 offset:1408
	ds_load_b128 v[26:29], v2 offset:1424
	scratch_load_b128 v[190:193], off, off offset:560
	v_fmac_f64_e32 v[198:199], v[172:173], v[12:13]
	v_fma_f64 v[170:171], v[170:171], v[12:13], -v[14:15]
	scratch_load_b128 v[12:15], off, off offset:576
	s_wait_loadcnt_dscnt 0xa01
	v_mul_f64_e32 v[204:205], v[4:5], v[176:177]
	v_mul_f64_e32 v[176:177], v[6:7], v[176:177]
	v_add_f64_e32 v[30:31], v[202:203], v[30:31]
	v_add_f64_e32 v[172:173], v[200:201], v[206:207]
	s_wait_dscnt 0x0
	v_mul_f64_e32 v[200:201], v[26:27], v[24:25]
	v_mul_f64_e32 v[24:25], v[28:29], v[24:25]
	v_fmac_f64_e32 v[204:205], v[6:7], v[174:175]
	v_fma_f64 v[202:203], v[4:5], v[174:175], -v[176:177]
	v_add_f64_e32 v[30:31], v[30:31], v[170:171]
	v_add_f64_e32 v[198:199], v[172:173], v[198:199]
	ds_load_b128 v[4:7], v2 offset:1440
	ds_load_b128 v[170:173], v2 offset:1456
	scratch_load_b128 v[174:177], off, off offset:592
	v_fmac_f64_e32 v[200:201], v[28:29], v[22:23]
	v_fma_f64 v[26:27], v[26:27], v[22:23], -v[24:25]
	scratch_load_b128 v[22:25], off, off offset:608
	s_wait_loadcnt_dscnt 0xb01
	v_mul_f64_e32 v[206:207], v[4:5], v[168:169]
	v_mul_f64_e32 v[168:169], v[6:7], v[168:169]
	v_add_f64_e32 v[28:29], v[30:31], v[202:203]
	v_add_f64_e32 v[30:31], v[198:199], v[204:205]
	s_wait_loadcnt_dscnt 0xa00
	v_mul_f64_e32 v[198:199], v[170:171], v[160:161]
	v_mul_f64_e32 v[160:161], v[172:173], v[160:161]
	v_fmac_f64_e32 v[206:207], v[6:7], v[166:167]
	v_fma_f64 v[202:203], v[4:5], v[166:167], -v[168:169]
	v_add_f64_e32 v[204:205], v[28:29], v[26:27]
	v_add_f64_e32 v[30:31], v[30:31], v[200:201]
	ds_load_b128 v[4:7], v2 offset:1472
	ds_load_b128 v[26:29], v2 offset:1488
	scratch_load_b128 v[166:169], off, off offset:624
	v_fmac_f64_e32 v[198:199], v[172:173], v[158:159]
	v_fma_f64 v[170:171], v[170:171], v[158:159], -v[160:161]
	scratch_load_b128 v[158:161], off, off offset:640
	s_wait_loadcnt_dscnt 0xb01
	v_mul_f64_e32 v[200:201], v[4:5], v[180:181]
	v_mul_f64_e32 v[180:181], v[6:7], v[180:181]
	v_add_f64_e32 v[172:173], v[204:205], v[202:203]
	v_add_f64_e32 v[30:31], v[30:31], v[206:207]
	s_wait_loadcnt_dscnt 0xa00
	;; [unrolled: 18-line block ×7, first 2 shown]
	v_mul_f64_e32 v[198:199], v[170:171], v[160:161]
	v_mul_f64_e32 v[204:205], v[172:173], v[160:161]
	v_fmac_f64_e32 v[202:203], v[6:7], v[166:167]
	v_fma_f64 v[168:169], v[4:5], v[166:167], -v[168:169]
	v_add_f64_e32 v[206:207], v[164:165], v[162:163]
	v_add_f64_e32 v[30:31], v[30:31], v[200:201]
	ds_load_b128 v[4:7], v2 offset:1664
	ds_load_b128 v[160:163], v2 offset:1680
	scratch_load_b128 v[164:167], off, off offset:816
	v_fmac_f64_e32 v[198:199], v[172:173], v[158:159]
	v_fma_f64 v[158:159], v[170:171], v[158:159], -v[204:205]
	s_wait_loadcnt_dscnt 0xa01
	v_mul_f64_e32 v[200:201], v[4:5], v[180:181]
	v_mul_f64_e32 v[180:181], v[6:7], v[180:181]
	s_wait_loadcnt_dscnt 0x900
	v_mul_f64_e32 v[204:205], v[162:163], v[28:29]
	v_add_f64_e32 v[172:173], v[206:207], v[168:169]
	v_add_f64_e32 v[30:31], v[30:31], v[202:203]
	scratch_load_b128 v[168:171], off, off offset:832
	v_mul_f64_e32 v[202:203], v[160:161], v[28:29]
	v_fmac_f64_e32 v[200:201], v[6:7], v[178:179]
	v_fma_f64 v[206:207], v[4:5], v[178:179], -v[180:181]
	v_add_f64_e32 v[158:159], v[172:173], v[158:159]
	v_add_f64_e32 v[172:173], v[30:31], v[198:199]
	ds_load_b128 v[4:7], v2 offset:1696
	ds_load_b128 v[28:31], v2 offset:1712
	scratch_load_b128 v[178:181], off, off offset:848
	v_fmac_f64_e32 v[202:203], v[162:163], v[26:27]
	v_fma_f64 v[26:27], v[160:161], v[26:27], -v[204:205]
	s_wait_loadcnt_dscnt 0xa01
	v_mul_f64_e32 v[208:209], v[4:5], v[196:197]
	v_mul_f64_e32 v[196:197], v[6:7], v[196:197]
	s_wait_loadcnt_dscnt 0x900
	v_mul_f64_e32 v[204:205], v[28:29], v[10:11]
	v_mul_f64_e32 v[10:11], v[30:31], v[10:11]
	v_add_f64_e32 v[162:163], v[158:159], v[206:207]
	v_add_f64_e32 v[172:173], v[172:173], v[200:201]
	scratch_load_b128 v[158:161], off, off offset:864
	v_fmac_f64_e32 v[208:209], v[6:7], v[194:195]
	v_fma_f64 v[206:207], v[4:5], v[194:195], -v[196:197]
	ds_load_b128 v[4:7], v2 offset:1728
	ds_load_b128 v[194:197], v2 offset:1744
	scratch_load_b128 v[198:201], off, off offset:880
	v_fmac_f64_e32 v[204:205], v[30:31], v[8:9]
	v_fma_f64 v[28:29], v[28:29], v[8:9], -v[10:11]
	scratch_load_b128 v[8:11], off, off offset:896
	v_add_f64_e32 v[26:27], v[162:163], v[26:27]
	v_add_f64_e32 v[162:163], v[172:173], v[202:203]
	s_wait_loadcnt_dscnt 0xb01
	v_mul_f64_e32 v[172:173], v[4:5], v[184:185]
	v_mul_f64_e32 v[184:185], v[6:7], v[184:185]
	s_delay_alu instid0(VALU_DEP_4) | instskip(NEXT) | instid1(VALU_DEP_4)
	v_add_f64_e32 v[26:27], v[26:27], v[206:207]
	v_add_f64_e32 v[30:31], v[162:163], v[208:209]
	s_wait_loadcnt_dscnt 0xa00
	v_mul_f64_e32 v[162:163], v[194:195], v[18:19]
	v_mul_f64_e32 v[18:19], v[196:197], v[18:19]
	v_fmac_f64_e32 v[172:173], v[6:7], v[182:183]
	v_fma_f64 v[202:203], v[4:5], v[182:183], -v[184:185]
	v_add_f64_e32 v[206:207], v[26:27], v[28:29]
	v_add_f64_e32 v[30:31], v[30:31], v[204:205]
	ds_load_b128 v[4:7], v2 offset:1760
	ds_load_b128 v[26:29], v2 offset:1776
	scratch_load_b128 v[182:185], off, off offset:912
	v_fmac_f64_e32 v[162:163], v[196:197], v[16:17]
	v_fma_f64 v[194:195], v[194:195], v[16:17], -v[18:19]
	scratch_load_b128 v[16:19], off, off offset:928
	s_wait_loadcnt_dscnt 0xb01
	v_mul_f64_e32 v[204:205], v[4:5], v[192:193]
	v_mul_f64_e32 v[192:193], v[6:7], v[192:193]
	v_add_f64_e32 v[196:197], v[206:207], v[202:203]
	v_add_f64_e32 v[30:31], v[30:31], v[172:173]
	s_wait_loadcnt_dscnt 0xa00
	v_mul_f64_e32 v[172:173], v[26:27], v[14:15]
	v_mul_f64_e32 v[14:15], v[28:29], v[14:15]
	v_fmac_f64_e32 v[204:205], v[6:7], v[190:191]
	v_fma_f64 v[202:203], v[4:5], v[190:191], -v[192:193]
	ds_load_b128 v[4:7], v2 offset:1792
	ds_load_b128 v[190:193], v2 offset:1808
	v_add_f64_e32 v[206:207], v[196:197], v[194:195]
	v_add_f64_e32 v[30:31], v[30:31], v[162:163]
	scratch_load_b128 v[194:197], off, off offset:944
	v_fmac_f64_e32 v[172:173], v[28:29], v[12:13]
	v_fma_f64 v[26:27], v[26:27], v[12:13], -v[14:15]
	scratch_load_b128 v[12:15], off, off offset:960
	s_wait_loadcnt_dscnt 0xb01
	v_mul_f64_e32 v[162:163], v[4:5], v[176:177]
	v_mul_f64_e32 v[176:177], v[6:7], v[176:177]
	v_add_f64_e32 v[28:29], v[206:207], v[202:203]
	v_add_f64_e32 v[30:31], v[30:31], v[204:205]
	s_wait_loadcnt_dscnt 0xa00
	v_mul_f64_e32 v[202:203], v[190:191], v[24:25]
	v_mul_f64_e32 v[204:205], v[192:193], v[24:25]
	v_fmac_f64_e32 v[162:163], v[6:7], v[174:175]
	v_fma_f64 v[174:175], v[4:5], v[174:175], -v[176:177]
	v_add_f64_e32 v[176:177], v[28:29], v[26:27]
	v_add_f64_e32 v[172:173], v[30:31], v[172:173]
	ds_load_b128 v[4:7], v2 offset:1824
	ds_load_b128 v[24:27], v2 offset:1840
	scratch_load_b128 v[28:31], off, off offset:976
	v_fmac_f64_e32 v[202:203], v[192:193], v[22:23]
	v_fma_f64 v[22:23], v[190:191], v[22:23], -v[204:205]
	s_wait_loadcnt_dscnt 0xa01
	v_mul_f64_e32 v[206:207], v[4:5], v[166:167]
	v_mul_f64_e32 v[166:167], v[6:7], v[166:167]
	v_add_f64_e32 v[176:177], v[176:177], v[174:175]
	v_add_f64_e32 v[162:163], v[172:173], v[162:163]
	scratch_load_b128 v[172:175], off, off offset:992
	s_wait_loadcnt_dscnt 0xa00
	v_mul_f64_e32 v[190:191], v[24:25], v[170:171]
	v_mul_f64_e32 v[170:171], v[26:27], v[170:171]
	v_fmac_f64_e32 v[206:207], v[6:7], v[164:165]
	v_fma_f64 v[166:167], v[4:5], v[164:165], -v[166:167]
	v_add_f64_e32 v[22:23], v[176:177], v[22:23]
	v_add_f64_e32 v[176:177], v[162:163], v[202:203]
	ds_load_b128 v[4:7], v2 offset:1856
	ds_load_b128 v[162:165], v2 offset:1872
	v_fmac_f64_e32 v[190:191], v[26:27], v[168:169]
	v_fma_f64 v[24:25], v[24:25], v[168:169], -v[170:171]
	s_wait_loadcnt_dscnt 0x901
	v_mul_f64_e32 v[192:193], v[4:5], v[180:181]
	v_mul_f64_e32 v[180:181], v[6:7], v[180:181]
	v_add_f64_e32 v[22:23], v[22:23], v[166:167]
	v_add_f64_e32 v[26:27], v[176:177], v[206:207]
	s_wait_loadcnt_dscnt 0x800
	v_mul_f64_e32 v[166:167], v[162:163], v[160:161]
	v_mul_f64_e32 v[160:161], v[164:165], v[160:161]
	v_fmac_f64_e32 v[192:193], v[6:7], v[178:179]
	v_fma_f64 v[168:169], v[4:5], v[178:179], -v[180:181]
	v_add_f64_e32 v[170:171], v[22:23], v[24:25]
	v_add_f64_e32 v[26:27], v[26:27], v[190:191]
	ds_load_b128 v[4:7], v2 offset:1888
	ds_load_b128 v[22:25], v2 offset:1904
	v_fmac_f64_e32 v[166:167], v[164:165], v[158:159]
	v_fma_f64 v[158:159], v[162:163], v[158:159], -v[160:161]
	s_wait_loadcnt_dscnt 0x701
	v_mul_f64_e32 v[176:177], v[4:5], v[200:201]
	v_mul_f64_e32 v[178:179], v[6:7], v[200:201]
	s_wait_loadcnt_dscnt 0x600
	v_mul_f64_e32 v[162:163], v[22:23], v[10:11]
	v_mul_f64_e32 v[10:11], v[24:25], v[10:11]
	v_add_f64_e32 v[160:161], v[170:171], v[168:169]
	v_add_f64_e32 v[26:27], v[26:27], v[192:193]
	v_fmac_f64_e32 v[176:177], v[6:7], v[198:199]
	v_fma_f64 v[164:165], v[4:5], v[198:199], -v[178:179]
	v_fmac_f64_e32 v[162:163], v[24:25], v[8:9]
	v_fma_f64 v[8:9], v[22:23], v[8:9], -v[10:11]
	v_add_f64_e32 v[168:169], v[160:161], v[158:159]
	v_add_f64_e32 v[26:27], v[26:27], v[166:167]
	ds_load_b128 v[4:7], v2 offset:1920
	ds_load_b128 v[158:161], v2 offset:1936
	s_wait_loadcnt_dscnt 0x501
	v_mul_f64_e32 v[166:167], v[4:5], v[184:185]
	v_mul_f64_e32 v[170:171], v[6:7], v[184:185]
	s_wait_loadcnt_dscnt 0x400
	v_mul_f64_e32 v[24:25], v[158:159], v[18:19]
	v_mul_f64_e32 v[18:19], v[160:161], v[18:19]
	v_add_f64_e32 v[10:11], v[168:169], v[164:165]
	v_add_f64_e32 v[22:23], v[26:27], v[176:177]
	v_fmac_f64_e32 v[166:167], v[6:7], v[182:183]
	v_fma_f64 v[26:27], v[4:5], v[182:183], -v[170:171]
	v_fmac_f64_e32 v[24:25], v[160:161], v[16:17]
	v_fma_f64 v[16:17], v[158:159], v[16:17], -v[18:19]
	v_add_f64_e32 v[164:165], v[10:11], v[8:9]
	v_add_f64_e32 v[22:23], v[22:23], v[162:163]
	ds_load_b128 v[4:7], v2 offset:1952
	ds_load_b128 v[8:11], v2 offset:1968
	s_wait_loadcnt_dscnt 0x301
	v_mul_f64_e32 v[162:163], v[4:5], v[196:197]
	v_mul_f64_e32 v[168:169], v[6:7], v[196:197]
	s_wait_loadcnt_dscnt 0x200
	v_mul_f64_e32 v[158:159], v[10:11], v[14:15]
	v_add_f64_e32 v[18:19], v[164:165], v[26:27]
	v_add_f64_e32 v[22:23], v[22:23], v[166:167]
	v_mul_f64_e32 v[26:27], v[8:9], v[14:15]
	v_fmac_f64_e32 v[162:163], v[6:7], v[194:195]
	v_fma_f64 v[160:161], v[4:5], v[194:195], -v[168:169]
	v_fma_f64 v[8:9], v[8:9], v[12:13], -v[158:159]
	v_add_f64_e32 v[18:19], v[18:19], v[16:17]
	v_add_f64_e32 v[22:23], v[22:23], v[24:25]
	ds_load_b128 v[4:7], v2 offset:1984
	ds_load_b128 v[14:17], v2 offset:2000
	v_fmac_f64_e32 v[26:27], v[10:11], v[12:13]
	s_wait_loadcnt_dscnt 0x101
	v_mul_f64_e32 v[2:3], v[4:5], v[30:31]
	v_mul_f64_e32 v[24:25], v[6:7], v[30:31]
	v_add_f64_e32 v[10:11], v[18:19], v[160:161]
	v_add_f64_e32 v[12:13], v[22:23], v[162:163]
	s_wait_loadcnt_dscnt 0x0
	v_mul_f64_e32 v[18:19], v[14:15], v[174:175]
	v_mul_f64_e32 v[22:23], v[16:17], v[174:175]
	v_fmac_f64_e32 v[2:3], v[6:7], v[28:29]
	v_fma_f64 v[4:5], v[4:5], v[28:29], -v[24:25]
	v_add_f64_e32 v[6:7], v[10:11], v[8:9]
	v_add_f64_e32 v[8:9], v[12:13], v[26:27]
	v_fmac_f64_e32 v[18:19], v[16:17], v[172:173]
	v_fma_f64 v[10:11], v[14:15], v[172:173], -v[22:23]
	s_delay_alu instid0(VALU_DEP_4) | instskip(NEXT) | instid1(VALU_DEP_4)
	v_add_f64_e32 v[4:5], v[6:7], v[4:5]
	v_add_f64_e32 v[2:3], v[8:9], v[2:3]
	s_delay_alu instid0(VALU_DEP_2) | instskip(NEXT) | instid1(VALU_DEP_2)
	v_add_f64_e32 v[4:5], v[4:5], v[10:11]
	v_add_f64_e32 v[6:7], v[2:3], v[18:19]
	s_delay_alu instid0(VALU_DEP_2) | instskip(NEXT) | instid1(VALU_DEP_2)
	v_add_f64_e64 v[2:3], v[186:187], -v[4:5]
	v_add_f64_e64 v[4:5], v[188:189], -v[6:7]
	scratch_store_b128 off, v[2:5], off offset:96
	s_wait_xcnt 0x0
	v_cmpx_lt_u32_e32 5, v1
	s_cbranch_execz .LBB126_393
; %bb.392:
	scratch_load_b128 v[2:5], off, s76
	v_mov_b32_e32 v6, 0
	s_delay_alu instid0(VALU_DEP_1)
	v_dual_mov_b32 v7, v6 :: v_dual_mov_b32 v8, v6
	v_mov_b32_e32 v9, v6
	scratch_store_b128 off, v[6:9], off offset:80
	s_wait_loadcnt 0x0
	ds_store_b128 v20, v[2:5]
.LBB126_393:
	s_wait_xcnt 0x0
	s_or_b32 exec_lo, exec_lo, s2
	s_wait_storecnt_dscnt 0x0
	s_barrier_signal -1
	s_barrier_wait -1
	s_clause 0x9
	scratch_load_b128 v[4:7], off, off offset:96
	scratch_load_b128 v[8:11], off, off offset:112
	;; [unrolled: 1-line block ×10, first 2 shown]
	v_mov_b32_e32 v2, 0
	s_mov_b32 s2, exec_lo
	ds_load_b128 v[174:177], v2 offset:1104
	s_clause 0x2
	scratch_load_b128 v[178:181], off, off offset:256
	scratch_load_b128 v[182:185], off, off offset:80
	;; [unrolled: 1-line block ×3, first 2 shown]
	s_wait_loadcnt_dscnt 0xc00
	v_mul_f64_e32 v[30:31], v[176:177], v[6:7]
	v_mul_f64_e32 v[198:199], v[174:175], v[6:7]
	ds_load_b128 v[186:189], v2 offset:1120
	ds_load_b128 v[194:197], v2 offset:1152
	v_fma_f64 v[30:31], v[174:175], v[4:5], -v[30:31]
	v_fmac_f64_e32 v[198:199], v[176:177], v[4:5]
	ds_load_b128 v[4:7], v2 offset:1136
	s_wait_loadcnt_dscnt 0xb02
	v_mul_f64_e32 v[200:201], v[186:187], v[10:11]
	v_mul_f64_e32 v[10:11], v[188:189], v[10:11]
	scratch_load_b128 v[174:177], off, off offset:288
	s_wait_loadcnt_dscnt 0xb00
	v_mul_f64_e32 v[202:203], v[4:5], v[14:15]
	v_mul_f64_e32 v[14:15], v[6:7], v[14:15]
	v_add_f64_e32 v[30:31], 0, v[30:31]
	v_fmac_f64_e32 v[200:201], v[188:189], v[8:9]
	v_fma_f64 v[186:187], v[186:187], v[8:9], -v[10:11]
	v_add_f64_e32 v[188:189], 0, v[198:199]
	scratch_load_b128 v[8:11], off, off offset:304
	v_fmac_f64_e32 v[202:203], v[6:7], v[12:13]
	v_fma_f64 v[204:205], v[4:5], v[12:13], -v[14:15]
	ds_load_b128 v[4:7], v2 offset:1168
	s_wait_loadcnt 0xb
	v_mul_f64_e32 v[198:199], v[194:195], v[18:19]
	v_mul_f64_e32 v[18:19], v[196:197], v[18:19]
	scratch_load_b128 v[12:15], off, off offset:320
	v_add_f64_e32 v[30:31], v[30:31], v[186:187]
	v_add_f64_e32 v[200:201], v[188:189], v[200:201]
	ds_load_b128 v[186:189], v2 offset:1184
	s_wait_loadcnt_dscnt 0xb01
	v_mul_f64_e32 v[206:207], v[4:5], v[24:25]
	v_mul_f64_e32 v[24:25], v[6:7], v[24:25]
	v_fmac_f64_e32 v[198:199], v[196:197], v[16:17]
	v_fma_f64 v[194:195], v[194:195], v[16:17], -v[18:19]
	scratch_load_b128 v[16:19], off, off offset:336
	v_add_f64_e32 v[30:31], v[30:31], v[204:205]
	v_add_f64_e32 v[196:197], v[200:201], v[202:203]
	v_fmac_f64_e32 v[206:207], v[6:7], v[22:23]
	v_fma_f64 v[204:205], v[4:5], v[22:23], -v[24:25]
	ds_load_b128 v[4:7], v2 offset:1200
	s_wait_loadcnt_dscnt 0xb01
	v_mul_f64_e32 v[200:201], v[186:187], v[28:29]
	v_mul_f64_e32 v[202:203], v[188:189], v[28:29]
	scratch_load_b128 v[22:25], off, off offset:352
	v_add_f64_e32 v[194:195], v[30:31], v[194:195]
	v_add_f64_e32 v[196:197], v[196:197], v[198:199]
	s_wait_loadcnt_dscnt 0xb00
	v_mul_f64_e32 v[198:199], v[4:5], v[160:161]
	v_mul_f64_e32 v[160:161], v[6:7], v[160:161]
	ds_load_b128 v[28:31], v2 offset:1216
	v_fmac_f64_e32 v[200:201], v[188:189], v[26:27]
	v_fma_f64 v[26:27], v[186:187], v[26:27], -v[202:203]
	scratch_load_b128 v[186:189], off, off offset:368
	v_add_f64_e32 v[194:195], v[194:195], v[204:205]
	v_add_f64_e32 v[196:197], v[196:197], v[206:207]
	v_fmac_f64_e32 v[198:199], v[6:7], v[158:159]
	v_fma_f64 v[204:205], v[4:5], v[158:159], -v[160:161]
	ds_load_b128 v[4:7], v2 offset:1232
	s_wait_loadcnt_dscnt 0xb01
	v_mul_f64_e32 v[202:203], v[28:29], v[164:165]
	v_mul_f64_e32 v[164:165], v[30:31], v[164:165]
	scratch_load_b128 v[158:161], off, off offset:384
	s_wait_loadcnt_dscnt 0xb00
	v_mul_f64_e32 v[206:207], v[4:5], v[168:169]
	v_mul_f64_e32 v[168:169], v[6:7], v[168:169]
	v_add_f64_e32 v[26:27], v[194:195], v[26:27]
	v_add_f64_e32 v[200:201], v[196:197], v[200:201]
	ds_load_b128 v[194:197], v2 offset:1248
	v_fmac_f64_e32 v[202:203], v[30:31], v[162:163]
	v_fma_f64 v[30:31], v[28:29], v[162:163], -v[164:165]
	v_fmac_f64_e32 v[206:207], v[6:7], v[166:167]
	v_add_f64_e32 v[162:163], v[26:27], v[204:205]
	v_add_f64_e32 v[164:165], v[200:201], v[198:199]
	scratch_load_b128 v[26:29], off, off offset:400
	v_fma_f64 v[200:201], v[4:5], v[166:167], -v[168:169]
	ds_load_b128 v[4:7], v2 offset:1264
	s_wait_loadcnt_dscnt 0xb01
	v_mul_f64_e32 v[198:199], v[194:195], v[172:173]
	v_mul_f64_e32 v[172:173], v[196:197], v[172:173]
	ds_load_b128 v[166:169], v2 offset:1280
	s_wait_loadcnt_dscnt 0xa01
	v_mul_f64_e32 v[204:205], v[4:5], v[180:181]
	v_mul_f64_e32 v[180:181], v[6:7], v[180:181]
	v_add_f64_e32 v[30:31], v[162:163], v[30:31]
	v_add_f64_e32 v[202:203], v[164:165], v[202:203]
	scratch_load_b128 v[162:165], off, off offset:416
	v_fmac_f64_e32 v[198:199], v[196:197], v[170:171]
	v_fma_f64 v[194:195], v[194:195], v[170:171], -v[172:173]
	scratch_load_b128 v[170:173], off, off offset:432
	v_fmac_f64_e32 v[204:205], v[6:7], v[178:179]
	v_add_f64_e32 v[30:31], v[30:31], v[200:201]
	v_add_f64_e32 v[196:197], v[202:203], v[206:207]
	v_fma_f64 v[206:207], v[4:5], v[178:179], -v[180:181]
	ds_load_b128 v[4:7], v2 offset:1296
	s_wait_loadcnt_dscnt 0xa01
	v_mul_f64_e32 v[200:201], v[166:167], v[192:193]
	v_mul_f64_e32 v[202:203], v[168:169], v[192:193]
	scratch_load_b128 v[178:181], off, off offset:448
	v_add_f64_e32 v[30:31], v[30:31], v[194:195]
	v_add_f64_e32 v[196:197], v[196:197], v[198:199]
	s_wait_loadcnt_dscnt 0xa00
	v_mul_f64_e32 v[208:209], v[4:5], v[176:177]
	v_mul_f64_e32 v[176:177], v[6:7], v[176:177]
	v_fmac_f64_e32 v[200:201], v[168:169], v[190:191]
	v_fma_f64 v[190:191], v[166:167], v[190:191], -v[202:203]
	ds_load_b128 v[192:195], v2 offset:1312
	scratch_load_b128 v[166:169], off, off offset:464
	v_add_f64_e32 v[30:31], v[30:31], v[206:207]
	v_add_f64_e32 v[196:197], v[196:197], v[204:205]
	v_fmac_f64_e32 v[208:209], v[6:7], v[174:175]
	v_fma_f64 v[204:205], v[4:5], v[174:175], -v[176:177]
	ds_load_b128 v[4:7], v2 offset:1328
	s_wait_loadcnt_dscnt 0xa01
	v_mul_f64_e32 v[202:203], v[192:193], v[10:11]
	v_mul_f64_e32 v[10:11], v[194:195], v[10:11]
	scratch_load_b128 v[174:177], off, off offset:480
	v_add_f64_e32 v[30:31], v[30:31], v[190:191]
	v_add_f64_e32 v[190:191], v[196:197], v[200:201]
	s_wait_loadcnt_dscnt 0xa00
	v_mul_f64_e32 v[200:201], v[4:5], v[14:15]
	v_mul_f64_e32 v[14:15], v[6:7], v[14:15]
	ds_load_b128 v[196:199], v2 offset:1344
	v_fmac_f64_e32 v[202:203], v[194:195], v[8:9]
	v_fma_f64 v[192:193], v[192:193], v[8:9], -v[10:11]
	scratch_load_b128 v[8:11], off, off offset:496
	v_add_f64_e32 v[30:31], v[30:31], v[204:205]
	v_add_f64_e32 v[190:191], v[190:191], v[208:209]
	v_fmac_f64_e32 v[200:201], v[6:7], v[12:13]
	v_fma_f64 v[204:205], v[4:5], v[12:13], -v[14:15]
	ds_load_b128 v[4:7], v2 offset:1360
	s_wait_loadcnt_dscnt 0xa01
	v_mul_f64_e32 v[194:195], v[196:197], v[18:19]
	v_mul_f64_e32 v[18:19], v[198:199], v[18:19]
	scratch_load_b128 v[12:15], off, off offset:512
	s_wait_loadcnt_dscnt 0xa00
	v_mul_f64_e32 v[206:207], v[4:5], v[24:25]
	v_mul_f64_e32 v[24:25], v[6:7], v[24:25]
	v_add_f64_e32 v[30:31], v[30:31], v[192:193]
	v_add_f64_e32 v[202:203], v[190:191], v[202:203]
	ds_load_b128 v[190:193], v2 offset:1376
	v_fmac_f64_e32 v[194:195], v[198:199], v[16:17]
	v_fma_f64 v[196:197], v[196:197], v[16:17], -v[18:19]
	scratch_load_b128 v[16:19], off, off offset:528
	v_fmac_f64_e32 v[206:207], v[6:7], v[22:23]
	v_add_f64_e32 v[30:31], v[30:31], v[204:205]
	v_add_f64_e32 v[198:199], v[202:203], v[200:201]
	v_fma_f64 v[202:203], v[4:5], v[22:23], -v[24:25]
	ds_load_b128 v[4:7], v2 offset:1392
	s_wait_loadcnt_dscnt 0xa01
	v_mul_f64_e32 v[200:201], v[190:191], v[188:189]
	v_mul_f64_e32 v[188:189], v[192:193], v[188:189]
	scratch_load_b128 v[22:25], off, off offset:544
	s_wait_loadcnt_dscnt 0xa00
	v_mul_f64_e32 v[204:205], v[4:5], v[160:161]
	v_mul_f64_e32 v[160:161], v[6:7], v[160:161]
	v_add_f64_e32 v[30:31], v[30:31], v[196:197]
	v_add_f64_e32 v[198:199], v[198:199], v[194:195]
	ds_load_b128 v[194:197], v2 offset:1408
	v_fmac_f64_e32 v[200:201], v[192:193], v[186:187]
	v_fma_f64 v[190:191], v[190:191], v[186:187], -v[188:189]
	scratch_load_b128 v[186:189], off, off offset:560
	v_fmac_f64_e32 v[204:205], v[6:7], v[158:159]
	v_add_f64_e32 v[30:31], v[30:31], v[202:203]
	v_add_f64_e32 v[192:193], v[198:199], v[206:207]
	v_fma_f64 v[206:207], v[4:5], v[158:159], -v[160:161]
	ds_load_b128 v[4:7], v2 offset:1424
	s_wait_loadcnt_dscnt 0xa01
	v_mul_f64_e32 v[198:199], v[194:195], v[28:29]
	v_mul_f64_e32 v[202:203], v[196:197], v[28:29]
	ds_load_b128 v[158:161], v2 offset:1440
	v_add_f64_e32 v[190:191], v[30:31], v[190:191]
	v_add_f64_e32 v[192:193], v[192:193], v[200:201]
	scratch_load_b128 v[28:31], off, off offset:576
	s_wait_loadcnt_dscnt 0xa01
	v_mul_f64_e32 v[200:201], v[4:5], v[164:165]
	v_mul_f64_e32 v[164:165], v[6:7], v[164:165]
	v_fmac_f64_e32 v[198:199], v[196:197], v[26:27]
	v_fma_f64 v[26:27], v[194:195], v[26:27], -v[202:203]
	v_add_f64_e32 v[194:195], v[190:191], v[206:207]
	v_add_f64_e32 v[196:197], v[192:193], v[204:205]
	scratch_load_b128 v[190:193], off, off offset:592
	v_fmac_f64_e32 v[200:201], v[6:7], v[162:163]
	v_fma_f64 v[204:205], v[4:5], v[162:163], -v[164:165]
	ds_load_b128 v[4:7], v2 offset:1456
	s_wait_loadcnt_dscnt 0xa01
	v_mul_f64_e32 v[202:203], v[158:159], v[172:173]
	v_mul_f64_e32 v[172:173], v[160:161], v[172:173]
	scratch_load_b128 v[162:165], off, off offset:608
	s_wait_loadcnt_dscnt 0xa00
	v_mul_f64_e32 v[206:207], v[4:5], v[180:181]
	v_mul_f64_e32 v[180:181], v[6:7], v[180:181]
	v_add_f64_e32 v[26:27], v[194:195], v[26:27]
	v_add_f64_e32 v[198:199], v[196:197], v[198:199]
	ds_load_b128 v[194:197], v2 offset:1472
	v_fmac_f64_e32 v[202:203], v[160:161], v[170:171]
	v_fma_f64 v[170:171], v[158:159], v[170:171], -v[172:173]
	scratch_load_b128 v[158:161], off, off offset:624
	v_fmac_f64_e32 v[206:207], v[6:7], v[178:179]
	v_add_f64_e32 v[26:27], v[26:27], v[204:205]
	v_add_f64_e32 v[172:173], v[198:199], v[200:201]
	v_fma_f64 v[204:205], v[4:5], v[178:179], -v[180:181]
	ds_load_b128 v[4:7], v2 offset:1488
	s_wait_loadcnt_dscnt 0xa01
	v_mul_f64_e32 v[198:199], v[194:195], v[168:169]
	v_mul_f64_e32 v[200:201], v[196:197], v[168:169]
	ds_load_b128 v[178:181], v2 offset:1504
	v_add_f64_e32 v[26:27], v[26:27], v[170:171]
	v_add_f64_e32 v[172:173], v[172:173], v[202:203]
	scratch_load_b128 v[168:171], off, off offset:640
	s_wait_loadcnt_dscnt 0xa01
	v_mul_f64_e32 v[202:203], v[4:5], v[176:177]
	v_mul_f64_e32 v[176:177], v[6:7], v[176:177]
	v_fmac_f64_e32 v[198:199], v[196:197], v[166:167]
	v_fma_f64 v[166:167], v[194:195], v[166:167], -v[200:201]
	scratch_load_b128 v[194:197], off, off offset:656
	v_add_f64_e32 v[26:27], v[26:27], v[204:205]
	v_add_f64_e32 v[172:173], v[172:173], v[206:207]
	v_fmac_f64_e32 v[202:203], v[6:7], v[174:175]
	v_fma_f64 v[176:177], v[4:5], v[174:175], -v[176:177]
	ds_load_b128 v[4:7], v2 offset:1520
	s_wait_loadcnt_dscnt 0xa01
	v_mul_f64_e32 v[204:205], v[178:179], v[10:11]
	v_mul_f64_e32 v[10:11], v[180:181], v[10:11]
	s_wait_loadcnt_dscnt 0x900
	v_mul_f64_e32 v[206:207], v[4:5], v[14:15]
	v_mul_f64_e32 v[14:15], v[6:7], v[14:15]
	v_add_f64_e32 v[26:27], v[26:27], v[166:167]
	v_add_f64_e32 v[166:167], v[172:173], v[198:199]
	scratch_load_b128 v[172:175], off, off offset:672
	ds_load_b128 v[198:201], v2 offset:1536
	v_fmac_f64_e32 v[204:205], v[180:181], v[8:9]
	v_fma_f64 v[178:179], v[178:179], v[8:9], -v[10:11]
	scratch_load_b128 v[8:11], off, off offset:688
	v_fmac_f64_e32 v[206:207], v[6:7], v[12:13]
	v_add_f64_e32 v[26:27], v[26:27], v[176:177]
	v_add_f64_e32 v[166:167], v[166:167], v[202:203]
	v_fma_f64 v[202:203], v[4:5], v[12:13], -v[14:15]
	ds_load_b128 v[4:7], v2 offset:1552
	s_wait_loadcnt_dscnt 0xa01
	v_mul_f64_e32 v[180:181], v[198:199], v[18:19]
	v_mul_f64_e32 v[18:19], v[200:201], v[18:19]
	scratch_load_b128 v[12:15], off, off offset:704
	v_add_f64_e32 v[26:27], v[26:27], v[178:179]
	v_add_f64_e32 v[166:167], v[166:167], v[204:205]
	s_wait_loadcnt_dscnt 0xa00
	v_mul_f64_e32 v[204:205], v[4:5], v[24:25]
	v_mul_f64_e32 v[24:25], v[6:7], v[24:25]
	v_fmac_f64_e32 v[180:181], v[200:201], v[16:17]
	v_fma_f64 v[198:199], v[198:199], v[16:17], -v[18:19]
	ds_load_b128 v[176:179], v2 offset:1568
	scratch_load_b128 v[16:19], off, off offset:720
	v_add_f64_e32 v[26:27], v[26:27], v[202:203]
	v_add_f64_e32 v[166:167], v[166:167], v[206:207]
	v_fmac_f64_e32 v[204:205], v[6:7], v[22:23]
	v_fma_f64 v[206:207], v[4:5], v[22:23], -v[24:25]
	ds_load_b128 v[4:7], v2 offset:1584
	s_wait_loadcnt_dscnt 0xa01
	v_mul_f64_e32 v[202:203], v[176:177], v[188:189]
	v_mul_f64_e32 v[188:189], v[178:179], v[188:189]
	scratch_load_b128 v[22:25], off, off offset:736
	v_add_f64_e32 v[26:27], v[26:27], v[198:199]
	v_add_f64_e32 v[166:167], v[166:167], v[180:181]
	s_wait_loadcnt_dscnt 0xa00
	v_mul_f64_e32 v[180:181], v[4:5], v[30:31]
	v_mul_f64_e32 v[30:31], v[6:7], v[30:31]
	ds_load_b128 v[198:201], v2 offset:1600
	v_fmac_f64_e32 v[202:203], v[178:179], v[186:187]
	v_fma_f64 v[186:187], v[176:177], v[186:187], -v[188:189]
	scratch_load_b128 v[176:179], off, off offset:752
	v_add_f64_e32 v[26:27], v[26:27], v[206:207]
	v_add_f64_e32 v[166:167], v[166:167], v[204:205]
	v_fmac_f64_e32 v[180:181], v[6:7], v[28:29]
	v_fma_f64 v[30:31], v[4:5], v[28:29], -v[30:31]
	ds_load_b128 v[4:7], v2 offset:1616
	s_wait_loadcnt_dscnt 0xa01
	v_mul_f64_e32 v[204:205], v[198:199], v[192:193]
	v_mul_f64_e32 v[192:193], v[200:201], v[192:193]
	s_wait_loadcnt_dscnt 0x900
	v_mul_f64_e32 v[208:209], v[6:7], v[164:165]
	v_add_f64_e32 v[206:207], v[26:27], v[186:187]
	v_add_f64_e32 v[166:167], v[166:167], v[202:203]
	scratch_load_b128 v[26:29], off, off offset:768
	v_mul_f64_e32 v[202:203], v[4:5], v[164:165]
	ds_load_b128 v[186:189], v2 offset:1632
	v_fmac_f64_e32 v[204:205], v[200:201], v[190:191]
	v_fma_f64 v[190:191], v[198:199], v[190:191], -v[192:193]
	v_add_f64_e32 v[30:31], v[206:207], v[30:31]
	v_add_f64_e32 v[180:181], v[166:167], v[180:181]
	scratch_load_b128 v[164:167], off, off offset:784
	v_fmac_f64_e32 v[202:203], v[6:7], v[162:163]
	v_fma_f64 v[206:207], v[4:5], v[162:163], -v[208:209]
	ds_load_b128 v[4:7], v2 offset:1648
	s_wait_loadcnt_dscnt 0xa01
	v_mul_f64_e32 v[198:199], v[186:187], v[160:161]
	v_mul_f64_e32 v[200:201], v[188:189], v[160:161]
	scratch_load_b128 v[160:163], off, off offset:800
	v_add_f64_e32 v[30:31], v[30:31], v[190:191]
	v_add_f64_e32 v[180:181], v[180:181], v[204:205]
	s_wait_loadcnt_dscnt 0xa00
	v_mul_f64_e32 v[204:205], v[4:5], v[170:171]
	v_mul_f64_e32 v[170:171], v[6:7], v[170:171]
	ds_load_b128 v[190:193], v2 offset:1664
	v_fmac_f64_e32 v[198:199], v[188:189], v[158:159]
	v_fma_f64 v[158:159], v[186:187], v[158:159], -v[200:201]
	scratch_load_b128 v[186:189], off, off offset:816
	v_add_f64_e32 v[30:31], v[30:31], v[206:207]
	v_add_f64_e32 v[180:181], v[180:181], v[202:203]
	v_fmac_f64_e32 v[204:205], v[6:7], v[168:169]
	v_fma_f64 v[206:207], v[4:5], v[168:169], -v[170:171]
	ds_load_b128 v[4:7], v2 offset:1680
	s_wait_loadcnt_dscnt 0xa01
	v_mul_f64_e32 v[200:201], v[190:191], v[196:197]
	v_mul_f64_e32 v[202:203], v[192:193], v[196:197]
	scratch_load_b128 v[168:171], off, off offset:832
	v_add_f64_e32 v[30:31], v[30:31], v[158:159]
	v_add_f64_e32 v[158:159], v[180:181], v[198:199]
	s_wait_loadcnt_dscnt 0xa00
	v_mul_f64_e32 v[180:181], v[4:5], v[174:175]
	v_mul_f64_e32 v[174:175], v[6:7], v[174:175]
	ds_load_b128 v[196:199], v2 offset:1696
	v_fmac_f64_e32 v[200:201], v[192:193], v[194:195]
	v_fma_f64 v[194:195], v[190:191], v[194:195], -v[202:203]
	scratch_load_b128 v[190:193], off, off offset:848
	v_add_f64_e32 v[30:31], v[30:31], v[206:207]
	v_add_f64_e32 v[158:159], v[158:159], v[204:205]
	v_fmac_f64_e32 v[180:181], v[6:7], v[172:173]
	v_fma_f64 v[206:207], v[4:5], v[172:173], -v[174:175]
	ds_load_b128 v[4:7], v2 offset:1712
	s_wait_loadcnt_dscnt 0xa01
	v_mul_f64_e32 v[204:205], v[196:197], v[10:11]
	v_mul_f64_e32 v[10:11], v[198:199], v[10:11]
	scratch_load_b128 v[172:175], off, off offset:864
	s_wait_loadcnt_dscnt 0xa00
	v_mul_f64_e32 v[208:209], v[4:5], v[14:15]
	v_mul_f64_e32 v[14:15], v[6:7], v[14:15]
	v_add_f64_e32 v[30:31], v[30:31], v[194:195]
	v_add_f64_e32 v[158:159], v[158:159], v[200:201]
	ds_load_b128 v[200:203], v2 offset:1728
	v_fmac_f64_e32 v[204:205], v[198:199], v[8:9]
	v_fma_f64 v[194:195], v[196:197], v[8:9], -v[10:11]
	scratch_load_b128 v[8:11], off, off offset:880
	v_fmac_f64_e32 v[208:209], v[6:7], v[12:13]
	v_fma_f64 v[198:199], v[4:5], v[12:13], -v[14:15]
	ds_load_b128 v[4:7], v2 offset:1744
	scratch_load_b128 v[12:15], off, off offset:896
	v_add_f64_e32 v[30:31], v[30:31], v[206:207]
	v_add_f64_e32 v[158:159], v[158:159], v[180:181]
	s_wait_loadcnt_dscnt 0xb01
	v_mul_f64_e32 v[180:181], v[200:201], v[18:19]
	v_mul_f64_e32 v[18:19], v[202:203], v[18:19]
	s_delay_alu instid0(VALU_DEP_4) | instskip(NEXT) | instid1(VALU_DEP_4)
	v_add_f64_e32 v[30:31], v[30:31], v[194:195]
	v_add_f64_e32 v[158:159], v[158:159], v[204:205]
	s_wait_loadcnt_dscnt 0xa00
	v_mul_f64_e32 v[204:205], v[4:5], v[24:25]
	v_mul_f64_e32 v[24:25], v[6:7], v[24:25]
	v_fmac_f64_e32 v[180:181], v[202:203], v[16:17]
	v_fma_f64 v[200:201], v[200:201], v[16:17], -v[18:19]
	ds_load_b128 v[194:197], v2 offset:1760
	scratch_load_b128 v[16:19], off, off offset:912
	v_add_f64_e32 v[30:31], v[30:31], v[198:199]
	v_add_f64_e32 v[158:159], v[158:159], v[208:209]
	v_fmac_f64_e32 v[204:205], v[6:7], v[22:23]
	v_fma_f64 v[206:207], v[4:5], v[22:23], -v[24:25]
	ds_load_b128 v[4:7], v2 offset:1776
	s_wait_loadcnt_dscnt 0xa01
	v_mul_f64_e32 v[198:199], v[194:195], v[178:179]
	v_mul_f64_e32 v[202:203], v[196:197], v[178:179]
	scratch_load_b128 v[22:25], off, off offset:928
	v_add_f64_e32 v[30:31], v[30:31], v[200:201]
	v_add_f64_e32 v[158:159], v[158:159], v[180:181]
	s_wait_loadcnt_dscnt 0xa00
	v_mul_f64_e32 v[208:209], v[4:5], v[28:29]
	v_mul_f64_e32 v[200:201], v[6:7], v[28:29]
	ds_load_b128 v[178:181], v2 offset:1792
	v_fmac_f64_e32 v[198:199], v[196:197], v[176:177]
	v_fma_f64 v[176:177], v[194:195], v[176:177], -v[202:203]
	v_add_f64_e32 v[194:195], v[30:31], v[206:207]
	v_add_f64_e32 v[158:159], v[158:159], v[204:205]
	scratch_load_b128 v[28:31], off, off offset:944
	v_fmac_f64_e32 v[208:209], v[6:7], v[26:27]
	v_fma_f64 v[26:27], v[4:5], v[26:27], -v[200:201]
	ds_load_b128 v[4:7], v2 offset:1808
	s_wait_loadcnt_dscnt 0xa01
	v_mul_f64_e32 v[202:203], v[178:179], v[166:167]
	v_mul_f64_e32 v[166:167], v[180:181], v[166:167]
	s_wait_loadcnt_dscnt 0x900
	v_mul_f64_e32 v[204:205], v[4:5], v[162:163]
	v_mul_f64_e32 v[206:207], v[6:7], v[162:163]
	v_add_f64_e32 v[176:177], v[194:195], v[176:177]
	v_add_f64_e32 v[158:159], v[158:159], v[198:199]
	scratch_load_b128 v[194:197], off, off offset:960
	ds_load_b128 v[198:201], v2 offset:1824
	v_fmac_f64_e32 v[202:203], v[180:181], v[164:165]
	v_fma_f64 v[166:167], v[178:179], v[164:165], -v[166:167]
	scratch_load_b128 v[162:165], off, off offset:976
	v_fmac_f64_e32 v[204:205], v[6:7], v[160:161]
	v_fma_f64 v[206:207], v[4:5], v[160:161], -v[206:207]
	ds_load_b128 v[4:7], v2 offset:1840
	s_wait_loadcnt_dscnt 0xa01
	v_mul_f64_e32 v[180:181], v[198:199], v[188:189]
	v_mul_f64_e32 v[188:189], v[200:201], v[188:189]
	v_add_f64_e32 v[26:27], v[176:177], v[26:27]
	v_add_f64_e32 v[158:159], v[158:159], v[208:209]
	ds_load_b128 v[176:179], v2 offset:1856
	v_fmac_f64_e32 v[180:181], v[200:201], v[186:187]
	v_fma_f64 v[186:187], v[198:199], v[186:187], -v[188:189]
	v_add_f64_e32 v[26:27], v[26:27], v[166:167]
	v_add_f64_e32 v[166:167], v[158:159], v[202:203]
	scratch_load_b128 v[158:161], off, off offset:992
	s_wait_loadcnt_dscnt 0xa01
	v_mul_f64_e32 v[202:203], v[4:5], v[170:171]
	v_mul_f64_e32 v[170:171], v[6:7], v[170:171]
	s_wait_loadcnt_dscnt 0x900
	v_mul_f64_e32 v[188:189], v[176:177], v[192:193]
	v_mul_f64_e32 v[192:193], v[178:179], v[192:193]
	v_add_f64_e32 v[26:27], v[26:27], v[206:207]
	v_add_f64_e32 v[166:167], v[166:167], v[204:205]
	v_fmac_f64_e32 v[202:203], v[6:7], v[168:169]
	v_fma_f64 v[170:171], v[4:5], v[168:169], -v[170:171]
	v_fmac_f64_e32 v[188:189], v[178:179], v[190:191]
	v_fma_f64 v[176:177], v[176:177], v[190:191], -v[192:193]
	v_add_f64_e32 v[26:27], v[26:27], v[186:187]
	v_add_f64_e32 v[180:181], v[166:167], v[180:181]
	ds_load_b128 v[4:7], v2 offset:1872
	ds_load_b128 v[166:169], v2 offset:1888
	s_wait_loadcnt_dscnt 0x801
	v_mul_f64_e32 v[186:187], v[4:5], v[174:175]
	v_mul_f64_e32 v[174:175], v[6:7], v[174:175]
	s_wait_loadcnt_dscnt 0x700
	v_mul_f64_e32 v[178:179], v[166:167], v[10:11]
	v_mul_f64_e32 v[10:11], v[168:169], v[10:11]
	v_add_f64_e32 v[26:27], v[26:27], v[170:171]
	v_add_f64_e32 v[170:171], v[180:181], v[202:203]
	v_fmac_f64_e32 v[186:187], v[6:7], v[172:173]
	v_fma_f64 v[174:175], v[4:5], v[172:173], -v[174:175]
	v_fmac_f64_e32 v[178:179], v[168:169], v[8:9]
	v_fma_f64 v[8:9], v[166:167], v[8:9], -v[10:11]
	v_add_f64_e32 v[26:27], v[26:27], v[176:177]
	v_add_f64_e32 v[176:177], v[170:171], v[188:189]
	ds_load_b128 v[4:7], v2 offset:1904
	ds_load_b128 v[170:173], v2 offset:1920
	;; [unrolled: 16-line block ×3, first 2 shown]
	s_wait_loadcnt_dscnt 0x401
	v_mul_f64_e32 v[168:169], v[4:5], v[24:25]
	v_mul_f64_e32 v[24:25], v[6:7], v[24:25]
	v_add_f64_e32 v[12:13], v[14:15], v[12:13]
	v_add_f64_e32 v[14:15], v[26:27], v[180:181]
	s_wait_loadcnt_dscnt 0x300
	v_mul_f64_e32 v[18:19], v[8:9], v[30:31]
	v_mul_f64_e32 v[26:27], v[10:11], v[30:31]
	v_fmac_f64_e32 v[168:169], v[6:7], v[22:23]
	v_fma_f64 v[22:23], v[4:5], v[22:23], -v[24:25]
	v_add_f64_e32 v[16:17], v[12:13], v[16:17]
	v_add_f64_e32 v[24:25], v[14:15], v[166:167]
	ds_load_b128 v[4:7], v2 offset:1968
	ds_load_b128 v[12:15], v2 offset:1984
	v_fmac_f64_e32 v[18:19], v[10:11], v[28:29]
	v_fma_f64 v[8:9], v[8:9], v[28:29], -v[26:27]
	s_wait_loadcnt_dscnt 0x201
	v_mul_f64_e32 v[30:31], v[4:5], v[196:197]
	v_mul_f64_e32 v[166:167], v[6:7], v[196:197]
	v_add_f64_e32 v[10:11], v[16:17], v[22:23]
	v_add_f64_e32 v[16:17], v[24:25], v[168:169]
	s_wait_loadcnt_dscnt 0x100
	v_mul_f64_e32 v[22:23], v[12:13], v[164:165]
	v_mul_f64_e32 v[24:25], v[14:15], v[164:165]
	v_fmac_f64_e32 v[30:31], v[6:7], v[194:195]
	v_fma_f64 v[26:27], v[4:5], v[194:195], -v[166:167]
	ds_load_b128 v[4:7], v2 offset:2000
	v_add_f64_e32 v[8:9], v[10:11], v[8:9]
	v_add_f64_e32 v[10:11], v[16:17], v[18:19]
	v_fmac_f64_e32 v[22:23], v[14:15], v[162:163]
	v_fma_f64 v[12:13], v[12:13], v[162:163], -v[24:25]
	s_wait_loadcnt_dscnt 0x0
	v_mul_f64_e32 v[16:17], v[4:5], v[160:161]
	v_mul_f64_e32 v[18:19], v[6:7], v[160:161]
	v_add_f64_e32 v[8:9], v[8:9], v[26:27]
	v_add_f64_e32 v[10:11], v[10:11], v[30:31]
	s_delay_alu instid0(VALU_DEP_4) | instskip(NEXT) | instid1(VALU_DEP_4)
	v_fmac_f64_e32 v[16:17], v[6:7], v[158:159]
	v_fma_f64 v[4:5], v[4:5], v[158:159], -v[18:19]
	s_delay_alu instid0(VALU_DEP_4) | instskip(NEXT) | instid1(VALU_DEP_4)
	v_add_f64_e32 v[6:7], v[8:9], v[12:13]
	v_add_f64_e32 v[8:9], v[10:11], v[22:23]
	s_delay_alu instid0(VALU_DEP_2) | instskip(NEXT) | instid1(VALU_DEP_2)
	v_add_f64_e32 v[4:5], v[6:7], v[4:5]
	v_add_f64_e32 v[6:7], v[8:9], v[16:17]
	s_delay_alu instid0(VALU_DEP_2) | instskip(NEXT) | instid1(VALU_DEP_2)
	v_add_f64_e64 v[4:5], v[182:183], -v[4:5]
	v_add_f64_e64 v[6:7], v[184:185], -v[6:7]
	scratch_store_b128 off, v[4:7], off offset:80
	s_wait_xcnt 0x0
	v_cmpx_lt_u32_e32 4, v1
	s_cbranch_execz .LBB126_395
; %bb.394:
	scratch_load_b128 v[6:9], off, s14
	v_dual_mov_b32 v3, v2 :: v_dual_mov_b32 v4, v2
	v_mov_b32_e32 v5, v2
	scratch_store_b128 off, v[2:5], off offset:64
	s_wait_loadcnt 0x0
	ds_store_b128 v20, v[6:9]
.LBB126_395:
	s_wait_xcnt 0x0
	s_or_b32 exec_lo, exec_lo, s2
	s_wait_storecnt_dscnt 0x0
	s_barrier_signal -1
	s_barrier_wait -1
	s_clause 0x9
	scratch_load_b128 v[4:7], off, off offset:80
	scratch_load_b128 v[8:11], off, off offset:96
	;; [unrolled: 1-line block ×10, first 2 shown]
	ds_load_b128 v[174:177], v2 offset:1088
	ds_load_b128 v[182:185], v2 offset:1104
	s_clause 0x2
	scratch_load_b128 v[178:181], off, off offset:240
	scratch_load_b128 v[186:189], off, off offset:64
	;; [unrolled: 1-line block ×3, first 2 shown]
	s_mov_b32 s2, exec_lo
	s_wait_loadcnt_dscnt 0xc01
	v_mul_f64_e32 v[30:31], v[176:177], v[6:7]
	v_mul_f64_e32 v[198:199], v[174:175], v[6:7]
	s_wait_loadcnt_dscnt 0xb00
	v_mul_f64_e32 v[200:201], v[182:183], v[10:11]
	v_mul_f64_e32 v[10:11], v[184:185], v[10:11]
	s_delay_alu instid0(VALU_DEP_4) | instskip(NEXT) | instid1(VALU_DEP_4)
	v_fma_f64 v[30:31], v[174:175], v[4:5], -v[30:31]
	v_fmac_f64_e32 v[198:199], v[176:177], v[4:5]
	ds_load_b128 v[4:7], v2 offset:1120
	ds_load_b128 v[174:177], v2 offset:1136
	scratch_load_b128 v[194:197], off, off offset:272
	v_fmac_f64_e32 v[200:201], v[184:185], v[8:9]
	v_fma_f64 v[182:183], v[182:183], v[8:9], -v[10:11]
	scratch_load_b128 v[8:11], off, off offset:288
	s_wait_loadcnt_dscnt 0xc01
	v_mul_f64_e32 v[202:203], v[4:5], v[14:15]
	v_mul_f64_e32 v[14:15], v[6:7], v[14:15]
	v_add_f64_e32 v[30:31], 0, v[30:31]
	v_add_f64_e32 v[184:185], 0, v[198:199]
	s_wait_loadcnt_dscnt 0xb00
	v_mul_f64_e32 v[198:199], v[174:175], v[18:19]
	v_mul_f64_e32 v[18:19], v[176:177], v[18:19]
	v_fmac_f64_e32 v[202:203], v[6:7], v[12:13]
	v_fma_f64 v[204:205], v[4:5], v[12:13], -v[14:15]
	ds_load_b128 v[4:7], v2 offset:1152
	ds_load_b128 v[12:15], v2 offset:1168
	v_add_f64_e32 v[30:31], v[30:31], v[182:183]
	v_add_f64_e32 v[200:201], v[184:185], v[200:201]
	scratch_load_b128 v[182:185], off, off offset:304
	v_fmac_f64_e32 v[198:199], v[176:177], v[16:17]
	v_fma_f64 v[174:175], v[174:175], v[16:17], -v[18:19]
	scratch_load_b128 v[16:19], off, off offset:320
	s_wait_loadcnt_dscnt 0xc01
	v_mul_f64_e32 v[206:207], v[4:5], v[24:25]
	v_mul_f64_e32 v[24:25], v[6:7], v[24:25]
	v_add_f64_e32 v[30:31], v[30:31], v[204:205]
	v_add_f64_e32 v[176:177], v[200:201], v[202:203]
	s_wait_loadcnt_dscnt 0xb00
	v_mul_f64_e32 v[200:201], v[12:13], v[28:29]
	v_mul_f64_e32 v[202:203], v[14:15], v[28:29]
	v_fmac_f64_e32 v[206:207], v[6:7], v[22:23]
	v_fma_f64 v[204:205], v[4:5], v[22:23], -v[24:25]
	ds_load_b128 v[4:7], v2 offset:1184
	ds_load_b128 v[22:25], v2 offset:1200
	v_add_f64_e32 v[174:175], v[30:31], v[174:175]
	v_add_f64_e32 v[176:177], v[176:177], v[198:199]
	scratch_load_b128 v[28:31], off, off offset:336
	s_wait_loadcnt_dscnt 0xb01
	v_mul_f64_e32 v[198:199], v[4:5], v[160:161]
	v_mul_f64_e32 v[160:161], v[6:7], v[160:161]
	v_fmac_f64_e32 v[200:201], v[14:15], v[26:27]
	v_fma_f64 v[26:27], v[12:13], v[26:27], -v[202:203]
	scratch_load_b128 v[12:15], off, off offset:352
	s_wait_loadcnt_dscnt 0xb00
	v_mul_f64_e32 v[202:203], v[22:23], v[164:165]
	v_mul_f64_e32 v[164:165], v[24:25], v[164:165]
	v_add_f64_e32 v[174:175], v[174:175], v[204:205]
	v_add_f64_e32 v[176:177], v[176:177], v[206:207]
	v_fmac_f64_e32 v[198:199], v[6:7], v[158:159]
	v_fma_f64 v[204:205], v[4:5], v[158:159], -v[160:161]
	ds_load_b128 v[4:7], v2 offset:1216
	ds_load_b128 v[158:161], v2 offset:1232
	v_fmac_f64_e32 v[202:203], v[24:25], v[162:163]
	v_fma_f64 v[162:163], v[22:23], v[162:163], -v[164:165]
	scratch_load_b128 v[22:25], off, off offset:384
	s_wait_loadcnt_dscnt 0xb01
	v_mul_f64_e32 v[206:207], v[4:5], v[168:169]
	v_mul_f64_e32 v[168:169], v[6:7], v[168:169]
	v_add_f64_e32 v[26:27], v[174:175], v[26:27]
	v_add_f64_e32 v[200:201], v[176:177], v[200:201]
	scratch_load_b128 v[174:177], off, off offset:368
	v_fmac_f64_e32 v[206:207], v[6:7], v[166:167]
	v_add_f64_e32 v[26:27], v[26:27], v[204:205]
	v_add_f64_e32 v[164:165], v[200:201], v[198:199]
	s_wait_loadcnt_dscnt 0xb00
	v_mul_f64_e32 v[198:199], v[158:159], v[172:173]
	v_mul_f64_e32 v[172:173], v[160:161], v[172:173]
	v_fma_f64 v[200:201], v[4:5], v[166:167], -v[168:169]
	v_add_f64_e32 v[26:27], v[26:27], v[162:163]
	v_add_f64_e32 v[202:203], v[164:165], v[202:203]
	ds_load_b128 v[4:7], v2 offset:1248
	ds_load_b128 v[162:165], v2 offset:1264
	scratch_load_b128 v[166:169], off, off offset:400
	v_fmac_f64_e32 v[198:199], v[160:161], v[170:171]
	v_fma_f64 v[170:171], v[158:159], v[170:171], -v[172:173]
	scratch_load_b128 v[158:161], off, off offset:416
	s_wait_loadcnt_dscnt 0xc01
	v_mul_f64_e32 v[204:205], v[4:5], v[180:181]
	v_mul_f64_e32 v[180:181], v[6:7], v[180:181]
	v_add_f64_e32 v[26:27], v[26:27], v[200:201]
	v_add_f64_e32 v[172:173], v[202:203], v[206:207]
	s_wait_loadcnt_dscnt 0xa00
	v_mul_f64_e32 v[200:201], v[162:163], v[192:193]
	v_mul_f64_e32 v[192:193], v[164:165], v[192:193]
	v_fmac_f64_e32 v[204:205], v[6:7], v[178:179]
	v_fma_f64 v[202:203], v[4:5], v[178:179], -v[180:181]
	v_add_f64_e32 v[26:27], v[26:27], v[170:171]
	v_add_f64_e32 v[198:199], v[172:173], v[198:199]
	ds_load_b128 v[4:7], v2 offset:1280
	ds_load_b128 v[170:173], v2 offset:1296
	scratch_load_b128 v[178:181], off, off offset:432
	v_fmac_f64_e32 v[200:201], v[164:165], v[190:191]
	v_fma_f64 v[190:191], v[162:163], v[190:191], -v[192:193]
	scratch_load_b128 v[162:165], off, off offset:448
	s_wait_loadcnt_dscnt 0xb01
	v_mul_f64_e32 v[206:207], v[4:5], v[196:197]
	v_mul_f64_e32 v[196:197], v[6:7], v[196:197]
	v_add_f64_e32 v[26:27], v[26:27], v[202:203]
	v_add_f64_e32 v[192:193], v[198:199], v[204:205]
	s_wait_loadcnt_dscnt 0xa00
	v_mul_f64_e32 v[198:199], v[170:171], v[10:11]
	v_mul_f64_e32 v[10:11], v[172:173], v[10:11]
	v_fmac_f64_e32 v[206:207], v[6:7], v[194:195]
	;; [unrolled: 18-line block ×4, first 2 shown]
	v_fma_f64 v[30:31], v[4:5], v[28:29], -v[30:31]
	v_add_f64_e32 v[202:203], v[26:27], v[190:191]
	v_add_f64_e32 v[200:201], v[192:193], v[200:201]
	ds_load_b128 v[4:7], v2 offset:1376
	ds_load_b128 v[26:29], v2 offset:1392
	scratch_load_b128 v[190:193], off, off offset:528
	v_fmac_f64_e32 v[198:199], v[172:173], v[12:13]
	v_fma_f64 v[170:171], v[170:171], v[12:13], -v[14:15]
	scratch_load_b128 v[12:15], off, off offset:544
	s_wait_loadcnt_dscnt 0xa01
	v_mul_f64_e32 v[204:205], v[4:5], v[176:177]
	v_mul_f64_e32 v[176:177], v[6:7], v[176:177]
	v_add_f64_e32 v[30:31], v[202:203], v[30:31]
	v_add_f64_e32 v[172:173], v[200:201], v[206:207]
	s_wait_dscnt 0x0
	v_mul_f64_e32 v[200:201], v[26:27], v[24:25]
	v_mul_f64_e32 v[24:25], v[28:29], v[24:25]
	v_fmac_f64_e32 v[204:205], v[6:7], v[174:175]
	v_fma_f64 v[202:203], v[4:5], v[174:175], -v[176:177]
	v_add_f64_e32 v[30:31], v[30:31], v[170:171]
	v_add_f64_e32 v[198:199], v[172:173], v[198:199]
	ds_load_b128 v[4:7], v2 offset:1408
	ds_load_b128 v[170:173], v2 offset:1424
	scratch_load_b128 v[174:177], off, off offset:560
	v_fmac_f64_e32 v[200:201], v[28:29], v[22:23]
	v_fma_f64 v[26:27], v[26:27], v[22:23], -v[24:25]
	scratch_load_b128 v[22:25], off, off offset:576
	s_wait_loadcnt_dscnt 0xb01
	v_mul_f64_e32 v[206:207], v[4:5], v[168:169]
	v_mul_f64_e32 v[168:169], v[6:7], v[168:169]
	v_add_f64_e32 v[28:29], v[30:31], v[202:203]
	v_add_f64_e32 v[30:31], v[198:199], v[204:205]
	s_wait_loadcnt_dscnt 0xa00
	v_mul_f64_e32 v[198:199], v[170:171], v[160:161]
	v_mul_f64_e32 v[160:161], v[172:173], v[160:161]
	v_fmac_f64_e32 v[206:207], v[6:7], v[166:167]
	v_fma_f64 v[202:203], v[4:5], v[166:167], -v[168:169]
	v_add_f64_e32 v[204:205], v[28:29], v[26:27]
	v_add_f64_e32 v[30:31], v[30:31], v[200:201]
	ds_load_b128 v[4:7], v2 offset:1440
	ds_load_b128 v[26:29], v2 offset:1456
	scratch_load_b128 v[166:169], off, off offset:592
	v_fmac_f64_e32 v[198:199], v[172:173], v[158:159]
	v_fma_f64 v[170:171], v[170:171], v[158:159], -v[160:161]
	scratch_load_b128 v[158:161], off, off offset:608
	s_wait_loadcnt_dscnt 0xb01
	v_mul_f64_e32 v[200:201], v[4:5], v[180:181]
	v_mul_f64_e32 v[180:181], v[6:7], v[180:181]
	v_add_f64_e32 v[172:173], v[204:205], v[202:203]
	v_add_f64_e32 v[30:31], v[30:31], v[206:207]
	s_wait_loadcnt_dscnt 0xa00
	;; [unrolled: 18-line block ×7, first 2 shown]
	v_mul_f64_e32 v[198:199], v[170:171], v[160:161]
	v_mul_f64_e32 v[204:205], v[172:173], v[160:161]
	v_fmac_f64_e32 v[202:203], v[6:7], v[166:167]
	v_fma_f64 v[168:169], v[4:5], v[166:167], -v[168:169]
	v_add_f64_e32 v[206:207], v[164:165], v[162:163]
	v_add_f64_e32 v[30:31], v[30:31], v[200:201]
	ds_load_b128 v[4:7], v2 offset:1632
	ds_load_b128 v[160:163], v2 offset:1648
	scratch_load_b128 v[164:167], off, off offset:784
	v_fmac_f64_e32 v[198:199], v[172:173], v[158:159]
	v_fma_f64 v[158:159], v[170:171], v[158:159], -v[204:205]
	s_wait_loadcnt_dscnt 0xa01
	v_mul_f64_e32 v[200:201], v[4:5], v[180:181]
	v_mul_f64_e32 v[180:181], v[6:7], v[180:181]
	s_wait_loadcnt_dscnt 0x900
	v_mul_f64_e32 v[204:205], v[162:163], v[28:29]
	v_add_f64_e32 v[172:173], v[206:207], v[168:169]
	v_add_f64_e32 v[30:31], v[30:31], v[202:203]
	scratch_load_b128 v[168:171], off, off offset:800
	v_mul_f64_e32 v[202:203], v[160:161], v[28:29]
	v_fmac_f64_e32 v[200:201], v[6:7], v[178:179]
	v_fma_f64 v[206:207], v[4:5], v[178:179], -v[180:181]
	v_add_f64_e32 v[158:159], v[172:173], v[158:159]
	v_add_f64_e32 v[172:173], v[30:31], v[198:199]
	ds_load_b128 v[4:7], v2 offset:1664
	ds_load_b128 v[28:31], v2 offset:1680
	scratch_load_b128 v[178:181], off, off offset:816
	v_fmac_f64_e32 v[202:203], v[162:163], v[26:27]
	v_fma_f64 v[26:27], v[160:161], v[26:27], -v[204:205]
	s_wait_loadcnt_dscnt 0xa01
	v_mul_f64_e32 v[208:209], v[4:5], v[196:197]
	v_mul_f64_e32 v[196:197], v[6:7], v[196:197]
	s_wait_loadcnt_dscnt 0x900
	v_mul_f64_e32 v[204:205], v[28:29], v[10:11]
	v_mul_f64_e32 v[10:11], v[30:31], v[10:11]
	v_add_f64_e32 v[162:163], v[158:159], v[206:207]
	v_add_f64_e32 v[172:173], v[172:173], v[200:201]
	scratch_load_b128 v[158:161], off, off offset:832
	v_fmac_f64_e32 v[208:209], v[6:7], v[194:195]
	v_fma_f64 v[206:207], v[4:5], v[194:195], -v[196:197]
	ds_load_b128 v[4:7], v2 offset:1696
	ds_load_b128 v[194:197], v2 offset:1712
	scratch_load_b128 v[198:201], off, off offset:848
	v_fmac_f64_e32 v[204:205], v[30:31], v[8:9]
	v_fma_f64 v[28:29], v[28:29], v[8:9], -v[10:11]
	scratch_load_b128 v[8:11], off, off offset:864
	v_add_f64_e32 v[26:27], v[162:163], v[26:27]
	v_add_f64_e32 v[162:163], v[172:173], v[202:203]
	s_wait_loadcnt_dscnt 0xb01
	v_mul_f64_e32 v[172:173], v[4:5], v[184:185]
	v_mul_f64_e32 v[184:185], v[6:7], v[184:185]
	s_delay_alu instid0(VALU_DEP_4) | instskip(NEXT) | instid1(VALU_DEP_4)
	v_add_f64_e32 v[26:27], v[26:27], v[206:207]
	v_add_f64_e32 v[30:31], v[162:163], v[208:209]
	s_wait_loadcnt_dscnt 0xa00
	v_mul_f64_e32 v[162:163], v[194:195], v[18:19]
	v_mul_f64_e32 v[18:19], v[196:197], v[18:19]
	v_fmac_f64_e32 v[172:173], v[6:7], v[182:183]
	v_fma_f64 v[202:203], v[4:5], v[182:183], -v[184:185]
	v_add_f64_e32 v[206:207], v[26:27], v[28:29]
	v_add_f64_e32 v[30:31], v[30:31], v[204:205]
	ds_load_b128 v[4:7], v2 offset:1728
	ds_load_b128 v[26:29], v2 offset:1744
	scratch_load_b128 v[182:185], off, off offset:880
	v_fmac_f64_e32 v[162:163], v[196:197], v[16:17]
	v_fma_f64 v[194:195], v[194:195], v[16:17], -v[18:19]
	scratch_load_b128 v[16:19], off, off offset:896
	s_wait_loadcnt_dscnt 0xb01
	v_mul_f64_e32 v[204:205], v[4:5], v[192:193]
	v_mul_f64_e32 v[192:193], v[6:7], v[192:193]
	v_add_f64_e32 v[196:197], v[206:207], v[202:203]
	v_add_f64_e32 v[30:31], v[30:31], v[172:173]
	s_wait_loadcnt_dscnt 0xa00
	v_mul_f64_e32 v[172:173], v[26:27], v[14:15]
	v_mul_f64_e32 v[14:15], v[28:29], v[14:15]
	v_fmac_f64_e32 v[204:205], v[6:7], v[190:191]
	v_fma_f64 v[202:203], v[4:5], v[190:191], -v[192:193]
	ds_load_b128 v[4:7], v2 offset:1760
	ds_load_b128 v[190:193], v2 offset:1776
	v_add_f64_e32 v[206:207], v[196:197], v[194:195]
	v_add_f64_e32 v[30:31], v[30:31], v[162:163]
	scratch_load_b128 v[194:197], off, off offset:912
	v_fmac_f64_e32 v[172:173], v[28:29], v[12:13]
	v_fma_f64 v[26:27], v[26:27], v[12:13], -v[14:15]
	scratch_load_b128 v[12:15], off, off offset:928
	s_wait_loadcnt_dscnt 0xb01
	v_mul_f64_e32 v[162:163], v[4:5], v[176:177]
	v_mul_f64_e32 v[176:177], v[6:7], v[176:177]
	v_add_f64_e32 v[28:29], v[206:207], v[202:203]
	v_add_f64_e32 v[30:31], v[30:31], v[204:205]
	s_wait_loadcnt_dscnt 0xa00
	v_mul_f64_e32 v[202:203], v[190:191], v[24:25]
	v_mul_f64_e32 v[204:205], v[192:193], v[24:25]
	v_fmac_f64_e32 v[162:163], v[6:7], v[174:175]
	v_fma_f64 v[174:175], v[4:5], v[174:175], -v[176:177]
	v_add_f64_e32 v[176:177], v[28:29], v[26:27]
	v_add_f64_e32 v[172:173], v[30:31], v[172:173]
	ds_load_b128 v[4:7], v2 offset:1792
	ds_load_b128 v[24:27], v2 offset:1808
	scratch_load_b128 v[28:31], off, off offset:944
	v_fmac_f64_e32 v[202:203], v[192:193], v[22:23]
	v_fma_f64 v[22:23], v[190:191], v[22:23], -v[204:205]
	s_wait_loadcnt_dscnt 0xa01
	v_mul_f64_e32 v[206:207], v[4:5], v[166:167]
	v_mul_f64_e32 v[166:167], v[6:7], v[166:167]
	v_add_f64_e32 v[176:177], v[176:177], v[174:175]
	v_add_f64_e32 v[162:163], v[172:173], v[162:163]
	scratch_load_b128 v[172:175], off, off offset:960
	s_wait_loadcnt_dscnt 0xa00
	v_mul_f64_e32 v[204:205], v[24:25], v[170:171]
	v_mul_f64_e32 v[170:171], v[26:27], v[170:171]
	v_fmac_f64_e32 v[206:207], v[6:7], v[164:165]
	v_fma_f64 v[166:167], v[4:5], v[164:165], -v[166:167]
	v_add_f64_e32 v[22:23], v[176:177], v[22:23]
	v_add_f64_e32 v[176:177], v[162:163], v[202:203]
	ds_load_b128 v[4:7], v2 offset:1824
	ds_load_b128 v[162:165], v2 offset:1840
	scratch_load_b128 v[190:193], off, off offset:976
	v_fmac_f64_e32 v[204:205], v[26:27], v[168:169]
	v_fma_f64 v[26:27], v[24:25], v[168:169], -v[170:171]
	s_wait_loadcnt_dscnt 0xa01
	v_mul_f64_e32 v[202:203], v[4:5], v[180:181]
	v_mul_f64_e32 v[180:181], v[6:7], v[180:181]
	v_add_f64_e32 v[166:167], v[22:23], v[166:167]
	v_add_f64_e32 v[168:169], v[176:177], v[206:207]
	scratch_load_b128 v[22:25], off, off offset:992
	s_wait_loadcnt_dscnt 0xa00
	v_mul_f64_e32 v[170:171], v[162:163], v[160:161]
	v_mul_f64_e32 v[160:161], v[164:165], v[160:161]
	v_fmac_f64_e32 v[202:203], v[6:7], v[178:179]
	v_fma_f64 v[176:177], v[4:5], v[178:179], -v[180:181]
	v_add_f64_e32 v[26:27], v[166:167], v[26:27]
	v_add_f64_e32 v[178:179], v[168:169], v[204:205]
	ds_load_b128 v[4:7], v2 offset:1856
	ds_load_b128 v[166:169], v2 offset:1872
	v_fmac_f64_e32 v[170:171], v[164:165], v[158:159]
	v_fma_f64 v[158:159], v[162:163], v[158:159], -v[160:161]
	s_wait_loadcnt_dscnt 0x901
	v_mul_f64_e32 v[180:181], v[4:5], v[200:201]
	v_mul_f64_e32 v[200:201], v[6:7], v[200:201]
	s_wait_loadcnt_dscnt 0x800
	v_mul_f64_e32 v[162:163], v[166:167], v[10:11]
	v_mul_f64_e32 v[10:11], v[168:169], v[10:11]
	v_add_f64_e32 v[26:27], v[26:27], v[176:177]
	v_add_f64_e32 v[160:161], v[178:179], v[202:203]
	v_fmac_f64_e32 v[180:181], v[6:7], v[198:199]
	v_fma_f64 v[164:165], v[4:5], v[198:199], -v[200:201]
	v_fmac_f64_e32 v[162:163], v[168:169], v[8:9]
	v_fma_f64 v[8:9], v[166:167], v[8:9], -v[10:11]
	v_add_f64_e32 v[26:27], v[26:27], v[158:159]
	v_add_f64_e32 v[170:171], v[160:161], v[170:171]
	ds_load_b128 v[4:7], v2 offset:1888
	ds_load_b128 v[158:161], v2 offset:1904
	s_wait_loadcnt_dscnt 0x701
	v_mul_f64_e32 v[176:177], v[4:5], v[184:185]
	v_mul_f64_e32 v[178:179], v[6:7], v[184:185]
	v_add_f64_e32 v[10:11], v[26:27], v[164:165]
	v_add_f64_e32 v[26:27], v[170:171], v[180:181]
	s_wait_loadcnt_dscnt 0x600
	v_mul_f64_e32 v[164:165], v[158:159], v[18:19]
	v_mul_f64_e32 v[18:19], v[160:161], v[18:19]
	v_fmac_f64_e32 v[176:177], v[6:7], v[182:183]
	v_fma_f64 v[166:167], v[4:5], v[182:183], -v[178:179]
	v_add_f64_e32 v[168:169], v[10:11], v[8:9]
	v_add_f64_e32 v[26:27], v[26:27], v[162:163]
	ds_load_b128 v[4:7], v2 offset:1920
	ds_load_b128 v[8:11], v2 offset:1936
	v_fmac_f64_e32 v[164:165], v[160:161], v[16:17]
	v_fma_f64 v[16:17], v[158:159], v[16:17], -v[18:19]
	s_wait_loadcnt_dscnt 0x501
	v_mul_f64_e32 v[162:163], v[4:5], v[196:197]
	v_mul_f64_e32 v[170:171], v[6:7], v[196:197]
	s_wait_loadcnt_dscnt 0x400
	v_mul_f64_e32 v[158:159], v[8:9], v[14:15]
	v_mul_f64_e32 v[160:161], v[10:11], v[14:15]
	v_add_f64_e32 v[18:19], v[168:169], v[166:167]
	v_add_f64_e32 v[26:27], v[26:27], v[176:177]
	v_fmac_f64_e32 v[162:163], v[6:7], v[194:195]
	v_fma_f64 v[166:167], v[4:5], v[194:195], -v[170:171]
	v_fmac_f64_e32 v[158:159], v[10:11], v[12:13]
	v_fma_f64 v[8:9], v[8:9], v[12:13], -v[160:161]
	v_add_f64_e32 v[18:19], v[18:19], v[16:17]
	v_add_f64_e32 v[26:27], v[26:27], v[164:165]
	ds_load_b128 v[4:7], v2 offset:1952
	ds_load_b128 v[14:17], v2 offset:1968
	s_wait_loadcnt_dscnt 0x301
	v_mul_f64_e32 v[164:165], v[4:5], v[30:31]
	v_mul_f64_e32 v[30:31], v[6:7], v[30:31]
	v_add_f64_e32 v[10:11], v[18:19], v[166:167]
	v_add_f64_e32 v[12:13], v[26:27], v[162:163]
	s_wait_loadcnt_dscnt 0x200
	v_mul_f64_e32 v[18:19], v[14:15], v[174:175]
	v_mul_f64_e32 v[26:27], v[16:17], v[174:175]
	v_fmac_f64_e32 v[164:165], v[6:7], v[28:29]
	v_fma_f64 v[28:29], v[4:5], v[28:29], -v[30:31]
	v_add_f64_e32 v[30:31], v[10:11], v[8:9]
	v_add_f64_e32 v[12:13], v[12:13], v[158:159]
	ds_load_b128 v[4:7], v2 offset:1984
	ds_load_b128 v[8:11], v2 offset:2000
	v_fmac_f64_e32 v[18:19], v[16:17], v[172:173]
	v_fma_f64 v[14:15], v[14:15], v[172:173], -v[26:27]
	s_wait_loadcnt_dscnt 0x101
	v_mul_f64_e32 v[2:3], v[4:5], v[192:193]
	v_mul_f64_e32 v[158:159], v[6:7], v[192:193]
	v_add_f64_e32 v[16:17], v[30:31], v[28:29]
	v_add_f64_e32 v[12:13], v[12:13], v[164:165]
	s_wait_loadcnt_dscnt 0x0
	v_mul_f64_e32 v[26:27], v[8:9], v[24:25]
	v_mul_f64_e32 v[24:25], v[10:11], v[24:25]
	v_fmac_f64_e32 v[2:3], v[6:7], v[190:191]
	v_fma_f64 v[4:5], v[4:5], v[190:191], -v[158:159]
	v_add_f64_e32 v[6:7], v[16:17], v[14:15]
	v_add_f64_e32 v[12:13], v[12:13], v[18:19]
	v_fmac_f64_e32 v[26:27], v[10:11], v[22:23]
	v_fma_f64 v[8:9], v[8:9], v[22:23], -v[24:25]
	s_delay_alu instid0(VALU_DEP_4) | instskip(NEXT) | instid1(VALU_DEP_4)
	v_add_f64_e32 v[4:5], v[6:7], v[4:5]
	v_add_f64_e32 v[2:3], v[12:13], v[2:3]
	s_delay_alu instid0(VALU_DEP_2) | instskip(NEXT) | instid1(VALU_DEP_2)
	v_add_f64_e32 v[4:5], v[4:5], v[8:9]
	v_add_f64_e32 v[6:7], v[2:3], v[26:27]
	s_delay_alu instid0(VALU_DEP_2) | instskip(NEXT) | instid1(VALU_DEP_2)
	v_add_f64_e64 v[2:3], v[186:187], -v[4:5]
	v_add_f64_e64 v[4:5], v[188:189], -v[6:7]
	scratch_store_b128 off, v[2:5], off offset:64
	s_wait_xcnt 0x0
	v_cmpx_lt_u32_e32 3, v1
	s_cbranch_execz .LBB126_397
; %bb.396:
	scratch_load_b128 v[2:5], off, s16
	v_mov_b32_e32 v6, 0
	s_delay_alu instid0(VALU_DEP_1)
	v_dual_mov_b32 v7, v6 :: v_dual_mov_b32 v8, v6
	v_mov_b32_e32 v9, v6
	scratch_store_b128 off, v[6:9], off offset:48
	s_wait_loadcnt 0x0
	ds_store_b128 v20, v[2:5]
.LBB126_397:
	s_wait_xcnt 0x0
	s_or_b32 exec_lo, exec_lo, s2
	s_wait_storecnt_dscnt 0x0
	s_barrier_signal -1
	s_barrier_wait -1
	s_clause 0x9
	scratch_load_b128 v[4:7], off, off offset:64
	scratch_load_b128 v[8:11], off, off offset:80
	;; [unrolled: 1-line block ×10, first 2 shown]
	v_mov_b32_e32 v2, 0
	s_mov_b32 s2, exec_lo
	ds_load_b128 v[174:177], v2 offset:1072
	s_clause 0x2
	scratch_load_b128 v[178:181], off, off offset:224
	scratch_load_b128 v[182:185], off, off offset:48
	;; [unrolled: 1-line block ×3, first 2 shown]
	s_wait_loadcnt_dscnt 0xc00
	v_mul_f64_e32 v[30:31], v[176:177], v[6:7]
	v_mul_f64_e32 v[198:199], v[174:175], v[6:7]
	ds_load_b128 v[186:189], v2 offset:1088
	ds_load_b128 v[194:197], v2 offset:1120
	v_fma_f64 v[30:31], v[174:175], v[4:5], -v[30:31]
	v_fmac_f64_e32 v[198:199], v[176:177], v[4:5]
	ds_load_b128 v[4:7], v2 offset:1104
	s_wait_loadcnt_dscnt 0xb02
	v_mul_f64_e32 v[200:201], v[186:187], v[10:11]
	v_mul_f64_e32 v[10:11], v[188:189], v[10:11]
	scratch_load_b128 v[174:177], off, off offset:256
	s_wait_loadcnt_dscnt 0xb00
	v_mul_f64_e32 v[202:203], v[4:5], v[14:15]
	v_mul_f64_e32 v[14:15], v[6:7], v[14:15]
	v_add_f64_e32 v[30:31], 0, v[30:31]
	v_fmac_f64_e32 v[200:201], v[188:189], v[8:9]
	v_fma_f64 v[186:187], v[186:187], v[8:9], -v[10:11]
	v_add_f64_e32 v[188:189], 0, v[198:199]
	scratch_load_b128 v[8:11], off, off offset:272
	v_fmac_f64_e32 v[202:203], v[6:7], v[12:13]
	v_fma_f64 v[204:205], v[4:5], v[12:13], -v[14:15]
	ds_load_b128 v[4:7], v2 offset:1136
	s_wait_loadcnt 0xb
	v_mul_f64_e32 v[198:199], v[194:195], v[18:19]
	v_mul_f64_e32 v[18:19], v[196:197], v[18:19]
	scratch_load_b128 v[12:15], off, off offset:288
	v_add_f64_e32 v[30:31], v[30:31], v[186:187]
	v_add_f64_e32 v[200:201], v[188:189], v[200:201]
	ds_load_b128 v[186:189], v2 offset:1152
	s_wait_loadcnt_dscnt 0xb01
	v_mul_f64_e32 v[206:207], v[4:5], v[24:25]
	v_mul_f64_e32 v[24:25], v[6:7], v[24:25]
	v_fmac_f64_e32 v[198:199], v[196:197], v[16:17]
	v_fma_f64 v[194:195], v[194:195], v[16:17], -v[18:19]
	scratch_load_b128 v[16:19], off, off offset:304
	v_add_f64_e32 v[30:31], v[30:31], v[204:205]
	v_add_f64_e32 v[196:197], v[200:201], v[202:203]
	v_fmac_f64_e32 v[206:207], v[6:7], v[22:23]
	v_fma_f64 v[204:205], v[4:5], v[22:23], -v[24:25]
	ds_load_b128 v[4:7], v2 offset:1168
	s_wait_loadcnt_dscnt 0xb01
	v_mul_f64_e32 v[200:201], v[186:187], v[28:29]
	v_mul_f64_e32 v[202:203], v[188:189], v[28:29]
	scratch_load_b128 v[22:25], off, off offset:320
	v_add_f64_e32 v[194:195], v[30:31], v[194:195]
	v_add_f64_e32 v[196:197], v[196:197], v[198:199]
	s_wait_loadcnt_dscnt 0xb00
	v_mul_f64_e32 v[198:199], v[4:5], v[160:161]
	v_mul_f64_e32 v[160:161], v[6:7], v[160:161]
	ds_load_b128 v[28:31], v2 offset:1184
	v_fmac_f64_e32 v[200:201], v[188:189], v[26:27]
	v_fma_f64 v[26:27], v[186:187], v[26:27], -v[202:203]
	scratch_load_b128 v[186:189], off, off offset:336
	v_add_f64_e32 v[194:195], v[194:195], v[204:205]
	v_add_f64_e32 v[196:197], v[196:197], v[206:207]
	v_fmac_f64_e32 v[198:199], v[6:7], v[158:159]
	v_fma_f64 v[204:205], v[4:5], v[158:159], -v[160:161]
	ds_load_b128 v[4:7], v2 offset:1200
	s_wait_loadcnt_dscnt 0xb01
	v_mul_f64_e32 v[202:203], v[28:29], v[164:165]
	v_mul_f64_e32 v[164:165], v[30:31], v[164:165]
	scratch_load_b128 v[158:161], off, off offset:352
	s_wait_loadcnt_dscnt 0xb00
	v_mul_f64_e32 v[206:207], v[4:5], v[168:169]
	v_mul_f64_e32 v[168:169], v[6:7], v[168:169]
	v_add_f64_e32 v[26:27], v[194:195], v[26:27]
	v_add_f64_e32 v[200:201], v[196:197], v[200:201]
	ds_load_b128 v[194:197], v2 offset:1216
	v_fmac_f64_e32 v[202:203], v[30:31], v[162:163]
	v_fma_f64 v[30:31], v[28:29], v[162:163], -v[164:165]
	v_fmac_f64_e32 v[206:207], v[6:7], v[166:167]
	v_add_f64_e32 v[162:163], v[26:27], v[204:205]
	v_add_f64_e32 v[164:165], v[200:201], v[198:199]
	scratch_load_b128 v[26:29], off, off offset:368
	v_fma_f64 v[200:201], v[4:5], v[166:167], -v[168:169]
	ds_load_b128 v[4:7], v2 offset:1232
	s_wait_loadcnt_dscnt 0xb01
	v_mul_f64_e32 v[198:199], v[194:195], v[172:173]
	v_mul_f64_e32 v[172:173], v[196:197], v[172:173]
	ds_load_b128 v[166:169], v2 offset:1248
	s_wait_loadcnt_dscnt 0xa01
	v_mul_f64_e32 v[204:205], v[4:5], v[180:181]
	v_mul_f64_e32 v[180:181], v[6:7], v[180:181]
	v_add_f64_e32 v[30:31], v[162:163], v[30:31]
	v_add_f64_e32 v[202:203], v[164:165], v[202:203]
	scratch_load_b128 v[162:165], off, off offset:384
	v_fmac_f64_e32 v[198:199], v[196:197], v[170:171]
	v_fma_f64 v[194:195], v[194:195], v[170:171], -v[172:173]
	scratch_load_b128 v[170:173], off, off offset:400
	v_fmac_f64_e32 v[204:205], v[6:7], v[178:179]
	v_add_f64_e32 v[30:31], v[30:31], v[200:201]
	v_add_f64_e32 v[196:197], v[202:203], v[206:207]
	v_fma_f64 v[206:207], v[4:5], v[178:179], -v[180:181]
	ds_load_b128 v[4:7], v2 offset:1264
	s_wait_loadcnt_dscnt 0xa01
	v_mul_f64_e32 v[200:201], v[166:167], v[192:193]
	v_mul_f64_e32 v[202:203], v[168:169], v[192:193]
	scratch_load_b128 v[178:181], off, off offset:416
	v_add_f64_e32 v[30:31], v[30:31], v[194:195]
	v_add_f64_e32 v[196:197], v[196:197], v[198:199]
	s_wait_loadcnt_dscnt 0xa00
	v_mul_f64_e32 v[208:209], v[4:5], v[176:177]
	v_mul_f64_e32 v[176:177], v[6:7], v[176:177]
	v_fmac_f64_e32 v[200:201], v[168:169], v[190:191]
	v_fma_f64 v[190:191], v[166:167], v[190:191], -v[202:203]
	ds_load_b128 v[192:195], v2 offset:1280
	scratch_load_b128 v[166:169], off, off offset:432
	v_add_f64_e32 v[30:31], v[30:31], v[206:207]
	v_add_f64_e32 v[196:197], v[196:197], v[204:205]
	v_fmac_f64_e32 v[208:209], v[6:7], v[174:175]
	v_fma_f64 v[204:205], v[4:5], v[174:175], -v[176:177]
	ds_load_b128 v[4:7], v2 offset:1296
	s_wait_loadcnt_dscnt 0xa01
	v_mul_f64_e32 v[202:203], v[192:193], v[10:11]
	v_mul_f64_e32 v[10:11], v[194:195], v[10:11]
	scratch_load_b128 v[174:177], off, off offset:448
	v_add_f64_e32 v[30:31], v[30:31], v[190:191]
	v_add_f64_e32 v[190:191], v[196:197], v[200:201]
	s_wait_loadcnt_dscnt 0xa00
	v_mul_f64_e32 v[200:201], v[4:5], v[14:15]
	v_mul_f64_e32 v[14:15], v[6:7], v[14:15]
	ds_load_b128 v[196:199], v2 offset:1312
	v_fmac_f64_e32 v[202:203], v[194:195], v[8:9]
	v_fma_f64 v[192:193], v[192:193], v[8:9], -v[10:11]
	scratch_load_b128 v[8:11], off, off offset:464
	v_add_f64_e32 v[30:31], v[30:31], v[204:205]
	v_add_f64_e32 v[190:191], v[190:191], v[208:209]
	v_fmac_f64_e32 v[200:201], v[6:7], v[12:13]
	v_fma_f64 v[204:205], v[4:5], v[12:13], -v[14:15]
	ds_load_b128 v[4:7], v2 offset:1328
	s_wait_loadcnt_dscnt 0xa01
	v_mul_f64_e32 v[194:195], v[196:197], v[18:19]
	v_mul_f64_e32 v[18:19], v[198:199], v[18:19]
	scratch_load_b128 v[12:15], off, off offset:480
	s_wait_loadcnt_dscnt 0xa00
	v_mul_f64_e32 v[206:207], v[4:5], v[24:25]
	v_mul_f64_e32 v[24:25], v[6:7], v[24:25]
	v_add_f64_e32 v[30:31], v[30:31], v[192:193]
	v_add_f64_e32 v[202:203], v[190:191], v[202:203]
	ds_load_b128 v[190:193], v2 offset:1344
	v_fmac_f64_e32 v[194:195], v[198:199], v[16:17]
	v_fma_f64 v[196:197], v[196:197], v[16:17], -v[18:19]
	scratch_load_b128 v[16:19], off, off offset:496
	v_fmac_f64_e32 v[206:207], v[6:7], v[22:23]
	v_add_f64_e32 v[30:31], v[30:31], v[204:205]
	v_add_f64_e32 v[198:199], v[202:203], v[200:201]
	v_fma_f64 v[202:203], v[4:5], v[22:23], -v[24:25]
	ds_load_b128 v[4:7], v2 offset:1360
	s_wait_loadcnt_dscnt 0xa01
	v_mul_f64_e32 v[200:201], v[190:191], v[188:189]
	v_mul_f64_e32 v[188:189], v[192:193], v[188:189]
	scratch_load_b128 v[22:25], off, off offset:512
	s_wait_loadcnt_dscnt 0xa00
	v_mul_f64_e32 v[204:205], v[4:5], v[160:161]
	v_mul_f64_e32 v[160:161], v[6:7], v[160:161]
	v_add_f64_e32 v[30:31], v[30:31], v[196:197]
	v_add_f64_e32 v[198:199], v[198:199], v[194:195]
	ds_load_b128 v[194:197], v2 offset:1376
	v_fmac_f64_e32 v[200:201], v[192:193], v[186:187]
	v_fma_f64 v[190:191], v[190:191], v[186:187], -v[188:189]
	scratch_load_b128 v[186:189], off, off offset:528
	v_fmac_f64_e32 v[204:205], v[6:7], v[158:159]
	v_add_f64_e32 v[30:31], v[30:31], v[202:203]
	v_add_f64_e32 v[192:193], v[198:199], v[206:207]
	v_fma_f64 v[206:207], v[4:5], v[158:159], -v[160:161]
	ds_load_b128 v[4:7], v2 offset:1392
	s_wait_loadcnt_dscnt 0xa01
	v_mul_f64_e32 v[198:199], v[194:195], v[28:29]
	v_mul_f64_e32 v[202:203], v[196:197], v[28:29]
	ds_load_b128 v[158:161], v2 offset:1408
	v_add_f64_e32 v[190:191], v[30:31], v[190:191]
	v_add_f64_e32 v[192:193], v[192:193], v[200:201]
	scratch_load_b128 v[28:31], off, off offset:544
	s_wait_loadcnt_dscnt 0xa01
	v_mul_f64_e32 v[200:201], v[4:5], v[164:165]
	v_mul_f64_e32 v[164:165], v[6:7], v[164:165]
	v_fmac_f64_e32 v[198:199], v[196:197], v[26:27]
	v_fma_f64 v[26:27], v[194:195], v[26:27], -v[202:203]
	v_add_f64_e32 v[194:195], v[190:191], v[206:207]
	v_add_f64_e32 v[196:197], v[192:193], v[204:205]
	scratch_load_b128 v[190:193], off, off offset:560
	v_fmac_f64_e32 v[200:201], v[6:7], v[162:163]
	v_fma_f64 v[204:205], v[4:5], v[162:163], -v[164:165]
	ds_load_b128 v[4:7], v2 offset:1424
	s_wait_loadcnt_dscnt 0xa01
	v_mul_f64_e32 v[202:203], v[158:159], v[172:173]
	v_mul_f64_e32 v[172:173], v[160:161], v[172:173]
	scratch_load_b128 v[162:165], off, off offset:576
	s_wait_loadcnt_dscnt 0xa00
	v_mul_f64_e32 v[206:207], v[4:5], v[180:181]
	v_mul_f64_e32 v[180:181], v[6:7], v[180:181]
	v_add_f64_e32 v[26:27], v[194:195], v[26:27]
	v_add_f64_e32 v[198:199], v[196:197], v[198:199]
	ds_load_b128 v[194:197], v2 offset:1440
	v_fmac_f64_e32 v[202:203], v[160:161], v[170:171]
	v_fma_f64 v[170:171], v[158:159], v[170:171], -v[172:173]
	scratch_load_b128 v[158:161], off, off offset:592
	v_fmac_f64_e32 v[206:207], v[6:7], v[178:179]
	v_add_f64_e32 v[26:27], v[26:27], v[204:205]
	v_add_f64_e32 v[172:173], v[198:199], v[200:201]
	v_fma_f64 v[204:205], v[4:5], v[178:179], -v[180:181]
	ds_load_b128 v[4:7], v2 offset:1456
	s_wait_loadcnt_dscnt 0xa01
	v_mul_f64_e32 v[198:199], v[194:195], v[168:169]
	v_mul_f64_e32 v[200:201], v[196:197], v[168:169]
	ds_load_b128 v[178:181], v2 offset:1472
	v_add_f64_e32 v[26:27], v[26:27], v[170:171]
	v_add_f64_e32 v[172:173], v[172:173], v[202:203]
	scratch_load_b128 v[168:171], off, off offset:608
	s_wait_loadcnt_dscnt 0xa01
	v_mul_f64_e32 v[202:203], v[4:5], v[176:177]
	v_mul_f64_e32 v[176:177], v[6:7], v[176:177]
	v_fmac_f64_e32 v[198:199], v[196:197], v[166:167]
	v_fma_f64 v[166:167], v[194:195], v[166:167], -v[200:201]
	scratch_load_b128 v[194:197], off, off offset:624
	v_add_f64_e32 v[26:27], v[26:27], v[204:205]
	v_add_f64_e32 v[172:173], v[172:173], v[206:207]
	v_fmac_f64_e32 v[202:203], v[6:7], v[174:175]
	v_fma_f64 v[176:177], v[4:5], v[174:175], -v[176:177]
	ds_load_b128 v[4:7], v2 offset:1488
	s_wait_loadcnt_dscnt 0xa01
	v_mul_f64_e32 v[204:205], v[178:179], v[10:11]
	v_mul_f64_e32 v[10:11], v[180:181], v[10:11]
	s_wait_loadcnt_dscnt 0x900
	v_mul_f64_e32 v[206:207], v[4:5], v[14:15]
	v_mul_f64_e32 v[14:15], v[6:7], v[14:15]
	v_add_f64_e32 v[26:27], v[26:27], v[166:167]
	v_add_f64_e32 v[166:167], v[172:173], v[198:199]
	scratch_load_b128 v[172:175], off, off offset:640
	ds_load_b128 v[198:201], v2 offset:1504
	v_fmac_f64_e32 v[204:205], v[180:181], v[8:9]
	v_fma_f64 v[178:179], v[178:179], v[8:9], -v[10:11]
	scratch_load_b128 v[8:11], off, off offset:656
	v_fmac_f64_e32 v[206:207], v[6:7], v[12:13]
	v_add_f64_e32 v[26:27], v[26:27], v[176:177]
	v_add_f64_e32 v[166:167], v[166:167], v[202:203]
	v_fma_f64 v[202:203], v[4:5], v[12:13], -v[14:15]
	ds_load_b128 v[4:7], v2 offset:1520
	s_wait_loadcnt_dscnt 0xa01
	v_mul_f64_e32 v[180:181], v[198:199], v[18:19]
	v_mul_f64_e32 v[18:19], v[200:201], v[18:19]
	scratch_load_b128 v[12:15], off, off offset:672
	v_add_f64_e32 v[26:27], v[26:27], v[178:179]
	v_add_f64_e32 v[166:167], v[166:167], v[204:205]
	s_wait_loadcnt_dscnt 0xa00
	v_mul_f64_e32 v[204:205], v[4:5], v[24:25]
	v_mul_f64_e32 v[24:25], v[6:7], v[24:25]
	v_fmac_f64_e32 v[180:181], v[200:201], v[16:17]
	v_fma_f64 v[198:199], v[198:199], v[16:17], -v[18:19]
	ds_load_b128 v[176:179], v2 offset:1536
	scratch_load_b128 v[16:19], off, off offset:688
	v_add_f64_e32 v[26:27], v[26:27], v[202:203]
	v_add_f64_e32 v[166:167], v[166:167], v[206:207]
	v_fmac_f64_e32 v[204:205], v[6:7], v[22:23]
	v_fma_f64 v[206:207], v[4:5], v[22:23], -v[24:25]
	ds_load_b128 v[4:7], v2 offset:1552
	s_wait_loadcnt_dscnt 0xa01
	v_mul_f64_e32 v[202:203], v[176:177], v[188:189]
	v_mul_f64_e32 v[188:189], v[178:179], v[188:189]
	scratch_load_b128 v[22:25], off, off offset:704
	v_add_f64_e32 v[26:27], v[26:27], v[198:199]
	v_add_f64_e32 v[166:167], v[166:167], v[180:181]
	s_wait_loadcnt_dscnt 0xa00
	v_mul_f64_e32 v[180:181], v[4:5], v[30:31]
	v_mul_f64_e32 v[30:31], v[6:7], v[30:31]
	ds_load_b128 v[198:201], v2 offset:1568
	v_fmac_f64_e32 v[202:203], v[178:179], v[186:187]
	v_fma_f64 v[186:187], v[176:177], v[186:187], -v[188:189]
	scratch_load_b128 v[176:179], off, off offset:720
	v_add_f64_e32 v[26:27], v[26:27], v[206:207]
	v_add_f64_e32 v[166:167], v[166:167], v[204:205]
	v_fmac_f64_e32 v[180:181], v[6:7], v[28:29]
	v_fma_f64 v[30:31], v[4:5], v[28:29], -v[30:31]
	ds_load_b128 v[4:7], v2 offset:1584
	s_wait_loadcnt_dscnt 0xa01
	v_mul_f64_e32 v[204:205], v[198:199], v[192:193]
	v_mul_f64_e32 v[192:193], v[200:201], v[192:193]
	s_wait_loadcnt_dscnt 0x900
	v_mul_f64_e32 v[208:209], v[6:7], v[164:165]
	v_add_f64_e32 v[206:207], v[26:27], v[186:187]
	v_add_f64_e32 v[166:167], v[166:167], v[202:203]
	scratch_load_b128 v[26:29], off, off offset:736
	v_mul_f64_e32 v[202:203], v[4:5], v[164:165]
	ds_load_b128 v[186:189], v2 offset:1600
	v_fmac_f64_e32 v[204:205], v[200:201], v[190:191]
	v_fma_f64 v[190:191], v[198:199], v[190:191], -v[192:193]
	v_add_f64_e32 v[30:31], v[206:207], v[30:31]
	v_add_f64_e32 v[180:181], v[166:167], v[180:181]
	scratch_load_b128 v[164:167], off, off offset:752
	v_fmac_f64_e32 v[202:203], v[6:7], v[162:163]
	v_fma_f64 v[206:207], v[4:5], v[162:163], -v[208:209]
	ds_load_b128 v[4:7], v2 offset:1616
	s_wait_loadcnt_dscnt 0xa01
	v_mul_f64_e32 v[198:199], v[186:187], v[160:161]
	v_mul_f64_e32 v[200:201], v[188:189], v[160:161]
	scratch_load_b128 v[160:163], off, off offset:768
	v_add_f64_e32 v[30:31], v[30:31], v[190:191]
	v_add_f64_e32 v[180:181], v[180:181], v[204:205]
	s_wait_loadcnt_dscnt 0xa00
	v_mul_f64_e32 v[204:205], v[4:5], v[170:171]
	v_mul_f64_e32 v[170:171], v[6:7], v[170:171]
	ds_load_b128 v[190:193], v2 offset:1632
	v_fmac_f64_e32 v[198:199], v[188:189], v[158:159]
	v_fma_f64 v[158:159], v[186:187], v[158:159], -v[200:201]
	scratch_load_b128 v[186:189], off, off offset:784
	v_add_f64_e32 v[30:31], v[30:31], v[206:207]
	v_add_f64_e32 v[180:181], v[180:181], v[202:203]
	v_fmac_f64_e32 v[204:205], v[6:7], v[168:169]
	v_fma_f64 v[206:207], v[4:5], v[168:169], -v[170:171]
	ds_load_b128 v[4:7], v2 offset:1648
	s_wait_loadcnt_dscnt 0xa01
	v_mul_f64_e32 v[200:201], v[190:191], v[196:197]
	v_mul_f64_e32 v[202:203], v[192:193], v[196:197]
	scratch_load_b128 v[168:171], off, off offset:800
	v_add_f64_e32 v[30:31], v[30:31], v[158:159]
	v_add_f64_e32 v[158:159], v[180:181], v[198:199]
	s_wait_loadcnt_dscnt 0xa00
	v_mul_f64_e32 v[180:181], v[4:5], v[174:175]
	v_mul_f64_e32 v[174:175], v[6:7], v[174:175]
	ds_load_b128 v[196:199], v2 offset:1664
	v_fmac_f64_e32 v[200:201], v[192:193], v[194:195]
	v_fma_f64 v[194:195], v[190:191], v[194:195], -v[202:203]
	scratch_load_b128 v[190:193], off, off offset:816
	v_add_f64_e32 v[30:31], v[30:31], v[206:207]
	v_add_f64_e32 v[158:159], v[158:159], v[204:205]
	v_fmac_f64_e32 v[180:181], v[6:7], v[172:173]
	v_fma_f64 v[206:207], v[4:5], v[172:173], -v[174:175]
	ds_load_b128 v[4:7], v2 offset:1680
	s_wait_loadcnt_dscnt 0xa01
	v_mul_f64_e32 v[204:205], v[196:197], v[10:11]
	v_mul_f64_e32 v[10:11], v[198:199], v[10:11]
	scratch_load_b128 v[172:175], off, off offset:832
	s_wait_loadcnt_dscnt 0xa00
	v_mul_f64_e32 v[208:209], v[4:5], v[14:15]
	v_mul_f64_e32 v[14:15], v[6:7], v[14:15]
	v_add_f64_e32 v[30:31], v[30:31], v[194:195]
	v_add_f64_e32 v[158:159], v[158:159], v[200:201]
	ds_load_b128 v[200:203], v2 offset:1696
	v_fmac_f64_e32 v[204:205], v[198:199], v[8:9]
	v_fma_f64 v[194:195], v[196:197], v[8:9], -v[10:11]
	scratch_load_b128 v[8:11], off, off offset:848
	v_fmac_f64_e32 v[208:209], v[6:7], v[12:13]
	v_fma_f64 v[198:199], v[4:5], v[12:13], -v[14:15]
	ds_load_b128 v[4:7], v2 offset:1712
	scratch_load_b128 v[12:15], off, off offset:864
	v_add_f64_e32 v[30:31], v[30:31], v[206:207]
	v_add_f64_e32 v[158:159], v[158:159], v[180:181]
	s_wait_loadcnt_dscnt 0xb01
	v_mul_f64_e32 v[180:181], v[200:201], v[18:19]
	v_mul_f64_e32 v[18:19], v[202:203], v[18:19]
	s_delay_alu instid0(VALU_DEP_4) | instskip(NEXT) | instid1(VALU_DEP_4)
	v_add_f64_e32 v[30:31], v[30:31], v[194:195]
	v_add_f64_e32 v[158:159], v[158:159], v[204:205]
	s_wait_loadcnt_dscnt 0xa00
	v_mul_f64_e32 v[204:205], v[4:5], v[24:25]
	v_mul_f64_e32 v[24:25], v[6:7], v[24:25]
	v_fmac_f64_e32 v[180:181], v[202:203], v[16:17]
	v_fma_f64 v[200:201], v[200:201], v[16:17], -v[18:19]
	ds_load_b128 v[194:197], v2 offset:1728
	scratch_load_b128 v[16:19], off, off offset:880
	v_add_f64_e32 v[30:31], v[30:31], v[198:199]
	v_add_f64_e32 v[158:159], v[158:159], v[208:209]
	v_fmac_f64_e32 v[204:205], v[6:7], v[22:23]
	v_fma_f64 v[206:207], v[4:5], v[22:23], -v[24:25]
	ds_load_b128 v[4:7], v2 offset:1744
	s_wait_loadcnt_dscnt 0xa01
	v_mul_f64_e32 v[198:199], v[194:195], v[178:179]
	v_mul_f64_e32 v[202:203], v[196:197], v[178:179]
	scratch_load_b128 v[22:25], off, off offset:896
	v_add_f64_e32 v[30:31], v[30:31], v[200:201]
	v_add_f64_e32 v[158:159], v[158:159], v[180:181]
	s_wait_loadcnt_dscnt 0xa00
	v_mul_f64_e32 v[208:209], v[4:5], v[28:29]
	v_mul_f64_e32 v[200:201], v[6:7], v[28:29]
	ds_load_b128 v[178:181], v2 offset:1760
	v_fmac_f64_e32 v[198:199], v[196:197], v[176:177]
	v_fma_f64 v[176:177], v[194:195], v[176:177], -v[202:203]
	v_add_f64_e32 v[194:195], v[30:31], v[206:207]
	v_add_f64_e32 v[158:159], v[158:159], v[204:205]
	scratch_load_b128 v[28:31], off, off offset:912
	v_fmac_f64_e32 v[208:209], v[6:7], v[26:27]
	v_fma_f64 v[26:27], v[4:5], v[26:27], -v[200:201]
	ds_load_b128 v[4:7], v2 offset:1776
	s_wait_loadcnt_dscnt 0xa01
	v_mul_f64_e32 v[202:203], v[178:179], v[166:167]
	v_mul_f64_e32 v[166:167], v[180:181], v[166:167]
	s_wait_loadcnt_dscnt 0x900
	v_mul_f64_e32 v[204:205], v[4:5], v[162:163]
	v_mul_f64_e32 v[206:207], v[6:7], v[162:163]
	v_add_f64_e32 v[176:177], v[194:195], v[176:177]
	v_add_f64_e32 v[158:159], v[158:159], v[198:199]
	scratch_load_b128 v[194:197], off, off offset:928
	ds_load_b128 v[198:201], v2 offset:1792
	v_fmac_f64_e32 v[202:203], v[180:181], v[164:165]
	v_fma_f64 v[166:167], v[178:179], v[164:165], -v[166:167]
	scratch_load_b128 v[162:165], off, off offset:944
	v_fmac_f64_e32 v[204:205], v[6:7], v[160:161]
	v_fma_f64 v[206:207], v[4:5], v[160:161], -v[206:207]
	ds_load_b128 v[4:7], v2 offset:1808
	s_wait_loadcnt_dscnt 0xa01
	v_mul_f64_e32 v[180:181], v[198:199], v[188:189]
	v_mul_f64_e32 v[188:189], v[200:201], v[188:189]
	v_add_f64_e32 v[26:27], v[176:177], v[26:27]
	v_add_f64_e32 v[158:159], v[158:159], v[208:209]
	ds_load_b128 v[176:179], v2 offset:1824
	v_fmac_f64_e32 v[180:181], v[200:201], v[186:187]
	v_fma_f64 v[198:199], v[198:199], v[186:187], -v[188:189]
	scratch_load_b128 v[186:189], off, off offset:976
	v_add_f64_e32 v[26:27], v[26:27], v[166:167]
	v_add_f64_e32 v[166:167], v[158:159], v[202:203]
	scratch_load_b128 v[158:161], off, off offset:960
	s_wait_loadcnt_dscnt 0xb01
	v_mul_f64_e32 v[202:203], v[4:5], v[170:171]
	v_mul_f64_e32 v[170:171], v[6:7], v[170:171]
	v_add_f64_e32 v[26:27], v[26:27], v[206:207]
	v_add_f64_e32 v[166:167], v[166:167], v[204:205]
	s_delay_alu instid0(VALU_DEP_4) | instskip(NEXT) | instid1(VALU_DEP_4)
	v_fmac_f64_e32 v[202:203], v[6:7], v[168:169]
	v_fma_f64 v[170:171], v[4:5], v[168:169], -v[170:171]
	ds_load_b128 v[4:7], v2 offset:1840
	s_wait_loadcnt_dscnt 0xa01
	v_mul_f64_e32 v[204:205], v[176:177], v[192:193]
	v_mul_f64_e32 v[192:193], v[178:179], v[192:193]
	s_wait_loadcnt_dscnt 0x900
	v_mul_f64_e32 v[206:207], v[4:5], v[174:175]
	v_mul_f64_e32 v[174:175], v[6:7], v[174:175]
	v_add_f64_e32 v[26:27], v[26:27], v[198:199]
	v_add_f64_e32 v[180:181], v[166:167], v[180:181]
	scratch_load_b128 v[166:169], off, off offset:992
	ds_load_b128 v[198:201], v2 offset:1856
	v_fmac_f64_e32 v[204:205], v[178:179], v[190:191]
	v_fma_f64 v[176:177], v[176:177], v[190:191], -v[192:193]
	s_wait_loadcnt_dscnt 0x900
	v_mul_f64_e32 v[178:179], v[198:199], v[10:11]
	v_mul_f64_e32 v[10:11], v[200:201], v[10:11]
	v_fmac_f64_e32 v[206:207], v[6:7], v[172:173]
	v_fma_f64 v[174:175], v[4:5], v[172:173], -v[174:175]
	v_add_f64_e32 v[26:27], v[26:27], v[170:171]
	v_add_f64_e32 v[170:171], v[180:181], v[202:203]
	v_fmac_f64_e32 v[178:179], v[200:201], v[8:9]
	v_fma_f64 v[8:9], v[198:199], v[8:9], -v[10:11]
	s_delay_alu instid0(VALU_DEP_4) | instskip(NEXT) | instid1(VALU_DEP_4)
	v_add_f64_e32 v[26:27], v[26:27], v[176:177]
	v_add_f64_e32 v[176:177], v[170:171], v[204:205]
	ds_load_b128 v[4:7], v2 offset:1872
	ds_load_b128 v[170:173], v2 offset:1888
	s_wait_loadcnt_dscnt 0x801
	v_mul_f64_e32 v[180:181], v[4:5], v[14:15]
	v_mul_f64_e32 v[14:15], v[6:7], v[14:15]
	v_add_f64_e32 v[10:11], v[26:27], v[174:175]
	v_add_f64_e32 v[26:27], v[176:177], v[206:207]
	s_wait_loadcnt_dscnt 0x700
	v_mul_f64_e32 v[174:175], v[170:171], v[18:19]
	v_mul_f64_e32 v[18:19], v[172:173], v[18:19]
	v_fmac_f64_e32 v[180:181], v[6:7], v[12:13]
	v_fma_f64 v[12:13], v[4:5], v[12:13], -v[14:15]
	v_add_f64_e32 v[14:15], v[10:11], v[8:9]
	v_add_f64_e32 v[26:27], v[26:27], v[178:179]
	ds_load_b128 v[4:7], v2 offset:1904
	ds_load_b128 v[8:11], v2 offset:1920
	v_fmac_f64_e32 v[174:175], v[172:173], v[16:17]
	v_fma_f64 v[16:17], v[170:171], v[16:17], -v[18:19]
	s_wait_loadcnt_dscnt 0x601
	v_mul_f64_e32 v[176:177], v[4:5], v[24:25]
	v_mul_f64_e32 v[24:25], v[6:7], v[24:25]
	v_add_f64_e32 v[12:13], v[14:15], v[12:13]
	v_add_f64_e32 v[14:15], v[26:27], v[180:181]
	s_wait_loadcnt_dscnt 0x500
	v_mul_f64_e32 v[18:19], v[8:9], v[30:31]
	v_mul_f64_e32 v[26:27], v[10:11], v[30:31]
	v_fmac_f64_e32 v[176:177], v[6:7], v[22:23]
	v_fma_f64 v[22:23], v[4:5], v[22:23], -v[24:25]
	v_add_f64_e32 v[16:17], v[12:13], v[16:17]
	v_add_f64_e32 v[24:25], v[14:15], v[174:175]
	ds_load_b128 v[4:7], v2 offset:1936
	ds_load_b128 v[12:15], v2 offset:1952
	v_fmac_f64_e32 v[18:19], v[10:11], v[28:29]
	v_fma_f64 v[8:9], v[8:9], v[28:29], -v[26:27]
	;; [unrolled: 16-line block ×3, first 2 shown]
	s_wait_loadcnt_dscnt 0x101
	v_mul_f64_e32 v[18:19], v[4:5], v[160:161]
	v_mul_f64_e32 v[160:161], v[6:7], v[160:161]
	s_wait_dscnt 0x0
	v_mul_f64_e32 v[24:25], v[8:9], v[188:189]
	v_add_f64_e32 v[14:15], v[28:29], v[26:27]
	v_add_f64_e32 v[16:17], v[16:17], v[30:31]
	v_mul_f64_e32 v[26:27], v[10:11], v[188:189]
	v_fmac_f64_e32 v[18:19], v[6:7], v[158:159]
	v_fma_f64 v[28:29], v[4:5], v[158:159], -v[160:161]
	ds_load_b128 v[4:7], v2 offset:2000
	v_fmac_f64_e32 v[24:25], v[10:11], v[186:187]
	v_add_f64_e32 v[12:13], v[14:15], v[12:13]
	v_add_f64_e32 v[14:15], v[16:17], v[22:23]
	v_fma_f64 v[8:9], v[8:9], v[186:187], -v[26:27]
	s_wait_loadcnt_dscnt 0x0
	v_mul_f64_e32 v[16:17], v[4:5], v[168:169]
	v_mul_f64_e32 v[22:23], v[6:7], v[168:169]
	v_add_f64_e32 v[10:11], v[12:13], v[28:29]
	v_add_f64_e32 v[12:13], v[14:15], v[18:19]
	s_delay_alu instid0(VALU_DEP_4) | instskip(NEXT) | instid1(VALU_DEP_4)
	v_fmac_f64_e32 v[16:17], v[6:7], v[166:167]
	v_fma_f64 v[4:5], v[4:5], v[166:167], -v[22:23]
	s_delay_alu instid0(VALU_DEP_4) | instskip(NEXT) | instid1(VALU_DEP_4)
	v_add_f64_e32 v[6:7], v[10:11], v[8:9]
	v_add_f64_e32 v[8:9], v[12:13], v[24:25]
	s_delay_alu instid0(VALU_DEP_2) | instskip(NEXT) | instid1(VALU_DEP_2)
	v_add_f64_e32 v[4:5], v[6:7], v[4:5]
	v_add_f64_e32 v[6:7], v[8:9], v[16:17]
	s_delay_alu instid0(VALU_DEP_2) | instskip(NEXT) | instid1(VALU_DEP_2)
	v_add_f64_e64 v[4:5], v[182:183], -v[4:5]
	v_add_f64_e64 v[6:7], v[184:185], -v[6:7]
	scratch_store_b128 off, v[4:7], off offset:48
	s_wait_xcnt 0x0
	v_cmpx_lt_u32_e32 2, v1
	s_cbranch_execz .LBB126_399
; %bb.398:
	scratch_load_b128 v[6:9], off, s18
	v_dual_mov_b32 v3, v2 :: v_dual_mov_b32 v4, v2
	v_mov_b32_e32 v5, v2
	scratch_store_b128 off, v[2:5], off offset:32
	s_wait_loadcnt 0x0
	ds_store_b128 v20, v[6:9]
.LBB126_399:
	s_wait_xcnt 0x0
	s_or_b32 exec_lo, exec_lo, s2
	s_wait_storecnt_dscnt 0x0
	s_barrier_signal -1
	s_barrier_wait -1
	s_clause 0x9
	scratch_load_b128 v[4:7], off, off offset:48
	scratch_load_b128 v[8:11], off, off offset:64
	;; [unrolled: 1-line block ×10, first 2 shown]
	ds_load_b128 v[174:177], v2 offset:1056
	ds_load_b128 v[182:185], v2 offset:1072
	s_clause 0x2
	scratch_load_b128 v[178:181], off, off offset:208
	scratch_load_b128 v[186:189], off, off offset:32
	scratch_load_b128 v[190:193], off, off offset:224
	s_mov_b32 s2, exec_lo
	v_ashrrev_i32_e32 v37, 31, v36
	v_ashrrev_i32_e32 v41, 31, v40
	;; [unrolled: 1-line block ×4, first 2 shown]
	ds_load_b128 v[194:197], v2 offset:1104
	v_ashrrev_i32_e32 v39, 31, v38
	v_dual_ashrrev_i32 v43, 31, v42 :: v_dual_ashrrev_i32 v53, 31, v52
	v_ashrrev_i32_e32 v57, 31, v56
	v_ashrrev_i32_e32 v61, 31, v60
	;; [unrolled: 1-line block ×4, first 2 shown]
	v_dual_ashrrev_i32 v73, 31, v72 :: v_dual_ashrrev_i32 v47, 31, v46
	v_dual_ashrrev_i32 v51, 31, v50 :: v_dual_ashrrev_i32 v77, 31, v76
	v_ashrrev_i32_e32 v63, 31, v62
	v_ashrrev_i32_e32 v55, 31, v54
	;; [unrolled: 1-line block ×3, first 2 shown]
	v_dual_ashrrev_i32 v67, 31, v66 :: v_dual_ashrrev_i32 v81, 31, v80
	v_ashrrev_i32_e32 v71, 31, v70
	v_dual_ashrrev_i32 v75, 31, v74 :: v_dual_ashrrev_i32 v85, 31, v84
	v_ashrrev_i32_e32 v89, 31, v88
	v_dual_ashrrev_i32 v93, 31, v92 :: v_dual_ashrrev_i32 v79, 31, v78
	v_dual_ashrrev_i32 v83, 31, v82 :: v_dual_ashrrev_i32 v97, 31, v96
	v_ashrrev_i32_e32 v91, 31, v90
	v_ashrrev_i32_e32 v95, 31, v94
	v_dual_ashrrev_i32 v87, 31, v86 :: v_dual_ashrrev_i32 v101, 31, v100
	v_ashrrev_i32_e32 v105, 31, v104
	v_dual_ashrrev_i32 v113, 31, v112 :: v_dual_ashrrev_i32 v99, 31, v98
	v_dual_ashrrev_i32 v109, 31, v108 :: v_dual_ashrrev_i32 v103, 31, v102
	v_ashrrev_i32_e32 v107, 31, v106
	v_dual_ashrrev_i32 v111, 31, v110 :: v_dual_ashrrev_i32 v117, 31, v116
	v_ashrrev_i32_e32 v115, 31, v114
	;; [unrolled: 2-line block ×4, first 2 shown]
	v_dual_ashrrev_i32 v133, 31, v132 :: v_dual_ashrrev_i32 v131, 31, v130
	v_dual_ashrrev_i32 v137, 31, v136 :: v_dual_ashrrev_i32 v135, 31, v134
	;; [unrolled: 1-line block ×3, first 2 shown]
	v_ashrrev_i32_e32 v145, 31, v144
	v_dual_ashrrev_i32 v149, 31, v148 :: v_dual_ashrrev_i32 v143, 31, v142
	v_dual_ashrrev_i32 v147, 31, v146 :: v_dual_ashrrev_i32 v153, 31, v152
	;; [unrolled: 1-line block ×3, first 2 shown]
	v_ashrrev_i32_e32 v155, 31, v154
	s_wait_loadcnt_dscnt 0xc02
	v_mul_f64_e32 v[30:31], v[176:177], v[6:7]
	v_mul_f64_e32 v[198:199], v[174:175], v[6:7]
	s_wait_loadcnt_dscnt 0xb01
	v_mul_f64_e32 v[200:201], v[182:183], v[10:11]
	v_mul_f64_e32 v[10:11], v[184:185], v[10:11]
	s_delay_alu instid0(VALU_DEP_4) | instskip(NEXT) | instid1(VALU_DEP_4)
	v_fma_f64 v[30:31], v[174:175], v[4:5], -v[30:31]
	v_fmac_f64_e32 v[198:199], v[176:177], v[4:5]
	ds_load_b128 v[4:7], v2 offset:1088
	scratch_load_b128 v[174:177], off, off offset:240
	v_fmac_f64_e32 v[200:201], v[184:185], v[8:9]
	v_fma_f64 v[182:183], v[182:183], v[8:9], -v[10:11]
	scratch_load_b128 v[8:11], off, off offset:256
	s_wait_loadcnt_dscnt 0xc00
	v_mul_f64_e32 v[202:203], v[4:5], v[14:15]
	v_mul_f64_e32 v[14:15], v[6:7], v[14:15]
	v_add_f64_e32 v[30:31], 0, v[30:31]
	v_add_f64_e32 v[184:185], 0, v[198:199]
	s_wait_loadcnt 0xb
	v_mul_f64_e32 v[198:199], v[194:195], v[18:19]
	v_mul_f64_e32 v[18:19], v[196:197], v[18:19]
	v_fmac_f64_e32 v[202:203], v[6:7], v[12:13]
	v_fma_f64 v[204:205], v[4:5], v[12:13], -v[14:15]
	ds_load_b128 v[4:7], v2 offset:1120
	scratch_load_b128 v[12:15], off, off offset:272
	v_add_f64_e32 v[30:31], v[30:31], v[182:183]
	v_add_f64_e32 v[200:201], v[184:185], v[200:201]
	ds_load_b128 v[182:185], v2 offset:1136
	v_fmac_f64_e32 v[198:199], v[196:197], v[16:17]
	v_fma_f64 v[194:195], v[194:195], v[16:17], -v[18:19]
	scratch_load_b128 v[16:19], off, off offset:288
	s_wait_loadcnt_dscnt 0xc01
	v_mul_f64_e32 v[206:207], v[4:5], v[24:25]
	v_mul_f64_e32 v[24:25], v[6:7], v[24:25]
	v_add_f64_e32 v[30:31], v[30:31], v[204:205]
	v_add_f64_e32 v[196:197], v[200:201], v[202:203]
	s_wait_loadcnt_dscnt 0xb00
	v_mul_f64_e32 v[200:201], v[182:183], v[28:29]
	v_mul_f64_e32 v[202:203], v[184:185], v[28:29]
	v_fmac_f64_e32 v[206:207], v[6:7], v[22:23]
	v_fma_f64 v[204:205], v[4:5], v[22:23], -v[24:25]
	ds_load_b128 v[4:7], v2 offset:1152
	scratch_load_b128 v[22:25], off, off offset:304
	v_add_f64_e32 v[194:195], v[30:31], v[194:195]
	v_add_f64_e32 v[196:197], v[196:197], v[198:199]
	ds_load_b128 v[28:31], v2 offset:1168
	s_wait_loadcnt_dscnt 0xb01
	v_mul_f64_e32 v[198:199], v[4:5], v[160:161]
	v_mul_f64_e32 v[160:161], v[6:7], v[160:161]
	v_fmac_f64_e32 v[200:201], v[184:185], v[26:27]
	v_fma_f64 v[26:27], v[182:183], v[26:27], -v[202:203]
	scratch_load_b128 v[182:185], off, off offset:320
	s_wait_loadcnt_dscnt 0xb00
	v_mul_f64_e32 v[202:203], v[28:29], v[164:165]
	v_mul_f64_e32 v[164:165], v[30:31], v[164:165]
	v_add_f64_e32 v[194:195], v[194:195], v[204:205]
	v_add_f64_e32 v[196:197], v[196:197], v[206:207]
	v_fmac_f64_e32 v[198:199], v[6:7], v[158:159]
	v_fma_f64 v[204:205], v[4:5], v[158:159], -v[160:161]
	ds_load_b128 v[4:7], v2 offset:1184
	scratch_load_b128 v[158:161], off, off offset:336
	v_fmac_f64_e32 v[202:203], v[30:31], v[162:163]
	v_fma_f64 v[30:31], v[28:29], v[162:163], -v[164:165]
	v_add_f64_e32 v[26:27], v[194:195], v[26:27]
	v_add_f64_e32 v[200:201], v[196:197], v[200:201]
	ds_load_b128 v[194:197], v2 offset:1200
	s_wait_loadcnt_dscnt 0xb01
	v_mul_f64_e32 v[206:207], v[4:5], v[168:169]
	v_mul_f64_e32 v[168:169], v[6:7], v[168:169]
	v_add_f64_e32 v[162:163], v[26:27], v[204:205]
	v_add_f64_e32 v[164:165], v[200:201], v[198:199]
	scratch_load_b128 v[26:29], off, off offset:352
	s_wait_loadcnt_dscnt 0xb00
	v_mul_f64_e32 v[198:199], v[194:195], v[172:173]
	v_mul_f64_e32 v[172:173], v[196:197], v[172:173]
	v_fmac_f64_e32 v[206:207], v[6:7], v[166:167]
	v_fma_f64 v[200:201], v[4:5], v[166:167], -v[168:169]
	ds_load_b128 v[4:7], v2 offset:1216
	ds_load_b128 v[166:169], v2 offset:1232
	s_wait_loadcnt_dscnt 0xa01
	v_mul_f64_e32 v[204:205], v[4:5], v[180:181]
	v_mul_f64_e32 v[180:181], v[6:7], v[180:181]
	v_add_f64_e32 v[30:31], v[162:163], v[30:31]
	v_add_f64_e32 v[202:203], v[164:165], v[202:203]
	scratch_load_b128 v[162:165], off, off offset:368
	v_fmac_f64_e32 v[198:199], v[196:197], v[170:171]
	v_fma_f64 v[194:195], v[194:195], v[170:171], -v[172:173]
	scratch_load_b128 v[170:173], off, off offset:384
	v_fmac_f64_e32 v[204:205], v[6:7], v[178:179]
	v_add_f64_e32 v[30:31], v[30:31], v[200:201]
	v_add_f64_e32 v[196:197], v[202:203], v[206:207]
	s_wait_loadcnt_dscnt 0xa00
	v_mul_f64_e32 v[200:201], v[166:167], v[192:193]
	v_mul_f64_e32 v[202:203], v[168:169], v[192:193]
	v_fma_f64 v[206:207], v[4:5], v[178:179], -v[180:181]
	ds_load_b128 v[4:7], v2 offset:1248
	scratch_load_b128 v[178:181], off, off offset:400
	v_add_f64_e32 v[30:31], v[30:31], v[194:195]
	v_add_f64_e32 v[196:197], v[196:197], v[198:199]
	ds_load_b128 v[192:195], v2 offset:1264
	s_wait_loadcnt_dscnt 0xa01
	v_mul_f64_e32 v[208:209], v[4:5], v[176:177]
	v_mul_f64_e32 v[176:177], v[6:7], v[176:177]
	v_fmac_f64_e32 v[200:201], v[168:169], v[190:191]
	v_fma_f64 v[190:191], v[166:167], v[190:191], -v[202:203]
	scratch_load_b128 v[166:169], off, off offset:416
	s_wait_loadcnt_dscnt 0xa00
	v_mul_f64_e32 v[202:203], v[192:193], v[10:11]
	v_mul_f64_e32 v[10:11], v[194:195], v[10:11]
	v_add_f64_e32 v[30:31], v[30:31], v[206:207]
	v_add_f64_e32 v[196:197], v[196:197], v[204:205]
	v_fmac_f64_e32 v[208:209], v[6:7], v[174:175]
	v_fma_f64 v[204:205], v[4:5], v[174:175], -v[176:177]
	ds_load_b128 v[4:7], v2 offset:1280
	scratch_load_b128 v[174:177], off, off offset:432
	v_fmac_f64_e32 v[202:203], v[194:195], v[8:9]
	v_fma_f64 v[192:193], v[192:193], v[8:9], -v[10:11]
	scratch_load_b128 v[8:11], off, off offset:448
	v_add_f64_e32 v[30:31], v[30:31], v[190:191]
	v_add_f64_e32 v[190:191], v[196:197], v[200:201]
	ds_load_b128 v[196:199], v2 offset:1296
	s_wait_loadcnt_dscnt 0xb01
	v_mul_f64_e32 v[200:201], v[4:5], v[14:15]
	v_mul_f64_e32 v[14:15], v[6:7], v[14:15]
	s_wait_loadcnt_dscnt 0xa00
	v_mul_f64_e32 v[194:195], v[196:197], v[18:19]
	v_mul_f64_e32 v[18:19], v[198:199], v[18:19]
	v_add_f64_e32 v[30:31], v[30:31], v[204:205]
	v_add_f64_e32 v[190:191], v[190:191], v[208:209]
	v_fmac_f64_e32 v[200:201], v[6:7], v[12:13]
	v_fma_f64 v[204:205], v[4:5], v[12:13], -v[14:15]
	ds_load_b128 v[4:7], v2 offset:1312
	scratch_load_b128 v[12:15], off, off offset:464
	v_fmac_f64_e32 v[194:195], v[198:199], v[16:17]
	v_fma_f64 v[196:197], v[196:197], v[16:17], -v[18:19]
	scratch_load_b128 v[16:19], off, off offset:480
	v_add_f64_e32 v[30:31], v[30:31], v[192:193]
	v_add_f64_e32 v[202:203], v[190:191], v[202:203]
	ds_load_b128 v[190:193], v2 offset:1328
	s_wait_loadcnt_dscnt 0xb01
	v_mul_f64_e32 v[206:207], v[4:5], v[24:25]
	v_mul_f64_e32 v[24:25], v[6:7], v[24:25]
	v_add_f64_e32 v[30:31], v[30:31], v[204:205]
	v_add_f64_e32 v[198:199], v[202:203], v[200:201]
	s_wait_loadcnt_dscnt 0xa00
	v_mul_f64_e32 v[200:201], v[190:191], v[184:185]
	v_mul_f64_e32 v[184:185], v[192:193], v[184:185]
	v_fmac_f64_e32 v[206:207], v[6:7], v[22:23]
	v_fma_f64 v[202:203], v[4:5], v[22:23], -v[24:25]
	ds_load_b128 v[4:7], v2 offset:1344
	scratch_load_b128 v[22:25], off, off offset:496
	v_add_f64_e32 v[30:31], v[30:31], v[196:197]
	v_add_f64_e32 v[198:199], v[198:199], v[194:195]
	ds_load_b128 v[194:197], v2 offset:1360
	s_wait_loadcnt_dscnt 0xa01
	v_mul_f64_e32 v[204:205], v[4:5], v[160:161]
	v_mul_f64_e32 v[160:161], v[6:7], v[160:161]
	v_fmac_f64_e32 v[200:201], v[192:193], v[182:183]
	v_fma_f64 v[190:191], v[190:191], v[182:183], -v[184:185]
	scratch_load_b128 v[182:185], off, off offset:512
	v_add_f64_e32 v[30:31], v[30:31], v[202:203]
	v_add_f64_e32 v[192:193], v[198:199], v[206:207]
	s_wait_loadcnt_dscnt 0xa00
	v_mul_f64_e32 v[198:199], v[194:195], v[28:29]
	v_mul_f64_e32 v[202:203], v[196:197], v[28:29]
	v_fmac_f64_e32 v[204:205], v[6:7], v[158:159]
	v_fma_f64 v[206:207], v[4:5], v[158:159], -v[160:161]
	ds_load_b128 v[4:7], v2 offset:1376
	ds_load_b128 v[158:161], v2 offset:1392
	v_add_f64_e32 v[190:191], v[30:31], v[190:191]
	v_add_f64_e32 v[192:193], v[192:193], v[200:201]
	scratch_load_b128 v[28:31], off, off offset:528
	s_wait_loadcnt_dscnt 0xa01
	v_mul_f64_e32 v[200:201], v[4:5], v[164:165]
	v_mul_f64_e32 v[164:165], v[6:7], v[164:165]
	v_fmac_f64_e32 v[198:199], v[196:197], v[26:27]
	v_fma_f64 v[26:27], v[194:195], v[26:27], -v[202:203]
	s_wait_loadcnt_dscnt 0x900
	v_mul_f64_e32 v[202:203], v[158:159], v[172:173]
	v_mul_f64_e32 v[172:173], v[160:161], v[172:173]
	v_add_f64_e32 v[194:195], v[190:191], v[206:207]
	v_add_f64_e32 v[196:197], v[192:193], v[204:205]
	scratch_load_b128 v[190:193], off, off offset:544
	v_fmac_f64_e32 v[200:201], v[6:7], v[162:163]
	v_fma_f64 v[204:205], v[4:5], v[162:163], -v[164:165]
	ds_load_b128 v[4:7], v2 offset:1408
	scratch_load_b128 v[162:165], off, off offset:560
	v_fmac_f64_e32 v[202:203], v[160:161], v[170:171]
	v_fma_f64 v[170:171], v[158:159], v[170:171], -v[172:173]
	scratch_load_b128 v[158:161], off, off offset:576
	v_add_f64_e32 v[26:27], v[194:195], v[26:27]
	v_add_f64_e32 v[198:199], v[196:197], v[198:199]
	ds_load_b128 v[194:197], v2 offset:1424
	s_wait_loadcnt_dscnt 0xb01
	v_mul_f64_e32 v[206:207], v[4:5], v[180:181]
	v_mul_f64_e32 v[180:181], v[6:7], v[180:181]
	v_add_f64_e32 v[26:27], v[26:27], v[204:205]
	v_add_f64_e32 v[172:173], v[198:199], v[200:201]
	s_wait_loadcnt_dscnt 0xa00
	v_mul_f64_e32 v[198:199], v[194:195], v[168:169]
	v_mul_f64_e32 v[200:201], v[196:197], v[168:169]
	v_fmac_f64_e32 v[206:207], v[6:7], v[178:179]
	v_fma_f64 v[204:205], v[4:5], v[178:179], -v[180:181]
	ds_load_b128 v[4:7], v2 offset:1440
	ds_load_b128 v[178:181], v2 offset:1456
	v_add_f64_e32 v[26:27], v[26:27], v[170:171]
	v_add_f64_e32 v[172:173], v[172:173], v[202:203]
	scratch_load_b128 v[168:171], off, off offset:592
	s_wait_loadcnt_dscnt 0xa01
	v_mul_f64_e32 v[202:203], v[4:5], v[176:177]
	v_mul_f64_e32 v[176:177], v[6:7], v[176:177]
	v_fmac_f64_e32 v[198:199], v[196:197], v[166:167]
	v_fma_f64 v[166:167], v[194:195], v[166:167], -v[200:201]
	scratch_load_b128 v[194:197], off, off offset:608
	v_add_f64_e32 v[26:27], v[26:27], v[204:205]
	v_add_f64_e32 v[172:173], v[172:173], v[206:207]
	s_wait_loadcnt_dscnt 0xa00
	v_mul_f64_e32 v[204:205], v[178:179], v[10:11]
	v_mul_f64_e32 v[10:11], v[180:181], v[10:11]
	v_fmac_f64_e32 v[202:203], v[6:7], v[174:175]
	v_fma_f64 v[176:177], v[4:5], v[174:175], -v[176:177]
	ds_load_b128 v[4:7], v2 offset:1472
	v_add_f64_e32 v[26:27], v[26:27], v[166:167]
	v_add_f64_e32 v[166:167], v[172:173], v[198:199]
	scratch_load_b128 v[172:175], off, off offset:624
	ds_load_b128 v[198:201], v2 offset:1488
	s_wait_loadcnt_dscnt 0xa01
	v_mul_f64_e32 v[206:207], v[4:5], v[14:15]
	v_mul_f64_e32 v[14:15], v[6:7], v[14:15]
	v_fmac_f64_e32 v[204:205], v[180:181], v[8:9]
	v_fma_f64 v[178:179], v[178:179], v[8:9], -v[10:11]
	scratch_load_b128 v[8:11], off, off offset:640
	s_wait_loadcnt_dscnt 0xa00
	v_mul_f64_e32 v[180:181], v[198:199], v[18:19]
	v_mul_f64_e32 v[18:19], v[200:201], v[18:19]
	v_add_f64_e32 v[26:27], v[26:27], v[176:177]
	v_add_f64_e32 v[166:167], v[166:167], v[202:203]
	v_fmac_f64_e32 v[206:207], v[6:7], v[12:13]
	v_fma_f64 v[202:203], v[4:5], v[12:13], -v[14:15]
	ds_load_b128 v[4:7], v2 offset:1504
	scratch_load_b128 v[12:15], off, off offset:656
	v_fmac_f64_e32 v[180:181], v[200:201], v[16:17]
	v_fma_f64 v[198:199], v[198:199], v[16:17], -v[18:19]
	scratch_load_b128 v[16:19], off, off offset:672
	v_add_f64_e32 v[26:27], v[26:27], v[178:179]
	v_add_f64_e32 v[166:167], v[166:167], v[204:205]
	ds_load_b128 v[176:179], v2 offset:1520
	s_wait_loadcnt_dscnt 0xb01
	v_mul_f64_e32 v[204:205], v[4:5], v[24:25]
	v_mul_f64_e32 v[24:25], v[6:7], v[24:25]
	v_add_f64_e32 v[26:27], v[26:27], v[202:203]
	v_add_f64_e32 v[166:167], v[166:167], v[206:207]
	s_wait_loadcnt_dscnt 0xa00
	v_mul_f64_e32 v[202:203], v[176:177], v[184:185]
	v_mul_f64_e32 v[184:185], v[178:179], v[184:185]
	v_fmac_f64_e32 v[204:205], v[6:7], v[22:23]
	v_fma_f64 v[206:207], v[4:5], v[22:23], -v[24:25]
	ds_load_b128 v[4:7], v2 offset:1536
	scratch_load_b128 v[22:25], off, off offset:688
	v_add_f64_e32 v[26:27], v[26:27], v[198:199]
	v_add_f64_e32 v[166:167], v[166:167], v[180:181]
	ds_load_b128 v[198:201], v2 offset:1552
	s_wait_loadcnt_dscnt 0xa01
	v_mul_f64_e32 v[208:209], v[4:5], v[30:31]
	v_mul_f64_e32 v[30:31], v[6:7], v[30:31]
	v_fmac_f64_e32 v[202:203], v[178:179], v[182:183]
	v_fma_f64 v[180:181], v[176:177], v[182:183], -v[184:185]
	scratch_load_b128 v[176:179], off, off offset:704
	v_add_f64_e32 v[26:27], v[26:27], v[206:207]
	v_add_f64_e32 v[166:167], v[166:167], v[204:205]
	s_wait_loadcnt_dscnt 0xa00
	v_mul_f64_e32 v[184:185], v[198:199], v[192:193]
	v_mul_f64_e32 v[192:193], v[200:201], v[192:193]
	v_fmac_f64_e32 v[208:209], v[6:7], v[28:29]
	v_fma_f64 v[30:31], v[4:5], v[28:29], -v[30:31]
	ds_load_b128 v[4:7], v2 offset:1568
	v_add_f64_e32 v[204:205], v[26:27], v[180:181]
	v_add_f64_e32 v[166:167], v[166:167], v[202:203]
	scratch_load_b128 v[26:29], off, off offset:720
	ds_load_b128 v[180:183], v2 offset:1584
	s_wait_loadcnt_dscnt 0xa01
	v_mul_f64_e32 v[202:203], v[4:5], v[164:165]
	v_mul_f64_e32 v[206:207], v[6:7], v[164:165]
	v_fmac_f64_e32 v[184:185], v[200:201], v[190:191]
	v_fma_f64 v[190:191], v[198:199], v[190:191], -v[192:193]
	s_wait_loadcnt_dscnt 0x900
	v_mul_f64_e32 v[198:199], v[180:181], v[160:161]
	v_mul_f64_e32 v[200:201], v[182:183], v[160:161]
	v_add_f64_e32 v[30:31], v[204:205], v[30:31]
	v_add_f64_e32 v[192:193], v[166:167], v[208:209]
	scratch_load_b128 v[164:167], off, off offset:736
	v_fmac_f64_e32 v[202:203], v[6:7], v[162:163]
	v_fma_f64 v[204:205], v[4:5], v[162:163], -v[206:207]
	ds_load_b128 v[4:7], v2 offset:1600
	scratch_load_b128 v[160:163], off, off offset:752
	v_fmac_f64_e32 v[198:199], v[182:183], v[158:159]
	v_fma_f64 v[158:159], v[180:181], v[158:159], -v[200:201]
	scratch_load_b128 v[180:183], off, off offset:768
	v_add_f64_e32 v[30:31], v[30:31], v[190:191]
	v_add_f64_e32 v[184:185], v[192:193], v[184:185]
	ds_load_b128 v[190:193], v2 offset:1616
	s_wait_loadcnt_dscnt 0xb01
	v_mul_f64_e32 v[206:207], v[4:5], v[170:171]
	v_mul_f64_e32 v[170:171], v[6:7], v[170:171]
	s_wait_loadcnt_dscnt 0xa00
	v_mul_f64_e32 v[200:201], v[190:191], v[196:197]
	v_add_f64_e32 v[30:31], v[30:31], v[204:205]
	v_add_f64_e32 v[184:185], v[184:185], v[202:203]
	v_mul_f64_e32 v[202:203], v[192:193], v[196:197]
	v_fmac_f64_e32 v[206:207], v[6:7], v[168:169]
	v_fma_f64 v[204:205], v[4:5], v[168:169], -v[170:171]
	ds_load_b128 v[4:7], v2 offset:1632
	scratch_load_b128 v[168:171], off, off offset:784
	v_fmac_f64_e32 v[200:201], v[192:193], v[194:195]
	v_add_f64_e32 v[30:31], v[30:31], v[158:159]
	v_add_f64_e32 v[158:159], v[184:185], v[198:199]
	ds_load_b128 v[196:199], v2 offset:1648
	s_wait_loadcnt_dscnt 0xa01
	v_mul_f64_e32 v[184:185], v[4:5], v[174:175]
	v_mul_f64_e32 v[174:175], v[6:7], v[174:175]
	v_fma_f64 v[194:195], v[190:191], v[194:195], -v[202:203]
	scratch_load_b128 v[190:193], off, off offset:800
	v_add_f64_e32 v[30:31], v[30:31], v[204:205]
	v_add_f64_e32 v[158:159], v[158:159], v[206:207]
	s_wait_loadcnt_dscnt 0xa00
	v_mul_f64_e32 v[204:205], v[196:197], v[10:11]
	v_mul_f64_e32 v[10:11], v[198:199], v[10:11]
	v_fmac_f64_e32 v[184:185], v[6:7], v[172:173]
	v_fma_f64 v[206:207], v[4:5], v[172:173], -v[174:175]
	ds_load_b128 v[4:7], v2 offset:1664
	scratch_load_b128 v[172:175], off, off offset:816
	v_add_f64_e32 v[30:31], v[30:31], v[194:195]
	v_add_f64_e32 v[158:159], v[158:159], v[200:201]
	ds_load_b128 v[200:203], v2 offset:1680
	s_wait_loadcnt_dscnt 0xa01
	v_mul_f64_e32 v[208:209], v[4:5], v[14:15]
	v_mul_f64_e32 v[14:15], v[6:7], v[14:15]
	v_fmac_f64_e32 v[204:205], v[198:199], v[8:9]
	v_fma_f64 v[194:195], v[196:197], v[8:9], -v[10:11]
	scratch_load_b128 v[8:11], off, off offset:832
	v_add_f64_e32 v[30:31], v[30:31], v[206:207]
	v_add_f64_e32 v[158:159], v[158:159], v[184:185]
	s_wait_loadcnt_dscnt 0xa00
	v_mul_f64_e32 v[184:185], v[200:201], v[18:19]
	v_mul_f64_e32 v[18:19], v[202:203], v[18:19]
	v_fmac_f64_e32 v[208:209], v[6:7], v[12:13]
	v_fma_f64 v[198:199], v[4:5], v[12:13], -v[14:15]
	ds_load_b128 v[4:7], v2 offset:1696
	scratch_load_b128 v[12:15], off, off offset:848
	v_add_f64_e32 v[30:31], v[30:31], v[194:195]
	v_add_f64_e32 v[158:159], v[158:159], v[204:205]
	ds_load_b128 v[194:197], v2 offset:1712
	s_wait_loadcnt_dscnt 0xa01
	v_mul_f64_e32 v[204:205], v[4:5], v[24:25]
	v_mul_f64_e32 v[24:25], v[6:7], v[24:25]
	v_fmac_f64_e32 v[184:185], v[202:203], v[16:17]
	v_fma_f64 v[200:201], v[200:201], v[16:17], -v[18:19]
	scratch_load_b128 v[16:19], off, off offset:864
	s_wait_loadcnt_dscnt 0xa00
	v_mul_f64_e32 v[202:203], v[194:195], v[178:179]
	v_mul_f64_e32 v[178:179], v[196:197], v[178:179]
	v_add_f64_e32 v[30:31], v[30:31], v[198:199]
	v_add_f64_e32 v[158:159], v[158:159], v[208:209]
	v_fmac_f64_e32 v[204:205], v[6:7], v[22:23]
	v_fma_f64 v[206:207], v[4:5], v[22:23], -v[24:25]
	ds_load_b128 v[4:7], v2 offset:1728
	scratch_load_b128 v[22:25], off, off offset:880
	v_fmac_f64_e32 v[202:203], v[196:197], v[176:177]
	v_fma_f64 v[176:177], v[194:195], v[176:177], -v[178:179]
	ds_load_b128 v[194:197], v2 offset:1776
	v_add_f64_e32 v[30:31], v[30:31], v[200:201]
	v_add_f64_e32 v[158:159], v[158:159], v[184:185]
	ds_load_b128 v[198:201], v2 offset:1744
	s_wait_loadcnt_dscnt 0xa02
	v_mul_f64_e32 v[184:185], v[4:5], v[28:29]
	v_mul_f64_e32 v[208:209], v[6:7], v[28:29]
	v_add_f64_e32 v[178:179], v[30:31], v[206:207]
	v_add_f64_e32 v[158:159], v[158:159], v[204:205]
	scratch_load_b128 v[28:31], off, off offset:896
	s_wait_loadcnt_dscnt 0xa00
	v_mul_f64_e32 v[204:205], v[198:199], v[166:167]
	v_mul_f64_e32 v[166:167], v[200:201], v[166:167]
	v_fmac_f64_e32 v[184:185], v[6:7], v[26:27]
	v_fma_f64 v[26:27], v[4:5], v[26:27], -v[208:209]
	ds_load_b128 v[4:7], v2 offset:1760
	s_wait_loadcnt_dscnt 0x900
	v_mul_f64_e32 v[208:209], v[6:7], v[162:163]
	v_add_f64_e32 v[206:207], v[178:179], v[176:177]
	v_add_f64_e32 v[158:159], v[158:159], v[202:203]
	scratch_load_b128 v[176:179], off, off offset:912
	v_mul_f64_e32 v[202:203], v[4:5], v[162:163]
	v_fmac_f64_e32 v[204:205], v[200:201], v[164:165]
	v_fma_f64 v[166:167], v[198:199], v[164:165], -v[166:167]
	scratch_load_b128 v[162:165], off, off offset:928
	s_wait_loadcnt 0xa
	v_mul_f64_e32 v[198:199], v[194:195], v[182:183]
	v_mul_f64_e32 v[200:201], v[196:197], v[182:183]
	v_add_f64_e32 v[26:27], v[206:207], v[26:27]
	v_add_f64_e32 v[158:159], v[158:159], v[184:185]
	v_fma_f64 v[206:207], v[4:5], v[160:161], -v[208:209]
	v_fmac_f64_e32 v[202:203], v[6:7], v[160:161]
	ds_load_b128 v[4:7], v2 offset:1792
	ds_load_b128 v[182:185], v2 offset:1808
	v_fmac_f64_e32 v[198:199], v[196:197], v[180:181]
	v_fma_f64 v[180:181], v[194:195], v[180:181], -v[200:201]
	scratch_load_b128 v[194:197], off, off offset:960
	v_add_f64_e32 v[26:27], v[26:27], v[166:167]
	v_add_f64_e32 v[166:167], v[158:159], v[204:205]
	scratch_load_b128 v[158:161], off, off offset:944
	s_wait_loadcnt_dscnt 0xb01
	v_mul_f64_e32 v[204:205], v[4:5], v[170:171]
	v_mul_f64_e32 v[170:171], v[6:7], v[170:171]
	v_add_f64_e32 v[26:27], v[26:27], v[206:207]
	v_add_f64_e32 v[166:167], v[166:167], v[202:203]
	s_wait_loadcnt_dscnt 0xa00
	v_mul_f64_e32 v[202:203], v[182:183], v[192:193]
	v_mul_f64_e32 v[192:193], v[184:185], v[192:193]
	v_fmac_f64_e32 v[204:205], v[6:7], v[168:169]
	v_fma_f64 v[170:171], v[4:5], v[168:169], -v[170:171]
	ds_load_b128 v[4:7], v2 offset:1824
	v_add_f64_e32 v[26:27], v[26:27], v[180:181]
	v_add_f64_e32 v[180:181], v[166:167], v[198:199]
	scratch_load_b128 v[166:169], off, off offset:976
	ds_load_b128 v[198:201], v2 offset:1840
	s_wait_loadcnt_dscnt 0xa01
	v_mul_f64_e32 v[206:207], v[4:5], v[174:175]
	v_mul_f64_e32 v[174:175], v[6:7], v[174:175]
	v_fmac_f64_e32 v[202:203], v[184:185], v[190:191]
	v_fma_f64 v[184:185], v[182:183], v[190:191], -v[192:193]
	s_wait_loadcnt_dscnt 0x900
	v_mul_f64_e32 v[190:191], v[198:199], v[10:11]
	v_mul_f64_e32 v[10:11], v[200:201], v[10:11]
	v_add_f64_e32 v[26:27], v[26:27], v[170:171]
	v_add_f64_e32 v[170:171], v[180:181], v[204:205]
	scratch_load_b128 v[180:183], off, off offset:992
	v_fmac_f64_e32 v[206:207], v[6:7], v[172:173]
	v_fma_f64 v[174:175], v[4:5], v[172:173], -v[174:175]
	v_fmac_f64_e32 v[190:191], v[200:201], v[8:9]
	v_fma_f64 v[8:9], v[198:199], v[8:9], -v[10:11]
	v_add_f64_e32 v[26:27], v[26:27], v[184:185]
	v_add_f64_e32 v[184:185], v[170:171], v[202:203]
	ds_load_b128 v[4:7], v2 offset:1856
	ds_load_b128 v[170:173], v2 offset:1872
	s_wait_loadcnt_dscnt 0x901
	v_mul_f64_e32 v[192:193], v[4:5], v[14:15]
	v_mul_f64_e32 v[14:15], v[6:7], v[14:15]
	v_add_f64_e32 v[10:11], v[26:27], v[174:175]
	v_add_f64_e32 v[26:27], v[184:185], v[206:207]
	s_wait_loadcnt_dscnt 0x800
	v_mul_f64_e32 v[174:175], v[170:171], v[18:19]
	v_mul_f64_e32 v[18:19], v[172:173], v[18:19]
	v_fmac_f64_e32 v[192:193], v[6:7], v[12:13]
	v_fma_f64 v[12:13], v[4:5], v[12:13], -v[14:15]
	v_add_f64_e32 v[14:15], v[10:11], v[8:9]
	v_add_f64_e32 v[26:27], v[26:27], v[190:191]
	ds_load_b128 v[4:7], v2 offset:1888
	ds_load_b128 v[8:11], v2 offset:1904
	v_fmac_f64_e32 v[174:175], v[172:173], v[16:17]
	v_fma_f64 v[16:17], v[170:171], v[16:17], -v[18:19]
	s_wait_loadcnt_dscnt 0x701
	v_mul_f64_e32 v[184:185], v[4:5], v[24:25]
	v_mul_f64_e32 v[24:25], v[6:7], v[24:25]
	v_add_f64_e32 v[12:13], v[14:15], v[12:13]
	v_add_f64_e32 v[14:15], v[26:27], v[192:193]
	s_wait_loadcnt_dscnt 0x600
	v_mul_f64_e32 v[18:19], v[8:9], v[30:31]
	v_mul_f64_e32 v[26:27], v[10:11], v[30:31]
	v_fmac_f64_e32 v[184:185], v[6:7], v[22:23]
	v_fma_f64 v[22:23], v[4:5], v[22:23], -v[24:25]
	v_add_f64_e32 v[16:17], v[12:13], v[16:17]
	v_add_f64_e32 v[24:25], v[14:15], v[174:175]
	ds_load_b128 v[4:7], v2 offset:1920
	ds_load_b128 v[12:15], v2 offset:1936
	v_fmac_f64_e32 v[18:19], v[10:11], v[28:29]
	v_fma_f64 v[8:9], v[8:9], v[28:29], -v[26:27]
	;; [unrolled: 16-line block ×3, first 2 shown]
	s_wait_loadcnt_dscnt 0x201
	v_mul_f64_e32 v[18:19], v[4:5], v[160:161]
	v_mul_f64_e32 v[160:161], v[6:7], v[160:161]
	s_wait_dscnt 0x0
	v_mul_f64_e32 v[24:25], v[8:9], v[196:197]
	v_add_f64_e32 v[14:15], v[28:29], v[26:27]
	v_add_f64_e32 v[16:17], v[16:17], v[30:31]
	v_mul_f64_e32 v[26:27], v[10:11], v[196:197]
	v_fmac_f64_e32 v[18:19], v[6:7], v[158:159]
	v_fma_f64 v[28:29], v[4:5], v[158:159], -v[160:161]
	v_fmac_f64_e32 v[24:25], v[10:11], v[194:195]
	v_add_f64_e32 v[30:31], v[14:15], v[12:13]
	v_add_f64_e32 v[16:17], v[16:17], v[22:23]
	ds_load_b128 v[4:7], v2 offset:1984
	ds_load_b128 v[12:15], v2 offset:2000
	v_fma_f64 v[8:9], v[8:9], v[194:195], -v[26:27]
	s_wait_loadcnt_dscnt 0x101
	v_mul_f64_e32 v[2:3], v[4:5], v[168:169]
	v_mul_f64_e32 v[22:23], v[6:7], v[168:169]
	v_add_f64_e32 v[10:11], v[30:31], v[28:29]
	v_add_f64_e32 v[16:17], v[16:17], v[18:19]
	s_wait_loadcnt_dscnt 0x0
	v_mul_f64_e32 v[18:19], v[12:13], v[182:183]
	v_mul_f64_e32 v[26:27], v[14:15], v[182:183]
	v_fmac_f64_e32 v[2:3], v[6:7], v[166:167]
	v_fma_f64 v[4:5], v[4:5], v[166:167], -v[22:23]
	v_add_f64_e32 v[6:7], v[10:11], v[8:9]
	v_add_f64_e32 v[8:9], v[16:17], v[24:25]
	v_fmac_f64_e32 v[18:19], v[14:15], v[180:181]
	v_fma_f64 v[10:11], v[12:13], v[180:181], -v[26:27]
	s_delay_alu instid0(VALU_DEP_4) | instskip(NEXT) | instid1(VALU_DEP_4)
	v_add_f64_e32 v[4:5], v[6:7], v[4:5]
	v_add_f64_e32 v[2:3], v[8:9], v[2:3]
	s_delay_alu instid0(VALU_DEP_2) | instskip(NEXT) | instid1(VALU_DEP_2)
	v_add_f64_e32 v[4:5], v[4:5], v[10:11]
	v_add_f64_e32 v[6:7], v[2:3], v[18:19]
	s_delay_alu instid0(VALU_DEP_2) | instskip(NEXT) | instid1(VALU_DEP_2)
	v_add_f64_e64 v[2:3], v[186:187], -v[4:5]
	v_add_f64_e64 v[4:5], v[188:189], -v[6:7]
	scratch_store_b128 off, v[2:5], off offset:32
	s_wait_xcnt 0x0
	v_cmpx_lt_u32_e32 1, v1
	s_cbranch_execz .LBB126_401
; %bb.400:
	scratch_load_b128 v[2:5], off, s20
	v_mov_b32_e32 v6, 0
	s_delay_alu instid0(VALU_DEP_1)
	v_dual_mov_b32 v7, v6 :: v_dual_mov_b32 v8, v6
	v_mov_b32_e32 v9, v6
	scratch_store_b128 off, v[6:9], off offset:16
	s_wait_loadcnt 0x0
	ds_store_b128 v20, v[2:5]
.LBB126_401:
	s_wait_xcnt 0x0
	s_or_b32 exec_lo, exec_lo, s2
	s_wait_storecnt_dscnt 0x0
	s_barrier_signal -1
	s_barrier_wait -1
	s_clause 0x9
	scratch_load_b128 v[4:7], off, off offset:32
	scratch_load_b128 v[8:11], off, off offset:48
	;; [unrolled: 1-line block ×10, first 2 shown]
	v_mov_b32_e32 v2, 0
	s_mov_b32 s2, exec_lo
	ds_load_b128 v[174:177], v2 offset:1040
	s_clause 0x2
	scratch_load_b128 v[178:181], off, off offset:192
	scratch_load_b128 v[182:185], off, off offset:16
	;; [unrolled: 1-line block ×3, first 2 shown]
	s_wait_loadcnt_dscnt 0xc00
	v_mul_f64_e32 v[30:31], v[176:177], v[6:7]
	v_mul_f64_e32 v[198:199], v[174:175], v[6:7]
	ds_load_b128 v[186:189], v2 offset:1056
	ds_load_b128 v[194:197], v2 offset:1088
	v_fma_f64 v[30:31], v[174:175], v[4:5], -v[30:31]
	v_fmac_f64_e32 v[198:199], v[176:177], v[4:5]
	ds_load_b128 v[4:7], v2 offset:1072
	s_wait_loadcnt_dscnt 0xb02
	v_mul_f64_e32 v[200:201], v[186:187], v[10:11]
	v_mul_f64_e32 v[10:11], v[188:189], v[10:11]
	scratch_load_b128 v[174:177], off, off offset:224
	s_wait_loadcnt_dscnt 0xb00
	v_mul_f64_e32 v[202:203], v[4:5], v[14:15]
	v_mul_f64_e32 v[14:15], v[6:7], v[14:15]
	v_add_f64_e32 v[30:31], 0, v[30:31]
	v_fmac_f64_e32 v[200:201], v[188:189], v[8:9]
	v_fma_f64 v[186:187], v[186:187], v[8:9], -v[10:11]
	v_add_f64_e32 v[188:189], 0, v[198:199]
	scratch_load_b128 v[8:11], off, off offset:240
	v_fmac_f64_e32 v[202:203], v[6:7], v[12:13]
	v_fma_f64 v[204:205], v[4:5], v[12:13], -v[14:15]
	ds_load_b128 v[4:7], v2 offset:1104
	s_wait_loadcnt 0xb
	v_mul_f64_e32 v[198:199], v[194:195], v[18:19]
	v_mul_f64_e32 v[18:19], v[196:197], v[18:19]
	scratch_load_b128 v[12:15], off, off offset:256
	v_add_f64_e32 v[30:31], v[30:31], v[186:187]
	v_add_f64_e32 v[200:201], v[188:189], v[200:201]
	ds_load_b128 v[186:189], v2 offset:1120
	s_wait_loadcnt_dscnt 0xb01
	v_mul_f64_e32 v[206:207], v[4:5], v[24:25]
	v_mul_f64_e32 v[24:25], v[6:7], v[24:25]
	v_fmac_f64_e32 v[198:199], v[196:197], v[16:17]
	v_fma_f64 v[194:195], v[194:195], v[16:17], -v[18:19]
	scratch_load_b128 v[16:19], off, off offset:272
	v_add_f64_e32 v[30:31], v[30:31], v[204:205]
	v_add_f64_e32 v[196:197], v[200:201], v[202:203]
	v_fmac_f64_e32 v[206:207], v[6:7], v[22:23]
	v_fma_f64 v[204:205], v[4:5], v[22:23], -v[24:25]
	ds_load_b128 v[4:7], v2 offset:1136
	s_wait_loadcnt_dscnt 0xb01
	v_mul_f64_e32 v[200:201], v[186:187], v[28:29]
	v_mul_f64_e32 v[202:203], v[188:189], v[28:29]
	scratch_load_b128 v[22:25], off, off offset:288
	v_add_f64_e32 v[194:195], v[30:31], v[194:195]
	v_add_f64_e32 v[196:197], v[196:197], v[198:199]
	s_wait_loadcnt_dscnt 0xb00
	v_mul_f64_e32 v[198:199], v[4:5], v[160:161]
	v_mul_f64_e32 v[160:161], v[6:7], v[160:161]
	ds_load_b128 v[28:31], v2 offset:1152
	v_fmac_f64_e32 v[200:201], v[188:189], v[26:27]
	v_fma_f64 v[26:27], v[186:187], v[26:27], -v[202:203]
	scratch_load_b128 v[186:189], off, off offset:304
	v_add_f64_e32 v[194:195], v[194:195], v[204:205]
	v_add_f64_e32 v[196:197], v[196:197], v[206:207]
	v_fmac_f64_e32 v[198:199], v[6:7], v[158:159]
	v_fma_f64 v[204:205], v[4:5], v[158:159], -v[160:161]
	ds_load_b128 v[4:7], v2 offset:1168
	s_wait_loadcnt_dscnt 0xb01
	v_mul_f64_e32 v[202:203], v[28:29], v[164:165]
	v_mul_f64_e32 v[164:165], v[30:31], v[164:165]
	scratch_load_b128 v[158:161], off, off offset:320
	s_wait_loadcnt_dscnt 0xb00
	v_mul_f64_e32 v[206:207], v[4:5], v[168:169]
	v_mul_f64_e32 v[168:169], v[6:7], v[168:169]
	v_add_f64_e32 v[26:27], v[194:195], v[26:27]
	v_add_f64_e32 v[200:201], v[196:197], v[200:201]
	ds_load_b128 v[194:197], v2 offset:1184
	v_fmac_f64_e32 v[202:203], v[30:31], v[162:163]
	v_fma_f64 v[30:31], v[28:29], v[162:163], -v[164:165]
	v_fmac_f64_e32 v[206:207], v[6:7], v[166:167]
	v_add_f64_e32 v[162:163], v[26:27], v[204:205]
	v_add_f64_e32 v[164:165], v[200:201], v[198:199]
	scratch_load_b128 v[26:29], off, off offset:336
	v_fma_f64 v[200:201], v[4:5], v[166:167], -v[168:169]
	ds_load_b128 v[4:7], v2 offset:1200
	s_wait_loadcnt_dscnt 0xb01
	v_mul_f64_e32 v[198:199], v[194:195], v[172:173]
	v_mul_f64_e32 v[172:173], v[196:197], v[172:173]
	ds_load_b128 v[166:169], v2 offset:1216
	s_wait_loadcnt_dscnt 0xa01
	v_mul_f64_e32 v[204:205], v[4:5], v[180:181]
	v_mul_f64_e32 v[180:181], v[6:7], v[180:181]
	v_add_f64_e32 v[30:31], v[162:163], v[30:31]
	v_add_f64_e32 v[202:203], v[164:165], v[202:203]
	scratch_load_b128 v[162:165], off, off offset:352
	v_fmac_f64_e32 v[198:199], v[196:197], v[170:171]
	v_fma_f64 v[194:195], v[194:195], v[170:171], -v[172:173]
	scratch_load_b128 v[170:173], off, off offset:368
	v_fmac_f64_e32 v[204:205], v[6:7], v[178:179]
	v_add_f64_e32 v[30:31], v[30:31], v[200:201]
	v_add_f64_e32 v[196:197], v[202:203], v[206:207]
	v_fma_f64 v[206:207], v[4:5], v[178:179], -v[180:181]
	ds_load_b128 v[4:7], v2 offset:1232
	s_wait_loadcnt_dscnt 0xa01
	v_mul_f64_e32 v[200:201], v[166:167], v[192:193]
	v_mul_f64_e32 v[202:203], v[168:169], v[192:193]
	scratch_load_b128 v[178:181], off, off offset:384
	v_add_f64_e32 v[30:31], v[30:31], v[194:195]
	v_add_f64_e32 v[196:197], v[196:197], v[198:199]
	s_wait_loadcnt_dscnt 0xa00
	v_mul_f64_e32 v[208:209], v[4:5], v[176:177]
	v_mul_f64_e32 v[176:177], v[6:7], v[176:177]
	v_fmac_f64_e32 v[200:201], v[168:169], v[190:191]
	v_fma_f64 v[190:191], v[166:167], v[190:191], -v[202:203]
	ds_load_b128 v[192:195], v2 offset:1248
	scratch_load_b128 v[166:169], off, off offset:400
	v_add_f64_e32 v[30:31], v[30:31], v[206:207]
	v_add_f64_e32 v[196:197], v[196:197], v[204:205]
	v_fmac_f64_e32 v[208:209], v[6:7], v[174:175]
	v_fma_f64 v[204:205], v[4:5], v[174:175], -v[176:177]
	ds_load_b128 v[4:7], v2 offset:1264
	s_wait_loadcnt_dscnt 0xa01
	v_mul_f64_e32 v[202:203], v[192:193], v[10:11]
	v_mul_f64_e32 v[10:11], v[194:195], v[10:11]
	scratch_load_b128 v[174:177], off, off offset:416
	v_add_f64_e32 v[30:31], v[30:31], v[190:191]
	v_add_f64_e32 v[190:191], v[196:197], v[200:201]
	s_wait_loadcnt_dscnt 0xa00
	v_mul_f64_e32 v[200:201], v[4:5], v[14:15]
	v_mul_f64_e32 v[14:15], v[6:7], v[14:15]
	ds_load_b128 v[196:199], v2 offset:1280
	v_fmac_f64_e32 v[202:203], v[194:195], v[8:9]
	v_fma_f64 v[192:193], v[192:193], v[8:9], -v[10:11]
	scratch_load_b128 v[8:11], off, off offset:432
	v_add_f64_e32 v[30:31], v[30:31], v[204:205]
	v_add_f64_e32 v[190:191], v[190:191], v[208:209]
	v_fmac_f64_e32 v[200:201], v[6:7], v[12:13]
	v_fma_f64 v[204:205], v[4:5], v[12:13], -v[14:15]
	ds_load_b128 v[4:7], v2 offset:1296
	s_wait_loadcnt_dscnt 0xa01
	v_mul_f64_e32 v[194:195], v[196:197], v[18:19]
	v_mul_f64_e32 v[18:19], v[198:199], v[18:19]
	scratch_load_b128 v[12:15], off, off offset:448
	s_wait_loadcnt_dscnt 0xa00
	v_mul_f64_e32 v[206:207], v[4:5], v[24:25]
	v_mul_f64_e32 v[24:25], v[6:7], v[24:25]
	v_add_f64_e32 v[30:31], v[30:31], v[192:193]
	v_add_f64_e32 v[202:203], v[190:191], v[202:203]
	ds_load_b128 v[190:193], v2 offset:1312
	v_fmac_f64_e32 v[194:195], v[198:199], v[16:17]
	v_fma_f64 v[196:197], v[196:197], v[16:17], -v[18:19]
	scratch_load_b128 v[16:19], off, off offset:464
	v_fmac_f64_e32 v[206:207], v[6:7], v[22:23]
	v_add_f64_e32 v[30:31], v[30:31], v[204:205]
	v_add_f64_e32 v[198:199], v[202:203], v[200:201]
	v_fma_f64 v[202:203], v[4:5], v[22:23], -v[24:25]
	ds_load_b128 v[4:7], v2 offset:1328
	s_wait_loadcnt_dscnt 0xa01
	v_mul_f64_e32 v[200:201], v[190:191], v[188:189]
	v_mul_f64_e32 v[188:189], v[192:193], v[188:189]
	scratch_load_b128 v[22:25], off, off offset:480
	s_wait_loadcnt_dscnt 0xa00
	v_mul_f64_e32 v[204:205], v[4:5], v[160:161]
	v_mul_f64_e32 v[160:161], v[6:7], v[160:161]
	v_add_f64_e32 v[30:31], v[30:31], v[196:197]
	v_add_f64_e32 v[198:199], v[198:199], v[194:195]
	ds_load_b128 v[194:197], v2 offset:1344
	v_fmac_f64_e32 v[200:201], v[192:193], v[186:187]
	v_fma_f64 v[190:191], v[190:191], v[186:187], -v[188:189]
	scratch_load_b128 v[186:189], off, off offset:496
	v_fmac_f64_e32 v[204:205], v[6:7], v[158:159]
	v_add_f64_e32 v[30:31], v[30:31], v[202:203]
	v_add_f64_e32 v[192:193], v[198:199], v[206:207]
	v_fma_f64 v[206:207], v[4:5], v[158:159], -v[160:161]
	ds_load_b128 v[4:7], v2 offset:1360
	s_wait_loadcnt_dscnt 0xa01
	v_mul_f64_e32 v[198:199], v[194:195], v[28:29]
	v_mul_f64_e32 v[202:203], v[196:197], v[28:29]
	ds_load_b128 v[158:161], v2 offset:1376
	v_add_f64_e32 v[190:191], v[30:31], v[190:191]
	v_add_f64_e32 v[192:193], v[192:193], v[200:201]
	scratch_load_b128 v[28:31], off, off offset:512
	s_wait_loadcnt_dscnt 0xa01
	v_mul_f64_e32 v[200:201], v[4:5], v[164:165]
	v_mul_f64_e32 v[164:165], v[6:7], v[164:165]
	v_fmac_f64_e32 v[198:199], v[196:197], v[26:27]
	v_fma_f64 v[26:27], v[194:195], v[26:27], -v[202:203]
	v_add_f64_e32 v[194:195], v[190:191], v[206:207]
	v_add_f64_e32 v[196:197], v[192:193], v[204:205]
	scratch_load_b128 v[190:193], off, off offset:528
	v_fmac_f64_e32 v[200:201], v[6:7], v[162:163]
	v_fma_f64 v[204:205], v[4:5], v[162:163], -v[164:165]
	ds_load_b128 v[4:7], v2 offset:1392
	s_wait_loadcnt_dscnt 0xa01
	v_mul_f64_e32 v[202:203], v[158:159], v[172:173]
	v_mul_f64_e32 v[172:173], v[160:161], v[172:173]
	scratch_load_b128 v[162:165], off, off offset:544
	s_wait_loadcnt_dscnt 0xa00
	v_mul_f64_e32 v[206:207], v[4:5], v[180:181]
	v_mul_f64_e32 v[180:181], v[6:7], v[180:181]
	v_add_f64_e32 v[26:27], v[194:195], v[26:27]
	v_add_f64_e32 v[198:199], v[196:197], v[198:199]
	ds_load_b128 v[194:197], v2 offset:1408
	v_fmac_f64_e32 v[202:203], v[160:161], v[170:171]
	v_fma_f64 v[170:171], v[158:159], v[170:171], -v[172:173]
	scratch_load_b128 v[158:161], off, off offset:560
	v_fmac_f64_e32 v[206:207], v[6:7], v[178:179]
	v_add_f64_e32 v[26:27], v[26:27], v[204:205]
	v_add_f64_e32 v[172:173], v[198:199], v[200:201]
	v_fma_f64 v[204:205], v[4:5], v[178:179], -v[180:181]
	ds_load_b128 v[4:7], v2 offset:1424
	s_wait_loadcnt_dscnt 0xa01
	v_mul_f64_e32 v[198:199], v[194:195], v[168:169]
	v_mul_f64_e32 v[200:201], v[196:197], v[168:169]
	ds_load_b128 v[178:181], v2 offset:1440
	v_add_f64_e32 v[26:27], v[26:27], v[170:171]
	v_add_f64_e32 v[172:173], v[172:173], v[202:203]
	scratch_load_b128 v[168:171], off, off offset:576
	s_wait_loadcnt_dscnt 0xa01
	v_mul_f64_e32 v[202:203], v[4:5], v[176:177]
	v_mul_f64_e32 v[176:177], v[6:7], v[176:177]
	v_fmac_f64_e32 v[198:199], v[196:197], v[166:167]
	v_fma_f64 v[166:167], v[194:195], v[166:167], -v[200:201]
	scratch_load_b128 v[194:197], off, off offset:592
	v_add_f64_e32 v[26:27], v[26:27], v[204:205]
	v_add_f64_e32 v[172:173], v[172:173], v[206:207]
	v_fmac_f64_e32 v[202:203], v[6:7], v[174:175]
	v_fma_f64 v[176:177], v[4:5], v[174:175], -v[176:177]
	ds_load_b128 v[4:7], v2 offset:1456
	s_wait_loadcnt_dscnt 0xa01
	v_mul_f64_e32 v[204:205], v[178:179], v[10:11]
	v_mul_f64_e32 v[10:11], v[180:181], v[10:11]
	s_wait_loadcnt_dscnt 0x900
	v_mul_f64_e32 v[206:207], v[4:5], v[14:15]
	v_mul_f64_e32 v[14:15], v[6:7], v[14:15]
	v_add_f64_e32 v[26:27], v[26:27], v[166:167]
	v_add_f64_e32 v[166:167], v[172:173], v[198:199]
	scratch_load_b128 v[172:175], off, off offset:608
	ds_load_b128 v[198:201], v2 offset:1472
	v_fmac_f64_e32 v[204:205], v[180:181], v[8:9]
	v_fma_f64 v[178:179], v[178:179], v[8:9], -v[10:11]
	scratch_load_b128 v[8:11], off, off offset:624
	v_fmac_f64_e32 v[206:207], v[6:7], v[12:13]
	v_add_f64_e32 v[26:27], v[26:27], v[176:177]
	v_add_f64_e32 v[166:167], v[166:167], v[202:203]
	v_fma_f64 v[202:203], v[4:5], v[12:13], -v[14:15]
	ds_load_b128 v[4:7], v2 offset:1488
	s_wait_loadcnt_dscnt 0xa01
	v_mul_f64_e32 v[180:181], v[198:199], v[18:19]
	v_mul_f64_e32 v[18:19], v[200:201], v[18:19]
	scratch_load_b128 v[12:15], off, off offset:640
	v_add_f64_e32 v[26:27], v[26:27], v[178:179]
	v_add_f64_e32 v[166:167], v[166:167], v[204:205]
	s_wait_loadcnt_dscnt 0xa00
	v_mul_f64_e32 v[204:205], v[4:5], v[24:25]
	v_mul_f64_e32 v[24:25], v[6:7], v[24:25]
	v_fmac_f64_e32 v[180:181], v[200:201], v[16:17]
	v_fma_f64 v[198:199], v[198:199], v[16:17], -v[18:19]
	ds_load_b128 v[176:179], v2 offset:1504
	scratch_load_b128 v[16:19], off, off offset:656
	v_add_f64_e32 v[26:27], v[26:27], v[202:203]
	v_add_f64_e32 v[166:167], v[166:167], v[206:207]
	v_fmac_f64_e32 v[204:205], v[6:7], v[22:23]
	v_fma_f64 v[206:207], v[4:5], v[22:23], -v[24:25]
	ds_load_b128 v[4:7], v2 offset:1520
	s_wait_loadcnt_dscnt 0xa01
	v_mul_f64_e32 v[202:203], v[176:177], v[188:189]
	v_mul_f64_e32 v[188:189], v[178:179], v[188:189]
	scratch_load_b128 v[22:25], off, off offset:672
	v_add_f64_e32 v[26:27], v[26:27], v[198:199]
	v_add_f64_e32 v[166:167], v[166:167], v[180:181]
	s_wait_loadcnt_dscnt 0xa00
	v_mul_f64_e32 v[180:181], v[4:5], v[30:31]
	v_mul_f64_e32 v[30:31], v[6:7], v[30:31]
	ds_load_b128 v[198:201], v2 offset:1536
	v_fmac_f64_e32 v[202:203], v[178:179], v[186:187]
	v_fma_f64 v[186:187], v[176:177], v[186:187], -v[188:189]
	scratch_load_b128 v[176:179], off, off offset:688
	v_add_f64_e32 v[26:27], v[26:27], v[206:207]
	v_add_f64_e32 v[166:167], v[166:167], v[204:205]
	v_fmac_f64_e32 v[180:181], v[6:7], v[28:29]
	v_fma_f64 v[30:31], v[4:5], v[28:29], -v[30:31]
	ds_load_b128 v[4:7], v2 offset:1552
	s_wait_loadcnt_dscnt 0xa01
	v_mul_f64_e32 v[204:205], v[198:199], v[192:193]
	v_mul_f64_e32 v[192:193], v[200:201], v[192:193]
	s_wait_loadcnt_dscnt 0x900
	v_mul_f64_e32 v[208:209], v[6:7], v[164:165]
	v_add_f64_e32 v[206:207], v[26:27], v[186:187]
	v_add_f64_e32 v[166:167], v[166:167], v[202:203]
	scratch_load_b128 v[26:29], off, off offset:704
	v_mul_f64_e32 v[202:203], v[4:5], v[164:165]
	ds_load_b128 v[186:189], v2 offset:1568
	v_fmac_f64_e32 v[204:205], v[200:201], v[190:191]
	v_fma_f64 v[190:191], v[198:199], v[190:191], -v[192:193]
	v_add_f64_e32 v[30:31], v[206:207], v[30:31]
	v_add_f64_e32 v[180:181], v[166:167], v[180:181]
	scratch_load_b128 v[164:167], off, off offset:720
	v_fmac_f64_e32 v[202:203], v[6:7], v[162:163]
	v_fma_f64 v[206:207], v[4:5], v[162:163], -v[208:209]
	ds_load_b128 v[4:7], v2 offset:1584
	s_wait_loadcnt_dscnt 0xa01
	v_mul_f64_e32 v[198:199], v[186:187], v[160:161]
	v_mul_f64_e32 v[200:201], v[188:189], v[160:161]
	scratch_load_b128 v[160:163], off, off offset:736
	v_add_f64_e32 v[30:31], v[30:31], v[190:191]
	v_add_f64_e32 v[180:181], v[180:181], v[204:205]
	s_wait_loadcnt_dscnt 0xa00
	v_mul_f64_e32 v[204:205], v[4:5], v[170:171]
	v_mul_f64_e32 v[170:171], v[6:7], v[170:171]
	ds_load_b128 v[190:193], v2 offset:1600
	v_fmac_f64_e32 v[198:199], v[188:189], v[158:159]
	v_fma_f64 v[158:159], v[186:187], v[158:159], -v[200:201]
	scratch_load_b128 v[186:189], off, off offset:752
	v_add_f64_e32 v[30:31], v[30:31], v[206:207]
	v_add_f64_e32 v[180:181], v[180:181], v[202:203]
	v_fmac_f64_e32 v[204:205], v[6:7], v[168:169]
	v_fma_f64 v[206:207], v[4:5], v[168:169], -v[170:171]
	ds_load_b128 v[4:7], v2 offset:1616
	s_wait_loadcnt_dscnt 0xa01
	v_mul_f64_e32 v[200:201], v[190:191], v[196:197]
	v_mul_f64_e32 v[202:203], v[192:193], v[196:197]
	scratch_load_b128 v[168:171], off, off offset:768
	v_add_f64_e32 v[30:31], v[30:31], v[158:159]
	v_add_f64_e32 v[158:159], v[180:181], v[198:199]
	s_wait_loadcnt_dscnt 0xa00
	v_mul_f64_e32 v[180:181], v[4:5], v[174:175]
	v_mul_f64_e32 v[174:175], v[6:7], v[174:175]
	ds_load_b128 v[196:199], v2 offset:1632
	v_fmac_f64_e32 v[200:201], v[192:193], v[194:195]
	v_fma_f64 v[194:195], v[190:191], v[194:195], -v[202:203]
	scratch_load_b128 v[190:193], off, off offset:784
	v_add_f64_e32 v[30:31], v[30:31], v[206:207]
	v_add_f64_e32 v[158:159], v[158:159], v[204:205]
	v_fmac_f64_e32 v[180:181], v[6:7], v[172:173]
	v_fma_f64 v[206:207], v[4:5], v[172:173], -v[174:175]
	ds_load_b128 v[4:7], v2 offset:1648
	s_wait_loadcnt_dscnt 0xa01
	v_mul_f64_e32 v[204:205], v[196:197], v[10:11]
	v_mul_f64_e32 v[10:11], v[198:199], v[10:11]
	scratch_load_b128 v[172:175], off, off offset:800
	s_wait_loadcnt_dscnt 0xa00
	v_mul_f64_e32 v[208:209], v[4:5], v[14:15]
	v_mul_f64_e32 v[14:15], v[6:7], v[14:15]
	v_add_f64_e32 v[30:31], v[30:31], v[194:195]
	v_add_f64_e32 v[158:159], v[158:159], v[200:201]
	ds_load_b128 v[200:203], v2 offset:1664
	v_fmac_f64_e32 v[204:205], v[198:199], v[8:9]
	v_fma_f64 v[194:195], v[196:197], v[8:9], -v[10:11]
	scratch_load_b128 v[8:11], off, off offset:816
	v_fmac_f64_e32 v[208:209], v[6:7], v[12:13]
	v_fma_f64 v[198:199], v[4:5], v[12:13], -v[14:15]
	ds_load_b128 v[4:7], v2 offset:1680
	scratch_load_b128 v[12:15], off, off offset:832
	v_add_f64_e32 v[30:31], v[30:31], v[206:207]
	v_add_f64_e32 v[158:159], v[158:159], v[180:181]
	s_wait_loadcnt_dscnt 0xb01
	v_mul_f64_e32 v[180:181], v[200:201], v[18:19]
	v_mul_f64_e32 v[18:19], v[202:203], v[18:19]
	s_delay_alu instid0(VALU_DEP_4) | instskip(NEXT) | instid1(VALU_DEP_4)
	v_add_f64_e32 v[30:31], v[30:31], v[194:195]
	v_add_f64_e32 v[158:159], v[158:159], v[204:205]
	s_wait_loadcnt_dscnt 0xa00
	v_mul_f64_e32 v[204:205], v[4:5], v[24:25]
	v_mul_f64_e32 v[24:25], v[6:7], v[24:25]
	v_fmac_f64_e32 v[180:181], v[202:203], v[16:17]
	v_fma_f64 v[200:201], v[200:201], v[16:17], -v[18:19]
	ds_load_b128 v[194:197], v2 offset:1696
	scratch_load_b128 v[16:19], off, off offset:848
	v_add_f64_e32 v[30:31], v[30:31], v[198:199]
	v_add_f64_e32 v[158:159], v[158:159], v[208:209]
	v_fmac_f64_e32 v[204:205], v[6:7], v[22:23]
	v_fma_f64 v[206:207], v[4:5], v[22:23], -v[24:25]
	ds_load_b128 v[4:7], v2 offset:1712
	s_wait_loadcnt_dscnt 0xa01
	v_mul_f64_e32 v[198:199], v[194:195], v[178:179]
	v_mul_f64_e32 v[202:203], v[196:197], v[178:179]
	scratch_load_b128 v[22:25], off, off offset:864
	v_add_f64_e32 v[30:31], v[30:31], v[200:201]
	v_add_f64_e32 v[158:159], v[158:159], v[180:181]
	s_wait_loadcnt_dscnt 0xa00
	v_mul_f64_e32 v[208:209], v[4:5], v[28:29]
	v_mul_f64_e32 v[200:201], v[6:7], v[28:29]
	ds_load_b128 v[178:181], v2 offset:1728
	v_fmac_f64_e32 v[198:199], v[196:197], v[176:177]
	v_fma_f64 v[176:177], v[194:195], v[176:177], -v[202:203]
	v_add_f64_e32 v[194:195], v[30:31], v[206:207]
	v_add_f64_e32 v[158:159], v[158:159], v[204:205]
	scratch_load_b128 v[28:31], off, off offset:880
	v_fmac_f64_e32 v[208:209], v[6:7], v[26:27]
	v_fma_f64 v[26:27], v[4:5], v[26:27], -v[200:201]
	ds_load_b128 v[4:7], v2 offset:1744
	s_wait_loadcnt_dscnt 0xa01
	v_mul_f64_e32 v[202:203], v[178:179], v[166:167]
	v_mul_f64_e32 v[166:167], v[180:181], v[166:167]
	s_wait_loadcnt_dscnt 0x900
	v_mul_f64_e32 v[204:205], v[4:5], v[162:163]
	v_mul_f64_e32 v[206:207], v[6:7], v[162:163]
	v_add_f64_e32 v[176:177], v[194:195], v[176:177]
	v_add_f64_e32 v[158:159], v[158:159], v[198:199]
	scratch_load_b128 v[194:197], off, off offset:896
	ds_load_b128 v[198:201], v2 offset:1760
	v_fmac_f64_e32 v[202:203], v[180:181], v[164:165]
	v_fma_f64 v[166:167], v[178:179], v[164:165], -v[166:167]
	scratch_load_b128 v[162:165], off, off offset:912
	v_fmac_f64_e32 v[204:205], v[6:7], v[160:161]
	v_fma_f64 v[206:207], v[4:5], v[160:161], -v[206:207]
	ds_load_b128 v[4:7], v2 offset:1776
	s_wait_loadcnt_dscnt 0xa01
	v_mul_f64_e32 v[180:181], v[198:199], v[188:189]
	v_mul_f64_e32 v[188:189], v[200:201], v[188:189]
	v_add_f64_e32 v[26:27], v[176:177], v[26:27]
	v_add_f64_e32 v[158:159], v[158:159], v[208:209]
	ds_load_b128 v[176:179], v2 offset:1792
	v_fmac_f64_e32 v[180:181], v[200:201], v[186:187]
	v_fma_f64 v[198:199], v[198:199], v[186:187], -v[188:189]
	scratch_load_b128 v[186:189], off, off offset:944
	v_add_f64_e32 v[26:27], v[26:27], v[166:167]
	v_add_f64_e32 v[166:167], v[158:159], v[202:203]
	scratch_load_b128 v[158:161], off, off offset:928
	s_wait_loadcnt_dscnt 0xb01
	v_mul_f64_e32 v[202:203], v[4:5], v[170:171]
	v_mul_f64_e32 v[170:171], v[6:7], v[170:171]
	v_add_f64_e32 v[26:27], v[26:27], v[206:207]
	v_add_f64_e32 v[166:167], v[166:167], v[204:205]
	s_delay_alu instid0(VALU_DEP_4) | instskip(NEXT) | instid1(VALU_DEP_4)
	v_fmac_f64_e32 v[202:203], v[6:7], v[168:169]
	v_fma_f64 v[170:171], v[4:5], v[168:169], -v[170:171]
	ds_load_b128 v[4:7], v2 offset:1808
	s_wait_loadcnt_dscnt 0xa01
	v_mul_f64_e32 v[204:205], v[176:177], v[192:193]
	v_mul_f64_e32 v[192:193], v[178:179], v[192:193]
	s_wait_loadcnt_dscnt 0x900
	v_mul_f64_e32 v[206:207], v[4:5], v[174:175]
	v_mul_f64_e32 v[208:209], v[6:7], v[174:175]
	v_add_f64_e32 v[26:27], v[26:27], v[198:199]
	v_add_f64_e32 v[180:181], v[166:167], v[180:181]
	scratch_load_b128 v[166:169], off, off offset:960
	ds_load_b128 v[198:201], v2 offset:1824
	v_fmac_f64_e32 v[204:205], v[178:179], v[190:191]
	v_fma_f64 v[178:179], v[176:177], v[190:191], -v[192:193]
	scratch_load_b128 v[174:177], off, off offset:976
	v_fmac_f64_e32 v[206:207], v[6:7], v[172:173]
	v_fma_f64 v[192:193], v[4:5], v[172:173], -v[208:209]
	ds_load_b128 v[4:7], v2 offset:1840
	s_wait_loadcnt_dscnt 0xa01
	v_mul_f64_e32 v[190:191], v[198:199], v[10:11]
	v_mul_f64_e32 v[10:11], v[200:201], v[10:11]
	v_add_f64_e32 v[26:27], v[26:27], v[170:171]
	v_add_f64_e32 v[170:171], v[180:181], v[202:203]
	s_delay_alu instid0(VALU_DEP_4) | instskip(NEXT) | instid1(VALU_DEP_4)
	v_fmac_f64_e32 v[190:191], v[200:201], v[8:9]
	v_fma_f64 v[8:9], v[198:199], v[8:9], -v[10:11]
	s_delay_alu instid0(VALU_DEP_4) | instskip(NEXT) | instid1(VALU_DEP_4)
	v_add_f64_e32 v[26:27], v[26:27], v[178:179]
	v_add_f64_e32 v[202:203], v[170:171], v[204:205]
	scratch_load_b128 v[170:173], off, off offset:992
	s_wait_loadcnt_dscnt 0xa00
	v_mul_f64_e32 v[204:205], v[4:5], v[14:15]
	v_mul_f64_e32 v[14:15], v[6:7], v[14:15]
	ds_load_b128 v[178:181], v2 offset:1856
	v_add_f64_e32 v[10:11], v[26:27], v[192:193]
	v_add_f64_e32 v[26:27], v[202:203], v[206:207]
	s_wait_loadcnt_dscnt 0x900
	v_mul_f64_e32 v[192:193], v[178:179], v[18:19]
	v_mul_f64_e32 v[18:19], v[180:181], v[18:19]
	v_fmac_f64_e32 v[204:205], v[6:7], v[12:13]
	v_fma_f64 v[12:13], v[4:5], v[12:13], -v[14:15]
	v_add_f64_e32 v[14:15], v[10:11], v[8:9]
	v_add_f64_e32 v[26:27], v[26:27], v[190:191]
	ds_load_b128 v[4:7], v2 offset:1872
	ds_load_b128 v[8:11], v2 offset:1888
	v_fmac_f64_e32 v[192:193], v[180:181], v[16:17]
	v_fma_f64 v[16:17], v[178:179], v[16:17], -v[18:19]
	s_wait_loadcnt_dscnt 0x801
	v_mul_f64_e32 v[190:191], v[4:5], v[24:25]
	v_mul_f64_e32 v[24:25], v[6:7], v[24:25]
	v_add_f64_e32 v[12:13], v[14:15], v[12:13]
	v_add_f64_e32 v[14:15], v[26:27], v[204:205]
	s_wait_loadcnt_dscnt 0x700
	v_mul_f64_e32 v[18:19], v[8:9], v[30:31]
	v_mul_f64_e32 v[26:27], v[10:11], v[30:31]
	v_fmac_f64_e32 v[190:191], v[6:7], v[22:23]
	v_fma_f64 v[22:23], v[4:5], v[22:23], -v[24:25]
	v_add_f64_e32 v[16:17], v[12:13], v[16:17]
	v_add_f64_e32 v[24:25], v[14:15], v[192:193]
	ds_load_b128 v[4:7], v2 offset:1904
	ds_load_b128 v[12:15], v2 offset:1920
	v_fmac_f64_e32 v[18:19], v[10:11], v[28:29]
	v_fma_f64 v[8:9], v[8:9], v[28:29], -v[26:27]
	s_wait_loadcnt_dscnt 0x601
	v_mul_f64_e32 v[30:31], v[4:5], v[196:197]
	v_mul_f64_e32 v[178:179], v[6:7], v[196:197]
	;; [unrolled: 16-line block ×3, first 2 shown]
	s_wait_dscnt 0x0
	v_mul_f64_e32 v[24:25], v[8:9], v[188:189]
	v_add_f64_e32 v[14:15], v[28:29], v[26:27]
	v_add_f64_e32 v[16:17], v[16:17], v[30:31]
	v_mul_f64_e32 v[26:27], v[10:11], v[188:189]
	v_fmac_f64_e32 v[18:19], v[6:7], v[158:159]
	v_fma_f64 v[28:29], v[4:5], v[158:159], -v[160:161]
	v_fmac_f64_e32 v[24:25], v[10:11], v[186:187]
	v_add_f64_e32 v[30:31], v[14:15], v[12:13]
	v_add_f64_e32 v[16:17], v[16:17], v[22:23]
	ds_load_b128 v[4:7], v2 offset:1968
	ds_load_b128 v[12:15], v2 offset:1984
	v_fma_f64 v[8:9], v[8:9], v[186:187], -v[26:27]
	s_wait_loadcnt_dscnt 0x201
	v_mul_f64_e32 v[22:23], v[4:5], v[168:169]
	v_mul_f64_e32 v[158:159], v[6:7], v[168:169]
	s_wait_loadcnt_dscnt 0x100
	v_mul_f64_e32 v[26:27], v[14:15], v[176:177]
	v_add_f64_e32 v[10:11], v[30:31], v[28:29]
	v_add_f64_e32 v[16:17], v[16:17], v[18:19]
	v_mul_f64_e32 v[18:19], v[12:13], v[176:177]
	v_fmac_f64_e32 v[22:23], v[6:7], v[166:167]
	v_fma_f64 v[28:29], v[4:5], v[166:167], -v[158:159]
	ds_load_b128 v[4:7], v2 offset:2000
	v_fma_f64 v[12:13], v[12:13], v[174:175], -v[26:27]
	v_add_f64_e32 v[8:9], v[10:11], v[8:9]
	v_add_f64_e32 v[10:11], v[16:17], v[24:25]
	v_fmac_f64_e32 v[18:19], v[14:15], v[174:175]
	s_wait_loadcnt_dscnt 0x0
	v_mul_f64_e32 v[16:17], v[4:5], v[172:173]
	v_mul_f64_e32 v[24:25], v[6:7], v[172:173]
	v_add_f64_e32 v[8:9], v[8:9], v[28:29]
	v_add_f64_e32 v[10:11], v[10:11], v[22:23]
	s_delay_alu instid0(VALU_DEP_4) | instskip(NEXT) | instid1(VALU_DEP_4)
	v_fmac_f64_e32 v[16:17], v[6:7], v[170:171]
	v_fma_f64 v[4:5], v[4:5], v[170:171], -v[24:25]
	s_delay_alu instid0(VALU_DEP_4) | instskip(NEXT) | instid1(VALU_DEP_4)
	v_add_f64_e32 v[6:7], v[8:9], v[12:13]
	v_add_f64_e32 v[8:9], v[10:11], v[18:19]
	s_delay_alu instid0(VALU_DEP_2) | instskip(NEXT) | instid1(VALU_DEP_2)
	v_add_f64_e32 v[4:5], v[6:7], v[4:5]
	v_add_f64_e32 v[6:7], v[8:9], v[16:17]
	s_delay_alu instid0(VALU_DEP_2) | instskip(NEXT) | instid1(VALU_DEP_2)
	v_add_f64_e64 v[4:5], v[182:183], -v[4:5]
	v_add_f64_e64 v[6:7], v[184:185], -v[6:7]
	scratch_store_b128 off, v[4:7], off offset:16
	s_wait_xcnt 0x0
	v_cmpx_ne_u32_e32 0, v1
	s_cbranch_execz .LBB126_403
; %bb.402:
	scratch_load_b128 v[6:9], off, off
	v_dual_mov_b32 v3, v2 :: v_dual_mov_b32 v4, v2
	v_mov_b32_e32 v5, v2
	scratch_store_b128 off, v[2:5], off
	s_wait_loadcnt 0x0
	ds_store_b128 v20, v[6:9]
.LBB126_403:
	s_wait_xcnt 0x0
	s_or_b32 exec_lo, exec_lo, s2
	s_wait_storecnt_dscnt 0x0
	s_barrier_signal -1
	s_barrier_wait -1
	s_clause 0x9
	scratch_load_b128 v[4:7], off, off offset:16
	scratch_load_b128 v[8:11], off, off offset:32
	;; [unrolled: 1-line block ×10, first 2 shown]
	ds_load_b128 v[170:173], v2 offset:1024
	ds_load_b128 v[178:181], v2 offset:1040
	s_clause 0x2
	scratch_load_b128 v[174:177], off, off offset:176
	scratch_load_b128 v[204:207], off, off
	scratch_load_b128 v[182:185], off, off offset:192
	v_readlane_b32 s2, v210, 0
	v_lshl_add_u64 v[202:203], v[38:39], 4, s[10:11]
	v_lshl_add_u64 v[38:39], v[124:125], 4, s[10:11]
	s_and_b32 vcc_lo, exec_lo, s2
	s_wait_loadcnt_dscnt 0xc01
	v_mul_f64_e32 v[186:187], v[172:173], v[6:7]
	v_mul_f64_e32 v[190:191], v[170:171], v[6:7]
	s_wait_loadcnt_dscnt 0xb00
	v_mul_f64_e32 v[192:193], v[178:179], v[10:11]
	v_mul_f64_e32 v[10:11], v[180:181], v[10:11]
	s_delay_alu instid0(VALU_DEP_4) | instskip(NEXT) | instid1(VALU_DEP_4)
	v_fma_f64 v[194:195], v[170:171], v[4:5], -v[186:187]
	v_fmac_f64_e32 v[190:191], v[172:173], v[4:5]
	ds_load_b128 v[4:7], v2 offset:1056
	ds_load_b128 v[170:173], v2 offset:1072
	scratch_load_b128 v[186:189], off, off offset:208
	v_fmac_f64_e32 v[192:193], v[180:181], v[8:9]
	v_fma_f64 v[178:179], v[178:179], v[8:9], -v[10:11]
	scratch_load_b128 v[8:11], off, off offset:224
	s_wait_loadcnt_dscnt 0xc01
	v_mul_f64_e32 v[196:197], v[4:5], v[14:15]
	v_mul_f64_e32 v[14:15], v[6:7], v[14:15]
	v_add_f64_e32 v[180:181], 0, v[194:195]
	v_add_f64_e32 v[190:191], 0, v[190:191]
	s_wait_loadcnt_dscnt 0xb00
	v_mul_f64_e32 v[194:195], v[170:171], v[18:19]
	v_mul_f64_e32 v[18:19], v[172:173], v[18:19]
	v_fmac_f64_e32 v[196:197], v[6:7], v[12:13]
	v_fma_f64 v[198:199], v[4:5], v[12:13], -v[14:15]
	ds_load_b128 v[4:7], v2 offset:1088
	ds_load_b128 v[12:15], v2 offset:1104
	v_add_f64_e32 v[200:201], v[180:181], v[178:179]
	v_add_f64_e32 v[190:191], v[190:191], v[192:193]
	scratch_load_b128 v[178:181], off, off offset:240
	v_fmac_f64_e32 v[194:195], v[172:173], v[16:17]
	v_fma_f64 v[170:171], v[170:171], v[16:17], -v[18:19]
	scratch_load_b128 v[16:19], off, off offset:256
	s_wait_loadcnt_dscnt 0xc01
	v_mul_f64_e32 v[192:193], v[4:5], v[22:23]
	v_mul_f64_e32 v[22:23], v[6:7], v[22:23]
	v_add_f64_e32 v[172:173], v[200:201], v[198:199]
	v_add_f64_e32 v[190:191], v[190:191], v[196:197]
	s_wait_loadcnt_dscnt 0xb00
	v_mul_f64_e32 v[196:197], v[12:13], v[26:27]
	v_mul_f64_e32 v[26:27], v[14:15], v[26:27]
	v_fmac_f64_e32 v[192:193], v[6:7], v[20:21]
	v_fma_f64 v[198:199], v[4:5], v[20:21], -v[22:23]
	ds_load_b128 v[4:7], v2 offset:1120
	ds_load_b128 v[20:23], v2 offset:1136
	v_add_f64_e32 v[200:201], v[172:173], v[170:171]
	v_add_f64_e32 v[190:191], v[190:191], v[194:195]
	scratch_load_b128 v[170:173], off, off offset:272
	s_wait_loadcnt_dscnt 0xb01
	v_mul_f64_e32 v[194:195], v[4:5], v[30:31]
	v_mul_f64_e32 v[30:31], v[6:7], v[30:31]
	v_fmac_f64_e32 v[196:197], v[14:15], v[24:25]
	v_fma_f64 v[24:25], v[12:13], v[24:25], -v[26:27]
	scratch_load_b128 v[12:15], off, off offset:288
	v_add_f64_e32 v[26:27], v[200:201], v[198:199]
	v_add_f64_e32 v[190:191], v[190:191], v[192:193]
	s_wait_loadcnt_dscnt 0xb00
	v_mul_f64_e32 v[192:193], v[20:21], v[160:161]
	v_mul_f64_e32 v[160:161], v[22:23], v[160:161]
	v_fmac_f64_e32 v[194:195], v[6:7], v[28:29]
	v_fma_f64 v[198:199], v[4:5], v[28:29], -v[30:31]
	v_add_f64_e32 v[200:201], v[26:27], v[24:25]
	v_add_f64_e32 v[190:191], v[190:191], v[196:197]
	ds_load_b128 v[4:7], v2 offset:1152
	ds_load_b128 v[24:27], v2 offset:1168
	scratch_load_b128 v[28:31], off, off offset:304
	v_fmac_f64_e32 v[192:193], v[22:23], v[158:159]
	v_fma_f64 v[158:159], v[20:21], v[158:159], -v[160:161]
	scratch_load_b128 v[20:23], off, off offset:320
	s_wait_loadcnt_dscnt 0xc01
	v_mul_f64_e32 v[196:197], v[4:5], v[164:165]
	v_mul_f64_e32 v[164:165], v[6:7], v[164:165]
	v_add_f64_e32 v[160:161], v[200:201], v[198:199]
	v_add_f64_e32 v[190:191], v[190:191], v[194:195]
	s_wait_loadcnt_dscnt 0xb00
	v_mul_f64_e32 v[194:195], v[24:25], v[168:169]
	v_mul_f64_e32 v[168:169], v[26:27], v[168:169]
	v_fmac_f64_e32 v[196:197], v[6:7], v[162:163]
	v_fma_f64 v[198:199], v[4:5], v[162:163], -v[164:165]
	v_add_f64_e32 v[200:201], v[160:161], v[158:159]
	v_add_f64_e32 v[190:191], v[190:191], v[192:193]
	ds_load_b128 v[4:7], v2 offset:1184
	ds_load_b128 v[158:161], v2 offset:1200
	scratch_load_b128 v[162:165], off, off offset:336
	v_fmac_f64_e32 v[194:195], v[26:27], v[166:167]
	v_fma_f64 v[166:167], v[24:25], v[166:167], -v[168:169]
	scratch_load_b128 v[24:27], off, off offset:352
	s_wait_loadcnt_dscnt 0xc01
	v_mul_f64_e32 v[192:193], v[4:5], v[176:177]
	v_mul_f64_e32 v[176:177], v[6:7], v[176:177]
	;; [unrolled: 18-line block ×5, first 2 shown]
	v_add_f64_e32 v[184:185], v[200:201], v[198:199]
	v_add_f64_e32 v[190:191], v[190:191], v[196:197]
	s_wait_loadcnt_dscnt 0xa00
	v_mul_f64_e32 v[196:197], v[166:167], v[14:15]
	v_mul_f64_e32 v[14:15], v[168:169], v[14:15]
	v_fmac_f64_e32 v[192:193], v[6:7], v[170:171]
	v_fma_f64 v[198:199], v[4:5], v[170:171], -v[172:173]
	ds_load_b128 v[4:7], v2 offset:1312
	ds_load_b128 v[170:173], v2 offset:1328
	v_add_f64_e32 v[200:201], v[184:185], v[182:183]
	v_add_f64_e32 v[190:191], v[190:191], v[194:195]
	scratch_load_b128 v[182:185], off, off offset:464
	v_fmac_f64_e32 v[196:197], v[168:169], v[12:13]
	v_fma_f64 v[166:167], v[166:167], v[12:13], -v[14:15]
	scratch_load_b128 v[12:15], off, off offset:480
	s_wait_loadcnt_dscnt 0xb01
	v_mul_f64_e32 v[194:195], v[4:5], v[30:31]
	v_mul_f64_e32 v[30:31], v[6:7], v[30:31]
	v_add_f64_e32 v[168:169], v[200:201], v[198:199]
	v_add_f64_e32 v[190:191], v[190:191], v[192:193]
	s_wait_loadcnt_dscnt 0xa00
	v_mul_f64_e32 v[192:193], v[170:171], v[22:23]
	v_mul_f64_e32 v[22:23], v[172:173], v[22:23]
	v_fmac_f64_e32 v[194:195], v[6:7], v[28:29]
	v_fma_f64 v[198:199], v[4:5], v[28:29], -v[30:31]
	ds_load_b128 v[4:7], v2 offset:1344
	ds_load_b128 v[28:31], v2 offset:1360
	v_add_f64_e32 v[200:201], v[168:169], v[166:167]
	v_add_f64_e32 v[190:191], v[190:191], v[196:197]
	scratch_load_b128 v[166:169], off, off offset:496
	s_wait_loadcnt_dscnt 0xa01
	v_mul_f64_e32 v[196:197], v[4:5], v[164:165]
	v_mul_f64_e32 v[164:165], v[6:7], v[164:165]
	v_fmac_f64_e32 v[192:193], v[172:173], v[20:21]
	v_fma_f64 v[170:171], v[170:171], v[20:21], -v[22:23]
	scratch_load_b128 v[20:23], off, off offset:512
	v_add_f64_e32 v[172:173], v[200:201], v[198:199]
	v_add_f64_e32 v[190:191], v[190:191], v[194:195]
	s_wait_loadcnt_dscnt 0xa00
	v_mul_f64_e32 v[194:195], v[28:29], v[26:27]
	v_mul_f64_e32 v[26:27], v[30:31], v[26:27]
	v_fmac_f64_e32 v[196:197], v[6:7], v[162:163]
	v_fma_f64 v[198:199], v[4:5], v[162:163], -v[164:165]
	ds_load_b128 v[4:7], v2 offset:1376
	ds_load_b128 v[162:165], v2 offset:1392
	v_add_f64_e32 v[200:201], v[172:173], v[170:171]
	v_add_f64_e32 v[190:191], v[190:191], v[192:193]
	scratch_load_b128 v[170:173], off, off offset:528
	s_wait_loadcnt_dscnt 0xa01
	v_mul_f64_e32 v[192:193], v[4:5], v[176:177]
	v_mul_f64_e32 v[176:177], v[6:7], v[176:177]
	v_fmac_f64_e32 v[194:195], v[30:31], v[24:25]
	v_fma_f64 v[28:29], v[28:29], v[24:25], -v[26:27]
	scratch_load_b128 v[24:27], off, off offset:544
	v_add_f64_e32 v[30:31], v[200:201], v[198:199]
	v_add_f64_e32 v[190:191], v[190:191], v[196:197]
	s_wait_loadcnt_dscnt 0xa00
	v_mul_f64_e32 v[196:197], v[162:163], v[160:161]
	v_mul_f64_e32 v[160:161], v[164:165], v[160:161]
	v_fmac_f64_e32 v[192:193], v[6:7], v[174:175]
	v_fma_f64 v[198:199], v[4:5], v[174:175], -v[176:177]
	v_add_f64_e32 v[200:201], v[30:31], v[28:29]
	v_add_f64_e32 v[190:191], v[190:191], v[194:195]
	ds_load_b128 v[4:7], v2 offset:1408
	ds_load_b128 v[28:31], v2 offset:1424
	scratch_load_b128 v[174:177], off, off offset:560
	v_fmac_f64_e32 v[196:197], v[164:165], v[158:159]
	v_fma_f64 v[162:163], v[162:163], v[158:159], -v[160:161]
	scratch_load_b128 v[158:161], off, off offset:576
	s_wait_loadcnt_dscnt 0xb01
	v_mul_f64_e32 v[194:195], v[4:5], v[188:189]
	v_mul_f64_e32 v[188:189], v[6:7], v[188:189]
	v_add_f64_e32 v[164:165], v[200:201], v[198:199]
	v_add_f64_e32 v[190:191], v[190:191], v[192:193]
	s_wait_loadcnt_dscnt 0xa00
	v_mul_f64_e32 v[192:193], v[28:29], v[10:11]
	v_mul_f64_e32 v[10:11], v[30:31], v[10:11]
	v_fmac_f64_e32 v[194:195], v[6:7], v[186:187]
	v_fma_f64 v[198:199], v[4:5], v[186:187], -v[188:189]
	v_add_f64_e32 v[200:201], v[164:165], v[162:163]
	v_add_f64_e32 v[190:191], v[190:191], v[196:197]
	ds_load_b128 v[4:7], v2 offset:1440
	ds_load_b128 v[162:165], v2 offset:1456
	scratch_load_b128 v[186:189], off, off offset:592
	v_fmac_f64_e32 v[192:193], v[30:31], v[8:9]
	v_fma_f64 v[28:29], v[28:29], v[8:9], -v[10:11]
	scratch_load_b128 v[8:11], off, off offset:608
	s_wait_loadcnt_dscnt 0xb01
	v_mul_f64_e32 v[196:197], v[4:5], v[180:181]
	v_mul_f64_e32 v[180:181], v[6:7], v[180:181]
	;; [unrolled: 18-line block ×14, first 2 shown]
	v_add_f64_e32 v[30:31], v[200:201], v[198:199]
	v_add_f64_e32 v[190:191], v[190:191], v[194:195]
	s_wait_loadcnt_dscnt 0xa00
	v_mul_f64_e32 v[194:195], v[162:163], v[18:19]
	v_mul_f64_e32 v[18:19], v[164:165], v[18:19]
	v_lshl_add_u64 v[198:199], v[36:37], 4, s[10:11]
	v_lshl_add_u64 v[200:201], v[40:41], 4, s[10:11]
	;; [unrolled: 1-line block ×4, first 2 shown]
	v_fmac_f64_e32 v[196:197], v[6:7], v[178:179]
	v_fma_f64 v[178:179], v[4:5], v[178:179], -v[180:181]
	v_add_f64_e32 v[180:181], v[30:31], v[28:29]
	v_add_f64_e32 v[190:191], v[190:191], v[192:193]
	ds_load_b128 v[4:7], v2 offset:1856
	ds_load_b128 v[28:31], v2 offset:1872
	v_fmac_f64_e32 v[194:195], v[164:165], v[16:17]
	v_fma_f64 v[16:17], v[162:163], v[16:17], -v[18:19]
	s_wait_loadcnt_dscnt 0x901
	v_mul_f64_e32 v[192:193], v[4:5], v[184:185]
	v_mul_f64_e32 v[184:185], v[6:7], v[184:185]
	s_wait_loadcnt_dscnt 0x800
	v_mul_f64_e32 v[164:165], v[28:29], v[14:15]
	v_add_f64_e32 v[18:19], v[180:181], v[178:179]
	v_add_f64_e32 v[162:163], v[190:191], v[196:197]
	v_mul_f64_e32 v[178:179], v[30:31], v[14:15]
	v_lshl_add_u64 v[196:197], v[42:43], 4, s[10:11]
	v_lshl_add_u64 v[190:191], v[48:49], 4, s[10:11]
	;; [unrolled: 1-line block ×4, first 2 shown]
	v_fmac_f64_e32 v[192:193], v[6:7], v[182:183]
	v_fma_f64 v[180:181], v[4:5], v[182:183], -v[184:185]
	v_fmac_f64_e32 v[164:165], v[30:31], v[12:13]
	v_lshl_add_u64 v[184:185], v[54:55], 4, s[10:11]
	v_lshl_add_u64 v[54:55], v[98:99], 4, s[10:11]
	v_add_f64_e32 v[18:19], v[18:19], v[16:17]
	v_add_f64_e32 v[162:163], v[162:163], v[194:195]
	ds_load_b128 v[4:7], v2 offset:1888
	ds_load_b128 v[14:17], v2 offset:1904
	v_fma_f64 v[12:13], v[28:29], v[12:13], -v[178:179]
	v_lshl_add_u64 v[194:195], v[44:45], 4, s[10:11]
	v_lshl_add_u64 v[178:179], v[60:61], 4, s[10:11]
	;; [unrolled: 1-line block ×4, first 2 shown]
	s_wait_loadcnt_dscnt 0x701
	v_mul_f64_e32 v[182:183], v[4:5], v[168:169]
	v_mul_f64_e32 v[168:169], v[6:7], v[168:169]
	v_add_f64_e32 v[18:19], v[18:19], v[180:181]
	v_add_f64_e32 v[28:29], v[162:163], v[192:193]
	s_wait_loadcnt_dscnt 0x600
	v_mul_f64_e32 v[162:163], v[14:15], v[22:23]
	v_mul_f64_e32 v[22:23], v[16:17], v[22:23]
	v_lshl_add_u64 v[192:193], v[46:47], 4, s[10:11]
	v_lshl_add_u64 v[180:181], v[58:59], 4, s[10:11]
	;; [unrolled: 1-line block ×4, first 2 shown]
	v_fmac_f64_e32 v[182:183], v[6:7], v[166:167]
	v_fma_f64 v[166:167], v[4:5], v[166:167], -v[168:169]
	v_add_f64_e32 v[12:13], v[18:19], v[12:13]
	v_add_f64_e32 v[18:19], v[28:29], v[164:165]
	ds_load_b128 v[4:7], v2 offset:1920
	ds_load_b128 v[28:31], v2 offset:1936
	v_fmac_f64_e32 v[162:163], v[16:17], v[20:21]
	v_fma_f64 v[14:15], v[14:15], v[20:21], -v[22:23]
	s_wait_loadcnt_dscnt 0x501
	v_mul_f64_e32 v[164:165], v[4:5], v[172:173]
	v_mul_f64_e32 v[168:169], v[6:7], v[172:173]
	s_wait_loadcnt_dscnt 0x400
	v_mul_f64_e32 v[20:21], v[30:31], v[26:27]
	v_lshl_add_u64 v[172:173], v[66:67], 4, s[10:11]
	v_lshl_add_u64 v[66:67], v[90:91], 4, s[10:11]
	v_add_f64_e32 v[12:13], v[12:13], v[166:167]
	v_add_f64_e32 v[16:17], v[18:19], v[182:183]
	v_mul_f64_e32 v[18:19], v[28:29], v[26:27]
	v_lshl_add_u64 v[182:183], v[56:57], 4, s[10:11]
	v_lshl_add_u64 v[56:57], v[108:109], 4, s[10:11]
	v_fmac_f64_e32 v[164:165], v[6:7], v[170:171]
	v_fma_f64 v[22:23], v[4:5], v[170:171], -v[168:169]
	v_fma_f64 v[20:21], v[28:29], v[24:25], -v[20:21]
	v_lshl_add_u64 v[170:171], v[68:69], 4, s[10:11]
	v_lshl_add_u64 v[168:169], v[70:71], 4, s[10:11]
	;; [unrolled: 1-line block ×4, first 2 shown]
	v_add_f64_e32 v[26:27], v[12:13], v[14:15]
	v_add_f64_e32 v[16:17], v[16:17], v[162:163]
	ds_load_b128 v[4:7], v2 offset:1952
	ds_load_b128 v[12:15], v2 offset:1968
	v_fmac_f64_e32 v[18:19], v[30:31], v[24:25]
	s_wait_loadcnt_dscnt 0x301
	v_mul_f64_e32 v[162:163], v[4:5], v[176:177]
	v_mul_f64_e32 v[166:167], v[6:7], v[176:177]
	s_wait_loadcnt_dscnt 0x200
	v_mul_f64_e32 v[24:25], v[12:13], v[160:161]
	v_lshl_add_u64 v[176:177], v[62:63], 4, s[10:11]
	v_lshl_add_u64 v[62:63], v[92:93], 4, s[10:11]
	v_add_f64_e32 v[22:23], v[26:27], v[22:23]
	v_add_f64_e32 v[16:17], v[16:17], v[164:165]
	v_mul_f64_e32 v[26:27], v[14:15], v[160:161]
	v_lshl_add_u64 v[160:161], v[78:79], 4, s[10:11]
	v_lshl_add_u64 v[78:79], v[84:85], 4, s[10:11]
	;; [unrolled: 1-line block ×4, first 2 shown]
	v_fmac_f64_e32 v[162:163], v[6:7], v[174:175]
	v_fma_f64 v[28:29], v[4:5], v[174:175], -v[166:167]
	v_fmac_f64_e32 v[24:25], v[14:15], v[158:159]
	v_lshl_add_u64 v[174:175], v[64:65], 4, s[10:11]
	v_lshl_add_u64 v[166:167], v[72:73], 4, s[10:11]
	;; [unrolled: 1-line block ×4, first 2 shown]
	v_add_f64_e32 v[20:21], v[22:23], v[20:21]
	v_add_f64_e32 v[22:23], v[16:17], v[18:19]
	ds_load_b128 v[4:7], v2 offset:1984
	ds_load_b128 v[16:19], v2 offset:2000
	v_fma_f64 v[12:13], v[12:13], v[158:159], -v[26:27]
	v_lshl_add_u64 v[158:159], v[80:81], 4, s[10:11]
	v_lshl_add_u64 v[80:81], v[82:83], 4, s[10:11]
	;; [unrolled: 1-line block ×3, first 2 shown]
	s_wait_loadcnt_dscnt 0x101
	v_mul_f64_e32 v[2:3], v[4:5], v[188:189]
	v_mul_f64_e32 v[30:31], v[6:7], v[188:189]
	v_lshl_add_u64 v[188:189], v[50:51], 4, s[10:11]
	v_lshl_add_u64 v[50:51], v[112:113], 4, s[10:11]
	v_add_f64_e32 v[14:15], v[20:21], v[28:29]
	v_add_f64_e32 v[20:21], v[22:23], v[162:163]
	s_wait_loadcnt_dscnt 0x0
	v_mul_f64_e32 v[22:23], v[16:17], v[10:11]
	v_mul_f64_e32 v[10:11], v[18:19], v[10:11]
	v_lshl_add_u64 v[162:163], v[76:77], 4, s[10:11]
	v_lshl_add_u64 v[76:77], v[96:97], 4, s[10:11]
	;; [unrolled: 1-line block ×3, first 2 shown]
	v_fmac_f64_e32 v[2:3], v[6:7], v[186:187]
	v_fma_f64 v[4:5], v[4:5], v[186:187], -v[30:31]
	v_lshl_add_u64 v[186:187], v[52:53], 4, s[10:11]
	v_lshl_add_u64 v[52:53], v[110:111], 4, s[10:11]
	;; [unrolled: 1-line block ×3, first 2 shown]
	v_add_f64_e32 v[6:7], v[14:15], v[12:13]
	v_add_f64_e32 v[12:13], v[20:21], v[24:25]
	v_fmac_f64_e32 v[22:23], v[18:19], v[8:9]
	v_fma_f64 v[8:9], v[16:17], v[8:9], -v[10:11]
	v_lshl_add_u64 v[24:25], v[134:135], 4, s[10:11]
	v_lshl_add_u64 v[20:21], v[138:139], 4, s[10:11]
	;; [unrolled: 1-line block ×6, first 2 shown]
	v_add_f64_e32 v[4:5], v[6:7], v[4:5]
	v_add_f64_e32 v[2:3], v[12:13], v[2:3]
	v_lshl_add_u64 v[12:13], v[146:147], 4, s[10:11]
	v_lshl_add_u64 v[6:7], v[152:153], 4, s[10:11]
	s_delay_alu instid0(VALU_DEP_4) | instskip(NEXT) | instid1(VALU_DEP_4)
	v_add_f64_e32 v[4:5], v[4:5], v[8:9]
	v_add_f64_e32 v[2:3], v[2:3], v[22:23]
	v_lshl_add_u64 v[22:23], v[136:137], 4, s[10:11]
	v_lshl_add_u64 v[8:9], v[150:151], 4, s[10:11]
	s_delay_alu instid0(VALU_DEP_4) | instskip(NEXT) | instid1(VALU_DEP_4)
	v_add_f64_e64 v[82:83], v[204:205], -v[4:5]
	v_add_f64_e64 v[84:85], v[206:207], -v[2:3]
	v_lshl_add_u64 v[4:5], v[154:155], 4, s[10:11]
	v_lshl_add_u64 v[2:3], v[156:157], 4, s[10:11]
	scratch_store_b128 off, v[82:85], off
	s_cbranch_vccz .LBB126_528
; %bb.404:
	s_wait_xcnt 0x0
	v_mov_b32_e32 v82, 0
	s_load_b64 s[2:3], s[0:1], 0x4
	v_bfe_u32 v84, v0, 10, 10
	v_bfe_u32 v0, v0, 20, 10
	global_load_b32 v83, v82, s[8:9] offset:244
	s_wait_kmcnt 0x0
	s_lshr_b32 s0, s2, 16
	v_mul_u32_u24_e32 v84, s3, v84
	s_mul_i32 s0, s0, s3
	s_delay_alu instid0(SALU_CYCLE_1) | instskip(NEXT) | instid1(VALU_DEP_1)
	v_mul_u32_u24_e32 v1, s0, v1
	v_add3_u32 v0, v1, v84, v0
	s_delay_alu instid0(VALU_DEP_1)
	v_lshl_add_u32 v0, v0, 4, 0x7e8
	s_wait_loadcnt 0x0
	v_cmp_ne_u32_e32 vcc_lo, 62, v83
	s_cbranch_vccz .LBB126_406
; %bb.405:
	v_lshlrev_b32_e32 v1, 4, v83
	s_clause 0x1
	scratch_load_b128 v[84:87], off, s17
	scratch_load_b128 v[88:91], v1, off offset:-16
	s_wait_loadcnt 0x1
	ds_store_2addr_b64 v0, v[84:85], v[86:87] offset1:1
	s_wait_loadcnt 0x0
	s_clause 0x1
	scratch_store_b128 off, v[88:91], s17
	scratch_store_b128 v1, v[84:87], off offset:-16
.LBB126_406:
	global_load_b32 v1, v82, s[8:9] offset:240
	s_wait_loadcnt 0x0
	v_cmp_eq_u32_e32 vcc_lo, 61, v1
	s_cbranch_vccnz .LBB126_408
; %bb.407:
	v_lshlrev_b32_e32 v1, 4, v1
	s_clause 0x1
	scratch_load_b128 v[82:85], off, s19
	scratch_load_b128 v[86:89], v1, off offset:-16
	s_wait_loadcnt 0x1
	ds_store_2addr_b64 v0, v[82:83], v[84:85] offset1:1
	s_wait_loadcnt 0x0
	s_clause 0x1
	scratch_store_b128 off, v[86:89], s19
	scratch_store_b128 v1, v[82:85], off offset:-16
.LBB126_408:
	s_wait_xcnt 0x0
	v_mov_b32_e32 v1, 0
	global_load_b32 v82, v1, s[8:9] offset:236
	s_wait_loadcnt 0x0
	v_cmp_eq_u32_e32 vcc_lo, 60, v82
	s_cbranch_vccnz .LBB126_410
; %bb.409:
	v_lshlrev_b32_e32 v82, 4, v82
	s_delay_alu instid0(VALU_DEP_1)
	v_mov_b32_e32 v90, v82
	s_clause 0x1
	scratch_load_b128 v[82:85], off, s21
	scratch_load_b128 v[86:89], v90, off offset:-16
	s_wait_loadcnt 0x1
	ds_store_2addr_b64 v0, v[82:83], v[84:85] offset1:1
	s_wait_loadcnt 0x0
	s_clause 0x1
	scratch_store_b128 off, v[86:89], s21
	scratch_store_b128 v90, v[82:85], off offset:-16
.LBB126_410:
	global_load_b32 v1, v1, s[8:9] offset:232
	s_wait_loadcnt 0x0
	v_cmp_eq_u32_e32 vcc_lo, 59, v1
	s_cbranch_vccnz .LBB126_412
; %bb.411:
	s_wait_xcnt 0x0
	v_lshlrev_b32_e32 v1, 4, v1
	s_clause 0x1
	scratch_load_b128 v[82:85], off, s22
	scratch_load_b128 v[86:89], v1, off offset:-16
	s_wait_loadcnt 0x1
	ds_store_2addr_b64 v0, v[82:83], v[84:85] offset1:1
	s_wait_loadcnt 0x0
	s_clause 0x1
	scratch_store_b128 off, v[86:89], s22
	scratch_store_b128 v1, v[82:85], off offset:-16
.LBB126_412:
	s_wait_xcnt 0x0
	v_mov_b32_e32 v1, 0
	global_load_b32 v82, v1, s[8:9] offset:228
	s_wait_loadcnt 0x0
	v_cmp_eq_u32_e32 vcc_lo, 58, v82
	s_cbranch_vccnz .LBB126_414
; %bb.413:
	v_lshlrev_b32_e32 v82, 4, v82
	s_delay_alu instid0(VALU_DEP_1)
	v_mov_b32_e32 v90, v82
	s_clause 0x1
	scratch_load_b128 v[82:85], off, s23
	scratch_load_b128 v[86:89], v90, off offset:-16
	s_wait_loadcnt 0x1
	ds_store_2addr_b64 v0, v[82:83], v[84:85] offset1:1
	s_wait_loadcnt 0x0
	s_clause 0x1
	scratch_store_b128 off, v[86:89], s23
	scratch_store_b128 v90, v[82:85], off offset:-16
.LBB126_414:
	global_load_b32 v1, v1, s[8:9] offset:224
	s_wait_loadcnt 0x0
	v_cmp_eq_u32_e32 vcc_lo, 57, v1
	s_cbranch_vccnz .LBB126_416
; %bb.415:
	s_wait_xcnt 0x0
	v_lshlrev_b32_e32 v1, 4, v1
	s_clause 0x1
	scratch_load_b128 v[82:85], off, s24
	scratch_load_b128 v[86:89], v1, off offset:-16
	s_wait_loadcnt 0x1
	ds_store_2addr_b64 v0, v[82:83], v[84:85] offset1:1
	s_wait_loadcnt 0x0
	s_clause 0x1
	scratch_store_b128 off, v[86:89], s24
	scratch_store_b128 v1, v[82:85], off offset:-16
.LBB126_416:
	;; [unrolled: 37-line block ×29, first 2 shown]
	s_wait_xcnt 0x0
	v_mov_b32_e32 v1, 0
	global_load_b32 v82, v1, s[8:9] offset:4
	s_wait_loadcnt 0x0
	v_cmp_eq_u32_e32 vcc_lo, 2, v82
	s_cbranch_vccnz .LBB126_526
; %bb.525:
	v_lshlrev_b32_e32 v82, 4, v82
	s_delay_alu instid0(VALU_DEP_1)
	v_mov_b32_e32 v90, v82
	s_clause 0x1
	scratch_load_b128 v[82:85], off, s20
	scratch_load_b128 v[86:89], v90, off offset:-16
	s_wait_loadcnt 0x1
	ds_store_2addr_b64 v0, v[82:83], v[84:85] offset1:1
	s_wait_loadcnt 0x0
	s_clause 0x1
	scratch_store_b128 off, v[86:89], s20
	scratch_store_b128 v90, v[82:85], off offset:-16
.LBB126_526:
	global_load_b32 v1, v1, s[8:9]
	s_wait_loadcnt 0x0
	v_cmp_eq_u32_e32 vcc_lo, 1, v1
	s_cbranch_vccnz .LBB126_528
; %bb.527:
	s_wait_xcnt 0x0
	v_lshlrev_b32_e32 v1, 4, v1
	scratch_load_b128 v[82:85], off, off
	scratch_load_b128 v[86:89], v1, off offset:-16
	s_wait_loadcnt 0x1
	ds_store_2addr_b64 v0, v[82:83], v[84:85] offset1:1
	s_wait_loadcnt 0x0
	scratch_store_b128 off, v[86:89], off
	scratch_store_b128 v1, v[82:85], off offset:-16
.LBB126_528:
	scratch_load_b128 v[82:85], off, off
	s_wait_loadcnt 0x0
	flat_store_b128 v[32:33], v[82:85]
	scratch_load_b128 v[82:85], off, s20
	s_wait_loadcnt 0x0
	flat_store_b128 v[34:35], v[82:85]
	scratch_load_b128 v[32:35], off, s18
	;; [unrolled: 3-line block ×62, first 2 shown]
	s_wait_loadcnt 0x0
	flat_store_b128 v[2:3], v[4:7]
	s_sendmsg sendmsg(MSG_DEALLOC_VGPRS)
	s_endpgm
	.section	.rodata,"a",@progbits
	.p2align	6, 0x0
	.amdhsa_kernel _ZN9rocsolver6v33100L18getri_kernel_smallILi63E19rocblas_complex_numIdEPKPS3_EEvT1_iilPiilS8_bb
		.amdhsa_group_segment_fixed_size 3048
		.amdhsa_private_segment_fixed_size 1024
		.amdhsa_kernarg_size 60
		.amdhsa_user_sgpr_count 4
		.amdhsa_user_sgpr_dispatch_ptr 1
		.amdhsa_user_sgpr_queue_ptr 0
		.amdhsa_user_sgpr_kernarg_segment_ptr 1
		.amdhsa_user_sgpr_dispatch_id 0
		.amdhsa_user_sgpr_kernarg_preload_length 0
		.amdhsa_user_sgpr_kernarg_preload_offset 0
		.amdhsa_user_sgpr_private_segment_size 0
		.amdhsa_wavefront_size32 1
		.amdhsa_uses_dynamic_stack 0
		.amdhsa_enable_private_segment 1
		.amdhsa_system_sgpr_workgroup_id_x 1
		.amdhsa_system_sgpr_workgroup_id_y 0
		.amdhsa_system_sgpr_workgroup_id_z 0
		.amdhsa_system_sgpr_workgroup_info 0
		.amdhsa_system_vgpr_workitem_id 2
		.amdhsa_next_free_vgpr 211
		.amdhsa_next_free_sgpr 105
		.amdhsa_named_barrier_count 0
		.amdhsa_reserve_vcc 1
		.amdhsa_float_round_mode_32 0
		.amdhsa_float_round_mode_16_64 0
		.amdhsa_float_denorm_mode_32 3
		.amdhsa_float_denorm_mode_16_64 3
		.amdhsa_fp16_overflow 0
		.amdhsa_memory_ordered 1
		.amdhsa_forward_progress 1
		.amdhsa_inst_pref_size 255
		.amdhsa_round_robin_scheduling 0
		.amdhsa_exception_fp_ieee_invalid_op 0
		.amdhsa_exception_fp_denorm_src 0
		.amdhsa_exception_fp_ieee_div_zero 0
		.amdhsa_exception_fp_ieee_overflow 0
		.amdhsa_exception_fp_ieee_underflow 0
		.amdhsa_exception_fp_ieee_inexact 0
		.amdhsa_exception_int_div_zero 0
	.end_amdhsa_kernel
	.section	.text._ZN9rocsolver6v33100L18getri_kernel_smallILi63E19rocblas_complex_numIdEPKPS3_EEvT1_iilPiilS8_bb,"axG",@progbits,_ZN9rocsolver6v33100L18getri_kernel_smallILi63E19rocblas_complex_numIdEPKPS3_EEvT1_iilPiilS8_bb,comdat
.Lfunc_end126:
	.size	_ZN9rocsolver6v33100L18getri_kernel_smallILi63E19rocblas_complex_numIdEPKPS3_EEvT1_iilPiilS8_bb, .Lfunc_end126-_ZN9rocsolver6v33100L18getri_kernel_smallILi63E19rocblas_complex_numIdEPKPS3_EEvT1_iilPiilS8_bb
                                        ; -- End function
	.set _ZN9rocsolver6v33100L18getri_kernel_smallILi63E19rocblas_complex_numIdEPKPS3_EEvT1_iilPiilS8_bb.num_vgpr, 211
	.set _ZN9rocsolver6v33100L18getri_kernel_smallILi63E19rocblas_complex_numIdEPKPS3_EEvT1_iilPiilS8_bb.num_agpr, 0
	.set _ZN9rocsolver6v33100L18getri_kernel_smallILi63E19rocblas_complex_numIdEPKPS3_EEvT1_iilPiilS8_bb.numbered_sgpr, 105
	.set _ZN9rocsolver6v33100L18getri_kernel_smallILi63E19rocblas_complex_numIdEPKPS3_EEvT1_iilPiilS8_bb.num_named_barrier, 0
	.set _ZN9rocsolver6v33100L18getri_kernel_smallILi63E19rocblas_complex_numIdEPKPS3_EEvT1_iilPiilS8_bb.private_seg_size, 1024
	.set _ZN9rocsolver6v33100L18getri_kernel_smallILi63E19rocblas_complex_numIdEPKPS3_EEvT1_iilPiilS8_bb.uses_vcc, 1
	.set _ZN9rocsolver6v33100L18getri_kernel_smallILi63E19rocblas_complex_numIdEPKPS3_EEvT1_iilPiilS8_bb.uses_flat_scratch, 1
	.set _ZN9rocsolver6v33100L18getri_kernel_smallILi63E19rocblas_complex_numIdEPKPS3_EEvT1_iilPiilS8_bb.has_dyn_sized_stack, 0
	.set _ZN9rocsolver6v33100L18getri_kernel_smallILi63E19rocblas_complex_numIdEPKPS3_EEvT1_iilPiilS8_bb.has_recursion, 0
	.set _ZN9rocsolver6v33100L18getri_kernel_smallILi63E19rocblas_complex_numIdEPKPS3_EEvT1_iilPiilS8_bb.has_indirect_call, 0
	.section	.AMDGPU.csdata,"",@progbits
; Kernel info:
; codeLenInByte = 141140
; TotalNumSgprs: 107
; NumVgprs: 211
; ScratchSize: 1024
; MemoryBound: 0
; FloatMode: 240
; IeeeMode: 1
; LDSByteSize: 3048 bytes/workgroup (compile time only)
; SGPRBlocks: 0
; VGPRBlocks: 13
; NumSGPRsForWavesPerEU: 107
; NumVGPRsForWavesPerEU: 211
; NamedBarCnt: 0
; Occupancy: 4
; WaveLimiterHint : 1
; COMPUTE_PGM_RSRC2:SCRATCH_EN: 1
; COMPUTE_PGM_RSRC2:USER_SGPR: 4
; COMPUTE_PGM_RSRC2:TRAP_HANDLER: 0
; COMPUTE_PGM_RSRC2:TGID_X_EN: 1
; COMPUTE_PGM_RSRC2:TGID_Y_EN: 0
; COMPUTE_PGM_RSRC2:TGID_Z_EN: 0
; COMPUTE_PGM_RSRC2:TIDIG_COMP_CNT: 2
	.section	.text._ZN9rocsolver6v33100L18getri_kernel_smallILi64E19rocblas_complex_numIdEPKPS3_EEvT1_iilPiilS8_bb,"axG",@progbits,_ZN9rocsolver6v33100L18getri_kernel_smallILi64E19rocblas_complex_numIdEPKPS3_EEvT1_iilPiilS8_bb,comdat
	.globl	_ZN9rocsolver6v33100L18getri_kernel_smallILi64E19rocblas_complex_numIdEPKPS3_EEvT1_iilPiilS8_bb ; -- Begin function _ZN9rocsolver6v33100L18getri_kernel_smallILi64E19rocblas_complex_numIdEPKPS3_EEvT1_iilPiilS8_bb
	.p2align	8
	.type	_ZN9rocsolver6v33100L18getri_kernel_smallILi64E19rocblas_complex_numIdEPKPS3_EEvT1_iilPiilS8_bb,@function
_ZN9rocsolver6v33100L18getri_kernel_smallILi64E19rocblas_complex_numIdEPKPS3_EEvT1_iilPiilS8_bb: ; @_ZN9rocsolver6v33100L18getri_kernel_smallILi64E19rocblas_complex_numIdEPKPS3_EEvT1_iilPiilS8_bb
; %bb.0:
	v_and_b32_e32 v1, 0x3ff, v0
	s_mov_b32 s4, exec_lo
	s_delay_alu instid0(VALU_DEP_1)
	v_cmpx_gt_u32_e32 64, v1
	s_cbranch_execz .LBB127_282
; %bb.1:
	s_clause 0x1
	s_load_b32 s14, s[2:3], 0x38
	s_load_b64 s[8:9], s[2:3], 0x0
                                        ; implicit-def: $vgpr210 : SGPR spill to VGPR lane
	s_getreg_b32 s6, hwreg(HW_REG_IB_STS2, 6, 4)
	s_wait_kmcnt 0x0
	s_bitcmp1_b32 s14, 8
	s_cselect_b32 s4, -1, 0
	s_and_b32 s5, ttmp6, 15
	v_writelane_b32 v210, s4, 0
	s_bfe_u32 s4, ttmp6, 0x4000c
	s_delay_alu instid0(SALU_CYCLE_1) | instskip(NEXT) | instid1(SALU_CYCLE_1)
	s_add_co_i32 s4, s4, 1
	s_mul_i32 s4, ttmp9, s4
	s_delay_alu instid0(SALU_CYCLE_1) | instskip(SKIP_4) | instid1(SALU_CYCLE_1)
	s_add_co_i32 s5, s5, s4
	s_cmp_eq_u32 s6, 0
	s_cselect_b32 s12, ttmp9, s5
	s_load_b128 s[4:7], s[2:3], 0x28
	s_ashr_i32 s13, s12, 31
	s_lshl_b64 s[10:11], s[12:13], 3
	s_delay_alu instid0(SALU_CYCLE_1) | instskip(SKIP_3) | instid1(SALU_CYCLE_1)
	s_add_nc_u64 s[8:9], s[8:9], s[10:11]
	s_load_b64 s[10:11], s[8:9], 0x0
	s_wait_xcnt 0x0
	s_bfe_u32 s8, s14, 0x10008
	s_cmp_eq_u32 s8, 0
                                        ; implicit-def: $sgpr8_sgpr9
	s_cbranch_scc1 .LBB127_3
; %bb.2:
	s_load_b96 s[16:18], s[2:3], 0x18
	s_wait_kmcnt 0x0
	s_mul_u64 s[4:5], s[4:5], s[12:13]
	s_delay_alu instid0(SALU_CYCLE_1) | instskip(SKIP_4) | instid1(SALU_CYCLE_1)
	s_lshl_b64 s[4:5], s[4:5], 2
	s_ashr_i32 s9, s18, 31
	s_mov_b32 s8, s18
	s_add_nc_u64 s[4:5], s[16:17], s[4:5]
	s_lshl_b64 s[8:9], s[8:9], 2
	s_add_nc_u64 s[8:9], s[4:5], s[8:9]
.LBB127_3:
	s_wait_kmcnt 0x0
	s_clause 0x1
	s_load_b64 s[4:5], s[2:3], 0x8
	s_load_b32 s79, s[2:3], 0x38
	v_dual_mov_b32 v15, 0 :: v_dual_lshlrev_b32 v14, 4, v1
	s_movk_i32 s80, 0x250
	s_movk_i32 s81, 0x260
	;; [unrolled: 1-line block ×16, first 2 shown]
	s_wait_kmcnt 0x0
	s_ashr_i32 s3, s4, 31
	s_mov_b32 s2, s4
	v_add3_u32 v36, s5, s5, v1
	s_lshl_b64 s[2:3], s[2:3], 4
	s_movk_i32 s96, 0x350
	s_add_nc_u64 s[10:11], s[10:11], s[2:3]
	s_ashr_i32 s3, s5, 31
	flat_load_b128 v[2:5], v1, s[10:11] scale_offset
	v_add_nc_u64_e32 v[32:33], s[10:11], v[14:15]
	s_mov_b32 s2, s5
	v_add_nc_u32_e32 v38, s5, v36
	s_movk_i32 s97, 0x360
	s_movk_i32 s98, 0x370
	;; [unrolled: 1-line block ×4, first 2 shown]
	v_lshl_add_u64 v[34:35], s[2:3], 4, v[32:33]
	v_add_nc_u32_e32 v40, s5, v38
	s_movk_i32 s101, 0x3a0
	s_movk_i32 s104, 0x3b0
	s_movk_i32 vcc_lo, 0x3c0
	s_movk_i32 vcc_hi, 0x3d0
	v_add_nc_u32_e32 v42, s5, v40
	s_movk_i32 s78, 0x3e0
	s_movk_i32 s14, 0x3f0
	s_mov_b32 s20, 16
	s_mov_b32 s18, 32
	v_add_nc_u32_e32 v44, s5, v42
	s_mov_b32 s16, 48
	s_mov_b32 s2, 64
	s_movk_i32 s77, 0x50
	s_movk_i32 s76, 0x60
	v_add_nc_u32_e32 v46, s5, v44
	s_movk_i32 s75, 0x70
	s_movk_i32 s74, 0x80
	s_movk_i32 s73, 0x90
	s_movk_i32 s72, 0xa0
	v_add_nc_u32_e32 v48, s5, v46
	s_movk_i32 s71, 0xb0
	s_movk_i32 s70, 0xc0
	;; [unrolled: 5-line block ×8, first 2 shown]
	s_mov_b32 s45, s80
	s_mov_b32 s44, s81
	v_add_nc_u32_e32 v62, s5, v60
	s_mov_b32 s43, s82
	s_mov_b32 s42, s83
	s_mov_b32 s41, s84
	s_mov_b32 s40, s85
	v_add_nc_u32_e32 v64, s5, v62
	s_mov_b32 s39, s86
	s_mov_b32 s38, s87
	;; [unrolled: 5-line block ×5, first 2 shown]
	s_mov_b32 s24, s100
	s_mov_b32 s23, s101
	v_add_nc_u32_e32 v72, s5, v70
	s_mov_b32 s22, s104
	s_mov_b32 s21, vcc_lo
	s_mov_b32 s19, vcc_hi
	s_mov_b32 s17, s78
	v_add_nc_u32_e32 v74, s5, v72
	s_mov_b32 s15, s14
	s_bitcmp0_b32 s79, 0
	s_mov_b32 s3, -1
	v_writelane_b32 v210, s2, 1
	v_add_nc_u32_e32 v76, s5, v74
	s_delay_alu instid0(VALU_DEP_1) | instskip(NEXT) | instid1(VALU_DEP_1)
	v_add_nc_u32_e32 v78, s5, v76
	v_add_nc_u32_e32 v80, s5, v78
	s_delay_alu instid0(VALU_DEP_1) | instskip(NEXT) | instid1(VALU_DEP_1)
	v_add_nc_u32_e32 v82, s5, v80
	;; [unrolled: 3-line block ×20, first 2 shown]
	v_add_nc_u32_e32 v158, s5, v154
	s_delay_alu instid0(VALU_DEP_1)
	v_add_nc_u32_e32 v156, s5, v158
	s_wait_loadcnt_dscnt 0x0
	scratch_store_b128 off, v[2:5], off
	flat_load_b128 v[2:5], v[34:35]
	s_wait_loadcnt_dscnt 0x0
	scratch_store_b128 off, v[2:5], off offset:16
	flat_load_b128 v[2:5], v36, s[10:11] scale_offset
	s_wait_loadcnt_dscnt 0x0
	scratch_store_b128 off, v[2:5], off offset:32
	flat_load_b128 v[2:5], v38, s[10:11] scale_offset
	;; [unrolled: 3-line block ×62, first 2 shown]
	s_wait_loadcnt_dscnt 0x0
	scratch_store_b128 off, v[2:5], off offset:1008
	s_cbranch_scc1 .LBB127_280
; %bb.4:
	v_cmp_eq_u32_e64 s2, 0, v1
	s_wait_xcnt 0x0
	s_and_saveexec_b32 s3, s2
; %bb.5:
	v_mov_b32_e32 v2, 0
	ds_store_b32 v2, v2 offset:2048
; %bb.6:
	s_or_b32 exec_lo, exec_lo, s3
	s_wait_storecnt_dscnt 0x0
	s_barrier_signal -1
	s_barrier_wait -1
	scratch_load_b128 v[2:5], v1, off scale_offset
	s_wait_loadcnt 0x0
	v_cmp_eq_f64_e32 vcc_lo, 0, v[2:3]
	v_cmp_eq_f64_e64 s3, 0, v[4:5]
	s_and_b32 s3, vcc_lo, s3
	s_delay_alu instid0(SALU_CYCLE_1)
	s_and_saveexec_b32 s4, s3
	s_cbranch_execz .LBB127_10
; %bb.7:
	v_mov_b32_e32 v2, 0
	s_mov_b32 s5, 0
	ds_load_b32 v3, v2 offset:2048
	s_wait_dscnt 0x0
	v_readfirstlane_b32 s3, v3
	v_add_nc_u32_e32 v3, 1, v1
	s_cmp_eq_u32 s3, 0
	s_delay_alu instid0(VALU_DEP_1) | instskip(SKIP_1) | instid1(SALU_CYCLE_1)
	v_cmp_gt_i32_e32 vcc_lo, s3, v3
	s_cselect_b32 s14, -1, 0
	s_or_b32 s14, s14, vcc_lo
	s_delay_alu instid0(SALU_CYCLE_1)
	s_and_b32 exec_lo, exec_lo, s14
	s_cbranch_execz .LBB127_10
; %bb.8:
	v_mov_b32_e32 v4, s3
.LBB127_9:                              ; =>This Inner Loop Header: Depth=1
	ds_cmpstore_rtn_b32 v4, v2, v3, v4 offset:2048
	s_wait_dscnt 0x0
	v_cmp_ne_u32_e32 vcc_lo, 0, v4
	v_cmp_le_i32_e64 s3, v4, v3
	s_and_b32 s3, vcc_lo, s3
	s_delay_alu instid0(SALU_CYCLE_1) | instskip(NEXT) | instid1(SALU_CYCLE_1)
	s_and_b32 s3, exec_lo, s3
	s_or_b32 s5, s3, s5
	s_delay_alu instid0(SALU_CYCLE_1)
	s_and_not1_b32 exec_lo, exec_lo, s5
	s_cbranch_execnz .LBB127_9
.LBB127_10:
	s_or_b32 exec_lo, exec_lo, s4
	v_mov_b32_e32 v2, 0
	s_barrier_signal -1
	s_barrier_wait -1
	ds_load_b32 v3, v2 offset:2048
	s_and_saveexec_b32 s3, s2
	s_cbranch_execz .LBB127_12
; %bb.11:
	s_lshl_b64 s[4:5], s[12:13], 2
	s_delay_alu instid0(SALU_CYCLE_1)
	s_add_nc_u64 s[4:5], s[6:7], s[4:5]
	s_wait_dscnt 0x0
	global_store_b32 v2, v3, s[4:5]
.LBB127_12:
	s_wait_xcnt 0x0
	s_or_b32 exec_lo, exec_lo, s3
	s_wait_dscnt 0x0
	v_cmp_ne_u32_e32 vcc_lo, 0, v3
	s_mov_b32 s3, 0
	s_cbranch_vccnz .LBB127_280
; %bb.13:
	v_lshl_add_u32 v15, v1, 4, 0
                                        ; implicit-def: $vgpr6_vgpr7
                                        ; implicit-def: $vgpr10_vgpr11
	scratch_load_b128 v[2:5], v15, off
	s_wait_loadcnt 0x0
	v_cmp_ngt_f64_e64 s3, |v[2:3]|, |v[4:5]|
	s_wait_xcnt 0x0
	s_and_saveexec_b32 s4, s3
	s_delay_alu instid0(SALU_CYCLE_1)
	s_xor_b32 s3, exec_lo, s4
	s_cbranch_execz .LBB127_15
; %bb.14:
	v_div_scale_f64 v[6:7], null, v[4:5], v[4:5], v[2:3]
	v_div_scale_f64 v[12:13], vcc_lo, v[2:3], v[4:5], v[2:3]
	s_delay_alu instid0(VALU_DEP_2) | instskip(SKIP_1) | instid1(TRANS32_DEP_1)
	v_rcp_f64_e32 v[8:9], v[6:7]
	v_nop
	v_fma_f64 v[10:11], -v[6:7], v[8:9], 1.0
	s_delay_alu instid0(VALU_DEP_1) | instskip(NEXT) | instid1(VALU_DEP_1)
	v_fmac_f64_e32 v[8:9], v[8:9], v[10:11]
	v_fma_f64 v[10:11], -v[6:7], v[8:9], 1.0
	s_delay_alu instid0(VALU_DEP_1) | instskip(NEXT) | instid1(VALU_DEP_1)
	v_fmac_f64_e32 v[8:9], v[8:9], v[10:11]
	v_mul_f64_e32 v[10:11], v[12:13], v[8:9]
	s_delay_alu instid0(VALU_DEP_1) | instskip(NEXT) | instid1(VALU_DEP_1)
	v_fma_f64 v[6:7], -v[6:7], v[10:11], v[12:13]
	v_div_fmas_f64 v[6:7], v[6:7], v[8:9], v[10:11]
	s_delay_alu instid0(VALU_DEP_1) | instskip(NEXT) | instid1(VALU_DEP_1)
	v_div_fixup_f64 v[6:7], v[6:7], v[4:5], v[2:3]
	v_fmac_f64_e32 v[4:5], v[2:3], v[6:7]
	s_delay_alu instid0(VALU_DEP_1) | instskip(SKIP_1) | instid1(VALU_DEP_2)
	v_div_scale_f64 v[2:3], null, v[4:5], v[4:5], 1.0
	v_div_scale_f64 v[12:13], vcc_lo, 1.0, v[4:5], 1.0
	v_rcp_f64_e32 v[8:9], v[2:3]
	v_nop
	s_delay_alu instid0(TRANS32_DEP_1) | instskip(NEXT) | instid1(VALU_DEP_1)
	v_fma_f64 v[10:11], -v[2:3], v[8:9], 1.0
	v_fmac_f64_e32 v[8:9], v[8:9], v[10:11]
	s_delay_alu instid0(VALU_DEP_1) | instskip(NEXT) | instid1(VALU_DEP_1)
	v_fma_f64 v[10:11], -v[2:3], v[8:9], 1.0
	v_fmac_f64_e32 v[8:9], v[8:9], v[10:11]
	s_delay_alu instid0(VALU_DEP_1) | instskip(NEXT) | instid1(VALU_DEP_1)
	v_mul_f64_e32 v[10:11], v[12:13], v[8:9]
	v_fma_f64 v[2:3], -v[2:3], v[10:11], v[12:13]
	s_delay_alu instid0(VALU_DEP_1) | instskip(NEXT) | instid1(VALU_DEP_1)
	v_div_fmas_f64 v[2:3], v[2:3], v[8:9], v[10:11]
	v_div_fixup_f64 v[8:9], v[2:3], v[4:5], 1.0
                                        ; implicit-def: $vgpr2_vgpr3
	s_delay_alu instid0(VALU_DEP_1) | instskip(SKIP_1) | instid1(VALU_DEP_2)
	v_mul_f64_e32 v[6:7], v[6:7], v[8:9]
	v_xor_b32_e32 v9, 0x80000000, v9
	v_xor_b32_e32 v11, 0x80000000, v7
	s_delay_alu instid0(VALU_DEP_3)
	v_mov_b32_e32 v10, v6
.LBB127_15:
	s_and_not1_saveexec_b32 s3, s3
	s_cbranch_execz .LBB127_17
; %bb.16:
	v_div_scale_f64 v[6:7], null, v[2:3], v[2:3], v[4:5]
	v_div_scale_f64 v[12:13], vcc_lo, v[4:5], v[2:3], v[4:5]
	s_delay_alu instid0(VALU_DEP_2) | instskip(SKIP_1) | instid1(TRANS32_DEP_1)
	v_rcp_f64_e32 v[8:9], v[6:7]
	v_nop
	v_fma_f64 v[10:11], -v[6:7], v[8:9], 1.0
	s_delay_alu instid0(VALU_DEP_1) | instskip(NEXT) | instid1(VALU_DEP_1)
	v_fmac_f64_e32 v[8:9], v[8:9], v[10:11]
	v_fma_f64 v[10:11], -v[6:7], v[8:9], 1.0
	s_delay_alu instid0(VALU_DEP_1) | instskip(NEXT) | instid1(VALU_DEP_1)
	v_fmac_f64_e32 v[8:9], v[8:9], v[10:11]
	v_mul_f64_e32 v[10:11], v[12:13], v[8:9]
	s_delay_alu instid0(VALU_DEP_1) | instskip(NEXT) | instid1(VALU_DEP_1)
	v_fma_f64 v[6:7], -v[6:7], v[10:11], v[12:13]
	v_div_fmas_f64 v[6:7], v[6:7], v[8:9], v[10:11]
	s_delay_alu instid0(VALU_DEP_1) | instskip(NEXT) | instid1(VALU_DEP_1)
	v_div_fixup_f64 v[8:9], v[6:7], v[2:3], v[4:5]
	v_fmac_f64_e32 v[2:3], v[4:5], v[8:9]
	s_delay_alu instid0(VALU_DEP_1) | instskip(NEXT) | instid1(VALU_DEP_1)
	v_div_scale_f64 v[4:5], null, v[2:3], v[2:3], 1.0
	v_rcp_f64_e32 v[6:7], v[4:5]
	v_nop
	s_delay_alu instid0(TRANS32_DEP_1) | instskip(NEXT) | instid1(VALU_DEP_1)
	v_fma_f64 v[10:11], -v[4:5], v[6:7], 1.0
	v_fmac_f64_e32 v[6:7], v[6:7], v[10:11]
	s_delay_alu instid0(VALU_DEP_1) | instskip(NEXT) | instid1(VALU_DEP_1)
	v_fma_f64 v[10:11], -v[4:5], v[6:7], 1.0
	v_fmac_f64_e32 v[6:7], v[6:7], v[10:11]
	v_div_scale_f64 v[10:11], vcc_lo, 1.0, v[2:3], 1.0
	s_delay_alu instid0(VALU_DEP_1) | instskip(NEXT) | instid1(VALU_DEP_1)
	v_mul_f64_e32 v[12:13], v[10:11], v[6:7]
	v_fma_f64 v[4:5], -v[4:5], v[12:13], v[10:11]
	s_delay_alu instid0(VALU_DEP_1) | instskip(NEXT) | instid1(VALU_DEP_1)
	v_div_fmas_f64 v[4:5], v[4:5], v[6:7], v[12:13]
	v_div_fixup_f64 v[6:7], v[4:5], v[2:3], 1.0
	s_delay_alu instid0(VALU_DEP_1)
	v_mul_f64_e64 v[8:9], v[8:9], -v[6:7]
	v_xor_b32_e32 v11, 0x80000000, v7
	v_mov_b32_e32 v10, v6
.LBB127_17:
	s_or_b32 exec_lo, exec_lo, s3
	s_clause 0x1
	scratch_store_b128 v15, v[6:9], off
	scratch_load_b128 v[2:5], off, s20
	v_xor_b32_e32 v13, 0x80000000, v9
	v_mov_b32_e32 v12, v8
	s_wait_xcnt 0x1
	v_add_nc_u32_e32 v6, 0x400, v14
	ds_store_b128 v14, v[10:13]
	s_wait_loadcnt 0x0
	ds_store_b128 v14, v[2:5] offset:1024
	s_wait_storecnt_dscnt 0x0
	s_barrier_signal -1
	s_barrier_wait -1
	s_wait_xcnt 0x0
	s_and_saveexec_b32 s3, s2
	s_cbranch_execz .LBB127_19
; %bb.18:
	scratch_load_b128 v[2:5], v15, off
	ds_load_b128 v[8:11], v6
	v_mov_b32_e32 v7, 0
	ds_load_b128 v[16:19], v7 offset:16
	s_wait_loadcnt_dscnt 0x1
	v_mul_f64_e32 v[12:13], v[8:9], v[4:5]
	v_mul_f64_e32 v[4:5], v[10:11], v[4:5]
	s_delay_alu instid0(VALU_DEP_2) | instskip(NEXT) | instid1(VALU_DEP_2)
	v_fmac_f64_e32 v[12:13], v[10:11], v[2:3]
	v_fma_f64 v[2:3], v[8:9], v[2:3], -v[4:5]
	s_delay_alu instid0(VALU_DEP_2) | instskip(NEXT) | instid1(VALU_DEP_2)
	v_add_f64_e32 v[8:9], 0, v[12:13]
	v_add_f64_e32 v[2:3], 0, v[2:3]
	s_wait_dscnt 0x0
	s_delay_alu instid0(VALU_DEP_2) | instskip(NEXT) | instid1(VALU_DEP_2)
	v_mul_f64_e32 v[10:11], v[8:9], v[18:19]
	v_mul_f64_e32 v[4:5], v[2:3], v[18:19]
	s_delay_alu instid0(VALU_DEP_2) | instskip(NEXT) | instid1(VALU_DEP_2)
	v_fma_f64 v[2:3], v[2:3], v[16:17], -v[10:11]
	v_fmac_f64_e32 v[4:5], v[8:9], v[16:17]
	scratch_store_b128 off, v[2:5], off offset:16
.LBB127_19:
	s_wait_xcnt 0x0
	s_or_b32 exec_lo, exec_lo, s3
	s_wait_storecnt 0x0
	s_barrier_signal -1
	s_barrier_wait -1
	scratch_load_b128 v[2:5], off, s18
	v_cmp_gt_u32_e32 vcc_lo, 2, v1
	s_wait_loadcnt 0x0
	ds_store_b128 v6, v[2:5]
	s_wait_dscnt 0x0
	s_barrier_signal -1
	s_barrier_wait -1
	s_and_saveexec_b32 s3, vcc_lo
	s_cbranch_execz .LBB127_23
; %bb.20:
	scratch_load_b128 v[2:5], v15, off
	ds_load_b128 v[8:11], v6
	s_wait_loadcnt_dscnt 0x0
	v_mul_f64_e32 v[12:13], v[10:11], v[4:5]
	v_mul_f64_e32 v[16:17], v[8:9], v[4:5]
	s_delay_alu instid0(VALU_DEP_2) | instskip(NEXT) | instid1(VALU_DEP_2)
	v_fma_f64 v[4:5], v[8:9], v[2:3], -v[12:13]
	v_fmac_f64_e32 v[16:17], v[10:11], v[2:3]
	s_delay_alu instid0(VALU_DEP_2) | instskip(NEXT) | instid1(VALU_DEP_2)
	v_add_f64_e32 v[4:5], 0, v[4:5]
	v_add_f64_e32 v[2:3], 0, v[16:17]
	s_and_saveexec_b32 s4, s2
	s_cbranch_execz .LBB127_22
; %bb.21:
	scratch_load_b128 v[8:11], off, off offset:16
	v_mov_b32_e32 v7, 0
	ds_load_b128 v[16:19], v7 offset:1040
	s_wait_loadcnt_dscnt 0x0
	v_mul_f64_e32 v[12:13], v[16:17], v[10:11]
	v_mul_f64_e32 v[10:11], v[18:19], v[10:11]
	s_delay_alu instid0(VALU_DEP_2) | instskip(NEXT) | instid1(VALU_DEP_2)
	v_fmac_f64_e32 v[12:13], v[18:19], v[8:9]
	v_fma_f64 v[8:9], v[16:17], v[8:9], -v[10:11]
	s_delay_alu instid0(VALU_DEP_2) | instskip(NEXT) | instid1(VALU_DEP_2)
	v_add_f64_e32 v[2:3], v[2:3], v[12:13]
	v_add_f64_e32 v[4:5], v[4:5], v[8:9]
.LBB127_22:
	s_or_b32 exec_lo, exec_lo, s4
	v_mov_b32_e32 v7, 0
	ds_load_b128 v[8:11], v7 offset:32
	s_wait_dscnt 0x0
	v_mul_f64_e32 v[16:17], v[2:3], v[10:11]
	v_mul_f64_e32 v[12:13], v[4:5], v[10:11]
	s_delay_alu instid0(VALU_DEP_2) | instskip(NEXT) | instid1(VALU_DEP_2)
	v_fma_f64 v[10:11], v[4:5], v[8:9], -v[16:17]
	v_fmac_f64_e32 v[12:13], v[2:3], v[8:9]
	scratch_store_b128 off, v[10:13], off offset:32
.LBB127_23:
	s_wait_xcnt 0x0
	s_or_b32 exec_lo, exec_lo, s3
	s_wait_storecnt 0x0
	s_barrier_signal -1
	s_barrier_wait -1
	scratch_load_b128 v[2:5], off, s16
	v_add_nc_u32_e32 v7, -1, v1
	s_mov_b32 s4, exec_lo
	s_wait_loadcnt 0x0
	ds_store_b128 v6, v[2:5]
	s_wait_dscnt 0x0
	s_barrier_signal -1
	s_barrier_wait -1
	v_cmpx_gt_u32_e32 3, v1
	s_cbranch_execz .LBB127_27
; %bb.24:
	v_dual_mov_b32 v10, v14 :: v_dual_add_nc_u32 v8, -1, v1
	v_mov_b64_e32 v[2:3], 0
	v_mov_b64_e32 v[4:5], 0
	v_add_nc_u32_e32 v9, 0x400, v14
	s_delay_alu instid0(VALU_DEP_4)
	v_or_b32_e32 v10, 8, v10
	s_mov_b32 s5, 0
.LBB127_25:                             ; =>This Inner Loop Header: Depth=1
	scratch_load_b128 v[16:19], v10, off offset:-8
	ds_load_b128 v[20:23], v9
	v_dual_add_nc_u32 v8, 1, v8 :: v_dual_add_nc_u32 v9, 16, v9
	s_wait_xcnt 0x0
	v_add_nc_u32_e32 v10, 16, v10
	s_delay_alu instid0(VALU_DEP_2) | instskip(SKIP_4) | instid1(VALU_DEP_2)
	v_cmp_lt_u32_e64 s3, 1, v8
	s_or_b32 s5, s3, s5
	s_wait_loadcnt_dscnt 0x0
	v_mul_f64_e32 v[12:13], v[22:23], v[18:19]
	v_mul_f64_e32 v[18:19], v[20:21], v[18:19]
	v_fma_f64 v[12:13], v[20:21], v[16:17], -v[12:13]
	s_delay_alu instid0(VALU_DEP_2) | instskip(NEXT) | instid1(VALU_DEP_2)
	v_fmac_f64_e32 v[18:19], v[22:23], v[16:17]
	v_add_f64_e32 v[4:5], v[4:5], v[12:13]
	s_delay_alu instid0(VALU_DEP_2)
	v_add_f64_e32 v[2:3], v[2:3], v[18:19]
	s_and_not1_b32 exec_lo, exec_lo, s5
	s_cbranch_execnz .LBB127_25
; %bb.26:
	s_or_b32 exec_lo, exec_lo, s5
	v_mov_b32_e32 v8, 0
	ds_load_b128 v[8:11], v8 offset:48
	s_wait_dscnt 0x0
	v_mul_f64_e32 v[16:17], v[2:3], v[10:11]
	v_mul_f64_e32 v[12:13], v[4:5], v[10:11]
	s_delay_alu instid0(VALU_DEP_2) | instskip(NEXT) | instid1(VALU_DEP_2)
	v_fma_f64 v[10:11], v[4:5], v[8:9], -v[16:17]
	v_fmac_f64_e32 v[12:13], v[2:3], v[8:9]
	scratch_store_b128 off, v[10:13], off offset:48
.LBB127_27:
	s_wait_xcnt 0x0
	s_or_b32 exec_lo, exec_lo, s4
	v_readlane_b32 s3, v210, 1
	s_wait_storecnt 0x0
	s_barrier_signal -1
	s_barrier_wait -1
	scratch_load_b128 v[2:5], off, s3
	s_wait_xcnt 0x0
	v_cmp_gt_u32_e64 s3, 4, v1
	s_wait_loadcnt 0x0
	ds_store_b128 v6, v[2:5]
	s_wait_dscnt 0x0
	s_barrier_signal -1
	s_barrier_wait -1
	s_and_saveexec_b32 s5, s3
	s_cbranch_execz .LBB127_31
; %bb.28:
	v_dual_mov_b32 v10, v14 :: v_dual_add_nc_u32 v8, -1, v1
	v_mov_b64_e32 v[2:3], 0
	v_mov_b64_e32 v[4:5], 0
	v_add_nc_u32_e32 v9, 0x400, v14
	s_delay_alu instid0(VALU_DEP_4)
	v_or_b32_e32 v10, 8, v10
	s_mov_b32 s79, 0
.LBB127_29:                             ; =>This Inner Loop Header: Depth=1
	scratch_load_b128 v[16:19], v10, off offset:-8
	ds_load_b128 v[20:23], v9
	v_dual_add_nc_u32 v8, 1, v8 :: v_dual_add_nc_u32 v9, 16, v9
	s_wait_xcnt 0x0
	v_add_nc_u32_e32 v10, 16, v10
	s_delay_alu instid0(VALU_DEP_2) | instskip(SKIP_4) | instid1(VALU_DEP_2)
	v_cmp_lt_u32_e64 s4, 2, v8
	s_or_b32 s79, s4, s79
	s_wait_loadcnt_dscnt 0x0
	v_mul_f64_e32 v[12:13], v[22:23], v[18:19]
	v_mul_f64_e32 v[18:19], v[20:21], v[18:19]
	v_fma_f64 v[12:13], v[20:21], v[16:17], -v[12:13]
	s_delay_alu instid0(VALU_DEP_2) | instskip(NEXT) | instid1(VALU_DEP_2)
	v_fmac_f64_e32 v[18:19], v[22:23], v[16:17]
	v_add_f64_e32 v[4:5], v[4:5], v[12:13]
	s_delay_alu instid0(VALU_DEP_2)
	v_add_f64_e32 v[2:3], v[2:3], v[18:19]
	s_and_not1_b32 exec_lo, exec_lo, s79
	s_cbranch_execnz .LBB127_29
; %bb.30:
	s_or_b32 exec_lo, exec_lo, s79
	v_mov_b32_e32 v8, 0
	ds_load_b128 v[8:11], v8 offset:64
	s_wait_dscnt 0x0
	v_mul_f64_e32 v[16:17], v[2:3], v[10:11]
	v_mul_f64_e32 v[12:13], v[4:5], v[10:11]
	s_delay_alu instid0(VALU_DEP_2) | instskip(NEXT) | instid1(VALU_DEP_2)
	v_fma_f64 v[10:11], v[4:5], v[8:9], -v[16:17]
	v_fmac_f64_e32 v[12:13], v[2:3], v[8:9]
	scratch_store_b128 off, v[10:13], off offset:64
.LBB127_31:
	s_wait_xcnt 0x0
	s_or_b32 exec_lo, exec_lo, s5
	s_wait_storecnt 0x0
	s_barrier_signal -1
	s_barrier_wait -1
	scratch_load_b128 v[2:5], off, s77
	s_mov_b32 s5, exec_lo
	s_wait_loadcnt 0x0
	ds_store_b128 v6, v[2:5]
	s_wait_dscnt 0x0
	s_barrier_signal -1
	s_barrier_wait -1
	v_cmpx_gt_u32_e32 5, v1
	s_cbranch_execz .LBB127_35
; %bb.32:
	v_dual_mov_b32 v10, v14 :: v_dual_add_nc_u32 v8, -1, v1
	v_mov_b64_e32 v[2:3], 0
	v_mov_b64_e32 v[4:5], 0
	v_add_nc_u32_e32 v9, 0x400, v14
	s_delay_alu instid0(VALU_DEP_4)
	v_or_b32_e32 v10, 8, v10
	s_mov_b32 s79, 0
.LBB127_33:                             ; =>This Inner Loop Header: Depth=1
	scratch_load_b128 v[16:19], v10, off offset:-8
	ds_load_b128 v[20:23], v9
	v_dual_add_nc_u32 v8, 1, v8 :: v_dual_add_nc_u32 v9, 16, v9
	s_wait_xcnt 0x0
	v_add_nc_u32_e32 v10, 16, v10
	s_delay_alu instid0(VALU_DEP_2) | instskip(SKIP_4) | instid1(VALU_DEP_2)
	v_cmp_lt_u32_e64 s4, 3, v8
	s_or_b32 s79, s4, s79
	s_wait_loadcnt_dscnt 0x0
	v_mul_f64_e32 v[12:13], v[22:23], v[18:19]
	v_mul_f64_e32 v[18:19], v[20:21], v[18:19]
	v_fma_f64 v[12:13], v[20:21], v[16:17], -v[12:13]
	s_delay_alu instid0(VALU_DEP_2) | instskip(NEXT) | instid1(VALU_DEP_2)
	v_fmac_f64_e32 v[18:19], v[22:23], v[16:17]
	v_add_f64_e32 v[4:5], v[4:5], v[12:13]
	s_delay_alu instid0(VALU_DEP_2)
	v_add_f64_e32 v[2:3], v[2:3], v[18:19]
	s_and_not1_b32 exec_lo, exec_lo, s79
	s_cbranch_execnz .LBB127_33
; %bb.34:
	s_or_b32 exec_lo, exec_lo, s79
	v_mov_b32_e32 v8, 0
	ds_load_b128 v[8:11], v8 offset:80
	s_wait_dscnt 0x0
	v_mul_f64_e32 v[16:17], v[2:3], v[10:11]
	v_mul_f64_e32 v[12:13], v[4:5], v[10:11]
	s_delay_alu instid0(VALU_DEP_2) | instskip(NEXT) | instid1(VALU_DEP_2)
	v_fma_f64 v[10:11], v[4:5], v[8:9], -v[16:17]
	v_fmac_f64_e32 v[12:13], v[2:3], v[8:9]
	scratch_store_b128 off, v[10:13], off offset:80
.LBB127_35:
	s_wait_xcnt 0x0
	s_or_b32 exec_lo, exec_lo, s5
	s_wait_storecnt 0x0
	s_barrier_signal -1
	s_barrier_wait -1
	scratch_load_b128 v[2:5], off, s76
	v_cmp_gt_u32_e64 s4, 6, v1
	s_wait_loadcnt 0x0
	ds_store_b128 v6, v[2:5]
	s_wait_dscnt 0x0
	s_barrier_signal -1
	s_barrier_wait -1
	s_and_saveexec_b32 s79, s4
	s_cbranch_execz .LBB127_39
; %bb.36:
	v_dual_mov_b32 v10, v14 :: v_dual_add_nc_u32 v8, -1, v1
	v_mov_b64_e32 v[2:3], 0
	v_mov_b64_e32 v[4:5], 0
	v_add_nc_u32_e32 v9, 0x400, v14
	s_delay_alu instid0(VALU_DEP_4)
	v_or_b32_e32 v10, 8, v10
	s_mov_b32 s80, 0
.LBB127_37:                             ; =>This Inner Loop Header: Depth=1
	scratch_load_b128 v[16:19], v10, off offset:-8
	ds_load_b128 v[20:23], v9
	v_dual_add_nc_u32 v8, 1, v8 :: v_dual_add_nc_u32 v9, 16, v9
	s_wait_xcnt 0x0
	v_add_nc_u32_e32 v10, 16, v10
	s_delay_alu instid0(VALU_DEP_2) | instskip(SKIP_4) | instid1(VALU_DEP_2)
	v_cmp_lt_u32_e64 s5, 4, v8
	s_or_b32 s80, s5, s80
	s_wait_loadcnt_dscnt 0x0
	v_mul_f64_e32 v[12:13], v[22:23], v[18:19]
	v_mul_f64_e32 v[18:19], v[20:21], v[18:19]
	v_fma_f64 v[12:13], v[20:21], v[16:17], -v[12:13]
	s_delay_alu instid0(VALU_DEP_2) | instskip(NEXT) | instid1(VALU_DEP_2)
	v_fmac_f64_e32 v[18:19], v[22:23], v[16:17]
	v_add_f64_e32 v[4:5], v[4:5], v[12:13]
	s_delay_alu instid0(VALU_DEP_2)
	v_add_f64_e32 v[2:3], v[2:3], v[18:19]
	s_and_not1_b32 exec_lo, exec_lo, s80
	s_cbranch_execnz .LBB127_37
; %bb.38:
	s_or_b32 exec_lo, exec_lo, s80
	v_mov_b32_e32 v8, 0
	ds_load_b128 v[8:11], v8 offset:96
	s_wait_dscnt 0x0
	v_mul_f64_e32 v[16:17], v[2:3], v[10:11]
	v_mul_f64_e32 v[12:13], v[4:5], v[10:11]
	s_delay_alu instid0(VALU_DEP_2) | instskip(NEXT) | instid1(VALU_DEP_2)
	v_fma_f64 v[10:11], v[4:5], v[8:9], -v[16:17]
	v_fmac_f64_e32 v[12:13], v[2:3], v[8:9]
	scratch_store_b128 off, v[10:13], off offset:96
.LBB127_39:
	s_wait_xcnt 0x0
	s_or_b32 exec_lo, exec_lo, s79
	s_wait_storecnt 0x0
	s_barrier_signal -1
	s_barrier_wait -1
	scratch_load_b128 v[2:5], off, s75
	s_mov_b32 s79, exec_lo
	s_wait_loadcnt 0x0
	ds_store_b128 v6, v[2:5]
	s_wait_dscnt 0x0
	s_barrier_signal -1
	s_barrier_wait -1
	v_cmpx_gt_u32_e32 7, v1
	s_cbranch_execz .LBB127_43
; %bb.40:
	v_dual_mov_b32 v10, v14 :: v_dual_add_nc_u32 v8, -1, v1
	v_mov_b64_e32 v[2:3], 0
	v_mov_b64_e32 v[4:5], 0
	v_add_nc_u32_e32 v9, 0x400, v14
	s_delay_alu instid0(VALU_DEP_4)
	v_or_b32_e32 v10, 8, v10
	s_mov_b32 s80, 0
.LBB127_41:                             ; =>This Inner Loop Header: Depth=1
	scratch_load_b128 v[16:19], v10, off offset:-8
	ds_load_b128 v[20:23], v9
	v_dual_add_nc_u32 v8, 1, v8 :: v_dual_add_nc_u32 v9, 16, v9
	s_wait_xcnt 0x0
	v_add_nc_u32_e32 v10, 16, v10
	s_delay_alu instid0(VALU_DEP_2) | instskip(SKIP_4) | instid1(VALU_DEP_2)
	v_cmp_lt_u32_e64 s5, 5, v8
	s_or_b32 s80, s5, s80
	s_wait_loadcnt_dscnt 0x0
	v_mul_f64_e32 v[12:13], v[22:23], v[18:19]
	v_mul_f64_e32 v[18:19], v[20:21], v[18:19]
	v_fma_f64 v[12:13], v[20:21], v[16:17], -v[12:13]
	s_delay_alu instid0(VALU_DEP_2) | instskip(NEXT) | instid1(VALU_DEP_2)
	v_fmac_f64_e32 v[18:19], v[22:23], v[16:17]
	v_add_f64_e32 v[4:5], v[4:5], v[12:13]
	s_delay_alu instid0(VALU_DEP_2)
	v_add_f64_e32 v[2:3], v[2:3], v[18:19]
	s_and_not1_b32 exec_lo, exec_lo, s80
	s_cbranch_execnz .LBB127_41
; %bb.42:
	s_or_b32 exec_lo, exec_lo, s80
	v_mov_b32_e32 v8, 0
	ds_load_b128 v[8:11], v8 offset:112
	s_wait_dscnt 0x0
	v_mul_f64_e32 v[16:17], v[2:3], v[10:11]
	v_mul_f64_e32 v[12:13], v[4:5], v[10:11]
	s_delay_alu instid0(VALU_DEP_2) | instskip(NEXT) | instid1(VALU_DEP_2)
	v_fma_f64 v[10:11], v[4:5], v[8:9], -v[16:17]
	v_fmac_f64_e32 v[12:13], v[2:3], v[8:9]
	scratch_store_b128 off, v[10:13], off offset:112
.LBB127_43:
	s_wait_xcnt 0x0
	s_or_b32 exec_lo, exec_lo, s79
	s_wait_storecnt 0x0
	s_barrier_signal -1
	s_barrier_wait -1
	scratch_load_b128 v[2:5], off, s74
	s_mov_b32 s79, exec_lo
	s_wait_loadcnt 0x0
	ds_store_b128 v6, v[2:5]
	s_wait_dscnt 0x0
	s_barrier_signal -1
	s_barrier_wait -1
	v_cmpx_gt_u32_e32 8, v1
	s_cbranch_execz .LBB127_59
; %bb.44:
	scratch_load_b128 v[2:5], v15, off
	ds_load_b128 v[8:11], v6
	s_mov_b32 s80, exec_lo
	s_wait_loadcnt_dscnt 0x0
	v_mul_f64_e32 v[12:13], v[10:11], v[4:5]
	v_mul_f64_e32 v[16:17], v[8:9], v[4:5]
	s_delay_alu instid0(VALU_DEP_2) | instskip(NEXT) | instid1(VALU_DEP_2)
	v_fma_f64 v[4:5], v[8:9], v[2:3], -v[12:13]
	v_fmac_f64_e32 v[16:17], v[10:11], v[2:3]
	s_delay_alu instid0(VALU_DEP_2) | instskip(NEXT) | instid1(VALU_DEP_2)
	v_add_f64_e32 v[4:5], 0, v[4:5]
	v_add_f64_e32 v[2:3], 0, v[16:17]
	v_cmpx_ne_u32_e32 7, v1
	s_cbranch_execz .LBB127_58
; %bb.45:
	scratch_load_b128 v[8:11], v15, off offset:16
	ds_load_b128 v[16:19], v6 offset:16
	s_wait_loadcnt_dscnt 0x0
	v_mul_f64_e32 v[12:13], v[18:19], v[10:11]
	v_mul_f64_e32 v[10:11], v[16:17], v[10:11]
	s_delay_alu instid0(VALU_DEP_2) | instskip(NEXT) | instid1(VALU_DEP_2)
	v_fma_f64 v[12:13], v[16:17], v[8:9], -v[12:13]
	v_fmac_f64_e32 v[10:11], v[18:19], v[8:9]
	s_delay_alu instid0(VALU_DEP_2) | instskip(NEXT) | instid1(VALU_DEP_2)
	v_add_f64_e32 v[4:5], v[4:5], v[12:13]
	v_add_f64_e32 v[2:3], v[2:3], v[10:11]
	s_and_saveexec_b32 s5, s4
	s_cbranch_execz .LBB127_57
; %bb.46:
	scratch_load_b128 v[8:11], v15, off offset:32
	ds_load_b128 v[16:19], v6 offset:32
	s_mov_b32 s81, exec_lo
	s_wait_loadcnt_dscnt 0x0
	v_mul_f64_e32 v[12:13], v[18:19], v[10:11]
	v_mul_f64_e32 v[10:11], v[16:17], v[10:11]
	s_delay_alu instid0(VALU_DEP_2) | instskip(NEXT) | instid1(VALU_DEP_2)
	v_fma_f64 v[12:13], v[16:17], v[8:9], -v[12:13]
	v_fmac_f64_e32 v[10:11], v[18:19], v[8:9]
	s_delay_alu instid0(VALU_DEP_2) | instskip(NEXT) | instid1(VALU_DEP_2)
	v_add_f64_e32 v[4:5], v[4:5], v[12:13]
	v_add_f64_e32 v[2:3], v[2:3], v[10:11]
	v_cmpx_ne_u32_e32 5, v1
	s_cbranch_execz .LBB127_56
; %bb.47:
	scratch_load_b128 v[8:11], v15, off offset:48
	ds_load_b128 v[16:19], v6 offset:48
	s_wait_loadcnt_dscnt 0x0
	v_mul_f64_e32 v[12:13], v[18:19], v[10:11]
	v_mul_f64_e32 v[10:11], v[16:17], v[10:11]
	s_delay_alu instid0(VALU_DEP_2) | instskip(NEXT) | instid1(VALU_DEP_2)
	v_fma_f64 v[12:13], v[16:17], v[8:9], -v[12:13]
	v_fmac_f64_e32 v[10:11], v[18:19], v[8:9]
	s_delay_alu instid0(VALU_DEP_2) | instskip(NEXT) | instid1(VALU_DEP_2)
	v_add_f64_e32 v[4:5], v[4:5], v[12:13]
	v_add_f64_e32 v[2:3], v[2:3], v[10:11]
	s_and_saveexec_b32 s4, s3
	s_cbranch_execz .LBB127_55
; %bb.48:
	scratch_load_b128 v[8:11], v15, off offset:64
	ds_load_b128 v[16:19], v6 offset:64
	s_mov_b32 s82, exec_lo
	s_wait_loadcnt_dscnt 0x0
	v_mul_f64_e32 v[12:13], v[18:19], v[10:11]
	v_mul_f64_e32 v[10:11], v[16:17], v[10:11]
	s_delay_alu instid0(VALU_DEP_2) | instskip(NEXT) | instid1(VALU_DEP_2)
	v_fma_f64 v[12:13], v[16:17], v[8:9], -v[12:13]
	v_fmac_f64_e32 v[10:11], v[18:19], v[8:9]
	s_delay_alu instid0(VALU_DEP_2) | instskip(NEXT) | instid1(VALU_DEP_2)
	v_add_f64_e32 v[4:5], v[4:5], v[12:13]
	v_add_f64_e32 v[2:3], v[2:3], v[10:11]
	v_cmpx_ne_u32_e32 3, v1
	s_cbranch_execz .LBB127_54
; %bb.49:
	scratch_load_b128 v[8:11], v15, off offset:80
	ds_load_b128 v[16:19], v6 offset:80
	s_wait_loadcnt_dscnt 0x0
	v_mul_f64_e32 v[12:13], v[18:19], v[10:11]
	v_mul_f64_e32 v[10:11], v[16:17], v[10:11]
	s_delay_alu instid0(VALU_DEP_2) | instskip(NEXT) | instid1(VALU_DEP_2)
	v_fma_f64 v[12:13], v[16:17], v[8:9], -v[12:13]
	v_fmac_f64_e32 v[10:11], v[18:19], v[8:9]
	s_delay_alu instid0(VALU_DEP_2) | instskip(NEXT) | instid1(VALU_DEP_2)
	v_add_f64_e32 v[4:5], v[4:5], v[12:13]
	v_add_f64_e32 v[2:3], v[2:3], v[10:11]
	s_and_saveexec_b32 s3, vcc_lo
	s_cbranch_execz .LBB127_53
; %bb.50:
	scratch_load_b128 v[8:11], v15, off offset:96
	ds_load_b128 v[16:19], v6 offset:96
	s_wait_loadcnt_dscnt 0x0
	v_mul_f64_e32 v[12:13], v[18:19], v[10:11]
	v_mul_f64_e32 v[10:11], v[16:17], v[10:11]
	s_delay_alu instid0(VALU_DEP_2) | instskip(NEXT) | instid1(VALU_DEP_2)
	v_fma_f64 v[12:13], v[16:17], v[8:9], -v[12:13]
	v_fmac_f64_e32 v[10:11], v[18:19], v[8:9]
	s_delay_alu instid0(VALU_DEP_2) | instskip(NEXT) | instid1(VALU_DEP_2)
	v_add_f64_e32 v[4:5], v[4:5], v[12:13]
	v_add_f64_e32 v[2:3], v[2:3], v[10:11]
	s_and_saveexec_b32 s83, s2
	s_cbranch_execz .LBB127_52
; %bb.51:
	scratch_load_b128 v[8:11], v15, off offset:112
	ds_load_b128 v[16:19], v6 offset:112
	s_wait_loadcnt_dscnt 0x0
	v_mul_f64_e32 v[12:13], v[18:19], v[10:11]
	v_mul_f64_e32 v[10:11], v[16:17], v[10:11]
	s_delay_alu instid0(VALU_DEP_2) | instskip(NEXT) | instid1(VALU_DEP_2)
	v_fma_f64 v[12:13], v[16:17], v[8:9], -v[12:13]
	v_fmac_f64_e32 v[10:11], v[18:19], v[8:9]
	s_delay_alu instid0(VALU_DEP_2) | instskip(NEXT) | instid1(VALU_DEP_2)
	v_add_f64_e32 v[4:5], v[4:5], v[12:13]
	v_add_f64_e32 v[2:3], v[2:3], v[10:11]
.LBB127_52:
	s_or_b32 exec_lo, exec_lo, s83
.LBB127_53:
	s_delay_alu instid0(SALU_CYCLE_1)
	s_or_b32 exec_lo, exec_lo, s3
.LBB127_54:
	s_delay_alu instid0(SALU_CYCLE_1)
	s_or_b32 exec_lo, exec_lo, s82
.LBB127_55:
	s_delay_alu instid0(SALU_CYCLE_1)
	s_or_b32 exec_lo, exec_lo, s4
.LBB127_56:
	s_delay_alu instid0(SALU_CYCLE_1)
	s_or_b32 exec_lo, exec_lo, s81
.LBB127_57:
	s_delay_alu instid0(SALU_CYCLE_1)
	s_or_b32 exec_lo, exec_lo, s5
.LBB127_58:
	s_delay_alu instid0(SALU_CYCLE_1)
	s_or_b32 exec_lo, exec_lo, s80
	v_mov_b32_e32 v8, 0
	ds_load_b128 v[8:11], v8 offset:128
	s_wait_dscnt 0x0
	v_mul_f64_e32 v[16:17], v[2:3], v[10:11]
	v_mul_f64_e32 v[12:13], v[4:5], v[10:11]
	s_delay_alu instid0(VALU_DEP_2) | instskip(NEXT) | instid1(VALU_DEP_2)
	v_fma_f64 v[10:11], v[4:5], v[8:9], -v[16:17]
	v_fmac_f64_e32 v[12:13], v[2:3], v[8:9]
	scratch_store_b128 off, v[10:13], off offset:128
.LBB127_59:
	s_wait_xcnt 0x0
	s_or_b32 exec_lo, exec_lo, s79
	s_wait_storecnt 0x0
	s_barrier_signal -1
	s_barrier_wait -1
	scratch_load_b128 v[2:5], off, s73
	s_mov_b32 s2, exec_lo
	s_wait_loadcnt 0x0
	ds_store_b128 v6, v[2:5]
	s_wait_dscnt 0x0
	s_barrier_signal -1
	s_barrier_wait -1
	v_cmpx_gt_u32_e32 9, v1
	s_cbranch_execz .LBB127_63
; %bb.60:
	v_dual_mov_b32 v10, v14 :: v_dual_add_nc_u32 v8, -1, v1
	v_mov_b64_e32 v[2:3], 0
	v_mov_b64_e32 v[4:5], 0
	v_add_nc_u32_e32 v9, 0x400, v14
	s_delay_alu instid0(VALU_DEP_4)
	v_or_b32_e32 v10, 8, v10
	s_mov_b32 s3, 0
.LBB127_61:                             ; =>This Inner Loop Header: Depth=1
	scratch_load_b128 v[16:19], v10, off offset:-8
	ds_load_b128 v[20:23], v9
	v_dual_add_nc_u32 v8, 1, v8 :: v_dual_add_nc_u32 v9, 16, v9
	s_wait_xcnt 0x0
	v_add_nc_u32_e32 v10, 16, v10
	s_delay_alu instid0(VALU_DEP_2) | instskip(SKIP_4) | instid1(VALU_DEP_2)
	v_cmp_lt_u32_e32 vcc_lo, 7, v8
	s_or_b32 s3, vcc_lo, s3
	s_wait_loadcnt_dscnt 0x0
	v_mul_f64_e32 v[12:13], v[22:23], v[18:19]
	v_mul_f64_e32 v[18:19], v[20:21], v[18:19]
	v_fma_f64 v[12:13], v[20:21], v[16:17], -v[12:13]
	s_delay_alu instid0(VALU_DEP_2) | instskip(NEXT) | instid1(VALU_DEP_2)
	v_fmac_f64_e32 v[18:19], v[22:23], v[16:17]
	v_add_f64_e32 v[4:5], v[4:5], v[12:13]
	s_delay_alu instid0(VALU_DEP_2)
	v_add_f64_e32 v[2:3], v[2:3], v[18:19]
	s_and_not1_b32 exec_lo, exec_lo, s3
	s_cbranch_execnz .LBB127_61
; %bb.62:
	s_or_b32 exec_lo, exec_lo, s3
	v_mov_b32_e32 v8, 0
	ds_load_b128 v[8:11], v8 offset:144
	s_wait_dscnt 0x0
	v_mul_f64_e32 v[16:17], v[2:3], v[10:11]
	v_mul_f64_e32 v[12:13], v[4:5], v[10:11]
	s_delay_alu instid0(VALU_DEP_2) | instskip(NEXT) | instid1(VALU_DEP_2)
	v_fma_f64 v[10:11], v[4:5], v[8:9], -v[16:17]
	v_fmac_f64_e32 v[12:13], v[2:3], v[8:9]
	scratch_store_b128 off, v[10:13], off offset:144
.LBB127_63:
	s_wait_xcnt 0x0
	s_or_b32 exec_lo, exec_lo, s2
	s_wait_storecnt 0x0
	s_barrier_signal -1
	s_barrier_wait -1
	scratch_load_b128 v[2:5], off, s72
	s_mov_b32 s2, exec_lo
	s_wait_loadcnt 0x0
	ds_store_b128 v6, v[2:5]
	s_wait_dscnt 0x0
	s_barrier_signal -1
	s_barrier_wait -1
	v_cmpx_gt_u32_e32 10, v1
	s_cbranch_execz .LBB127_67
; %bb.64:
	v_dual_mov_b32 v10, v14 :: v_dual_add_nc_u32 v8, -1, v1
	v_mov_b64_e32 v[2:3], 0
	v_mov_b64_e32 v[4:5], 0
	v_add_nc_u32_e32 v9, 0x400, v14
	s_delay_alu instid0(VALU_DEP_4)
	v_or_b32_e32 v10, 8, v10
	s_mov_b32 s3, 0
.LBB127_65:                             ; =>This Inner Loop Header: Depth=1
	scratch_load_b128 v[16:19], v10, off offset:-8
	ds_load_b128 v[20:23], v9
	v_dual_add_nc_u32 v8, 1, v8 :: v_dual_add_nc_u32 v9, 16, v9
	s_wait_xcnt 0x0
	v_add_nc_u32_e32 v10, 16, v10
	s_delay_alu instid0(VALU_DEP_2) | instskip(SKIP_4) | instid1(VALU_DEP_2)
	v_cmp_lt_u32_e32 vcc_lo, 8, v8
	s_or_b32 s3, vcc_lo, s3
	s_wait_loadcnt_dscnt 0x0
	v_mul_f64_e32 v[12:13], v[22:23], v[18:19]
	v_mul_f64_e32 v[18:19], v[20:21], v[18:19]
	v_fma_f64 v[12:13], v[20:21], v[16:17], -v[12:13]
	s_delay_alu instid0(VALU_DEP_2) | instskip(NEXT) | instid1(VALU_DEP_2)
	v_fmac_f64_e32 v[18:19], v[22:23], v[16:17]
	v_add_f64_e32 v[4:5], v[4:5], v[12:13]
	s_delay_alu instid0(VALU_DEP_2)
	v_add_f64_e32 v[2:3], v[2:3], v[18:19]
	s_and_not1_b32 exec_lo, exec_lo, s3
	s_cbranch_execnz .LBB127_65
; %bb.66:
	s_or_b32 exec_lo, exec_lo, s3
	v_mov_b32_e32 v8, 0
	ds_load_b128 v[8:11], v8 offset:160
	s_wait_dscnt 0x0
	v_mul_f64_e32 v[16:17], v[2:3], v[10:11]
	v_mul_f64_e32 v[12:13], v[4:5], v[10:11]
	s_delay_alu instid0(VALU_DEP_2) | instskip(NEXT) | instid1(VALU_DEP_2)
	v_fma_f64 v[10:11], v[4:5], v[8:9], -v[16:17]
	v_fmac_f64_e32 v[12:13], v[2:3], v[8:9]
	scratch_store_b128 off, v[10:13], off offset:160
.LBB127_67:
	;; [unrolled: 54-line block ×10, first 2 shown]
	s_wait_xcnt 0x0
	s_or_b32 exec_lo, exec_lo, s2
	s_wait_storecnt 0x0
	s_barrier_signal -1
	s_barrier_wait -1
	scratch_load_b128 v[2:5], off, s63
	s_mov_b32 s2, exec_lo
	s_wait_loadcnt 0x0
	ds_store_b128 v6, v[2:5]
	s_wait_dscnt 0x0
	s_barrier_signal -1
	s_barrier_wait -1
	v_cmpx_gt_u32_e32 19, v1
	s_cbranch_execz .LBB127_103
; %bb.100:
	v_dual_mov_b32 v10, v14 :: v_dual_add_nc_u32 v8, -1, v1
	v_mov_b64_e32 v[2:3], 0
	v_mov_b64_e32 v[4:5], 0
	v_add_nc_u32_e32 v9, 0x400, v14
	s_delay_alu instid0(VALU_DEP_4)
	v_or_b32_e32 v10, 8, v10
	s_mov_b32 s3, 0
.LBB127_101:                            ; =>This Inner Loop Header: Depth=1
	scratch_load_b128 v[16:19], v10, off offset:-8
	ds_load_b128 v[20:23], v9
	v_dual_add_nc_u32 v8, 1, v8 :: v_dual_add_nc_u32 v9, 16, v9
	s_wait_xcnt 0x0
	v_add_nc_u32_e32 v10, 16, v10
	s_delay_alu instid0(VALU_DEP_2) | instskip(SKIP_4) | instid1(VALU_DEP_2)
	v_cmp_lt_u32_e32 vcc_lo, 17, v8
	s_or_b32 s3, vcc_lo, s3
	s_wait_loadcnt_dscnt 0x0
	v_mul_f64_e32 v[12:13], v[22:23], v[18:19]
	v_mul_f64_e32 v[18:19], v[20:21], v[18:19]
	v_fma_f64 v[12:13], v[20:21], v[16:17], -v[12:13]
	s_delay_alu instid0(VALU_DEP_2) | instskip(NEXT) | instid1(VALU_DEP_2)
	v_fmac_f64_e32 v[18:19], v[22:23], v[16:17]
	v_add_f64_e32 v[4:5], v[4:5], v[12:13]
	s_delay_alu instid0(VALU_DEP_2)
	v_add_f64_e32 v[2:3], v[2:3], v[18:19]
	s_and_not1_b32 exec_lo, exec_lo, s3
	s_cbranch_execnz .LBB127_101
; %bb.102:
	s_or_b32 exec_lo, exec_lo, s3
	v_mov_b32_e32 v8, 0
	ds_load_b128 v[8:11], v8 offset:304
	s_wait_dscnt 0x0
	v_mul_f64_e32 v[16:17], v[2:3], v[10:11]
	v_mul_f64_e32 v[12:13], v[4:5], v[10:11]
	s_delay_alu instid0(VALU_DEP_2) | instskip(NEXT) | instid1(VALU_DEP_2)
	v_fma_f64 v[10:11], v[4:5], v[8:9], -v[16:17]
	v_fmac_f64_e32 v[12:13], v[2:3], v[8:9]
	scratch_store_b128 off, v[10:13], off offset:304
.LBB127_103:
	s_wait_xcnt 0x0
	s_or_b32 exec_lo, exec_lo, s2
	s_wait_storecnt 0x0
	s_barrier_signal -1
	s_barrier_wait -1
	scratch_load_b128 v[2:5], off, s62
	s_mov_b32 s2, exec_lo
	s_wait_loadcnt 0x0
	ds_store_b128 v6, v[2:5]
	s_wait_dscnt 0x0
	s_barrier_signal -1
	s_barrier_wait -1
	v_cmpx_gt_u32_e32 20, v1
	s_cbranch_execz .LBB127_107
; %bb.104:
	v_dual_mov_b32 v10, v14 :: v_dual_add_nc_u32 v8, -1, v1
	v_mov_b64_e32 v[2:3], 0
	v_mov_b64_e32 v[4:5], 0
	v_add_nc_u32_e32 v9, 0x400, v14
	s_delay_alu instid0(VALU_DEP_4)
	v_or_b32_e32 v10, 8, v10
	s_mov_b32 s3, 0
.LBB127_105:                            ; =>This Inner Loop Header: Depth=1
	scratch_load_b128 v[16:19], v10, off offset:-8
	ds_load_b128 v[20:23], v9
	v_dual_add_nc_u32 v8, 1, v8 :: v_dual_add_nc_u32 v9, 16, v9
	s_wait_xcnt 0x0
	v_add_nc_u32_e32 v10, 16, v10
	s_delay_alu instid0(VALU_DEP_2) | instskip(SKIP_4) | instid1(VALU_DEP_2)
	v_cmp_lt_u32_e32 vcc_lo, 18, v8
	s_or_b32 s3, vcc_lo, s3
	s_wait_loadcnt_dscnt 0x0
	v_mul_f64_e32 v[12:13], v[22:23], v[18:19]
	v_mul_f64_e32 v[18:19], v[20:21], v[18:19]
	v_fma_f64 v[12:13], v[20:21], v[16:17], -v[12:13]
	s_delay_alu instid0(VALU_DEP_2) | instskip(NEXT) | instid1(VALU_DEP_2)
	v_fmac_f64_e32 v[18:19], v[22:23], v[16:17]
	v_add_f64_e32 v[4:5], v[4:5], v[12:13]
	s_delay_alu instid0(VALU_DEP_2)
	v_add_f64_e32 v[2:3], v[2:3], v[18:19]
	s_and_not1_b32 exec_lo, exec_lo, s3
	s_cbranch_execnz .LBB127_105
; %bb.106:
	s_or_b32 exec_lo, exec_lo, s3
	v_mov_b32_e32 v8, 0
	ds_load_b128 v[8:11], v8 offset:320
	s_wait_dscnt 0x0
	v_mul_f64_e32 v[16:17], v[2:3], v[10:11]
	v_mul_f64_e32 v[12:13], v[4:5], v[10:11]
	s_delay_alu instid0(VALU_DEP_2) | instskip(NEXT) | instid1(VALU_DEP_2)
	v_fma_f64 v[10:11], v[4:5], v[8:9], -v[16:17]
	v_fmac_f64_e32 v[12:13], v[2:3], v[8:9]
	scratch_store_b128 off, v[10:13], off offset:320
.LBB127_107:
	;; [unrolled: 54-line block ×44, first 2 shown]
	s_wait_xcnt 0x0
	s_or_b32 exec_lo, exec_lo, s2
	s_wait_storecnt 0x0
	s_barrier_signal -1
	s_barrier_wait -1
	scratch_load_b128 v[2:5], off, s15
	s_mov_b32 s2, exec_lo
	s_wait_loadcnt 0x0
	ds_store_b128 v6, v[2:5]
	s_wait_dscnt 0x0
	s_barrier_signal -1
	s_barrier_wait -1
	v_cmpx_ne_u32_e32 63, v1
	s_cbranch_execz .LBB127_279
; %bb.276:
	v_mov_b32_e32 v8, v14
	v_mov_b64_e32 v[2:3], 0
	v_mov_b64_e32 v[4:5], 0
	s_mov_b32 s3, 0
	s_delay_alu instid0(VALU_DEP_3)
	v_or_b32_e32 v8, 8, v8
.LBB127_277:                            ; =>This Inner Loop Header: Depth=1
	scratch_load_b128 v[10:13], v8, off offset:-8
	ds_load_b128 v[14:17], v6
	v_dual_add_nc_u32 v7, 1, v7 :: v_dual_add_nc_u32 v6, 16, v6
	s_wait_xcnt 0x0
	v_add_nc_u32_e32 v8, 16, v8
	s_delay_alu instid0(VALU_DEP_2) | instskip(SKIP_4) | instid1(VALU_DEP_2)
	v_cmp_lt_u32_e32 vcc_lo, 61, v7
	s_or_b32 s3, vcc_lo, s3
	s_wait_loadcnt_dscnt 0x0
	v_mul_f64_e32 v[18:19], v[16:17], v[12:13]
	v_mul_f64_e32 v[12:13], v[14:15], v[12:13]
	v_fma_f64 v[14:15], v[14:15], v[10:11], -v[18:19]
	s_delay_alu instid0(VALU_DEP_2) | instskip(NEXT) | instid1(VALU_DEP_2)
	v_fmac_f64_e32 v[12:13], v[16:17], v[10:11]
	v_add_f64_e32 v[4:5], v[4:5], v[14:15]
	s_delay_alu instid0(VALU_DEP_2)
	v_add_f64_e32 v[2:3], v[2:3], v[12:13]
	s_and_not1_b32 exec_lo, exec_lo, s3
	s_cbranch_execnz .LBB127_277
; %bb.278:
	s_or_b32 exec_lo, exec_lo, s3
	v_mov_b32_e32 v6, 0
	ds_load_b128 v[6:9], v6 offset:1008
	s_wait_dscnt 0x0
	v_mul_f64_e32 v[12:13], v[2:3], v[8:9]
	v_mul_f64_e32 v[10:11], v[4:5], v[8:9]
	s_delay_alu instid0(VALU_DEP_2) | instskip(NEXT) | instid1(VALU_DEP_2)
	v_fma_f64 v[8:9], v[4:5], v[6:7], -v[12:13]
	v_fmac_f64_e32 v[10:11], v[2:3], v[6:7]
	scratch_store_b128 off, v[8:11], off offset:1008
.LBB127_279:
	s_wait_xcnt 0x0
	s_or_b32 exec_lo, exec_lo, s2
	s_mov_b32 s3, -1
	s_wait_storecnt 0x0
	s_barrier_signal -1
	s_barrier_wait -1
.LBB127_280:
	s_and_b32 vcc_lo, exec_lo, s3
	s_cbranch_vccz .LBB127_282
; %bb.281:
	s_wait_xcnt 0x0
	v_mov_b32_e32 v2, 0
	s_lshl_b64 s[2:3], s[12:13], 2
	s_delay_alu instid0(SALU_CYCLE_1)
	s_add_nc_u64 s[2:3], s[6:7], s[2:3]
	global_load_b32 v2, v2, s[2:3]
	s_wait_loadcnt 0x0
	v_cmp_ne_u32_e32 vcc_lo, 0, v2
	s_cbranch_vccz .LBB127_283
.LBB127_282:
	s_sendmsg sendmsg(MSG_DEALLOC_VGPRS)
	s_endpgm
.LBB127_283:
	v_lshl_add_u32 v160, v1, 4, 0x400
	s_wait_xcnt 0x0
	s_mov_b32 s2, exec_lo
	v_cmpx_eq_u32_e32 63, v1
	s_cbranch_execz .LBB127_285
; %bb.284:
	scratch_load_b128 v[2:5], off, s17
	v_mov_b32_e32 v6, 0
	s_delay_alu instid0(VALU_DEP_1)
	v_dual_mov_b32 v7, v6 :: v_dual_mov_b32 v8, v6
	v_mov_b32_e32 v9, v6
	scratch_store_b128 off, v[6:9], off offset:992
	s_wait_loadcnt 0x0
	ds_store_b128 v160, v[2:5]
.LBB127_285:
	s_wait_xcnt 0x0
	s_or_b32 exec_lo, exec_lo, s2
	s_wait_storecnt_dscnt 0x0
	s_barrier_signal -1
	s_barrier_wait -1
	s_clause 0x1
	scratch_load_b128 v[4:7], off, off offset:1008
	scratch_load_b128 v[8:11], off, off offset:992
	v_mov_b32_e32 v2, 0
	s_mov_b32 s2, exec_lo
	ds_load_b128 v[12:15], v2 offset:2032
	s_wait_loadcnt_dscnt 0x100
	v_mul_f64_e32 v[16:17], v[14:15], v[6:7]
	v_mul_f64_e32 v[6:7], v[12:13], v[6:7]
	s_delay_alu instid0(VALU_DEP_2) | instskip(NEXT) | instid1(VALU_DEP_2)
	v_fma_f64 v[12:13], v[12:13], v[4:5], -v[16:17]
	v_fmac_f64_e32 v[6:7], v[14:15], v[4:5]
	s_delay_alu instid0(VALU_DEP_2) | instskip(NEXT) | instid1(VALU_DEP_2)
	v_add_f64_e32 v[4:5], 0, v[12:13]
	v_add_f64_e32 v[6:7], 0, v[6:7]
	s_wait_loadcnt 0x0
	s_delay_alu instid0(VALU_DEP_2) | instskip(NEXT) | instid1(VALU_DEP_2)
	v_add_f64_e64 v[4:5], v[8:9], -v[4:5]
	v_add_f64_e64 v[6:7], v[10:11], -v[6:7]
	scratch_store_b128 off, v[4:7], off offset:992
	s_wait_xcnt 0x0
	v_cmpx_lt_u32_e32 61, v1
	s_cbranch_execz .LBB127_287
; %bb.286:
	scratch_load_b128 v[6:9], off, s19
	v_dual_mov_b32 v3, v2 :: v_dual_mov_b32 v4, v2
	v_mov_b32_e32 v5, v2
	scratch_store_b128 off, v[2:5], off offset:976
	s_wait_loadcnt 0x0
	ds_store_b128 v160, v[6:9]
.LBB127_287:
	s_wait_xcnt 0x0
	s_or_b32 exec_lo, exec_lo, s2
	s_wait_storecnt_dscnt 0x0
	s_barrier_signal -1
	s_barrier_wait -1
	s_clause 0x2
	scratch_load_b128 v[4:7], off, off offset:992
	scratch_load_b128 v[8:11], off, off offset:1008
	;; [unrolled: 1-line block ×3, first 2 shown]
	ds_load_b128 v[16:19], v2 offset:2016
	ds_load_b128 v[20:23], v2 offset:2032
	s_mov_b32 s2, exec_lo
	s_wait_loadcnt_dscnt 0x201
	v_mul_f64_e32 v[2:3], v[18:19], v[6:7]
	v_mul_f64_e32 v[6:7], v[16:17], v[6:7]
	s_wait_loadcnt_dscnt 0x100
	v_mul_f64_e32 v[24:25], v[20:21], v[10:11]
	v_mul_f64_e32 v[10:11], v[22:23], v[10:11]
	s_delay_alu instid0(VALU_DEP_4) | instskip(NEXT) | instid1(VALU_DEP_4)
	v_fma_f64 v[2:3], v[16:17], v[4:5], -v[2:3]
	v_fmac_f64_e32 v[6:7], v[18:19], v[4:5]
	s_delay_alu instid0(VALU_DEP_4) | instskip(NEXT) | instid1(VALU_DEP_4)
	v_fmac_f64_e32 v[24:25], v[22:23], v[8:9]
	v_fma_f64 v[4:5], v[20:21], v[8:9], -v[10:11]
	s_delay_alu instid0(VALU_DEP_4) | instskip(NEXT) | instid1(VALU_DEP_4)
	v_add_f64_e32 v[2:3], 0, v[2:3]
	v_add_f64_e32 v[6:7], 0, v[6:7]
	s_delay_alu instid0(VALU_DEP_2) | instskip(NEXT) | instid1(VALU_DEP_2)
	v_add_f64_e32 v[2:3], v[2:3], v[4:5]
	v_add_f64_e32 v[4:5], v[6:7], v[24:25]
	s_wait_loadcnt 0x0
	s_delay_alu instid0(VALU_DEP_2) | instskip(NEXT) | instid1(VALU_DEP_2)
	v_add_f64_e64 v[2:3], v[12:13], -v[2:3]
	v_add_f64_e64 v[4:5], v[14:15], -v[4:5]
	scratch_store_b128 off, v[2:5], off offset:976
	s_wait_xcnt 0x0
	v_cmpx_lt_u32_e32 60, v1
	s_cbranch_execz .LBB127_289
; %bb.288:
	scratch_load_b128 v[2:5], off, s21
	v_mov_b32_e32 v6, 0
	s_delay_alu instid0(VALU_DEP_1)
	v_dual_mov_b32 v7, v6 :: v_dual_mov_b32 v8, v6
	v_mov_b32_e32 v9, v6
	scratch_store_b128 off, v[6:9], off offset:960
	s_wait_loadcnt 0x0
	ds_store_b128 v160, v[2:5]
.LBB127_289:
	s_wait_xcnt 0x0
	s_or_b32 exec_lo, exec_lo, s2
	s_wait_storecnt_dscnt 0x0
	s_barrier_signal -1
	s_barrier_wait -1
	s_clause 0x3
	scratch_load_b128 v[4:7], off, off offset:976
	scratch_load_b128 v[8:11], off, off offset:992
	;; [unrolled: 1-line block ×4, first 2 shown]
	v_mov_b32_e32 v2, 0
	ds_load_b128 v[20:23], v2 offset:2000
	ds_load_b128 v[24:27], v2 offset:2016
	s_mov_b32 s2, exec_lo
	s_wait_loadcnt_dscnt 0x301
	v_mul_f64_e32 v[28:29], v[22:23], v[6:7]
	v_mul_f64_e32 v[30:31], v[20:21], v[6:7]
	s_wait_loadcnt_dscnt 0x200
	v_mul_f64_e32 v[162:163], v[24:25], v[10:11]
	v_mul_f64_e32 v[10:11], v[26:27], v[10:11]
	s_delay_alu instid0(VALU_DEP_4) | instskip(NEXT) | instid1(VALU_DEP_4)
	v_fma_f64 v[20:21], v[20:21], v[4:5], -v[28:29]
	v_fmac_f64_e32 v[30:31], v[22:23], v[4:5]
	ds_load_b128 v[4:7], v2 offset:2032
	v_fmac_f64_e32 v[162:163], v[26:27], v[8:9]
	v_fma_f64 v[8:9], v[24:25], v[8:9], -v[10:11]
	s_wait_loadcnt_dscnt 0x100
	v_mul_f64_e32 v[22:23], v[4:5], v[14:15]
	v_mul_f64_e32 v[14:15], v[6:7], v[14:15]
	v_add_f64_e32 v[10:11], 0, v[20:21]
	v_add_f64_e32 v[20:21], 0, v[30:31]
	s_delay_alu instid0(VALU_DEP_4) | instskip(NEXT) | instid1(VALU_DEP_4)
	v_fmac_f64_e32 v[22:23], v[6:7], v[12:13]
	v_fma_f64 v[4:5], v[4:5], v[12:13], -v[14:15]
	s_delay_alu instid0(VALU_DEP_4) | instskip(NEXT) | instid1(VALU_DEP_4)
	v_add_f64_e32 v[6:7], v[10:11], v[8:9]
	v_add_f64_e32 v[8:9], v[20:21], v[162:163]
	s_delay_alu instid0(VALU_DEP_2) | instskip(NEXT) | instid1(VALU_DEP_2)
	v_add_f64_e32 v[4:5], v[6:7], v[4:5]
	v_add_f64_e32 v[6:7], v[8:9], v[22:23]
	s_wait_loadcnt 0x0
	s_delay_alu instid0(VALU_DEP_2) | instskip(NEXT) | instid1(VALU_DEP_2)
	v_add_f64_e64 v[4:5], v[16:17], -v[4:5]
	v_add_f64_e64 v[6:7], v[18:19], -v[6:7]
	scratch_store_b128 off, v[4:7], off offset:960
	s_wait_xcnt 0x0
	v_cmpx_lt_u32_e32 59, v1
	s_cbranch_execz .LBB127_291
; %bb.290:
	scratch_load_b128 v[6:9], off, s22
	v_dual_mov_b32 v3, v2 :: v_dual_mov_b32 v4, v2
	v_mov_b32_e32 v5, v2
	scratch_store_b128 off, v[2:5], off offset:944
	s_wait_loadcnt 0x0
	ds_store_b128 v160, v[6:9]
.LBB127_291:
	s_wait_xcnt 0x0
	s_or_b32 exec_lo, exec_lo, s2
	s_wait_storecnt_dscnt 0x0
	s_barrier_signal -1
	s_barrier_wait -1
	s_clause 0x4
	scratch_load_b128 v[4:7], off, off offset:960
	scratch_load_b128 v[8:11], off, off offset:976
	;; [unrolled: 1-line block ×5, first 2 shown]
	ds_load_b128 v[24:27], v2 offset:1984
	ds_load_b128 v[28:31], v2 offset:2000
	s_mov_b32 s2, exec_lo
	s_wait_loadcnt_dscnt 0x401
	v_mul_f64_e32 v[162:163], v[26:27], v[6:7]
	v_mul_f64_e32 v[164:165], v[24:25], v[6:7]
	s_wait_loadcnt_dscnt 0x300
	v_mul_f64_e32 v[166:167], v[28:29], v[10:11]
	v_mul_f64_e32 v[10:11], v[30:31], v[10:11]
	s_delay_alu instid0(VALU_DEP_4) | instskip(NEXT) | instid1(VALU_DEP_4)
	v_fma_f64 v[162:163], v[24:25], v[4:5], -v[162:163]
	v_fmac_f64_e32 v[164:165], v[26:27], v[4:5]
	ds_load_b128 v[4:7], v2 offset:2016
	ds_load_b128 v[24:27], v2 offset:2032
	v_fmac_f64_e32 v[166:167], v[30:31], v[8:9]
	v_fma_f64 v[8:9], v[28:29], v[8:9], -v[10:11]
	s_wait_loadcnt_dscnt 0x201
	v_mul_f64_e32 v[2:3], v[4:5], v[14:15]
	v_mul_f64_e32 v[14:15], v[6:7], v[14:15]
	s_wait_loadcnt_dscnt 0x100
	v_mul_f64_e32 v[30:31], v[24:25], v[18:19]
	v_mul_f64_e32 v[18:19], v[26:27], v[18:19]
	v_add_f64_e32 v[10:11], 0, v[162:163]
	v_add_f64_e32 v[28:29], 0, v[164:165]
	v_fmac_f64_e32 v[2:3], v[6:7], v[12:13]
	v_fma_f64 v[4:5], v[4:5], v[12:13], -v[14:15]
	v_fmac_f64_e32 v[30:31], v[26:27], v[16:17]
	v_add_f64_e32 v[6:7], v[10:11], v[8:9]
	v_add_f64_e32 v[8:9], v[28:29], v[166:167]
	v_fma_f64 v[10:11], v[24:25], v[16:17], -v[18:19]
	s_delay_alu instid0(VALU_DEP_3) | instskip(NEXT) | instid1(VALU_DEP_3)
	v_add_f64_e32 v[4:5], v[6:7], v[4:5]
	v_add_f64_e32 v[2:3], v[8:9], v[2:3]
	s_delay_alu instid0(VALU_DEP_2) | instskip(NEXT) | instid1(VALU_DEP_2)
	v_add_f64_e32 v[4:5], v[4:5], v[10:11]
	v_add_f64_e32 v[6:7], v[2:3], v[30:31]
	s_wait_loadcnt 0x0
	s_delay_alu instid0(VALU_DEP_2) | instskip(NEXT) | instid1(VALU_DEP_2)
	v_add_f64_e64 v[2:3], v[20:21], -v[4:5]
	v_add_f64_e64 v[4:5], v[22:23], -v[6:7]
	scratch_store_b128 off, v[2:5], off offset:944
	s_wait_xcnt 0x0
	v_cmpx_lt_u32_e32 58, v1
	s_cbranch_execz .LBB127_293
; %bb.292:
	scratch_load_b128 v[2:5], off, s23
	v_mov_b32_e32 v6, 0
	s_delay_alu instid0(VALU_DEP_1)
	v_dual_mov_b32 v7, v6 :: v_dual_mov_b32 v8, v6
	v_mov_b32_e32 v9, v6
	scratch_store_b128 off, v[6:9], off offset:928
	s_wait_loadcnt 0x0
	ds_store_b128 v160, v[2:5]
.LBB127_293:
	s_wait_xcnt 0x0
	s_or_b32 exec_lo, exec_lo, s2
	s_wait_storecnt_dscnt 0x0
	s_barrier_signal -1
	s_barrier_wait -1
	s_clause 0x5
	scratch_load_b128 v[4:7], off, off offset:944
	scratch_load_b128 v[8:11], off, off offset:960
	;; [unrolled: 1-line block ×6, first 2 shown]
	v_mov_b32_e32 v2, 0
	ds_load_b128 v[28:31], v2 offset:1968
	ds_load_b128 v[162:165], v2 offset:1984
	s_mov_b32 s2, exec_lo
	s_wait_loadcnt_dscnt 0x501
	v_mul_f64_e32 v[166:167], v[30:31], v[6:7]
	v_mul_f64_e32 v[168:169], v[28:29], v[6:7]
	s_wait_loadcnt_dscnt 0x400
	v_mul_f64_e32 v[170:171], v[162:163], v[10:11]
	v_mul_f64_e32 v[10:11], v[164:165], v[10:11]
	s_delay_alu instid0(VALU_DEP_4) | instskip(NEXT) | instid1(VALU_DEP_4)
	v_fma_f64 v[166:167], v[28:29], v[4:5], -v[166:167]
	v_fmac_f64_e32 v[168:169], v[30:31], v[4:5]
	ds_load_b128 v[4:7], v2 offset:2000
	ds_load_b128 v[28:31], v2 offset:2016
	v_fmac_f64_e32 v[170:171], v[164:165], v[8:9]
	v_fma_f64 v[8:9], v[162:163], v[8:9], -v[10:11]
	s_wait_loadcnt_dscnt 0x301
	v_mul_f64_e32 v[172:173], v[4:5], v[14:15]
	v_mul_f64_e32 v[14:15], v[6:7], v[14:15]
	s_wait_loadcnt_dscnt 0x200
	v_mul_f64_e32 v[164:165], v[28:29], v[18:19]
	v_mul_f64_e32 v[18:19], v[30:31], v[18:19]
	v_add_f64_e32 v[10:11], 0, v[166:167]
	v_add_f64_e32 v[162:163], 0, v[168:169]
	v_fmac_f64_e32 v[172:173], v[6:7], v[12:13]
	v_fma_f64 v[12:13], v[4:5], v[12:13], -v[14:15]
	ds_load_b128 v[4:7], v2 offset:2032
	v_fmac_f64_e32 v[164:165], v[30:31], v[16:17]
	v_fma_f64 v[16:17], v[28:29], v[16:17], -v[18:19]
	v_add_f64_e32 v[8:9], v[10:11], v[8:9]
	v_add_f64_e32 v[10:11], v[162:163], v[170:171]
	s_wait_loadcnt_dscnt 0x100
	v_mul_f64_e32 v[14:15], v[4:5], v[22:23]
	v_mul_f64_e32 v[22:23], v[6:7], v[22:23]
	s_delay_alu instid0(VALU_DEP_4) | instskip(NEXT) | instid1(VALU_DEP_4)
	v_add_f64_e32 v[8:9], v[8:9], v[12:13]
	v_add_f64_e32 v[10:11], v[10:11], v[172:173]
	s_delay_alu instid0(VALU_DEP_4) | instskip(NEXT) | instid1(VALU_DEP_4)
	v_fmac_f64_e32 v[14:15], v[6:7], v[20:21]
	v_fma_f64 v[4:5], v[4:5], v[20:21], -v[22:23]
	s_delay_alu instid0(VALU_DEP_4) | instskip(NEXT) | instid1(VALU_DEP_4)
	v_add_f64_e32 v[6:7], v[8:9], v[16:17]
	v_add_f64_e32 v[8:9], v[10:11], v[164:165]
	s_delay_alu instid0(VALU_DEP_2) | instskip(NEXT) | instid1(VALU_DEP_2)
	v_add_f64_e32 v[4:5], v[6:7], v[4:5]
	v_add_f64_e32 v[6:7], v[8:9], v[14:15]
	s_wait_loadcnt 0x0
	s_delay_alu instid0(VALU_DEP_2) | instskip(NEXT) | instid1(VALU_DEP_2)
	v_add_f64_e64 v[4:5], v[24:25], -v[4:5]
	v_add_f64_e64 v[6:7], v[26:27], -v[6:7]
	scratch_store_b128 off, v[4:7], off offset:928
	s_wait_xcnt 0x0
	v_cmpx_lt_u32_e32 57, v1
	s_cbranch_execz .LBB127_295
; %bb.294:
	scratch_load_b128 v[6:9], off, s24
	v_dual_mov_b32 v3, v2 :: v_dual_mov_b32 v4, v2
	v_mov_b32_e32 v5, v2
	scratch_store_b128 off, v[2:5], off offset:912
	s_wait_loadcnt 0x0
	ds_store_b128 v160, v[6:9]
.LBB127_295:
	s_wait_xcnt 0x0
	s_or_b32 exec_lo, exec_lo, s2
	s_wait_storecnt_dscnt 0x0
	s_barrier_signal -1
	s_barrier_wait -1
	s_clause 0x6
	scratch_load_b128 v[4:7], off, off offset:928
	scratch_load_b128 v[8:11], off, off offset:944
	scratch_load_b128 v[12:15], off, off offset:960
	scratch_load_b128 v[16:19], off, off offset:976
	scratch_load_b128 v[20:23], off, off offset:992
	scratch_load_b128 v[24:27], off, off offset:1008
	scratch_load_b128 v[28:31], off, off offset:912
	ds_load_b128 v[162:165], v2 offset:1952
	ds_load_b128 v[166:169], v2 offset:1968
	s_mov_b32 s2, exec_lo
	s_wait_loadcnt_dscnt 0x601
	v_mul_f64_e32 v[170:171], v[164:165], v[6:7]
	v_mul_f64_e32 v[172:173], v[162:163], v[6:7]
	s_wait_loadcnt_dscnt 0x500
	v_mul_f64_e32 v[174:175], v[166:167], v[10:11]
	v_mul_f64_e32 v[10:11], v[168:169], v[10:11]
	s_delay_alu instid0(VALU_DEP_4) | instskip(NEXT) | instid1(VALU_DEP_4)
	v_fma_f64 v[170:171], v[162:163], v[4:5], -v[170:171]
	v_fmac_f64_e32 v[172:173], v[164:165], v[4:5]
	ds_load_b128 v[4:7], v2 offset:1984
	ds_load_b128 v[162:165], v2 offset:2000
	v_fmac_f64_e32 v[174:175], v[168:169], v[8:9]
	v_fma_f64 v[8:9], v[166:167], v[8:9], -v[10:11]
	s_wait_loadcnt_dscnt 0x401
	v_mul_f64_e32 v[176:177], v[4:5], v[14:15]
	v_mul_f64_e32 v[14:15], v[6:7], v[14:15]
	s_wait_loadcnt_dscnt 0x300
	v_mul_f64_e32 v[168:169], v[162:163], v[18:19]
	v_mul_f64_e32 v[18:19], v[164:165], v[18:19]
	v_add_f64_e32 v[10:11], 0, v[170:171]
	v_add_f64_e32 v[166:167], 0, v[172:173]
	v_fmac_f64_e32 v[176:177], v[6:7], v[12:13]
	v_fma_f64 v[12:13], v[4:5], v[12:13], -v[14:15]
	v_fmac_f64_e32 v[168:169], v[164:165], v[16:17]
	v_fma_f64 v[16:17], v[162:163], v[16:17], -v[18:19]
	v_add_f64_e32 v[14:15], v[10:11], v[8:9]
	v_add_f64_e32 v[166:167], v[166:167], v[174:175]
	ds_load_b128 v[4:7], v2 offset:2016
	ds_load_b128 v[8:11], v2 offset:2032
	s_wait_loadcnt_dscnt 0x201
	v_mul_f64_e32 v[2:3], v[4:5], v[22:23]
	v_mul_f64_e32 v[22:23], v[6:7], v[22:23]
	s_wait_loadcnt_dscnt 0x100
	v_mul_f64_e32 v[18:19], v[8:9], v[26:27]
	v_mul_f64_e32 v[26:27], v[10:11], v[26:27]
	v_add_f64_e32 v[12:13], v[14:15], v[12:13]
	v_add_f64_e32 v[14:15], v[166:167], v[176:177]
	v_fmac_f64_e32 v[2:3], v[6:7], v[20:21]
	v_fma_f64 v[4:5], v[4:5], v[20:21], -v[22:23]
	v_fmac_f64_e32 v[18:19], v[10:11], v[24:25]
	v_fma_f64 v[8:9], v[8:9], v[24:25], -v[26:27]
	v_add_f64_e32 v[6:7], v[12:13], v[16:17]
	v_add_f64_e32 v[12:13], v[14:15], v[168:169]
	s_delay_alu instid0(VALU_DEP_2) | instskip(NEXT) | instid1(VALU_DEP_2)
	v_add_f64_e32 v[4:5], v[6:7], v[4:5]
	v_add_f64_e32 v[2:3], v[12:13], v[2:3]
	s_delay_alu instid0(VALU_DEP_2) | instskip(NEXT) | instid1(VALU_DEP_2)
	v_add_f64_e32 v[4:5], v[4:5], v[8:9]
	v_add_f64_e32 v[6:7], v[2:3], v[18:19]
	s_wait_loadcnt 0x0
	s_delay_alu instid0(VALU_DEP_2) | instskip(NEXT) | instid1(VALU_DEP_2)
	v_add_f64_e64 v[2:3], v[28:29], -v[4:5]
	v_add_f64_e64 v[4:5], v[30:31], -v[6:7]
	scratch_store_b128 off, v[2:5], off offset:912
	s_wait_xcnt 0x0
	v_cmpx_lt_u32_e32 56, v1
	s_cbranch_execz .LBB127_297
; %bb.296:
	scratch_load_b128 v[2:5], off, s25
	v_mov_b32_e32 v6, 0
	s_delay_alu instid0(VALU_DEP_1)
	v_dual_mov_b32 v7, v6 :: v_dual_mov_b32 v8, v6
	v_mov_b32_e32 v9, v6
	scratch_store_b128 off, v[6:9], off offset:896
	s_wait_loadcnt 0x0
	ds_store_b128 v160, v[2:5]
.LBB127_297:
	s_wait_xcnt 0x0
	s_or_b32 exec_lo, exec_lo, s2
	s_wait_storecnt_dscnt 0x0
	s_barrier_signal -1
	s_barrier_wait -1
	s_clause 0x7
	scratch_load_b128 v[4:7], off, off offset:912
	scratch_load_b128 v[8:11], off, off offset:928
	;; [unrolled: 1-line block ×8, first 2 shown]
	v_mov_b32_e32 v2, 0
	ds_load_b128 v[166:169], v2 offset:1936
	ds_load_b128 v[170:173], v2 offset:1952
	s_mov_b32 s2, exec_lo
	s_wait_loadcnt_dscnt 0x701
	v_mul_f64_e32 v[174:175], v[168:169], v[6:7]
	v_mul_f64_e32 v[176:177], v[166:167], v[6:7]
	s_wait_loadcnt_dscnt 0x600
	v_mul_f64_e32 v[178:179], v[170:171], v[10:11]
	v_mul_f64_e32 v[10:11], v[172:173], v[10:11]
	s_delay_alu instid0(VALU_DEP_4) | instskip(NEXT) | instid1(VALU_DEP_4)
	v_fma_f64 v[174:175], v[166:167], v[4:5], -v[174:175]
	v_fmac_f64_e32 v[176:177], v[168:169], v[4:5]
	ds_load_b128 v[4:7], v2 offset:1968
	ds_load_b128 v[166:169], v2 offset:1984
	v_fmac_f64_e32 v[178:179], v[172:173], v[8:9]
	v_fma_f64 v[8:9], v[170:171], v[8:9], -v[10:11]
	s_wait_loadcnt_dscnt 0x501
	v_mul_f64_e32 v[180:181], v[4:5], v[14:15]
	v_mul_f64_e32 v[14:15], v[6:7], v[14:15]
	s_wait_loadcnt_dscnt 0x400
	v_mul_f64_e32 v[172:173], v[166:167], v[18:19]
	v_mul_f64_e32 v[18:19], v[168:169], v[18:19]
	v_add_f64_e32 v[10:11], 0, v[174:175]
	v_add_f64_e32 v[170:171], 0, v[176:177]
	v_fmac_f64_e32 v[180:181], v[6:7], v[12:13]
	v_fma_f64 v[12:13], v[4:5], v[12:13], -v[14:15]
	v_fmac_f64_e32 v[172:173], v[168:169], v[16:17]
	v_fma_f64 v[16:17], v[166:167], v[16:17], -v[18:19]
	v_add_f64_e32 v[14:15], v[10:11], v[8:9]
	v_add_f64_e32 v[170:171], v[170:171], v[178:179]
	ds_load_b128 v[4:7], v2 offset:2000
	ds_load_b128 v[8:11], v2 offset:2016
	s_wait_loadcnt_dscnt 0x301
	v_mul_f64_e32 v[174:175], v[4:5], v[22:23]
	v_mul_f64_e32 v[22:23], v[6:7], v[22:23]
	s_wait_loadcnt_dscnt 0x200
	v_mul_f64_e32 v[18:19], v[8:9], v[26:27]
	v_mul_f64_e32 v[26:27], v[10:11], v[26:27]
	v_add_f64_e32 v[12:13], v[14:15], v[12:13]
	v_add_f64_e32 v[14:15], v[170:171], v[180:181]
	v_fmac_f64_e32 v[174:175], v[6:7], v[20:21]
	v_fma_f64 v[20:21], v[4:5], v[20:21], -v[22:23]
	ds_load_b128 v[4:7], v2 offset:2032
	v_fmac_f64_e32 v[18:19], v[10:11], v[24:25]
	v_fma_f64 v[8:9], v[8:9], v[24:25], -v[26:27]
	v_add_f64_e32 v[12:13], v[12:13], v[16:17]
	v_add_f64_e32 v[14:15], v[14:15], v[172:173]
	s_wait_loadcnt_dscnt 0x100
	v_mul_f64_e32 v[16:17], v[4:5], v[30:31]
	v_mul_f64_e32 v[22:23], v[6:7], v[30:31]
	s_delay_alu instid0(VALU_DEP_4) | instskip(NEXT) | instid1(VALU_DEP_4)
	v_add_f64_e32 v[10:11], v[12:13], v[20:21]
	v_add_f64_e32 v[12:13], v[14:15], v[174:175]
	s_delay_alu instid0(VALU_DEP_4) | instskip(NEXT) | instid1(VALU_DEP_4)
	v_fmac_f64_e32 v[16:17], v[6:7], v[28:29]
	v_fma_f64 v[4:5], v[4:5], v[28:29], -v[22:23]
	s_delay_alu instid0(VALU_DEP_4) | instskip(NEXT) | instid1(VALU_DEP_4)
	v_add_f64_e32 v[6:7], v[10:11], v[8:9]
	v_add_f64_e32 v[8:9], v[12:13], v[18:19]
	s_delay_alu instid0(VALU_DEP_2) | instskip(NEXT) | instid1(VALU_DEP_2)
	v_add_f64_e32 v[4:5], v[6:7], v[4:5]
	v_add_f64_e32 v[6:7], v[8:9], v[16:17]
	s_wait_loadcnt 0x0
	s_delay_alu instid0(VALU_DEP_2) | instskip(NEXT) | instid1(VALU_DEP_2)
	v_add_f64_e64 v[4:5], v[162:163], -v[4:5]
	v_add_f64_e64 v[6:7], v[164:165], -v[6:7]
	scratch_store_b128 off, v[4:7], off offset:896
	s_wait_xcnt 0x0
	v_cmpx_lt_u32_e32 55, v1
	s_cbranch_execz .LBB127_299
; %bb.298:
	scratch_load_b128 v[6:9], off, s26
	v_dual_mov_b32 v3, v2 :: v_dual_mov_b32 v4, v2
	v_mov_b32_e32 v5, v2
	scratch_store_b128 off, v[2:5], off offset:880
	s_wait_loadcnt 0x0
	ds_store_b128 v160, v[6:9]
.LBB127_299:
	s_wait_xcnt 0x0
	s_or_b32 exec_lo, exec_lo, s2
	s_wait_storecnt_dscnt 0x0
	s_barrier_signal -1
	s_barrier_wait -1
	s_clause 0x7
	scratch_load_b128 v[4:7], off, off offset:896
	scratch_load_b128 v[8:11], off, off offset:912
	;; [unrolled: 1-line block ×8, first 2 shown]
	ds_load_b128 v[166:169], v2 offset:1920
	ds_load_b128 v[170:173], v2 offset:1936
	scratch_load_b128 v[174:177], off, off offset:880
	s_mov_b32 s2, exec_lo
	s_wait_loadcnt_dscnt 0x801
	v_mul_f64_e32 v[178:179], v[168:169], v[6:7]
	v_mul_f64_e32 v[180:181], v[166:167], v[6:7]
	s_wait_loadcnt_dscnt 0x700
	v_mul_f64_e32 v[182:183], v[170:171], v[10:11]
	v_mul_f64_e32 v[10:11], v[172:173], v[10:11]
	s_delay_alu instid0(VALU_DEP_4) | instskip(NEXT) | instid1(VALU_DEP_4)
	v_fma_f64 v[178:179], v[166:167], v[4:5], -v[178:179]
	v_fmac_f64_e32 v[180:181], v[168:169], v[4:5]
	ds_load_b128 v[4:7], v2 offset:1952
	ds_load_b128 v[166:169], v2 offset:1968
	v_fmac_f64_e32 v[182:183], v[172:173], v[8:9]
	v_fma_f64 v[8:9], v[170:171], v[8:9], -v[10:11]
	s_wait_loadcnt_dscnt 0x601
	v_mul_f64_e32 v[184:185], v[4:5], v[14:15]
	v_mul_f64_e32 v[14:15], v[6:7], v[14:15]
	s_wait_loadcnt_dscnt 0x500
	v_mul_f64_e32 v[172:173], v[166:167], v[18:19]
	v_mul_f64_e32 v[18:19], v[168:169], v[18:19]
	v_add_f64_e32 v[10:11], 0, v[178:179]
	v_add_f64_e32 v[170:171], 0, v[180:181]
	v_fmac_f64_e32 v[184:185], v[6:7], v[12:13]
	v_fma_f64 v[12:13], v[4:5], v[12:13], -v[14:15]
	v_fmac_f64_e32 v[172:173], v[168:169], v[16:17]
	v_fma_f64 v[16:17], v[166:167], v[16:17], -v[18:19]
	v_add_f64_e32 v[14:15], v[10:11], v[8:9]
	v_add_f64_e32 v[170:171], v[170:171], v[182:183]
	ds_load_b128 v[4:7], v2 offset:1984
	ds_load_b128 v[8:11], v2 offset:2000
	s_wait_loadcnt_dscnt 0x401
	v_mul_f64_e32 v[178:179], v[4:5], v[22:23]
	v_mul_f64_e32 v[22:23], v[6:7], v[22:23]
	s_wait_loadcnt_dscnt 0x300
	v_mul_f64_e32 v[18:19], v[8:9], v[26:27]
	v_mul_f64_e32 v[26:27], v[10:11], v[26:27]
	v_add_f64_e32 v[12:13], v[14:15], v[12:13]
	v_add_f64_e32 v[14:15], v[170:171], v[184:185]
	v_fmac_f64_e32 v[178:179], v[6:7], v[20:21]
	v_fma_f64 v[20:21], v[4:5], v[20:21], -v[22:23]
	v_fmac_f64_e32 v[18:19], v[10:11], v[24:25]
	v_fma_f64 v[8:9], v[8:9], v[24:25], -v[26:27]
	v_add_f64_e32 v[16:17], v[12:13], v[16:17]
	v_add_f64_e32 v[22:23], v[14:15], v[172:173]
	ds_load_b128 v[4:7], v2 offset:2016
	ds_load_b128 v[12:15], v2 offset:2032
	s_wait_loadcnt_dscnt 0x201
	v_mul_f64_e32 v[2:3], v[4:5], v[30:31]
	v_mul_f64_e32 v[30:31], v[6:7], v[30:31]
	v_add_f64_e32 v[10:11], v[16:17], v[20:21]
	v_add_f64_e32 v[16:17], v[22:23], v[178:179]
	s_wait_loadcnt_dscnt 0x100
	v_mul_f64_e32 v[20:21], v[12:13], v[164:165]
	v_mul_f64_e32 v[22:23], v[14:15], v[164:165]
	v_fmac_f64_e32 v[2:3], v[6:7], v[28:29]
	v_fma_f64 v[4:5], v[4:5], v[28:29], -v[30:31]
	v_add_f64_e32 v[6:7], v[10:11], v[8:9]
	v_add_f64_e32 v[8:9], v[16:17], v[18:19]
	v_fmac_f64_e32 v[20:21], v[14:15], v[162:163]
	v_fma_f64 v[10:11], v[12:13], v[162:163], -v[22:23]
	s_delay_alu instid0(VALU_DEP_4) | instskip(NEXT) | instid1(VALU_DEP_4)
	v_add_f64_e32 v[4:5], v[6:7], v[4:5]
	v_add_f64_e32 v[2:3], v[8:9], v[2:3]
	s_delay_alu instid0(VALU_DEP_2) | instskip(NEXT) | instid1(VALU_DEP_2)
	v_add_f64_e32 v[4:5], v[4:5], v[10:11]
	v_add_f64_e32 v[6:7], v[2:3], v[20:21]
	s_wait_loadcnt 0x0
	s_delay_alu instid0(VALU_DEP_2) | instskip(NEXT) | instid1(VALU_DEP_2)
	v_add_f64_e64 v[2:3], v[174:175], -v[4:5]
	v_add_f64_e64 v[4:5], v[176:177], -v[6:7]
	scratch_store_b128 off, v[2:5], off offset:880
	s_wait_xcnt 0x0
	v_cmpx_lt_u32_e32 54, v1
	s_cbranch_execz .LBB127_301
; %bb.300:
	scratch_load_b128 v[2:5], off, s27
	v_mov_b32_e32 v6, 0
	s_delay_alu instid0(VALU_DEP_1)
	v_dual_mov_b32 v7, v6 :: v_dual_mov_b32 v8, v6
	v_mov_b32_e32 v9, v6
	scratch_store_b128 off, v[6:9], off offset:864
	s_wait_loadcnt 0x0
	ds_store_b128 v160, v[2:5]
.LBB127_301:
	s_wait_xcnt 0x0
	s_or_b32 exec_lo, exec_lo, s2
	s_wait_storecnt_dscnt 0x0
	s_barrier_signal -1
	s_barrier_wait -1
	s_clause 0x8
	scratch_load_b128 v[4:7], off, off offset:880
	scratch_load_b128 v[8:11], off, off offset:896
	;; [unrolled: 1-line block ×9, first 2 shown]
	v_mov_b32_e32 v2, 0
	scratch_load_b128 v[174:177], off, off offset:864
	s_mov_b32 s2, exec_lo
	ds_load_b128 v[170:173], v2 offset:1904
	ds_load_b128 v[178:181], v2 offset:1920
	s_wait_loadcnt_dscnt 0x901
	v_mul_f64_e32 v[182:183], v[172:173], v[6:7]
	v_mul_f64_e32 v[184:185], v[170:171], v[6:7]
	s_wait_loadcnt_dscnt 0x800
	v_mul_f64_e32 v[186:187], v[178:179], v[10:11]
	v_mul_f64_e32 v[10:11], v[180:181], v[10:11]
	s_delay_alu instid0(VALU_DEP_4) | instskip(NEXT) | instid1(VALU_DEP_4)
	v_fma_f64 v[182:183], v[170:171], v[4:5], -v[182:183]
	v_fmac_f64_e32 v[184:185], v[172:173], v[4:5]
	ds_load_b128 v[4:7], v2 offset:1936
	ds_load_b128 v[170:173], v2 offset:1952
	v_fmac_f64_e32 v[186:187], v[180:181], v[8:9]
	v_fma_f64 v[8:9], v[178:179], v[8:9], -v[10:11]
	s_wait_loadcnt_dscnt 0x701
	v_mul_f64_e32 v[188:189], v[4:5], v[14:15]
	v_mul_f64_e32 v[14:15], v[6:7], v[14:15]
	s_wait_loadcnt_dscnt 0x600
	v_mul_f64_e32 v[180:181], v[170:171], v[18:19]
	v_mul_f64_e32 v[18:19], v[172:173], v[18:19]
	v_add_f64_e32 v[10:11], 0, v[182:183]
	v_add_f64_e32 v[178:179], 0, v[184:185]
	v_fmac_f64_e32 v[188:189], v[6:7], v[12:13]
	v_fma_f64 v[12:13], v[4:5], v[12:13], -v[14:15]
	v_fmac_f64_e32 v[180:181], v[172:173], v[16:17]
	v_fma_f64 v[16:17], v[170:171], v[16:17], -v[18:19]
	v_add_f64_e32 v[14:15], v[10:11], v[8:9]
	v_add_f64_e32 v[178:179], v[178:179], v[186:187]
	ds_load_b128 v[4:7], v2 offset:1968
	ds_load_b128 v[8:11], v2 offset:1984
	s_wait_loadcnt_dscnt 0x501
	v_mul_f64_e32 v[182:183], v[4:5], v[22:23]
	v_mul_f64_e32 v[22:23], v[6:7], v[22:23]
	s_wait_loadcnt_dscnt 0x400
	v_mul_f64_e32 v[18:19], v[8:9], v[26:27]
	v_mul_f64_e32 v[26:27], v[10:11], v[26:27]
	v_add_f64_e32 v[12:13], v[14:15], v[12:13]
	v_add_f64_e32 v[14:15], v[178:179], v[188:189]
	v_fmac_f64_e32 v[182:183], v[6:7], v[20:21]
	v_fma_f64 v[20:21], v[4:5], v[20:21], -v[22:23]
	v_fmac_f64_e32 v[18:19], v[10:11], v[24:25]
	v_fma_f64 v[8:9], v[8:9], v[24:25], -v[26:27]
	v_add_f64_e32 v[16:17], v[12:13], v[16:17]
	v_add_f64_e32 v[22:23], v[14:15], v[180:181]
	ds_load_b128 v[4:7], v2 offset:2000
	ds_load_b128 v[12:15], v2 offset:2016
	s_wait_loadcnt_dscnt 0x301
	v_mul_f64_e32 v[170:171], v[4:5], v[30:31]
	v_mul_f64_e32 v[30:31], v[6:7], v[30:31]
	v_add_f64_e32 v[10:11], v[16:17], v[20:21]
	v_add_f64_e32 v[16:17], v[22:23], v[182:183]
	s_wait_loadcnt_dscnt 0x200
	v_mul_f64_e32 v[20:21], v[12:13], v[164:165]
	v_mul_f64_e32 v[22:23], v[14:15], v[164:165]
	v_fmac_f64_e32 v[170:171], v[6:7], v[28:29]
	v_fma_f64 v[24:25], v[4:5], v[28:29], -v[30:31]
	ds_load_b128 v[4:7], v2 offset:2032
	v_add_f64_e32 v[8:9], v[10:11], v[8:9]
	v_add_f64_e32 v[10:11], v[16:17], v[18:19]
	v_fmac_f64_e32 v[20:21], v[14:15], v[162:163]
	v_fma_f64 v[12:13], v[12:13], v[162:163], -v[22:23]
	s_wait_loadcnt_dscnt 0x100
	v_mul_f64_e32 v[16:17], v[4:5], v[168:169]
	v_mul_f64_e32 v[18:19], v[6:7], v[168:169]
	v_add_f64_e32 v[8:9], v[8:9], v[24:25]
	v_add_f64_e32 v[10:11], v[10:11], v[170:171]
	s_delay_alu instid0(VALU_DEP_4) | instskip(NEXT) | instid1(VALU_DEP_4)
	v_fmac_f64_e32 v[16:17], v[6:7], v[166:167]
	v_fma_f64 v[4:5], v[4:5], v[166:167], -v[18:19]
	s_delay_alu instid0(VALU_DEP_4) | instskip(NEXT) | instid1(VALU_DEP_4)
	v_add_f64_e32 v[6:7], v[8:9], v[12:13]
	v_add_f64_e32 v[8:9], v[10:11], v[20:21]
	s_delay_alu instid0(VALU_DEP_2) | instskip(NEXT) | instid1(VALU_DEP_2)
	v_add_f64_e32 v[4:5], v[6:7], v[4:5]
	v_add_f64_e32 v[6:7], v[8:9], v[16:17]
	s_wait_loadcnt 0x0
	s_delay_alu instid0(VALU_DEP_2) | instskip(NEXT) | instid1(VALU_DEP_2)
	v_add_f64_e64 v[4:5], v[174:175], -v[4:5]
	v_add_f64_e64 v[6:7], v[176:177], -v[6:7]
	scratch_store_b128 off, v[4:7], off offset:864
	s_wait_xcnt 0x0
	v_cmpx_lt_u32_e32 53, v1
	s_cbranch_execz .LBB127_303
; %bb.302:
	scratch_load_b128 v[6:9], off, s28
	v_dual_mov_b32 v3, v2 :: v_dual_mov_b32 v4, v2
	v_mov_b32_e32 v5, v2
	scratch_store_b128 off, v[2:5], off offset:848
	s_wait_loadcnt 0x0
	ds_store_b128 v160, v[6:9]
.LBB127_303:
	s_wait_xcnt 0x0
	s_or_b32 exec_lo, exec_lo, s2
	s_wait_storecnt_dscnt 0x0
	s_barrier_signal -1
	s_barrier_wait -1
	s_clause 0x9
	scratch_load_b128 v[4:7], off, off offset:864
	scratch_load_b128 v[8:11], off, off offset:880
	;; [unrolled: 1-line block ×10, first 2 shown]
	ds_load_b128 v[174:177], v2 offset:1888
	ds_load_b128 v[178:181], v2 offset:1904
	scratch_load_b128 v[182:185], off, off offset:848
	s_mov_b32 s2, exec_lo
	s_wait_loadcnt_dscnt 0xa01
	v_mul_f64_e32 v[186:187], v[176:177], v[6:7]
	v_mul_f64_e32 v[188:189], v[174:175], v[6:7]
	s_wait_loadcnt_dscnt 0x900
	v_mul_f64_e32 v[190:191], v[178:179], v[10:11]
	v_mul_f64_e32 v[10:11], v[180:181], v[10:11]
	s_delay_alu instid0(VALU_DEP_4) | instskip(NEXT) | instid1(VALU_DEP_4)
	v_fma_f64 v[186:187], v[174:175], v[4:5], -v[186:187]
	v_fmac_f64_e32 v[188:189], v[176:177], v[4:5]
	ds_load_b128 v[4:7], v2 offset:1920
	ds_load_b128 v[174:177], v2 offset:1936
	v_fmac_f64_e32 v[190:191], v[180:181], v[8:9]
	v_fma_f64 v[8:9], v[178:179], v[8:9], -v[10:11]
	s_wait_loadcnt_dscnt 0x801
	v_mul_f64_e32 v[192:193], v[4:5], v[14:15]
	v_mul_f64_e32 v[14:15], v[6:7], v[14:15]
	s_wait_loadcnt_dscnt 0x700
	v_mul_f64_e32 v[180:181], v[174:175], v[18:19]
	v_mul_f64_e32 v[18:19], v[176:177], v[18:19]
	v_add_f64_e32 v[10:11], 0, v[186:187]
	v_add_f64_e32 v[178:179], 0, v[188:189]
	v_fmac_f64_e32 v[192:193], v[6:7], v[12:13]
	v_fma_f64 v[12:13], v[4:5], v[12:13], -v[14:15]
	v_fmac_f64_e32 v[180:181], v[176:177], v[16:17]
	v_fma_f64 v[16:17], v[174:175], v[16:17], -v[18:19]
	v_add_f64_e32 v[14:15], v[10:11], v[8:9]
	v_add_f64_e32 v[178:179], v[178:179], v[190:191]
	ds_load_b128 v[4:7], v2 offset:1952
	ds_load_b128 v[8:11], v2 offset:1968
	s_wait_loadcnt_dscnt 0x601
	v_mul_f64_e32 v[186:187], v[4:5], v[22:23]
	v_mul_f64_e32 v[22:23], v[6:7], v[22:23]
	s_wait_loadcnt_dscnt 0x500
	v_mul_f64_e32 v[18:19], v[8:9], v[26:27]
	v_mul_f64_e32 v[26:27], v[10:11], v[26:27]
	v_add_f64_e32 v[12:13], v[14:15], v[12:13]
	v_add_f64_e32 v[14:15], v[178:179], v[192:193]
	v_fmac_f64_e32 v[186:187], v[6:7], v[20:21]
	v_fma_f64 v[20:21], v[4:5], v[20:21], -v[22:23]
	v_fmac_f64_e32 v[18:19], v[10:11], v[24:25]
	v_fma_f64 v[8:9], v[8:9], v[24:25], -v[26:27]
	v_add_f64_e32 v[16:17], v[12:13], v[16:17]
	v_add_f64_e32 v[22:23], v[14:15], v[180:181]
	ds_load_b128 v[4:7], v2 offset:1984
	ds_load_b128 v[12:15], v2 offset:2000
	s_wait_loadcnt_dscnt 0x401
	v_mul_f64_e32 v[174:175], v[4:5], v[30:31]
	v_mul_f64_e32 v[30:31], v[6:7], v[30:31]
	v_add_f64_e32 v[10:11], v[16:17], v[20:21]
	v_add_f64_e32 v[16:17], v[22:23], v[186:187]
	s_wait_loadcnt_dscnt 0x300
	v_mul_f64_e32 v[20:21], v[12:13], v[164:165]
	v_mul_f64_e32 v[22:23], v[14:15], v[164:165]
	v_fmac_f64_e32 v[174:175], v[6:7], v[28:29]
	v_fma_f64 v[24:25], v[4:5], v[28:29], -v[30:31]
	v_add_f64_e32 v[26:27], v[10:11], v[8:9]
	v_add_f64_e32 v[16:17], v[16:17], v[18:19]
	ds_load_b128 v[4:7], v2 offset:2016
	ds_load_b128 v[8:11], v2 offset:2032
	v_fmac_f64_e32 v[20:21], v[14:15], v[162:163]
	v_fma_f64 v[12:13], v[12:13], v[162:163], -v[22:23]
	s_wait_loadcnt_dscnt 0x201
	v_mul_f64_e32 v[2:3], v[4:5], v[168:169]
	v_mul_f64_e32 v[18:19], v[6:7], v[168:169]
	s_wait_loadcnt_dscnt 0x100
	v_mul_f64_e32 v[22:23], v[8:9], v[172:173]
	v_add_f64_e32 v[14:15], v[26:27], v[24:25]
	v_add_f64_e32 v[16:17], v[16:17], v[174:175]
	v_mul_f64_e32 v[24:25], v[10:11], v[172:173]
	v_fmac_f64_e32 v[2:3], v[6:7], v[166:167]
	v_fma_f64 v[4:5], v[4:5], v[166:167], -v[18:19]
	v_fmac_f64_e32 v[22:23], v[10:11], v[170:171]
	v_add_f64_e32 v[6:7], v[14:15], v[12:13]
	v_add_f64_e32 v[12:13], v[16:17], v[20:21]
	v_fma_f64 v[8:9], v[8:9], v[170:171], -v[24:25]
	s_delay_alu instid0(VALU_DEP_3) | instskip(NEXT) | instid1(VALU_DEP_3)
	v_add_f64_e32 v[4:5], v[6:7], v[4:5]
	v_add_f64_e32 v[2:3], v[12:13], v[2:3]
	s_delay_alu instid0(VALU_DEP_2) | instskip(NEXT) | instid1(VALU_DEP_2)
	v_add_f64_e32 v[4:5], v[4:5], v[8:9]
	v_add_f64_e32 v[6:7], v[2:3], v[22:23]
	s_wait_loadcnt 0x0
	s_delay_alu instid0(VALU_DEP_2) | instskip(NEXT) | instid1(VALU_DEP_2)
	v_add_f64_e64 v[2:3], v[182:183], -v[4:5]
	v_add_f64_e64 v[4:5], v[184:185], -v[6:7]
	scratch_store_b128 off, v[2:5], off offset:848
	s_wait_xcnt 0x0
	v_cmpx_lt_u32_e32 52, v1
	s_cbranch_execz .LBB127_305
; %bb.304:
	scratch_load_b128 v[2:5], off, s29
	v_mov_b32_e32 v6, 0
	s_delay_alu instid0(VALU_DEP_1)
	v_dual_mov_b32 v7, v6 :: v_dual_mov_b32 v8, v6
	v_mov_b32_e32 v9, v6
	scratch_store_b128 off, v[6:9], off offset:832
	s_wait_loadcnt 0x0
	ds_store_b128 v160, v[2:5]
.LBB127_305:
	s_wait_xcnt 0x0
	s_or_b32 exec_lo, exec_lo, s2
	s_wait_storecnt_dscnt 0x0
	s_barrier_signal -1
	s_barrier_wait -1
	s_clause 0x9
	scratch_load_b128 v[4:7], off, off offset:848
	scratch_load_b128 v[8:11], off, off offset:864
	;; [unrolled: 1-line block ×10, first 2 shown]
	v_mov_b32_e32 v2, 0
	s_mov_b32 s2, exec_lo
	ds_load_b128 v[174:177], v2 offset:1872
	s_clause 0x1
	scratch_load_b128 v[178:181], off, off offset:1008
	scratch_load_b128 v[182:185], off, off offset:832
	s_wait_loadcnt_dscnt 0xb00
	v_mul_f64_e32 v[190:191], v[176:177], v[6:7]
	v_mul_f64_e32 v[192:193], v[174:175], v[6:7]
	ds_load_b128 v[186:189], v2 offset:1888
	s_wait_loadcnt_dscnt 0xa00
	v_mul_f64_e32 v[194:195], v[186:187], v[10:11]
	v_mul_f64_e32 v[10:11], v[188:189], v[10:11]
	v_fma_f64 v[190:191], v[174:175], v[4:5], -v[190:191]
	v_fmac_f64_e32 v[192:193], v[176:177], v[4:5]
	ds_load_b128 v[4:7], v2 offset:1904
	ds_load_b128 v[174:177], v2 offset:1920
	s_wait_loadcnt_dscnt 0x901
	v_mul_f64_e32 v[196:197], v[4:5], v[14:15]
	v_mul_f64_e32 v[14:15], v[6:7], v[14:15]
	v_fmac_f64_e32 v[194:195], v[188:189], v[8:9]
	v_fma_f64 v[8:9], v[186:187], v[8:9], -v[10:11]
	s_wait_loadcnt_dscnt 0x800
	v_mul_f64_e32 v[188:189], v[174:175], v[18:19]
	v_mul_f64_e32 v[18:19], v[176:177], v[18:19]
	v_add_f64_e32 v[10:11], 0, v[190:191]
	v_add_f64_e32 v[186:187], 0, v[192:193]
	v_fmac_f64_e32 v[196:197], v[6:7], v[12:13]
	v_fma_f64 v[12:13], v[4:5], v[12:13], -v[14:15]
	v_fmac_f64_e32 v[188:189], v[176:177], v[16:17]
	v_fma_f64 v[16:17], v[174:175], v[16:17], -v[18:19]
	v_add_f64_e32 v[14:15], v[10:11], v[8:9]
	v_add_f64_e32 v[186:187], v[186:187], v[194:195]
	ds_load_b128 v[4:7], v2 offset:1936
	ds_load_b128 v[8:11], v2 offset:1952
	s_wait_loadcnt_dscnt 0x701
	v_mul_f64_e32 v[190:191], v[4:5], v[22:23]
	v_mul_f64_e32 v[22:23], v[6:7], v[22:23]
	s_wait_loadcnt_dscnt 0x600
	v_mul_f64_e32 v[18:19], v[8:9], v[26:27]
	v_mul_f64_e32 v[26:27], v[10:11], v[26:27]
	v_add_f64_e32 v[12:13], v[14:15], v[12:13]
	v_add_f64_e32 v[14:15], v[186:187], v[196:197]
	v_fmac_f64_e32 v[190:191], v[6:7], v[20:21]
	v_fma_f64 v[20:21], v[4:5], v[20:21], -v[22:23]
	v_fmac_f64_e32 v[18:19], v[10:11], v[24:25]
	v_fma_f64 v[8:9], v[8:9], v[24:25], -v[26:27]
	v_add_f64_e32 v[16:17], v[12:13], v[16:17]
	v_add_f64_e32 v[22:23], v[14:15], v[188:189]
	ds_load_b128 v[4:7], v2 offset:1968
	ds_load_b128 v[12:15], v2 offset:1984
	s_wait_loadcnt_dscnt 0x501
	v_mul_f64_e32 v[174:175], v[4:5], v[30:31]
	v_mul_f64_e32 v[30:31], v[6:7], v[30:31]
	v_add_f64_e32 v[10:11], v[16:17], v[20:21]
	v_add_f64_e32 v[16:17], v[22:23], v[190:191]
	s_wait_loadcnt_dscnt 0x400
	v_mul_f64_e32 v[20:21], v[12:13], v[164:165]
	v_mul_f64_e32 v[22:23], v[14:15], v[164:165]
	v_fmac_f64_e32 v[174:175], v[6:7], v[28:29]
	v_fma_f64 v[24:25], v[4:5], v[28:29], -v[30:31]
	v_add_f64_e32 v[26:27], v[10:11], v[8:9]
	v_add_f64_e32 v[16:17], v[16:17], v[18:19]
	ds_load_b128 v[4:7], v2 offset:2000
	ds_load_b128 v[8:11], v2 offset:2016
	v_fmac_f64_e32 v[20:21], v[14:15], v[162:163]
	v_fma_f64 v[12:13], v[12:13], v[162:163], -v[22:23]
	s_wait_loadcnt_dscnt 0x301
	v_mul_f64_e32 v[18:19], v[4:5], v[168:169]
	v_mul_f64_e32 v[28:29], v[6:7], v[168:169]
	s_wait_loadcnt_dscnt 0x200
	v_mul_f64_e32 v[22:23], v[8:9], v[172:173]
	v_add_f64_e32 v[14:15], v[26:27], v[24:25]
	v_add_f64_e32 v[16:17], v[16:17], v[174:175]
	v_mul_f64_e32 v[24:25], v[10:11], v[172:173]
	v_fmac_f64_e32 v[18:19], v[6:7], v[166:167]
	v_fma_f64 v[26:27], v[4:5], v[166:167], -v[28:29]
	ds_load_b128 v[4:7], v2 offset:2032
	v_fmac_f64_e32 v[22:23], v[10:11], v[170:171]
	v_add_f64_e32 v[12:13], v[14:15], v[12:13]
	v_add_f64_e32 v[14:15], v[16:17], v[20:21]
	v_fma_f64 v[8:9], v[8:9], v[170:171], -v[24:25]
	s_wait_loadcnt_dscnt 0x100
	v_mul_f64_e32 v[16:17], v[4:5], v[180:181]
	v_mul_f64_e32 v[20:21], v[6:7], v[180:181]
	v_add_f64_e32 v[10:11], v[12:13], v[26:27]
	v_add_f64_e32 v[12:13], v[14:15], v[18:19]
	s_delay_alu instid0(VALU_DEP_4) | instskip(NEXT) | instid1(VALU_DEP_4)
	v_fmac_f64_e32 v[16:17], v[6:7], v[178:179]
	v_fma_f64 v[4:5], v[4:5], v[178:179], -v[20:21]
	s_delay_alu instid0(VALU_DEP_4) | instskip(NEXT) | instid1(VALU_DEP_4)
	v_add_f64_e32 v[6:7], v[10:11], v[8:9]
	v_add_f64_e32 v[8:9], v[12:13], v[22:23]
	s_delay_alu instid0(VALU_DEP_2) | instskip(NEXT) | instid1(VALU_DEP_2)
	v_add_f64_e32 v[4:5], v[6:7], v[4:5]
	v_add_f64_e32 v[6:7], v[8:9], v[16:17]
	s_wait_loadcnt 0x0
	s_delay_alu instid0(VALU_DEP_2) | instskip(NEXT) | instid1(VALU_DEP_2)
	v_add_f64_e64 v[4:5], v[182:183], -v[4:5]
	v_add_f64_e64 v[6:7], v[184:185], -v[6:7]
	scratch_store_b128 off, v[4:7], off offset:832
	s_wait_xcnt 0x0
	v_cmpx_lt_u32_e32 51, v1
	s_cbranch_execz .LBB127_307
; %bb.306:
	scratch_load_b128 v[6:9], off, s30
	v_dual_mov_b32 v3, v2 :: v_dual_mov_b32 v4, v2
	v_mov_b32_e32 v5, v2
	scratch_store_b128 off, v[2:5], off offset:816
	s_wait_loadcnt 0x0
	ds_store_b128 v160, v[6:9]
.LBB127_307:
	s_wait_xcnt 0x0
	s_or_b32 exec_lo, exec_lo, s2
	s_wait_storecnt_dscnt 0x0
	s_barrier_signal -1
	s_barrier_wait -1
	s_clause 0x9
	scratch_load_b128 v[4:7], off, off offset:832
	scratch_load_b128 v[8:11], off, off offset:848
	;; [unrolled: 1-line block ×10, first 2 shown]
	ds_load_b128 v[174:177], v2 offset:1856
	ds_load_b128 v[182:185], v2 offset:1872
	s_clause 0x2
	scratch_load_b128 v[178:181], off, off offset:992
	scratch_load_b128 v[186:189], off, off offset:816
	;; [unrolled: 1-line block ×3, first 2 shown]
	s_mov_b32 s2, exec_lo
	s_wait_loadcnt_dscnt 0xc01
	v_mul_f64_e32 v[194:195], v[176:177], v[6:7]
	v_mul_f64_e32 v[196:197], v[174:175], v[6:7]
	s_wait_loadcnt_dscnt 0xb00
	v_mul_f64_e32 v[198:199], v[182:183], v[10:11]
	v_mul_f64_e32 v[10:11], v[184:185], v[10:11]
	s_delay_alu instid0(VALU_DEP_4) | instskip(NEXT) | instid1(VALU_DEP_4)
	v_fma_f64 v[194:195], v[174:175], v[4:5], -v[194:195]
	v_fmac_f64_e32 v[196:197], v[176:177], v[4:5]
	ds_load_b128 v[4:7], v2 offset:1888
	ds_load_b128 v[174:177], v2 offset:1904
	v_fmac_f64_e32 v[198:199], v[184:185], v[8:9]
	v_fma_f64 v[8:9], v[182:183], v[8:9], -v[10:11]
	s_wait_loadcnt_dscnt 0xa01
	v_mul_f64_e32 v[200:201], v[4:5], v[14:15]
	v_mul_f64_e32 v[14:15], v[6:7], v[14:15]
	s_wait_loadcnt_dscnt 0x900
	v_mul_f64_e32 v[184:185], v[174:175], v[18:19]
	v_mul_f64_e32 v[18:19], v[176:177], v[18:19]
	v_add_f64_e32 v[10:11], 0, v[194:195]
	v_add_f64_e32 v[182:183], 0, v[196:197]
	v_fmac_f64_e32 v[200:201], v[6:7], v[12:13]
	v_fma_f64 v[12:13], v[4:5], v[12:13], -v[14:15]
	v_fmac_f64_e32 v[184:185], v[176:177], v[16:17]
	v_fma_f64 v[16:17], v[174:175], v[16:17], -v[18:19]
	v_add_f64_e32 v[14:15], v[10:11], v[8:9]
	v_add_f64_e32 v[182:183], v[182:183], v[198:199]
	ds_load_b128 v[4:7], v2 offset:1920
	ds_load_b128 v[8:11], v2 offset:1936
	s_wait_loadcnt_dscnt 0x801
	v_mul_f64_e32 v[194:195], v[4:5], v[22:23]
	v_mul_f64_e32 v[22:23], v[6:7], v[22:23]
	s_wait_loadcnt_dscnt 0x700
	v_mul_f64_e32 v[18:19], v[8:9], v[26:27]
	v_mul_f64_e32 v[26:27], v[10:11], v[26:27]
	v_add_f64_e32 v[12:13], v[14:15], v[12:13]
	v_add_f64_e32 v[14:15], v[182:183], v[200:201]
	v_fmac_f64_e32 v[194:195], v[6:7], v[20:21]
	v_fma_f64 v[20:21], v[4:5], v[20:21], -v[22:23]
	v_fmac_f64_e32 v[18:19], v[10:11], v[24:25]
	v_fma_f64 v[8:9], v[8:9], v[24:25], -v[26:27]
	v_add_f64_e32 v[16:17], v[12:13], v[16:17]
	v_add_f64_e32 v[22:23], v[14:15], v[184:185]
	ds_load_b128 v[4:7], v2 offset:1952
	ds_load_b128 v[12:15], v2 offset:1968
	s_wait_loadcnt_dscnt 0x601
	v_mul_f64_e32 v[174:175], v[4:5], v[30:31]
	v_mul_f64_e32 v[30:31], v[6:7], v[30:31]
	v_add_f64_e32 v[10:11], v[16:17], v[20:21]
	v_add_f64_e32 v[16:17], v[22:23], v[194:195]
	s_wait_loadcnt_dscnt 0x500
	v_mul_f64_e32 v[20:21], v[12:13], v[164:165]
	v_mul_f64_e32 v[22:23], v[14:15], v[164:165]
	v_fmac_f64_e32 v[174:175], v[6:7], v[28:29]
	v_fma_f64 v[24:25], v[4:5], v[28:29], -v[30:31]
	v_add_f64_e32 v[26:27], v[10:11], v[8:9]
	v_add_f64_e32 v[16:17], v[16:17], v[18:19]
	ds_load_b128 v[4:7], v2 offset:1984
	ds_load_b128 v[8:11], v2 offset:2000
	v_fmac_f64_e32 v[20:21], v[14:15], v[162:163]
	v_fma_f64 v[12:13], v[12:13], v[162:163], -v[22:23]
	s_wait_loadcnt_dscnt 0x401
	v_mul_f64_e32 v[18:19], v[4:5], v[168:169]
	v_mul_f64_e32 v[28:29], v[6:7], v[168:169]
	s_wait_loadcnt_dscnt 0x300
	v_mul_f64_e32 v[22:23], v[8:9], v[172:173]
	v_add_f64_e32 v[14:15], v[26:27], v[24:25]
	v_add_f64_e32 v[16:17], v[16:17], v[174:175]
	v_mul_f64_e32 v[24:25], v[10:11], v[172:173]
	v_fmac_f64_e32 v[18:19], v[6:7], v[166:167]
	v_fma_f64 v[26:27], v[4:5], v[166:167], -v[28:29]
	v_fmac_f64_e32 v[22:23], v[10:11], v[170:171]
	v_add_f64_e32 v[28:29], v[14:15], v[12:13]
	v_add_f64_e32 v[16:17], v[16:17], v[20:21]
	ds_load_b128 v[4:7], v2 offset:2016
	ds_load_b128 v[12:15], v2 offset:2032
	v_fma_f64 v[8:9], v[8:9], v[170:171], -v[24:25]
	s_wait_loadcnt_dscnt 0x201
	v_mul_f64_e32 v[2:3], v[4:5], v[180:181]
	v_mul_f64_e32 v[20:21], v[6:7], v[180:181]
	s_wait_loadcnt_dscnt 0x0
	v_mul_f64_e32 v[24:25], v[14:15], v[192:193]
	v_add_f64_e32 v[10:11], v[28:29], v[26:27]
	v_add_f64_e32 v[16:17], v[16:17], v[18:19]
	v_mul_f64_e32 v[18:19], v[12:13], v[192:193]
	v_fmac_f64_e32 v[2:3], v[6:7], v[178:179]
	v_fma_f64 v[4:5], v[4:5], v[178:179], -v[20:21]
	v_add_f64_e32 v[6:7], v[10:11], v[8:9]
	v_add_f64_e32 v[8:9], v[16:17], v[22:23]
	v_fmac_f64_e32 v[18:19], v[14:15], v[190:191]
	v_fma_f64 v[10:11], v[12:13], v[190:191], -v[24:25]
	s_delay_alu instid0(VALU_DEP_4) | instskip(NEXT) | instid1(VALU_DEP_4)
	v_add_f64_e32 v[4:5], v[6:7], v[4:5]
	v_add_f64_e32 v[2:3], v[8:9], v[2:3]
	s_delay_alu instid0(VALU_DEP_2) | instskip(NEXT) | instid1(VALU_DEP_2)
	v_add_f64_e32 v[4:5], v[4:5], v[10:11]
	v_add_f64_e32 v[6:7], v[2:3], v[18:19]
	s_delay_alu instid0(VALU_DEP_2) | instskip(NEXT) | instid1(VALU_DEP_2)
	v_add_f64_e64 v[2:3], v[186:187], -v[4:5]
	v_add_f64_e64 v[4:5], v[188:189], -v[6:7]
	scratch_store_b128 off, v[2:5], off offset:816
	s_wait_xcnt 0x0
	v_cmpx_lt_u32_e32 50, v1
	s_cbranch_execz .LBB127_309
; %bb.308:
	scratch_load_b128 v[2:5], off, s31
	v_mov_b32_e32 v6, 0
	s_delay_alu instid0(VALU_DEP_1)
	v_dual_mov_b32 v7, v6 :: v_dual_mov_b32 v8, v6
	v_mov_b32_e32 v9, v6
	scratch_store_b128 off, v[6:9], off offset:800
	s_wait_loadcnt 0x0
	ds_store_b128 v160, v[2:5]
.LBB127_309:
	s_wait_xcnt 0x0
	s_or_b32 exec_lo, exec_lo, s2
	s_wait_storecnt_dscnt 0x0
	s_barrier_signal -1
	s_barrier_wait -1
	s_clause 0x9
	scratch_load_b128 v[4:7], off, off offset:816
	scratch_load_b128 v[8:11], off, off offset:832
	;; [unrolled: 1-line block ×10, first 2 shown]
	v_mov_b32_e32 v2, 0
	s_mov_b32 s2, exec_lo
	ds_load_b128 v[174:177], v2 offset:1840
	s_clause 0x2
	scratch_load_b128 v[178:181], off, off offset:976
	scratch_load_b128 v[182:185], off, off offset:800
	;; [unrolled: 1-line block ×3, first 2 shown]
	s_wait_loadcnt_dscnt 0xc00
	v_mul_f64_e32 v[194:195], v[176:177], v[6:7]
	v_mul_f64_e32 v[198:199], v[174:175], v[6:7]
	ds_load_b128 v[186:189], v2 offset:1856
	v_fma_f64 v[202:203], v[174:175], v[4:5], -v[194:195]
	v_fmac_f64_e32 v[198:199], v[176:177], v[4:5]
	ds_load_b128 v[4:7], v2 offset:1872
	s_wait_loadcnt_dscnt 0xb01
	v_mul_f64_e32 v[200:201], v[186:187], v[10:11]
	v_mul_f64_e32 v[10:11], v[188:189], v[10:11]
	scratch_load_b128 v[174:177], off, off offset:1008
	ds_load_b128 v[194:197], v2 offset:1888
	s_wait_loadcnt_dscnt 0xb01
	v_mul_f64_e32 v[204:205], v[4:5], v[14:15]
	v_mul_f64_e32 v[14:15], v[6:7], v[14:15]
	v_fmac_f64_e32 v[200:201], v[188:189], v[8:9]
	v_fma_f64 v[8:9], v[186:187], v[8:9], -v[10:11]
	v_add_f64_e32 v[10:11], 0, v[202:203]
	v_add_f64_e32 v[186:187], 0, v[198:199]
	s_wait_loadcnt_dscnt 0xa00
	v_mul_f64_e32 v[188:189], v[194:195], v[18:19]
	v_mul_f64_e32 v[18:19], v[196:197], v[18:19]
	v_fmac_f64_e32 v[204:205], v[6:7], v[12:13]
	v_fma_f64 v[12:13], v[4:5], v[12:13], -v[14:15]
	v_add_f64_e32 v[14:15], v[10:11], v[8:9]
	v_add_f64_e32 v[186:187], v[186:187], v[200:201]
	ds_load_b128 v[4:7], v2 offset:1904
	ds_load_b128 v[8:11], v2 offset:1920
	v_fmac_f64_e32 v[188:189], v[196:197], v[16:17]
	v_fma_f64 v[16:17], v[194:195], v[16:17], -v[18:19]
	s_wait_loadcnt_dscnt 0x901
	v_mul_f64_e32 v[198:199], v[4:5], v[22:23]
	v_mul_f64_e32 v[22:23], v[6:7], v[22:23]
	s_wait_loadcnt_dscnt 0x800
	v_mul_f64_e32 v[18:19], v[8:9], v[26:27]
	v_mul_f64_e32 v[26:27], v[10:11], v[26:27]
	v_add_f64_e32 v[12:13], v[14:15], v[12:13]
	v_add_f64_e32 v[14:15], v[186:187], v[204:205]
	v_fmac_f64_e32 v[198:199], v[6:7], v[20:21]
	v_fma_f64 v[20:21], v[4:5], v[20:21], -v[22:23]
	v_fmac_f64_e32 v[18:19], v[10:11], v[24:25]
	v_fma_f64 v[8:9], v[8:9], v[24:25], -v[26:27]
	v_add_f64_e32 v[16:17], v[12:13], v[16:17]
	v_add_f64_e32 v[22:23], v[14:15], v[188:189]
	ds_load_b128 v[4:7], v2 offset:1936
	ds_load_b128 v[12:15], v2 offset:1952
	s_wait_loadcnt_dscnt 0x701
	v_mul_f64_e32 v[186:187], v[4:5], v[30:31]
	v_mul_f64_e32 v[30:31], v[6:7], v[30:31]
	v_add_f64_e32 v[10:11], v[16:17], v[20:21]
	v_add_f64_e32 v[16:17], v[22:23], v[198:199]
	s_wait_loadcnt_dscnt 0x600
	v_mul_f64_e32 v[20:21], v[12:13], v[164:165]
	v_mul_f64_e32 v[22:23], v[14:15], v[164:165]
	v_fmac_f64_e32 v[186:187], v[6:7], v[28:29]
	v_fma_f64 v[24:25], v[4:5], v[28:29], -v[30:31]
	v_add_f64_e32 v[26:27], v[10:11], v[8:9]
	v_add_f64_e32 v[16:17], v[16:17], v[18:19]
	ds_load_b128 v[4:7], v2 offset:1968
	ds_load_b128 v[8:11], v2 offset:1984
	v_fmac_f64_e32 v[20:21], v[14:15], v[162:163]
	v_fma_f64 v[12:13], v[12:13], v[162:163], -v[22:23]
	s_wait_loadcnt_dscnt 0x501
	v_mul_f64_e32 v[18:19], v[4:5], v[168:169]
	v_mul_f64_e32 v[28:29], v[6:7], v[168:169]
	s_wait_loadcnt_dscnt 0x400
	v_mul_f64_e32 v[22:23], v[8:9], v[172:173]
	v_add_f64_e32 v[14:15], v[26:27], v[24:25]
	v_add_f64_e32 v[16:17], v[16:17], v[186:187]
	v_mul_f64_e32 v[24:25], v[10:11], v[172:173]
	v_fmac_f64_e32 v[18:19], v[6:7], v[166:167]
	v_fma_f64 v[26:27], v[4:5], v[166:167], -v[28:29]
	v_fmac_f64_e32 v[22:23], v[10:11], v[170:171]
	v_add_f64_e32 v[28:29], v[14:15], v[12:13]
	v_add_f64_e32 v[16:17], v[16:17], v[20:21]
	ds_load_b128 v[4:7], v2 offset:2000
	ds_load_b128 v[12:15], v2 offset:2016
	v_fma_f64 v[8:9], v[8:9], v[170:171], -v[24:25]
	s_wait_loadcnt_dscnt 0x301
	v_mul_f64_e32 v[20:21], v[4:5], v[180:181]
	v_mul_f64_e32 v[30:31], v[6:7], v[180:181]
	s_wait_loadcnt_dscnt 0x100
	v_mul_f64_e32 v[24:25], v[14:15], v[192:193]
	v_add_f64_e32 v[10:11], v[28:29], v[26:27]
	v_add_f64_e32 v[16:17], v[16:17], v[18:19]
	v_mul_f64_e32 v[18:19], v[12:13], v[192:193]
	v_fmac_f64_e32 v[20:21], v[6:7], v[178:179]
	v_fma_f64 v[26:27], v[4:5], v[178:179], -v[30:31]
	ds_load_b128 v[4:7], v2 offset:2032
	v_fma_f64 v[12:13], v[12:13], v[190:191], -v[24:25]
	v_add_f64_e32 v[8:9], v[10:11], v[8:9]
	v_add_f64_e32 v[10:11], v[16:17], v[22:23]
	v_fmac_f64_e32 v[18:19], v[14:15], v[190:191]
	s_wait_loadcnt_dscnt 0x0
	v_mul_f64_e32 v[16:17], v[4:5], v[176:177]
	v_mul_f64_e32 v[22:23], v[6:7], v[176:177]
	v_add_f64_e32 v[8:9], v[8:9], v[26:27]
	v_add_f64_e32 v[10:11], v[10:11], v[20:21]
	s_delay_alu instid0(VALU_DEP_4) | instskip(NEXT) | instid1(VALU_DEP_4)
	v_fmac_f64_e32 v[16:17], v[6:7], v[174:175]
	v_fma_f64 v[4:5], v[4:5], v[174:175], -v[22:23]
	s_delay_alu instid0(VALU_DEP_4) | instskip(NEXT) | instid1(VALU_DEP_4)
	v_add_f64_e32 v[6:7], v[8:9], v[12:13]
	v_add_f64_e32 v[8:9], v[10:11], v[18:19]
	s_delay_alu instid0(VALU_DEP_2) | instskip(NEXT) | instid1(VALU_DEP_2)
	v_add_f64_e32 v[4:5], v[6:7], v[4:5]
	v_add_f64_e32 v[6:7], v[8:9], v[16:17]
	s_delay_alu instid0(VALU_DEP_2) | instskip(NEXT) | instid1(VALU_DEP_2)
	v_add_f64_e64 v[4:5], v[182:183], -v[4:5]
	v_add_f64_e64 v[6:7], v[184:185], -v[6:7]
	scratch_store_b128 off, v[4:7], off offset:800
	s_wait_xcnt 0x0
	v_cmpx_lt_u32_e32 49, v1
	s_cbranch_execz .LBB127_311
; %bb.310:
	scratch_load_b128 v[6:9], off, s33
	v_dual_mov_b32 v3, v2 :: v_dual_mov_b32 v4, v2
	v_mov_b32_e32 v5, v2
	scratch_store_b128 off, v[2:5], off offset:784
	s_wait_loadcnt 0x0
	ds_store_b128 v160, v[6:9]
.LBB127_311:
	s_wait_xcnt 0x0
	s_or_b32 exec_lo, exec_lo, s2
	s_wait_storecnt_dscnt 0x0
	s_barrier_signal -1
	s_barrier_wait -1
	s_clause 0x9
	scratch_load_b128 v[4:7], off, off offset:800
	scratch_load_b128 v[8:11], off, off offset:816
	;; [unrolled: 1-line block ×10, first 2 shown]
	ds_load_b128 v[174:177], v2 offset:1824
	ds_load_b128 v[182:185], v2 offset:1840
	s_clause 0x2
	scratch_load_b128 v[178:181], off, off offset:960
	scratch_load_b128 v[186:189], off, off offset:784
	;; [unrolled: 1-line block ×3, first 2 shown]
	s_mov_b32 s2, exec_lo
	s_wait_loadcnt_dscnt 0xc01
	v_mul_f64_e32 v[194:195], v[176:177], v[6:7]
	v_mul_f64_e32 v[198:199], v[174:175], v[6:7]
	s_wait_loadcnt_dscnt 0xb00
	v_mul_f64_e32 v[200:201], v[182:183], v[10:11]
	v_mul_f64_e32 v[10:11], v[184:185], v[10:11]
	s_delay_alu instid0(VALU_DEP_4) | instskip(NEXT) | instid1(VALU_DEP_4)
	v_fma_f64 v[202:203], v[174:175], v[4:5], -v[194:195]
	v_fmac_f64_e32 v[198:199], v[176:177], v[4:5]
	ds_load_b128 v[4:7], v2 offset:1856
	ds_load_b128 v[174:177], v2 offset:1872
	scratch_load_b128 v[194:197], off, off offset:992
	v_fmac_f64_e32 v[200:201], v[184:185], v[8:9]
	v_fma_f64 v[182:183], v[182:183], v[8:9], -v[10:11]
	scratch_load_b128 v[8:11], off, off offset:1008
	s_wait_loadcnt_dscnt 0xc01
	v_mul_f64_e32 v[204:205], v[4:5], v[14:15]
	v_mul_f64_e32 v[14:15], v[6:7], v[14:15]
	v_add_f64_e32 v[184:185], 0, v[202:203]
	v_add_f64_e32 v[198:199], 0, v[198:199]
	s_wait_loadcnt_dscnt 0xb00
	v_mul_f64_e32 v[202:203], v[174:175], v[18:19]
	v_mul_f64_e32 v[18:19], v[176:177], v[18:19]
	v_fmac_f64_e32 v[204:205], v[6:7], v[12:13]
	v_fma_f64 v[206:207], v[4:5], v[12:13], -v[14:15]
	ds_load_b128 v[4:7], v2 offset:1888
	ds_load_b128 v[12:15], v2 offset:1904
	v_add_f64_e32 v[182:183], v[184:185], v[182:183]
	v_add_f64_e32 v[184:185], v[198:199], v[200:201]
	v_fmac_f64_e32 v[202:203], v[176:177], v[16:17]
	v_fma_f64 v[16:17], v[174:175], v[16:17], -v[18:19]
	s_wait_loadcnt_dscnt 0xa01
	v_mul_f64_e32 v[198:199], v[4:5], v[22:23]
	v_mul_f64_e32 v[22:23], v[6:7], v[22:23]
	s_wait_loadcnt_dscnt 0x900
	v_mul_f64_e32 v[176:177], v[12:13], v[26:27]
	v_mul_f64_e32 v[26:27], v[14:15], v[26:27]
	v_add_f64_e32 v[18:19], v[182:183], v[206:207]
	v_add_f64_e32 v[174:175], v[184:185], v[204:205]
	v_fmac_f64_e32 v[198:199], v[6:7], v[20:21]
	v_fma_f64 v[20:21], v[4:5], v[20:21], -v[22:23]
	v_fmac_f64_e32 v[176:177], v[14:15], v[24:25]
	v_fma_f64 v[12:13], v[12:13], v[24:25], -v[26:27]
	v_add_f64_e32 v[22:23], v[18:19], v[16:17]
	v_add_f64_e32 v[174:175], v[174:175], v[202:203]
	ds_load_b128 v[4:7], v2 offset:1920
	ds_load_b128 v[16:19], v2 offset:1936
	s_wait_loadcnt_dscnt 0x801
	v_mul_f64_e32 v[182:183], v[4:5], v[30:31]
	v_mul_f64_e32 v[30:31], v[6:7], v[30:31]
	s_wait_loadcnt_dscnt 0x700
	v_mul_f64_e32 v[24:25], v[18:19], v[164:165]
	v_add_f64_e32 v[14:15], v[22:23], v[20:21]
	v_add_f64_e32 v[20:21], v[174:175], v[198:199]
	v_mul_f64_e32 v[22:23], v[16:17], v[164:165]
	v_fmac_f64_e32 v[182:183], v[6:7], v[28:29]
	v_fma_f64 v[26:27], v[4:5], v[28:29], -v[30:31]
	v_fma_f64 v[16:17], v[16:17], v[162:163], -v[24:25]
	v_add_f64_e32 v[28:29], v[14:15], v[12:13]
	v_add_f64_e32 v[20:21], v[20:21], v[176:177]
	ds_load_b128 v[4:7], v2 offset:1952
	ds_load_b128 v[12:15], v2 offset:1968
	v_fmac_f64_e32 v[22:23], v[18:19], v[162:163]
	s_wait_loadcnt_dscnt 0x601
	v_mul_f64_e32 v[30:31], v[4:5], v[168:169]
	v_mul_f64_e32 v[164:165], v[6:7], v[168:169]
	s_wait_loadcnt_dscnt 0x500
	v_mul_f64_e32 v[24:25], v[12:13], v[172:173]
	v_add_f64_e32 v[18:19], v[28:29], v[26:27]
	v_add_f64_e32 v[20:21], v[20:21], v[182:183]
	v_mul_f64_e32 v[26:27], v[14:15], v[172:173]
	v_fmac_f64_e32 v[30:31], v[6:7], v[166:167]
	v_fma_f64 v[28:29], v[4:5], v[166:167], -v[164:165]
	v_fmac_f64_e32 v[24:25], v[14:15], v[170:171]
	v_add_f64_e32 v[162:163], v[18:19], v[16:17]
	v_add_f64_e32 v[20:21], v[20:21], v[22:23]
	ds_load_b128 v[4:7], v2 offset:1984
	ds_load_b128 v[16:19], v2 offset:2000
	v_fma_f64 v[12:13], v[12:13], v[170:171], -v[26:27]
	s_wait_loadcnt_dscnt 0x401
	v_mul_f64_e32 v[22:23], v[4:5], v[180:181]
	v_mul_f64_e32 v[164:165], v[6:7], v[180:181]
	s_wait_loadcnt_dscnt 0x200
	v_mul_f64_e32 v[26:27], v[16:17], v[192:193]
	v_add_f64_e32 v[14:15], v[162:163], v[28:29]
	v_add_f64_e32 v[20:21], v[20:21], v[30:31]
	v_mul_f64_e32 v[28:29], v[18:19], v[192:193]
	v_fmac_f64_e32 v[22:23], v[6:7], v[178:179]
	v_fma_f64 v[30:31], v[4:5], v[178:179], -v[164:165]
	v_fmac_f64_e32 v[26:27], v[18:19], v[190:191]
	v_add_f64_e32 v[162:163], v[14:15], v[12:13]
	v_add_f64_e32 v[20:21], v[20:21], v[24:25]
	ds_load_b128 v[4:7], v2 offset:2016
	ds_load_b128 v[12:15], v2 offset:2032
	v_fma_f64 v[16:17], v[16:17], v[190:191], -v[28:29]
	s_wait_loadcnt_dscnt 0x101
	v_mul_f64_e32 v[2:3], v[4:5], v[196:197]
	v_mul_f64_e32 v[24:25], v[6:7], v[196:197]
	v_add_f64_e32 v[18:19], v[162:163], v[30:31]
	v_add_f64_e32 v[20:21], v[20:21], v[22:23]
	s_wait_loadcnt_dscnt 0x0
	v_mul_f64_e32 v[22:23], v[12:13], v[10:11]
	v_mul_f64_e32 v[10:11], v[14:15], v[10:11]
	v_fmac_f64_e32 v[2:3], v[6:7], v[194:195]
	v_fma_f64 v[4:5], v[4:5], v[194:195], -v[24:25]
	v_add_f64_e32 v[6:7], v[18:19], v[16:17]
	v_add_f64_e32 v[16:17], v[20:21], v[26:27]
	v_fmac_f64_e32 v[22:23], v[14:15], v[8:9]
	v_fma_f64 v[8:9], v[12:13], v[8:9], -v[10:11]
	s_delay_alu instid0(VALU_DEP_4) | instskip(NEXT) | instid1(VALU_DEP_4)
	v_add_f64_e32 v[4:5], v[6:7], v[4:5]
	v_add_f64_e32 v[2:3], v[16:17], v[2:3]
	s_delay_alu instid0(VALU_DEP_2) | instskip(NEXT) | instid1(VALU_DEP_2)
	v_add_f64_e32 v[4:5], v[4:5], v[8:9]
	v_add_f64_e32 v[6:7], v[2:3], v[22:23]
	s_delay_alu instid0(VALU_DEP_2) | instskip(NEXT) | instid1(VALU_DEP_2)
	v_add_f64_e64 v[2:3], v[186:187], -v[4:5]
	v_add_f64_e64 v[4:5], v[188:189], -v[6:7]
	scratch_store_b128 off, v[2:5], off offset:784
	s_wait_xcnt 0x0
	v_cmpx_lt_u32_e32 48, v1
	s_cbranch_execz .LBB127_313
; %bb.312:
	scratch_load_b128 v[2:5], off, s34
	v_mov_b32_e32 v6, 0
	s_delay_alu instid0(VALU_DEP_1)
	v_dual_mov_b32 v7, v6 :: v_dual_mov_b32 v8, v6
	v_mov_b32_e32 v9, v6
	scratch_store_b128 off, v[6:9], off offset:768
	s_wait_loadcnt 0x0
	ds_store_b128 v160, v[2:5]
.LBB127_313:
	s_wait_xcnt 0x0
	s_or_b32 exec_lo, exec_lo, s2
	s_wait_storecnt_dscnt 0x0
	s_barrier_signal -1
	s_barrier_wait -1
	s_clause 0x9
	scratch_load_b128 v[4:7], off, off offset:784
	scratch_load_b128 v[8:11], off, off offset:800
	;; [unrolled: 1-line block ×10, first 2 shown]
	v_mov_b32_e32 v2, 0
	s_mov_b32 s2, exec_lo
	ds_load_b128 v[174:177], v2 offset:1808
	s_clause 0x2
	scratch_load_b128 v[178:181], off, off offset:944
	scratch_load_b128 v[182:185], off, off offset:768
	;; [unrolled: 1-line block ×3, first 2 shown]
	s_wait_loadcnt_dscnt 0xc00
	v_mul_f64_e32 v[194:195], v[176:177], v[6:7]
	v_mul_f64_e32 v[198:199], v[174:175], v[6:7]
	ds_load_b128 v[186:189], v2 offset:1824
	v_fma_f64 v[202:203], v[174:175], v[4:5], -v[194:195]
	v_fmac_f64_e32 v[198:199], v[176:177], v[4:5]
	ds_load_b128 v[4:7], v2 offset:1840
	s_wait_loadcnt_dscnt 0xb01
	v_mul_f64_e32 v[200:201], v[186:187], v[10:11]
	v_mul_f64_e32 v[10:11], v[188:189], v[10:11]
	scratch_load_b128 v[174:177], off, off offset:976
	ds_load_b128 v[194:197], v2 offset:1856
	s_wait_loadcnt_dscnt 0xb01
	v_mul_f64_e32 v[204:205], v[4:5], v[14:15]
	v_mul_f64_e32 v[14:15], v[6:7], v[14:15]
	v_add_f64_e32 v[198:199], 0, v[198:199]
	v_fmac_f64_e32 v[200:201], v[188:189], v[8:9]
	v_fma_f64 v[186:187], v[186:187], v[8:9], -v[10:11]
	v_add_f64_e32 v[188:189], 0, v[202:203]
	scratch_load_b128 v[8:11], off, off offset:992
	v_fmac_f64_e32 v[204:205], v[6:7], v[12:13]
	v_fma_f64 v[206:207], v[4:5], v[12:13], -v[14:15]
	ds_load_b128 v[4:7], v2 offset:1872
	s_wait_loadcnt_dscnt 0xb01
	v_mul_f64_e32 v[202:203], v[194:195], v[18:19]
	v_mul_f64_e32 v[18:19], v[196:197], v[18:19]
	scratch_load_b128 v[12:15], off, off offset:1008
	v_add_f64_e32 v[198:199], v[198:199], v[200:201]
	v_add_f64_e32 v[208:209], v[188:189], v[186:187]
	ds_load_b128 v[186:189], v2 offset:1888
	s_wait_loadcnt_dscnt 0xb01
	v_mul_f64_e32 v[200:201], v[4:5], v[22:23]
	v_mul_f64_e32 v[22:23], v[6:7], v[22:23]
	v_fmac_f64_e32 v[202:203], v[196:197], v[16:17]
	v_fma_f64 v[16:17], v[194:195], v[16:17], -v[18:19]
	s_wait_loadcnt_dscnt 0xa00
	v_mul_f64_e32 v[196:197], v[186:187], v[26:27]
	v_mul_f64_e32 v[26:27], v[188:189], v[26:27]
	v_add_f64_e32 v[194:195], v[198:199], v[204:205]
	v_add_f64_e32 v[18:19], v[208:209], v[206:207]
	v_fmac_f64_e32 v[200:201], v[6:7], v[20:21]
	v_fma_f64 v[20:21], v[4:5], v[20:21], -v[22:23]
	v_fmac_f64_e32 v[196:197], v[188:189], v[24:25]
	v_fma_f64 v[24:25], v[186:187], v[24:25], -v[26:27]
	v_add_f64_e32 v[194:195], v[194:195], v[202:203]
	v_add_f64_e32 v[22:23], v[18:19], v[16:17]
	ds_load_b128 v[4:7], v2 offset:1904
	ds_load_b128 v[16:19], v2 offset:1920
	s_wait_loadcnt_dscnt 0x901
	v_mul_f64_e32 v[198:199], v[4:5], v[30:31]
	v_mul_f64_e32 v[30:31], v[6:7], v[30:31]
	s_wait_loadcnt_dscnt 0x800
	v_mul_f64_e32 v[26:27], v[16:17], v[164:165]
	v_mul_f64_e32 v[164:165], v[18:19], v[164:165]
	v_add_f64_e32 v[20:21], v[22:23], v[20:21]
	v_add_f64_e32 v[22:23], v[194:195], v[200:201]
	v_fmac_f64_e32 v[198:199], v[6:7], v[28:29]
	v_fma_f64 v[28:29], v[4:5], v[28:29], -v[30:31]
	v_fmac_f64_e32 v[26:27], v[18:19], v[162:163]
	v_fma_f64 v[16:17], v[16:17], v[162:163], -v[164:165]
	v_add_f64_e32 v[24:25], v[20:21], v[24:25]
	v_add_f64_e32 v[30:31], v[22:23], v[196:197]
	ds_load_b128 v[4:7], v2 offset:1936
	ds_load_b128 v[20:23], v2 offset:1952
	s_wait_loadcnt_dscnt 0x701
	v_mul_f64_e32 v[186:187], v[4:5], v[168:169]
	v_mul_f64_e32 v[168:169], v[6:7], v[168:169]
	v_add_f64_e32 v[18:19], v[24:25], v[28:29]
	v_add_f64_e32 v[24:25], v[30:31], v[198:199]
	s_wait_loadcnt_dscnt 0x600
	v_mul_f64_e32 v[28:29], v[20:21], v[172:173]
	v_mul_f64_e32 v[30:31], v[22:23], v[172:173]
	v_fmac_f64_e32 v[186:187], v[6:7], v[166:167]
	v_fma_f64 v[162:163], v[4:5], v[166:167], -v[168:169]
	v_add_f64_e32 v[164:165], v[18:19], v[16:17]
	v_add_f64_e32 v[24:25], v[24:25], v[26:27]
	ds_load_b128 v[4:7], v2 offset:1968
	ds_load_b128 v[16:19], v2 offset:1984
	v_fmac_f64_e32 v[28:29], v[22:23], v[170:171]
	v_fma_f64 v[20:21], v[20:21], v[170:171], -v[30:31]
	s_wait_loadcnt_dscnt 0x501
	v_mul_f64_e32 v[26:27], v[4:5], v[180:181]
	v_mul_f64_e32 v[166:167], v[6:7], v[180:181]
	s_wait_loadcnt_dscnt 0x300
	v_mul_f64_e32 v[30:31], v[16:17], v[192:193]
	v_add_f64_e32 v[22:23], v[164:165], v[162:163]
	v_add_f64_e32 v[24:25], v[24:25], v[186:187]
	v_mul_f64_e32 v[162:163], v[18:19], v[192:193]
	v_fmac_f64_e32 v[26:27], v[6:7], v[178:179]
	v_fma_f64 v[164:165], v[4:5], v[178:179], -v[166:167]
	v_fmac_f64_e32 v[30:31], v[18:19], v[190:191]
	v_add_f64_e32 v[166:167], v[22:23], v[20:21]
	v_add_f64_e32 v[24:25], v[24:25], v[28:29]
	ds_load_b128 v[4:7], v2 offset:2000
	ds_load_b128 v[20:23], v2 offset:2016
	v_fma_f64 v[16:17], v[16:17], v[190:191], -v[162:163]
	s_wait_loadcnt_dscnt 0x201
	v_mul_f64_e32 v[28:29], v[4:5], v[176:177]
	v_mul_f64_e32 v[168:169], v[6:7], v[176:177]
	v_add_f64_e32 v[18:19], v[166:167], v[164:165]
	v_add_f64_e32 v[24:25], v[24:25], v[26:27]
	s_wait_loadcnt_dscnt 0x100
	v_mul_f64_e32 v[26:27], v[20:21], v[10:11]
	v_mul_f64_e32 v[10:11], v[22:23], v[10:11]
	v_fmac_f64_e32 v[28:29], v[6:7], v[174:175]
	v_fma_f64 v[162:163], v[4:5], v[174:175], -v[168:169]
	ds_load_b128 v[4:7], v2 offset:2032
	v_add_f64_e32 v[16:17], v[18:19], v[16:17]
	v_add_f64_e32 v[18:19], v[24:25], v[30:31]
	v_fmac_f64_e32 v[26:27], v[22:23], v[8:9]
	v_fma_f64 v[8:9], v[20:21], v[8:9], -v[10:11]
	s_wait_loadcnt_dscnt 0x0
	v_mul_f64_e32 v[24:25], v[4:5], v[14:15]
	v_mul_f64_e32 v[14:15], v[6:7], v[14:15]
	v_add_f64_e32 v[10:11], v[16:17], v[162:163]
	v_add_f64_e32 v[16:17], v[18:19], v[28:29]
	s_delay_alu instid0(VALU_DEP_4) | instskip(NEXT) | instid1(VALU_DEP_4)
	v_fmac_f64_e32 v[24:25], v[6:7], v[12:13]
	v_fma_f64 v[4:5], v[4:5], v[12:13], -v[14:15]
	s_delay_alu instid0(VALU_DEP_4) | instskip(NEXT) | instid1(VALU_DEP_4)
	v_add_f64_e32 v[6:7], v[10:11], v[8:9]
	v_add_f64_e32 v[8:9], v[16:17], v[26:27]
	s_delay_alu instid0(VALU_DEP_2) | instskip(NEXT) | instid1(VALU_DEP_2)
	v_add_f64_e32 v[4:5], v[6:7], v[4:5]
	v_add_f64_e32 v[6:7], v[8:9], v[24:25]
	s_delay_alu instid0(VALU_DEP_2) | instskip(NEXT) | instid1(VALU_DEP_2)
	v_add_f64_e64 v[4:5], v[182:183], -v[4:5]
	v_add_f64_e64 v[6:7], v[184:185], -v[6:7]
	scratch_store_b128 off, v[4:7], off offset:768
	s_wait_xcnt 0x0
	v_cmpx_lt_u32_e32 47, v1
	s_cbranch_execz .LBB127_315
; %bb.314:
	scratch_load_b128 v[6:9], off, s35
	v_dual_mov_b32 v3, v2 :: v_dual_mov_b32 v4, v2
	v_mov_b32_e32 v5, v2
	scratch_store_b128 off, v[2:5], off offset:752
	s_wait_loadcnt 0x0
	ds_store_b128 v160, v[6:9]
.LBB127_315:
	s_wait_xcnt 0x0
	s_or_b32 exec_lo, exec_lo, s2
	s_wait_storecnt_dscnt 0x0
	s_barrier_signal -1
	s_barrier_wait -1
	s_clause 0x9
	scratch_load_b128 v[4:7], off, off offset:768
	scratch_load_b128 v[8:11], off, off offset:784
	;; [unrolled: 1-line block ×10, first 2 shown]
	ds_load_b128 v[174:177], v2 offset:1792
	ds_load_b128 v[182:185], v2 offset:1808
	s_clause 0x2
	scratch_load_b128 v[178:181], off, off offset:928
	scratch_load_b128 v[186:189], off, off offset:752
	;; [unrolled: 1-line block ×3, first 2 shown]
	s_mov_b32 s2, exec_lo
	s_wait_loadcnt_dscnt 0xc01
	v_mul_f64_e32 v[194:195], v[176:177], v[6:7]
	v_mul_f64_e32 v[198:199], v[174:175], v[6:7]
	s_wait_loadcnt_dscnt 0xb00
	v_mul_f64_e32 v[200:201], v[182:183], v[10:11]
	v_mul_f64_e32 v[10:11], v[184:185], v[10:11]
	s_delay_alu instid0(VALU_DEP_4) | instskip(NEXT) | instid1(VALU_DEP_4)
	v_fma_f64 v[202:203], v[174:175], v[4:5], -v[194:195]
	v_fmac_f64_e32 v[198:199], v[176:177], v[4:5]
	ds_load_b128 v[4:7], v2 offset:1824
	ds_load_b128 v[174:177], v2 offset:1840
	scratch_load_b128 v[194:197], off, off offset:960
	v_fmac_f64_e32 v[200:201], v[184:185], v[8:9]
	v_fma_f64 v[182:183], v[182:183], v[8:9], -v[10:11]
	scratch_load_b128 v[8:11], off, off offset:976
	s_wait_loadcnt_dscnt 0xc01
	v_mul_f64_e32 v[204:205], v[4:5], v[14:15]
	v_mul_f64_e32 v[14:15], v[6:7], v[14:15]
	v_add_f64_e32 v[184:185], 0, v[202:203]
	v_add_f64_e32 v[198:199], 0, v[198:199]
	s_wait_loadcnt_dscnt 0xb00
	v_mul_f64_e32 v[202:203], v[174:175], v[18:19]
	v_mul_f64_e32 v[18:19], v[176:177], v[18:19]
	v_fmac_f64_e32 v[204:205], v[6:7], v[12:13]
	v_fma_f64 v[206:207], v[4:5], v[12:13], -v[14:15]
	ds_load_b128 v[4:7], v2 offset:1856
	ds_load_b128 v[12:15], v2 offset:1872
	v_add_f64_e32 v[208:209], v[184:185], v[182:183]
	v_add_f64_e32 v[198:199], v[198:199], v[200:201]
	scratch_load_b128 v[182:185], off, off offset:992
	v_fmac_f64_e32 v[202:203], v[176:177], v[16:17]
	v_fma_f64 v[174:175], v[174:175], v[16:17], -v[18:19]
	scratch_load_b128 v[16:19], off, off offset:1008
	s_wait_loadcnt_dscnt 0xc01
	v_mul_f64_e32 v[200:201], v[4:5], v[22:23]
	v_mul_f64_e32 v[22:23], v[6:7], v[22:23]
	v_add_f64_e32 v[176:177], v[208:209], v[206:207]
	v_add_f64_e32 v[198:199], v[198:199], v[204:205]
	s_wait_loadcnt_dscnt 0xb00
	v_mul_f64_e32 v[204:205], v[12:13], v[26:27]
	v_mul_f64_e32 v[26:27], v[14:15], v[26:27]
	v_fmac_f64_e32 v[200:201], v[6:7], v[20:21]
	v_fma_f64 v[206:207], v[4:5], v[20:21], -v[22:23]
	ds_load_b128 v[4:7], v2 offset:1888
	ds_load_b128 v[20:23], v2 offset:1904
	v_add_f64_e32 v[174:175], v[176:177], v[174:175]
	v_add_f64_e32 v[176:177], v[198:199], v[202:203]
	s_wait_loadcnt_dscnt 0xa01
	v_mul_f64_e32 v[198:199], v[4:5], v[30:31]
	v_mul_f64_e32 v[30:31], v[6:7], v[30:31]
	v_fmac_f64_e32 v[204:205], v[14:15], v[24:25]
	v_fma_f64 v[12:13], v[12:13], v[24:25], -v[26:27]
	s_wait_loadcnt_dscnt 0x900
	v_mul_f64_e32 v[26:27], v[20:21], v[164:165]
	v_mul_f64_e32 v[164:165], v[22:23], v[164:165]
	v_add_f64_e32 v[14:15], v[174:175], v[206:207]
	v_add_f64_e32 v[24:25], v[176:177], v[200:201]
	v_fmac_f64_e32 v[198:199], v[6:7], v[28:29]
	v_fma_f64 v[28:29], v[4:5], v[28:29], -v[30:31]
	v_fmac_f64_e32 v[26:27], v[22:23], v[162:163]
	v_fma_f64 v[20:21], v[20:21], v[162:163], -v[164:165]
	v_add_f64_e32 v[30:31], v[14:15], v[12:13]
	v_add_f64_e32 v[24:25], v[24:25], v[204:205]
	ds_load_b128 v[4:7], v2 offset:1920
	ds_load_b128 v[12:15], v2 offset:1936
	s_wait_loadcnt_dscnt 0x801
	v_mul_f64_e32 v[174:175], v[4:5], v[168:169]
	v_mul_f64_e32 v[168:169], v[6:7], v[168:169]
	v_add_f64_e32 v[22:23], v[30:31], v[28:29]
	v_add_f64_e32 v[24:25], v[24:25], v[198:199]
	s_wait_loadcnt_dscnt 0x700
	v_mul_f64_e32 v[28:29], v[12:13], v[172:173]
	v_mul_f64_e32 v[30:31], v[14:15], v[172:173]
	v_fmac_f64_e32 v[174:175], v[6:7], v[166:167]
	v_fma_f64 v[162:163], v[4:5], v[166:167], -v[168:169]
	v_add_f64_e32 v[164:165], v[22:23], v[20:21]
	v_add_f64_e32 v[24:25], v[24:25], v[26:27]
	ds_load_b128 v[4:7], v2 offset:1952
	ds_load_b128 v[20:23], v2 offset:1968
	v_fmac_f64_e32 v[28:29], v[14:15], v[170:171]
	v_fma_f64 v[12:13], v[12:13], v[170:171], -v[30:31]
	s_wait_loadcnt_dscnt 0x601
	v_mul_f64_e32 v[26:27], v[4:5], v[180:181]
	v_mul_f64_e32 v[166:167], v[6:7], v[180:181]
	s_wait_loadcnt_dscnt 0x400
	v_mul_f64_e32 v[30:31], v[20:21], v[192:193]
	v_add_f64_e32 v[14:15], v[164:165], v[162:163]
	v_add_f64_e32 v[24:25], v[24:25], v[174:175]
	v_mul_f64_e32 v[162:163], v[22:23], v[192:193]
	v_fmac_f64_e32 v[26:27], v[6:7], v[178:179]
	v_fma_f64 v[164:165], v[4:5], v[178:179], -v[166:167]
	v_fmac_f64_e32 v[30:31], v[22:23], v[190:191]
	v_add_f64_e32 v[166:167], v[14:15], v[12:13]
	v_add_f64_e32 v[24:25], v[24:25], v[28:29]
	ds_load_b128 v[4:7], v2 offset:1984
	ds_load_b128 v[12:15], v2 offset:2000
	v_fma_f64 v[20:21], v[20:21], v[190:191], -v[162:163]
	s_wait_loadcnt_dscnt 0x301
	v_mul_f64_e32 v[28:29], v[4:5], v[196:197]
	v_mul_f64_e32 v[168:169], v[6:7], v[196:197]
	v_add_f64_e32 v[22:23], v[166:167], v[164:165]
	v_add_f64_e32 v[24:25], v[24:25], v[26:27]
	s_wait_loadcnt_dscnt 0x200
	v_mul_f64_e32 v[26:27], v[12:13], v[10:11]
	v_mul_f64_e32 v[10:11], v[14:15], v[10:11]
	v_fmac_f64_e32 v[28:29], v[6:7], v[194:195]
	v_fma_f64 v[162:163], v[4:5], v[194:195], -v[168:169]
	v_add_f64_e32 v[164:165], v[22:23], v[20:21]
	v_add_f64_e32 v[24:25], v[24:25], v[30:31]
	ds_load_b128 v[4:7], v2 offset:2016
	ds_load_b128 v[20:23], v2 offset:2032
	v_fmac_f64_e32 v[26:27], v[14:15], v[8:9]
	v_fma_f64 v[8:9], v[12:13], v[8:9], -v[10:11]
	s_wait_loadcnt_dscnt 0x101
	v_mul_f64_e32 v[2:3], v[4:5], v[184:185]
	v_mul_f64_e32 v[30:31], v[6:7], v[184:185]
	s_wait_loadcnt_dscnt 0x0
	v_mul_f64_e32 v[14:15], v[20:21], v[18:19]
	v_mul_f64_e32 v[18:19], v[22:23], v[18:19]
	v_add_f64_e32 v[10:11], v[164:165], v[162:163]
	v_add_f64_e32 v[12:13], v[24:25], v[28:29]
	v_fmac_f64_e32 v[2:3], v[6:7], v[182:183]
	v_fma_f64 v[4:5], v[4:5], v[182:183], -v[30:31]
	v_fmac_f64_e32 v[14:15], v[22:23], v[16:17]
	v_add_f64_e32 v[6:7], v[10:11], v[8:9]
	v_add_f64_e32 v[8:9], v[12:13], v[26:27]
	v_fma_f64 v[10:11], v[20:21], v[16:17], -v[18:19]
	s_delay_alu instid0(VALU_DEP_3) | instskip(NEXT) | instid1(VALU_DEP_3)
	v_add_f64_e32 v[4:5], v[6:7], v[4:5]
	v_add_f64_e32 v[2:3], v[8:9], v[2:3]
	s_delay_alu instid0(VALU_DEP_2) | instskip(NEXT) | instid1(VALU_DEP_2)
	v_add_f64_e32 v[4:5], v[4:5], v[10:11]
	v_add_f64_e32 v[6:7], v[2:3], v[14:15]
	s_delay_alu instid0(VALU_DEP_2) | instskip(NEXT) | instid1(VALU_DEP_2)
	v_add_f64_e64 v[2:3], v[186:187], -v[4:5]
	v_add_f64_e64 v[4:5], v[188:189], -v[6:7]
	scratch_store_b128 off, v[2:5], off offset:752
	s_wait_xcnt 0x0
	v_cmpx_lt_u32_e32 46, v1
	s_cbranch_execz .LBB127_317
; %bb.316:
	scratch_load_b128 v[2:5], off, s36
	v_mov_b32_e32 v6, 0
	s_delay_alu instid0(VALU_DEP_1)
	v_dual_mov_b32 v7, v6 :: v_dual_mov_b32 v8, v6
	v_mov_b32_e32 v9, v6
	scratch_store_b128 off, v[6:9], off offset:736
	s_wait_loadcnt 0x0
	ds_store_b128 v160, v[2:5]
.LBB127_317:
	s_wait_xcnt 0x0
	s_or_b32 exec_lo, exec_lo, s2
	s_wait_storecnt_dscnt 0x0
	s_barrier_signal -1
	s_barrier_wait -1
	s_clause 0x9
	scratch_load_b128 v[4:7], off, off offset:752
	scratch_load_b128 v[8:11], off, off offset:768
	;; [unrolled: 1-line block ×10, first 2 shown]
	v_mov_b32_e32 v2, 0
	s_mov_b32 s2, exec_lo
	ds_load_b128 v[174:177], v2 offset:1776
	s_clause 0x2
	scratch_load_b128 v[178:181], off, off offset:912
	scratch_load_b128 v[182:185], off, off offset:736
	scratch_load_b128 v[190:193], off, off offset:928
	s_wait_loadcnt_dscnt 0xc00
	v_mul_f64_e32 v[194:195], v[176:177], v[6:7]
	v_mul_f64_e32 v[198:199], v[174:175], v[6:7]
	ds_load_b128 v[186:189], v2 offset:1792
	v_fma_f64 v[202:203], v[174:175], v[4:5], -v[194:195]
	v_fmac_f64_e32 v[198:199], v[176:177], v[4:5]
	ds_load_b128 v[4:7], v2 offset:1808
	s_wait_loadcnt_dscnt 0xb01
	v_mul_f64_e32 v[200:201], v[186:187], v[10:11]
	v_mul_f64_e32 v[10:11], v[188:189], v[10:11]
	scratch_load_b128 v[174:177], off, off offset:944
	ds_load_b128 v[194:197], v2 offset:1824
	s_wait_loadcnt_dscnt 0xb01
	v_mul_f64_e32 v[204:205], v[4:5], v[14:15]
	v_mul_f64_e32 v[14:15], v[6:7], v[14:15]
	v_add_f64_e32 v[198:199], 0, v[198:199]
	v_fmac_f64_e32 v[200:201], v[188:189], v[8:9]
	v_fma_f64 v[186:187], v[186:187], v[8:9], -v[10:11]
	v_add_f64_e32 v[188:189], 0, v[202:203]
	scratch_load_b128 v[8:11], off, off offset:960
	v_fmac_f64_e32 v[204:205], v[6:7], v[12:13]
	v_fma_f64 v[206:207], v[4:5], v[12:13], -v[14:15]
	ds_load_b128 v[4:7], v2 offset:1840
	s_wait_loadcnt_dscnt 0xb01
	v_mul_f64_e32 v[202:203], v[194:195], v[18:19]
	v_mul_f64_e32 v[18:19], v[196:197], v[18:19]
	scratch_load_b128 v[12:15], off, off offset:976
	v_add_f64_e32 v[198:199], v[198:199], v[200:201]
	v_add_f64_e32 v[208:209], v[188:189], v[186:187]
	ds_load_b128 v[186:189], v2 offset:1856
	s_wait_loadcnt_dscnt 0xb01
	v_mul_f64_e32 v[200:201], v[4:5], v[22:23]
	v_mul_f64_e32 v[22:23], v[6:7], v[22:23]
	v_fmac_f64_e32 v[202:203], v[196:197], v[16:17]
	v_fma_f64 v[194:195], v[194:195], v[16:17], -v[18:19]
	scratch_load_b128 v[16:19], off, off offset:992
	v_add_f64_e32 v[198:199], v[198:199], v[204:205]
	v_add_f64_e32 v[196:197], v[208:209], v[206:207]
	v_fmac_f64_e32 v[200:201], v[6:7], v[20:21]
	v_fma_f64 v[206:207], v[4:5], v[20:21], -v[22:23]
	ds_load_b128 v[4:7], v2 offset:1872
	s_wait_loadcnt_dscnt 0xb01
	v_mul_f64_e32 v[204:205], v[186:187], v[26:27]
	v_mul_f64_e32 v[26:27], v[188:189], v[26:27]
	scratch_load_b128 v[20:23], off, off offset:1008
	v_add_f64_e32 v[198:199], v[198:199], v[202:203]
	s_wait_loadcnt_dscnt 0xb00
	v_mul_f64_e32 v[202:203], v[4:5], v[30:31]
	v_add_f64_e32 v[208:209], v[196:197], v[194:195]
	v_mul_f64_e32 v[30:31], v[6:7], v[30:31]
	ds_load_b128 v[194:197], v2 offset:1888
	v_fmac_f64_e32 v[204:205], v[188:189], v[24:25]
	v_fma_f64 v[24:25], v[186:187], v[24:25], -v[26:27]
	s_wait_loadcnt_dscnt 0xa00
	v_mul_f64_e32 v[188:189], v[194:195], v[164:165]
	v_mul_f64_e32 v[164:165], v[196:197], v[164:165]
	v_add_f64_e32 v[186:187], v[198:199], v[200:201]
	v_fmac_f64_e32 v[202:203], v[6:7], v[28:29]
	v_add_f64_e32 v[26:27], v[208:209], v[206:207]
	v_fma_f64 v[28:29], v[4:5], v[28:29], -v[30:31]
	v_fmac_f64_e32 v[188:189], v[196:197], v[162:163]
	v_fma_f64 v[162:163], v[194:195], v[162:163], -v[164:165]
	v_add_f64_e32 v[186:187], v[186:187], v[204:205]
	v_add_f64_e32 v[30:31], v[26:27], v[24:25]
	ds_load_b128 v[4:7], v2 offset:1904
	ds_load_b128 v[24:27], v2 offset:1920
	s_wait_loadcnt_dscnt 0x901
	v_mul_f64_e32 v[198:199], v[4:5], v[168:169]
	v_mul_f64_e32 v[168:169], v[6:7], v[168:169]
	s_wait_loadcnt_dscnt 0x800
	v_mul_f64_e32 v[164:165], v[24:25], v[172:173]
	v_mul_f64_e32 v[172:173], v[26:27], v[172:173]
	v_add_f64_e32 v[28:29], v[30:31], v[28:29]
	v_add_f64_e32 v[30:31], v[186:187], v[202:203]
	v_fmac_f64_e32 v[198:199], v[6:7], v[166:167]
	v_fma_f64 v[166:167], v[4:5], v[166:167], -v[168:169]
	v_fmac_f64_e32 v[164:165], v[26:27], v[170:171]
	v_fma_f64 v[24:25], v[24:25], v[170:171], -v[172:173]
	v_add_f64_e32 v[162:163], v[28:29], v[162:163]
	v_add_f64_e32 v[168:169], v[30:31], v[188:189]
	ds_load_b128 v[4:7], v2 offset:1936
	ds_load_b128 v[28:31], v2 offset:1952
	s_wait_loadcnt_dscnt 0x701
	v_mul_f64_e32 v[186:187], v[4:5], v[180:181]
	v_mul_f64_e32 v[180:181], v[6:7], v[180:181]
	v_add_f64_e32 v[26:27], v[162:163], v[166:167]
	v_add_f64_e32 v[162:163], v[168:169], v[198:199]
	s_wait_loadcnt_dscnt 0x500
	v_mul_f64_e32 v[166:167], v[28:29], v[192:193]
	v_mul_f64_e32 v[168:169], v[30:31], v[192:193]
	v_fmac_f64_e32 v[186:187], v[6:7], v[178:179]
	v_fma_f64 v[170:171], v[4:5], v[178:179], -v[180:181]
	v_add_f64_e32 v[172:173], v[26:27], v[24:25]
	v_add_f64_e32 v[162:163], v[162:163], v[164:165]
	ds_load_b128 v[4:7], v2 offset:1968
	ds_load_b128 v[24:27], v2 offset:1984
	v_fmac_f64_e32 v[166:167], v[30:31], v[190:191]
	v_fma_f64 v[28:29], v[28:29], v[190:191], -v[168:169]
	s_wait_loadcnt_dscnt 0x401
	v_mul_f64_e32 v[164:165], v[4:5], v[176:177]
	v_mul_f64_e32 v[176:177], v[6:7], v[176:177]
	v_add_f64_e32 v[30:31], v[172:173], v[170:171]
	v_add_f64_e32 v[162:163], v[162:163], v[186:187]
	s_wait_loadcnt_dscnt 0x300
	v_mul_f64_e32 v[168:169], v[24:25], v[10:11]
	v_mul_f64_e32 v[10:11], v[26:27], v[10:11]
	v_fmac_f64_e32 v[164:165], v[6:7], v[174:175]
	v_fma_f64 v[170:171], v[4:5], v[174:175], -v[176:177]
	v_add_f64_e32 v[172:173], v[30:31], v[28:29]
	v_add_f64_e32 v[162:163], v[162:163], v[166:167]
	ds_load_b128 v[4:7], v2 offset:2000
	ds_load_b128 v[28:31], v2 offset:2016
	v_fmac_f64_e32 v[168:169], v[26:27], v[8:9]
	v_fma_f64 v[8:9], v[24:25], v[8:9], -v[10:11]
	s_wait_loadcnt_dscnt 0x201
	v_mul_f64_e32 v[166:167], v[4:5], v[14:15]
	v_mul_f64_e32 v[14:15], v[6:7], v[14:15]
	s_wait_loadcnt_dscnt 0x100
	v_mul_f64_e32 v[26:27], v[28:29], v[18:19]
	v_mul_f64_e32 v[18:19], v[30:31], v[18:19]
	v_add_f64_e32 v[10:11], v[172:173], v[170:171]
	v_add_f64_e32 v[24:25], v[162:163], v[164:165]
	v_fmac_f64_e32 v[166:167], v[6:7], v[12:13]
	v_fma_f64 v[12:13], v[4:5], v[12:13], -v[14:15]
	ds_load_b128 v[4:7], v2 offset:2032
	v_fmac_f64_e32 v[26:27], v[30:31], v[16:17]
	v_fma_f64 v[16:17], v[28:29], v[16:17], -v[18:19]
	v_add_f64_e32 v[8:9], v[10:11], v[8:9]
	v_add_f64_e32 v[10:11], v[24:25], v[168:169]
	s_wait_loadcnt_dscnt 0x0
	v_mul_f64_e32 v[14:15], v[4:5], v[22:23]
	v_mul_f64_e32 v[22:23], v[6:7], v[22:23]
	s_delay_alu instid0(VALU_DEP_4) | instskip(NEXT) | instid1(VALU_DEP_4)
	v_add_f64_e32 v[8:9], v[8:9], v[12:13]
	v_add_f64_e32 v[10:11], v[10:11], v[166:167]
	s_delay_alu instid0(VALU_DEP_4) | instskip(NEXT) | instid1(VALU_DEP_4)
	v_fmac_f64_e32 v[14:15], v[6:7], v[20:21]
	v_fma_f64 v[4:5], v[4:5], v[20:21], -v[22:23]
	s_delay_alu instid0(VALU_DEP_4) | instskip(NEXT) | instid1(VALU_DEP_4)
	v_add_f64_e32 v[6:7], v[8:9], v[16:17]
	v_add_f64_e32 v[8:9], v[10:11], v[26:27]
	s_delay_alu instid0(VALU_DEP_2) | instskip(NEXT) | instid1(VALU_DEP_2)
	v_add_f64_e32 v[4:5], v[6:7], v[4:5]
	v_add_f64_e32 v[6:7], v[8:9], v[14:15]
	s_delay_alu instid0(VALU_DEP_2) | instskip(NEXT) | instid1(VALU_DEP_2)
	v_add_f64_e64 v[4:5], v[182:183], -v[4:5]
	v_add_f64_e64 v[6:7], v[184:185], -v[6:7]
	scratch_store_b128 off, v[4:7], off offset:736
	s_wait_xcnt 0x0
	v_cmpx_lt_u32_e32 45, v1
	s_cbranch_execz .LBB127_319
; %bb.318:
	scratch_load_b128 v[6:9], off, s37
	v_dual_mov_b32 v3, v2 :: v_dual_mov_b32 v4, v2
	v_mov_b32_e32 v5, v2
	scratch_store_b128 off, v[2:5], off offset:720
	s_wait_loadcnt 0x0
	ds_store_b128 v160, v[6:9]
.LBB127_319:
	s_wait_xcnt 0x0
	s_or_b32 exec_lo, exec_lo, s2
	s_wait_storecnt_dscnt 0x0
	s_barrier_signal -1
	s_barrier_wait -1
	s_clause 0x9
	scratch_load_b128 v[4:7], off, off offset:736
	scratch_load_b128 v[8:11], off, off offset:752
	;; [unrolled: 1-line block ×10, first 2 shown]
	ds_load_b128 v[174:177], v2 offset:1760
	ds_load_b128 v[182:185], v2 offset:1776
	s_clause 0x2
	scratch_load_b128 v[178:181], off, off offset:896
	scratch_load_b128 v[186:189], off, off offset:720
	;; [unrolled: 1-line block ×3, first 2 shown]
	s_mov_b32 s2, exec_lo
	s_wait_loadcnt_dscnt 0xc01
	v_mul_f64_e32 v[194:195], v[176:177], v[6:7]
	v_mul_f64_e32 v[198:199], v[174:175], v[6:7]
	s_wait_loadcnt_dscnt 0xb00
	v_mul_f64_e32 v[200:201], v[182:183], v[10:11]
	v_mul_f64_e32 v[10:11], v[184:185], v[10:11]
	s_delay_alu instid0(VALU_DEP_4) | instskip(NEXT) | instid1(VALU_DEP_4)
	v_fma_f64 v[202:203], v[174:175], v[4:5], -v[194:195]
	v_fmac_f64_e32 v[198:199], v[176:177], v[4:5]
	ds_load_b128 v[4:7], v2 offset:1792
	ds_load_b128 v[174:177], v2 offset:1808
	scratch_load_b128 v[194:197], off, off offset:928
	v_fmac_f64_e32 v[200:201], v[184:185], v[8:9]
	v_fma_f64 v[182:183], v[182:183], v[8:9], -v[10:11]
	scratch_load_b128 v[8:11], off, off offset:944
	s_wait_loadcnt_dscnt 0xc01
	v_mul_f64_e32 v[204:205], v[4:5], v[14:15]
	v_mul_f64_e32 v[14:15], v[6:7], v[14:15]
	v_add_f64_e32 v[184:185], 0, v[202:203]
	v_add_f64_e32 v[198:199], 0, v[198:199]
	s_wait_loadcnt_dscnt 0xb00
	v_mul_f64_e32 v[202:203], v[174:175], v[18:19]
	v_mul_f64_e32 v[18:19], v[176:177], v[18:19]
	v_fmac_f64_e32 v[204:205], v[6:7], v[12:13]
	v_fma_f64 v[206:207], v[4:5], v[12:13], -v[14:15]
	ds_load_b128 v[4:7], v2 offset:1824
	ds_load_b128 v[12:15], v2 offset:1840
	v_add_f64_e32 v[208:209], v[184:185], v[182:183]
	v_add_f64_e32 v[198:199], v[198:199], v[200:201]
	scratch_load_b128 v[182:185], off, off offset:960
	v_fmac_f64_e32 v[202:203], v[176:177], v[16:17]
	v_fma_f64 v[174:175], v[174:175], v[16:17], -v[18:19]
	scratch_load_b128 v[16:19], off, off offset:976
	s_wait_loadcnt_dscnt 0xc01
	v_mul_f64_e32 v[200:201], v[4:5], v[22:23]
	v_mul_f64_e32 v[22:23], v[6:7], v[22:23]
	v_add_f64_e32 v[176:177], v[208:209], v[206:207]
	v_add_f64_e32 v[198:199], v[198:199], v[204:205]
	s_wait_loadcnt_dscnt 0xb00
	v_mul_f64_e32 v[204:205], v[12:13], v[26:27]
	v_mul_f64_e32 v[26:27], v[14:15], v[26:27]
	v_fmac_f64_e32 v[200:201], v[6:7], v[20:21]
	v_fma_f64 v[206:207], v[4:5], v[20:21], -v[22:23]
	ds_load_b128 v[4:7], v2 offset:1856
	ds_load_b128 v[20:23], v2 offset:1872
	v_add_f64_e32 v[208:209], v[176:177], v[174:175]
	v_add_f64_e32 v[198:199], v[198:199], v[202:203]
	scratch_load_b128 v[174:177], off, off offset:992
	s_wait_loadcnt_dscnt 0xb01
	v_mul_f64_e32 v[202:203], v[4:5], v[30:31]
	v_mul_f64_e32 v[30:31], v[6:7], v[30:31]
	v_fmac_f64_e32 v[204:205], v[14:15], v[24:25]
	v_fma_f64 v[24:25], v[12:13], v[24:25], -v[26:27]
	scratch_load_b128 v[12:15], off, off offset:1008
	v_add_f64_e32 v[26:27], v[208:209], v[206:207]
	v_add_f64_e32 v[198:199], v[198:199], v[200:201]
	s_wait_loadcnt_dscnt 0xb00
	v_mul_f64_e32 v[200:201], v[20:21], v[164:165]
	v_mul_f64_e32 v[164:165], v[22:23], v[164:165]
	v_fmac_f64_e32 v[202:203], v[6:7], v[28:29]
	v_fma_f64 v[28:29], v[4:5], v[28:29], -v[30:31]
	v_add_f64_e32 v[30:31], v[26:27], v[24:25]
	v_add_f64_e32 v[198:199], v[198:199], v[204:205]
	ds_load_b128 v[4:7], v2 offset:1888
	ds_load_b128 v[24:27], v2 offset:1904
	v_fmac_f64_e32 v[200:201], v[22:23], v[162:163]
	v_fma_f64 v[20:21], v[20:21], v[162:163], -v[164:165]
	s_wait_loadcnt_dscnt 0xa01
	v_mul_f64_e32 v[204:205], v[4:5], v[168:169]
	v_mul_f64_e32 v[168:169], v[6:7], v[168:169]
	s_wait_loadcnt_dscnt 0x900
	v_mul_f64_e32 v[162:163], v[26:27], v[172:173]
	v_add_f64_e32 v[22:23], v[30:31], v[28:29]
	v_add_f64_e32 v[28:29], v[198:199], v[202:203]
	v_mul_f64_e32 v[30:31], v[24:25], v[172:173]
	v_fmac_f64_e32 v[204:205], v[6:7], v[166:167]
	v_fma_f64 v[164:165], v[4:5], v[166:167], -v[168:169]
	v_fma_f64 v[24:25], v[24:25], v[170:171], -v[162:163]
	v_add_f64_e32 v[166:167], v[22:23], v[20:21]
	v_add_f64_e32 v[28:29], v[28:29], v[200:201]
	ds_load_b128 v[4:7], v2 offset:1920
	ds_load_b128 v[20:23], v2 offset:1936
	v_fmac_f64_e32 v[30:31], v[26:27], v[170:171]
	s_wait_loadcnt_dscnt 0x801
	v_mul_f64_e32 v[168:169], v[4:5], v[180:181]
	v_mul_f64_e32 v[172:173], v[6:7], v[180:181]
	s_wait_loadcnt_dscnt 0x600
	v_mul_f64_e32 v[162:163], v[20:21], v[192:193]
	v_add_f64_e32 v[26:27], v[166:167], v[164:165]
	v_add_f64_e32 v[28:29], v[28:29], v[204:205]
	v_mul_f64_e32 v[164:165], v[22:23], v[192:193]
	v_fmac_f64_e32 v[168:169], v[6:7], v[178:179]
	v_fma_f64 v[166:167], v[4:5], v[178:179], -v[172:173]
	v_fmac_f64_e32 v[162:163], v[22:23], v[190:191]
	v_add_f64_e32 v[170:171], v[26:27], v[24:25]
	v_add_f64_e32 v[28:29], v[28:29], v[30:31]
	ds_load_b128 v[4:7], v2 offset:1952
	ds_load_b128 v[24:27], v2 offset:1968
	v_fma_f64 v[20:21], v[20:21], v[190:191], -v[164:165]
	s_wait_loadcnt_dscnt 0x501
	v_mul_f64_e32 v[30:31], v[4:5], v[196:197]
	v_mul_f64_e32 v[172:173], v[6:7], v[196:197]
	s_wait_loadcnt_dscnt 0x400
	v_mul_f64_e32 v[164:165], v[24:25], v[10:11]
	v_mul_f64_e32 v[10:11], v[26:27], v[10:11]
	v_add_f64_e32 v[22:23], v[170:171], v[166:167]
	v_add_f64_e32 v[28:29], v[28:29], v[168:169]
	v_fmac_f64_e32 v[30:31], v[6:7], v[194:195]
	v_fma_f64 v[166:167], v[4:5], v[194:195], -v[172:173]
	v_fmac_f64_e32 v[164:165], v[26:27], v[8:9]
	v_fma_f64 v[8:9], v[24:25], v[8:9], -v[10:11]
	v_add_f64_e32 v[168:169], v[22:23], v[20:21]
	v_add_f64_e32 v[28:29], v[28:29], v[162:163]
	ds_load_b128 v[4:7], v2 offset:1984
	ds_load_b128 v[20:23], v2 offset:2000
	s_wait_loadcnt_dscnt 0x301
	v_mul_f64_e32 v[162:163], v[4:5], v[184:185]
	v_mul_f64_e32 v[170:171], v[6:7], v[184:185]
	s_wait_loadcnt_dscnt 0x200
	v_mul_f64_e32 v[26:27], v[20:21], v[18:19]
	v_mul_f64_e32 v[18:19], v[22:23], v[18:19]
	v_add_f64_e32 v[10:11], v[168:169], v[166:167]
	v_add_f64_e32 v[24:25], v[28:29], v[30:31]
	v_fmac_f64_e32 v[162:163], v[6:7], v[182:183]
	v_fma_f64 v[28:29], v[4:5], v[182:183], -v[170:171]
	v_fmac_f64_e32 v[26:27], v[22:23], v[16:17]
	v_fma_f64 v[16:17], v[20:21], v[16:17], -v[18:19]
	v_add_f64_e32 v[30:31], v[10:11], v[8:9]
	v_add_f64_e32 v[24:25], v[24:25], v[164:165]
	ds_load_b128 v[4:7], v2 offset:2016
	ds_load_b128 v[8:11], v2 offset:2032
	s_wait_loadcnt_dscnt 0x101
	v_mul_f64_e32 v[2:3], v[4:5], v[176:177]
	v_mul_f64_e32 v[164:165], v[6:7], v[176:177]
	s_wait_loadcnt_dscnt 0x0
	v_mul_f64_e32 v[22:23], v[8:9], v[14:15]
	v_mul_f64_e32 v[14:15], v[10:11], v[14:15]
	v_add_f64_e32 v[18:19], v[30:31], v[28:29]
	v_add_f64_e32 v[20:21], v[24:25], v[162:163]
	v_fmac_f64_e32 v[2:3], v[6:7], v[174:175]
	v_fma_f64 v[4:5], v[4:5], v[174:175], -v[164:165]
	v_fmac_f64_e32 v[22:23], v[10:11], v[12:13]
	v_fma_f64 v[8:9], v[8:9], v[12:13], -v[14:15]
	v_add_f64_e32 v[6:7], v[18:19], v[16:17]
	v_add_f64_e32 v[16:17], v[20:21], v[26:27]
	s_delay_alu instid0(VALU_DEP_2) | instskip(NEXT) | instid1(VALU_DEP_2)
	v_add_f64_e32 v[4:5], v[6:7], v[4:5]
	v_add_f64_e32 v[2:3], v[16:17], v[2:3]
	s_delay_alu instid0(VALU_DEP_2) | instskip(NEXT) | instid1(VALU_DEP_2)
	;; [unrolled: 3-line block ×3, first 2 shown]
	v_add_f64_e64 v[2:3], v[186:187], -v[4:5]
	v_add_f64_e64 v[4:5], v[188:189], -v[6:7]
	scratch_store_b128 off, v[2:5], off offset:720
	s_wait_xcnt 0x0
	v_cmpx_lt_u32_e32 44, v1
	s_cbranch_execz .LBB127_321
; %bb.320:
	scratch_load_b128 v[2:5], off, s38
	v_mov_b32_e32 v6, 0
	s_delay_alu instid0(VALU_DEP_1)
	v_dual_mov_b32 v7, v6 :: v_dual_mov_b32 v8, v6
	v_mov_b32_e32 v9, v6
	scratch_store_b128 off, v[6:9], off offset:704
	s_wait_loadcnt 0x0
	ds_store_b128 v160, v[2:5]
.LBB127_321:
	s_wait_xcnt 0x0
	s_or_b32 exec_lo, exec_lo, s2
	s_wait_storecnt_dscnt 0x0
	s_barrier_signal -1
	s_barrier_wait -1
	s_clause 0x9
	scratch_load_b128 v[4:7], off, off offset:720
	scratch_load_b128 v[8:11], off, off offset:736
	;; [unrolled: 1-line block ×10, first 2 shown]
	v_mov_b32_e32 v2, 0
	s_mov_b32 s2, exec_lo
	ds_load_b128 v[174:177], v2 offset:1744
	s_clause 0x2
	scratch_load_b128 v[178:181], off, off offset:880
	scratch_load_b128 v[182:185], off, off offset:704
	;; [unrolled: 1-line block ×3, first 2 shown]
	s_wait_loadcnt_dscnt 0xc00
	v_mul_f64_e32 v[194:195], v[176:177], v[6:7]
	v_mul_f64_e32 v[198:199], v[174:175], v[6:7]
	ds_load_b128 v[186:189], v2 offset:1760
	v_fma_f64 v[202:203], v[174:175], v[4:5], -v[194:195]
	v_fmac_f64_e32 v[198:199], v[176:177], v[4:5]
	ds_load_b128 v[4:7], v2 offset:1776
	s_wait_loadcnt_dscnt 0xb01
	v_mul_f64_e32 v[200:201], v[186:187], v[10:11]
	v_mul_f64_e32 v[10:11], v[188:189], v[10:11]
	scratch_load_b128 v[174:177], off, off offset:912
	ds_load_b128 v[194:197], v2 offset:1792
	s_wait_loadcnt_dscnt 0xb01
	v_mul_f64_e32 v[204:205], v[4:5], v[14:15]
	v_mul_f64_e32 v[14:15], v[6:7], v[14:15]
	v_add_f64_e32 v[198:199], 0, v[198:199]
	v_fmac_f64_e32 v[200:201], v[188:189], v[8:9]
	v_fma_f64 v[186:187], v[186:187], v[8:9], -v[10:11]
	v_add_f64_e32 v[188:189], 0, v[202:203]
	scratch_load_b128 v[8:11], off, off offset:928
	v_fmac_f64_e32 v[204:205], v[6:7], v[12:13]
	v_fma_f64 v[206:207], v[4:5], v[12:13], -v[14:15]
	ds_load_b128 v[4:7], v2 offset:1808
	s_wait_loadcnt_dscnt 0xb01
	v_mul_f64_e32 v[202:203], v[194:195], v[18:19]
	v_mul_f64_e32 v[18:19], v[196:197], v[18:19]
	scratch_load_b128 v[12:15], off, off offset:944
	v_add_f64_e32 v[198:199], v[198:199], v[200:201]
	v_add_f64_e32 v[208:209], v[188:189], v[186:187]
	ds_load_b128 v[186:189], v2 offset:1824
	s_wait_loadcnt_dscnt 0xb01
	v_mul_f64_e32 v[200:201], v[4:5], v[22:23]
	v_mul_f64_e32 v[22:23], v[6:7], v[22:23]
	v_fmac_f64_e32 v[202:203], v[196:197], v[16:17]
	v_fma_f64 v[194:195], v[194:195], v[16:17], -v[18:19]
	scratch_load_b128 v[16:19], off, off offset:960
	v_add_f64_e32 v[198:199], v[198:199], v[204:205]
	v_add_f64_e32 v[196:197], v[208:209], v[206:207]
	v_fmac_f64_e32 v[200:201], v[6:7], v[20:21]
	v_fma_f64 v[206:207], v[4:5], v[20:21], -v[22:23]
	ds_load_b128 v[4:7], v2 offset:1840
	s_wait_loadcnt_dscnt 0xb01
	v_mul_f64_e32 v[204:205], v[186:187], v[26:27]
	v_mul_f64_e32 v[26:27], v[188:189], v[26:27]
	scratch_load_b128 v[20:23], off, off offset:976
	v_add_f64_e32 v[198:199], v[198:199], v[202:203]
	s_wait_loadcnt_dscnt 0xb00
	v_mul_f64_e32 v[202:203], v[4:5], v[30:31]
	v_add_f64_e32 v[208:209], v[196:197], v[194:195]
	v_mul_f64_e32 v[30:31], v[6:7], v[30:31]
	ds_load_b128 v[194:197], v2 offset:1856
	v_fmac_f64_e32 v[204:205], v[188:189], v[24:25]
	v_fma_f64 v[186:187], v[186:187], v[24:25], -v[26:27]
	scratch_load_b128 v[24:27], off, off offset:992
	v_add_f64_e32 v[198:199], v[198:199], v[200:201]
	v_fmac_f64_e32 v[202:203], v[6:7], v[28:29]
	v_add_f64_e32 v[188:189], v[208:209], v[206:207]
	v_fma_f64 v[206:207], v[4:5], v[28:29], -v[30:31]
	ds_load_b128 v[4:7], v2 offset:1872
	s_wait_loadcnt_dscnt 0xb01
	v_mul_f64_e32 v[200:201], v[194:195], v[164:165]
	v_mul_f64_e32 v[164:165], v[196:197], v[164:165]
	scratch_load_b128 v[28:31], off, off offset:1008
	v_add_f64_e32 v[198:199], v[198:199], v[204:205]
	s_wait_loadcnt_dscnt 0xb00
	v_mul_f64_e32 v[204:205], v[4:5], v[168:169]
	v_add_f64_e32 v[208:209], v[188:189], v[186:187]
	v_mul_f64_e32 v[168:169], v[6:7], v[168:169]
	ds_load_b128 v[186:189], v2 offset:1888
	v_fmac_f64_e32 v[200:201], v[196:197], v[162:163]
	v_fma_f64 v[162:163], v[194:195], v[162:163], -v[164:165]
	s_wait_loadcnt_dscnt 0xa00
	v_mul_f64_e32 v[196:197], v[186:187], v[172:173]
	v_mul_f64_e32 v[172:173], v[188:189], v[172:173]
	v_add_f64_e32 v[194:195], v[198:199], v[202:203]
	v_fmac_f64_e32 v[204:205], v[6:7], v[166:167]
	v_add_f64_e32 v[164:165], v[208:209], v[206:207]
	v_fma_f64 v[166:167], v[4:5], v[166:167], -v[168:169]
	v_fmac_f64_e32 v[196:197], v[188:189], v[170:171]
	v_fma_f64 v[170:171], v[186:187], v[170:171], -v[172:173]
	v_add_f64_e32 v[194:195], v[194:195], v[200:201]
	v_add_f64_e32 v[168:169], v[164:165], v[162:163]
	ds_load_b128 v[4:7], v2 offset:1904
	ds_load_b128 v[162:165], v2 offset:1920
	s_wait_loadcnt_dscnt 0x901
	v_mul_f64_e32 v[198:199], v[4:5], v[180:181]
	v_mul_f64_e32 v[180:181], v[6:7], v[180:181]
	s_wait_loadcnt_dscnt 0x700
	v_mul_f64_e32 v[172:173], v[162:163], v[192:193]
	v_mul_f64_e32 v[186:187], v[164:165], v[192:193]
	v_add_f64_e32 v[166:167], v[168:169], v[166:167]
	v_add_f64_e32 v[168:169], v[194:195], v[204:205]
	v_fmac_f64_e32 v[198:199], v[6:7], v[178:179]
	v_fma_f64 v[178:179], v[4:5], v[178:179], -v[180:181]
	v_fmac_f64_e32 v[172:173], v[164:165], v[190:191]
	v_fma_f64 v[162:163], v[162:163], v[190:191], -v[186:187]
	v_add_f64_e32 v[170:171], v[166:167], v[170:171]
	v_add_f64_e32 v[180:181], v[168:169], v[196:197]
	ds_load_b128 v[4:7], v2 offset:1936
	ds_load_b128 v[166:169], v2 offset:1952
	s_wait_loadcnt_dscnt 0x601
	v_mul_f64_e32 v[188:189], v[4:5], v[176:177]
	v_mul_f64_e32 v[176:177], v[6:7], v[176:177]
	v_add_f64_e32 v[164:165], v[170:171], v[178:179]
	v_add_f64_e32 v[170:171], v[180:181], v[198:199]
	s_wait_loadcnt_dscnt 0x500
	v_mul_f64_e32 v[178:179], v[166:167], v[10:11]
	v_mul_f64_e32 v[10:11], v[168:169], v[10:11]
	v_fmac_f64_e32 v[188:189], v[6:7], v[174:175]
	v_fma_f64 v[174:175], v[4:5], v[174:175], -v[176:177]
	v_add_f64_e32 v[176:177], v[164:165], v[162:163]
	v_add_f64_e32 v[170:171], v[170:171], v[172:173]
	ds_load_b128 v[4:7], v2 offset:1968
	ds_load_b128 v[162:165], v2 offset:1984
	v_fmac_f64_e32 v[178:179], v[168:169], v[8:9]
	v_fma_f64 v[8:9], v[166:167], v[8:9], -v[10:11]
	s_wait_loadcnt_dscnt 0x401
	v_mul_f64_e32 v[172:173], v[4:5], v[14:15]
	v_mul_f64_e32 v[14:15], v[6:7], v[14:15]
	s_wait_loadcnt_dscnt 0x300
	v_mul_f64_e32 v[168:169], v[162:163], v[18:19]
	v_mul_f64_e32 v[18:19], v[164:165], v[18:19]
	v_add_f64_e32 v[10:11], v[176:177], v[174:175]
	v_add_f64_e32 v[166:167], v[170:171], v[188:189]
	v_fmac_f64_e32 v[172:173], v[6:7], v[12:13]
	v_fma_f64 v[12:13], v[4:5], v[12:13], -v[14:15]
	v_fmac_f64_e32 v[168:169], v[164:165], v[16:17]
	v_fma_f64 v[16:17], v[162:163], v[16:17], -v[18:19]
	v_add_f64_e32 v[14:15], v[10:11], v[8:9]
	v_add_f64_e32 v[166:167], v[166:167], v[178:179]
	ds_load_b128 v[4:7], v2 offset:2000
	ds_load_b128 v[8:11], v2 offset:2016
	s_wait_loadcnt_dscnt 0x201
	v_mul_f64_e32 v[170:171], v[4:5], v[22:23]
	v_mul_f64_e32 v[22:23], v[6:7], v[22:23]
	s_wait_loadcnt_dscnt 0x100
	v_mul_f64_e32 v[18:19], v[8:9], v[26:27]
	v_mul_f64_e32 v[26:27], v[10:11], v[26:27]
	v_add_f64_e32 v[12:13], v[14:15], v[12:13]
	v_add_f64_e32 v[14:15], v[166:167], v[172:173]
	v_fmac_f64_e32 v[170:171], v[6:7], v[20:21]
	v_fma_f64 v[20:21], v[4:5], v[20:21], -v[22:23]
	ds_load_b128 v[4:7], v2 offset:2032
	v_fmac_f64_e32 v[18:19], v[10:11], v[24:25]
	v_fma_f64 v[8:9], v[8:9], v[24:25], -v[26:27]
	v_add_f64_e32 v[12:13], v[12:13], v[16:17]
	v_add_f64_e32 v[14:15], v[14:15], v[168:169]
	s_wait_loadcnt_dscnt 0x0
	v_mul_f64_e32 v[16:17], v[4:5], v[30:31]
	v_mul_f64_e32 v[22:23], v[6:7], v[30:31]
	s_delay_alu instid0(VALU_DEP_4) | instskip(NEXT) | instid1(VALU_DEP_4)
	v_add_f64_e32 v[10:11], v[12:13], v[20:21]
	v_add_f64_e32 v[12:13], v[14:15], v[170:171]
	s_delay_alu instid0(VALU_DEP_4) | instskip(NEXT) | instid1(VALU_DEP_4)
	v_fmac_f64_e32 v[16:17], v[6:7], v[28:29]
	v_fma_f64 v[4:5], v[4:5], v[28:29], -v[22:23]
	s_delay_alu instid0(VALU_DEP_4) | instskip(NEXT) | instid1(VALU_DEP_4)
	v_add_f64_e32 v[6:7], v[10:11], v[8:9]
	v_add_f64_e32 v[8:9], v[12:13], v[18:19]
	s_delay_alu instid0(VALU_DEP_2) | instskip(NEXT) | instid1(VALU_DEP_2)
	v_add_f64_e32 v[4:5], v[6:7], v[4:5]
	v_add_f64_e32 v[6:7], v[8:9], v[16:17]
	s_delay_alu instid0(VALU_DEP_2) | instskip(NEXT) | instid1(VALU_DEP_2)
	v_add_f64_e64 v[4:5], v[182:183], -v[4:5]
	v_add_f64_e64 v[6:7], v[184:185], -v[6:7]
	scratch_store_b128 off, v[4:7], off offset:704
	s_wait_xcnt 0x0
	v_cmpx_lt_u32_e32 43, v1
	s_cbranch_execz .LBB127_323
; %bb.322:
	scratch_load_b128 v[6:9], off, s39
	v_dual_mov_b32 v3, v2 :: v_dual_mov_b32 v4, v2
	v_mov_b32_e32 v5, v2
	scratch_store_b128 off, v[2:5], off offset:688
	s_wait_loadcnt 0x0
	ds_store_b128 v160, v[6:9]
.LBB127_323:
	s_wait_xcnt 0x0
	s_or_b32 exec_lo, exec_lo, s2
	s_wait_storecnt_dscnt 0x0
	s_barrier_signal -1
	s_barrier_wait -1
	s_clause 0x9
	scratch_load_b128 v[4:7], off, off offset:704
	scratch_load_b128 v[8:11], off, off offset:720
	;; [unrolled: 1-line block ×10, first 2 shown]
	ds_load_b128 v[174:177], v2 offset:1728
	ds_load_b128 v[182:185], v2 offset:1744
	s_clause 0x2
	scratch_load_b128 v[178:181], off, off offset:864
	scratch_load_b128 v[186:189], off, off offset:688
	;; [unrolled: 1-line block ×3, first 2 shown]
	s_mov_b32 s2, exec_lo
	s_wait_loadcnt_dscnt 0xc01
	v_mul_f64_e32 v[194:195], v[176:177], v[6:7]
	v_mul_f64_e32 v[198:199], v[174:175], v[6:7]
	s_wait_loadcnt_dscnt 0xb00
	v_mul_f64_e32 v[200:201], v[182:183], v[10:11]
	v_mul_f64_e32 v[10:11], v[184:185], v[10:11]
	s_delay_alu instid0(VALU_DEP_4) | instskip(NEXT) | instid1(VALU_DEP_4)
	v_fma_f64 v[202:203], v[174:175], v[4:5], -v[194:195]
	v_fmac_f64_e32 v[198:199], v[176:177], v[4:5]
	ds_load_b128 v[4:7], v2 offset:1760
	ds_load_b128 v[174:177], v2 offset:1776
	scratch_load_b128 v[194:197], off, off offset:896
	v_fmac_f64_e32 v[200:201], v[184:185], v[8:9]
	v_fma_f64 v[182:183], v[182:183], v[8:9], -v[10:11]
	scratch_load_b128 v[8:11], off, off offset:912
	s_wait_loadcnt_dscnt 0xc01
	v_mul_f64_e32 v[204:205], v[4:5], v[14:15]
	v_mul_f64_e32 v[14:15], v[6:7], v[14:15]
	v_add_f64_e32 v[184:185], 0, v[202:203]
	v_add_f64_e32 v[198:199], 0, v[198:199]
	s_wait_loadcnt_dscnt 0xb00
	v_mul_f64_e32 v[202:203], v[174:175], v[18:19]
	v_mul_f64_e32 v[18:19], v[176:177], v[18:19]
	v_fmac_f64_e32 v[204:205], v[6:7], v[12:13]
	v_fma_f64 v[206:207], v[4:5], v[12:13], -v[14:15]
	ds_load_b128 v[4:7], v2 offset:1792
	ds_load_b128 v[12:15], v2 offset:1808
	v_add_f64_e32 v[208:209], v[184:185], v[182:183]
	v_add_f64_e32 v[198:199], v[198:199], v[200:201]
	scratch_load_b128 v[182:185], off, off offset:928
	v_fmac_f64_e32 v[202:203], v[176:177], v[16:17]
	v_fma_f64 v[174:175], v[174:175], v[16:17], -v[18:19]
	scratch_load_b128 v[16:19], off, off offset:944
	s_wait_loadcnt_dscnt 0xc01
	v_mul_f64_e32 v[200:201], v[4:5], v[22:23]
	v_mul_f64_e32 v[22:23], v[6:7], v[22:23]
	v_add_f64_e32 v[176:177], v[208:209], v[206:207]
	v_add_f64_e32 v[198:199], v[198:199], v[204:205]
	s_wait_loadcnt_dscnt 0xb00
	v_mul_f64_e32 v[204:205], v[12:13], v[26:27]
	v_mul_f64_e32 v[26:27], v[14:15], v[26:27]
	v_fmac_f64_e32 v[200:201], v[6:7], v[20:21]
	v_fma_f64 v[206:207], v[4:5], v[20:21], -v[22:23]
	ds_load_b128 v[4:7], v2 offset:1824
	ds_load_b128 v[20:23], v2 offset:1840
	v_add_f64_e32 v[208:209], v[176:177], v[174:175]
	v_add_f64_e32 v[198:199], v[198:199], v[202:203]
	scratch_load_b128 v[174:177], off, off offset:960
	s_wait_loadcnt_dscnt 0xb01
	v_mul_f64_e32 v[202:203], v[4:5], v[30:31]
	v_mul_f64_e32 v[30:31], v[6:7], v[30:31]
	v_fmac_f64_e32 v[204:205], v[14:15], v[24:25]
	v_fma_f64 v[24:25], v[12:13], v[24:25], -v[26:27]
	scratch_load_b128 v[12:15], off, off offset:976
	v_add_f64_e32 v[26:27], v[208:209], v[206:207]
	v_add_f64_e32 v[198:199], v[198:199], v[200:201]
	s_wait_loadcnt_dscnt 0xb00
	v_mul_f64_e32 v[200:201], v[20:21], v[164:165]
	v_mul_f64_e32 v[164:165], v[22:23], v[164:165]
	v_fmac_f64_e32 v[202:203], v[6:7], v[28:29]
	v_fma_f64 v[206:207], v[4:5], v[28:29], -v[30:31]
	v_add_f64_e32 v[208:209], v[26:27], v[24:25]
	v_add_f64_e32 v[198:199], v[198:199], v[204:205]
	ds_load_b128 v[4:7], v2 offset:1856
	ds_load_b128 v[24:27], v2 offset:1872
	scratch_load_b128 v[28:31], off, off offset:992
	v_fmac_f64_e32 v[200:201], v[22:23], v[162:163]
	v_fma_f64 v[162:163], v[20:21], v[162:163], -v[164:165]
	scratch_load_b128 v[20:23], off, off offset:1008
	s_wait_loadcnt_dscnt 0xc01
	v_mul_f64_e32 v[204:205], v[4:5], v[168:169]
	v_mul_f64_e32 v[168:169], v[6:7], v[168:169]
	v_add_f64_e32 v[164:165], v[208:209], v[206:207]
	v_add_f64_e32 v[198:199], v[198:199], v[202:203]
	s_wait_loadcnt_dscnt 0xb00
	v_mul_f64_e32 v[202:203], v[24:25], v[172:173]
	v_mul_f64_e32 v[172:173], v[26:27], v[172:173]
	v_fmac_f64_e32 v[204:205], v[6:7], v[166:167]
	v_fma_f64 v[166:167], v[4:5], v[166:167], -v[168:169]
	v_add_f64_e32 v[168:169], v[164:165], v[162:163]
	v_add_f64_e32 v[198:199], v[198:199], v[200:201]
	ds_load_b128 v[4:7], v2 offset:1888
	ds_load_b128 v[162:165], v2 offset:1904
	v_fmac_f64_e32 v[202:203], v[26:27], v[170:171]
	v_fma_f64 v[24:25], v[24:25], v[170:171], -v[172:173]
	s_wait_loadcnt_dscnt 0xa01
	v_mul_f64_e32 v[200:201], v[4:5], v[180:181]
	v_mul_f64_e32 v[180:181], v[6:7], v[180:181]
	s_wait_loadcnt_dscnt 0x800
	v_mul_f64_e32 v[170:171], v[164:165], v[192:193]
	v_add_f64_e32 v[26:27], v[168:169], v[166:167]
	v_add_f64_e32 v[166:167], v[198:199], v[204:205]
	v_mul_f64_e32 v[168:169], v[162:163], v[192:193]
	v_fmac_f64_e32 v[200:201], v[6:7], v[178:179]
	v_fma_f64 v[172:173], v[4:5], v[178:179], -v[180:181]
	v_fma_f64 v[162:163], v[162:163], v[190:191], -v[170:171]
	v_add_f64_e32 v[178:179], v[26:27], v[24:25]
	v_add_f64_e32 v[166:167], v[166:167], v[202:203]
	ds_load_b128 v[4:7], v2 offset:1920
	ds_load_b128 v[24:27], v2 offset:1936
	v_fmac_f64_e32 v[168:169], v[164:165], v[190:191]
	s_wait_loadcnt_dscnt 0x701
	v_mul_f64_e32 v[180:181], v[4:5], v[196:197]
	v_mul_f64_e32 v[192:193], v[6:7], v[196:197]
	s_wait_loadcnt_dscnt 0x600
	v_mul_f64_e32 v[170:171], v[24:25], v[10:11]
	v_mul_f64_e32 v[10:11], v[26:27], v[10:11]
	v_add_f64_e32 v[164:165], v[178:179], v[172:173]
	v_add_f64_e32 v[166:167], v[166:167], v[200:201]
	v_fmac_f64_e32 v[180:181], v[6:7], v[194:195]
	v_fma_f64 v[172:173], v[4:5], v[194:195], -v[192:193]
	v_fmac_f64_e32 v[170:171], v[26:27], v[8:9]
	v_fma_f64 v[8:9], v[24:25], v[8:9], -v[10:11]
	v_add_f64_e32 v[178:179], v[164:165], v[162:163]
	v_add_f64_e32 v[166:167], v[166:167], v[168:169]
	ds_load_b128 v[4:7], v2 offset:1952
	ds_load_b128 v[162:165], v2 offset:1968
	s_wait_loadcnt_dscnt 0x501
	v_mul_f64_e32 v[168:169], v[4:5], v[184:185]
	v_mul_f64_e32 v[184:185], v[6:7], v[184:185]
	s_wait_loadcnt_dscnt 0x400
	v_mul_f64_e32 v[26:27], v[162:163], v[18:19]
	v_mul_f64_e32 v[18:19], v[164:165], v[18:19]
	v_add_f64_e32 v[10:11], v[178:179], v[172:173]
	v_add_f64_e32 v[24:25], v[166:167], v[180:181]
	v_fmac_f64_e32 v[168:169], v[6:7], v[182:183]
	v_fma_f64 v[166:167], v[4:5], v[182:183], -v[184:185]
	v_fmac_f64_e32 v[26:27], v[164:165], v[16:17]
	v_fma_f64 v[16:17], v[162:163], v[16:17], -v[18:19]
	v_add_f64_e32 v[172:173], v[10:11], v[8:9]
	v_add_f64_e32 v[24:25], v[24:25], v[170:171]
	ds_load_b128 v[4:7], v2 offset:1984
	ds_load_b128 v[8:11], v2 offset:2000
	;; [unrolled: 16-line block ×3, first 2 shown]
	s_wait_loadcnt_dscnt 0x101
	v_mul_f64_e32 v[2:3], v[4:5], v[30:31]
	v_mul_f64_e32 v[26:27], v[6:7], v[30:31]
	v_add_f64_e32 v[10:11], v[18:19], v[166:167]
	v_add_f64_e32 v[12:13], v[24:25], v[170:171]
	s_wait_loadcnt_dscnt 0x0
	v_mul_f64_e32 v[18:19], v[14:15], v[22:23]
	v_mul_f64_e32 v[22:23], v[16:17], v[22:23]
	v_fmac_f64_e32 v[2:3], v[6:7], v[28:29]
	v_fma_f64 v[4:5], v[4:5], v[28:29], -v[26:27]
	v_add_f64_e32 v[6:7], v[10:11], v[8:9]
	v_add_f64_e32 v[8:9], v[12:13], v[162:163]
	v_fmac_f64_e32 v[18:19], v[16:17], v[20:21]
	v_fma_f64 v[10:11], v[14:15], v[20:21], -v[22:23]
	s_delay_alu instid0(VALU_DEP_4) | instskip(NEXT) | instid1(VALU_DEP_4)
	v_add_f64_e32 v[4:5], v[6:7], v[4:5]
	v_add_f64_e32 v[2:3], v[8:9], v[2:3]
	s_delay_alu instid0(VALU_DEP_2) | instskip(NEXT) | instid1(VALU_DEP_2)
	v_add_f64_e32 v[4:5], v[4:5], v[10:11]
	v_add_f64_e32 v[6:7], v[2:3], v[18:19]
	s_delay_alu instid0(VALU_DEP_2) | instskip(NEXT) | instid1(VALU_DEP_2)
	v_add_f64_e64 v[2:3], v[186:187], -v[4:5]
	v_add_f64_e64 v[4:5], v[188:189], -v[6:7]
	scratch_store_b128 off, v[2:5], off offset:688
	s_wait_xcnt 0x0
	v_cmpx_lt_u32_e32 42, v1
	s_cbranch_execz .LBB127_325
; %bb.324:
	scratch_load_b128 v[2:5], off, s40
	v_mov_b32_e32 v6, 0
	s_delay_alu instid0(VALU_DEP_1)
	v_dual_mov_b32 v7, v6 :: v_dual_mov_b32 v8, v6
	v_mov_b32_e32 v9, v6
	scratch_store_b128 off, v[6:9], off offset:672
	s_wait_loadcnt 0x0
	ds_store_b128 v160, v[2:5]
.LBB127_325:
	s_wait_xcnt 0x0
	s_or_b32 exec_lo, exec_lo, s2
	s_wait_storecnt_dscnt 0x0
	s_barrier_signal -1
	s_barrier_wait -1
	s_clause 0x9
	scratch_load_b128 v[4:7], off, off offset:688
	scratch_load_b128 v[8:11], off, off offset:704
	;; [unrolled: 1-line block ×10, first 2 shown]
	v_mov_b32_e32 v2, 0
	s_mov_b32 s2, exec_lo
	ds_load_b128 v[174:177], v2 offset:1712
	s_clause 0x2
	scratch_load_b128 v[178:181], off, off offset:848
	scratch_load_b128 v[182:185], off, off offset:672
	;; [unrolled: 1-line block ×3, first 2 shown]
	s_wait_loadcnt_dscnt 0xc00
	v_mul_f64_e32 v[194:195], v[176:177], v[6:7]
	v_mul_f64_e32 v[198:199], v[174:175], v[6:7]
	ds_load_b128 v[186:189], v2 offset:1728
	v_fma_f64 v[202:203], v[174:175], v[4:5], -v[194:195]
	v_fmac_f64_e32 v[198:199], v[176:177], v[4:5]
	ds_load_b128 v[4:7], v2 offset:1744
	s_wait_loadcnt_dscnt 0xb01
	v_mul_f64_e32 v[200:201], v[186:187], v[10:11]
	v_mul_f64_e32 v[10:11], v[188:189], v[10:11]
	scratch_load_b128 v[174:177], off, off offset:880
	ds_load_b128 v[194:197], v2 offset:1760
	s_wait_loadcnt_dscnt 0xb01
	v_mul_f64_e32 v[204:205], v[4:5], v[14:15]
	v_mul_f64_e32 v[14:15], v[6:7], v[14:15]
	v_add_f64_e32 v[198:199], 0, v[198:199]
	v_fmac_f64_e32 v[200:201], v[188:189], v[8:9]
	v_fma_f64 v[186:187], v[186:187], v[8:9], -v[10:11]
	v_add_f64_e32 v[188:189], 0, v[202:203]
	scratch_load_b128 v[8:11], off, off offset:896
	v_fmac_f64_e32 v[204:205], v[6:7], v[12:13]
	v_fma_f64 v[206:207], v[4:5], v[12:13], -v[14:15]
	ds_load_b128 v[4:7], v2 offset:1776
	s_wait_loadcnt_dscnt 0xb01
	v_mul_f64_e32 v[202:203], v[194:195], v[18:19]
	v_mul_f64_e32 v[18:19], v[196:197], v[18:19]
	scratch_load_b128 v[12:15], off, off offset:912
	v_add_f64_e32 v[198:199], v[198:199], v[200:201]
	v_add_f64_e32 v[208:209], v[188:189], v[186:187]
	ds_load_b128 v[186:189], v2 offset:1792
	s_wait_loadcnt_dscnt 0xb01
	v_mul_f64_e32 v[200:201], v[4:5], v[22:23]
	v_mul_f64_e32 v[22:23], v[6:7], v[22:23]
	v_fmac_f64_e32 v[202:203], v[196:197], v[16:17]
	v_fma_f64 v[194:195], v[194:195], v[16:17], -v[18:19]
	scratch_load_b128 v[16:19], off, off offset:928
	v_add_f64_e32 v[198:199], v[198:199], v[204:205]
	v_add_f64_e32 v[196:197], v[208:209], v[206:207]
	v_fmac_f64_e32 v[200:201], v[6:7], v[20:21]
	v_fma_f64 v[206:207], v[4:5], v[20:21], -v[22:23]
	ds_load_b128 v[4:7], v2 offset:1808
	s_wait_loadcnt_dscnt 0xb01
	v_mul_f64_e32 v[204:205], v[186:187], v[26:27]
	v_mul_f64_e32 v[26:27], v[188:189], v[26:27]
	scratch_load_b128 v[20:23], off, off offset:944
	v_add_f64_e32 v[198:199], v[198:199], v[202:203]
	s_wait_loadcnt_dscnt 0xb00
	v_mul_f64_e32 v[202:203], v[4:5], v[30:31]
	v_add_f64_e32 v[208:209], v[196:197], v[194:195]
	v_mul_f64_e32 v[30:31], v[6:7], v[30:31]
	ds_load_b128 v[194:197], v2 offset:1824
	v_fmac_f64_e32 v[204:205], v[188:189], v[24:25]
	v_fma_f64 v[186:187], v[186:187], v[24:25], -v[26:27]
	scratch_load_b128 v[24:27], off, off offset:960
	v_add_f64_e32 v[198:199], v[198:199], v[200:201]
	v_fmac_f64_e32 v[202:203], v[6:7], v[28:29]
	v_add_f64_e32 v[188:189], v[208:209], v[206:207]
	v_fma_f64 v[206:207], v[4:5], v[28:29], -v[30:31]
	ds_load_b128 v[4:7], v2 offset:1840
	s_wait_loadcnt_dscnt 0xb01
	v_mul_f64_e32 v[200:201], v[194:195], v[164:165]
	v_mul_f64_e32 v[164:165], v[196:197], v[164:165]
	scratch_load_b128 v[28:31], off, off offset:976
	v_add_f64_e32 v[198:199], v[198:199], v[204:205]
	s_wait_loadcnt_dscnt 0xb00
	v_mul_f64_e32 v[204:205], v[4:5], v[168:169]
	v_add_f64_e32 v[208:209], v[188:189], v[186:187]
	v_mul_f64_e32 v[168:169], v[6:7], v[168:169]
	ds_load_b128 v[186:189], v2 offset:1856
	v_fmac_f64_e32 v[200:201], v[196:197], v[162:163]
	v_fma_f64 v[194:195], v[194:195], v[162:163], -v[164:165]
	scratch_load_b128 v[162:165], off, off offset:992
	v_add_f64_e32 v[198:199], v[198:199], v[202:203]
	v_fmac_f64_e32 v[204:205], v[6:7], v[166:167]
	v_add_f64_e32 v[196:197], v[208:209], v[206:207]
	v_fma_f64 v[206:207], v[4:5], v[166:167], -v[168:169]
	ds_load_b128 v[4:7], v2 offset:1872
	s_wait_loadcnt_dscnt 0xb01
	v_mul_f64_e32 v[202:203], v[186:187], v[172:173]
	v_mul_f64_e32 v[172:173], v[188:189], v[172:173]
	scratch_load_b128 v[166:169], off, off offset:1008
	v_add_f64_e32 v[198:199], v[198:199], v[200:201]
	s_wait_loadcnt_dscnt 0xb00
	v_mul_f64_e32 v[200:201], v[4:5], v[180:181]
	v_add_f64_e32 v[208:209], v[196:197], v[194:195]
	v_mul_f64_e32 v[180:181], v[6:7], v[180:181]
	ds_load_b128 v[194:197], v2 offset:1888
	v_fmac_f64_e32 v[202:203], v[188:189], v[170:171]
	v_fma_f64 v[170:171], v[186:187], v[170:171], -v[172:173]
	s_wait_loadcnt_dscnt 0x900
	v_mul_f64_e32 v[188:189], v[194:195], v[192:193]
	v_mul_f64_e32 v[192:193], v[196:197], v[192:193]
	v_add_f64_e32 v[186:187], v[198:199], v[204:205]
	v_fmac_f64_e32 v[200:201], v[6:7], v[178:179]
	v_add_f64_e32 v[172:173], v[208:209], v[206:207]
	v_fma_f64 v[178:179], v[4:5], v[178:179], -v[180:181]
	v_fmac_f64_e32 v[188:189], v[196:197], v[190:191]
	v_fma_f64 v[190:191], v[194:195], v[190:191], -v[192:193]
	v_add_f64_e32 v[186:187], v[186:187], v[202:203]
	v_add_f64_e32 v[180:181], v[172:173], v[170:171]
	ds_load_b128 v[4:7], v2 offset:1904
	ds_load_b128 v[170:173], v2 offset:1920
	s_wait_loadcnt_dscnt 0x801
	v_mul_f64_e32 v[198:199], v[4:5], v[176:177]
	v_mul_f64_e32 v[176:177], v[6:7], v[176:177]
	v_add_f64_e32 v[178:179], v[180:181], v[178:179]
	v_add_f64_e32 v[180:181], v[186:187], v[200:201]
	s_wait_loadcnt_dscnt 0x700
	v_mul_f64_e32 v[186:187], v[170:171], v[10:11]
	v_mul_f64_e32 v[10:11], v[172:173], v[10:11]
	v_fmac_f64_e32 v[198:199], v[6:7], v[174:175]
	v_fma_f64 v[192:193], v[4:5], v[174:175], -v[176:177]
	ds_load_b128 v[4:7], v2 offset:1936
	ds_load_b128 v[174:177], v2 offset:1952
	v_add_f64_e32 v[178:179], v[178:179], v[190:191]
	v_add_f64_e32 v[180:181], v[180:181], v[188:189]
	v_fmac_f64_e32 v[186:187], v[172:173], v[8:9]
	v_fma_f64 v[8:9], v[170:171], v[8:9], -v[10:11]
	s_wait_loadcnt_dscnt 0x601
	v_mul_f64_e32 v[188:189], v[4:5], v[14:15]
	v_mul_f64_e32 v[14:15], v[6:7], v[14:15]
	s_wait_loadcnt_dscnt 0x500
	v_mul_f64_e32 v[172:173], v[174:175], v[18:19]
	v_mul_f64_e32 v[18:19], v[176:177], v[18:19]
	v_add_f64_e32 v[10:11], v[178:179], v[192:193]
	v_add_f64_e32 v[170:171], v[180:181], v[198:199]
	v_fmac_f64_e32 v[188:189], v[6:7], v[12:13]
	v_fma_f64 v[12:13], v[4:5], v[12:13], -v[14:15]
	v_fmac_f64_e32 v[172:173], v[176:177], v[16:17]
	v_fma_f64 v[16:17], v[174:175], v[16:17], -v[18:19]
	v_add_f64_e32 v[14:15], v[10:11], v[8:9]
	v_add_f64_e32 v[170:171], v[170:171], v[186:187]
	ds_load_b128 v[4:7], v2 offset:1968
	ds_load_b128 v[8:11], v2 offset:1984
	s_wait_loadcnt_dscnt 0x401
	v_mul_f64_e32 v[178:179], v[4:5], v[22:23]
	v_mul_f64_e32 v[22:23], v[6:7], v[22:23]
	s_wait_loadcnt_dscnt 0x300
	v_mul_f64_e32 v[18:19], v[8:9], v[26:27]
	v_mul_f64_e32 v[26:27], v[10:11], v[26:27]
	v_add_f64_e32 v[12:13], v[14:15], v[12:13]
	v_add_f64_e32 v[14:15], v[170:171], v[188:189]
	v_fmac_f64_e32 v[178:179], v[6:7], v[20:21]
	v_fma_f64 v[20:21], v[4:5], v[20:21], -v[22:23]
	v_fmac_f64_e32 v[18:19], v[10:11], v[24:25]
	v_fma_f64 v[8:9], v[8:9], v[24:25], -v[26:27]
	v_add_f64_e32 v[16:17], v[12:13], v[16:17]
	v_add_f64_e32 v[22:23], v[14:15], v[172:173]
	ds_load_b128 v[4:7], v2 offset:2000
	ds_load_b128 v[12:15], v2 offset:2016
	s_wait_loadcnt_dscnt 0x201
	v_mul_f64_e32 v[170:171], v[4:5], v[30:31]
	v_mul_f64_e32 v[30:31], v[6:7], v[30:31]
	v_add_f64_e32 v[10:11], v[16:17], v[20:21]
	v_add_f64_e32 v[16:17], v[22:23], v[178:179]
	s_wait_loadcnt_dscnt 0x100
	v_mul_f64_e32 v[20:21], v[12:13], v[164:165]
	v_mul_f64_e32 v[22:23], v[14:15], v[164:165]
	v_fmac_f64_e32 v[170:171], v[6:7], v[28:29]
	v_fma_f64 v[24:25], v[4:5], v[28:29], -v[30:31]
	ds_load_b128 v[4:7], v2 offset:2032
	v_add_f64_e32 v[8:9], v[10:11], v[8:9]
	v_add_f64_e32 v[10:11], v[16:17], v[18:19]
	v_fmac_f64_e32 v[20:21], v[14:15], v[162:163]
	v_fma_f64 v[12:13], v[12:13], v[162:163], -v[22:23]
	s_wait_loadcnt_dscnt 0x0
	v_mul_f64_e32 v[16:17], v[4:5], v[168:169]
	v_mul_f64_e32 v[18:19], v[6:7], v[168:169]
	v_add_f64_e32 v[8:9], v[8:9], v[24:25]
	v_add_f64_e32 v[10:11], v[10:11], v[170:171]
	s_delay_alu instid0(VALU_DEP_4) | instskip(NEXT) | instid1(VALU_DEP_4)
	v_fmac_f64_e32 v[16:17], v[6:7], v[166:167]
	v_fma_f64 v[4:5], v[4:5], v[166:167], -v[18:19]
	s_delay_alu instid0(VALU_DEP_4) | instskip(NEXT) | instid1(VALU_DEP_4)
	v_add_f64_e32 v[6:7], v[8:9], v[12:13]
	v_add_f64_e32 v[8:9], v[10:11], v[20:21]
	s_delay_alu instid0(VALU_DEP_2) | instskip(NEXT) | instid1(VALU_DEP_2)
	v_add_f64_e32 v[4:5], v[6:7], v[4:5]
	v_add_f64_e32 v[6:7], v[8:9], v[16:17]
	s_delay_alu instid0(VALU_DEP_2) | instskip(NEXT) | instid1(VALU_DEP_2)
	v_add_f64_e64 v[4:5], v[182:183], -v[4:5]
	v_add_f64_e64 v[6:7], v[184:185], -v[6:7]
	scratch_store_b128 off, v[4:7], off offset:672
	s_wait_xcnt 0x0
	v_cmpx_lt_u32_e32 41, v1
	s_cbranch_execz .LBB127_327
; %bb.326:
	scratch_load_b128 v[6:9], off, s41
	v_dual_mov_b32 v3, v2 :: v_dual_mov_b32 v4, v2
	v_mov_b32_e32 v5, v2
	scratch_store_b128 off, v[2:5], off offset:656
	s_wait_loadcnt 0x0
	ds_store_b128 v160, v[6:9]
.LBB127_327:
	s_wait_xcnt 0x0
	s_or_b32 exec_lo, exec_lo, s2
	s_wait_storecnt_dscnt 0x0
	s_barrier_signal -1
	s_barrier_wait -1
	s_clause 0x9
	scratch_load_b128 v[4:7], off, off offset:672
	scratch_load_b128 v[8:11], off, off offset:688
	;; [unrolled: 1-line block ×10, first 2 shown]
	ds_load_b128 v[174:177], v2 offset:1696
	ds_load_b128 v[182:185], v2 offset:1712
	s_clause 0x2
	scratch_load_b128 v[178:181], off, off offset:832
	scratch_load_b128 v[186:189], off, off offset:656
	;; [unrolled: 1-line block ×3, first 2 shown]
	s_mov_b32 s2, exec_lo
	s_wait_loadcnt_dscnt 0xc01
	v_mul_f64_e32 v[194:195], v[176:177], v[6:7]
	v_mul_f64_e32 v[198:199], v[174:175], v[6:7]
	s_wait_loadcnt_dscnt 0xb00
	v_mul_f64_e32 v[200:201], v[182:183], v[10:11]
	v_mul_f64_e32 v[10:11], v[184:185], v[10:11]
	s_delay_alu instid0(VALU_DEP_4) | instskip(NEXT) | instid1(VALU_DEP_4)
	v_fma_f64 v[202:203], v[174:175], v[4:5], -v[194:195]
	v_fmac_f64_e32 v[198:199], v[176:177], v[4:5]
	ds_load_b128 v[4:7], v2 offset:1728
	ds_load_b128 v[174:177], v2 offset:1744
	scratch_load_b128 v[194:197], off, off offset:864
	v_fmac_f64_e32 v[200:201], v[184:185], v[8:9]
	v_fma_f64 v[182:183], v[182:183], v[8:9], -v[10:11]
	scratch_load_b128 v[8:11], off, off offset:880
	s_wait_loadcnt_dscnt 0xc01
	v_mul_f64_e32 v[204:205], v[4:5], v[14:15]
	v_mul_f64_e32 v[14:15], v[6:7], v[14:15]
	v_add_f64_e32 v[184:185], 0, v[202:203]
	v_add_f64_e32 v[198:199], 0, v[198:199]
	s_wait_loadcnt_dscnt 0xb00
	v_mul_f64_e32 v[202:203], v[174:175], v[18:19]
	v_mul_f64_e32 v[18:19], v[176:177], v[18:19]
	v_fmac_f64_e32 v[204:205], v[6:7], v[12:13]
	v_fma_f64 v[206:207], v[4:5], v[12:13], -v[14:15]
	ds_load_b128 v[4:7], v2 offset:1760
	ds_load_b128 v[12:15], v2 offset:1776
	v_add_f64_e32 v[208:209], v[184:185], v[182:183]
	v_add_f64_e32 v[198:199], v[198:199], v[200:201]
	scratch_load_b128 v[182:185], off, off offset:896
	v_fmac_f64_e32 v[202:203], v[176:177], v[16:17]
	v_fma_f64 v[174:175], v[174:175], v[16:17], -v[18:19]
	scratch_load_b128 v[16:19], off, off offset:912
	s_wait_loadcnt_dscnt 0xc01
	v_mul_f64_e32 v[200:201], v[4:5], v[22:23]
	v_mul_f64_e32 v[22:23], v[6:7], v[22:23]
	v_add_f64_e32 v[176:177], v[208:209], v[206:207]
	v_add_f64_e32 v[198:199], v[198:199], v[204:205]
	s_wait_loadcnt_dscnt 0xb00
	v_mul_f64_e32 v[204:205], v[12:13], v[26:27]
	v_mul_f64_e32 v[26:27], v[14:15], v[26:27]
	v_fmac_f64_e32 v[200:201], v[6:7], v[20:21]
	v_fma_f64 v[206:207], v[4:5], v[20:21], -v[22:23]
	ds_load_b128 v[4:7], v2 offset:1792
	ds_load_b128 v[20:23], v2 offset:1808
	v_add_f64_e32 v[208:209], v[176:177], v[174:175]
	v_add_f64_e32 v[198:199], v[198:199], v[202:203]
	scratch_load_b128 v[174:177], off, off offset:928
	s_wait_loadcnt_dscnt 0xb01
	v_mul_f64_e32 v[202:203], v[4:5], v[30:31]
	v_mul_f64_e32 v[30:31], v[6:7], v[30:31]
	v_fmac_f64_e32 v[204:205], v[14:15], v[24:25]
	v_fma_f64 v[24:25], v[12:13], v[24:25], -v[26:27]
	scratch_load_b128 v[12:15], off, off offset:944
	v_add_f64_e32 v[26:27], v[208:209], v[206:207]
	v_add_f64_e32 v[198:199], v[198:199], v[200:201]
	s_wait_loadcnt_dscnt 0xb00
	v_mul_f64_e32 v[200:201], v[20:21], v[164:165]
	v_mul_f64_e32 v[164:165], v[22:23], v[164:165]
	v_fmac_f64_e32 v[202:203], v[6:7], v[28:29]
	v_fma_f64 v[206:207], v[4:5], v[28:29], -v[30:31]
	v_add_f64_e32 v[208:209], v[26:27], v[24:25]
	v_add_f64_e32 v[198:199], v[198:199], v[204:205]
	ds_load_b128 v[4:7], v2 offset:1824
	ds_load_b128 v[24:27], v2 offset:1840
	scratch_load_b128 v[28:31], off, off offset:960
	v_fmac_f64_e32 v[200:201], v[22:23], v[162:163]
	v_fma_f64 v[162:163], v[20:21], v[162:163], -v[164:165]
	scratch_load_b128 v[20:23], off, off offset:976
	s_wait_loadcnt_dscnt 0xc01
	v_mul_f64_e32 v[204:205], v[4:5], v[168:169]
	v_mul_f64_e32 v[168:169], v[6:7], v[168:169]
	v_add_f64_e32 v[164:165], v[208:209], v[206:207]
	v_add_f64_e32 v[198:199], v[198:199], v[202:203]
	s_wait_loadcnt_dscnt 0xb00
	v_mul_f64_e32 v[202:203], v[24:25], v[172:173]
	v_mul_f64_e32 v[172:173], v[26:27], v[172:173]
	v_fmac_f64_e32 v[204:205], v[6:7], v[166:167]
	v_fma_f64 v[206:207], v[4:5], v[166:167], -v[168:169]
	v_add_f64_e32 v[208:209], v[164:165], v[162:163]
	v_add_f64_e32 v[198:199], v[198:199], v[200:201]
	ds_load_b128 v[4:7], v2 offset:1856
	ds_load_b128 v[162:165], v2 offset:1872
	scratch_load_b128 v[166:169], off, off offset:992
	v_fmac_f64_e32 v[202:203], v[26:27], v[170:171]
	v_fma_f64 v[170:171], v[24:25], v[170:171], -v[172:173]
	scratch_load_b128 v[24:27], off, off offset:1008
	s_wait_loadcnt_dscnt 0xc01
	v_mul_f64_e32 v[200:201], v[4:5], v[180:181]
	v_mul_f64_e32 v[180:181], v[6:7], v[180:181]
	v_add_f64_e32 v[172:173], v[208:209], v[206:207]
	v_add_f64_e32 v[198:199], v[198:199], v[204:205]
	s_wait_loadcnt_dscnt 0xa00
	v_mul_f64_e32 v[204:205], v[162:163], v[192:193]
	v_mul_f64_e32 v[192:193], v[164:165], v[192:193]
	v_fmac_f64_e32 v[200:201], v[6:7], v[178:179]
	v_fma_f64 v[178:179], v[4:5], v[178:179], -v[180:181]
	v_add_f64_e32 v[180:181], v[172:173], v[170:171]
	v_add_f64_e32 v[198:199], v[198:199], v[202:203]
	ds_load_b128 v[4:7], v2 offset:1888
	ds_load_b128 v[170:173], v2 offset:1904
	v_fmac_f64_e32 v[204:205], v[164:165], v[190:191]
	v_fma_f64 v[162:163], v[162:163], v[190:191], -v[192:193]
	s_wait_loadcnt_dscnt 0x901
	v_mul_f64_e32 v[202:203], v[4:5], v[196:197]
	v_mul_f64_e32 v[196:197], v[6:7], v[196:197]
	v_add_f64_e32 v[164:165], v[180:181], v[178:179]
	v_add_f64_e32 v[178:179], v[198:199], v[200:201]
	s_wait_loadcnt_dscnt 0x800
	v_mul_f64_e32 v[180:181], v[170:171], v[10:11]
	v_mul_f64_e32 v[10:11], v[172:173], v[10:11]
	v_fmac_f64_e32 v[202:203], v[6:7], v[194:195]
	v_fma_f64 v[190:191], v[4:5], v[194:195], -v[196:197]
	v_add_f64_e32 v[192:193], v[164:165], v[162:163]
	v_add_f64_e32 v[178:179], v[178:179], v[204:205]
	ds_load_b128 v[4:7], v2 offset:1920
	ds_load_b128 v[162:165], v2 offset:1936
	v_fmac_f64_e32 v[180:181], v[172:173], v[8:9]
	v_fma_f64 v[8:9], v[170:171], v[8:9], -v[10:11]
	s_wait_loadcnt_dscnt 0x701
	v_mul_f64_e32 v[194:195], v[4:5], v[184:185]
	v_mul_f64_e32 v[184:185], v[6:7], v[184:185]
	s_wait_loadcnt_dscnt 0x600
	v_mul_f64_e32 v[172:173], v[162:163], v[18:19]
	v_mul_f64_e32 v[18:19], v[164:165], v[18:19]
	v_add_f64_e32 v[10:11], v[192:193], v[190:191]
	v_add_f64_e32 v[170:171], v[178:179], v[202:203]
	v_fmac_f64_e32 v[194:195], v[6:7], v[182:183]
	v_fma_f64 v[178:179], v[4:5], v[182:183], -v[184:185]
	v_fmac_f64_e32 v[172:173], v[164:165], v[16:17]
	v_fma_f64 v[16:17], v[162:163], v[16:17], -v[18:19]
	v_add_f64_e32 v[182:183], v[10:11], v[8:9]
	v_add_f64_e32 v[170:171], v[170:171], v[180:181]
	ds_load_b128 v[4:7], v2 offset:1952
	ds_load_b128 v[8:11], v2 offset:1968
	s_wait_loadcnt_dscnt 0x501
	v_mul_f64_e32 v[180:181], v[4:5], v[176:177]
	v_mul_f64_e32 v[176:177], v[6:7], v[176:177]
	s_wait_loadcnt_dscnt 0x400
	v_mul_f64_e32 v[164:165], v[8:9], v[14:15]
	v_add_f64_e32 v[18:19], v[182:183], v[178:179]
	v_add_f64_e32 v[162:163], v[170:171], v[194:195]
	v_mul_f64_e32 v[170:171], v[10:11], v[14:15]
	v_fmac_f64_e32 v[180:181], v[6:7], v[174:175]
	v_fma_f64 v[174:175], v[4:5], v[174:175], -v[176:177]
	v_fmac_f64_e32 v[164:165], v[10:11], v[12:13]
	v_add_f64_e32 v[18:19], v[18:19], v[16:17]
	v_add_f64_e32 v[162:163], v[162:163], v[172:173]
	ds_load_b128 v[4:7], v2 offset:1984
	ds_load_b128 v[14:17], v2 offset:2000
	v_fma_f64 v[8:9], v[8:9], v[12:13], -v[170:171]
	s_wait_loadcnt_dscnt 0x301
	v_mul_f64_e32 v[172:173], v[4:5], v[30:31]
	v_mul_f64_e32 v[30:31], v[6:7], v[30:31]
	v_add_f64_e32 v[10:11], v[18:19], v[174:175]
	v_add_f64_e32 v[12:13], v[162:163], v[180:181]
	s_wait_loadcnt_dscnt 0x200
	v_mul_f64_e32 v[18:19], v[14:15], v[22:23]
	v_mul_f64_e32 v[22:23], v[16:17], v[22:23]
	v_fmac_f64_e32 v[172:173], v[6:7], v[28:29]
	v_fma_f64 v[28:29], v[4:5], v[28:29], -v[30:31]
	v_add_f64_e32 v[30:31], v[10:11], v[8:9]
	v_add_f64_e32 v[12:13], v[12:13], v[164:165]
	ds_load_b128 v[4:7], v2 offset:2016
	ds_load_b128 v[8:11], v2 offset:2032
	v_fmac_f64_e32 v[18:19], v[16:17], v[20:21]
	v_fma_f64 v[14:15], v[14:15], v[20:21], -v[22:23]
	s_wait_loadcnt_dscnt 0x101
	v_mul_f64_e32 v[2:3], v[4:5], v[168:169]
	v_mul_f64_e32 v[162:163], v[6:7], v[168:169]
	s_wait_loadcnt_dscnt 0x0
	v_mul_f64_e32 v[20:21], v[8:9], v[26:27]
	v_mul_f64_e32 v[22:23], v[10:11], v[26:27]
	v_add_f64_e32 v[16:17], v[30:31], v[28:29]
	v_add_f64_e32 v[12:13], v[12:13], v[172:173]
	v_fmac_f64_e32 v[2:3], v[6:7], v[166:167]
	v_fma_f64 v[4:5], v[4:5], v[166:167], -v[162:163]
	v_fmac_f64_e32 v[20:21], v[10:11], v[24:25]
	v_fma_f64 v[8:9], v[8:9], v[24:25], -v[22:23]
	v_add_f64_e32 v[6:7], v[16:17], v[14:15]
	v_add_f64_e32 v[12:13], v[12:13], v[18:19]
	s_delay_alu instid0(VALU_DEP_2) | instskip(NEXT) | instid1(VALU_DEP_2)
	v_add_f64_e32 v[4:5], v[6:7], v[4:5]
	v_add_f64_e32 v[2:3], v[12:13], v[2:3]
	s_delay_alu instid0(VALU_DEP_2) | instskip(NEXT) | instid1(VALU_DEP_2)
	;; [unrolled: 3-line block ×3, first 2 shown]
	v_add_f64_e64 v[2:3], v[186:187], -v[4:5]
	v_add_f64_e64 v[4:5], v[188:189], -v[6:7]
	scratch_store_b128 off, v[2:5], off offset:656
	s_wait_xcnt 0x0
	v_cmpx_lt_u32_e32 40, v1
	s_cbranch_execz .LBB127_329
; %bb.328:
	scratch_load_b128 v[2:5], off, s42
	v_mov_b32_e32 v6, 0
	s_delay_alu instid0(VALU_DEP_1)
	v_dual_mov_b32 v7, v6 :: v_dual_mov_b32 v8, v6
	v_mov_b32_e32 v9, v6
	scratch_store_b128 off, v[6:9], off offset:640
	s_wait_loadcnt 0x0
	ds_store_b128 v160, v[2:5]
.LBB127_329:
	s_wait_xcnt 0x0
	s_or_b32 exec_lo, exec_lo, s2
	s_wait_storecnt_dscnt 0x0
	s_barrier_signal -1
	s_barrier_wait -1
	s_clause 0x9
	scratch_load_b128 v[4:7], off, off offset:656
	scratch_load_b128 v[8:11], off, off offset:672
	;; [unrolled: 1-line block ×10, first 2 shown]
	v_mov_b32_e32 v2, 0
	s_mov_b32 s2, exec_lo
	ds_load_b128 v[174:177], v2 offset:1680
	s_clause 0x2
	scratch_load_b128 v[178:181], off, off offset:816
	scratch_load_b128 v[182:185], off, off offset:640
	;; [unrolled: 1-line block ×3, first 2 shown]
	s_wait_loadcnt_dscnt 0xc00
	v_mul_f64_e32 v[194:195], v[176:177], v[6:7]
	v_mul_f64_e32 v[198:199], v[174:175], v[6:7]
	ds_load_b128 v[186:189], v2 offset:1696
	v_fma_f64 v[202:203], v[174:175], v[4:5], -v[194:195]
	v_fmac_f64_e32 v[198:199], v[176:177], v[4:5]
	ds_load_b128 v[4:7], v2 offset:1712
	s_wait_loadcnt_dscnt 0xb01
	v_mul_f64_e32 v[200:201], v[186:187], v[10:11]
	v_mul_f64_e32 v[10:11], v[188:189], v[10:11]
	scratch_load_b128 v[174:177], off, off offset:848
	ds_load_b128 v[194:197], v2 offset:1728
	s_wait_loadcnt_dscnt 0xb01
	v_mul_f64_e32 v[204:205], v[4:5], v[14:15]
	v_mul_f64_e32 v[14:15], v[6:7], v[14:15]
	v_add_f64_e32 v[198:199], 0, v[198:199]
	v_fmac_f64_e32 v[200:201], v[188:189], v[8:9]
	v_fma_f64 v[186:187], v[186:187], v[8:9], -v[10:11]
	v_add_f64_e32 v[188:189], 0, v[202:203]
	scratch_load_b128 v[8:11], off, off offset:864
	v_fmac_f64_e32 v[204:205], v[6:7], v[12:13]
	v_fma_f64 v[206:207], v[4:5], v[12:13], -v[14:15]
	ds_load_b128 v[4:7], v2 offset:1744
	s_wait_loadcnt_dscnt 0xb01
	v_mul_f64_e32 v[202:203], v[194:195], v[18:19]
	v_mul_f64_e32 v[18:19], v[196:197], v[18:19]
	scratch_load_b128 v[12:15], off, off offset:880
	v_add_f64_e32 v[198:199], v[198:199], v[200:201]
	v_add_f64_e32 v[208:209], v[188:189], v[186:187]
	ds_load_b128 v[186:189], v2 offset:1760
	s_wait_loadcnt_dscnt 0xb01
	v_mul_f64_e32 v[200:201], v[4:5], v[22:23]
	v_mul_f64_e32 v[22:23], v[6:7], v[22:23]
	v_fmac_f64_e32 v[202:203], v[196:197], v[16:17]
	v_fma_f64 v[194:195], v[194:195], v[16:17], -v[18:19]
	scratch_load_b128 v[16:19], off, off offset:896
	v_add_f64_e32 v[198:199], v[198:199], v[204:205]
	v_add_f64_e32 v[196:197], v[208:209], v[206:207]
	v_fmac_f64_e32 v[200:201], v[6:7], v[20:21]
	v_fma_f64 v[206:207], v[4:5], v[20:21], -v[22:23]
	ds_load_b128 v[4:7], v2 offset:1776
	s_wait_loadcnt_dscnt 0xb01
	v_mul_f64_e32 v[204:205], v[186:187], v[26:27]
	v_mul_f64_e32 v[26:27], v[188:189], v[26:27]
	scratch_load_b128 v[20:23], off, off offset:912
	v_add_f64_e32 v[198:199], v[198:199], v[202:203]
	s_wait_loadcnt_dscnt 0xb00
	v_mul_f64_e32 v[202:203], v[4:5], v[30:31]
	v_add_f64_e32 v[208:209], v[196:197], v[194:195]
	v_mul_f64_e32 v[30:31], v[6:7], v[30:31]
	ds_load_b128 v[194:197], v2 offset:1792
	v_fmac_f64_e32 v[204:205], v[188:189], v[24:25]
	v_fma_f64 v[186:187], v[186:187], v[24:25], -v[26:27]
	scratch_load_b128 v[24:27], off, off offset:928
	v_add_f64_e32 v[198:199], v[198:199], v[200:201]
	v_fmac_f64_e32 v[202:203], v[6:7], v[28:29]
	v_add_f64_e32 v[188:189], v[208:209], v[206:207]
	v_fma_f64 v[206:207], v[4:5], v[28:29], -v[30:31]
	ds_load_b128 v[4:7], v2 offset:1808
	s_wait_loadcnt_dscnt 0xb01
	v_mul_f64_e32 v[200:201], v[194:195], v[164:165]
	v_mul_f64_e32 v[164:165], v[196:197], v[164:165]
	scratch_load_b128 v[28:31], off, off offset:944
	v_add_f64_e32 v[198:199], v[198:199], v[204:205]
	s_wait_loadcnt_dscnt 0xb00
	v_mul_f64_e32 v[204:205], v[4:5], v[168:169]
	v_add_f64_e32 v[208:209], v[188:189], v[186:187]
	v_mul_f64_e32 v[168:169], v[6:7], v[168:169]
	ds_load_b128 v[186:189], v2 offset:1824
	v_fmac_f64_e32 v[200:201], v[196:197], v[162:163]
	v_fma_f64 v[194:195], v[194:195], v[162:163], -v[164:165]
	scratch_load_b128 v[162:165], off, off offset:960
	v_add_f64_e32 v[198:199], v[198:199], v[202:203]
	v_fmac_f64_e32 v[204:205], v[6:7], v[166:167]
	v_add_f64_e32 v[196:197], v[208:209], v[206:207]
	;; [unrolled: 18-line block ×3, first 2 shown]
	v_fma_f64 v[206:207], v[4:5], v[178:179], -v[180:181]
	ds_load_b128 v[4:7], v2 offset:1872
	s_wait_loadcnt_dscnt 0xa01
	v_mul_f64_e32 v[204:205], v[194:195], v[192:193]
	v_mul_f64_e32 v[192:193], v[196:197], v[192:193]
	scratch_load_b128 v[178:181], off, off offset:1008
	v_add_f64_e32 v[198:199], v[198:199], v[202:203]
	v_add_f64_e32 v[208:209], v[188:189], v[186:187]
	s_wait_loadcnt_dscnt 0xa00
	v_mul_f64_e32 v[202:203], v[4:5], v[176:177]
	v_mul_f64_e32 v[176:177], v[6:7], v[176:177]
	v_fmac_f64_e32 v[204:205], v[196:197], v[190:191]
	v_fma_f64 v[190:191], v[194:195], v[190:191], -v[192:193]
	ds_load_b128 v[186:189], v2 offset:1888
	v_add_f64_e32 v[194:195], v[198:199], v[200:201]
	v_add_f64_e32 v[192:193], v[208:209], v[206:207]
	s_wait_loadcnt_dscnt 0x900
	v_mul_f64_e32 v[196:197], v[186:187], v[10:11]
	v_mul_f64_e32 v[10:11], v[188:189], v[10:11]
	v_fmac_f64_e32 v[202:203], v[6:7], v[174:175]
	v_fma_f64 v[198:199], v[4:5], v[174:175], -v[176:177]
	ds_load_b128 v[4:7], v2 offset:1904
	ds_load_b128 v[174:177], v2 offset:1920
	v_add_f64_e32 v[190:191], v[192:193], v[190:191]
	v_add_f64_e32 v[192:193], v[194:195], v[204:205]
	s_wait_loadcnt_dscnt 0x801
	v_mul_f64_e32 v[194:195], v[4:5], v[14:15]
	v_mul_f64_e32 v[14:15], v[6:7], v[14:15]
	v_fmac_f64_e32 v[196:197], v[188:189], v[8:9]
	v_fma_f64 v[8:9], v[186:187], v[8:9], -v[10:11]
	s_wait_loadcnt_dscnt 0x700
	v_mul_f64_e32 v[188:189], v[174:175], v[18:19]
	v_mul_f64_e32 v[18:19], v[176:177], v[18:19]
	v_add_f64_e32 v[10:11], v[190:191], v[198:199]
	v_add_f64_e32 v[186:187], v[192:193], v[202:203]
	v_fmac_f64_e32 v[194:195], v[6:7], v[12:13]
	v_fma_f64 v[12:13], v[4:5], v[12:13], -v[14:15]
	v_fmac_f64_e32 v[188:189], v[176:177], v[16:17]
	v_fma_f64 v[16:17], v[174:175], v[16:17], -v[18:19]
	v_add_f64_e32 v[14:15], v[10:11], v[8:9]
	v_add_f64_e32 v[186:187], v[186:187], v[196:197]
	ds_load_b128 v[4:7], v2 offset:1936
	ds_load_b128 v[8:11], v2 offset:1952
	s_wait_loadcnt_dscnt 0x601
	v_mul_f64_e32 v[190:191], v[4:5], v[22:23]
	v_mul_f64_e32 v[22:23], v[6:7], v[22:23]
	s_wait_loadcnt_dscnt 0x500
	v_mul_f64_e32 v[18:19], v[8:9], v[26:27]
	v_mul_f64_e32 v[26:27], v[10:11], v[26:27]
	v_add_f64_e32 v[12:13], v[14:15], v[12:13]
	v_add_f64_e32 v[14:15], v[186:187], v[194:195]
	v_fmac_f64_e32 v[190:191], v[6:7], v[20:21]
	v_fma_f64 v[20:21], v[4:5], v[20:21], -v[22:23]
	v_fmac_f64_e32 v[18:19], v[10:11], v[24:25]
	v_fma_f64 v[8:9], v[8:9], v[24:25], -v[26:27]
	v_add_f64_e32 v[16:17], v[12:13], v[16:17]
	v_add_f64_e32 v[22:23], v[14:15], v[188:189]
	ds_load_b128 v[4:7], v2 offset:1968
	ds_load_b128 v[12:15], v2 offset:1984
	s_wait_loadcnt_dscnt 0x401
	v_mul_f64_e32 v[174:175], v[4:5], v[30:31]
	v_mul_f64_e32 v[30:31], v[6:7], v[30:31]
	v_add_f64_e32 v[10:11], v[16:17], v[20:21]
	v_add_f64_e32 v[16:17], v[22:23], v[190:191]
	s_wait_loadcnt_dscnt 0x300
	v_mul_f64_e32 v[20:21], v[12:13], v[164:165]
	v_mul_f64_e32 v[22:23], v[14:15], v[164:165]
	v_fmac_f64_e32 v[174:175], v[6:7], v[28:29]
	v_fma_f64 v[24:25], v[4:5], v[28:29], -v[30:31]
	v_add_f64_e32 v[26:27], v[10:11], v[8:9]
	v_add_f64_e32 v[16:17], v[16:17], v[18:19]
	ds_load_b128 v[4:7], v2 offset:2000
	ds_load_b128 v[8:11], v2 offset:2016
	v_fmac_f64_e32 v[20:21], v[14:15], v[162:163]
	v_fma_f64 v[12:13], v[12:13], v[162:163], -v[22:23]
	s_wait_loadcnt_dscnt 0x201
	v_mul_f64_e32 v[18:19], v[4:5], v[168:169]
	v_mul_f64_e32 v[28:29], v[6:7], v[168:169]
	s_wait_loadcnt_dscnt 0x100
	v_mul_f64_e32 v[22:23], v[8:9], v[172:173]
	v_add_f64_e32 v[14:15], v[26:27], v[24:25]
	v_add_f64_e32 v[16:17], v[16:17], v[174:175]
	v_mul_f64_e32 v[24:25], v[10:11], v[172:173]
	v_fmac_f64_e32 v[18:19], v[6:7], v[166:167]
	v_fma_f64 v[26:27], v[4:5], v[166:167], -v[28:29]
	ds_load_b128 v[4:7], v2 offset:2032
	v_fmac_f64_e32 v[22:23], v[10:11], v[170:171]
	v_add_f64_e32 v[12:13], v[14:15], v[12:13]
	v_add_f64_e32 v[14:15], v[16:17], v[20:21]
	v_fma_f64 v[8:9], v[8:9], v[170:171], -v[24:25]
	s_wait_loadcnt_dscnt 0x0
	v_mul_f64_e32 v[16:17], v[4:5], v[180:181]
	v_mul_f64_e32 v[20:21], v[6:7], v[180:181]
	v_add_f64_e32 v[10:11], v[12:13], v[26:27]
	v_add_f64_e32 v[12:13], v[14:15], v[18:19]
	s_delay_alu instid0(VALU_DEP_4) | instskip(NEXT) | instid1(VALU_DEP_4)
	v_fmac_f64_e32 v[16:17], v[6:7], v[178:179]
	v_fma_f64 v[4:5], v[4:5], v[178:179], -v[20:21]
	s_delay_alu instid0(VALU_DEP_4) | instskip(NEXT) | instid1(VALU_DEP_4)
	v_add_f64_e32 v[6:7], v[10:11], v[8:9]
	v_add_f64_e32 v[8:9], v[12:13], v[22:23]
	s_delay_alu instid0(VALU_DEP_2) | instskip(NEXT) | instid1(VALU_DEP_2)
	v_add_f64_e32 v[4:5], v[6:7], v[4:5]
	v_add_f64_e32 v[6:7], v[8:9], v[16:17]
	s_delay_alu instid0(VALU_DEP_2) | instskip(NEXT) | instid1(VALU_DEP_2)
	v_add_f64_e64 v[4:5], v[182:183], -v[4:5]
	v_add_f64_e64 v[6:7], v[184:185], -v[6:7]
	scratch_store_b128 off, v[4:7], off offset:640
	s_wait_xcnt 0x0
	v_cmpx_lt_u32_e32 39, v1
	s_cbranch_execz .LBB127_331
; %bb.330:
	scratch_load_b128 v[6:9], off, s43
	v_dual_mov_b32 v3, v2 :: v_dual_mov_b32 v4, v2
	v_mov_b32_e32 v5, v2
	scratch_store_b128 off, v[2:5], off offset:624
	s_wait_loadcnt 0x0
	ds_store_b128 v160, v[6:9]
.LBB127_331:
	s_wait_xcnt 0x0
	s_or_b32 exec_lo, exec_lo, s2
	s_wait_storecnt_dscnt 0x0
	s_barrier_signal -1
	s_barrier_wait -1
	s_clause 0x9
	scratch_load_b128 v[4:7], off, off offset:640
	scratch_load_b128 v[8:11], off, off offset:656
	;; [unrolled: 1-line block ×10, first 2 shown]
	ds_load_b128 v[174:177], v2 offset:1664
	ds_load_b128 v[182:185], v2 offset:1680
	s_clause 0x2
	scratch_load_b128 v[178:181], off, off offset:800
	scratch_load_b128 v[186:189], off, off offset:624
	;; [unrolled: 1-line block ×3, first 2 shown]
	s_mov_b32 s2, exec_lo
	s_wait_loadcnt_dscnt 0xc01
	v_mul_f64_e32 v[194:195], v[176:177], v[6:7]
	v_mul_f64_e32 v[198:199], v[174:175], v[6:7]
	s_wait_loadcnt_dscnt 0xb00
	v_mul_f64_e32 v[200:201], v[182:183], v[10:11]
	v_mul_f64_e32 v[10:11], v[184:185], v[10:11]
	s_delay_alu instid0(VALU_DEP_4) | instskip(NEXT) | instid1(VALU_DEP_4)
	v_fma_f64 v[202:203], v[174:175], v[4:5], -v[194:195]
	v_fmac_f64_e32 v[198:199], v[176:177], v[4:5]
	ds_load_b128 v[4:7], v2 offset:1696
	ds_load_b128 v[174:177], v2 offset:1712
	scratch_load_b128 v[194:197], off, off offset:832
	v_fmac_f64_e32 v[200:201], v[184:185], v[8:9]
	v_fma_f64 v[182:183], v[182:183], v[8:9], -v[10:11]
	scratch_load_b128 v[8:11], off, off offset:848
	s_wait_loadcnt_dscnt 0xc01
	v_mul_f64_e32 v[204:205], v[4:5], v[14:15]
	v_mul_f64_e32 v[14:15], v[6:7], v[14:15]
	v_add_f64_e32 v[184:185], 0, v[202:203]
	v_add_f64_e32 v[198:199], 0, v[198:199]
	s_wait_loadcnt_dscnt 0xb00
	v_mul_f64_e32 v[202:203], v[174:175], v[18:19]
	v_mul_f64_e32 v[18:19], v[176:177], v[18:19]
	v_fmac_f64_e32 v[204:205], v[6:7], v[12:13]
	v_fma_f64 v[206:207], v[4:5], v[12:13], -v[14:15]
	ds_load_b128 v[4:7], v2 offset:1728
	ds_load_b128 v[12:15], v2 offset:1744
	v_add_f64_e32 v[208:209], v[184:185], v[182:183]
	v_add_f64_e32 v[198:199], v[198:199], v[200:201]
	scratch_load_b128 v[182:185], off, off offset:864
	v_fmac_f64_e32 v[202:203], v[176:177], v[16:17]
	v_fma_f64 v[174:175], v[174:175], v[16:17], -v[18:19]
	scratch_load_b128 v[16:19], off, off offset:880
	s_wait_loadcnt_dscnt 0xc01
	v_mul_f64_e32 v[200:201], v[4:5], v[22:23]
	v_mul_f64_e32 v[22:23], v[6:7], v[22:23]
	v_add_f64_e32 v[176:177], v[208:209], v[206:207]
	v_add_f64_e32 v[198:199], v[198:199], v[204:205]
	s_wait_loadcnt_dscnt 0xb00
	v_mul_f64_e32 v[204:205], v[12:13], v[26:27]
	v_mul_f64_e32 v[26:27], v[14:15], v[26:27]
	v_fmac_f64_e32 v[200:201], v[6:7], v[20:21]
	v_fma_f64 v[206:207], v[4:5], v[20:21], -v[22:23]
	ds_load_b128 v[4:7], v2 offset:1760
	ds_load_b128 v[20:23], v2 offset:1776
	v_add_f64_e32 v[208:209], v[176:177], v[174:175]
	v_add_f64_e32 v[198:199], v[198:199], v[202:203]
	scratch_load_b128 v[174:177], off, off offset:896
	s_wait_loadcnt_dscnt 0xb01
	v_mul_f64_e32 v[202:203], v[4:5], v[30:31]
	v_mul_f64_e32 v[30:31], v[6:7], v[30:31]
	v_fmac_f64_e32 v[204:205], v[14:15], v[24:25]
	v_fma_f64 v[24:25], v[12:13], v[24:25], -v[26:27]
	scratch_load_b128 v[12:15], off, off offset:912
	v_add_f64_e32 v[26:27], v[208:209], v[206:207]
	v_add_f64_e32 v[198:199], v[198:199], v[200:201]
	s_wait_loadcnt_dscnt 0xb00
	v_mul_f64_e32 v[200:201], v[20:21], v[164:165]
	v_mul_f64_e32 v[164:165], v[22:23], v[164:165]
	v_fmac_f64_e32 v[202:203], v[6:7], v[28:29]
	v_fma_f64 v[206:207], v[4:5], v[28:29], -v[30:31]
	v_add_f64_e32 v[208:209], v[26:27], v[24:25]
	v_add_f64_e32 v[198:199], v[198:199], v[204:205]
	ds_load_b128 v[4:7], v2 offset:1792
	ds_load_b128 v[24:27], v2 offset:1808
	scratch_load_b128 v[28:31], off, off offset:928
	v_fmac_f64_e32 v[200:201], v[22:23], v[162:163]
	v_fma_f64 v[162:163], v[20:21], v[162:163], -v[164:165]
	scratch_load_b128 v[20:23], off, off offset:944
	s_wait_loadcnt_dscnt 0xc01
	v_mul_f64_e32 v[204:205], v[4:5], v[168:169]
	v_mul_f64_e32 v[168:169], v[6:7], v[168:169]
	v_add_f64_e32 v[164:165], v[208:209], v[206:207]
	v_add_f64_e32 v[198:199], v[198:199], v[202:203]
	s_wait_loadcnt_dscnt 0xb00
	v_mul_f64_e32 v[202:203], v[24:25], v[172:173]
	v_mul_f64_e32 v[172:173], v[26:27], v[172:173]
	v_fmac_f64_e32 v[204:205], v[6:7], v[166:167]
	v_fma_f64 v[206:207], v[4:5], v[166:167], -v[168:169]
	v_add_f64_e32 v[208:209], v[164:165], v[162:163]
	v_add_f64_e32 v[198:199], v[198:199], v[200:201]
	ds_load_b128 v[4:7], v2 offset:1824
	ds_load_b128 v[162:165], v2 offset:1840
	scratch_load_b128 v[166:169], off, off offset:960
	v_fmac_f64_e32 v[202:203], v[26:27], v[170:171]
	v_fma_f64 v[170:171], v[24:25], v[170:171], -v[172:173]
	scratch_load_b128 v[24:27], off, off offset:976
	s_wait_loadcnt_dscnt 0xc01
	v_mul_f64_e32 v[200:201], v[4:5], v[180:181]
	v_mul_f64_e32 v[180:181], v[6:7], v[180:181]
	;; [unrolled: 18-line block ×3, first 2 shown]
	v_add_f64_e32 v[192:193], v[208:209], v[206:207]
	v_add_f64_e32 v[198:199], v[198:199], v[200:201]
	s_wait_loadcnt_dscnt 0xa00
	v_mul_f64_e32 v[200:201], v[170:171], v[10:11]
	v_mul_f64_e32 v[10:11], v[172:173], v[10:11]
	v_fmac_f64_e32 v[202:203], v[6:7], v[194:195]
	v_fma_f64 v[194:195], v[4:5], v[194:195], -v[196:197]
	v_add_f64_e32 v[196:197], v[192:193], v[190:191]
	v_add_f64_e32 v[198:199], v[198:199], v[204:205]
	ds_load_b128 v[4:7], v2 offset:1888
	ds_load_b128 v[190:193], v2 offset:1904
	v_fmac_f64_e32 v[200:201], v[172:173], v[8:9]
	v_fma_f64 v[8:9], v[170:171], v[8:9], -v[10:11]
	s_wait_loadcnt_dscnt 0x901
	v_mul_f64_e32 v[204:205], v[4:5], v[184:185]
	v_mul_f64_e32 v[184:185], v[6:7], v[184:185]
	s_wait_loadcnt_dscnt 0x800
	v_mul_f64_e32 v[172:173], v[190:191], v[18:19]
	v_mul_f64_e32 v[18:19], v[192:193], v[18:19]
	v_add_f64_e32 v[10:11], v[196:197], v[194:195]
	v_add_f64_e32 v[170:171], v[198:199], v[202:203]
	v_fmac_f64_e32 v[204:205], v[6:7], v[182:183]
	v_fma_f64 v[182:183], v[4:5], v[182:183], -v[184:185]
	v_fmac_f64_e32 v[172:173], v[192:193], v[16:17]
	v_fma_f64 v[16:17], v[190:191], v[16:17], -v[18:19]
	v_add_f64_e32 v[184:185], v[10:11], v[8:9]
	v_add_f64_e32 v[170:171], v[170:171], v[200:201]
	ds_load_b128 v[4:7], v2 offset:1920
	ds_load_b128 v[8:11], v2 offset:1936
	s_wait_loadcnt_dscnt 0x701
	v_mul_f64_e32 v[194:195], v[4:5], v[176:177]
	v_mul_f64_e32 v[176:177], v[6:7], v[176:177]
	v_add_f64_e32 v[18:19], v[184:185], v[182:183]
	v_add_f64_e32 v[170:171], v[170:171], v[204:205]
	s_wait_loadcnt_dscnt 0x600
	v_mul_f64_e32 v[182:183], v[8:9], v[14:15]
	v_mul_f64_e32 v[184:185], v[10:11], v[14:15]
	v_fmac_f64_e32 v[194:195], v[6:7], v[174:175]
	v_fma_f64 v[174:175], v[4:5], v[174:175], -v[176:177]
	v_add_f64_e32 v[18:19], v[18:19], v[16:17]
	v_add_f64_e32 v[170:171], v[170:171], v[172:173]
	ds_load_b128 v[4:7], v2 offset:1952
	ds_load_b128 v[14:17], v2 offset:1968
	v_fmac_f64_e32 v[182:183], v[10:11], v[12:13]
	v_fma_f64 v[8:9], v[8:9], v[12:13], -v[184:185]
	s_wait_loadcnt_dscnt 0x501
	v_mul_f64_e32 v[172:173], v[4:5], v[30:31]
	v_mul_f64_e32 v[30:31], v[6:7], v[30:31]
	v_add_f64_e32 v[10:11], v[18:19], v[174:175]
	v_add_f64_e32 v[12:13], v[170:171], v[194:195]
	s_wait_loadcnt_dscnt 0x400
	v_mul_f64_e32 v[18:19], v[14:15], v[22:23]
	v_mul_f64_e32 v[22:23], v[16:17], v[22:23]
	v_fmac_f64_e32 v[172:173], v[6:7], v[28:29]
	v_fma_f64 v[28:29], v[4:5], v[28:29], -v[30:31]
	v_add_f64_e32 v[30:31], v[10:11], v[8:9]
	v_add_f64_e32 v[12:13], v[12:13], v[182:183]
	ds_load_b128 v[4:7], v2 offset:1984
	ds_load_b128 v[8:11], v2 offset:2000
	v_fmac_f64_e32 v[18:19], v[16:17], v[20:21]
	v_fma_f64 v[14:15], v[14:15], v[20:21], -v[22:23]
	s_wait_loadcnt_dscnt 0x301
	v_mul_f64_e32 v[170:171], v[4:5], v[168:169]
	v_mul_f64_e32 v[168:169], v[6:7], v[168:169]
	s_wait_loadcnt_dscnt 0x200
	v_mul_f64_e32 v[20:21], v[8:9], v[26:27]
	v_mul_f64_e32 v[22:23], v[10:11], v[26:27]
	v_add_f64_e32 v[16:17], v[30:31], v[28:29]
	v_add_f64_e32 v[12:13], v[12:13], v[172:173]
	v_fmac_f64_e32 v[170:171], v[6:7], v[166:167]
	v_fma_f64 v[26:27], v[4:5], v[166:167], -v[168:169]
	v_fmac_f64_e32 v[20:21], v[10:11], v[24:25]
	v_fma_f64 v[8:9], v[8:9], v[24:25], -v[22:23]
	v_add_f64_e32 v[16:17], v[16:17], v[14:15]
	v_add_f64_e32 v[18:19], v[12:13], v[18:19]
	ds_load_b128 v[4:7], v2 offset:2016
	ds_load_b128 v[12:15], v2 offset:2032
	s_wait_loadcnt_dscnt 0x101
	v_mul_f64_e32 v[2:3], v[4:5], v[180:181]
	v_mul_f64_e32 v[28:29], v[6:7], v[180:181]
	s_wait_loadcnt_dscnt 0x0
	v_mul_f64_e32 v[22:23], v[14:15], v[164:165]
	v_add_f64_e32 v[10:11], v[16:17], v[26:27]
	v_add_f64_e32 v[16:17], v[18:19], v[170:171]
	v_mul_f64_e32 v[18:19], v[12:13], v[164:165]
	v_fmac_f64_e32 v[2:3], v[6:7], v[178:179]
	v_fma_f64 v[4:5], v[4:5], v[178:179], -v[28:29]
	v_add_f64_e32 v[6:7], v[10:11], v[8:9]
	v_add_f64_e32 v[8:9], v[16:17], v[20:21]
	v_fmac_f64_e32 v[18:19], v[14:15], v[162:163]
	v_fma_f64 v[10:11], v[12:13], v[162:163], -v[22:23]
	s_delay_alu instid0(VALU_DEP_4) | instskip(NEXT) | instid1(VALU_DEP_4)
	v_add_f64_e32 v[4:5], v[6:7], v[4:5]
	v_add_f64_e32 v[2:3], v[8:9], v[2:3]
	s_delay_alu instid0(VALU_DEP_2) | instskip(NEXT) | instid1(VALU_DEP_2)
	v_add_f64_e32 v[4:5], v[4:5], v[10:11]
	v_add_f64_e32 v[6:7], v[2:3], v[18:19]
	s_delay_alu instid0(VALU_DEP_2) | instskip(NEXT) | instid1(VALU_DEP_2)
	v_add_f64_e64 v[2:3], v[186:187], -v[4:5]
	v_add_f64_e64 v[4:5], v[188:189], -v[6:7]
	scratch_store_b128 off, v[2:5], off offset:624
	s_wait_xcnt 0x0
	v_cmpx_lt_u32_e32 38, v1
	s_cbranch_execz .LBB127_333
; %bb.332:
	scratch_load_b128 v[2:5], off, s44
	v_mov_b32_e32 v6, 0
	s_delay_alu instid0(VALU_DEP_1)
	v_dual_mov_b32 v7, v6 :: v_dual_mov_b32 v8, v6
	v_mov_b32_e32 v9, v6
	scratch_store_b128 off, v[6:9], off offset:608
	s_wait_loadcnt 0x0
	ds_store_b128 v160, v[2:5]
.LBB127_333:
	s_wait_xcnt 0x0
	s_or_b32 exec_lo, exec_lo, s2
	s_wait_storecnt_dscnt 0x0
	s_barrier_signal -1
	s_barrier_wait -1
	s_clause 0x9
	scratch_load_b128 v[4:7], off, off offset:624
	scratch_load_b128 v[8:11], off, off offset:640
	;; [unrolled: 1-line block ×10, first 2 shown]
	v_mov_b32_e32 v2, 0
	s_mov_b32 s2, exec_lo
	ds_load_b128 v[174:177], v2 offset:1648
	s_clause 0x2
	scratch_load_b128 v[178:181], off, off offset:784
	scratch_load_b128 v[182:185], off, off offset:608
	;; [unrolled: 1-line block ×3, first 2 shown]
	s_wait_loadcnt_dscnt 0xc00
	v_mul_f64_e32 v[194:195], v[176:177], v[6:7]
	v_mul_f64_e32 v[198:199], v[174:175], v[6:7]
	ds_load_b128 v[186:189], v2 offset:1664
	v_fma_f64 v[202:203], v[174:175], v[4:5], -v[194:195]
	v_fmac_f64_e32 v[198:199], v[176:177], v[4:5]
	ds_load_b128 v[4:7], v2 offset:1680
	s_wait_loadcnt_dscnt 0xb01
	v_mul_f64_e32 v[200:201], v[186:187], v[10:11]
	v_mul_f64_e32 v[10:11], v[188:189], v[10:11]
	scratch_load_b128 v[174:177], off, off offset:816
	ds_load_b128 v[194:197], v2 offset:1696
	s_wait_loadcnt_dscnt 0xb01
	v_mul_f64_e32 v[204:205], v[4:5], v[14:15]
	v_mul_f64_e32 v[14:15], v[6:7], v[14:15]
	v_add_f64_e32 v[198:199], 0, v[198:199]
	v_fmac_f64_e32 v[200:201], v[188:189], v[8:9]
	v_fma_f64 v[186:187], v[186:187], v[8:9], -v[10:11]
	v_add_f64_e32 v[188:189], 0, v[202:203]
	scratch_load_b128 v[8:11], off, off offset:832
	v_fmac_f64_e32 v[204:205], v[6:7], v[12:13]
	v_fma_f64 v[206:207], v[4:5], v[12:13], -v[14:15]
	ds_load_b128 v[4:7], v2 offset:1712
	s_wait_loadcnt_dscnt 0xb01
	v_mul_f64_e32 v[202:203], v[194:195], v[18:19]
	v_mul_f64_e32 v[18:19], v[196:197], v[18:19]
	scratch_load_b128 v[12:15], off, off offset:848
	v_add_f64_e32 v[198:199], v[198:199], v[200:201]
	v_add_f64_e32 v[208:209], v[188:189], v[186:187]
	ds_load_b128 v[186:189], v2 offset:1728
	s_wait_loadcnt_dscnt 0xb01
	v_mul_f64_e32 v[200:201], v[4:5], v[22:23]
	v_mul_f64_e32 v[22:23], v[6:7], v[22:23]
	v_fmac_f64_e32 v[202:203], v[196:197], v[16:17]
	v_fma_f64 v[194:195], v[194:195], v[16:17], -v[18:19]
	scratch_load_b128 v[16:19], off, off offset:864
	v_add_f64_e32 v[198:199], v[198:199], v[204:205]
	v_add_f64_e32 v[196:197], v[208:209], v[206:207]
	v_fmac_f64_e32 v[200:201], v[6:7], v[20:21]
	v_fma_f64 v[206:207], v[4:5], v[20:21], -v[22:23]
	ds_load_b128 v[4:7], v2 offset:1744
	s_wait_loadcnt_dscnt 0xb01
	v_mul_f64_e32 v[204:205], v[186:187], v[26:27]
	v_mul_f64_e32 v[26:27], v[188:189], v[26:27]
	scratch_load_b128 v[20:23], off, off offset:880
	v_add_f64_e32 v[198:199], v[198:199], v[202:203]
	s_wait_loadcnt_dscnt 0xb00
	v_mul_f64_e32 v[202:203], v[4:5], v[30:31]
	v_add_f64_e32 v[208:209], v[196:197], v[194:195]
	v_mul_f64_e32 v[30:31], v[6:7], v[30:31]
	ds_load_b128 v[194:197], v2 offset:1760
	v_fmac_f64_e32 v[204:205], v[188:189], v[24:25]
	v_fma_f64 v[186:187], v[186:187], v[24:25], -v[26:27]
	scratch_load_b128 v[24:27], off, off offset:896
	v_add_f64_e32 v[198:199], v[198:199], v[200:201]
	v_fmac_f64_e32 v[202:203], v[6:7], v[28:29]
	v_add_f64_e32 v[188:189], v[208:209], v[206:207]
	v_fma_f64 v[206:207], v[4:5], v[28:29], -v[30:31]
	ds_load_b128 v[4:7], v2 offset:1776
	s_wait_loadcnt_dscnt 0xb01
	v_mul_f64_e32 v[200:201], v[194:195], v[164:165]
	v_mul_f64_e32 v[164:165], v[196:197], v[164:165]
	scratch_load_b128 v[28:31], off, off offset:912
	v_add_f64_e32 v[198:199], v[198:199], v[204:205]
	s_wait_loadcnt_dscnt 0xb00
	v_mul_f64_e32 v[204:205], v[4:5], v[168:169]
	v_add_f64_e32 v[208:209], v[188:189], v[186:187]
	v_mul_f64_e32 v[168:169], v[6:7], v[168:169]
	ds_load_b128 v[186:189], v2 offset:1792
	v_fmac_f64_e32 v[200:201], v[196:197], v[162:163]
	v_fma_f64 v[194:195], v[194:195], v[162:163], -v[164:165]
	scratch_load_b128 v[162:165], off, off offset:928
	v_add_f64_e32 v[198:199], v[198:199], v[202:203]
	v_fmac_f64_e32 v[204:205], v[6:7], v[166:167]
	v_add_f64_e32 v[196:197], v[208:209], v[206:207]
	;; [unrolled: 18-line block ×3, first 2 shown]
	v_fma_f64 v[206:207], v[4:5], v[178:179], -v[180:181]
	ds_load_b128 v[4:7], v2 offset:1840
	s_wait_loadcnt_dscnt 0xa01
	v_mul_f64_e32 v[204:205], v[194:195], v[192:193]
	v_mul_f64_e32 v[192:193], v[196:197], v[192:193]
	scratch_load_b128 v[178:181], off, off offset:976
	v_add_f64_e32 v[198:199], v[198:199], v[202:203]
	v_add_f64_e32 v[208:209], v[188:189], v[186:187]
	s_wait_loadcnt_dscnt 0xa00
	v_mul_f64_e32 v[202:203], v[4:5], v[176:177]
	v_mul_f64_e32 v[176:177], v[6:7], v[176:177]
	v_fmac_f64_e32 v[204:205], v[196:197], v[190:191]
	v_fma_f64 v[194:195], v[194:195], v[190:191], -v[192:193]
	ds_load_b128 v[186:189], v2 offset:1856
	scratch_load_b128 v[190:193], off, off offset:992
	v_add_f64_e32 v[198:199], v[198:199], v[200:201]
	v_add_f64_e32 v[196:197], v[208:209], v[206:207]
	v_fmac_f64_e32 v[202:203], v[6:7], v[174:175]
	v_fma_f64 v[206:207], v[4:5], v[174:175], -v[176:177]
	ds_load_b128 v[4:7], v2 offset:1872
	s_wait_loadcnt_dscnt 0xa01
	v_mul_f64_e32 v[200:201], v[186:187], v[10:11]
	v_mul_f64_e32 v[10:11], v[188:189], v[10:11]
	scratch_load_b128 v[174:177], off, off offset:1008
	v_add_f64_e32 v[198:199], v[198:199], v[204:205]
	s_wait_loadcnt_dscnt 0xa00
	v_mul_f64_e32 v[204:205], v[4:5], v[14:15]
	v_add_f64_e32 v[208:209], v[196:197], v[194:195]
	v_mul_f64_e32 v[14:15], v[6:7], v[14:15]
	ds_load_b128 v[194:197], v2 offset:1888
	v_fmac_f64_e32 v[200:201], v[188:189], v[8:9]
	v_fma_f64 v[8:9], v[186:187], v[8:9], -v[10:11]
	s_wait_loadcnt_dscnt 0x900
	v_mul_f64_e32 v[188:189], v[194:195], v[18:19]
	v_mul_f64_e32 v[18:19], v[196:197], v[18:19]
	v_add_f64_e32 v[186:187], v[198:199], v[202:203]
	v_fmac_f64_e32 v[204:205], v[6:7], v[12:13]
	v_add_f64_e32 v[10:11], v[208:209], v[206:207]
	v_fma_f64 v[12:13], v[4:5], v[12:13], -v[14:15]
	v_fmac_f64_e32 v[188:189], v[196:197], v[16:17]
	v_fma_f64 v[16:17], v[194:195], v[16:17], -v[18:19]
	v_add_f64_e32 v[186:187], v[186:187], v[200:201]
	v_add_f64_e32 v[14:15], v[10:11], v[8:9]
	ds_load_b128 v[4:7], v2 offset:1904
	ds_load_b128 v[8:11], v2 offset:1920
	s_wait_loadcnt_dscnt 0x801
	v_mul_f64_e32 v[198:199], v[4:5], v[22:23]
	v_mul_f64_e32 v[22:23], v[6:7], v[22:23]
	s_wait_loadcnt_dscnt 0x700
	v_mul_f64_e32 v[18:19], v[8:9], v[26:27]
	v_mul_f64_e32 v[26:27], v[10:11], v[26:27]
	v_add_f64_e32 v[12:13], v[14:15], v[12:13]
	v_add_f64_e32 v[14:15], v[186:187], v[204:205]
	v_fmac_f64_e32 v[198:199], v[6:7], v[20:21]
	v_fma_f64 v[20:21], v[4:5], v[20:21], -v[22:23]
	v_fmac_f64_e32 v[18:19], v[10:11], v[24:25]
	v_fma_f64 v[8:9], v[8:9], v[24:25], -v[26:27]
	v_add_f64_e32 v[16:17], v[12:13], v[16:17]
	v_add_f64_e32 v[22:23], v[14:15], v[188:189]
	ds_load_b128 v[4:7], v2 offset:1936
	ds_load_b128 v[12:15], v2 offset:1952
	s_wait_loadcnt_dscnt 0x601
	v_mul_f64_e32 v[186:187], v[4:5], v[30:31]
	v_mul_f64_e32 v[30:31], v[6:7], v[30:31]
	v_add_f64_e32 v[10:11], v[16:17], v[20:21]
	v_add_f64_e32 v[16:17], v[22:23], v[198:199]
	s_wait_loadcnt_dscnt 0x500
	v_mul_f64_e32 v[20:21], v[12:13], v[164:165]
	v_mul_f64_e32 v[22:23], v[14:15], v[164:165]
	v_fmac_f64_e32 v[186:187], v[6:7], v[28:29]
	v_fma_f64 v[24:25], v[4:5], v[28:29], -v[30:31]
	v_add_f64_e32 v[26:27], v[10:11], v[8:9]
	v_add_f64_e32 v[16:17], v[16:17], v[18:19]
	ds_load_b128 v[4:7], v2 offset:1968
	ds_load_b128 v[8:11], v2 offset:1984
	v_fmac_f64_e32 v[20:21], v[14:15], v[162:163]
	v_fma_f64 v[12:13], v[12:13], v[162:163], -v[22:23]
	s_wait_loadcnt_dscnt 0x401
	v_mul_f64_e32 v[18:19], v[4:5], v[168:169]
	v_mul_f64_e32 v[28:29], v[6:7], v[168:169]
	s_wait_loadcnt_dscnt 0x300
	v_mul_f64_e32 v[22:23], v[8:9], v[172:173]
	v_add_f64_e32 v[14:15], v[26:27], v[24:25]
	v_add_f64_e32 v[16:17], v[16:17], v[186:187]
	v_mul_f64_e32 v[24:25], v[10:11], v[172:173]
	v_fmac_f64_e32 v[18:19], v[6:7], v[166:167]
	v_fma_f64 v[26:27], v[4:5], v[166:167], -v[28:29]
	v_fmac_f64_e32 v[22:23], v[10:11], v[170:171]
	v_add_f64_e32 v[28:29], v[14:15], v[12:13]
	v_add_f64_e32 v[16:17], v[16:17], v[20:21]
	ds_load_b128 v[4:7], v2 offset:2000
	ds_load_b128 v[12:15], v2 offset:2016
	v_fma_f64 v[8:9], v[8:9], v[170:171], -v[24:25]
	s_wait_loadcnt_dscnt 0x201
	v_mul_f64_e32 v[20:21], v[4:5], v[180:181]
	v_mul_f64_e32 v[30:31], v[6:7], v[180:181]
	s_wait_loadcnt_dscnt 0x100
	v_mul_f64_e32 v[24:25], v[14:15], v[192:193]
	v_add_f64_e32 v[10:11], v[28:29], v[26:27]
	v_add_f64_e32 v[16:17], v[16:17], v[18:19]
	v_mul_f64_e32 v[18:19], v[12:13], v[192:193]
	v_fmac_f64_e32 v[20:21], v[6:7], v[178:179]
	v_fma_f64 v[26:27], v[4:5], v[178:179], -v[30:31]
	ds_load_b128 v[4:7], v2 offset:2032
	v_fma_f64 v[12:13], v[12:13], v[190:191], -v[24:25]
	v_add_f64_e32 v[8:9], v[10:11], v[8:9]
	v_add_f64_e32 v[10:11], v[16:17], v[22:23]
	v_fmac_f64_e32 v[18:19], v[14:15], v[190:191]
	s_wait_loadcnt_dscnt 0x0
	v_mul_f64_e32 v[16:17], v[4:5], v[176:177]
	v_mul_f64_e32 v[22:23], v[6:7], v[176:177]
	v_add_f64_e32 v[8:9], v[8:9], v[26:27]
	v_add_f64_e32 v[10:11], v[10:11], v[20:21]
	s_delay_alu instid0(VALU_DEP_4) | instskip(NEXT) | instid1(VALU_DEP_4)
	v_fmac_f64_e32 v[16:17], v[6:7], v[174:175]
	v_fma_f64 v[4:5], v[4:5], v[174:175], -v[22:23]
	s_delay_alu instid0(VALU_DEP_4) | instskip(NEXT) | instid1(VALU_DEP_4)
	v_add_f64_e32 v[6:7], v[8:9], v[12:13]
	v_add_f64_e32 v[8:9], v[10:11], v[18:19]
	s_delay_alu instid0(VALU_DEP_2) | instskip(NEXT) | instid1(VALU_DEP_2)
	v_add_f64_e32 v[4:5], v[6:7], v[4:5]
	v_add_f64_e32 v[6:7], v[8:9], v[16:17]
	s_delay_alu instid0(VALU_DEP_2) | instskip(NEXT) | instid1(VALU_DEP_2)
	v_add_f64_e64 v[4:5], v[182:183], -v[4:5]
	v_add_f64_e64 v[6:7], v[184:185], -v[6:7]
	scratch_store_b128 off, v[4:7], off offset:608
	s_wait_xcnt 0x0
	v_cmpx_lt_u32_e32 37, v1
	s_cbranch_execz .LBB127_335
; %bb.334:
	scratch_load_b128 v[6:9], off, s45
	v_dual_mov_b32 v3, v2 :: v_dual_mov_b32 v4, v2
	v_mov_b32_e32 v5, v2
	scratch_store_b128 off, v[2:5], off offset:592
	s_wait_loadcnt 0x0
	ds_store_b128 v160, v[6:9]
.LBB127_335:
	s_wait_xcnt 0x0
	s_or_b32 exec_lo, exec_lo, s2
	s_wait_storecnt_dscnt 0x0
	s_barrier_signal -1
	s_barrier_wait -1
	s_clause 0x9
	scratch_load_b128 v[4:7], off, off offset:608
	scratch_load_b128 v[8:11], off, off offset:624
	;; [unrolled: 1-line block ×10, first 2 shown]
	ds_load_b128 v[174:177], v2 offset:1632
	ds_load_b128 v[182:185], v2 offset:1648
	s_clause 0x2
	scratch_load_b128 v[178:181], off, off offset:768
	scratch_load_b128 v[186:189], off, off offset:592
	;; [unrolled: 1-line block ×3, first 2 shown]
	s_mov_b32 s2, exec_lo
	s_wait_loadcnt_dscnt 0xc01
	v_mul_f64_e32 v[194:195], v[176:177], v[6:7]
	v_mul_f64_e32 v[198:199], v[174:175], v[6:7]
	s_wait_loadcnt_dscnt 0xb00
	v_mul_f64_e32 v[200:201], v[182:183], v[10:11]
	v_mul_f64_e32 v[10:11], v[184:185], v[10:11]
	s_delay_alu instid0(VALU_DEP_4) | instskip(NEXT) | instid1(VALU_DEP_4)
	v_fma_f64 v[202:203], v[174:175], v[4:5], -v[194:195]
	v_fmac_f64_e32 v[198:199], v[176:177], v[4:5]
	ds_load_b128 v[4:7], v2 offset:1664
	ds_load_b128 v[174:177], v2 offset:1680
	scratch_load_b128 v[194:197], off, off offset:800
	v_fmac_f64_e32 v[200:201], v[184:185], v[8:9]
	v_fma_f64 v[182:183], v[182:183], v[8:9], -v[10:11]
	scratch_load_b128 v[8:11], off, off offset:816
	s_wait_loadcnt_dscnt 0xc01
	v_mul_f64_e32 v[204:205], v[4:5], v[14:15]
	v_mul_f64_e32 v[14:15], v[6:7], v[14:15]
	v_add_f64_e32 v[184:185], 0, v[202:203]
	v_add_f64_e32 v[198:199], 0, v[198:199]
	s_wait_loadcnt_dscnt 0xb00
	v_mul_f64_e32 v[202:203], v[174:175], v[18:19]
	v_mul_f64_e32 v[18:19], v[176:177], v[18:19]
	v_fmac_f64_e32 v[204:205], v[6:7], v[12:13]
	v_fma_f64 v[206:207], v[4:5], v[12:13], -v[14:15]
	ds_load_b128 v[4:7], v2 offset:1696
	ds_load_b128 v[12:15], v2 offset:1712
	v_add_f64_e32 v[208:209], v[184:185], v[182:183]
	v_add_f64_e32 v[198:199], v[198:199], v[200:201]
	scratch_load_b128 v[182:185], off, off offset:832
	v_fmac_f64_e32 v[202:203], v[176:177], v[16:17]
	v_fma_f64 v[174:175], v[174:175], v[16:17], -v[18:19]
	scratch_load_b128 v[16:19], off, off offset:848
	s_wait_loadcnt_dscnt 0xc01
	v_mul_f64_e32 v[200:201], v[4:5], v[22:23]
	v_mul_f64_e32 v[22:23], v[6:7], v[22:23]
	v_add_f64_e32 v[176:177], v[208:209], v[206:207]
	v_add_f64_e32 v[198:199], v[198:199], v[204:205]
	s_wait_loadcnt_dscnt 0xb00
	v_mul_f64_e32 v[204:205], v[12:13], v[26:27]
	v_mul_f64_e32 v[26:27], v[14:15], v[26:27]
	v_fmac_f64_e32 v[200:201], v[6:7], v[20:21]
	v_fma_f64 v[206:207], v[4:5], v[20:21], -v[22:23]
	ds_load_b128 v[4:7], v2 offset:1728
	ds_load_b128 v[20:23], v2 offset:1744
	v_add_f64_e32 v[208:209], v[176:177], v[174:175]
	v_add_f64_e32 v[198:199], v[198:199], v[202:203]
	scratch_load_b128 v[174:177], off, off offset:864
	s_wait_loadcnt_dscnt 0xb01
	v_mul_f64_e32 v[202:203], v[4:5], v[30:31]
	v_mul_f64_e32 v[30:31], v[6:7], v[30:31]
	v_fmac_f64_e32 v[204:205], v[14:15], v[24:25]
	v_fma_f64 v[24:25], v[12:13], v[24:25], -v[26:27]
	scratch_load_b128 v[12:15], off, off offset:880
	v_add_f64_e32 v[26:27], v[208:209], v[206:207]
	v_add_f64_e32 v[198:199], v[198:199], v[200:201]
	s_wait_loadcnt_dscnt 0xb00
	v_mul_f64_e32 v[200:201], v[20:21], v[164:165]
	v_mul_f64_e32 v[164:165], v[22:23], v[164:165]
	v_fmac_f64_e32 v[202:203], v[6:7], v[28:29]
	v_fma_f64 v[206:207], v[4:5], v[28:29], -v[30:31]
	v_add_f64_e32 v[208:209], v[26:27], v[24:25]
	v_add_f64_e32 v[198:199], v[198:199], v[204:205]
	ds_load_b128 v[4:7], v2 offset:1760
	ds_load_b128 v[24:27], v2 offset:1776
	scratch_load_b128 v[28:31], off, off offset:896
	v_fmac_f64_e32 v[200:201], v[22:23], v[162:163]
	v_fma_f64 v[162:163], v[20:21], v[162:163], -v[164:165]
	scratch_load_b128 v[20:23], off, off offset:912
	s_wait_loadcnt_dscnt 0xc01
	v_mul_f64_e32 v[204:205], v[4:5], v[168:169]
	v_mul_f64_e32 v[168:169], v[6:7], v[168:169]
	v_add_f64_e32 v[164:165], v[208:209], v[206:207]
	v_add_f64_e32 v[198:199], v[198:199], v[202:203]
	s_wait_loadcnt_dscnt 0xb00
	v_mul_f64_e32 v[202:203], v[24:25], v[172:173]
	v_mul_f64_e32 v[172:173], v[26:27], v[172:173]
	v_fmac_f64_e32 v[204:205], v[6:7], v[166:167]
	v_fma_f64 v[206:207], v[4:5], v[166:167], -v[168:169]
	v_add_f64_e32 v[208:209], v[164:165], v[162:163]
	v_add_f64_e32 v[198:199], v[198:199], v[200:201]
	ds_load_b128 v[4:7], v2 offset:1792
	ds_load_b128 v[162:165], v2 offset:1808
	scratch_load_b128 v[166:169], off, off offset:928
	v_fmac_f64_e32 v[202:203], v[26:27], v[170:171]
	v_fma_f64 v[170:171], v[24:25], v[170:171], -v[172:173]
	scratch_load_b128 v[24:27], off, off offset:944
	s_wait_loadcnt_dscnt 0xc01
	v_mul_f64_e32 v[200:201], v[4:5], v[180:181]
	v_mul_f64_e32 v[180:181], v[6:7], v[180:181]
	;; [unrolled: 18-line block ×4, first 2 shown]
	v_add_f64_e32 v[172:173], v[208:209], v[206:207]
	v_add_f64_e32 v[198:199], v[198:199], v[202:203]
	s_wait_loadcnt_dscnt 0xa00
	v_mul_f64_e32 v[202:203], v[190:191], v[18:19]
	v_mul_f64_e32 v[18:19], v[192:193], v[18:19]
	v_fmac_f64_e32 v[204:205], v[6:7], v[182:183]
	v_fma_f64 v[182:183], v[4:5], v[182:183], -v[184:185]
	v_add_f64_e32 v[184:185], v[172:173], v[170:171]
	v_add_f64_e32 v[198:199], v[198:199], v[200:201]
	ds_load_b128 v[4:7], v2 offset:1888
	ds_load_b128 v[170:173], v2 offset:1904
	v_fmac_f64_e32 v[202:203], v[192:193], v[16:17]
	v_fma_f64 v[16:17], v[190:191], v[16:17], -v[18:19]
	s_wait_loadcnt_dscnt 0x901
	v_mul_f64_e32 v[200:201], v[4:5], v[176:177]
	v_mul_f64_e32 v[176:177], v[6:7], v[176:177]
	s_wait_loadcnt_dscnt 0x800
	v_mul_f64_e32 v[190:191], v[172:173], v[14:15]
	v_add_f64_e32 v[18:19], v[184:185], v[182:183]
	v_add_f64_e32 v[182:183], v[198:199], v[204:205]
	v_mul_f64_e32 v[184:185], v[170:171], v[14:15]
	v_fmac_f64_e32 v[200:201], v[6:7], v[174:175]
	v_fma_f64 v[174:175], v[4:5], v[174:175], -v[176:177]
	v_add_f64_e32 v[18:19], v[18:19], v[16:17]
	v_add_f64_e32 v[176:177], v[182:183], v[202:203]
	ds_load_b128 v[4:7], v2 offset:1920
	ds_load_b128 v[14:17], v2 offset:1936
	v_fmac_f64_e32 v[184:185], v[172:173], v[12:13]
	v_fma_f64 v[12:13], v[170:171], v[12:13], -v[190:191]
	s_wait_loadcnt_dscnt 0x701
	v_mul_f64_e32 v[182:183], v[4:5], v[30:31]
	v_mul_f64_e32 v[30:31], v[6:7], v[30:31]
	s_wait_loadcnt_dscnt 0x600
	v_mul_f64_e32 v[172:173], v[14:15], v[22:23]
	v_mul_f64_e32 v[22:23], v[16:17], v[22:23]
	v_add_f64_e32 v[18:19], v[18:19], v[174:175]
	v_add_f64_e32 v[170:171], v[176:177], v[200:201]
	v_fmac_f64_e32 v[182:183], v[6:7], v[28:29]
	v_fma_f64 v[174:175], v[4:5], v[28:29], -v[30:31]
	ds_load_b128 v[4:7], v2 offset:1952
	ds_load_b128 v[28:31], v2 offset:1968
	v_fmac_f64_e32 v[172:173], v[16:17], v[20:21]
	v_fma_f64 v[14:15], v[14:15], v[20:21], -v[22:23]
	v_add_f64_e32 v[12:13], v[18:19], v[12:13]
	v_add_f64_e32 v[18:19], v[170:171], v[184:185]
	s_wait_loadcnt_dscnt 0x501
	v_mul_f64_e32 v[170:171], v[4:5], v[168:169]
	v_mul_f64_e32 v[168:169], v[6:7], v[168:169]
	s_wait_loadcnt_dscnt 0x400
	v_mul_f64_e32 v[20:21], v[30:31], v[26:27]
	v_add_f64_e32 v[12:13], v[12:13], v[174:175]
	v_add_f64_e32 v[16:17], v[18:19], v[182:183]
	v_mul_f64_e32 v[18:19], v[28:29], v[26:27]
	v_fmac_f64_e32 v[170:171], v[6:7], v[166:167]
	v_fma_f64 v[22:23], v[4:5], v[166:167], -v[168:169]
	v_fma_f64 v[20:21], v[28:29], v[24:25], -v[20:21]
	v_add_f64_e32 v[26:27], v[12:13], v[14:15]
	v_add_f64_e32 v[16:17], v[16:17], v[172:173]
	ds_load_b128 v[4:7], v2 offset:1984
	ds_load_b128 v[12:15], v2 offset:2000
	v_fmac_f64_e32 v[18:19], v[30:31], v[24:25]
	s_wait_loadcnt_dscnt 0x301
	v_mul_f64_e32 v[166:167], v[4:5], v[180:181]
	v_mul_f64_e32 v[168:169], v[6:7], v[180:181]
	s_wait_loadcnt_dscnt 0x200
	v_mul_f64_e32 v[24:25], v[12:13], v[164:165]
	v_add_f64_e32 v[22:23], v[26:27], v[22:23]
	v_add_f64_e32 v[16:17], v[16:17], v[170:171]
	v_mul_f64_e32 v[26:27], v[14:15], v[164:165]
	v_fmac_f64_e32 v[166:167], v[6:7], v[178:179]
	v_fma_f64 v[28:29], v[4:5], v[178:179], -v[168:169]
	v_fmac_f64_e32 v[24:25], v[14:15], v[162:163]
	v_add_f64_e32 v[20:21], v[22:23], v[20:21]
	v_add_f64_e32 v[22:23], v[16:17], v[18:19]
	ds_load_b128 v[4:7], v2 offset:2016
	ds_load_b128 v[16:19], v2 offset:2032
	v_fma_f64 v[12:13], v[12:13], v[162:163], -v[26:27]
	s_wait_loadcnt_dscnt 0x101
	v_mul_f64_e32 v[2:3], v[4:5], v[196:197]
	v_mul_f64_e32 v[30:31], v[6:7], v[196:197]
	v_add_f64_e32 v[14:15], v[20:21], v[28:29]
	v_add_f64_e32 v[20:21], v[22:23], v[166:167]
	s_wait_loadcnt_dscnt 0x0
	v_mul_f64_e32 v[22:23], v[16:17], v[10:11]
	v_mul_f64_e32 v[10:11], v[18:19], v[10:11]
	v_fmac_f64_e32 v[2:3], v[6:7], v[194:195]
	v_fma_f64 v[4:5], v[4:5], v[194:195], -v[30:31]
	v_add_f64_e32 v[6:7], v[14:15], v[12:13]
	v_add_f64_e32 v[12:13], v[20:21], v[24:25]
	v_fmac_f64_e32 v[22:23], v[18:19], v[8:9]
	v_fma_f64 v[8:9], v[16:17], v[8:9], -v[10:11]
	s_delay_alu instid0(VALU_DEP_4) | instskip(NEXT) | instid1(VALU_DEP_4)
	v_add_f64_e32 v[4:5], v[6:7], v[4:5]
	v_add_f64_e32 v[2:3], v[12:13], v[2:3]
	s_delay_alu instid0(VALU_DEP_2) | instskip(NEXT) | instid1(VALU_DEP_2)
	v_add_f64_e32 v[4:5], v[4:5], v[8:9]
	v_add_f64_e32 v[6:7], v[2:3], v[22:23]
	s_delay_alu instid0(VALU_DEP_2) | instskip(NEXT) | instid1(VALU_DEP_2)
	v_add_f64_e64 v[2:3], v[186:187], -v[4:5]
	v_add_f64_e64 v[4:5], v[188:189], -v[6:7]
	scratch_store_b128 off, v[2:5], off offset:592
	s_wait_xcnt 0x0
	v_cmpx_lt_u32_e32 36, v1
	s_cbranch_execz .LBB127_337
; %bb.336:
	scratch_load_b128 v[2:5], off, s46
	v_mov_b32_e32 v6, 0
	s_delay_alu instid0(VALU_DEP_1)
	v_dual_mov_b32 v7, v6 :: v_dual_mov_b32 v8, v6
	v_mov_b32_e32 v9, v6
	scratch_store_b128 off, v[6:9], off offset:576
	s_wait_loadcnt 0x0
	ds_store_b128 v160, v[2:5]
.LBB127_337:
	s_wait_xcnt 0x0
	s_or_b32 exec_lo, exec_lo, s2
	s_wait_storecnt_dscnt 0x0
	s_barrier_signal -1
	s_barrier_wait -1
	s_clause 0x9
	scratch_load_b128 v[4:7], off, off offset:592
	scratch_load_b128 v[8:11], off, off offset:608
	;; [unrolled: 1-line block ×10, first 2 shown]
	v_mov_b32_e32 v2, 0
	s_mov_b32 s2, exec_lo
	ds_load_b128 v[174:177], v2 offset:1616
	s_clause 0x2
	scratch_load_b128 v[178:181], off, off offset:752
	scratch_load_b128 v[182:185], off, off offset:576
	;; [unrolled: 1-line block ×3, first 2 shown]
	s_wait_loadcnt_dscnt 0xc00
	v_mul_f64_e32 v[194:195], v[176:177], v[6:7]
	v_mul_f64_e32 v[198:199], v[174:175], v[6:7]
	ds_load_b128 v[186:189], v2 offset:1632
	v_fma_f64 v[202:203], v[174:175], v[4:5], -v[194:195]
	v_fmac_f64_e32 v[198:199], v[176:177], v[4:5]
	ds_load_b128 v[4:7], v2 offset:1648
	s_wait_loadcnt_dscnt 0xb01
	v_mul_f64_e32 v[200:201], v[186:187], v[10:11]
	v_mul_f64_e32 v[10:11], v[188:189], v[10:11]
	scratch_load_b128 v[174:177], off, off offset:784
	ds_load_b128 v[194:197], v2 offset:1664
	s_wait_loadcnt_dscnt 0xb01
	v_mul_f64_e32 v[204:205], v[4:5], v[14:15]
	v_mul_f64_e32 v[14:15], v[6:7], v[14:15]
	v_add_f64_e32 v[198:199], 0, v[198:199]
	v_fmac_f64_e32 v[200:201], v[188:189], v[8:9]
	v_fma_f64 v[186:187], v[186:187], v[8:9], -v[10:11]
	v_add_f64_e32 v[188:189], 0, v[202:203]
	scratch_load_b128 v[8:11], off, off offset:800
	v_fmac_f64_e32 v[204:205], v[6:7], v[12:13]
	v_fma_f64 v[206:207], v[4:5], v[12:13], -v[14:15]
	ds_load_b128 v[4:7], v2 offset:1680
	s_wait_loadcnt_dscnt 0xb01
	v_mul_f64_e32 v[202:203], v[194:195], v[18:19]
	v_mul_f64_e32 v[18:19], v[196:197], v[18:19]
	scratch_load_b128 v[12:15], off, off offset:816
	v_add_f64_e32 v[198:199], v[198:199], v[200:201]
	v_add_f64_e32 v[208:209], v[188:189], v[186:187]
	ds_load_b128 v[186:189], v2 offset:1696
	s_wait_loadcnt_dscnt 0xb01
	v_mul_f64_e32 v[200:201], v[4:5], v[22:23]
	v_mul_f64_e32 v[22:23], v[6:7], v[22:23]
	v_fmac_f64_e32 v[202:203], v[196:197], v[16:17]
	v_fma_f64 v[194:195], v[194:195], v[16:17], -v[18:19]
	scratch_load_b128 v[16:19], off, off offset:832
	v_add_f64_e32 v[198:199], v[198:199], v[204:205]
	v_add_f64_e32 v[196:197], v[208:209], v[206:207]
	v_fmac_f64_e32 v[200:201], v[6:7], v[20:21]
	v_fma_f64 v[206:207], v[4:5], v[20:21], -v[22:23]
	ds_load_b128 v[4:7], v2 offset:1712
	s_wait_loadcnt_dscnt 0xb01
	v_mul_f64_e32 v[204:205], v[186:187], v[26:27]
	v_mul_f64_e32 v[26:27], v[188:189], v[26:27]
	scratch_load_b128 v[20:23], off, off offset:848
	v_add_f64_e32 v[198:199], v[198:199], v[202:203]
	s_wait_loadcnt_dscnt 0xb00
	v_mul_f64_e32 v[202:203], v[4:5], v[30:31]
	v_add_f64_e32 v[208:209], v[196:197], v[194:195]
	v_mul_f64_e32 v[30:31], v[6:7], v[30:31]
	ds_load_b128 v[194:197], v2 offset:1728
	v_fmac_f64_e32 v[204:205], v[188:189], v[24:25]
	v_fma_f64 v[186:187], v[186:187], v[24:25], -v[26:27]
	scratch_load_b128 v[24:27], off, off offset:864
	v_add_f64_e32 v[198:199], v[198:199], v[200:201]
	v_fmac_f64_e32 v[202:203], v[6:7], v[28:29]
	v_add_f64_e32 v[188:189], v[208:209], v[206:207]
	v_fma_f64 v[206:207], v[4:5], v[28:29], -v[30:31]
	ds_load_b128 v[4:7], v2 offset:1744
	s_wait_loadcnt_dscnt 0xb01
	v_mul_f64_e32 v[200:201], v[194:195], v[164:165]
	v_mul_f64_e32 v[164:165], v[196:197], v[164:165]
	scratch_load_b128 v[28:31], off, off offset:880
	v_add_f64_e32 v[198:199], v[198:199], v[204:205]
	s_wait_loadcnt_dscnt 0xb00
	v_mul_f64_e32 v[204:205], v[4:5], v[168:169]
	v_add_f64_e32 v[208:209], v[188:189], v[186:187]
	v_mul_f64_e32 v[168:169], v[6:7], v[168:169]
	ds_load_b128 v[186:189], v2 offset:1760
	v_fmac_f64_e32 v[200:201], v[196:197], v[162:163]
	v_fma_f64 v[194:195], v[194:195], v[162:163], -v[164:165]
	scratch_load_b128 v[162:165], off, off offset:896
	v_add_f64_e32 v[198:199], v[198:199], v[202:203]
	v_fmac_f64_e32 v[204:205], v[6:7], v[166:167]
	v_add_f64_e32 v[196:197], v[208:209], v[206:207]
	;; [unrolled: 18-line block ×3, first 2 shown]
	v_fma_f64 v[206:207], v[4:5], v[178:179], -v[180:181]
	ds_load_b128 v[4:7], v2 offset:1808
	s_wait_loadcnt_dscnt 0xa01
	v_mul_f64_e32 v[204:205], v[194:195], v[192:193]
	v_mul_f64_e32 v[192:193], v[196:197], v[192:193]
	scratch_load_b128 v[178:181], off, off offset:944
	v_add_f64_e32 v[198:199], v[198:199], v[202:203]
	v_add_f64_e32 v[208:209], v[188:189], v[186:187]
	s_wait_loadcnt_dscnt 0xa00
	v_mul_f64_e32 v[202:203], v[4:5], v[176:177]
	v_mul_f64_e32 v[176:177], v[6:7], v[176:177]
	v_fmac_f64_e32 v[204:205], v[196:197], v[190:191]
	v_fma_f64 v[194:195], v[194:195], v[190:191], -v[192:193]
	ds_load_b128 v[186:189], v2 offset:1824
	scratch_load_b128 v[190:193], off, off offset:960
	v_add_f64_e32 v[198:199], v[198:199], v[200:201]
	v_add_f64_e32 v[196:197], v[208:209], v[206:207]
	v_fmac_f64_e32 v[202:203], v[6:7], v[174:175]
	v_fma_f64 v[206:207], v[4:5], v[174:175], -v[176:177]
	ds_load_b128 v[4:7], v2 offset:1840
	s_wait_loadcnt_dscnt 0xa01
	v_mul_f64_e32 v[200:201], v[186:187], v[10:11]
	v_mul_f64_e32 v[10:11], v[188:189], v[10:11]
	scratch_load_b128 v[174:177], off, off offset:976
	v_add_f64_e32 v[198:199], v[198:199], v[204:205]
	s_wait_loadcnt_dscnt 0xa00
	v_mul_f64_e32 v[204:205], v[4:5], v[14:15]
	v_add_f64_e32 v[208:209], v[196:197], v[194:195]
	v_mul_f64_e32 v[14:15], v[6:7], v[14:15]
	ds_load_b128 v[194:197], v2 offset:1856
	v_fmac_f64_e32 v[200:201], v[188:189], v[8:9]
	v_fma_f64 v[186:187], v[186:187], v[8:9], -v[10:11]
	scratch_load_b128 v[8:11], off, off offset:992
	v_add_f64_e32 v[198:199], v[198:199], v[202:203]
	v_fmac_f64_e32 v[204:205], v[6:7], v[12:13]
	v_add_f64_e32 v[188:189], v[208:209], v[206:207]
	v_fma_f64 v[206:207], v[4:5], v[12:13], -v[14:15]
	ds_load_b128 v[4:7], v2 offset:1872
	s_wait_loadcnt_dscnt 0xa01
	v_mul_f64_e32 v[202:203], v[194:195], v[18:19]
	v_mul_f64_e32 v[18:19], v[196:197], v[18:19]
	scratch_load_b128 v[12:15], off, off offset:1008
	v_add_f64_e32 v[198:199], v[198:199], v[200:201]
	s_wait_loadcnt_dscnt 0xa00
	v_mul_f64_e32 v[200:201], v[4:5], v[22:23]
	v_add_f64_e32 v[208:209], v[188:189], v[186:187]
	v_mul_f64_e32 v[22:23], v[6:7], v[22:23]
	ds_load_b128 v[186:189], v2 offset:1888
	v_fmac_f64_e32 v[202:203], v[196:197], v[16:17]
	v_fma_f64 v[16:17], v[194:195], v[16:17], -v[18:19]
	s_wait_loadcnt_dscnt 0x900
	v_mul_f64_e32 v[196:197], v[186:187], v[26:27]
	v_mul_f64_e32 v[26:27], v[188:189], v[26:27]
	v_add_f64_e32 v[194:195], v[198:199], v[204:205]
	v_fmac_f64_e32 v[200:201], v[6:7], v[20:21]
	v_add_f64_e32 v[18:19], v[208:209], v[206:207]
	v_fma_f64 v[20:21], v[4:5], v[20:21], -v[22:23]
	v_fmac_f64_e32 v[196:197], v[188:189], v[24:25]
	v_fma_f64 v[24:25], v[186:187], v[24:25], -v[26:27]
	v_add_f64_e32 v[194:195], v[194:195], v[202:203]
	v_add_f64_e32 v[22:23], v[18:19], v[16:17]
	ds_load_b128 v[4:7], v2 offset:1904
	ds_load_b128 v[16:19], v2 offset:1920
	s_wait_loadcnt_dscnt 0x801
	v_mul_f64_e32 v[198:199], v[4:5], v[30:31]
	v_mul_f64_e32 v[30:31], v[6:7], v[30:31]
	s_wait_loadcnt_dscnt 0x700
	v_mul_f64_e32 v[26:27], v[16:17], v[164:165]
	v_mul_f64_e32 v[164:165], v[18:19], v[164:165]
	v_add_f64_e32 v[20:21], v[22:23], v[20:21]
	v_add_f64_e32 v[22:23], v[194:195], v[200:201]
	v_fmac_f64_e32 v[198:199], v[6:7], v[28:29]
	v_fma_f64 v[28:29], v[4:5], v[28:29], -v[30:31]
	v_fmac_f64_e32 v[26:27], v[18:19], v[162:163]
	v_fma_f64 v[16:17], v[16:17], v[162:163], -v[164:165]
	v_add_f64_e32 v[24:25], v[20:21], v[24:25]
	v_add_f64_e32 v[30:31], v[22:23], v[196:197]
	ds_load_b128 v[4:7], v2 offset:1936
	ds_load_b128 v[20:23], v2 offset:1952
	s_wait_loadcnt_dscnt 0x601
	v_mul_f64_e32 v[186:187], v[4:5], v[168:169]
	v_mul_f64_e32 v[168:169], v[6:7], v[168:169]
	v_add_f64_e32 v[18:19], v[24:25], v[28:29]
	v_add_f64_e32 v[24:25], v[30:31], v[198:199]
	s_wait_loadcnt_dscnt 0x500
	v_mul_f64_e32 v[28:29], v[20:21], v[172:173]
	v_mul_f64_e32 v[30:31], v[22:23], v[172:173]
	v_fmac_f64_e32 v[186:187], v[6:7], v[166:167]
	v_fma_f64 v[162:163], v[4:5], v[166:167], -v[168:169]
	v_add_f64_e32 v[164:165], v[18:19], v[16:17]
	v_add_f64_e32 v[24:25], v[24:25], v[26:27]
	ds_load_b128 v[4:7], v2 offset:1968
	ds_load_b128 v[16:19], v2 offset:1984
	v_fmac_f64_e32 v[28:29], v[22:23], v[170:171]
	v_fma_f64 v[20:21], v[20:21], v[170:171], -v[30:31]
	s_wait_loadcnt_dscnt 0x401
	v_mul_f64_e32 v[26:27], v[4:5], v[180:181]
	v_mul_f64_e32 v[166:167], v[6:7], v[180:181]
	s_wait_loadcnt_dscnt 0x300
	v_mul_f64_e32 v[30:31], v[16:17], v[192:193]
	v_add_f64_e32 v[22:23], v[164:165], v[162:163]
	v_add_f64_e32 v[24:25], v[24:25], v[186:187]
	v_mul_f64_e32 v[162:163], v[18:19], v[192:193]
	v_fmac_f64_e32 v[26:27], v[6:7], v[178:179]
	v_fma_f64 v[164:165], v[4:5], v[178:179], -v[166:167]
	v_fmac_f64_e32 v[30:31], v[18:19], v[190:191]
	v_add_f64_e32 v[166:167], v[22:23], v[20:21]
	v_add_f64_e32 v[24:25], v[24:25], v[28:29]
	ds_load_b128 v[4:7], v2 offset:2000
	ds_load_b128 v[20:23], v2 offset:2016
	v_fma_f64 v[16:17], v[16:17], v[190:191], -v[162:163]
	s_wait_loadcnt_dscnt 0x201
	v_mul_f64_e32 v[28:29], v[4:5], v[176:177]
	v_mul_f64_e32 v[168:169], v[6:7], v[176:177]
	v_add_f64_e32 v[18:19], v[166:167], v[164:165]
	v_add_f64_e32 v[24:25], v[24:25], v[26:27]
	s_wait_loadcnt_dscnt 0x100
	v_mul_f64_e32 v[26:27], v[20:21], v[10:11]
	v_mul_f64_e32 v[10:11], v[22:23], v[10:11]
	v_fmac_f64_e32 v[28:29], v[6:7], v[174:175]
	v_fma_f64 v[162:163], v[4:5], v[174:175], -v[168:169]
	ds_load_b128 v[4:7], v2 offset:2032
	v_add_f64_e32 v[16:17], v[18:19], v[16:17]
	v_add_f64_e32 v[18:19], v[24:25], v[30:31]
	v_fmac_f64_e32 v[26:27], v[22:23], v[8:9]
	v_fma_f64 v[8:9], v[20:21], v[8:9], -v[10:11]
	s_wait_loadcnt_dscnt 0x0
	v_mul_f64_e32 v[24:25], v[4:5], v[14:15]
	v_mul_f64_e32 v[14:15], v[6:7], v[14:15]
	v_add_f64_e32 v[10:11], v[16:17], v[162:163]
	v_add_f64_e32 v[16:17], v[18:19], v[28:29]
	s_delay_alu instid0(VALU_DEP_4) | instskip(NEXT) | instid1(VALU_DEP_4)
	v_fmac_f64_e32 v[24:25], v[6:7], v[12:13]
	v_fma_f64 v[4:5], v[4:5], v[12:13], -v[14:15]
	s_delay_alu instid0(VALU_DEP_4) | instskip(NEXT) | instid1(VALU_DEP_4)
	v_add_f64_e32 v[6:7], v[10:11], v[8:9]
	v_add_f64_e32 v[8:9], v[16:17], v[26:27]
	s_delay_alu instid0(VALU_DEP_2) | instskip(NEXT) | instid1(VALU_DEP_2)
	v_add_f64_e32 v[4:5], v[6:7], v[4:5]
	v_add_f64_e32 v[6:7], v[8:9], v[24:25]
	s_delay_alu instid0(VALU_DEP_2) | instskip(NEXT) | instid1(VALU_DEP_2)
	v_add_f64_e64 v[4:5], v[182:183], -v[4:5]
	v_add_f64_e64 v[6:7], v[184:185], -v[6:7]
	scratch_store_b128 off, v[4:7], off offset:576
	s_wait_xcnt 0x0
	v_cmpx_lt_u32_e32 35, v1
	s_cbranch_execz .LBB127_339
; %bb.338:
	scratch_load_b128 v[6:9], off, s47
	v_dual_mov_b32 v3, v2 :: v_dual_mov_b32 v4, v2
	v_mov_b32_e32 v5, v2
	scratch_store_b128 off, v[2:5], off offset:560
	s_wait_loadcnt 0x0
	ds_store_b128 v160, v[6:9]
.LBB127_339:
	s_wait_xcnt 0x0
	s_or_b32 exec_lo, exec_lo, s2
	s_wait_storecnt_dscnt 0x0
	s_barrier_signal -1
	s_barrier_wait -1
	s_clause 0x9
	scratch_load_b128 v[4:7], off, off offset:576
	scratch_load_b128 v[8:11], off, off offset:592
	;; [unrolled: 1-line block ×10, first 2 shown]
	ds_load_b128 v[174:177], v2 offset:1600
	ds_load_b128 v[182:185], v2 offset:1616
	s_clause 0x2
	scratch_load_b128 v[178:181], off, off offset:736
	scratch_load_b128 v[186:189], off, off offset:560
	;; [unrolled: 1-line block ×3, first 2 shown]
	s_mov_b32 s2, exec_lo
	s_wait_loadcnt_dscnt 0xc01
	v_mul_f64_e32 v[194:195], v[176:177], v[6:7]
	v_mul_f64_e32 v[198:199], v[174:175], v[6:7]
	s_wait_loadcnt_dscnt 0xb00
	v_mul_f64_e32 v[200:201], v[182:183], v[10:11]
	v_mul_f64_e32 v[10:11], v[184:185], v[10:11]
	s_delay_alu instid0(VALU_DEP_4) | instskip(NEXT) | instid1(VALU_DEP_4)
	v_fma_f64 v[202:203], v[174:175], v[4:5], -v[194:195]
	v_fmac_f64_e32 v[198:199], v[176:177], v[4:5]
	ds_load_b128 v[4:7], v2 offset:1632
	ds_load_b128 v[174:177], v2 offset:1648
	scratch_load_b128 v[194:197], off, off offset:768
	v_fmac_f64_e32 v[200:201], v[184:185], v[8:9]
	v_fma_f64 v[182:183], v[182:183], v[8:9], -v[10:11]
	scratch_load_b128 v[8:11], off, off offset:784
	s_wait_loadcnt_dscnt 0xc01
	v_mul_f64_e32 v[204:205], v[4:5], v[14:15]
	v_mul_f64_e32 v[14:15], v[6:7], v[14:15]
	v_add_f64_e32 v[184:185], 0, v[202:203]
	v_add_f64_e32 v[198:199], 0, v[198:199]
	s_wait_loadcnt_dscnt 0xb00
	v_mul_f64_e32 v[202:203], v[174:175], v[18:19]
	v_mul_f64_e32 v[18:19], v[176:177], v[18:19]
	v_fmac_f64_e32 v[204:205], v[6:7], v[12:13]
	v_fma_f64 v[206:207], v[4:5], v[12:13], -v[14:15]
	ds_load_b128 v[4:7], v2 offset:1664
	ds_load_b128 v[12:15], v2 offset:1680
	v_add_f64_e32 v[208:209], v[184:185], v[182:183]
	v_add_f64_e32 v[198:199], v[198:199], v[200:201]
	scratch_load_b128 v[182:185], off, off offset:800
	v_fmac_f64_e32 v[202:203], v[176:177], v[16:17]
	v_fma_f64 v[174:175], v[174:175], v[16:17], -v[18:19]
	scratch_load_b128 v[16:19], off, off offset:816
	s_wait_loadcnt_dscnt 0xc01
	v_mul_f64_e32 v[200:201], v[4:5], v[22:23]
	v_mul_f64_e32 v[22:23], v[6:7], v[22:23]
	v_add_f64_e32 v[176:177], v[208:209], v[206:207]
	v_add_f64_e32 v[198:199], v[198:199], v[204:205]
	s_wait_loadcnt_dscnt 0xb00
	v_mul_f64_e32 v[204:205], v[12:13], v[26:27]
	v_mul_f64_e32 v[26:27], v[14:15], v[26:27]
	v_fmac_f64_e32 v[200:201], v[6:7], v[20:21]
	v_fma_f64 v[206:207], v[4:5], v[20:21], -v[22:23]
	ds_load_b128 v[4:7], v2 offset:1696
	ds_load_b128 v[20:23], v2 offset:1712
	v_add_f64_e32 v[208:209], v[176:177], v[174:175]
	v_add_f64_e32 v[198:199], v[198:199], v[202:203]
	scratch_load_b128 v[174:177], off, off offset:832
	s_wait_loadcnt_dscnt 0xb01
	v_mul_f64_e32 v[202:203], v[4:5], v[30:31]
	v_mul_f64_e32 v[30:31], v[6:7], v[30:31]
	v_fmac_f64_e32 v[204:205], v[14:15], v[24:25]
	v_fma_f64 v[24:25], v[12:13], v[24:25], -v[26:27]
	scratch_load_b128 v[12:15], off, off offset:848
	v_add_f64_e32 v[26:27], v[208:209], v[206:207]
	v_add_f64_e32 v[198:199], v[198:199], v[200:201]
	s_wait_loadcnt_dscnt 0xb00
	v_mul_f64_e32 v[200:201], v[20:21], v[164:165]
	v_mul_f64_e32 v[164:165], v[22:23], v[164:165]
	v_fmac_f64_e32 v[202:203], v[6:7], v[28:29]
	v_fma_f64 v[206:207], v[4:5], v[28:29], -v[30:31]
	v_add_f64_e32 v[208:209], v[26:27], v[24:25]
	v_add_f64_e32 v[198:199], v[198:199], v[204:205]
	ds_load_b128 v[4:7], v2 offset:1728
	ds_load_b128 v[24:27], v2 offset:1744
	scratch_load_b128 v[28:31], off, off offset:864
	v_fmac_f64_e32 v[200:201], v[22:23], v[162:163]
	v_fma_f64 v[162:163], v[20:21], v[162:163], -v[164:165]
	scratch_load_b128 v[20:23], off, off offset:880
	s_wait_loadcnt_dscnt 0xc01
	v_mul_f64_e32 v[204:205], v[4:5], v[168:169]
	v_mul_f64_e32 v[168:169], v[6:7], v[168:169]
	v_add_f64_e32 v[164:165], v[208:209], v[206:207]
	v_add_f64_e32 v[198:199], v[198:199], v[202:203]
	s_wait_loadcnt_dscnt 0xb00
	v_mul_f64_e32 v[202:203], v[24:25], v[172:173]
	v_mul_f64_e32 v[172:173], v[26:27], v[172:173]
	v_fmac_f64_e32 v[204:205], v[6:7], v[166:167]
	v_fma_f64 v[206:207], v[4:5], v[166:167], -v[168:169]
	v_add_f64_e32 v[208:209], v[164:165], v[162:163]
	v_add_f64_e32 v[198:199], v[198:199], v[200:201]
	ds_load_b128 v[4:7], v2 offset:1760
	ds_load_b128 v[162:165], v2 offset:1776
	scratch_load_b128 v[166:169], off, off offset:896
	v_fmac_f64_e32 v[202:203], v[26:27], v[170:171]
	v_fma_f64 v[170:171], v[24:25], v[170:171], -v[172:173]
	scratch_load_b128 v[24:27], off, off offset:912
	s_wait_loadcnt_dscnt 0xc01
	v_mul_f64_e32 v[200:201], v[4:5], v[180:181]
	v_mul_f64_e32 v[180:181], v[6:7], v[180:181]
	;; [unrolled: 18-line block ×5, first 2 shown]
	v_add_f64_e32 v[192:193], v[208:209], v[206:207]
	v_add_f64_e32 v[198:199], v[198:199], v[204:205]
	s_wait_loadcnt_dscnt 0xa00
	v_mul_f64_e32 v[204:205], v[170:171], v[14:15]
	v_mul_f64_e32 v[14:15], v[172:173], v[14:15]
	v_fmac_f64_e32 v[200:201], v[6:7], v[174:175]
	v_fma_f64 v[206:207], v[4:5], v[174:175], -v[176:177]
	ds_load_b128 v[4:7], v2 offset:1888
	ds_load_b128 v[174:177], v2 offset:1904
	v_add_f64_e32 v[190:191], v[192:193], v[190:191]
	v_add_f64_e32 v[192:193], v[198:199], v[202:203]
	v_fmac_f64_e32 v[204:205], v[172:173], v[12:13]
	v_fma_f64 v[12:13], v[170:171], v[12:13], -v[14:15]
	s_wait_loadcnt_dscnt 0x901
	v_mul_f64_e32 v[198:199], v[4:5], v[30:31]
	v_mul_f64_e32 v[30:31], v[6:7], v[30:31]
	s_wait_loadcnt_dscnt 0x800
	v_mul_f64_e32 v[172:173], v[174:175], v[22:23]
	v_mul_f64_e32 v[22:23], v[176:177], v[22:23]
	v_add_f64_e32 v[14:15], v[190:191], v[206:207]
	v_add_f64_e32 v[170:171], v[192:193], v[200:201]
	v_fmac_f64_e32 v[198:199], v[6:7], v[28:29]
	v_fma_f64 v[28:29], v[4:5], v[28:29], -v[30:31]
	v_fmac_f64_e32 v[172:173], v[176:177], v[20:21]
	v_fma_f64 v[20:21], v[174:175], v[20:21], -v[22:23]
	v_add_f64_e32 v[30:31], v[14:15], v[12:13]
	v_add_f64_e32 v[170:171], v[170:171], v[204:205]
	ds_load_b128 v[4:7], v2 offset:1920
	ds_load_b128 v[12:15], v2 offset:1936
	s_wait_loadcnt_dscnt 0x701
	v_mul_f64_e32 v[190:191], v[4:5], v[168:169]
	v_mul_f64_e32 v[168:169], v[6:7], v[168:169]
	v_add_f64_e32 v[22:23], v[30:31], v[28:29]
	v_add_f64_e32 v[28:29], v[170:171], v[198:199]
	s_wait_loadcnt_dscnt 0x600
	v_mul_f64_e32 v[30:31], v[12:13], v[26:27]
	v_mul_f64_e32 v[26:27], v[14:15], v[26:27]
	v_fmac_f64_e32 v[190:191], v[6:7], v[166:167]
	v_fma_f64 v[166:167], v[4:5], v[166:167], -v[168:169]
	v_add_f64_e32 v[168:169], v[22:23], v[20:21]
	v_add_f64_e32 v[28:29], v[28:29], v[172:173]
	ds_load_b128 v[4:7], v2 offset:1952
	ds_load_b128 v[20:23], v2 offset:1968
	v_fmac_f64_e32 v[30:31], v[14:15], v[24:25]
	v_fma_f64 v[12:13], v[12:13], v[24:25], -v[26:27]
	s_wait_loadcnt_dscnt 0x501
	v_mul_f64_e32 v[170:171], v[4:5], v[180:181]
	v_mul_f64_e32 v[172:173], v[6:7], v[180:181]
	s_wait_loadcnt_dscnt 0x400
	v_mul_f64_e32 v[26:27], v[20:21], v[164:165]
	v_add_f64_e32 v[14:15], v[168:169], v[166:167]
	v_add_f64_e32 v[24:25], v[28:29], v[190:191]
	v_mul_f64_e32 v[28:29], v[22:23], v[164:165]
	v_fmac_f64_e32 v[170:171], v[6:7], v[178:179]
	v_fma_f64 v[164:165], v[4:5], v[178:179], -v[172:173]
	v_fmac_f64_e32 v[26:27], v[22:23], v[162:163]
	v_add_f64_e32 v[166:167], v[14:15], v[12:13]
	v_add_f64_e32 v[24:25], v[24:25], v[30:31]
	ds_load_b128 v[4:7], v2 offset:1984
	ds_load_b128 v[12:15], v2 offset:2000
	v_fma_f64 v[20:21], v[20:21], v[162:163], -v[28:29]
	s_wait_loadcnt_dscnt 0x301
	v_mul_f64_e32 v[30:31], v[4:5], v[196:197]
	v_mul_f64_e32 v[168:169], v[6:7], v[196:197]
	s_wait_loadcnt_dscnt 0x200
	v_mul_f64_e32 v[28:29], v[12:13], v[10:11]
	v_mul_f64_e32 v[10:11], v[14:15], v[10:11]
	v_add_f64_e32 v[22:23], v[166:167], v[164:165]
	v_add_f64_e32 v[24:25], v[24:25], v[170:171]
	v_fmac_f64_e32 v[30:31], v[6:7], v[194:195]
	v_fma_f64 v[162:163], v[4:5], v[194:195], -v[168:169]
	v_fmac_f64_e32 v[28:29], v[14:15], v[8:9]
	v_fma_f64 v[8:9], v[12:13], v[8:9], -v[10:11]
	v_add_f64_e32 v[164:165], v[22:23], v[20:21]
	v_add_f64_e32 v[24:25], v[24:25], v[26:27]
	ds_load_b128 v[4:7], v2 offset:2016
	ds_load_b128 v[20:23], v2 offset:2032
	s_wait_loadcnt_dscnt 0x101
	v_mul_f64_e32 v[2:3], v[4:5], v[184:185]
	v_mul_f64_e32 v[26:27], v[6:7], v[184:185]
	s_wait_loadcnt_dscnt 0x0
	v_mul_f64_e32 v[14:15], v[20:21], v[18:19]
	v_mul_f64_e32 v[18:19], v[22:23], v[18:19]
	v_add_f64_e32 v[10:11], v[164:165], v[162:163]
	v_add_f64_e32 v[12:13], v[24:25], v[30:31]
	v_fmac_f64_e32 v[2:3], v[6:7], v[182:183]
	v_fma_f64 v[4:5], v[4:5], v[182:183], -v[26:27]
	v_fmac_f64_e32 v[14:15], v[22:23], v[16:17]
	v_add_f64_e32 v[6:7], v[10:11], v[8:9]
	v_add_f64_e32 v[8:9], v[12:13], v[28:29]
	v_fma_f64 v[10:11], v[20:21], v[16:17], -v[18:19]
	s_delay_alu instid0(VALU_DEP_3) | instskip(NEXT) | instid1(VALU_DEP_3)
	v_add_f64_e32 v[4:5], v[6:7], v[4:5]
	v_add_f64_e32 v[2:3], v[8:9], v[2:3]
	s_delay_alu instid0(VALU_DEP_2) | instskip(NEXT) | instid1(VALU_DEP_2)
	v_add_f64_e32 v[4:5], v[4:5], v[10:11]
	v_add_f64_e32 v[6:7], v[2:3], v[14:15]
	s_delay_alu instid0(VALU_DEP_2) | instskip(NEXT) | instid1(VALU_DEP_2)
	v_add_f64_e64 v[2:3], v[186:187], -v[4:5]
	v_add_f64_e64 v[4:5], v[188:189], -v[6:7]
	scratch_store_b128 off, v[2:5], off offset:560
	s_wait_xcnt 0x0
	v_cmpx_lt_u32_e32 34, v1
	s_cbranch_execz .LBB127_341
; %bb.340:
	scratch_load_b128 v[2:5], off, s48
	v_mov_b32_e32 v6, 0
	s_delay_alu instid0(VALU_DEP_1)
	v_dual_mov_b32 v7, v6 :: v_dual_mov_b32 v8, v6
	v_mov_b32_e32 v9, v6
	scratch_store_b128 off, v[6:9], off offset:544
	s_wait_loadcnt 0x0
	ds_store_b128 v160, v[2:5]
.LBB127_341:
	s_wait_xcnt 0x0
	s_or_b32 exec_lo, exec_lo, s2
	s_wait_storecnt_dscnt 0x0
	s_barrier_signal -1
	s_barrier_wait -1
	s_clause 0x9
	scratch_load_b128 v[4:7], off, off offset:560
	scratch_load_b128 v[8:11], off, off offset:576
	;; [unrolled: 1-line block ×10, first 2 shown]
	v_mov_b32_e32 v2, 0
	s_mov_b32 s2, exec_lo
	ds_load_b128 v[174:177], v2 offset:1584
	s_clause 0x2
	scratch_load_b128 v[178:181], off, off offset:720
	scratch_load_b128 v[182:185], off, off offset:544
	;; [unrolled: 1-line block ×3, first 2 shown]
	s_wait_loadcnt_dscnt 0xc00
	v_mul_f64_e32 v[194:195], v[176:177], v[6:7]
	v_mul_f64_e32 v[198:199], v[174:175], v[6:7]
	ds_load_b128 v[186:189], v2 offset:1600
	v_fma_f64 v[202:203], v[174:175], v[4:5], -v[194:195]
	v_fmac_f64_e32 v[198:199], v[176:177], v[4:5]
	ds_load_b128 v[4:7], v2 offset:1616
	s_wait_loadcnt_dscnt 0xb01
	v_mul_f64_e32 v[200:201], v[186:187], v[10:11]
	v_mul_f64_e32 v[10:11], v[188:189], v[10:11]
	scratch_load_b128 v[174:177], off, off offset:752
	ds_load_b128 v[194:197], v2 offset:1632
	s_wait_loadcnt_dscnt 0xb01
	v_mul_f64_e32 v[204:205], v[4:5], v[14:15]
	v_mul_f64_e32 v[14:15], v[6:7], v[14:15]
	v_add_f64_e32 v[198:199], 0, v[198:199]
	v_fmac_f64_e32 v[200:201], v[188:189], v[8:9]
	v_fma_f64 v[186:187], v[186:187], v[8:9], -v[10:11]
	v_add_f64_e32 v[188:189], 0, v[202:203]
	scratch_load_b128 v[8:11], off, off offset:768
	v_fmac_f64_e32 v[204:205], v[6:7], v[12:13]
	v_fma_f64 v[206:207], v[4:5], v[12:13], -v[14:15]
	ds_load_b128 v[4:7], v2 offset:1648
	s_wait_loadcnt_dscnt 0xb01
	v_mul_f64_e32 v[202:203], v[194:195], v[18:19]
	v_mul_f64_e32 v[18:19], v[196:197], v[18:19]
	scratch_load_b128 v[12:15], off, off offset:784
	v_add_f64_e32 v[198:199], v[198:199], v[200:201]
	v_add_f64_e32 v[208:209], v[188:189], v[186:187]
	ds_load_b128 v[186:189], v2 offset:1664
	s_wait_loadcnt_dscnt 0xb01
	v_mul_f64_e32 v[200:201], v[4:5], v[22:23]
	v_mul_f64_e32 v[22:23], v[6:7], v[22:23]
	v_fmac_f64_e32 v[202:203], v[196:197], v[16:17]
	v_fma_f64 v[194:195], v[194:195], v[16:17], -v[18:19]
	scratch_load_b128 v[16:19], off, off offset:800
	v_add_f64_e32 v[198:199], v[198:199], v[204:205]
	v_add_f64_e32 v[196:197], v[208:209], v[206:207]
	v_fmac_f64_e32 v[200:201], v[6:7], v[20:21]
	v_fma_f64 v[206:207], v[4:5], v[20:21], -v[22:23]
	ds_load_b128 v[4:7], v2 offset:1680
	s_wait_loadcnt_dscnt 0xb01
	v_mul_f64_e32 v[204:205], v[186:187], v[26:27]
	v_mul_f64_e32 v[26:27], v[188:189], v[26:27]
	scratch_load_b128 v[20:23], off, off offset:816
	v_add_f64_e32 v[198:199], v[198:199], v[202:203]
	s_wait_loadcnt_dscnt 0xb00
	v_mul_f64_e32 v[202:203], v[4:5], v[30:31]
	v_add_f64_e32 v[208:209], v[196:197], v[194:195]
	v_mul_f64_e32 v[30:31], v[6:7], v[30:31]
	ds_load_b128 v[194:197], v2 offset:1696
	v_fmac_f64_e32 v[204:205], v[188:189], v[24:25]
	v_fma_f64 v[186:187], v[186:187], v[24:25], -v[26:27]
	scratch_load_b128 v[24:27], off, off offset:832
	v_add_f64_e32 v[198:199], v[198:199], v[200:201]
	v_fmac_f64_e32 v[202:203], v[6:7], v[28:29]
	v_add_f64_e32 v[188:189], v[208:209], v[206:207]
	v_fma_f64 v[206:207], v[4:5], v[28:29], -v[30:31]
	ds_load_b128 v[4:7], v2 offset:1712
	s_wait_loadcnt_dscnt 0xb01
	v_mul_f64_e32 v[200:201], v[194:195], v[164:165]
	v_mul_f64_e32 v[164:165], v[196:197], v[164:165]
	scratch_load_b128 v[28:31], off, off offset:848
	v_add_f64_e32 v[198:199], v[198:199], v[204:205]
	s_wait_loadcnt_dscnt 0xb00
	v_mul_f64_e32 v[204:205], v[4:5], v[168:169]
	v_add_f64_e32 v[208:209], v[188:189], v[186:187]
	v_mul_f64_e32 v[168:169], v[6:7], v[168:169]
	ds_load_b128 v[186:189], v2 offset:1728
	v_fmac_f64_e32 v[200:201], v[196:197], v[162:163]
	v_fma_f64 v[194:195], v[194:195], v[162:163], -v[164:165]
	scratch_load_b128 v[162:165], off, off offset:864
	v_add_f64_e32 v[198:199], v[198:199], v[202:203]
	v_fmac_f64_e32 v[204:205], v[6:7], v[166:167]
	v_add_f64_e32 v[196:197], v[208:209], v[206:207]
	;; [unrolled: 18-line block ×3, first 2 shown]
	v_fma_f64 v[206:207], v[4:5], v[178:179], -v[180:181]
	ds_load_b128 v[4:7], v2 offset:1776
	s_wait_loadcnt_dscnt 0xa01
	v_mul_f64_e32 v[204:205], v[194:195], v[192:193]
	v_mul_f64_e32 v[192:193], v[196:197], v[192:193]
	scratch_load_b128 v[178:181], off, off offset:912
	v_add_f64_e32 v[198:199], v[198:199], v[202:203]
	v_add_f64_e32 v[208:209], v[188:189], v[186:187]
	s_wait_loadcnt_dscnt 0xa00
	v_mul_f64_e32 v[202:203], v[4:5], v[176:177]
	v_mul_f64_e32 v[176:177], v[6:7], v[176:177]
	v_fmac_f64_e32 v[204:205], v[196:197], v[190:191]
	v_fma_f64 v[194:195], v[194:195], v[190:191], -v[192:193]
	ds_load_b128 v[186:189], v2 offset:1792
	scratch_load_b128 v[190:193], off, off offset:928
	v_add_f64_e32 v[198:199], v[198:199], v[200:201]
	v_add_f64_e32 v[196:197], v[208:209], v[206:207]
	v_fmac_f64_e32 v[202:203], v[6:7], v[174:175]
	v_fma_f64 v[206:207], v[4:5], v[174:175], -v[176:177]
	ds_load_b128 v[4:7], v2 offset:1808
	s_wait_loadcnt_dscnt 0xa01
	v_mul_f64_e32 v[200:201], v[186:187], v[10:11]
	v_mul_f64_e32 v[10:11], v[188:189], v[10:11]
	scratch_load_b128 v[174:177], off, off offset:944
	v_add_f64_e32 v[198:199], v[198:199], v[204:205]
	s_wait_loadcnt_dscnt 0xa00
	v_mul_f64_e32 v[204:205], v[4:5], v[14:15]
	v_add_f64_e32 v[208:209], v[196:197], v[194:195]
	v_mul_f64_e32 v[14:15], v[6:7], v[14:15]
	ds_load_b128 v[194:197], v2 offset:1824
	v_fmac_f64_e32 v[200:201], v[188:189], v[8:9]
	v_fma_f64 v[186:187], v[186:187], v[8:9], -v[10:11]
	scratch_load_b128 v[8:11], off, off offset:960
	v_add_f64_e32 v[198:199], v[198:199], v[202:203]
	v_fmac_f64_e32 v[204:205], v[6:7], v[12:13]
	v_add_f64_e32 v[188:189], v[208:209], v[206:207]
	v_fma_f64 v[206:207], v[4:5], v[12:13], -v[14:15]
	ds_load_b128 v[4:7], v2 offset:1840
	s_wait_loadcnt_dscnt 0xa01
	v_mul_f64_e32 v[202:203], v[194:195], v[18:19]
	v_mul_f64_e32 v[18:19], v[196:197], v[18:19]
	scratch_load_b128 v[12:15], off, off offset:976
	v_add_f64_e32 v[198:199], v[198:199], v[200:201]
	s_wait_loadcnt_dscnt 0xa00
	v_mul_f64_e32 v[200:201], v[4:5], v[22:23]
	v_add_f64_e32 v[208:209], v[188:189], v[186:187]
	v_mul_f64_e32 v[22:23], v[6:7], v[22:23]
	ds_load_b128 v[186:189], v2 offset:1856
	v_fmac_f64_e32 v[202:203], v[196:197], v[16:17]
	v_fma_f64 v[194:195], v[194:195], v[16:17], -v[18:19]
	scratch_load_b128 v[16:19], off, off offset:992
	v_add_f64_e32 v[198:199], v[198:199], v[204:205]
	v_fmac_f64_e32 v[200:201], v[6:7], v[20:21]
	v_add_f64_e32 v[196:197], v[208:209], v[206:207]
	v_fma_f64 v[206:207], v[4:5], v[20:21], -v[22:23]
	ds_load_b128 v[4:7], v2 offset:1872
	s_wait_loadcnt_dscnt 0xa01
	v_mul_f64_e32 v[204:205], v[186:187], v[26:27]
	v_mul_f64_e32 v[26:27], v[188:189], v[26:27]
	scratch_load_b128 v[20:23], off, off offset:1008
	v_add_f64_e32 v[198:199], v[198:199], v[202:203]
	s_wait_loadcnt_dscnt 0xa00
	v_mul_f64_e32 v[202:203], v[4:5], v[30:31]
	v_add_f64_e32 v[208:209], v[196:197], v[194:195]
	v_mul_f64_e32 v[30:31], v[6:7], v[30:31]
	ds_load_b128 v[194:197], v2 offset:1888
	v_fmac_f64_e32 v[204:205], v[188:189], v[24:25]
	v_fma_f64 v[24:25], v[186:187], v[24:25], -v[26:27]
	s_wait_loadcnt_dscnt 0x900
	v_mul_f64_e32 v[188:189], v[194:195], v[164:165]
	v_mul_f64_e32 v[164:165], v[196:197], v[164:165]
	v_add_f64_e32 v[186:187], v[198:199], v[200:201]
	v_fmac_f64_e32 v[202:203], v[6:7], v[28:29]
	v_add_f64_e32 v[26:27], v[208:209], v[206:207]
	v_fma_f64 v[28:29], v[4:5], v[28:29], -v[30:31]
	v_fmac_f64_e32 v[188:189], v[196:197], v[162:163]
	v_fma_f64 v[162:163], v[194:195], v[162:163], -v[164:165]
	v_add_f64_e32 v[186:187], v[186:187], v[204:205]
	v_add_f64_e32 v[30:31], v[26:27], v[24:25]
	ds_load_b128 v[4:7], v2 offset:1904
	ds_load_b128 v[24:27], v2 offset:1920
	s_wait_loadcnt_dscnt 0x801
	v_mul_f64_e32 v[198:199], v[4:5], v[168:169]
	v_mul_f64_e32 v[168:169], v[6:7], v[168:169]
	s_wait_loadcnt_dscnt 0x700
	v_mul_f64_e32 v[164:165], v[24:25], v[172:173]
	v_mul_f64_e32 v[172:173], v[26:27], v[172:173]
	v_add_f64_e32 v[28:29], v[30:31], v[28:29]
	v_add_f64_e32 v[30:31], v[186:187], v[202:203]
	v_fmac_f64_e32 v[198:199], v[6:7], v[166:167]
	v_fma_f64 v[166:167], v[4:5], v[166:167], -v[168:169]
	v_fmac_f64_e32 v[164:165], v[26:27], v[170:171]
	v_fma_f64 v[24:25], v[24:25], v[170:171], -v[172:173]
	v_add_f64_e32 v[162:163], v[28:29], v[162:163]
	v_add_f64_e32 v[168:169], v[30:31], v[188:189]
	ds_load_b128 v[4:7], v2 offset:1936
	ds_load_b128 v[28:31], v2 offset:1952
	s_wait_loadcnt_dscnt 0x601
	v_mul_f64_e32 v[186:187], v[4:5], v[180:181]
	v_mul_f64_e32 v[180:181], v[6:7], v[180:181]
	v_add_f64_e32 v[26:27], v[162:163], v[166:167]
	v_add_f64_e32 v[162:163], v[168:169], v[198:199]
	s_wait_loadcnt_dscnt 0x500
	v_mul_f64_e32 v[166:167], v[28:29], v[192:193]
	v_mul_f64_e32 v[168:169], v[30:31], v[192:193]
	v_fmac_f64_e32 v[186:187], v[6:7], v[178:179]
	v_fma_f64 v[170:171], v[4:5], v[178:179], -v[180:181]
	v_add_f64_e32 v[172:173], v[26:27], v[24:25]
	v_add_f64_e32 v[162:163], v[162:163], v[164:165]
	ds_load_b128 v[4:7], v2 offset:1968
	ds_load_b128 v[24:27], v2 offset:1984
	v_fmac_f64_e32 v[166:167], v[30:31], v[190:191]
	v_fma_f64 v[28:29], v[28:29], v[190:191], -v[168:169]
	s_wait_loadcnt_dscnt 0x401
	v_mul_f64_e32 v[164:165], v[4:5], v[176:177]
	v_mul_f64_e32 v[176:177], v[6:7], v[176:177]
	s_wait_loadcnt_dscnt 0x300
	v_mul_f64_e32 v[168:169], v[24:25], v[10:11]
	v_mul_f64_e32 v[10:11], v[26:27], v[10:11]
	v_add_f64_e32 v[30:31], v[172:173], v[170:171]
	v_add_f64_e32 v[162:163], v[162:163], v[186:187]
	v_fmac_f64_e32 v[164:165], v[6:7], v[174:175]
	v_fma_f64 v[170:171], v[4:5], v[174:175], -v[176:177]
	v_fmac_f64_e32 v[168:169], v[26:27], v[8:9]
	v_fma_f64 v[8:9], v[24:25], v[8:9], -v[10:11]
	v_add_f64_e32 v[172:173], v[30:31], v[28:29]
	v_add_f64_e32 v[162:163], v[162:163], v[166:167]
	ds_load_b128 v[4:7], v2 offset:2000
	ds_load_b128 v[28:31], v2 offset:2016
	s_wait_loadcnt_dscnt 0x201
	v_mul_f64_e32 v[166:167], v[4:5], v[14:15]
	v_mul_f64_e32 v[14:15], v[6:7], v[14:15]
	s_wait_loadcnt_dscnt 0x100
	v_mul_f64_e32 v[26:27], v[28:29], v[18:19]
	v_mul_f64_e32 v[18:19], v[30:31], v[18:19]
	v_add_f64_e32 v[10:11], v[172:173], v[170:171]
	v_add_f64_e32 v[24:25], v[162:163], v[164:165]
	v_fmac_f64_e32 v[166:167], v[6:7], v[12:13]
	v_fma_f64 v[12:13], v[4:5], v[12:13], -v[14:15]
	ds_load_b128 v[4:7], v2 offset:2032
	v_fmac_f64_e32 v[26:27], v[30:31], v[16:17]
	v_fma_f64 v[16:17], v[28:29], v[16:17], -v[18:19]
	v_add_f64_e32 v[8:9], v[10:11], v[8:9]
	v_add_f64_e32 v[10:11], v[24:25], v[168:169]
	s_wait_loadcnt_dscnt 0x0
	v_mul_f64_e32 v[14:15], v[4:5], v[22:23]
	v_mul_f64_e32 v[22:23], v[6:7], v[22:23]
	s_delay_alu instid0(VALU_DEP_4) | instskip(NEXT) | instid1(VALU_DEP_4)
	v_add_f64_e32 v[8:9], v[8:9], v[12:13]
	v_add_f64_e32 v[10:11], v[10:11], v[166:167]
	s_delay_alu instid0(VALU_DEP_4) | instskip(NEXT) | instid1(VALU_DEP_4)
	v_fmac_f64_e32 v[14:15], v[6:7], v[20:21]
	v_fma_f64 v[4:5], v[4:5], v[20:21], -v[22:23]
	s_delay_alu instid0(VALU_DEP_4) | instskip(NEXT) | instid1(VALU_DEP_4)
	v_add_f64_e32 v[6:7], v[8:9], v[16:17]
	v_add_f64_e32 v[8:9], v[10:11], v[26:27]
	s_delay_alu instid0(VALU_DEP_2) | instskip(NEXT) | instid1(VALU_DEP_2)
	v_add_f64_e32 v[4:5], v[6:7], v[4:5]
	v_add_f64_e32 v[6:7], v[8:9], v[14:15]
	s_delay_alu instid0(VALU_DEP_2) | instskip(NEXT) | instid1(VALU_DEP_2)
	v_add_f64_e64 v[4:5], v[182:183], -v[4:5]
	v_add_f64_e64 v[6:7], v[184:185], -v[6:7]
	scratch_store_b128 off, v[4:7], off offset:544
	s_wait_xcnt 0x0
	v_cmpx_lt_u32_e32 33, v1
	s_cbranch_execz .LBB127_343
; %bb.342:
	scratch_load_b128 v[6:9], off, s49
	v_dual_mov_b32 v3, v2 :: v_dual_mov_b32 v4, v2
	v_mov_b32_e32 v5, v2
	scratch_store_b128 off, v[2:5], off offset:528
	s_wait_loadcnt 0x0
	ds_store_b128 v160, v[6:9]
.LBB127_343:
	s_wait_xcnt 0x0
	s_or_b32 exec_lo, exec_lo, s2
	s_wait_storecnt_dscnt 0x0
	s_barrier_signal -1
	s_barrier_wait -1
	s_clause 0x9
	scratch_load_b128 v[4:7], off, off offset:544
	scratch_load_b128 v[8:11], off, off offset:560
	;; [unrolled: 1-line block ×10, first 2 shown]
	ds_load_b128 v[174:177], v2 offset:1568
	ds_load_b128 v[182:185], v2 offset:1584
	s_clause 0x2
	scratch_load_b128 v[178:181], off, off offset:704
	scratch_load_b128 v[186:189], off, off offset:528
	;; [unrolled: 1-line block ×3, first 2 shown]
	s_mov_b32 s2, exec_lo
	s_wait_loadcnt_dscnt 0xc01
	v_mul_f64_e32 v[194:195], v[176:177], v[6:7]
	v_mul_f64_e32 v[198:199], v[174:175], v[6:7]
	s_wait_loadcnt_dscnt 0xb00
	v_mul_f64_e32 v[200:201], v[182:183], v[10:11]
	v_mul_f64_e32 v[10:11], v[184:185], v[10:11]
	s_delay_alu instid0(VALU_DEP_4) | instskip(NEXT) | instid1(VALU_DEP_4)
	v_fma_f64 v[202:203], v[174:175], v[4:5], -v[194:195]
	v_fmac_f64_e32 v[198:199], v[176:177], v[4:5]
	ds_load_b128 v[4:7], v2 offset:1600
	ds_load_b128 v[174:177], v2 offset:1616
	scratch_load_b128 v[194:197], off, off offset:736
	v_fmac_f64_e32 v[200:201], v[184:185], v[8:9]
	v_fma_f64 v[182:183], v[182:183], v[8:9], -v[10:11]
	scratch_load_b128 v[8:11], off, off offset:752
	s_wait_loadcnt_dscnt 0xc01
	v_mul_f64_e32 v[204:205], v[4:5], v[14:15]
	v_mul_f64_e32 v[14:15], v[6:7], v[14:15]
	v_add_f64_e32 v[184:185], 0, v[202:203]
	v_add_f64_e32 v[198:199], 0, v[198:199]
	s_wait_loadcnt_dscnt 0xb00
	v_mul_f64_e32 v[202:203], v[174:175], v[18:19]
	v_mul_f64_e32 v[18:19], v[176:177], v[18:19]
	v_fmac_f64_e32 v[204:205], v[6:7], v[12:13]
	v_fma_f64 v[206:207], v[4:5], v[12:13], -v[14:15]
	ds_load_b128 v[4:7], v2 offset:1632
	ds_load_b128 v[12:15], v2 offset:1648
	v_add_f64_e32 v[208:209], v[184:185], v[182:183]
	v_add_f64_e32 v[198:199], v[198:199], v[200:201]
	scratch_load_b128 v[182:185], off, off offset:768
	v_fmac_f64_e32 v[202:203], v[176:177], v[16:17]
	v_fma_f64 v[174:175], v[174:175], v[16:17], -v[18:19]
	scratch_load_b128 v[16:19], off, off offset:784
	s_wait_loadcnt_dscnt 0xc01
	v_mul_f64_e32 v[200:201], v[4:5], v[22:23]
	v_mul_f64_e32 v[22:23], v[6:7], v[22:23]
	v_add_f64_e32 v[176:177], v[208:209], v[206:207]
	v_add_f64_e32 v[198:199], v[198:199], v[204:205]
	s_wait_loadcnt_dscnt 0xb00
	v_mul_f64_e32 v[204:205], v[12:13], v[26:27]
	v_mul_f64_e32 v[26:27], v[14:15], v[26:27]
	v_fmac_f64_e32 v[200:201], v[6:7], v[20:21]
	v_fma_f64 v[206:207], v[4:5], v[20:21], -v[22:23]
	ds_load_b128 v[4:7], v2 offset:1664
	ds_load_b128 v[20:23], v2 offset:1680
	v_add_f64_e32 v[208:209], v[176:177], v[174:175]
	v_add_f64_e32 v[198:199], v[198:199], v[202:203]
	scratch_load_b128 v[174:177], off, off offset:800
	s_wait_loadcnt_dscnt 0xb01
	v_mul_f64_e32 v[202:203], v[4:5], v[30:31]
	v_mul_f64_e32 v[30:31], v[6:7], v[30:31]
	v_fmac_f64_e32 v[204:205], v[14:15], v[24:25]
	v_fma_f64 v[24:25], v[12:13], v[24:25], -v[26:27]
	scratch_load_b128 v[12:15], off, off offset:816
	v_add_f64_e32 v[26:27], v[208:209], v[206:207]
	v_add_f64_e32 v[198:199], v[198:199], v[200:201]
	s_wait_loadcnt_dscnt 0xb00
	v_mul_f64_e32 v[200:201], v[20:21], v[164:165]
	v_mul_f64_e32 v[164:165], v[22:23], v[164:165]
	v_fmac_f64_e32 v[202:203], v[6:7], v[28:29]
	v_fma_f64 v[206:207], v[4:5], v[28:29], -v[30:31]
	v_add_f64_e32 v[208:209], v[26:27], v[24:25]
	v_add_f64_e32 v[198:199], v[198:199], v[204:205]
	ds_load_b128 v[4:7], v2 offset:1696
	ds_load_b128 v[24:27], v2 offset:1712
	scratch_load_b128 v[28:31], off, off offset:832
	v_fmac_f64_e32 v[200:201], v[22:23], v[162:163]
	v_fma_f64 v[162:163], v[20:21], v[162:163], -v[164:165]
	scratch_load_b128 v[20:23], off, off offset:848
	s_wait_loadcnt_dscnt 0xc01
	v_mul_f64_e32 v[204:205], v[4:5], v[168:169]
	v_mul_f64_e32 v[168:169], v[6:7], v[168:169]
	v_add_f64_e32 v[164:165], v[208:209], v[206:207]
	v_add_f64_e32 v[198:199], v[198:199], v[202:203]
	s_wait_loadcnt_dscnt 0xb00
	v_mul_f64_e32 v[202:203], v[24:25], v[172:173]
	v_mul_f64_e32 v[172:173], v[26:27], v[172:173]
	v_fmac_f64_e32 v[204:205], v[6:7], v[166:167]
	v_fma_f64 v[206:207], v[4:5], v[166:167], -v[168:169]
	v_add_f64_e32 v[208:209], v[164:165], v[162:163]
	v_add_f64_e32 v[198:199], v[198:199], v[200:201]
	ds_load_b128 v[4:7], v2 offset:1728
	ds_load_b128 v[162:165], v2 offset:1744
	scratch_load_b128 v[166:169], off, off offset:864
	v_fmac_f64_e32 v[202:203], v[26:27], v[170:171]
	v_fma_f64 v[170:171], v[24:25], v[170:171], -v[172:173]
	scratch_load_b128 v[24:27], off, off offset:880
	s_wait_loadcnt_dscnt 0xc01
	v_mul_f64_e32 v[200:201], v[4:5], v[180:181]
	v_mul_f64_e32 v[180:181], v[6:7], v[180:181]
	v_add_f64_e32 v[172:173], v[208:209], v[206:207]
	v_add_f64_e32 v[198:199], v[198:199], v[204:205]
	s_wait_loadcnt_dscnt 0xa00
	v_mul_f64_e32 v[204:205], v[162:163], v[192:193]
	v_mul_f64_e32 v[192:193], v[164:165], v[192:193]
	v_fmac_f64_e32 v[200:201], v[6:7], v[178:179]
	v_fma_f64 v[206:207], v[4:5], v[178:179], -v[180:181]
	v_add_f64_e32 v[208:209], v[172:173], v[170:171]
	v_add_f64_e32 v[198:199], v[198:199], v[202:203]
	ds_load_b128 v[4:7], v2 offset:1760
	ds_load_b128 v[170:173], v2 offset:1776
	scratch_load_b128 v[178:181], off, off offset:896
	v_fmac_f64_e32 v[204:205], v[164:165], v[190:191]
	v_fma_f64 v[190:191], v[162:163], v[190:191], -v[192:193]
	scratch_load_b128 v[162:165], off, off offset:912
	s_wait_loadcnt_dscnt 0xb01
	v_mul_f64_e32 v[202:203], v[4:5], v[196:197]
	v_mul_f64_e32 v[196:197], v[6:7], v[196:197]
	v_add_f64_e32 v[192:193], v[208:209], v[206:207]
	v_add_f64_e32 v[198:199], v[198:199], v[200:201]
	s_wait_loadcnt_dscnt 0xa00
	v_mul_f64_e32 v[200:201], v[170:171], v[10:11]
	v_mul_f64_e32 v[10:11], v[172:173], v[10:11]
	v_fmac_f64_e32 v[202:203], v[6:7], v[194:195]
	v_fma_f64 v[206:207], v[4:5], v[194:195], -v[196:197]
	v_add_f64_e32 v[208:209], v[192:193], v[190:191]
	v_add_f64_e32 v[198:199], v[198:199], v[204:205]
	ds_load_b128 v[4:7], v2 offset:1792
	ds_load_b128 v[190:193], v2 offset:1808
	scratch_load_b128 v[194:197], off, off offset:928
	v_fmac_f64_e32 v[200:201], v[172:173], v[8:9]
	v_fma_f64 v[170:171], v[170:171], v[8:9], -v[10:11]
	scratch_load_b128 v[8:11], off, off offset:944
	s_wait_loadcnt_dscnt 0xb01
	v_mul_f64_e32 v[204:205], v[4:5], v[184:185]
	v_mul_f64_e32 v[184:185], v[6:7], v[184:185]
	v_add_f64_e32 v[172:173], v[208:209], v[206:207]
	v_add_f64_e32 v[198:199], v[198:199], v[202:203]
	s_wait_loadcnt_dscnt 0xa00
	v_mul_f64_e32 v[202:203], v[190:191], v[18:19]
	v_mul_f64_e32 v[18:19], v[192:193], v[18:19]
	v_fmac_f64_e32 v[204:205], v[6:7], v[182:183]
	v_fma_f64 v[206:207], v[4:5], v[182:183], -v[184:185]
	v_add_f64_e32 v[208:209], v[172:173], v[170:171]
	v_add_f64_e32 v[198:199], v[198:199], v[200:201]
	ds_load_b128 v[4:7], v2 offset:1824
	ds_load_b128 v[170:173], v2 offset:1840
	scratch_load_b128 v[182:185], off, off offset:960
	v_fmac_f64_e32 v[202:203], v[192:193], v[16:17]
	v_fma_f64 v[190:191], v[190:191], v[16:17], -v[18:19]
	scratch_load_b128 v[16:19], off, off offset:976
	s_wait_loadcnt_dscnt 0xb01
	v_mul_f64_e32 v[200:201], v[4:5], v[176:177]
	v_mul_f64_e32 v[176:177], v[6:7], v[176:177]
	v_add_f64_e32 v[192:193], v[208:209], v[206:207]
	v_add_f64_e32 v[198:199], v[198:199], v[204:205]
	s_wait_loadcnt_dscnt 0xa00
	v_mul_f64_e32 v[204:205], v[170:171], v[14:15]
	v_mul_f64_e32 v[14:15], v[172:173], v[14:15]
	v_fmac_f64_e32 v[200:201], v[6:7], v[174:175]
	v_fma_f64 v[206:207], v[4:5], v[174:175], -v[176:177]
	ds_load_b128 v[4:7], v2 offset:1856
	ds_load_b128 v[174:177], v2 offset:1872
	v_add_f64_e32 v[208:209], v[192:193], v[190:191]
	v_add_f64_e32 v[198:199], v[198:199], v[202:203]
	scratch_load_b128 v[190:193], off, off offset:992
	v_fmac_f64_e32 v[204:205], v[172:173], v[12:13]
	v_fma_f64 v[170:171], v[170:171], v[12:13], -v[14:15]
	scratch_load_b128 v[12:15], off, off offset:1008
	s_wait_loadcnt_dscnt 0xb01
	v_mul_f64_e32 v[202:203], v[4:5], v[30:31]
	v_mul_f64_e32 v[30:31], v[6:7], v[30:31]
	v_add_f64_e32 v[172:173], v[208:209], v[206:207]
	v_add_f64_e32 v[198:199], v[198:199], v[200:201]
	s_wait_loadcnt_dscnt 0xa00
	v_mul_f64_e32 v[200:201], v[174:175], v[22:23]
	v_mul_f64_e32 v[22:23], v[176:177], v[22:23]
	v_fmac_f64_e32 v[202:203], v[6:7], v[28:29]
	v_fma_f64 v[206:207], v[4:5], v[28:29], -v[30:31]
	ds_load_b128 v[4:7], v2 offset:1888
	ds_load_b128 v[28:31], v2 offset:1904
	v_add_f64_e32 v[170:171], v[172:173], v[170:171]
	v_add_f64_e32 v[172:173], v[198:199], v[204:205]
	v_fmac_f64_e32 v[200:201], v[176:177], v[20:21]
	s_wait_loadcnt_dscnt 0x901
	v_mul_f64_e32 v[198:199], v[4:5], v[168:169]
	v_mul_f64_e32 v[168:169], v[6:7], v[168:169]
	v_fma_f64 v[20:21], v[174:175], v[20:21], -v[22:23]
	v_add_f64_e32 v[22:23], v[170:171], v[206:207]
	v_add_f64_e32 v[170:171], v[172:173], v[202:203]
	s_wait_loadcnt_dscnt 0x800
	v_mul_f64_e32 v[172:173], v[28:29], v[26:27]
	v_mul_f64_e32 v[26:27], v[30:31], v[26:27]
	v_fmac_f64_e32 v[198:199], v[6:7], v[166:167]
	v_fma_f64 v[166:167], v[4:5], v[166:167], -v[168:169]
	v_add_f64_e32 v[168:169], v[22:23], v[20:21]
	v_add_f64_e32 v[170:171], v[170:171], v[200:201]
	ds_load_b128 v[4:7], v2 offset:1920
	ds_load_b128 v[20:23], v2 offset:1936
	v_fmac_f64_e32 v[172:173], v[30:31], v[24:25]
	v_fma_f64 v[24:25], v[28:29], v[24:25], -v[26:27]
	s_wait_loadcnt_dscnt 0x701
	v_mul_f64_e32 v[174:175], v[4:5], v[180:181]
	v_mul_f64_e32 v[176:177], v[6:7], v[180:181]
	s_wait_loadcnt_dscnt 0x600
	v_mul_f64_e32 v[30:31], v[20:21], v[164:165]
	v_mul_f64_e32 v[164:165], v[22:23], v[164:165]
	v_add_f64_e32 v[26:27], v[168:169], v[166:167]
	v_add_f64_e32 v[28:29], v[170:171], v[198:199]
	v_fmac_f64_e32 v[174:175], v[6:7], v[178:179]
	v_fma_f64 v[166:167], v[4:5], v[178:179], -v[176:177]
	v_fmac_f64_e32 v[30:31], v[22:23], v[162:163]
	v_fma_f64 v[20:21], v[20:21], v[162:163], -v[164:165]
	v_add_f64_e32 v[168:169], v[26:27], v[24:25]
	v_add_f64_e32 v[28:29], v[28:29], v[172:173]
	ds_load_b128 v[4:7], v2 offset:1952
	ds_load_b128 v[24:27], v2 offset:1968
	s_wait_loadcnt_dscnt 0x501
	v_mul_f64_e32 v[170:171], v[4:5], v[196:197]
	v_mul_f64_e32 v[172:173], v[6:7], v[196:197]
	s_wait_loadcnt_dscnt 0x400
	v_mul_f64_e32 v[162:163], v[24:25], v[10:11]
	v_mul_f64_e32 v[10:11], v[26:27], v[10:11]
	v_add_f64_e32 v[22:23], v[168:169], v[166:167]
	v_add_f64_e32 v[28:29], v[28:29], v[174:175]
	v_fmac_f64_e32 v[170:171], v[6:7], v[194:195]
	v_fma_f64 v[164:165], v[4:5], v[194:195], -v[172:173]
	v_fmac_f64_e32 v[162:163], v[26:27], v[8:9]
	v_fma_f64 v[8:9], v[24:25], v[8:9], -v[10:11]
	v_add_f64_e32 v[166:167], v[22:23], v[20:21]
	v_add_f64_e32 v[28:29], v[28:29], v[30:31]
	ds_load_b128 v[4:7], v2 offset:1984
	ds_load_b128 v[20:23], v2 offset:2000
	;; [unrolled: 16-line block ×3, first 2 shown]
	s_wait_loadcnt_dscnt 0x101
	v_mul_f64_e32 v[2:3], v[4:5], v[192:193]
	v_mul_f64_e32 v[162:163], v[6:7], v[192:193]
	s_wait_loadcnt_dscnt 0x0
	v_mul_f64_e32 v[22:23], v[8:9], v[14:15]
	v_mul_f64_e32 v[14:15], v[10:11], v[14:15]
	v_add_f64_e32 v[18:19], v[164:165], v[28:29]
	v_add_f64_e32 v[20:21], v[24:25], v[30:31]
	v_fmac_f64_e32 v[2:3], v[6:7], v[190:191]
	v_fma_f64 v[4:5], v[4:5], v[190:191], -v[162:163]
	v_fmac_f64_e32 v[22:23], v[10:11], v[12:13]
	v_fma_f64 v[8:9], v[8:9], v[12:13], -v[14:15]
	v_add_f64_e32 v[6:7], v[18:19], v[16:17]
	v_add_f64_e32 v[16:17], v[20:21], v[26:27]
	s_delay_alu instid0(VALU_DEP_2) | instskip(NEXT) | instid1(VALU_DEP_2)
	v_add_f64_e32 v[4:5], v[6:7], v[4:5]
	v_add_f64_e32 v[2:3], v[16:17], v[2:3]
	s_delay_alu instid0(VALU_DEP_2) | instskip(NEXT) | instid1(VALU_DEP_2)
	;; [unrolled: 3-line block ×3, first 2 shown]
	v_add_f64_e64 v[2:3], v[186:187], -v[4:5]
	v_add_f64_e64 v[4:5], v[188:189], -v[6:7]
	scratch_store_b128 off, v[2:5], off offset:528
	s_wait_xcnt 0x0
	v_cmpx_lt_u32_e32 32, v1
	s_cbranch_execz .LBB127_345
; %bb.344:
	scratch_load_b128 v[2:5], off, s50
	v_mov_b32_e32 v6, 0
	s_delay_alu instid0(VALU_DEP_1)
	v_dual_mov_b32 v7, v6 :: v_dual_mov_b32 v8, v6
	v_mov_b32_e32 v9, v6
	scratch_store_b128 off, v[6:9], off offset:512
	s_wait_loadcnt 0x0
	ds_store_b128 v160, v[2:5]
.LBB127_345:
	s_wait_xcnt 0x0
	s_or_b32 exec_lo, exec_lo, s2
	s_wait_storecnt_dscnt 0x0
	s_barrier_signal -1
	s_barrier_wait -1
	s_clause 0x9
	scratch_load_b128 v[4:7], off, off offset:528
	scratch_load_b128 v[8:11], off, off offset:544
	;; [unrolled: 1-line block ×10, first 2 shown]
	v_mov_b32_e32 v2, 0
	s_mov_b32 s2, exec_lo
	ds_load_b128 v[174:177], v2 offset:1552
	s_clause 0x2
	scratch_load_b128 v[178:181], off, off offset:688
	scratch_load_b128 v[182:185], off, off offset:512
	;; [unrolled: 1-line block ×3, first 2 shown]
	s_wait_loadcnt_dscnt 0xc00
	v_mul_f64_e32 v[194:195], v[176:177], v[6:7]
	v_mul_f64_e32 v[198:199], v[174:175], v[6:7]
	ds_load_b128 v[186:189], v2 offset:1568
	v_fma_f64 v[202:203], v[174:175], v[4:5], -v[194:195]
	v_fmac_f64_e32 v[198:199], v[176:177], v[4:5]
	ds_load_b128 v[4:7], v2 offset:1584
	s_wait_loadcnt_dscnt 0xb01
	v_mul_f64_e32 v[200:201], v[186:187], v[10:11]
	v_mul_f64_e32 v[10:11], v[188:189], v[10:11]
	scratch_load_b128 v[174:177], off, off offset:720
	ds_load_b128 v[194:197], v2 offset:1600
	s_wait_loadcnt_dscnt 0xb01
	v_mul_f64_e32 v[204:205], v[4:5], v[14:15]
	v_mul_f64_e32 v[14:15], v[6:7], v[14:15]
	v_add_f64_e32 v[198:199], 0, v[198:199]
	v_fmac_f64_e32 v[200:201], v[188:189], v[8:9]
	v_fma_f64 v[186:187], v[186:187], v[8:9], -v[10:11]
	v_add_f64_e32 v[188:189], 0, v[202:203]
	scratch_load_b128 v[8:11], off, off offset:736
	v_fmac_f64_e32 v[204:205], v[6:7], v[12:13]
	v_fma_f64 v[206:207], v[4:5], v[12:13], -v[14:15]
	ds_load_b128 v[4:7], v2 offset:1616
	s_wait_loadcnt_dscnt 0xb01
	v_mul_f64_e32 v[202:203], v[194:195], v[18:19]
	v_mul_f64_e32 v[18:19], v[196:197], v[18:19]
	scratch_load_b128 v[12:15], off, off offset:752
	v_add_f64_e32 v[198:199], v[198:199], v[200:201]
	v_add_f64_e32 v[208:209], v[188:189], v[186:187]
	ds_load_b128 v[186:189], v2 offset:1632
	s_wait_loadcnt_dscnt 0xb01
	v_mul_f64_e32 v[200:201], v[4:5], v[22:23]
	v_mul_f64_e32 v[22:23], v[6:7], v[22:23]
	v_fmac_f64_e32 v[202:203], v[196:197], v[16:17]
	v_fma_f64 v[194:195], v[194:195], v[16:17], -v[18:19]
	scratch_load_b128 v[16:19], off, off offset:768
	v_add_f64_e32 v[198:199], v[198:199], v[204:205]
	v_add_f64_e32 v[196:197], v[208:209], v[206:207]
	v_fmac_f64_e32 v[200:201], v[6:7], v[20:21]
	v_fma_f64 v[206:207], v[4:5], v[20:21], -v[22:23]
	ds_load_b128 v[4:7], v2 offset:1648
	s_wait_loadcnt_dscnt 0xb01
	v_mul_f64_e32 v[204:205], v[186:187], v[26:27]
	v_mul_f64_e32 v[26:27], v[188:189], v[26:27]
	scratch_load_b128 v[20:23], off, off offset:784
	v_add_f64_e32 v[198:199], v[198:199], v[202:203]
	s_wait_loadcnt_dscnt 0xb00
	v_mul_f64_e32 v[202:203], v[4:5], v[30:31]
	v_add_f64_e32 v[208:209], v[196:197], v[194:195]
	v_mul_f64_e32 v[30:31], v[6:7], v[30:31]
	ds_load_b128 v[194:197], v2 offset:1664
	v_fmac_f64_e32 v[204:205], v[188:189], v[24:25]
	v_fma_f64 v[186:187], v[186:187], v[24:25], -v[26:27]
	scratch_load_b128 v[24:27], off, off offset:800
	v_add_f64_e32 v[198:199], v[198:199], v[200:201]
	v_fmac_f64_e32 v[202:203], v[6:7], v[28:29]
	v_add_f64_e32 v[188:189], v[208:209], v[206:207]
	v_fma_f64 v[206:207], v[4:5], v[28:29], -v[30:31]
	ds_load_b128 v[4:7], v2 offset:1680
	s_wait_loadcnt_dscnt 0xb01
	v_mul_f64_e32 v[200:201], v[194:195], v[164:165]
	v_mul_f64_e32 v[164:165], v[196:197], v[164:165]
	scratch_load_b128 v[28:31], off, off offset:816
	v_add_f64_e32 v[198:199], v[198:199], v[204:205]
	s_wait_loadcnt_dscnt 0xb00
	v_mul_f64_e32 v[204:205], v[4:5], v[168:169]
	v_add_f64_e32 v[208:209], v[188:189], v[186:187]
	v_mul_f64_e32 v[168:169], v[6:7], v[168:169]
	ds_load_b128 v[186:189], v2 offset:1696
	v_fmac_f64_e32 v[200:201], v[196:197], v[162:163]
	v_fma_f64 v[194:195], v[194:195], v[162:163], -v[164:165]
	scratch_load_b128 v[162:165], off, off offset:832
	v_add_f64_e32 v[198:199], v[198:199], v[202:203]
	v_fmac_f64_e32 v[204:205], v[6:7], v[166:167]
	v_add_f64_e32 v[196:197], v[208:209], v[206:207]
	;; [unrolled: 18-line block ×3, first 2 shown]
	v_fma_f64 v[206:207], v[4:5], v[178:179], -v[180:181]
	ds_load_b128 v[4:7], v2 offset:1744
	s_wait_loadcnt_dscnt 0xa01
	v_mul_f64_e32 v[204:205], v[194:195], v[192:193]
	v_mul_f64_e32 v[192:193], v[196:197], v[192:193]
	scratch_load_b128 v[178:181], off, off offset:880
	v_add_f64_e32 v[198:199], v[198:199], v[202:203]
	v_add_f64_e32 v[208:209], v[188:189], v[186:187]
	s_wait_loadcnt_dscnt 0xa00
	v_mul_f64_e32 v[202:203], v[4:5], v[176:177]
	v_mul_f64_e32 v[176:177], v[6:7], v[176:177]
	v_fmac_f64_e32 v[204:205], v[196:197], v[190:191]
	v_fma_f64 v[194:195], v[194:195], v[190:191], -v[192:193]
	ds_load_b128 v[186:189], v2 offset:1760
	scratch_load_b128 v[190:193], off, off offset:896
	v_add_f64_e32 v[198:199], v[198:199], v[200:201]
	v_add_f64_e32 v[196:197], v[208:209], v[206:207]
	v_fmac_f64_e32 v[202:203], v[6:7], v[174:175]
	v_fma_f64 v[206:207], v[4:5], v[174:175], -v[176:177]
	ds_load_b128 v[4:7], v2 offset:1776
	s_wait_loadcnt_dscnt 0xa01
	v_mul_f64_e32 v[200:201], v[186:187], v[10:11]
	v_mul_f64_e32 v[10:11], v[188:189], v[10:11]
	scratch_load_b128 v[174:177], off, off offset:912
	v_add_f64_e32 v[198:199], v[198:199], v[204:205]
	s_wait_loadcnt_dscnt 0xa00
	v_mul_f64_e32 v[204:205], v[4:5], v[14:15]
	v_add_f64_e32 v[208:209], v[196:197], v[194:195]
	v_mul_f64_e32 v[14:15], v[6:7], v[14:15]
	ds_load_b128 v[194:197], v2 offset:1792
	v_fmac_f64_e32 v[200:201], v[188:189], v[8:9]
	v_fma_f64 v[186:187], v[186:187], v[8:9], -v[10:11]
	scratch_load_b128 v[8:11], off, off offset:928
	v_add_f64_e32 v[198:199], v[198:199], v[202:203]
	v_fmac_f64_e32 v[204:205], v[6:7], v[12:13]
	v_add_f64_e32 v[188:189], v[208:209], v[206:207]
	v_fma_f64 v[206:207], v[4:5], v[12:13], -v[14:15]
	ds_load_b128 v[4:7], v2 offset:1808
	s_wait_loadcnt_dscnt 0xa01
	v_mul_f64_e32 v[202:203], v[194:195], v[18:19]
	v_mul_f64_e32 v[18:19], v[196:197], v[18:19]
	scratch_load_b128 v[12:15], off, off offset:944
	v_add_f64_e32 v[198:199], v[198:199], v[200:201]
	s_wait_loadcnt_dscnt 0xa00
	v_mul_f64_e32 v[200:201], v[4:5], v[22:23]
	v_add_f64_e32 v[208:209], v[188:189], v[186:187]
	v_mul_f64_e32 v[22:23], v[6:7], v[22:23]
	ds_load_b128 v[186:189], v2 offset:1824
	v_fmac_f64_e32 v[202:203], v[196:197], v[16:17]
	v_fma_f64 v[194:195], v[194:195], v[16:17], -v[18:19]
	scratch_load_b128 v[16:19], off, off offset:960
	v_add_f64_e32 v[198:199], v[198:199], v[204:205]
	v_fmac_f64_e32 v[200:201], v[6:7], v[20:21]
	v_add_f64_e32 v[196:197], v[208:209], v[206:207]
	;; [unrolled: 18-line block ×3, first 2 shown]
	v_fma_f64 v[206:207], v[4:5], v[28:29], -v[30:31]
	ds_load_b128 v[4:7], v2 offset:1872
	s_wait_loadcnt_dscnt 0xa01
	v_mul_f64_e32 v[200:201], v[194:195], v[164:165]
	v_mul_f64_e32 v[164:165], v[196:197], v[164:165]
	scratch_load_b128 v[28:31], off, off offset:1008
	v_add_f64_e32 v[198:199], v[198:199], v[204:205]
	s_wait_loadcnt_dscnt 0xa00
	v_mul_f64_e32 v[204:205], v[4:5], v[168:169]
	v_add_f64_e32 v[208:209], v[188:189], v[186:187]
	v_mul_f64_e32 v[168:169], v[6:7], v[168:169]
	ds_load_b128 v[186:189], v2 offset:1888
	v_fmac_f64_e32 v[200:201], v[196:197], v[162:163]
	v_fma_f64 v[162:163], v[194:195], v[162:163], -v[164:165]
	s_wait_loadcnt_dscnt 0x900
	v_mul_f64_e32 v[196:197], v[186:187], v[172:173]
	v_mul_f64_e32 v[172:173], v[188:189], v[172:173]
	v_add_f64_e32 v[194:195], v[198:199], v[202:203]
	v_fmac_f64_e32 v[204:205], v[6:7], v[166:167]
	v_add_f64_e32 v[164:165], v[208:209], v[206:207]
	v_fma_f64 v[166:167], v[4:5], v[166:167], -v[168:169]
	v_fmac_f64_e32 v[196:197], v[188:189], v[170:171]
	v_fma_f64 v[170:171], v[186:187], v[170:171], -v[172:173]
	v_add_f64_e32 v[194:195], v[194:195], v[200:201]
	v_add_f64_e32 v[168:169], v[164:165], v[162:163]
	ds_load_b128 v[4:7], v2 offset:1904
	ds_load_b128 v[162:165], v2 offset:1920
	s_wait_loadcnt_dscnt 0x801
	v_mul_f64_e32 v[198:199], v[4:5], v[180:181]
	v_mul_f64_e32 v[180:181], v[6:7], v[180:181]
	s_wait_loadcnt_dscnt 0x700
	v_mul_f64_e32 v[172:173], v[162:163], v[192:193]
	v_mul_f64_e32 v[186:187], v[164:165], v[192:193]
	v_add_f64_e32 v[166:167], v[168:169], v[166:167]
	v_add_f64_e32 v[168:169], v[194:195], v[204:205]
	v_fmac_f64_e32 v[198:199], v[6:7], v[178:179]
	v_fma_f64 v[178:179], v[4:5], v[178:179], -v[180:181]
	v_fmac_f64_e32 v[172:173], v[164:165], v[190:191]
	v_fma_f64 v[162:163], v[162:163], v[190:191], -v[186:187]
	v_add_f64_e32 v[170:171], v[166:167], v[170:171]
	v_add_f64_e32 v[180:181], v[168:169], v[196:197]
	ds_load_b128 v[4:7], v2 offset:1936
	ds_load_b128 v[166:169], v2 offset:1952
	s_wait_loadcnt_dscnt 0x601
	v_mul_f64_e32 v[188:189], v[4:5], v[176:177]
	v_mul_f64_e32 v[176:177], v[6:7], v[176:177]
	v_add_f64_e32 v[164:165], v[170:171], v[178:179]
	v_add_f64_e32 v[170:171], v[180:181], v[198:199]
	s_wait_loadcnt_dscnt 0x500
	v_mul_f64_e32 v[178:179], v[166:167], v[10:11]
	v_mul_f64_e32 v[10:11], v[168:169], v[10:11]
	v_fmac_f64_e32 v[188:189], v[6:7], v[174:175]
	v_fma_f64 v[174:175], v[4:5], v[174:175], -v[176:177]
	v_add_f64_e32 v[176:177], v[164:165], v[162:163]
	v_add_f64_e32 v[170:171], v[170:171], v[172:173]
	ds_load_b128 v[4:7], v2 offset:1968
	ds_load_b128 v[162:165], v2 offset:1984
	v_fmac_f64_e32 v[178:179], v[168:169], v[8:9]
	v_fma_f64 v[8:9], v[166:167], v[8:9], -v[10:11]
	s_wait_loadcnt_dscnt 0x401
	v_mul_f64_e32 v[172:173], v[4:5], v[14:15]
	v_mul_f64_e32 v[14:15], v[6:7], v[14:15]
	s_wait_loadcnt_dscnt 0x300
	v_mul_f64_e32 v[168:169], v[162:163], v[18:19]
	v_mul_f64_e32 v[18:19], v[164:165], v[18:19]
	v_add_f64_e32 v[10:11], v[176:177], v[174:175]
	v_add_f64_e32 v[166:167], v[170:171], v[188:189]
	v_fmac_f64_e32 v[172:173], v[6:7], v[12:13]
	v_fma_f64 v[12:13], v[4:5], v[12:13], -v[14:15]
	v_fmac_f64_e32 v[168:169], v[164:165], v[16:17]
	v_fma_f64 v[16:17], v[162:163], v[16:17], -v[18:19]
	v_add_f64_e32 v[14:15], v[10:11], v[8:9]
	v_add_f64_e32 v[166:167], v[166:167], v[178:179]
	ds_load_b128 v[4:7], v2 offset:2000
	ds_load_b128 v[8:11], v2 offset:2016
	s_wait_loadcnt_dscnt 0x201
	v_mul_f64_e32 v[170:171], v[4:5], v[22:23]
	v_mul_f64_e32 v[22:23], v[6:7], v[22:23]
	s_wait_loadcnt_dscnt 0x100
	v_mul_f64_e32 v[18:19], v[8:9], v[26:27]
	v_mul_f64_e32 v[26:27], v[10:11], v[26:27]
	v_add_f64_e32 v[12:13], v[14:15], v[12:13]
	v_add_f64_e32 v[14:15], v[166:167], v[172:173]
	v_fmac_f64_e32 v[170:171], v[6:7], v[20:21]
	v_fma_f64 v[20:21], v[4:5], v[20:21], -v[22:23]
	ds_load_b128 v[4:7], v2 offset:2032
	v_fmac_f64_e32 v[18:19], v[10:11], v[24:25]
	v_fma_f64 v[8:9], v[8:9], v[24:25], -v[26:27]
	v_add_f64_e32 v[12:13], v[12:13], v[16:17]
	v_add_f64_e32 v[14:15], v[14:15], v[168:169]
	s_wait_loadcnt_dscnt 0x0
	v_mul_f64_e32 v[16:17], v[4:5], v[30:31]
	v_mul_f64_e32 v[22:23], v[6:7], v[30:31]
	s_delay_alu instid0(VALU_DEP_4) | instskip(NEXT) | instid1(VALU_DEP_4)
	v_add_f64_e32 v[10:11], v[12:13], v[20:21]
	v_add_f64_e32 v[12:13], v[14:15], v[170:171]
	s_delay_alu instid0(VALU_DEP_4) | instskip(NEXT) | instid1(VALU_DEP_4)
	v_fmac_f64_e32 v[16:17], v[6:7], v[28:29]
	v_fma_f64 v[4:5], v[4:5], v[28:29], -v[22:23]
	s_delay_alu instid0(VALU_DEP_4) | instskip(NEXT) | instid1(VALU_DEP_4)
	v_add_f64_e32 v[6:7], v[10:11], v[8:9]
	v_add_f64_e32 v[8:9], v[12:13], v[18:19]
	s_delay_alu instid0(VALU_DEP_2) | instskip(NEXT) | instid1(VALU_DEP_2)
	v_add_f64_e32 v[4:5], v[6:7], v[4:5]
	v_add_f64_e32 v[6:7], v[8:9], v[16:17]
	s_delay_alu instid0(VALU_DEP_2) | instskip(NEXT) | instid1(VALU_DEP_2)
	v_add_f64_e64 v[4:5], v[182:183], -v[4:5]
	v_add_f64_e64 v[6:7], v[184:185], -v[6:7]
	scratch_store_b128 off, v[4:7], off offset:512
	s_wait_xcnt 0x0
	v_cmpx_lt_u32_e32 31, v1
	s_cbranch_execz .LBB127_347
; %bb.346:
	scratch_load_b128 v[6:9], off, s51
	v_dual_mov_b32 v3, v2 :: v_dual_mov_b32 v4, v2
	v_mov_b32_e32 v5, v2
	scratch_store_b128 off, v[2:5], off offset:496
	s_wait_loadcnt 0x0
	ds_store_b128 v160, v[6:9]
.LBB127_347:
	s_wait_xcnt 0x0
	s_or_b32 exec_lo, exec_lo, s2
	s_wait_storecnt_dscnt 0x0
	s_barrier_signal -1
	s_barrier_wait -1
	s_clause 0x9
	scratch_load_b128 v[4:7], off, off offset:512
	scratch_load_b128 v[8:11], off, off offset:528
	;; [unrolled: 1-line block ×10, first 2 shown]
	ds_load_b128 v[174:177], v2 offset:1536
	ds_load_b128 v[182:185], v2 offset:1552
	s_clause 0x2
	scratch_load_b128 v[178:181], off, off offset:672
	scratch_load_b128 v[186:189], off, off offset:496
	;; [unrolled: 1-line block ×3, first 2 shown]
	s_mov_b32 s2, exec_lo
	s_wait_loadcnt_dscnt 0xc01
	v_mul_f64_e32 v[194:195], v[176:177], v[6:7]
	v_mul_f64_e32 v[198:199], v[174:175], v[6:7]
	s_wait_loadcnt_dscnt 0xb00
	v_mul_f64_e32 v[200:201], v[182:183], v[10:11]
	v_mul_f64_e32 v[10:11], v[184:185], v[10:11]
	s_delay_alu instid0(VALU_DEP_4) | instskip(NEXT) | instid1(VALU_DEP_4)
	v_fma_f64 v[202:203], v[174:175], v[4:5], -v[194:195]
	v_fmac_f64_e32 v[198:199], v[176:177], v[4:5]
	ds_load_b128 v[4:7], v2 offset:1568
	ds_load_b128 v[174:177], v2 offset:1584
	scratch_load_b128 v[194:197], off, off offset:704
	v_fmac_f64_e32 v[200:201], v[184:185], v[8:9]
	v_fma_f64 v[182:183], v[182:183], v[8:9], -v[10:11]
	scratch_load_b128 v[8:11], off, off offset:720
	s_wait_loadcnt_dscnt 0xc01
	v_mul_f64_e32 v[204:205], v[4:5], v[14:15]
	v_mul_f64_e32 v[14:15], v[6:7], v[14:15]
	v_add_f64_e32 v[184:185], 0, v[202:203]
	v_add_f64_e32 v[198:199], 0, v[198:199]
	s_wait_loadcnt_dscnt 0xb00
	v_mul_f64_e32 v[202:203], v[174:175], v[18:19]
	v_mul_f64_e32 v[18:19], v[176:177], v[18:19]
	v_fmac_f64_e32 v[204:205], v[6:7], v[12:13]
	v_fma_f64 v[206:207], v[4:5], v[12:13], -v[14:15]
	ds_load_b128 v[4:7], v2 offset:1600
	ds_load_b128 v[12:15], v2 offset:1616
	v_add_f64_e32 v[208:209], v[184:185], v[182:183]
	v_add_f64_e32 v[198:199], v[198:199], v[200:201]
	scratch_load_b128 v[182:185], off, off offset:736
	v_fmac_f64_e32 v[202:203], v[176:177], v[16:17]
	v_fma_f64 v[174:175], v[174:175], v[16:17], -v[18:19]
	scratch_load_b128 v[16:19], off, off offset:752
	s_wait_loadcnt_dscnt 0xc01
	v_mul_f64_e32 v[200:201], v[4:5], v[22:23]
	v_mul_f64_e32 v[22:23], v[6:7], v[22:23]
	v_add_f64_e32 v[176:177], v[208:209], v[206:207]
	v_add_f64_e32 v[198:199], v[198:199], v[204:205]
	s_wait_loadcnt_dscnt 0xb00
	v_mul_f64_e32 v[204:205], v[12:13], v[26:27]
	v_mul_f64_e32 v[26:27], v[14:15], v[26:27]
	v_fmac_f64_e32 v[200:201], v[6:7], v[20:21]
	v_fma_f64 v[206:207], v[4:5], v[20:21], -v[22:23]
	ds_load_b128 v[4:7], v2 offset:1632
	ds_load_b128 v[20:23], v2 offset:1648
	v_add_f64_e32 v[208:209], v[176:177], v[174:175]
	v_add_f64_e32 v[198:199], v[198:199], v[202:203]
	scratch_load_b128 v[174:177], off, off offset:768
	s_wait_loadcnt_dscnt 0xb01
	v_mul_f64_e32 v[202:203], v[4:5], v[30:31]
	v_mul_f64_e32 v[30:31], v[6:7], v[30:31]
	v_fmac_f64_e32 v[204:205], v[14:15], v[24:25]
	v_fma_f64 v[24:25], v[12:13], v[24:25], -v[26:27]
	scratch_load_b128 v[12:15], off, off offset:784
	v_add_f64_e32 v[26:27], v[208:209], v[206:207]
	v_add_f64_e32 v[198:199], v[198:199], v[200:201]
	s_wait_loadcnt_dscnt 0xb00
	v_mul_f64_e32 v[200:201], v[20:21], v[164:165]
	v_mul_f64_e32 v[164:165], v[22:23], v[164:165]
	v_fmac_f64_e32 v[202:203], v[6:7], v[28:29]
	v_fma_f64 v[206:207], v[4:5], v[28:29], -v[30:31]
	v_add_f64_e32 v[208:209], v[26:27], v[24:25]
	v_add_f64_e32 v[198:199], v[198:199], v[204:205]
	ds_load_b128 v[4:7], v2 offset:1664
	ds_load_b128 v[24:27], v2 offset:1680
	scratch_load_b128 v[28:31], off, off offset:800
	v_fmac_f64_e32 v[200:201], v[22:23], v[162:163]
	v_fma_f64 v[162:163], v[20:21], v[162:163], -v[164:165]
	scratch_load_b128 v[20:23], off, off offset:816
	s_wait_loadcnt_dscnt 0xc01
	v_mul_f64_e32 v[204:205], v[4:5], v[168:169]
	v_mul_f64_e32 v[168:169], v[6:7], v[168:169]
	v_add_f64_e32 v[164:165], v[208:209], v[206:207]
	v_add_f64_e32 v[198:199], v[198:199], v[202:203]
	s_wait_loadcnt_dscnt 0xb00
	v_mul_f64_e32 v[202:203], v[24:25], v[172:173]
	v_mul_f64_e32 v[172:173], v[26:27], v[172:173]
	v_fmac_f64_e32 v[204:205], v[6:7], v[166:167]
	v_fma_f64 v[206:207], v[4:5], v[166:167], -v[168:169]
	v_add_f64_e32 v[208:209], v[164:165], v[162:163]
	v_add_f64_e32 v[198:199], v[198:199], v[200:201]
	ds_load_b128 v[4:7], v2 offset:1696
	ds_load_b128 v[162:165], v2 offset:1712
	scratch_load_b128 v[166:169], off, off offset:832
	v_fmac_f64_e32 v[202:203], v[26:27], v[170:171]
	v_fma_f64 v[170:171], v[24:25], v[170:171], -v[172:173]
	scratch_load_b128 v[24:27], off, off offset:848
	s_wait_loadcnt_dscnt 0xc01
	v_mul_f64_e32 v[200:201], v[4:5], v[180:181]
	v_mul_f64_e32 v[180:181], v[6:7], v[180:181]
	;; [unrolled: 18-line block ×5, first 2 shown]
	v_add_f64_e32 v[192:193], v[208:209], v[206:207]
	v_add_f64_e32 v[198:199], v[198:199], v[204:205]
	s_wait_loadcnt_dscnt 0xa00
	v_mul_f64_e32 v[204:205], v[170:171], v[14:15]
	v_mul_f64_e32 v[14:15], v[172:173], v[14:15]
	v_fmac_f64_e32 v[200:201], v[6:7], v[174:175]
	v_fma_f64 v[206:207], v[4:5], v[174:175], -v[176:177]
	ds_load_b128 v[4:7], v2 offset:1824
	ds_load_b128 v[174:177], v2 offset:1840
	v_add_f64_e32 v[208:209], v[192:193], v[190:191]
	v_add_f64_e32 v[198:199], v[198:199], v[202:203]
	scratch_load_b128 v[190:193], off, off offset:960
	v_fmac_f64_e32 v[204:205], v[172:173], v[12:13]
	v_fma_f64 v[170:171], v[170:171], v[12:13], -v[14:15]
	scratch_load_b128 v[12:15], off, off offset:976
	s_wait_loadcnt_dscnt 0xb01
	v_mul_f64_e32 v[202:203], v[4:5], v[30:31]
	v_mul_f64_e32 v[30:31], v[6:7], v[30:31]
	v_add_f64_e32 v[172:173], v[208:209], v[206:207]
	v_add_f64_e32 v[198:199], v[198:199], v[200:201]
	s_wait_loadcnt_dscnt 0xa00
	v_mul_f64_e32 v[200:201], v[174:175], v[22:23]
	v_mul_f64_e32 v[22:23], v[176:177], v[22:23]
	v_fmac_f64_e32 v[202:203], v[6:7], v[28:29]
	v_fma_f64 v[206:207], v[4:5], v[28:29], -v[30:31]
	ds_load_b128 v[4:7], v2 offset:1856
	ds_load_b128 v[28:31], v2 offset:1872
	v_add_f64_e32 v[208:209], v[172:173], v[170:171]
	v_add_f64_e32 v[198:199], v[198:199], v[204:205]
	scratch_load_b128 v[170:173], off, off offset:992
	s_wait_loadcnt_dscnt 0xa01
	v_mul_f64_e32 v[204:205], v[4:5], v[168:169]
	v_mul_f64_e32 v[168:169], v[6:7], v[168:169]
	v_fmac_f64_e32 v[200:201], v[176:177], v[20:21]
	v_fma_f64 v[174:175], v[174:175], v[20:21], -v[22:23]
	scratch_load_b128 v[20:23], off, off offset:1008
	v_add_f64_e32 v[176:177], v[208:209], v[206:207]
	v_add_f64_e32 v[198:199], v[198:199], v[202:203]
	s_wait_loadcnt_dscnt 0xa00
	v_mul_f64_e32 v[202:203], v[28:29], v[26:27]
	v_mul_f64_e32 v[26:27], v[30:31], v[26:27]
	v_fmac_f64_e32 v[204:205], v[6:7], v[166:167]
	v_fma_f64 v[206:207], v[4:5], v[166:167], -v[168:169]
	ds_load_b128 v[4:7], v2 offset:1888
	ds_load_b128 v[166:169], v2 offset:1904
	v_add_f64_e32 v[174:175], v[176:177], v[174:175]
	v_add_f64_e32 v[176:177], v[198:199], v[200:201]
	v_fmac_f64_e32 v[202:203], v[30:31], v[24:25]
	s_wait_loadcnt_dscnt 0x901
	v_mul_f64_e32 v[198:199], v[4:5], v[180:181]
	v_mul_f64_e32 v[180:181], v[6:7], v[180:181]
	v_fma_f64 v[24:25], v[28:29], v[24:25], -v[26:27]
	s_wait_loadcnt_dscnt 0x800
	v_mul_f64_e32 v[30:31], v[166:167], v[164:165]
	v_mul_f64_e32 v[164:165], v[168:169], v[164:165]
	v_add_f64_e32 v[26:27], v[174:175], v[206:207]
	v_add_f64_e32 v[28:29], v[176:177], v[204:205]
	v_fmac_f64_e32 v[198:199], v[6:7], v[178:179]
	v_fma_f64 v[174:175], v[4:5], v[178:179], -v[180:181]
	v_fmac_f64_e32 v[30:31], v[168:169], v[162:163]
	v_fma_f64 v[162:163], v[166:167], v[162:163], -v[164:165]
	v_add_f64_e32 v[176:177], v[26:27], v[24:25]
	v_add_f64_e32 v[28:29], v[28:29], v[202:203]
	ds_load_b128 v[4:7], v2 offset:1920
	ds_load_b128 v[24:27], v2 offset:1936
	s_wait_loadcnt_dscnt 0x701
	v_mul_f64_e32 v[178:179], v[4:5], v[196:197]
	v_mul_f64_e32 v[180:181], v[6:7], v[196:197]
	s_wait_loadcnt_dscnt 0x600
	v_mul_f64_e32 v[166:167], v[24:25], v[10:11]
	v_mul_f64_e32 v[10:11], v[26:27], v[10:11]
	v_add_f64_e32 v[164:165], v[176:177], v[174:175]
	v_add_f64_e32 v[28:29], v[28:29], v[198:199]
	v_fmac_f64_e32 v[178:179], v[6:7], v[194:195]
	v_fma_f64 v[168:169], v[4:5], v[194:195], -v[180:181]
	v_fmac_f64_e32 v[166:167], v[26:27], v[8:9]
	v_fma_f64 v[8:9], v[24:25], v[8:9], -v[10:11]
	v_add_f64_e32 v[162:163], v[164:165], v[162:163]
	v_add_f64_e32 v[164:165], v[28:29], v[30:31]
	ds_load_b128 v[4:7], v2 offset:1952
	ds_load_b128 v[28:31], v2 offset:1968
	s_wait_loadcnt_dscnt 0x501
	v_mul_f64_e32 v[174:175], v[4:5], v[184:185]
	v_mul_f64_e32 v[176:177], v[6:7], v[184:185]
	;; [unrolled: 16-line block ×4, first 2 shown]
	v_add_f64_e32 v[10:11], v[18:19], v[162:163]
	v_add_f64_e32 v[12:13], v[24:25], v[166:167]
	s_wait_loadcnt_dscnt 0x0
	v_mul_f64_e32 v[18:19], v[14:15], v[22:23]
	v_mul_f64_e32 v[22:23], v[16:17], v[22:23]
	v_fmac_f64_e32 v[2:3], v[6:7], v[170:171]
	v_fma_f64 v[4:5], v[4:5], v[170:171], -v[26:27]
	v_add_f64_e32 v[6:7], v[10:11], v[8:9]
	v_add_f64_e32 v[8:9], v[12:13], v[28:29]
	v_fmac_f64_e32 v[18:19], v[16:17], v[20:21]
	v_fma_f64 v[10:11], v[14:15], v[20:21], -v[22:23]
	s_delay_alu instid0(VALU_DEP_4) | instskip(NEXT) | instid1(VALU_DEP_4)
	v_add_f64_e32 v[4:5], v[6:7], v[4:5]
	v_add_f64_e32 v[2:3], v[8:9], v[2:3]
	s_delay_alu instid0(VALU_DEP_2) | instskip(NEXT) | instid1(VALU_DEP_2)
	v_add_f64_e32 v[4:5], v[4:5], v[10:11]
	v_add_f64_e32 v[6:7], v[2:3], v[18:19]
	s_delay_alu instid0(VALU_DEP_2) | instskip(NEXT) | instid1(VALU_DEP_2)
	v_add_f64_e64 v[2:3], v[186:187], -v[4:5]
	v_add_f64_e64 v[4:5], v[188:189], -v[6:7]
	scratch_store_b128 off, v[2:5], off offset:496
	s_wait_xcnt 0x0
	v_cmpx_lt_u32_e32 30, v1
	s_cbranch_execz .LBB127_349
; %bb.348:
	scratch_load_b128 v[2:5], off, s52
	v_mov_b32_e32 v6, 0
	s_delay_alu instid0(VALU_DEP_1)
	v_dual_mov_b32 v7, v6 :: v_dual_mov_b32 v8, v6
	v_mov_b32_e32 v9, v6
	scratch_store_b128 off, v[6:9], off offset:480
	s_wait_loadcnt 0x0
	ds_store_b128 v160, v[2:5]
.LBB127_349:
	s_wait_xcnt 0x0
	s_or_b32 exec_lo, exec_lo, s2
	s_wait_storecnt_dscnt 0x0
	s_barrier_signal -1
	s_barrier_wait -1
	s_clause 0x9
	scratch_load_b128 v[4:7], off, off offset:496
	scratch_load_b128 v[8:11], off, off offset:512
	;; [unrolled: 1-line block ×10, first 2 shown]
	v_mov_b32_e32 v2, 0
	s_mov_b32 s2, exec_lo
	ds_load_b128 v[174:177], v2 offset:1520
	s_clause 0x2
	scratch_load_b128 v[178:181], off, off offset:656
	scratch_load_b128 v[182:185], off, off offset:480
	;; [unrolled: 1-line block ×3, first 2 shown]
	s_wait_loadcnt_dscnt 0xc00
	v_mul_f64_e32 v[194:195], v[176:177], v[6:7]
	v_mul_f64_e32 v[198:199], v[174:175], v[6:7]
	ds_load_b128 v[186:189], v2 offset:1536
	v_fma_f64 v[202:203], v[174:175], v[4:5], -v[194:195]
	v_fmac_f64_e32 v[198:199], v[176:177], v[4:5]
	ds_load_b128 v[4:7], v2 offset:1552
	s_wait_loadcnt_dscnt 0xb01
	v_mul_f64_e32 v[200:201], v[186:187], v[10:11]
	v_mul_f64_e32 v[10:11], v[188:189], v[10:11]
	scratch_load_b128 v[174:177], off, off offset:688
	ds_load_b128 v[194:197], v2 offset:1568
	s_wait_loadcnt_dscnt 0xb01
	v_mul_f64_e32 v[204:205], v[4:5], v[14:15]
	v_mul_f64_e32 v[14:15], v[6:7], v[14:15]
	v_add_f64_e32 v[198:199], 0, v[198:199]
	v_fmac_f64_e32 v[200:201], v[188:189], v[8:9]
	v_fma_f64 v[186:187], v[186:187], v[8:9], -v[10:11]
	v_add_f64_e32 v[188:189], 0, v[202:203]
	scratch_load_b128 v[8:11], off, off offset:704
	v_fmac_f64_e32 v[204:205], v[6:7], v[12:13]
	v_fma_f64 v[206:207], v[4:5], v[12:13], -v[14:15]
	ds_load_b128 v[4:7], v2 offset:1584
	s_wait_loadcnt_dscnt 0xb01
	v_mul_f64_e32 v[202:203], v[194:195], v[18:19]
	v_mul_f64_e32 v[18:19], v[196:197], v[18:19]
	scratch_load_b128 v[12:15], off, off offset:720
	v_add_f64_e32 v[198:199], v[198:199], v[200:201]
	v_add_f64_e32 v[208:209], v[188:189], v[186:187]
	ds_load_b128 v[186:189], v2 offset:1600
	s_wait_loadcnt_dscnt 0xb01
	v_mul_f64_e32 v[200:201], v[4:5], v[22:23]
	v_mul_f64_e32 v[22:23], v[6:7], v[22:23]
	v_fmac_f64_e32 v[202:203], v[196:197], v[16:17]
	v_fma_f64 v[194:195], v[194:195], v[16:17], -v[18:19]
	scratch_load_b128 v[16:19], off, off offset:736
	v_add_f64_e32 v[198:199], v[198:199], v[204:205]
	v_add_f64_e32 v[196:197], v[208:209], v[206:207]
	v_fmac_f64_e32 v[200:201], v[6:7], v[20:21]
	v_fma_f64 v[206:207], v[4:5], v[20:21], -v[22:23]
	ds_load_b128 v[4:7], v2 offset:1616
	s_wait_loadcnt_dscnt 0xb01
	v_mul_f64_e32 v[204:205], v[186:187], v[26:27]
	v_mul_f64_e32 v[26:27], v[188:189], v[26:27]
	scratch_load_b128 v[20:23], off, off offset:752
	v_add_f64_e32 v[198:199], v[198:199], v[202:203]
	s_wait_loadcnt_dscnt 0xb00
	v_mul_f64_e32 v[202:203], v[4:5], v[30:31]
	v_add_f64_e32 v[208:209], v[196:197], v[194:195]
	v_mul_f64_e32 v[30:31], v[6:7], v[30:31]
	ds_load_b128 v[194:197], v2 offset:1632
	v_fmac_f64_e32 v[204:205], v[188:189], v[24:25]
	v_fma_f64 v[186:187], v[186:187], v[24:25], -v[26:27]
	scratch_load_b128 v[24:27], off, off offset:768
	v_add_f64_e32 v[198:199], v[198:199], v[200:201]
	v_fmac_f64_e32 v[202:203], v[6:7], v[28:29]
	v_add_f64_e32 v[188:189], v[208:209], v[206:207]
	v_fma_f64 v[206:207], v[4:5], v[28:29], -v[30:31]
	ds_load_b128 v[4:7], v2 offset:1648
	s_wait_loadcnt_dscnt 0xb01
	v_mul_f64_e32 v[200:201], v[194:195], v[164:165]
	v_mul_f64_e32 v[164:165], v[196:197], v[164:165]
	scratch_load_b128 v[28:31], off, off offset:784
	v_add_f64_e32 v[198:199], v[198:199], v[204:205]
	s_wait_loadcnt_dscnt 0xb00
	v_mul_f64_e32 v[204:205], v[4:5], v[168:169]
	v_add_f64_e32 v[208:209], v[188:189], v[186:187]
	v_mul_f64_e32 v[168:169], v[6:7], v[168:169]
	ds_load_b128 v[186:189], v2 offset:1664
	v_fmac_f64_e32 v[200:201], v[196:197], v[162:163]
	v_fma_f64 v[194:195], v[194:195], v[162:163], -v[164:165]
	scratch_load_b128 v[162:165], off, off offset:800
	v_add_f64_e32 v[198:199], v[198:199], v[202:203]
	v_fmac_f64_e32 v[204:205], v[6:7], v[166:167]
	v_add_f64_e32 v[196:197], v[208:209], v[206:207]
	;; [unrolled: 18-line block ×3, first 2 shown]
	v_fma_f64 v[206:207], v[4:5], v[178:179], -v[180:181]
	ds_load_b128 v[4:7], v2 offset:1712
	s_wait_loadcnt_dscnt 0xa01
	v_mul_f64_e32 v[204:205], v[194:195], v[192:193]
	v_mul_f64_e32 v[192:193], v[196:197], v[192:193]
	scratch_load_b128 v[178:181], off, off offset:848
	v_add_f64_e32 v[198:199], v[198:199], v[202:203]
	v_add_f64_e32 v[208:209], v[188:189], v[186:187]
	s_wait_loadcnt_dscnt 0xa00
	v_mul_f64_e32 v[202:203], v[4:5], v[176:177]
	v_mul_f64_e32 v[176:177], v[6:7], v[176:177]
	v_fmac_f64_e32 v[204:205], v[196:197], v[190:191]
	v_fma_f64 v[194:195], v[194:195], v[190:191], -v[192:193]
	ds_load_b128 v[186:189], v2 offset:1728
	scratch_load_b128 v[190:193], off, off offset:864
	v_add_f64_e32 v[198:199], v[198:199], v[200:201]
	v_add_f64_e32 v[196:197], v[208:209], v[206:207]
	v_fmac_f64_e32 v[202:203], v[6:7], v[174:175]
	v_fma_f64 v[206:207], v[4:5], v[174:175], -v[176:177]
	ds_load_b128 v[4:7], v2 offset:1744
	s_wait_loadcnt_dscnt 0xa01
	v_mul_f64_e32 v[200:201], v[186:187], v[10:11]
	v_mul_f64_e32 v[10:11], v[188:189], v[10:11]
	scratch_load_b128 v[174:177], off, off offset:880
	v_add_f64_e32 v[198:199], v[198:199], v[204:205]
	s_wait_loadcnt_dscnt 0xa00
	v_mul_f64_e32 v[204:205], v[4:5], v[14:15]
	v_add_f64_e32 v[208:209], v[196:197], v[194:195]
	v_mul_f64_e32 v[14:15], v[6:7], v[14:15]
	ds_load_b128 v[194:197], v2 offset:1760
	v_fmac_f64_e32 v[200:201], v[188:189], v[8:9]
	v_fma_f64 v[186:187], v[186:187], v[8:9], -v[10:11]
	scratch_load_b128 v[8:11], off, off offset:896
	v_add_f64_e32 v[198:199], v[198:199], v[202:203]
	v_fmac_f64_e32 v[204:205], v[6:7], v[12:13]
	v_add_f64_e32 v[188:189], v[208:209], v[206:207]
	v_fma_f64 v[206:207], v[4:5], v[12:13], -v[14:15]
	ds_load_b128 v[4:7], v2 offset:1776
	s_wait_loadcnt_dscnt 0xa01
	v_mul_f64_e32 v[202:203], v[194:195], v[18:19]
	v_mul_f64_e32 v[18:19], v[196:197], v[18:19]
	scratch_load_b128 v[12:15], off, off offset:912
	v_add_f64_e32 v[198:199], v[198:199], v[200:201]
	s_wait_loadcnt_dscnt 0xa00
	v_mul_f64_e32 v[200:201], v[4:5], v[22:23]
	v_add_f64_e32 v[208:209], v[188:189], v[186:187]
	v_mul_f64_e32 v[22:23], v[6:7], v[22:23]
	ds_load_b128 v[186:189], v2 offset:1792
	v_fmac_f64_e32 v[202:203], v[196:197], v[16:17]
	v_fma_f64 v[194:195], v[194:195], v[16:17], -v[18:19]
	scratch_load_b128 v[16:19], off, off offset:928
	v_add_f64_e32 v[198:199], v[198:199], v[204:205]
	v_fmac_f64_e32 v[200:201], v[6:7], v[20:21]
	v_add_f64_e32 v[196:197], v[208:209], v[206:207]
	;; [unrolled: 18-line block ×4, first 2 shown]
	v_fma_f64 v[206:207], v[4:5], v[166:167], -v[168:169]
	ds_load_b128 v[4:7], v2 offset:1872
	s_wait_loadcnt_dscnt 0xa01
	v_mul_f64_e32 v[202:203], v[186:187], v[172:173]
	v_mul_f64_e32 v[172:173], v[188:189], v[172:173]
	scratch_load_b128 v[166:169], off, off offset:1008
	v_add_f64_e32 v[198:199], v[198:199], v[200:201]
	s_wait_loadcnt_dscnt 0xa00
	v_mul_f64_e32 v[200:201], v[4:5], v[180:181]
	v_add_f64_e32 v[208:209], v[196:197], v[194:195]
	v_mul_f64_e32 v[180:181], v[6:7], v[180:181]
	ds_load_b128 v[194:197], v2 offset:1888
	v_fmac_f64_e32 v[202:203], v[188:189], v[170:171]
	v_fma_f64 v[170:171], v[186:187], v[170:171], -v[172:173]
	s_wait_loadcnt_dscnt 0x900
	v_mul_f64_e32 v[188:189], v[194:195], v[192:193]
	v_mul_f64_e32 v[192:193], v[196:197], v[192:193]
	v_add_f64_e32 v[186:187], v[198:199], v[204:205]
	v_fmac_f64_e32 v[200:201], v[6:7], v[178:179]
	v_add_f64_e32 v[172:173], v[208:209], v[206:207]
	v_fma_f64 v[178:179], v[4:5], v[178:179], -v[180:181]
	v_fmac_f64_e32 v[188:189], v[196:197], v[190:191]
	v_fma_f64 v[190:191], v[194:195], v[190:191], -v[192:193]
	v_add_f64_e32 v[186:187], v[186:187], v[202:203]
	v_add_f64_e32 v[180:181], v[172:173], v[170:171]
	ds_load_b128 v[4:7], v2 offset:1904
	ds_load_b128 v[170:173], v2 offset:1920
	s_wait_loadcnt_dscnt 0x801
	v_mul_f64_e32 v[198:199], v[4:5], v[176:177]
	v_mul_f64_e32 v[176:177], v[6:7], v[176:177]
	v_add_f64_e32 v[178:179], v[180:181], v[178:179]
	v_add_f64_e32 v[180:181], v[186:187], v[200:201]
	s_wait_loadcnt_dscnt 0x700
	v_mul_f64_e32 v[186:187], v[170:171], v[10:11]
	v_mul_f64_e32 v[10:11], v[172:173], v[10:11]
	v_fmac_f64_e32 v[198:199], v[6:7], v[174:175]
	v_fma_f64 v[192:193], v[4:5], v[174:175], -v[176:177]
	ds_load_b128 v[4:7], v2 offset:1936
	ds_load_b128 v[174:177], v2 offset:1952
	v_add_f64_e32 v[178:179], v[178:179], v[190:191]
	v_add_f64_e32 v[180:181], v[180:181], v[188:189]
	v_fmac_f64_e32 v[186:187], v[172:173], v[8:9]
	v_fma_f64 v[8:9], v[170:171], v[8:9], -v[10:11]
	s_wait_loadcnt_dscnt 0x601
	v_mul_f64_e32 v[188:189], v[4:5], v[14:15]
	v_mul_f64_e32 v[14:15], v[6:7], v[14:15]
	s_wait_loadcnt_dscnt 0x500
	v_mul_f64_e32 v[172:173], v[174:175], v[18:19]
	v_mul_f64_e32 v[18:19], v[176:177], v[18:19]
	v_add_f64_e32 v[10:11], v[178:179], v[192:193]
	v_add_f64_e32 v[170:171], v[180:181], v[198:199]
	v_fmac_f64_e32 v[188:189], v[6:7], v[12:13]
	v_fma_f64 v[12:13], v[4:5], v[12:13], -v[14:15]
	v_fmac_f64_e32 v[172:173], v[176:177], v[16:17]
	v_fma_f64 v[16:17], v[174:175], v[16:17], -v[18:19]
	v_add_f64_e32 v[14:15], v[10:11], v[8:9]
	v_add_f64_e32 v[170:171], v[170:171], v[186:187]
	ds_load_b128 v[4:7], v2 offset:1968
	ds_load_b128 v[8:11], v2 offset:1984
	s_wait_loadcnt_dscnt 0x401
	v_mul_f64_e32 v[178:179], v[4:5], v[22:23]
	v_mul_f64_e32 v[22:23], v[6:7], v[22:23]
	s_wait_loadcnt_dscnt 0x300
	v_mul_f64_e32 v[18:19], v[8:9], v[26:27]
	v_mul_f64_e32 v[26:27], v[10:11], v[26:27]
	v_add_f64_e32 v[12:13], v[14:15], v[12:13]
	v_add_f64_e32 v[14:15], v[170:171], v[188:189]
	v_fmac_f64_e32 v[178:179], v[6:7], v[20:21]
	v_fma_f64 v[20:21], v[4:5], v[20:21], -v[22:23]
	v_fmac_f64_e32 v[18:19], v[10:11], v[24:25]
	v_fma_f64 v[8:9], v[8:9], v[24:25], -v[26:27]
	v_add_f64_e32 v[16:17], v[12:13], v[16:17]
	v_add_f64_e32 v[22:23], v[14:15], v[172:173]
	ds_load_b128 v[4:7], v2 offset:2000
	ds_load_b128 v[12:15], v2 offset:2016
	s_wait_loadcnt_dscnt 0x201
	v_mul_f64_e32 v[170:171], v[4:5], v[30:31]
	v_mul_f64_e32 v[30:31], v[6:7], v[30:31]
	v_add_f64_e32 v[10:11], v[16:17], v[20:21]
	v_add_f64_e32 v[16:17], v[22:23], v[178:179]
	s_wait_loadcnt_dscnt 0x100
	v_mul_f64_e32 v[20:21], v[12:13], v[164:165]
	v_mul_f64_e32 v[22:23], v[14:15], v[164:165]
	v_fmac_f64_e32 v[170:171], v[6:7], v[28:29]
	v_fma_f64 v[24:25], v[4:5], v[28:29], -v[30:31]
	ds_load_b128 v[4:7], v2 offset:2032
	v_add_f64_e32 v[8:9], v[10:11], v[8:9]
	v_add_f64_e32 v[10:11], v[16:17], v[18:19]
	v_fmac_f64_e32 v[20:21], v[14:15], v[162:163]
	v_fma_f64 v[12:13], v[12:13], v[162:163], -v[22:23]
	s_wait_loadcnt_dscnt 0x0
	v_mul_f64_e32 v[16:17], v[4:5], v[168:169]
	v_mul_f64_e32 v[18:19], v[6:7], v[168:169]
	v_add_f64_e32 v[8:9], v[8:9], v[24:25]
	v_add_f64_e32 v[10:11], v[10:11], v[170:171]
	s_delay_alu instid0(VALU_DEP_4) | instskip(NEXT) | instid1(VALU_DEP_4)
	v_fmac_f64_e32 v[16:17], v[6:7], v[166:167]
	v_fma_f64 v[4:5], v[4:5], v[166:167], -v[18:19]
	s_delay_alu instid0(VALU_DEP_4) | instskip(NEXT) | instid1(VALU_DEP_4)
	v_add_f64_e32 v[6:7], v[8:9], v[12:13]
	v_add_f64_e32 v[8:9], v[10:11], v[20:21]
	s_delay_alu instid0(VALU_DEP_2) | instskip(NEXT) | instid1(VALU_DEP_2)
	v_add_f64_e32 v[4:5], v[6:7], v[4:5]
	v_add_f64_e32 v[6:7], v[8:9], v[16:17]
	s_delay_alu instid0(VALU_DEP_2) | instskip(NEXT) | instid1(VALU_DEP_2)
	v_add_f64_e64 v[4:5], v[182:183], -v[4:5]
	v_add_f64_e64 v[6:7], v[184:185], -v[6:7]
	scratch_store_b128 off, v[4:7], off offset:480
	s_wait_xcnt 0x0
	v_cmpx_lt_u32_e32 29, v1
	s_cbranch_execz .LBB127_351
; %bb.350:
	scratch_load_b128 v[6:9], off, s53
	v_dual_mov_b32 v3, v2 :: v_dual_mov_b32 v4, v2
	v_mov_b32_e32 v5, v2
	scratch_store_b128 off, v[2:5], off offset:464
	s_wait_loadcnt 0x0
	ds_store_b128 v160, v[6:9]
.LBB127_351:
	s_wait_xcnt 0x0
	s_or_b32 exec_lo, exec_lo, s2
	s_wait_storecnt_dscnt 0x0
	s_barrier_signal -1
	s_barrier_wait -1
	s_clause 0x9
	scratch_load_b128 v[4:7], off, off offset:480
	scratch_load_b128 v[8:11], off, off offset:496
	;; [unrolled: 1-line block ×10, first 2 shown]
	ds_load_b128 v[174:177], v2 offset:1504
	ds_load_b128 v[182:185], v2 offset:1520
	s_clause 0x2
	scratch_load_b128 v[178:181], off, off offset:640
	scratch_load_b128 v[186:189], off, off offset:464
	;; [unrolled: 1-line block ×3, first 2 shown]
	s_mov_b32 s2, exec_lo
	s_wait_loadcnt_dscnt 0xc01
	v_mul_f64_e32 v[194:195], v[176:177], v[6:7]
	v_mul_f64_e32 v[198:199], v[174:175], v[6:7]
	s_wait_loadcnt_dscnt 0xb00
	v_mul_f64_e32 v[200:201], v[182:183], v[10:11]
	v_mul_f64_e32 v[10:11], v[184:185], v[10:11]
	s_delay_alu instid0(VALU_DEP_4) | instskip(NEXT) | instid1(VALU_DEP_4)
	v_fma_f64 v[202:203], v[174:175], v[4:5], -v[194:195]
	v_fmac_f64_e32 v[198:199], v[176:177], v[4:5]
	ds_load_b128 v[4:7], v2 offset:1536
	ds_load_b128 v[174:177], v2 offset:1552
	scratch_load_b128 v[194:197], off, off offset:672
	v_fmac_f64_e32 v[200:201], v[184:185], v[8:9]
	v_fma_f64 v[182:183], v[182:183], v[8:9], -v[10:11]
	scratch_load_b128 v[8:11], off, off offset:688
	s_wait_loadcnt_dscnt 0xc01
	v_mul_f64_e32 v[204:205], v[4:5], v[14:15]
	v_mul_f64_e32 v[14:15], v[6:7], v[14:15]
	v_add_f64_e32 v[184:185], 0, v[202:203]
	v_add_f64_e32 v[198:199], 0, v[198:199]
	s_wait_loadcnt_dscnt 0xb00
	v_mul_f64_e32 v[202:203], v[174:175], v[18:19]
	v_mul_f64_e32 v[18:19], v[176:177], v[18:19]
	v_fmac_f64_e32 v[204:205], v[6:7], v[12:13]
	v_fma_f64 v[206:207], v[4:5], v[12:13], -v[14:15]
	ds_load_b128 v[4:7], v2 offset:1568
	ds_load_b128 v[12:15], v2 offset:1584
	v_add_f64_e32 v[208:209], v[184:185], v[182:183]
	v_add_f64_e32 v[198:199], v[198:199], v[200:201]
	scratch_load_b128 v[182:185], off, off offset:704
	v_fmac_f64_e32 v[202:203], v[176:177], v[16:17]
	v_fma_f64 v[174:175], v[174:175], v[16:17], -v[18:19]
	scratch_load_b128 v[16:19], off, off offset:720
	s_wait_loadcnt_dscnt 0xc01
	v_mul_f64_e32 v[200:201], v[4:5], v[22:23]
	v_mul_f64_e32 v[22:23], v[6:7], v[22:23]
	v_add_f64_e32 v[176:177], v[208:209], v[206:207]
	v_add_f64_e32 v[198:199], v[198:199], v[204:205]
	s_wait_loadcnt_dscnt 0xb00
	v_mul_f64_e32 v[204:205], v[12:13], v[26:27]
	v_mul_f64_e32 v[26:27], v[14:15], v[26:27]
	v_fmac_f64_e32 v[200:201], v[6:7], v[20:21]
	v_fma_f64 v[206:207], v[4:5], v[20:21], -v[22:23]
	ds_load_b128 v[4:7], v2 offset:1600
	ds_load_b128 v[20:23], v2 offset:1616
	v_add_f64_e32 v[208:209], v[176:177], v[174:175]
	v_add_f64_e32 v[198:199], v[198:199], v[202:203]
	scratch_load_b128 v[174:177], off, off offset:736
	s_wait_loadcnt_dscnt 0xb01
	v_mul_f64_e32 v[202:203], v[4:5], v[30:31]
	v_mul_f64_e32 v[30:31], v[6:7], v[30:31]
	v_fmac_f64_e32 v[204:205], v[14:15], v[24:25]
	v_fma_f64 v[24:25], v[12:13], v[24:25], -v[26:27]
	scratch_load_b128 v[12:15], off, off offset:752
	v_add_f64_e32 v[26:27], v[208:209], v[206:207]
	v_add_f64_e32 v[198:199], v[198:199], v[200:201]
	s_wait_loadcnt_dscnt 0xb00
	v_mul_f64_e32 v[200:201], v[20:21], v[164:165]
	v_mul_f64_e32 v[164:165], v[22:23], v[164:165]
	v_fmac_f64_e32 v[202:203], v[6:7], v[28:29]
	v_fma_f64 v[206:207], v[4:5], v[28:29], -v[30:31]
	v_add_f64_e32 v[208:209], v[26:27], v[24:25]
	v_add_f64_e32 v[198:199], v[198:199], v[204:205]
	ds_load_b128 v[4:7], v2 offset:1632
	ds_load_b128 v[24:27], v2 offset:1648
	scratch_load_b128 v[28:31], off, off offset:768
	v_fmac_f64_e32 v[200:201], v[22:23], v[162:163]
	v_fma_f64 v[162:163], v[20:21], v[162:163], -v[164:165]
	scratch_load_b128 v[20:23], off, off offset:784
	s_wait_loadcnt_dscnt 0xc01
	v_mul_f64_e32 v[204:205], v[4:5], v[168:169]
	v_mul_f64_e32 v[168:169], v[6:7], v[168:169]
	v_add_f64_e32 v[164:165], v[208:209], v[206:207]
	v_add_f64_e32 v[198:199], v[198:199], v[202:203]
	s_wait_loadcnt_dscnt 0xb00
	v_mul_f64_e32 v[202:203], v[24:25], v[172:173]
	v_mul_f64_e32 v[172:173], v[26:27], v[172:173]
	v_fmac_f64_e32 v[204:205], v[6:7], v[166:167]
	v_fma_f64 v[206:207], v[4:5], v[166:167], -v[168:169]
	v_add_f64_e32 v[208:209], v[164:165], v[162:163]
	v_add_f64_e32 v[198:199], v[198:199], v[200:201]
	ds_load_b128 v[4:7], v2 offset:1664
	ds_load_b128 v[162:165], v2 offset:1680
	scratch_load_b128 v[166:169], off, off offset:800
	v_fmac_f64_e32 v[202:203], v[26:27], v[170:171]
	v_fma_f64 v[170:171], v[24:25], v[170:171], -v[172:173]
	scratch_load_b128 v[24:27], off, off offset:816
	s_wait_loadcnt_dscnt 0xc01
	v_mul_f64_e32 v[200:201], v[4:5], v[180:181]
	v_mul_f64_e32 v[180:181], v[6:7], v[180:181]
	;; [unrolled: 18-line block ×5, first 2 shown]
	v_add_f64_e32 v[192:193], v[208:209], v[206:207]
	v_add_f64_e32 v[198:199], v[198:199], v[204:205]
	s_wait_loadcnt_dscnt 0xa00
	v_mul_f64_e32 v[204:205], v[170:171], v[14:15]
	v_mul_f64_e32 v[14:15], v[172:173], v[14:15]
	v_fmac_f64_e32 v[200:201], v[6:7], v[174:175]
	v_fma_f64 v[206:207], v[4:5], v[174:175], -v[176:177]
	ds_load_b128 v[4:7], v2 offset:1792
	ds_load_b128 v[174:177], v2 offset:1808
	v_add_f64_e32 v[208:209], v[192:193], v[190:191]
	v_add_f64_e32 v[198:199], v[198:199], v[202:203]
	scratch_load_b128 v[190:193], off, off offset:928
	v_fmac_f64_e32 v[204:205], v[172:173], v[12:13]
	v_fma_f64 v[170:171], v[170:171], v[12:13], -v[14:15]
	scratch_load_b128 v[12:15], off, off offset:944
	s_wait_loadcnt_dscnt 0xb01
	v_mul_f64_e32 v[202:203], v[4:5], v[30:31]
	v_mul_f64_e32 v[30:31], v[6:7], v[30:31]
	v_add_f64_e32 v[172:173], v[208:209], v[206:207]
	v_add_f64_e32 v[198:199], v[198:199], v[200:201]
	s_wait_loadcnt_dscnt 0xa00
	v_mul_f64_e32 v[200:201], v[174:175], v[22:23]
	v_mul_f64_e32 v[22:23], v[176:177], v[22:23]
	v_fmac_f64_e32 v[202:203], v[6:7], v[28:29]
	v_fma_f64 v[206:207], v[4:5], v[28:29], -v[30:31]
	ds_load_b128 v[4:7], v2 offset:1824
	ds_load_b128 v[28:31], v2 offset:1840
	v_add_f64_e32 v[208:209], v[172:173], v[170:171]
	v_add_f64_e32 v[198:199], v[198:199], v[204:205]
	scratch_load_b128 v[170:173], off, off offset:960
	s_wait_loadcnt_dscnt 0xa01
	v_mul_f64_e32 v[204:205], v[4:5], v[168:169]
	v_mul_f64_e32 v[168:169], v[6:7], v[168:169]
	v_fmac_f64_e32 v[200:201], v[176:177], v[20:21]
	v_fma_f64 v[174:175], v[174:175], v[20:21], -v[22:23]
	scratch_load_b128 v[20:23], off, off offset:976
	v_add_f64_e32 v[176:177], v[208:209], v[206:207]
	v_add_f64_e32 v[198:199], v[198:199], v[202:203]
	s_wait_loadcnt_dscnt 0xa00
	v_mul_f64_e32 v[202:203], v[28:29], v[26:27]
	v_mul_f64_e32 v[26:27], v[30:31], v[26:27]
	v_fmac_f64_e32 v[204:205], v[6:7], v[166:167]
	v_fma_f64 v[206:207], v[4:5], v[166:167], -v[168:169]
	ds_load_b128 v[4:7], v2 offset:1856
	ds_load_b128 v[166:169], v2 offset:1872
	v_add_f64_e32 v[208:209], v[176:177], v[174:175]
	v_add_f64_e32 v[198:199], v[198:199], v[200:201]
	scratch_load_b128 v[174:177], off, off offset:992
	s_wait_loadcnt_dscnt 0xa01
	v_mul_f64_e32 v[200:201], v[4:5], v[180:181]
	v_mul_f64_e32 v[180:181], v[6:7], v[180:181]
	v_fmac_f64_e32 v[202:203], v[30:31], v[24:25]
	v_fma_f64 v[28:29], v[28:29], v[24:25], -v[26:27]
	scratch_load_b128 v[24:27], off, off offset:1008
	v_add_f64_e32 v[30:31], v[208:209], v[206:207]
	v_add_f64_e32 v[198:199], v[198:199], v[204:205]
	s_wait_loadcnt_dscnt 0xa00
	v_mul_f64_e32 v[204:205], v[166:167], v[164:165]
	v_mul_f64_e32 v[164:165], v[168:169], v[164:165]
	v_fmac_f64_e32 v[200:201], v[6:7], v[178:179]
	v_fma_f64 v[178:179], v[4:5], v[178:179], -v[180:181]
	v_add_f64_e32 v[180:181], v[30:31], v[28:29]
	v_add_f64_e32 v[198:199], v[198:199], v[202:203]
	ds_load_b128 v[4:7], v2 offset:1888
	ds_load_b128 v[28:31], v2 offset:1904
	v_fmac_f64_e32 v[204:205], v[168:169], v[162:163]
	v_fma_f64 v[162:163], v[166:167], v[162:163], -v[164:165]
	s_wait_loadcnt_dscnt 0x901
	v_mul_f64_e32 v[202:203], v[4:5], v[196:197]
	v_mul_f64_e32 v[196:197], v[6:7], v[196:197]
	s_wait_loadcnt_dscnt 0x800
	v_mul_f64_e32 v[168:169], v[28:29], v[10:11]
	v_mul_f64_e32 v[10:11], v[30:31], v[10:11]
	v_add_f64_e32 v[164:165], v[180:181], v[178:179]
	v_add_f64_e32 v[166:167], v[198:199], v[200:201]
	v_fmac_f64_e32 v[202:203], v[6:7], v[194:195]
	v_fma_f64 v[178:179], v[4:5], v[194:195], -v[196:197]
	v_fmac_f64_e32 v[168:169], v[30:31], v[8:9]
	v_fma_f64 v[8:9], v[28:29], v[8:9], -v[10:11]
	v_add_f64_e32 v[180:181], v[164:165], v[162:163]
	v_add_f64_e32 v[166:167], v[166:167], v[204:205]
	ds_load_b128 v[4:7], v2 offset:1920
	ds_load_b128 v[162:165], v2 offset:1936
	s_wait_loadcnt_dscnt 0x701
	v_mul_f64_e32 v[194:195], v[4:5], v[184:185]
	v_mul_f64_e32 v[184:185], v[6:7], v[184:185]
	s_wait_loadcnt_dscnt 0x600
	v_mul_f64_e32 v[30:31], v[162:163], v[18:19]
	v_mul_f64_e32 v[18:19], v[164:165], v[18:19]
	v_add_f64_e32 v[10:11], v[180:181], v[178:179]
	v_add_f64_e32 v[28:29], v[166:167], v[202:203]
	v_fmac_f64_e32 v[194:195], v[6:7], v[182:183]
	v_fma_f64 v[166:167], v[4:5], v[182:183], -v[184:185]
	v_fmac_f64_e32 v[30:31], v[164:165], v[16:17]
	v_fma_f64 v[16:17], v[162:163], v[16:17], -v[18:19]
	v_add_f64_e32 v[178:179], v[10:11], v[8:9]
	v_add_f64_e32 v[28:29], v[28:29], v[168:169]
	ds_load_b128 v[4:7], v2 offset:1952
	ds_load_b128 v[8:11], v2 offset:1968
	;; [unrolled: 16-line block ×3, first 2 shown]
	s_wait_loadcnt_dscnt 0x301
	v_mul_f64_e32 v[30:31], v[4:5], v[172:173]
	v_mul_f64_e32 v[172:173], v[6:7], v[172:173]
	v_add_f64_e32 v[10:11], v[18:19], v[166:167]
	v_add_f64_e32 v[12:13], v[28:29], v[168:169]
	s_wait_loadcnt_dscnt 0x200
	v_mul_f64_e32 v[18:19], v[14:15], v[22:23]
	v_mul_f64_e32 v[22:23], v[16:17], v[22:23]
	v_fmac_f64_e32 v[30:31], v[6:7], v[170:171]
	v_fma_f64 v[28:29], v[4:5], v[170:171], -v[172:173]
	v_add_f64_e32 v[164:165], v[10:11], v[8:9]
	v_add_f64_e32 v[12:13], v[12:13], v[162:163]
	ds_load_b128 v[4:7], v2 offset:2016
	ds_load_b128 v[8:11], v2 offset:2032
	v_fmac_f64_e32 v[18:19], v[16:17], v[20:21]
	v_fma_f64 v[14:15], v[14:15], v[20:21], -v[22:23]
	s_wait_loadcnt_dscnt 0x101
	v_mul_f64_e32 v[2:3], v[4:5], v[176:177]
	v_mul_f64_e32 v[162:163], v[6:7], v[176:177]
	s_wait_loadcnt_dscnt 0x0
	v_mul_f64_e32 v[20:21], v[8:9], v[26:27]
	v_mul_f64_e32 v[22:23], v[10:11], v[26:27]
	v_add_f64_e32 v[16:17], v[164:165], v[28:29]
	v_add_f64_e32 v[12:13], v[12:13], v[30:31]
	v_fmac_f64_e32 v[2:3], v[6:7], v[174:175]
	v_fma_f64 v[4:5], v[4:5], v[174:175], -v[162:163]
	v_fmac_f64_e32 v[20:21], v[10:11], v[24:25]
	v_fma_f64 v[8:9], v[8:9], v[24:25], -v[22:23]
	v_add_f64_e32 v[6:7], v[16:17], v[14:15]
	v_add_f64_e32 v[12:13], v[12:13], v[18:19]
	s_delay_alu instid0(VALU_DEP_2) | instskip(NEXT) | instid1(VALU_DEP_2)
	v_add_f64_e32 v[4:5], v[6:7], v[4:5]
	v_add_f64_e32 v[2:3], v[12:13], v[2:3]
	s_delay_alu instid0(VALU_DEP_2) | instskip(NEXT) | instid1(VALU_DEP_2)
	;; [unrolled: 3-line block ×3, first 2 shown]
	v_add_f64_e64 v[2:3], v[186:187], -v[4:5]
	v_add_f64_e64 v[4:5], v[188:189], -v[6:7]
	scratch_store_b128 off, v[2:5], off offset:464
	s_wait_xcnt 0x0
	v_cmpx_lt_u32_e32 28, v1
	s_cbranch_execz .LBB127_353
; %bb.352:
	scratch_load_b128 v[2:5], off, s54
	v_mov_b32_e32 v6, 0
	s_delay_alu instid0(VALU_DEP_1)
	v_dual_mov_b32 v7, v6 :: v_dual_mov_b32 v8, v6
	v_mov_b32_e32 v9, v6
	scratch_store_b128 off, v[6:9], off offset:448
	s_wait_loadcnt 0x0
	ds_store_b128 v160, v[2:5]
.LBB127_353:
	s_wait_xcnt 0x0
	s_or_b32 exec_lo, exec_lo, s2
	s_wait_storecnt_dscnt 0x0
	s_barrier_signal -1
	s_barrier_wait -1
	s_clause 0x9
	scratch_load_b128 v[4:7], off, off offset:464
	scratch_load_b128 v[8:11], off, off offset:480
	;; [unrolled: 1-line block ×10, first 2 shown]
	v_mov_b32_e32 v2, 0
	s_mov_b32 s2, exec_lo
	ds_load_b128 v[174:177], v2 offset:1488
	s_clause 0x2
	scratch_load_b128 v[178:181], off, off offset:624
	scratch_load_b128 v[182:185], off, off offset:448
	;; [unrolled: 1-line block ×3, first 2 shown]
	s_wait_loadcnt_dscnt 0xc00
	v_mul_f64_e32 v[194:195], v[176:177], v[6:7]
	v_mul_f64_e32 v[198:199], v[174:175], v[6:7]
	ds_load_b128 v[186:189], v2 offset:1504
	v_fma_f64 v[202:203], v[174:175], v[4:5], -v[194:195]
	v_fmac_f64_e32 v[198:199], v[176:177], v[4:5]
	ds_load_b128 v[4:7], v2 offset:1520
	s_wait_loadcnt_dscnt 0xb01
	v_mul_f64_e32 v[200:201], v[186:187], v[10:11]
	v_mul_f64_e32 v[10:11], v[188:189], v[10:11]
	scratch_load_b128 v[174:177], off, off offset:656
	ds_load_b128 v[194:197], v2 offset:1536
	s_wait_loadcnt_dscnt 0xb01
	v_mul_f64_e32 v[204:205], v[4:5], v[14:15]
	v_mul_f64_e32 v[14:15], v[6:7], v[14:15]
	v_add_f64_e32 v[198:199], 0, v[198:199]
	v_fmac_f64_e32 v[200:201], v[188:189], v[8:9]
	v_fma_f64 v[186:187], v[186:187], v[8:9], -v[10:11]
	v_add_f64_e32 v[188:189], 0, v[202:203]
	scratch_load_b128 v[8:11], off, off offset:672
	v_fmac_f64_e32 v[204:205], v[6:7], v[12:13]
	v_fma_f64 v[206:207], v[4:5], v[12:13], -v[14:15]
	ds_load_b128 v[4:7], v2 offset:1552
	s_wait_loadcnt_dscnt 0xb01
	v_mul_f64_e32 v[202:203], v[194:195], v[18:19]
	v_mul_f64_e32 v[18:19], v[196:197], v[18:19]
	scratch_load_b128 v[12:15], off, off offset:688
	v_add_f64_e32 v[198:199], v[198:199], v[200:201]
	v_add_f64_e32 v[208:209], v[188:189], v[186:187]
	ds_load_b128 v[186:189], v2 offset:1568
	s_wait_loadcnt_dscnt 0xb01
	v_mul_f64_e32 v[200:201], v[4:5], v[22:23]
	v_mul_f64_e32 v[22:23], v[6:7], v[22:23]
	v_fmac_f64_e32 v[202:203], v[196:197], v[16:17]
	v_fma_f64 v[194:195], v[194:195], v[16:17], -v[18:19]
	scratch_load_b128 v[16:19], off, off offset:704
	v_add_f64_e32 v[198:199], v[198:199], v[204:205]
	v_add_f64_e32 v[196:197], v[208:209], v[206:207]
	v_fmac_f64_e32 v[200:201], v[6:7], v[20:21]
	v_fma_f64 v[206:207], v[4:5], v[20:21], -v[22:23]
	ds_load_b128 v[4:7], v2 offset:1584
	s_wait_loadcnt_dscnt 0xb01
	v_mul_f64_e32 v[204:205], v[186:187], v[26:27]
	v_mul_f64_e32 v[26:27], v[188:189], v[26:27]
	scratch_load_b128 v[20:23], off, off offset:720
	v_add_f64_e32 v[198:199], v[198:199], v[202:203]
	s_wait_loadcnt_dscnt 0xb00
	v_mul_f64_e32 v[202:203], v[4:5], v[30:31]
	v_add_f64_e32 v[208:209], v[196:197], v[194:195]
	v_mul_f64_e32 v[30:31], v[6:7], v[30:31]
	ds_load_b128 v[194:197], v2 offset:1600
	v_fmac_f64_e32 v[204:205], v[188:189], v[24:25]
	v_fma_f64 v[186:187], v[186:187], v[24:25], -v[26:27]
	scratch_load_b128 v[24:27], off, off offset:736
	v_add_f64_e32 v[198:199], v[198:199], v[200:201]
	v_fmac_f64_e32 v[202:203], v[6:7], v[28:29]
	v_add_f64_e32 v[188:189], v[208:209], v[206:207]
	v_fma_f64 v[206:207], v[4:5], v[28:29], -v[30:31]
	ds_load_b128 v[4:7], v2 offset:1616
	s_wait_loadcnt_dscnt 0xb01
	v_mul_f64_e32 v[200:201], v[194:195], v[164:165]
	v_mul_f64_e32 v[164:165], v[196:197], v[164:165]
	scratch_load_b128 v[28:31], off, off offset:752
	v_add_f64_e32 v[198:199], v[198:199], v[204:205]
	s_wait_loadcnt_dscnt 0xb00
	v_mul_f64_e32 v[204:205], v[4:5], v[168:169]
	v_add_f64_e32 v[208:209], v[188:189], v[186:187]
	v_mul_f64_e32 v[168:169], v[6:7], v[168:169]
	ds_load_b128 v[186:189], v2 offset:1632
	v_fmac_f64_e32 v[200:201], v[196:197], v[162:163]
	v_fma_f64 v[194:195], v[194:195], v[162:163], -v[164:165]
	scratch_load_b128 v[162:165], off, off offset:768
	v_add_f64_e32 v[198:199], v[198:199], v[202:203]
	v_fmac_f64_e32 v[204:205], v[6:7], v[166:167]
	v_add_f64_e32 v[196:197], v[208:209], v[206:207]
	;; [unrolled: 18-line block ×3, first 2 shown]
	v_fma_f64 v[206:207], v[4:5], v[178:179], -v[180:181]
	ds_load_b128 v[4:7], v2 offset:1680
	s_wait_loadcnt_dscnt 0xa01
	v_mul_f64_e32 v[204:205], v[194:195], v[192:193]
	v_mul_f64_e32 v[192:193], v[196:197], v[192:193]
	scratch_load_b128 v[178:181], off, off offset:816
	v_add_f64_e32 v[198:199], v[198:199], v[202:203]
	v_add_f64_e32 v[208:209], v[188:189], v[186:187]
	s_wait_loadcnt_dscnt 0xa00
	v_mul_f64_e32 v[202:203], v[4:5], v[176:177]
	v_mul_f64_e32 v[176:177], v[6:7], v[176:177]
	v_fmac_f64_e32 v[204:205], v[196:197], v[190:191]
	v_fma_f64 v[194:195], v[194:195], v[190:191], -v[192:193]
	ds_load_b128 v[186:189], v2 offset:1696
	scratch_load_b128 v[190:193], off, off offset:832
	v_add_f64_e32 v[198:199], v[198:199], v[200:201]
	v_add_f64_e32 v[196:197], v[208:209], v[206:207]
	v_fmac_f64_e32 v[202:203], v[6:7], v[174:175]
	v_fma_f64 v[206:207], v[4:5], v[174:175], -v[176:177]
	ds_load_b128 v[4:7], v2 offset:1712
	s_wait_loadcnt_dscnt 0xa01
	v_mul_f64_e32 v[200:201], v[186:187], v[10:11]
	v_mul_f64_e32 v[10:11], v[188:189], v[10:11]
	scratch_load_b128 v[174:177], off, off offset:848
	v_add_f64_e32 v[198:199], v[198:199], v[204:205]
	s_wait_loadcnt_dscnt 0xa00
	v_mul_f64_e32 v[204:205], v[4:5], v[14:15]
	v_add_f64_e32 v[208:209], v[196:197], v[194:195]
	v_mul_f64_e32 v[14:15], v[6:7], v[14:15]
	ds_load_b128 v[194:197], v2 offset:1728
	v_fmac_f64_e32 v[200:201], v[188:189], v[8:9]
	v_fma_f64 v[186:187], v[186:187], v[8:9], -v[10:11]
	scratch_load_b128 v[8:11], off, off offset:864
	v_add_f64_e32 v[198:199], v[198:199], v[202:203]
	v_fmac_f64_e32 v[204:205], v[6:7], v[12:13]
	v_add_f64_e32 v[188:189], v[208:209], v[206:207]
	v_fma_f64 v[206:207], v[4:5], v[12:13], -v[14:15]
	ds_load_b128 v[4:7], v2 offset:1744
	s_wait_loadcnt_dscnt 0xa01
	v_mul_f64_e32 v[202:203], v[194:195], v[18:19]
	v_mul_f64_e32 v[18:19], v[196:197], v[18:19]
	scratch_load_b128 v[12:15], off, off offset:880
	v_add_f64_e32 v[198:199], v[198:199], v[200:201]
	s_wait_loadcnt_dscnt 0xa00
	v_mul_f64_e32 v[200:201], v[4:5], v[22:23]
	v_add_f64_e32 v[208:209], v[188:189], v[186:187]
	v_mul_f64_e32 v[22:23], v[6:7], v[22:23]
	ds_load_b128 v[186:189], v2 offset:1760
	v_fmac_f64_e32 v[202:203], v[196:197], v[16:17]
	v_fma_f64 v[194:195], v[194:195], v[16:17], -v[18:19]
	scratch_load_b128 v[16:19], off, off offset:896
	v_add_f64_e32 v[198:199], v[198:199], v[204:205]
	v_fmac_f64_e32 v[200:201], v[6:7], v[20:21]
	v_add_f64_e32 v[196:197], v[208:209], v[206:207]
	;; [unrolled: 18-line block ×5, first 2 shown]
	v_fma_f64 v[206:207], v[4:5], v[178:179], -v[180:181]
	ds_load_b128 v[4:7], v2 offset:1872
	s_wait_loadcnt_dscnt 0xa01
	v_mul_f64_e32 v[204:205], v[194:195], v[192:193]
	v_mul_f64_e32 v[192:193], v[196:197], v[192:193]
	scratch_load_b128 v[178:181], off, off offset:1008
	v_add_f64_e32 v[198:199], v[198:199], v[202:203]
	s_wait_loadcnt_dscnt 0xa00
	v_mul_f64_e32 v[202:203], v[4:5], v[176:177]
	v_add_f64_e32 v[208:209], v[188:189], v[186:187]
	v_mul_f64_e32 v[176:177], v[6:7], v[176:177]
	ds_load_b128 v[186:189], v2 offset:1888
	v_fmac_f64_e32 v[204:205], v[196:197], v[190:191]
	v_fma_f64 v[190:191], v[194:195], v[190:191], -v[192:193]
	s_wait_loadcnt_dscnt 0x900
	v_mul_f64_e32 v[196:197], v[186:187], v[10:11]
	v_mul_f64_e32 v[10:11], v[188:189], v[10:11]
	v_add_f64_e32 v[194:195], v[198:199], v[200:201]
	v_fmac_f64_e32 v[202:203], v[6:7], v[174:175]
	v_add_f64_e32 v[192:193], v[208:209], v[206:207]
	v_fma_f64 v[198:199], v[4:5], v[174:175], -v[176:177]
	ds_load_b128 v[4:7], v2 offset:1904
	ds_load_b128 v[174:177], v2 offset:1920
	v_fmac_f64_e32 v[196:197], v[188:189], v[8:9]
	v_fma_f64 v[8:9], v[186:187], v[8:9], -v[10:11]
	v_add_f64_e32 v[190:191], v[192:193], v[190:191]
	v_add_f64_e32 v[192:193], v[194:195], v[204:205]
	s_wait_loadcnt_dscnt 0x801
	v_mul_f64_e32 v[194:195], v[4:5], v[14:15]
	v_mul_f64_e32 v[14:15], v[6:7], v[14:15]
	s_wait_loadcnt_dscnt 0x700
	v_mul_f64_e32 v[188:189], v[174:175], v[18:19]
	v_mul_f64_e32 v[18:19], v[176:177], v[18:19]
	v_add_f64_e32 v[10:11], v[190:191], v[198:199]
	v_add_f64_e32 v[186:187], v[192:193], v[202:203]
	v_fmac_f64_e32 v[194:195], v[6:7], v[12:13]
	v_fma_f64 v[12:13], v[4:5], v[12:13], -v[14:15]
	v_fmac_f64_e32 v[188:189], v[176:177], v[16:17]
	v_fma_f64 v[16:17], v[174:175], v[16:17], -v[18:19]
	v_add_f64_e32 v[14:15], v[10:11], v[8:9]
	v_add_f64_e32 v[186:187], v[186:187], v[196:197]
	ds_load_b128 v[4:7], v2 offset:1936
	ds_load_b128 v[8:11], v2 offset:1952
	s_wait_loadcnt_dscnt 0x601
	v_mul_f64_e32 v[190:191], v[4:5], v[22:23]
	v_mul_f64_e32 v[22:23], v[6:7], v[22:23]
	s_wait_loadcnt_dscnt 0x500
	v_mul_f64_e32 v[18:19], v[8:9], v[26:27]
	v_mul_f64_e32 v[26:27], v[10:11], v[26:27]
	v_add_f64_e32 v[12:13], v[14:15], v[12:13]
	v_add_f64_e32 v[14:15], v[186:187], v[194:195]
	v_fmac_f64_e32 v[190:191], v[6:7], v[20:21]
	v_fma_f64 v[20:21], v[4:5], v[20:21], -v[22:23]
	v_fmac_f64_e32 v[18:19], v[10:11], v[24:25]
	v_fma_f64 v[8:9], v[8:9], v[24:25], -v[26:27]
	v_add_f64_e32 v[16:17], v[12:13], v[16:17]
	v_add_f64_e32 v[22:23], v[14:15], v[188:189]
	ds_load_b128 v[4:7], v2 offset:1968
	ds_load_b128 v[12:15], v2 offset:1984
	s_wait_loadcnt_dscnt 0x401
	v_mul_f64_e32 v[174:175], v[4:5], v[30:31]
	v_mul_f64_e32 v[30:31], v[6:7], v[30:31]
	v_add_f64_e32 v[10:11], v[16:17], v[20:21]
	v_add_f64_e32 v[16:17], v[22:23], v[190:191]
	s_wait_loadcnt_dscnt 0x300
	v_mul_f64_e32 v[20:21], v[12:13], v[164:165]
	v_mul_f64_e32 v[22:23], v[14:15], v[164:165]
	v_fmac_f64_e32 v[174:175], v[6:7], v[28:29]
	v_fma_f64 v[24:25], v[4:5], v[28:29], -v[30:31]
	v_add_f64_e32 v[26:27], v[10:11], v[8:9]
	v_add_f64_e32 v[16:17], v[16:17], v[18:19]
	ds_load_b128 v[4:7], v2 offset:2000
	ds_load_b128 v[8:11], v2 offset:2016
	v_fmac_f64_e32 v[20:21], v[14:15], v[162:163]
	v_fma_f64 v[12:13], v[12:13], v[162:163], -v[22:23]
	s_wait_loadcnt_dscnt 0x201
	v_mul_f64_e32 v[18:19], v[4:5], v[168:169]
	v_mul_f64_e32 v[28:29], v[6:7], v[168:169]
	s_wait_loadcnt_dscnt 0x100
	v_mul_f64_e32 v[22:23], v[8:9], v[172:173]
	v_add_f64_e32 v[14:15], v[26:27], v[24:25]
	v_add_f64_e32 v[16:17], v[16:17], v[174:175]
	v_mul_f64_e32 v[24:25], v[10:11], v[172:173]
	v_fmac_f64_e32 v[18:19], v[6:7], v[166:167]
	v_fma_f64 v[26:27], v[4:5], v[166:167], -v[28:29]
	ds_load_b128 v[4:7], v2 offset:2032
	v_fmac_f64_e32 v[22:23], v[10:11], v[170:171]
	v_add_f64_e32 v[12:13], v[14:15], v[12:13]
	v_add_f64_e32 v[14:15], v[16:17], v[20:21]
	v_fma_f64 v[8:9], v[8:9], v[170:171], -v[24:25]
	s_wait_loadcnt_dscnt 0x0
	v_mul_f64_e32 v[16:17], v[4:5], v[180:181]
	v_mul_f64_e32 v[20:21], v[6:7], v[180:181]
	v_add_f64_e32 v[10:11], v[12:13], v[26:27]
	v_add_f64_e32 v[12:13], v[14:15], v[18:19]
	s_delay_alu instid0(VALU_DEP_4) | instskip(NEXT) | instid1(VALU_DEP_4)
	v_fmac_f64_e32 v[16:17], v[6:7], v[178:179]
	v_fma_f64 v[4:5], v[4:5], v[178:179], -v[20:21]
	s_delay_alu instid0(VALU_DEP_4) | instskip(NEXT) | instid1(VALU_DEP_4)
	v_add_f64_e32 v[6:7], v[10:11], v[8:9]
	v_add_f64_e32 v[8:9], v[12:13], v[22:23]
	s_delay_alu instid0(VALU_DEP_2) | instskip(NEXT) | instid1(VALU_DEP_2)
	v_add_f64_e32 v[4:5], v[6:7], v[4:5]
	v_add_f64_e32 v[6:7], v[8:9], v[16:17]
	s_delay_alu instid0(VALU_DEP_2) | instskip(NEXT) | instid1(VALU_DEP_2)
	v_add_f64_e64 v[4:5], v[182:183], -v[4:5]
	v_add_f64_e64 v[6:7], v[184:185], -v[6:7]
	scratch_store_b128 off, v[4:7], off offset:448
	s_wait_xcnt 0x0
	v_cmpx_lt_u32_e32 27, v1
	s_cbranch_execz .LBB127_355
; %bb.354:
	scratch_load_b128 v[6:9], off, s55
	v_dual_mov_b32 v3, v2 :: v_dual_mov_b32 v4, v2
	v_mov_b32_e32 v5, v2
	scratch_store_b128 off, v[2:5], off offset:432
	s_wait_loadcnt 0x0
	ds_store_b128 v160, v[6:9]
.LBB127_355:
	s_wait_xcnt 0x0
	s_or_b32 exec_lo, exec_lo, s2
	s_wait_storecnt_dscnt 0x0
	s_barrier_signal -1
	s_barrier_wait -1
	s_clause 0x9
	scratch_load_b128 v[4:7], off, off offset:448
	scratch_load_b128 v[8:11], off, off offset:464
	;; [unrolled: 1-line block ×10, first 2 shown]
	ds_load_b128 v[174:177], v2 offset:1472
	ds_load_b128 v[182:185], v2 offset:1488
	s_clause 0x2
	scratch_load_b128 v[178:181], off, off offset:608
	scratch_load_b128 v[186:189], off, off offset:432
	;; [unrolled: 1-line block ×3, first 2 shown]
	s_mov_b32 s2, exec_lo
	s_wait_loadcnt_dscnt 0xc01
	v_mul_f64_e32 v[194:195], v[176:177], v[6:7]
	v_mul_f64_e32 v[198:199], v[174:175], v[6:7]
	s_wait_loadcnt_dscnt 0xb00
	v_mul_f64_e32 v[200:201], v[182:183], v[10:11]
	v_mul_f64_e32 v[10:11], v[184:185], v[10:11]
	s_delay_alu instid0(VALU_DEP_4) | instskip(NEXT) | instid1(VALU_DEP_4)
	v_fma_f64 v[202:203], v[174:175], v[4:5], -v[194:195]
	v_fmac_f64_e32 v[198:199], v[176:177], v[4:5]
	ds_load_b128 v[4:7], v2 offset:1504
	ds_load_b128 v[174:177], v2 offset:1520
	scratch_load_b128 v[194:197], off, off offset:640
	v_fmac_f64_e32 v[200:201], v[184:185], v[8:9]
	v_fma_f64 v[182:183], v[182:183], v[8:9], -v[10:11]
	scratch_load_b128 v[8:11], off, off offset:656
	s_wait_loadcnt_dscnt 0xc01
	v_mul_f64_e32 v[204:205], v[4:5], v[14:15]
	v_mul_f64_e32 v[14:15], v[6:7], v[14:15]
	v_add_f64_e32 v[184:185], 0, v[202:203]
	v_add_f64_e32 v[198:199], 0, v[198:199]
	s_wait_loadcnt_dscnt 0xb00
	v_mul_f64_e32 v[202:203], v[174:175], v[18:19]
	v_mul_f64_e32 v[18:19], v[176:177], v[18:19]
	v_fmac_f64_e32 v[204:205], v[6:7], v[12:13]
	v_fma_f64 v[206:207], v[4:5], v[12:13], -v[14:15]
	ds_load_b128 v[4:7], v2 offset:1536
	ds_load_b128 v[12:15], v2 offset:1552
	v_add_f64_e32 v[208:209], v[184:185], v[182:183]
	v_add_f64_e32 v[198:199], v[198:199], v[200:201]
	scratch_load_b128 v[182:185], off, off offset:672
	v_fmac_f64_e32 v[202:203], v[176:177], v[16:17]
	v_fma_f64 v[174:175], v[174:175], v[16:17], -v[18:19]
	scratch_load_b128 v[16:19], off, off offset:688
	s_wait_loadcnt_dscnt 0xc01
	v_mul_f64_e32 v[200:201], v[4:5], v[22:23]
	v_mul_f64_e32 v[22:23], v[6:7], v[22:23]
	v_add_f64_e32 v[176:177], v[208:209], v[206:207]
	v_add_f64_e32 v[198:199], v[198:199], v[204:205]
	s_wait_loadcnt_dscnt 0xb00
	v_mul_f64_e32 v[204:205], v[12:13], v[26:27]
	v_mul_f64_e32 v[26:27], v[14:15], v[26:27]
	v_fmac_f64_e32 v[200:201], v[6:7], v[20:21]
	v_fma_f64 v[206:207], v[4:5], v[20:21], -v[22:23]
	ds_load_b128 v[4:7], v2 offset:1568
	ds_load_b128 v[20:23], v2 offset:1584
	v_add_f64_e32 v[208:209], v[176:177], v[174:175]
	v_add_f64_e32 v[198:199], v[198:199], v[202:203]
	scratch_load_b128 v[174:177], off, off offset:704
	s_wait_loadcnt_dscnt 0xb01
	v_mul_f64_e32 v[202:203], v[4:5], v[30:31]
	v_mul_f64_e32 v[30:31], v[6:7], v[30:31]
	v_fmac_f64_e32 v[204:205], v[14:15], v[24:25]
	v_fma_f64 v[24:25], v[12:13], v[24:25], -v[26:27]
	scratch_load_b128 v[12:15], off, off offset:720
	v_add_f64_e32 v[26:27], v[208:209], v[206:207]
	v_add_f64_e32 v[198:199], v[198:199], v[200:201]
	s_wait_loadcnt_dscnt 0xb00
	v_mul_f64_e32 v[200:201], v[20:21], v[164:165]
	v_mul_f64_e32 v[164:165], v[22:23], v[164:165]
	v_fmac_f64_e32 v[202:203], v[6:7], v[28:29]
	v_fma_f64 v[206:207], v[4:5], v[28:29], -v[30:31]
	v_add_f64_e32 v[208:209], v[26:27], v[24:25]
	v_add_f64_e32 v[198:199], v[198:199], v[204:205]
	ds_load_b128 v[4:7], v2 offset:1600
	ds_load_b128 v[24:27], v2 offset:1616
	scratch_load_b128 v[28:31], off, off offset:736
	v_fmac_f64_e32 v[200:201], v[22:23], v[162:163]
	v_fma_f64 v[162:163], v[20:21], v[162:163], -v[164:165]
	scratch_load_b128 v[20:23], off, off offset:752
	s_wait_loadcnt_dscnt 0xc01
	v_mul_f64_e32 v[204:205], v[4:5], v[168:169]
	v_mul_f64_e32 v[168:169], v[6:7], v[168:169]
	v_add_f64_e32 v[164:165], v[208:209], v[206:207]
	v_add_f64_e32 v[198:199], v[198:199], v[202:203]
	s_wait_loadcnt_dscnt 0xb00
	v_mul_f64_e32 v[202:203], v[24:25], v[172:173]
	v_mul_f64_e32 v[172:173], v[26:27], v[172:173]
	v_fmac_f64_e32 v[204:205], v[6:7], v[166:167]
	v_fma_f64 v[206:207], v[4:5], v[166:167], -v[168:169]
	v_add_f64_e32 v[208:209], v[164:165], v[162:163]
	v_add_f64_e32 v[198:199], v[198:199], v[200:201]
	ds_load_b128 v[4:7], v2 offset:1632
	ds_load_b128 v[162:165], v2 offset:1648
	scratch_load_b128 v[166:169], off, off offset:768
	v_fmac_f64_e32 v[202:203], v[26:27], v[170:171]
	v_fma_f64 v[170:171], v[24:25], v[170:171], -v[172:173]
	scratch_load_b128 v[24:27], off, off offset:784
	s_wait_loadcnt_dscnt 0xc01
	v_mul_f64_e32 v[200:201], v[4:5], v[180:181]
	v_mul_f64_e32 v[180:181], v[6:7], v[180:181]
	;; [unrolled: 18-line block ×5, first 2 shown]
	v_add_f64_e32 v[192:193], v[208:209], v[206:207]
	v_add_f64_e32 v[198:199], v[198:199], v[204:205]
	s_wait_loadcnt_dscnt 0xa00
	v_mul_f64_e32 v[204:205], v[170:171], v[14:15]
	v_mul_f64_e32 v[14:15], v[172:173], v[14:15]
	v_fmac_f64_e32 v[200:201], v[6:7], v[174:175]
	v_fma_f64 v[206:207], v[4:5], v[174:175], -v[176:177]
	ds_load_b128 v[4:7], v2 offset:1760
	ds_load_b128 v[174:177], v2 offset:1776
	v_add_f64_e32 v[208:209], v[192:193], v[190:191]
	v_add_f64_e32 v[198:199], v[198:199], v[202:203]
	scratch_load_b128 v[190:193], off, off offset:896
	v_fmac_f64_e32 v[204:205], v[172:173], v[12:13]
	v_fma_f64 v[170:171], v[170:171], v[12:13], -v[14:15]
	scratch_load_b128 v[12:15], off, off offset:912
	s_wait_loadcnt_dscnt 0xb01
	v_mul_f64_e32 v[202:203], v[4:5], v[30:31]
	v_mul_f64_e32 v[30:31], v[6:7], v[30:31]
	v_add_f64_e32 v[172:173], v[208:209], v[206:207]
	v_add_f64_e32 v[198:199], v[198:199], v[200:201]
	s_wait_loadcnt_dscnt 0xa00
	v_mul_f64_e32 v[200:201], v[174:175], v[22:23]
	v_mul_f64_e32 v[22:23], v[176:177], v[22:23]
	v_fmac_f64_e32 v[202:203], v[6:7], v[28:29]
	v_fma_f64 v[206:207], v[4:5], v[28:29], -v[30:31]
	ds_load_b128 v[4:7], v2 offset:1792
	ds_load_b128 v[28:31], v2 offset:1808
	v_add_f64_e32 v[208:209], v[172:173], v[170:171]
	v_add_f64_e32 v[198:199], v[198:199], v[204:205]
	scratch_load_b128 v[170:173], off, off offset:928
	s_wait_loadcnt_dscnt 0xa01
	v_mul_f64_e32 v[204:205], v[4:5], v[168:169]
	v_mul_f64_e32 v[168:169], v[6:7], v[168:169]
	v_fmac_f64_e32 v[200:201], v[176:177], v[20:21]
	v_fma_f64 v[174:175], v[174:175], v[20:21], -v[22:23]
	scratch_load_b128 v[20:23], off, off offset:944
	v_add_f64_e32 v[176:177], v[208:209], v[206:207]
	v_add_f64_e32 v[198:199], v[198:199], v[202:203]
	s_wait_loadcnt_dscnt 0xa00
	v_mul_f64_e32 v[202:203], v[28:29], v[26:27]
	v_mul_f64_e32 v[26:27], v[30:31], v[26:27]
	v_fmac_f64_e32 v[204:205], v[6:7], v[166:167]
	v_fma_f64 v[206:207], v[4:5], v[166:167], -v[168:169]
	ds_load_b128 v[4:7], v2 offset:1824
	ds_load_b128 v[166:169], v2 offset:1840
	v_add_f64_e32 v[208:209], v[176:177], v[174:175]
	v_add_f64_e32 v[198:199], v[198:199], v[200:201]
	scratch_load_b128 v[174:177], off, off offset:960
	s_wait_loadcnt_dscnt 0xa01
	v_mul_f64_e32 v[200:201], v[4:5], v[180:181]
	v_mul_f64_e32 v[180:181], v[6:7], v[180:181]
	v_fmac_f64_e32 v[202:203], v[30:31], v[24:25]
	v_fma_f64 v[28:29], v[28:29], v[24:25], -v[26:27]
	scratch_load_b128 v[24:27], off, off offset:976
	v_add_f64_e32 v[30:31], v[208:209], v[206:207]
	v_add_f64_e32 v[198:199], v[198:199], v[204:205]
	s_wait_loadcnt_dscnt 0xa00
	v_mul_f64_e32 v[204:205], v[166:167], v[164:165]
	v_mul_f64_e32 v[164:165], v[168:169], v[164:165]
	v_fmac_f64_e32 v[200:201], v[6:7], v[178:179]
	v_fma_f64 v[206:207], v[4:5], v[178:179], -v[180:181]
	v_add_f64_e32 v[208:209], v[30:31], v[28:29]
	v_add_f64_e32 v[198:199], v[198:199], v[202:203]
	ds_load_b128 v[4:7], v2 offset:1856
	ds_load_b128 v[28:31], v2 offset:1872
	scratch_load_b128 v[178:181], off, off offset:992
	v_fmac_f64_e32 v[204:205], v[168:169], v[162:163]
	v_fma_f64 v[166:167], v[166:167], v[162:163], -v[164:165]
	scratch_load_b128 v[162:165], off, off offset:1008
	s_wait_loadcnt_dscnt 0xb01
	v_mul_f64_e32 v[202:203], v[4:5], v[196:197]
	v_mul_f64_e32 v[196:197], v[6:7], v[196:197]
	v_add_f64_e32 v[168:169], v[208:209], v[206:207]
	v_add_f64_e32 v[198:199], v[198:199], v[200:201]
	s_wait_loadcnt_dscnt 0xa00
	v_mul_f64_e32 v[200:201], v[28:29], v[10:11]
	v_mul_f64_e32 v[10:11], v[30:31], v[10:11]
	v_fmac_f64_e32 v[202:203], v[6:7], v[194:195]
	v_fma_f64 v[194:195], v[4:5], v[194:195], -v[196:197]
	v_add_f64_e32 v[196:197], v[168:169], v[166:167]
	v_add_f64_e32 v[198:199], v[198:199], v[204:205]
	ds_load_b128 v[4:7], v2 offset:1888
	ds_load_b128 v[166:169], v2 offset:1904
	v_fmac_f64_e32 v[200:201], v[30:31], v[8:9]
	v_fma_f64 v[8:9], v[28:29], v[8:9], -v[10:11]
	s_wait_loadcnt_dscnt 0x901
	v_mul_f64_e32 v[204:205], v[4:5], v[184:185]
	v_mul_f64_e32 v[184:185], v[6:7], v[184:185]
	s_wait_loadcnt_dscnt 0x800
	v_mul_f64_e32 v[30:31], v[166:167], v[18:19]
	v_mul_f64_e32 v[18:19], v[168:169], v[18:19]
	v_add_f64_e32 v[10:11], v[196:197], v[194:195]
	v_add_f64_e32 v[28:29], v[198:199], v[202:203]
	v_fmac_f64_e32 v[204:205], v[6:7], v[182:183]
	v_fma_f64 v[182:183], v[4:5], v[182:183], -v[184:185]
	v_fmac_f64_e32 v[30:31], v[168:169], v[16:17]
	v_fma_f64 v[16:17], v[166:167], v[16:17], -v[18:19]
	v_add_f64_e32 v[184:185], v[10:11], v[8:9]
	v_add_f64_e32 v[28:29], v[28:29], v[200:201]
	ds_load_b128 v[4:7], v2 offset:1920
	ds_load_b128 v[8:11], v2 offset:1936
	s_wait_loadcnt_dscnt 0x701
	v_mul_f64_e32 v[194:195], v[4:5], v[192:193]
	v_mul_f64_e32 v[192:193], v[6:7], v[192:193]
	s_wait_loadcnt_dscnt 0x600
	v_mul_f64_e32 v[166:167], v[8:9], v[14:15]
	v_mul_f64_e32 v[168:169], v[10:11], v[14:15]
	v_add_f64_e32 v[18:19], v[184:185], v[182:183]
	v_add_f64_e32 v[28:29], v[28:29], v[204:205]
	v_fmac_f64_e32 v[194:195], v[6:7], v[190:191]
	v_fma_f64 v[182:183], v[4:5], v[190:191], -v[192:193]
	v_fmac_f64_e32 v[166:167], v[10:11], v[12:13]
	v_fma_f64 v[8:9], v[8:9], v[12:13], -v[168:169]
	v_add_f64_e32 v[18:19], v[18:19], v[16:17]
	v_add_f64_e32 v[28:29], v[28:29], v[30:31]
	ds_load_b128 v[4:7], v2 offset:1952
	ds_load_b128 v[14:17], v2 offset:1968
	s_wait_loadcnt_dscnt 0x501
	v_mul_f64_e32 v[30:31], v[4:5], v[172:173]
	v_mul_f64_e32 v[172:173], v[6:7], v[172:173]
	v_add_f64_e32 v[10:11], v[18:19], v[182:183]
	v_add_f64_e32 v[12:13], v[28:29], v[194:195]
	s_wait_loadcnt_dscnt 0x400
	v_mul_f64_e32 v[18:19], v[14:15], v[22:23]
	v_mul_f64_e32 v[22:23], v[16:17], v[22:23]
	v_fmac_f64_e32 v[30:31], v[6:7], v[170:171]
	v_fma_f64 v[28:29], v[4:5], v[170:171], -v[172:173]
	v_add_f64_e32 v[168:169], v[10:11], v[8:9]
	v_add_f64_e32 v[12:13], v[12:13], v[166:167]
	ds_load_b128 v[4:7], v2 offset:1984
	ds_load_b128 v[8:11], v2 offset:2000
	v_fmac_f64_e32 v[18:19], v[16:17], v[20:21]
	v_fma_f64 v[14:15], v[14:15], v[20:21], -v[22:23]
	s_wait_loadcnt_dscnt 0x301
	v_mul_f64_e32 v[166:167], v[4:5], v[176:177]
	v_mul_f64_e32 v[170:171], v[6:7], v[176:177]
	s_wait_loadcnt_dscnt 0x200
	v_mul_f64_e32 v[20:21], v[8:9], v[26:27]
	v_mul_f64_e32 v[22:23], v[10:11], v[26:27]
	v_add_f64_e32 v[16:17], v[168:169], v[28:29]
	v_add_f64_e32 v[12:13], v[12:13], v[30:31]
	v_fmac_f64_e32 v[166:167], v[6:7], v[174:175]
	v_fma_f64 v[26:27], v[4:5], v[174:175], -v[170:171]
	v_fmac_f64_e32 v[20:21], v[10:11], v[24:25]
	v_fma_f64 v[8:9], v[8:9], v[24:25], -v[22:23]
	v_add_f64_e32 v[16:17], v[16:17], v[14:15]
	v_add_f64_e32 v[18:19], v[12:13], v[18:19]
	ds_load_b128 v[4:7], v2 offset:2016
	ds_load_b128 v[12:15], v2 offset:2032
	s_wait_loadcnt_dscnt 0x101
	v_mul_f64_e32 v[2:3], v[4:5], v[180:181]
	v_mul_f64_e32 v[28:29], v[6:7], v[180:181]
	s_wait_loadcnt_dscnt 0x0
	v_mul_f64_e32 v[22:23], v[14:15], v[164:165]
	v_add_f64_e32 v[10:11], v[16:17], v[26:27]
	v_add_f64_e32 v[16:17], v[18:19], v[166:167]
	v_mul_f64_e32 v[18:19], v[12:13], v[164:165]
	v_fmac_f64_e32 v[2:3], v[6:7], v[178:179]
	v_fma_f64 v[4:5], v[4:5], v[178:179], -v[28:29]
	v_add_f64_e32 v[6:7], v[10:11], v[8:9]
	v_add_f64_e32 v[8:9], v[16:17], v[20:21]
	v_fmac_f64_e32 v[18:19], v[14:15], v[162:163]
	v_fma_f64 v[10:11], v[12:13], v[162:163], -v[22:23]
	s_delay_alu instid0(VALU_DEP_4) | instskip(NEXT) | instid1(VALU_DEP_4)
	v_add_f64_e32 v[4:5], v[6:7], v[4:5]
	v_add_f64_e32 v[2:3], v[8:9], v[2:3]
	s_delay_alu instid0(VALU_DEP_2) | instskip(NEXT) | instid1(VALU_DEP_2)
	v_add_f64_e32 v[4:5], v[4:5], v[10:11]
	v_add_f64_e32 v[6:7], v[2:3], v[18:19]
	s_delay_alu instid0(VALU_DEP_2) | instskip(NEXT) | instid1(VALU_DEP_2)
	v_add_f64_e64 v[2:3], v[186:187], -v[4:5]
	v_add_f64_e64 v[4:5], v[188:189], -v[6:7]
	scratch_store_b128 off, v[2:5], off offset:432
	s_wait_xcnt 0x0
	v_cmpx_lt_u32_e32 26, v1
	s_cbranch_execz .LBB127_357
; %bb.356:
	scratch_load_b128 v[2:5], off, s56
	v_mov_b32_e32 v6, 0
	s_delay_alu instid0(VALU_DEP_1)
	v_dual_mov_b32 v7, v6 :: v_dual_mov_b32 v8, v6
	v_mov_b32_e32 v9, v6
	scratch_store_b128 off, v[6:9], off offset:416
	s_wait_loadcnt 0x0
	ds_store_b128 v160, v[2:5]
.LBB127_357:
	s_wait_xcnt 0x0
	s_or_b32 exec_lo, exec_lo, s2
	s_wait_storecnt_dscnt 0x0
	s_barrier_signal -1
	s_barrier_wait -1
	s_clause 0x9
	scratch_load_b128 v[4:7], off, off offset:432
	scratch_load_b128 v[8:11], off, off offset:448
	;; [unrolled: 1-line block ×10, first 2 shown]
	v_mov_b32_e32 v2, 0
	s_mov_b32 s2, exec_lo
	ds_load_b128 v[174:177], v2 offset:1456
	s_clause 0x2
	scratch_load_b128 v[178:181], off, off offset:592
	scratch_load_b128 v[182:185], off, off offset:416
	;; [unrolled: 1-line block ×3, first 2 shown]
	s_wait_loadcnt_dscnt 0xc00
	v_mul_f64_e32 v[194:195], v[176:177], v[6:7]
	v_mul_f64_e32 v[198:199], v[174:175], v[6:7]
	ds_load_b128 v[186:189], v2 offset:1472
	v_fma_f64 v[202:203], v[174:175], v[4:5], -v[194:195]
	v_fmac_f64_e32 v[198:199], v[176:177], v[4:5]
	ds_load_b128 v[4:7], v2 offset:1488
	s_wait_loadcnt_dscnt 0xb01
	v_mul_f64_e32 v[200:201], v[186:187], v[10:11]
	v_mul_f64_e32 v[10:11], v[188:189], v[10:11]
	scratch_load_b128 v[174:177], off, off offset:624
	ds_load_b128 v[194:197], v2 offset:1504
	s_wait_loadcnt_dscnt 0xb01
	v_mul_f64_e32 v[204:205], v[4:5], v[14:15]
	v_mul_f64_e32 v[14:15], v[6:7], v[14:15]
	v_add_f64_e32 v[198:199], 0, v[198:199]
	v_fmac_f64_e32 v[200:201], v[188:189], v[8:9]
	v_fma_f64 v[186:187], v[186:187], v[8:9], -v[10:11]
	v_add_f64_e32 v[188:189], 0, v[202:203]
	scratch_load_b128 v[8:11], off, off offset:640
	v_fmac_f64_e32 v[204:205], v[6:7], v[12:13]
	v_fma_f64 v[206:207], v[4:5], v[12:13], -v[14:15]
	ds_load_b128 v[4:7], v2 offset:1520
	s_wait_loadcnt_dscnt 0xb01
	v_mul_f64_e32 v[202:203], v[194:195], v[18:19]
	v_mul_f64_e32 v[18:19], v[196:197], v[18:19]
	scratch_load_b128 v[12:15], off, off offset:656
	v_add_f64_e32 v[198:199], v[198:199], v[200:201]
	v_add_f64_e32 v[208:209], v[188:189], v[186:187]
	ds_load_b128 v[186:189], v2 offset:1536
	s_wait_loadcnt_dscnt 0xb01
	v_mul_f64_e32 v[200:201], v[4:5], v[22:23]
	v_mul_f64_e32 v[22:23], v[6:7], v[22:23]
	v_fmac_f64_e32 v[202:203], v[196:197], v[16:17]
	v_fma_f64 v[194:195], v[194:195], v[16:17], -v[18:19]
	scratch_load_b128 v[16:19], off, off offset:672
	v_add_f64_e32 v[198:199], v[198:199], v[204:205]
	v_add_f64_e32 v[196:197], v[208:209], v[206:207]
	v_fmac_f64_e32 v[200:201], v[6:7], v[20:21]
	v_fma_f64 v[206:207], v[4:5], v[20:21], -v[22:23]
	ds_load_b128 v[4:7], v2 offset:1552
	s_wait_loadcnt_dscnt 0xb01
	v_mul_f64_e32 v[204:205], v[186:187], v[26:27]
	v_mul_f64_e32 v[26:27], v[188:189], v[26:27]
	scratch_load_b128 v[20:23], off, off offset:688
	v_add_f64_e32 v[198:199], v[198:199], v[202:203]
	s_wait_loadcnt_dscnt 0xb00
	v_mul_f64_e32 v[202:203], v[4:5], v[30:31]
	v_add_f64_e32 v[208:209], v[196:197], v[194:195]
	v_mul_f64_e32 v[30:31], v[6:7], v[30:31]
	ds_load_b128 v[194:197], v2 offset:1568
	v_fmac_f64_e32 v[204:205], v[188:189], v[24:25]
	v_fma_f64 v[186:187], v[186:187], v[24:25], -v[26:27]
	scratch_load_b128 v[24:27], off, off offset:704
	v_add_f64_e32 v[198:199], v[198:199], v[200:201]
	v_fmac_f64_e32 v[202:203], v[6:7], v[28:29]
	v_add_f64_e32 v[188:189], v[208:209], v[206:207]
	v_fma_f64 v[206:207], v[4:5], v[28:29], -v[30:31]
	ds_load_b128 v[4:7], v2 offset:1584
	s_wait_loadcnt_dscnt 0xb01
	v_mul_f64_e32 v[200:201], v[194:195], v[164:165]
	v_mul_f64_e32 v[164:165], v[196:197], v[164:165]
	scratch_load_b128 v[28:31], off, off offset:720
	v_add_f64_e32 v[198:199], v[198:199], v[204:205]
	s_wait_loadcnt_dscnt 0xb00
	v_mul_f64_e32 v[204:205], v[4:5], v[168:169]
	v_add_f64_e32 v[208:209], v[188:189], v[186:187]
	v_mul_f64_e32 v[168:169], v[6:7], v[168:169]
	ds_load_b128 v[186:189], v2 offset:1600
	v_fmac_f64_e32 v[200:201], v[196:197], v[162:163]
	v_fma_f64 v[194:195], v[194:195], v[162:163], -v[164:165]
	scratch_load_b128 v[162:165], off, off offset:736
	v_add_f64_e32 v[198:199], v[198:199], v[202:203]
	v_fmac_f64_e32 v[204:205], v[6:7], v[166:167]
	v_add_f64_e32 v[196:197], v[208:209], v[206:207]
	;; [unrolled: 18-line block ×3, first 2 shown]
	v_fma_f64 v[206:207], v[4:5], v[178:179], -v[180:181]
	ds_load_b128 v[4:7], v2 offset:1648
	s_wait_loadcnt_dscnt 0xa01
	v_mul_f64_e32 v[204:205], v[194:195], v[192:193]
	v_mul_f64_e32 v[192:193], v[196:197], v[192:193]
	scratch_load_b128 v[178:181], off, off offset:784
	v_add_f64_e32 v[198:199], v[198:199], v[202:203]
	v_add_f64_e32 v[208:209], v[188:189], v[186:187]
	s_wait_loadcnt_dscnt 0xa00
	v_mul_f64_e32 v[202:203], v[4:5], v[176:177]
	v_mul_f64_e32 v[176:177], v[6:7], v[176:177]
	v_fmac_f64_e32 v[204:205], v[196:197], v[190:191]
	v_fma_f64 v[194:195], v[194:195], v[190:191], -v[192:193]
	ds_load_b128 v[186:189], v2 offset:1664
	scratch_load_b128 v[190:193], off, off offset:800
	v_add_f64_e32 v[198:199], v[198:199], v[200:201]
	v_add_f64_e32 v[196:197], v[208:209], v[206:207]
	v_fmac_f64_e32 v[202:203], v[6:7], v[174:175]
	v_fma_f64 v[206:207], v[4:5], v[174:175], -v[176:177]
	ds_load_b128 v[4:7], v2 offset:1680
	s_wait_loadcnt_dscnt 0xa01
	v_mul_f64_e32 v[200:201], v[186:187], v[10:11]
	v_mul_f64_e32 v[10:11], v[188:189], v[10:11]
	scratch_load_b128 v[174:177], off, off offset:816
	v_add_f64_e32 v[198:199], v[198:199], v[204:205]
	s_wait_loadcnt_dscnt 0xa00
	v_mul_f64_e32 v[204:205], v[4:5], v[14:15]
	v_add_f64_e32 v[208:209], v[196:197], v[194:195]
	v_mul_f64_e32 v[14:15], v[6:7], v[14:15]
	ds_load_b128 v[194:197], v2 offset:1696
	v_fmac_f64_e32 v[200:201], v[188:189], v[8:9]
	v_fma_f64 v[186:187], v[186:187], v[8:9], -v[10:11]
	scratch_load_b128 v[8:11], off, off offset:832
	v_add_f64_e32 v[198:199], v[198:199], v[202:203]
	v_fmac_f64_e32 v[204:205], v[6:7], v[12:13]
	v_add_f64_e32 v[188:189], v[208:209], v[206:207]
	v_fma_f64 v[206:207], v[4:5], v[12:13], -v[14:15]
	ds_load_b128 v[4:7], v2 offset:1712
	s_wait_loadcnt_dscnt 0xa01
	v_mul_f64_e32 v[202:203], v[194:195], v[18:19]
	v_mul_f64_e32 v[18:19], v[196:197], v[18:19]
	scratch_load_b128 v[12:15], off, off offset:848
	v_add_f64_e32 v[198:199], v[198:199], v[200:201]
	s_wait_loadcnt_dscnt 0xa00
	v_mul_f64_e32 v[200:201], v[4:5], v[22:23]
	v_add_f64_e32 v[208:209], v[188:189], v[186:187]
	v_mul_f64_e32 v[22:23], v[6:7], v[22:23]
	ds_load_b128 v[186:189], v2 offset:1728
	v_fmac_f64_e32 v[202:203], v[196:197], v[16:17]
	v_fma_f64 v[194:195], v[194:195], v[16:17], -v[18:19]
	scratch_load_b128 v[16:19], off, off offset:864
	v_add_f64_e32 v[198:199], v[198:199], v[204:205]
	v_fmac_f64_e32 v[200:201], v[6:7], v[20:21]
	v_add_f64_e32 v[196:197], v[208:209], v[206:207]
	;; [unrolled: 18-line block ×6, first 2 shown]
	v_fma_f64 v[206:207], v[4:5], v[174:175], -v[176:177]
	ds_load_b128 v[4:7], v2 offset:1872
	s_wait_loadcnt_dscnt 0xa01
	v_mul_f64_e32 v[200:201], v[186:187], v[10:11]
	v_mul_f64_e32 v[10:11], v[188:189], v[10:11]
	scratch_load_b128 v[174:177], off, off offset:1008
	v_add_f64_e32 v[198:199], v[198:199], v[204:205]
	s_wait_loadcnt_dscnt 0xa00
	v_mul_f64_e32 v[204:205], v[4:5], v[14:15]
	v_add_f64_e32 v[208:209], v[196:197], v[194:195]
	v_mul_f64_e32 v[14:15], v[6:7], v[14:15]
	ds_load_b128 v[194:197], v2 offset:1888
	v_fmac_f64_e32 v[200:201], v[188:189], v[8:9]
	v_fma_f64 v[8:9], v[186:187], v[8:9], -v[10:11]
	s_wait_loadcnt_dscnt 0x900
	v_mul_f64_e32 v[188:189], v[194:195], v[18:19]
	v_mul_f64_e32 v[18:19], v[196:197], v[18:19]
	v_add_f64_e32 v[186:187], v[198:199], v[202:203]
	v_fmac_f64_e32 v[204:205], v[6:7], v[12:13]
	v_add_f64_e32 v[10:11], v[208:209], v[206:207]
	v_fma_f64 v[12:13], v[4:5], v[12:13], -v[14:15]
	v_fmac_f64_e32 v[188:189], v[196:197], v[16:17]
	v_fma_f64 v[16:17], v[194:195], v[16:17], -v[18:19]
	v_add_f64_e32 v[186:187], v[186:187], v[200:201]
	v_add_f64_e32 v[14:15], v[10:11], v[8:9]
	ds_load_b128 v[4:7], v2 offset:1904
	ds_load_b128 v[8:11], v2 offset:1920
	s_wait_loadcnt_dscnt 0x801
	v_mul_f64_e32 v[198:199], v[4:5], v[22:23]
	v_mul_f64_e32 v[22:23], v[6:7], v[22:23]
	s_wait_loadcnt_dscnt 0x700
	v_mul_f64_e32 v[18:19], v[8:9], v[26:27]
	v_mul_f64_e32 v[26:27], v[10:11], v[26:27]
	v_add_f64_e32 v[12:13], v[14:15], v[12:13]
	v_add_f64_e32 v[14:15], v[186:187], v[204:205]
	v_fmac_f64_e32 v[198:199], v[6:7], v[20:21]
	v_fma_f64 v[20:21], v[4:5], v[20:21], -v[22:23]
	v_fmac_f64_e32 v[18:19], v[10:11], v[24:25]
	v_fma_f64 v[8:9], v[8:9], v[24:25], -v[26:27]
	v_add_f64_e32 v[16:17], v[12:13], v[16:17]
	v_add_f64_e32 v[22:23], v[14:15], v[188:189]
	ds_load_b128 v[4:7], v2 offset:1936
	ds_load_b128 v[12:15], v2 offset:1952
	s_wait_loadcnt_dscnt 0x601
	v_mul_f64_e32 v[186:187], v[4:5], v[30:31]
	v_mul_f64_e32 v[30:31], v[6:7], v[30:31]
	v_add_f64_e32 v[10:11], v[16:17], v[20:21]
	v_add_f64_e32 v[16:17], v[22:23], v[198:199]
	s_wait_loadcnt_dscnt 0x500
	v_mul_f64_e32 v[20:21], v[12:13], v[164:165]
	v_mul_f64_e32 v[22:23], v[14:15], v[164:165]
	v_fmac_f64_e32 v[186:187], v[6:7], v[28:29]
	v_fma_f64 v[24:25], v[4:5], v[28:29], -v[30:31]
	v_add_f64_e32 v[26:27], v[10:11], v[8:9]
	v_add_f64_e32 v[16:17], v[16:17], v[18:19]
	ds_load_b128 v[4:7], v2 offset:1968
	ds_load_b128 v[8:11], v2 offset:1984
	v_fmac_f64_e32 v[20:21], v[14:15], v[162:163]
	v_fma_f64 v[12:13], v[12:13], v[162:163], -v[22:23]
	s_wait_loadcnt_dscnt 0x401
	v_mul_f64_e32 v[18:19], v[4:5], v[168:169]
	v_mul_f64_e32 v[28:29], v[6:7], v[168:169]
	s_wait_loadcnt_dscnt 0x300
	v_mul_f64_e32 v[22:23], v[8:9], v[172:173]
	v_add_f64_e32 v[14:15], v[26:27], v[24:25]
	v_add_f64_e32 v[16:17], v[16:17], v[186:187]
	v_mul_f64_e32 v[24:25], v[10:11], v[172:173]
	v_fmac_f64_e32 v[18:19], v[6:7], v[166:167]
	v_fma_f64 v[26:27], v[4:5], v[166:167], -v[28:29]
	v_fmac_f64_e32 v[22:23], v[10:11], v[170:171]
	v_add_f64_e32 v[28:29], v[14:15], v[12:13]
	v_add_f64_e32 v[16:17], v[16:17], v[20:21]
	ds_load_b128 v[4:7], v2 offset:2000
	ds_load_b128 v[12:15], v2 offset:2016
	v_fma_f64 v[8:9], v[8:9], v[170:171], -v[24:25]
	s_wait_loadcnt_dscnt 0x201
	v_mul_f64_e32 v[20:21], v[4:5], v[180:181]
	v_mul_f64_e32 v[30:31], v[6:7], v[180:181]
	s_wait_loadcnt_dscnt 0x100
	v_mul_f64_e32 v[24:25], v[14:15], v[192:193]
	v_add_f64_e32 v[10:11], v[28:29], v[26:27]
	v_add_f64_e32 v[16:17], v[16:17], v[18:19]
	v_mul_f64_e32 v[18:19], v[12:13], v[192:193]
	v_fmac_f64_e32 v[20:21], v[6:7], v[178:179]
	v_fma_f64 v[26:27], v[4:5], v[178:179], -v[30:31]
	ds_load_b128 v[4:7], v2 offset:2032
	v_fma_f64 v[12:13], v[12:13], v[190:191], -v[24:25]
	v_add_f64_e32 v[8:9], v[10:11], v[8:9]
	v_add_f64_e32 v[10:11], v[16:17], v[22:23]
	v_fmac_f64_e32 v[18:19], v[14:15], v[190:191]
	s_wait_loadcnt_dscnt 0x0
	v_mul_f64_e32 v[16:17], v[4:5], v[176:177]
	v_mul_f64_e32 v[22:23], v[6:7], v[176:177]
	v_add_f64_e32 v[8:9], v[8:9], v[26:27]
	v_add_f64_e32 v[10:11], v[10:11], v[20:21]
	s_delay_alu instid0(VALU_DEP_4) | instskip(NEXT) | instid1(VALU_DEP_4)
	v_fmac_f64_e32 v[16:17], v[6:7], v[174:175]
	v_fma_f64 v[4:5], v[4:5], v[174:175], -v[22:23]
	s_delay_alu instid0(VALU_DEP_4) | instskip(NEXT) | instid1(VALU_DEP_4)
	v_add_f64_e32 v[6:7], v[8:9], v[12:13]
	v_add_f64_e32 v[8:9], v[10:11], v[18:19]
	s_delay_alu instid0(VALU_DEP_2) | instskip(NEXT) | instid1(VALU_DEP_2)
	v_add_f64_e32 v[4:5], v[6:7], v[4:5]
	v_add_f64_e32 v[6:7], v[8:9], v[16:17]
	s_delay_alu instid0(VALU_DEP_2) | instskip(NEXT) | instid1(VALU_DEP_2)
	v_add_f64_e64 v[4:5], v[182:183], -v[4:5]
	v_add_f64_e64 v[6:7], v[184:185], -v[6:7]
	scratch_store_b128 off, v[4:7], off offset:416
	s_wait_xcnt 0x0
	v_cmpx_lt_u32_e32 25, v1
	s_cbranch_execz .LBB127_359
; %bb.358:
	scratch_load_b128 v[6:9], off, s57
	v_dual_mov_b32 v3, v2 :: v_dual_mov_b32 v4, v2
	v_mov_b32_e32 v5, v2
	scratch_store_b128 off, v[2:5], off offset:400
	s_wait_loadcnt 0x0
	ds_store_b128 v160, v[6:9]
.LBB127_359:
	s_wait_xcnt 0x0
	s_or_b32 exec_lo, exec_lo, s2
	s_wait_storecnt_dscnt 0x0
	s_barrier_signal -1
	s_barrier_wait -1
	s_clause 0x9
	scratch_load_b128 v[4:7], off, off offset:416
	scratch_load_b128 v[8:11], off, off offset:432
	;; [unrolled: 1-line block ×10, first 2 shown]
	ds_load_b128 v[174:177], v2 offset:1440
	ds_load_b128 v[182:185], v2 offset:1456
	s_clause 0x2
	scratch_load_b128 v[178:181], off, off offset:576
	scratch_load_b128 v[186:189], off, off offset:400
	;; [unrolled: 1-line block ×3, first 2 shown]
	s_mov_b32 s2, exec_lo
	s_wait_loadcnt_dscnt 0xc01
	v_mul_f64_e32 v[194:195], v[176:177], v[6:7]
	v_mul_f64_e32 v[198:199], v[174:175], v[6:7]
	s_wait_loadcnt_dscnt 0xb00
	v_mul_f64_e32 v[200:201], v[182:183], v[10:11]
	v_mul_f64_e32 v[10:11], v[184:185], v[10:11]
	s_delay_alu instid0(VALU_DEP_4) | instskip(NEXT) | instid1(VALU_DEP_4)
	v_fma_f64 v[202:203], v[174:175], v[4:5], -v[194:195]
	v_fmac_f64_e32 v[198:199], v[176:177], v[4:5]
	ds_load_b128 v[4:7], v2 offset:1472
	ds_load_b128 v[174:177], v2 offset:1488
	scratch_load_b128 v[194:197], off, off offset:608
	v_fmac_f64_e32 v[200:201], v[184:185], v[8:9]
	v_fma_f64 v[182:183], v[182:183], v[8:9], -v[10:11]
	scratch_load_b128 v[8:11], off, off offset:624
	s_wait_loadcnt_dscnt 0xc01
	v_mul_f64_e32 v[204:205], v[4:5], v[14:15]
	v_mul_f64_e32 v[14:15], v[6:7], v[14:15]
	v_add_f64_e32 v[184:185], 0, v[202:203]
	v_add_f64_e32 v[198:199], 0, v[198:199]
	s_wait_loadcnt_dscnt 0xb00
	v_mul_f64_e32 v[202:203], v[174:175], v[18:19]
	v_mul_f64_e32 v[18:19], v[176:177], v[18:19]
	v_fmac_f64_e32 v[204:205], v[6:7], v[12:13]
	v_fma_f64 v[206:207], v[4:5], v[12:13], -v[14:15]
	ds_load_b128 v[4:7], v2 offset:1504
	ds_load_b128 v[12:15], v2 offset:1520
	v_add_f64_e32 v[208:209], v[184:185], v[182:183]
	v_add_f64_e32 v[198:199], v[198:199], v[200:201]
	scratch_load_b128 v[182:185], off, off offset:640
	v_fmac_f64_e32 v[202:203], v[176:177], v[16:17]
	v_fma_f64 v[174:175], v[174:175], v[16:17], -v[18:19]
	scratch_load_b128 v[16:19], off, off offset:656
	s_wait_loadcnt_dscnt 0xc01
	v_mul_f64_e32 v[200:201], v[4:5], v[22:23]
	v_mul_f64_e32 v[22:23], v[6:7], v[22:23]
	v_add_f64_e32 v[176:177], v[208:209], v[206:207]
	v_add_f64_e32 v[198:199], v[198:199], v[204:205]
	s_wait_loadcnt_dscnt 0xb00
	v_mul_f64_e32 v[204:205], v[12:13], v[26:27]
	v_mul_f64_e32 v[26:27], v[14:15], v[26:27]
	v_fmac_f64_e32 v[200:201], v[6:7], v[20:21]
	v_fma_f64 v[206:207], v[4:5], v[20:21], -v[22:23]
	ds_load_b128 v[4:7], v2 offset:1536
	ds_load_b128 v[20:23], v2 offset:1552
	v_add_f64_e32 v[208:209], v[176:177], v[174:175]
	v_add_f64_e32 v[198:199], v[198:199], v[202:203]
	scratch_load_b128 v[174:177], off, off offset:672
	s_wait_loadcnt_dscnt 0xb01
	v_mul_f64_e32 v[202:203], v[4:5], v[30:31]
	v_mul_f64_e32 v[30:31], v[6:7], v[30:31]
	v_fmac_f64_e32 v[204:205], v[14:15], v[24:25]
	v_fma_f64 v[24:25], v[12:13], v[24:25], -v[26:27]
	scratch_load_b128 v[12:15], off, off offset:688
	v_add_f64_e32 v[26:27], v[208:209], v[206:207]
	v_add_f64_e32 v[198:199], v[198:199], v[200:201]
	s_wait_loadcnt_dscnt 0xb00
	v_mul_f64_e32 v[200:201], v[20:21], v[164:165]
	v_mul_f64_e32 v[164:165], v[22:23], v[164:165]
	v_fmac_f64_e32 v[202:203], v[6:7], v[28:29]
	v_fma_f64 v[206:207], v[4:5], v[28:29], -v[30:31]
	v_add_f64_e32 v[208:209], v[26:27], v[24:25]
	v_add_f64_e32 v[198:199], v[198:199], v[204:205]
	ds_load_b128 v[4:7], v2 offset:1568
	ds_load_b128 v[24:27], v2 offset:1584
	scratch_load_b128 v[28:31], off, off offset:704
	v_fmac_f64_e32 v[200:201], v[22:23], v[162:163]
	v_fma_f64 v[162:163], v[20:21], v[162:163], -v[164:165]
	scratch_load_b128 v[20:23], off, off offset:720
	s_wait_loadcnt_dscnt 0xc01
	v_mul_f64_e32 v[204:205], v[4:5], v[168:169]
	v_mul_f64_e32 v[168:169], v[6:7], v[168:169]
	v_add_f64_e32 v[164:165], v[208:209], v[206:207]
	v_add_f64_e32 v[198:199], v[198:199], v[202:203]
	s_wait_loadcnt_dscnt 0xb00
	v_mul_f64_e32 v[202:203], v[24:25], v[172:173]
	v_mul_f64_e32 v[172:173], v[26:27], v[172:173]
	v_fmac_f64_e32 v[204:205], v[6:7], v[166:167]
	v_fma_f64 v[206:207], v[4:5], v[166:167], -v[168:169]
	v_add_f64_e32 v[208:209], v[164:165], v[162:163]
	v_add_f64_e32 v[198:199], v[198:199], v[200:201]
	ds_load_b128 v[4:7], v2 offset:1600
	ds_load_b128 v[162:165], v2 offset:1616
	scratch_load_b128 v[166:169], off, off offset:736
	v_fmac_f64_e32 v[202:203], v[26:27], v[170:171]
	v_fma_f64 v[170:171], v[24:25], v[170:171], -v[172:173]
	scratch_load_b128 v[24:27], off, off offset:752
	s_wait_loadcnt_dscnt 0xc01
	v_mul_f64_e32 v[200:201], v[4:5], v[180:181]
	v_mul_f64_e32 v[180:181], v[6:7], v[180:181]
	;; [unrolled: 18-line block ×5, first 2 shown]
	v_add_f64_e32 v[192:193], v[208:209], v[206:207]
	v_add_f64_e32 v[198:199], v[198:199], v[204:205]
	s_wait_loadcnt_dscnt 0xa00
	v_mul_f64_e32 v[204:205], v[170:171], v[14:15]
	v_mul_f64_e32 v[14:15], v[172:173], v[14:15]
	v_fmac_f64_e32 v[200:201], v[6:7], v[174:175]
	v_fma_f64 v[206:207], v[4:5], v[174:175], -v[176:177]
	ds_load_b128 v[4:7], v2 offset:1728
	ds_load_b128 v[174:177], v2 offset:1744
	v_add_f64_e32 v[208:209], v[192:193], v[190:191]
	v_add_f64_e32 v[198:199], v[198:199], v[202:203]
	scratch_load_b128 v[190:193], off, off offset:864
	v_fmac_f64_e32 v[204:205], v[172:173], v[12:13]
	v_fma_f64 v[170:171], v[170:171], v[12:13], -v[14:15]
	scratch_load_b128 v[12:15], off, off offset:880
	s_wait_loadcnt_dscnt 0xb01
	v_mul_f64_e32 v[202:203], v[4:5], v[30:31]
	v_mul_f64_e32 v[30:31], v[6:7], v[30:31]
	v_add_f64_e32 v[172:173], v[208:209], v[206:207]
	v_add_f64_e32 v[198:199], v[198:199], v[200:201]
	s_wait_loadcnt_dscnt 0xa00
	v_mul_f64_e32 v[200:201], v[174:175], v[22:23]
	v_mul_f64_e32 v[22:23], v[176:177], v[22:23]
	v_fmac_f64_e32 v[202:203], v[6:7], v[28:29]
	v_fma_f64 v[206:207], v[4:5], v[28:29], -v[30:31]
	ds_load_b128 v[4:7], v2 offset:1760
	ds_load_b128 v[28:31], v2 offset:1776
	v_add_f64_e32 v[208:209], v[172:173], v[170:171]
	v_add_f64_e32 v[198:199], v[198:199], v[204:205]
	scratch_load_b128 v[170:173], off, off offset:896
	s_wait_loadcnt_dscnt 0xa01
	v_mul_f64_e32 v[204:205], v[4:5], v[168:169]
	v_mul_f64_e32 v[168:169], v[6:7], v[168:169]
	v_fmac_f64_e32 v[200:201], v[176:177], v[20:21]
	v_fma_f64 v[174:175], v[174:175], v[20:21], -v[22:23]
	scratch_load_b128 v[20:23], off, off offset:912
	v_add_f64_e32 v[176:177], v[208:209], v[206:207]
	v_add_f64_e32 v[198:199], v[198:199], v[202:203]
	s_wait_loadcnt_dscnt 0xa00
	v_mul_f64_e32 v[202:203], v[28:29], v[26:27]
	v_mul_f64_e32 v[26:27], v[30:31], v[26:27]
	v_fmac_f64_e32 v[204:205], v[6:7], v[166:167]
	v_fma_f64 v[206:207], v[4:5], v[166:167], -v[168:169]
	ds_load_b128 v[4:7], v2 offset:1792
	ds_load_b128 v[166:169], v2 offset:1808
	v_add_f64_e32 v[208:209], v[176:177], v[174:175]
	v_add_f64_e32 v[198:199], v[198:199], v[200:201]
	scratch_load_b128 v[174:177], off, off offset:928
	s_wait_loadcnt_dscnt 0xa01
	v_mul_f64_e32 v[200:201], v[4:5], v[180:181]
	v_mul_f64_e32 v[180:181], v[6:7], v[180:181]
	v_fmac_f64_e32 v[202:203], v[30:31], v[24:25]
	v_fma_f64 v[28:29], v[28:29], v[24:25], -v[26:27]
	scratch_load_b128 v[24:27], off, off offset:944
	v_add_f64_e32 v[30:31], v[208:209], v[206:207]
	v_add_f64_e32 v[198:199], v[198:199], v[204:205]
	s_wait_loadcnt_dscnt 0xa00
	v_mul_f64_e32 v[204:205], v[166:167], v[164:165]
	v_mul_f64_e32 v[164:165], v[168:169], v[164:165]
	v_fmac_f64_e32 v[200:201], v[6:7], v[178:179]
	v_fma_f64 v[206:207], v[4:5], v[178:179], -v[180:181]
	v_add_f64_e32 v[208:209], v[30:31], v[28:29]
	v_add_f64_e32 v[198:199], v[198:199], v[202:203]
	ds_load_b128 v[4:7], v2 offset:1824
	ds_load_b128 v[28:31], v2 offset:1840
	scratch_load_b128 v[178:181], off, off offset:960
	v_fmac_f64_e32 v[204:205], v[168:169], v[162:163]
	v_fma_f64 v[166:167], v[166:167], v[162:163], -v[164:165]
	scratch_load_b128 v[162:165], off, off offset:976
	s_wait_loadcnt_dscnt 0xb01
	v_mul_f64_e32 v[202:203], v[4:5], v[196:197]
	v_mul_f64_e32 v[196:197], v[6:7], v[196:197]
	v_add_f64_e32 v[168:169], v[208:209], v[206:207]
	v_add_f64_e32 v[198:199], v[198:199], v[200:201]
	s_wait_loadcnt_dscnt 0xa00
	v_mul_f64_e32 v[200:201], v[28:29], v[10:11]
	v_mul_f64_e32 v[10:11], v[30:31], v[10:11]
	v_fmac_f64_e32 v[202:203], v[6:7], v[194:195]
	v_fma_f64 v[206:207], v[4:5], v[194:195], -v[196:197]
	v_add_f64_e32 v[208:209], v[168:169], v[166:167]
	v_add_f64_e32 v[198:199], v[198:199], v[204:205]
	ds_load_b128 v[4:7], v2 offset:1856
	ds_load_b128 v[166:169], v2 offset:1872
	scratch_load_b128 v[194:197], off, off offset:992
	v_fmac_f64_e32 v[200:201], v[30:31], v[8:9]
	v_fma_f64 v[28:29], v[28:29], v[8:9], -v[10:11]
	scratch_load_b128 v[8:11], off, off offset:1008
	s_wait_loadcnt_dscnt 0xb01
	v_mul_f64_e32 v[204:205], v[4:5], v[184:185]
	v_mul_f64_e32 v[184:185], v[6:7], v[184:185]
	v_add_f64_e32 v[30:31], v[208:209], v[206:207]
	v_add_f64_e32 v[198:199], v[198:199], v[202:203]
	s_wait_loadcnt_dscnt 0xa00
	v_mul_f64_e32 v[202:203], v[166:167], v[18:19]
	v_mul_f64_e32 v[18:19], v[168:169], v[18:19]
	v_fmac_f64_e32 v[204:205], v[6:7], v[182:183]
	v_fma_f64 v[182:183], v[4:5], v[182:183], -v[184:185]
	v_add_f64_e32 v[184:185], v[30:31], v[28:29]
	v_add_f64_e32 v[198:199], v[198:199], v[200:201]
	ds_load_b128 v[4:7], v2 offset:1888
	ds_load_b128 v[28:31], v2 offset:1904
	v_fmac_f64_e32 v[202:203], v[168:169], v[16:17]
	v_fma_f64 v[16:17], v[166:167], v[16:17], -v[18:19]
	s_wait_loadcnt_dscnt 0x901
	v_mul_f64_e32 v[200:201], v[4:5], v[192:193]
	v_mul_f64_e32 v[192:193], v[6:7], v[192:193]
	s_wait_loadcnt_dscnt 0x800
	v_mul_f64_e32 v[168:169], v[28:29], v[14:15]
	v_add_f64_e32 v[18:19], v[184:185], v[182:183]
	v_add_f64_e32 v[166:167], v[198:199], v[204:205]
	v_mul_f64_e32 v[182:183], v[30:31], v[14:15]
	v_fmac_f64_e32 v[200:201], v[6:7], v[190:191]
	v_fma_f64 v[184:185], v[4:5], v[190:191], -v[192:193]
	v_fmac_f64_e32 v[168:169], v[30:31], v[12:13]
	v_add_f64_e32 v[18:19], v[18:19], v[16:17]
	v_add_f64_e32 v[166:167], v[166:167], v[202:203]
	ds_load_b128 v[4:7], v2 offset:1920
	ds_load_b128 v[14:17], v2 offset:1936
	v_fma_f64 v[12:13], v[28:29], v[12:13], -v[182:183]
	s_wait_loadcnt_dscnt 0x701
	v_mul_f64_e32 v[190:191], v[4:5], v[172:173]
	v_mul_f64_e32 v[172:173], v[6:7], v[172:173]
	v_add_f64_e32 v[18:19], v[18:19], v[184:185]
	v_add_f64_e32 v[28:29], v[166:167], v[200:201]
	s_wait_loadcnt_dscnt 0x600
	v_mul_f64_e32 v[166:167], v[14:15], v[22:23]
	v_mul_f64_e32 v[22:23], v[16:17], v[22:23]
	v_fmac_f64_e32 v[190:191], v[6:7], v[170:171]
	v_fma_f64 v[170:171], v[4:5], v[170:171], -v[172:173]
	v_add_f64_e32 v[12:13], v[18:19], v[12:13]
	v_add_f64_e32 v[18:19], v[28:29], v[168:169]
	ds_load_b128 v[4:7], v2 offset:1952
	ds_load_b128 v[28:31], v2 offset:1968
	v_fmac_f64_e32 v[166:167], v[16:17], v[20:21]
	v_fma_f64 v[14:15], v[14:15], v[20:21], -v[22:23]
	s_wait_loadcnt_dscnt 0x501
	v_mul_f64_e32 v[168:169], v[4:5], v[176:177]
	v_mul_f64_e32 v[172:173], v[6:7], v[176:177]
	s_wait_loadcnt_dscnt 0x400
	v_mul_f64_e32 v[20:21], v[30:31], v[26:27]
	v_add_f64_e32 v[12:13], v[12:13], v[170:171]
	v_add_f64_e32 v[16:17], v[18:19], v[190:191]
	v_mul_f64_e32 v[18:19], v[28:29], v[26:27]
	v_fmac_f64_e32 v[168:169], v[6:7], v[174:175]
	v_fma_f64 v[22:23], v[4:5], v[174:175], -v[172:173]
	v_fma_f64 v[20:21], v[28:29], v[24:25], -v[20:21]
	v_add_f64_e32 v[26:27], v[12:13], v[14:15]
	v_add_f64_e32 v[16:17], v[16:17], v[166:167]
	ds_load_b128 v[4:7], v2 offset:1984
	ds_load_b128 v[12:15], v2 offset:2000
	v_fmac_f64_e32 v[18:19], v[30:31], v[24:25]
	s_wait_loadcnt_dscnt 0x301
	v_mul_f64_e32 v[166:167], v[4:5], v[180:181]
	v_mul_f64_e32 v[170:171], v[6:7], v[180:181]
	s_wait_loadcnt_dscnt 0x200
	v_mul_f64_e32 v[24:25], v[12:13], v[164:165]
	v_add_f64_e32 v[22:23], v[26:27], v[22:23]
	v_add_f64_e32 v[16:17], v[16:17], v[168:169]
	v_mul_f64_e32 v[26:27], v[14:15], v[164:165]
	v_fmac_f64_e32 v[166:167], v[6:7], v[178:179]
	v_fma_f64 v[28:29], v[4:5], v[178:179], -v[170:171]
	v_fmac_f64_e32 v[24:25], v[14:15], v[162:163]
	v_add_f64_e32 v[20:21], v[22:23], v[20:21]
	v_add_f64_e32 v[22:23], v[16:17], v[18:19]
	ds_load_b128 v[4:7], v2 offset:2016
	ds_load_b128 v[16:19], v2 offset:2032
	v_fma_f64 v[12:13], v[12:13], v[162:163], -v[26:27]
	s_wait_loadcnt_dscnt 0x101
	v_mul_f64_e32 v[2:3], v[4:5], v[196:197]
	v_mul_f64_e32 v[30:31], v[6:7], v[196:197]
	v_add_f64_e32 v[14:15], v[20:21], v[28:29]
	v_add_f64_e32 v[20:21], v[22:23], v[166:167]
	s_wait_loadcnt_dscnt 0x0
	v_mul_f64_e32 v[22:23], v[16:17], v[10:11]
	v_mul_f64_e32 v[10:11], v[18:19], v[10:11]
	v_fmac_f64_e32 v[2:3], v[6:7], v[194:195]
	v_fma_f64 v[4:5], v[4:5], v[194:195], -v[30:31]
	v_add_f64_e32 v[6:7], v[14:15], v[12:13]
	v_add_f64_e32 v[12:13], v[20:21], v[24:25]
	v_fmac_f64_e32 v[22:23], v[18:19], v[8:9]
	v_fma_f64 v[8:9], v[16:17], v[8:9], -v[10:11]
	s_delay_alu instid0(VALU_DEP_4) | instskip(NEXT) | instid1(VALU_DEP_4)
	v_add_f64_e32 v[4:5], v[6:7], v[4:5]
	v_add_f64_e32 v[2:3], v[12:13], v[2:3]
	s_delay_alu instid0(VALU_DEP_2) | instskip(NEXT) | instid1(VALU_DEP_2)
	v_add_f64_e32 v[4:5], v[4:5], v[8:9]
	v_add_f64_e32 v[6:7], v[2:3], v[22:23]
	s_delay_alu instid0(VALU_DEP_2) | instskip(NEXT) | instid1(VALU_DEP_2)
	v_add_f64_e64 v[2:3], v[186:187], -v[4:5]
	v_add_f64_e64 v[4:5], v[188:189], -v[6:7]
	scratch_store_b128 off, v[2:5], off offset:400
	s_wait_xcnt 0x0
	v_cmpx_lt_u32_e32 24, v1
	s_cbranch_execz .LBB127_361
; %bb.360:
	scratch_load_b128 v[2:5], off, s58
	v_mov_b32_e32 v6, 0
	s_delay_alu instid0(VALU_DEP_1)
	v_dual_mov_b32 v7, v6 :: v_dual_mov_b32 v8, v6
	v_mov_b32_e32 v9, v6
	scratch_store_b128 off, v[6:9], off offset:384
	s_wait_loadcnt 0x0
	ds_store_b128 v160, v[2:5]
.LBB127_361:
	s_wait_xcnt 0x0
	s_or_b32 exec_lo, exec_lo, s2
	s_wait_storecnt_dscnt 0x0
	s_barrier_signal -1
	s_barrier_wait -1
	s_clause 0x9
	scratch_load_b128 v[4:7], off, off offset:400
	scratch_load_b128 v[8:11], off, off offset:416
	;; [unrolled: 1-line block ×10, first 2 shown]
	v_mov_b32_e32 v2, 0
	s_mov_b32 s2, exec_lo
	ds_load_b128 v[174:177], v2 offset:1424
	s_clause 0x2
	scratch_load_b128 v[178:181], off, off offset:560
	scratch_load_b128 v[182:185], off, off offset:384
	;; [unrolled: 1-line block ×3, first 2 shown]
	s_wait_loadcnt_dscnt 0xc00
	v_mul_f64_e32 v[194:195], v[176:177], v[6:7]
	v_mul_f64_e32 v[198:199], v[174:175], v[6:7]
	ds_load_b128 v[186:189], v2 offset:1440
	v_fma_f64 v[202:203], v[174:175], v[4:5], -v[194:195]
	v_fmac_f64_e32 v[198:199], v[176:177], v[4:5]
	ds_load_b128 v[4:7], v2 offset:1456
	s_wait_loadcnt_dscnt 0xb01
	v_mul_f64_e32 v[200:201], v[186:187], v[10:11]
	v_mul_f64_e32 v[10:11], v[188:189], v[10:11]
	scratch_load_b128 v[174:177], off, off offset:592
	ds_load_b128 v[194:197], v2 offset:1472
	s_wait_loadcnt_dscnt 0xb01
	v_mul_f64_e32 v[204:205], v[4:5], v[14:15]
	v_mul_f64_e32 v[14:15], v[6:7], v[14:15]
	v_add_f64_e32 v[198:199], 0, v[198:199]
	v_fmac_f64_e32 v[200:201], v[188:189], v[8:9]
	v_fma_f64 v[186:187], v[186:187], v[8:9], -v[10:11]
	v_add_f64_e32 v[188:189], 0, v[202:203]
	scratch_load_b128 v[8:11], off, off offset:608
	v_fmac_f64_e32 v[204:205], v[6:7], v[12:13]
	v_fma_f64 v[206:207], v[4:5], v[12:13], -v[14:15]
	ds_load_b128 v[4:7], v2 offset:1488
	s_wait_loadcnt_dscnt 0xb01
	v_mul_f64_e32 v[202:203], v[194:195], v[18:19]
	v_mul_f64_e32 v[18:19], v[196:197], v[18:19]
	scratch_load_b128 v[12:15], off, off offset:624
	v_add_f64_e32 v[198:199], v[198:199], v[200:201]
	v_add_f64_e32 v[208:209], v[188:189], v[186:187]
	ds_load_b128 v[186:189], v2 offset:1504
	s_wait_loadcnt_dscnt 0xb01
	v_mul_f64_e32 v[200:201], v[4:5], v[22:23]
	v_mul_f64_e32 v[22:23], v[6:7], v[22:23]
	v_fmac_f64_e32 v[202:203], v[196:197], v[16:17]
	v_fma_f64 v[194:195], v[194:195], v[16:17], -v[18:19]
	scratch_load_b128 v[16:19], off, off offset:640
	v_add_f64_e32 v[198:199], v[198:199], v[204:205]
	v_add_f64_e32 v[196:197], v[208:209], v[206:207]
	v_fmac_f64_e32 v[200:201], v[6:7], v[20:21]
	v_fma_f64 v[206:207], v[4:5], v[20:21], -v[22:23]
	ds_load_b128 v[4:7], v2 offset:1520
	s_wait_loadcnt_dscnt 0xb01
	v_mul_f64_e32 v[204:205], v[186:187], v[26:27]
	v_mul_f64_e32 v[26:27], v[188:189], v[26:27]
	scratch_load_b128 v[20:23], off, off offset:656
	v_add_f64_e32 v[198:199], v[198:199], v[202:203]
	s_wait_loadcnt_dscnt 0xb00
	v_mul_f64_e32 v[202:203], v[4:5], v[30:31]
	v_add_f64_e32 v[208:209], v[196:197], v[194:195]
	v_mul_f64_e32 v[30:31], v[6:7], v[30:31]
	ds_load_b128 v[194:197], v2 offset:1536
	v_fmac_f64_e32 v[204:205], v[188:189], v[24:25]
	v_fma_f64 v[186:187], v[186:187], v[24:25], -v[26:27]
	scratch_load_b128 v[24:27], off, off offset:672
	v_add_f64_e32 v[198:199], v[198:199], v[200:201]
	v_fmac_f64_e32 v[202:203], v[6:7], v[28:29]
	v_add_f64_e32 v[188:189], v[208:209], v[206:207]
	v_fma_f64 v[206:207], v[4:5], v[28:29], -v[30:31]
	ds_load_b128 v[4:7], v2 offset:1552
	s_wait_loadcnt_dscnt 0xb01
	v_mul_f64_e32 v[200:201], v[194:195], v[164:165]
	v_mul_f64_e32 v[164:165], v[196:197], v[164:165]
	scratch_load_b128 v[28:31], off, off offset:688
	v_add_f64_e32 v[198:199], v[198:199], v[204:205]
	s_wait_loadcnt_dscnt 0xb00
	v_mul_f64_e32 v[204:205], v[4:5], v[168:169]
	v_add_f64_e32 v[208:209], v[188:189], v[186:187]
	v_mul_f64_e32 v[168:169], v[6:7], v[168:169]
	ds_load_b128 v[186:189], v2 offset:1568
	v_fmac_f64_e32 v[200:201], v[196:197], v[162:163]
	v_fma_f64 v[194:195], v[194:195], v[162:163], -v[164:165]
	scratch_load_b128 v[162:165], off, off offset:704
	v_add_f64_e32 v[198:199], v[198:199], v[202:203]
	v_fmac_f64_e32 v[204:205], v[6:7], v[166:167]
	v_add_f64_e32 v[196:197], v[208:209], v[206:207]
	;; [unrolled: 18-line block ×3, first 2 shown]
	v_fma_f64 v[206:207], v[4:5], v[178:179], -v[180:181]
	ds_load_b128 v[4:7], v2 offset:1616
	s_wait_loadcnt_dscnt 0xa01
	v_mul_f64_e32 v[204:205], v[194:195], v[192:193]
	v_mul_f64_e32 v[192:193], v[196:197], v[192:193]
	scratch_load_b128 v[178:181], off, off offset:752
	v_add_f64_e32 v[198:199], v[198:199], v[202:203]
	v_add_f64_e32 v[208:209], v[188:189], v[186:187]
	s_wait_loadcnt_dscnt 0xa00
	v_mul_f64_e32 v[202:203], v[4:5], v[176:177]
	v_mul_f64_e32 v[176:177], v[6:7], v[176:177]
	v_fmac_f64_e32 v[204:205], v[196:197], v[190:191]
	v_fma_f64 v[194:195], v[194:195], v[190:191], -v[192:193]
	ds_load_b128 v[186:189], v2 offset:1632
	scratch_load_b128 v[190:193], off, off offset:768
	v_add_f64_e32 v[198:199], v[198:199], v[200:201]
	v_add_f64_e32 v[196:197], v[208:209], v[206:207]
	v_fmac_f64_e32 v[202:203], v[6:7], v[174:175]
	v_fma_f64 v[206:207], v[4:5], v[174:175], -v[176:177]
	ds_load_b128 v[4:7], v2 offset:1648
	s_wait_loadcnt_dscnt 0xa01
	v_mul_f64_e32 v[200:201], v[186:187], v[10:11]
	v_mul_f64_e32 v[10:11], v[188:189], v[10:11]
	scratch_load_b128 v[174:177], off, off offset:784
	v_add_f64_e32 v[198:199], v[198:199], v[204:205]
	s_wait_loadcnt_dscnt 0xa00
	v_mul_f64_e32 v[204:205], v[4:5], v[14:15]
	v_add_f64_e32 v[208:209], v[196:197], v[194:195]
	v_mul_f64_e32 v[14:15], v[6:7], v[14:15]
	ds_load_b128 v[194:197], v2 offset:1664
	v_fmac_f64_e32 v[200:201], v[188:189], v[8:9]
	v_fma_f64 v[186:187], v[186:187], v[8:9], -v[10:11]
	scratch_load_b128 v[8:11], off, off offset:800
	v_add_f64_e32 v[198:199], v[198:199], v[202:203]
	v_fmac_f64_e32 v[204:205], v[6:7], v[12:13]
	v_add_f64_e32 v[188:189], v[208:209], v[206:207]
	v_fma_f64 v[206:207], v[4:5], v[12:13], -v[14:15]
	ds_load_b128 v[4:7], v2 offset:1680
	s_wait_loadcnt_dscnt 0xa01
	v_mul_f64_e32 v[202:203], v[194:195], v[18:19]
	v_mul_f64_e32 v[18:19], v[196:197], v[18:19]
	scratch_load_b128 v[12:15], off, off offset:816
	v_add_f64_e32 v[198:199], v[198:199], v[200:201]
	s_wait_loadcnt_dscnt 0xa00
	v_mul_f64_e32 v[200:201], v[4:5], v[22:23]
	v_add_f64_e32 v[208:209], v[188:189], v[186:187]
	v_mul_f64_e32 v[22:23], v[6:7], v[22:23]
	ds_load_b128 v[186:189], v2 offset:1696
	v_fmac_f64_e32 v[202:203], v[196:197], v[16:17]
	v_fma_f64 v[194:195], v[194:195], v[16:17], -v[18:19]
	scratch_load_b128 v[16:19], off, off offset:832
	v_add_f64_e32 v[198:199], v[198:199], v[204:205]
	v_fmac_f64_e32 v[200:201], v[6:7], v[20:21]
	v_add_f64_e32 v[196:197], v[208:209], v[206:207]
	;; [unrolled: 18-line block ×7, first 2 shown]
	v_fma_f64 v[206:207], v[4:5], v[12:13], -v[14:15]
	ds_load_b128 v[4:7], v2 offset:1872
	s_wait_loadcnt_dscnt 0xa01
	v_mul_f64_e32 v[202:203], v[194:195], v[18:19]
	v_mul_f64_e32 v[18:19], v[196:197], v[18:19]
	scratch_load_b128 v[12:15], off, off offset:1008
	v_add_f64_e32 v[198:199], v[198:199], v[200:201]
	s_wait_loadcnt_dscnt 0xa00
	v_mul_f64_e32 v[200:201], v[4:5], v[22:23]
	v_add_f64_e32 v[208:209], v[188:189], v[186:187]
	v_mul_f64_e32 v[22:23], v[6:7], v[22:23]
	ds_load_b128 v[186:189], v2 offset:1888
	v_fmac_f64_e32 v[202:203], v[196:197], v[16:17]
	v_fma_f64 v[16:17], v[194:195], v[16:17], -v[18:19]
	s_wait_loadcnt_dscnt 0x900
	v_mul_f64_e32 v[196:197], v[186:187], v[26:27]
	v_mul_f64_e32 v[26:27], v[188:189], v[26:27]
	v_add_f64_e32 v[194:195], v[198:199], v[204:205]
	v_fmac_f64_e32 v[200:201], v[6:7], v[20:21]
	v_add_f64_e32 v[18:19], v[208:209], v[206:207]
	v_fma_f64 v[20:21], v[4:5], v[20:21], -v[22:23]
	v_fmac_f64_e32 v[196:197], v[188:189], v[24:25]
	v_fma_f64 v[24:25], v[186:187], v[24:25], -v[26:27]
	v_add_f64_e32 v[194:195], v[194:195], v[202:203]
	v_add_f64_e32 v[22:23], v[18:19], v[16:17]
	ds_load_b128 v[4:7], v2 offset:1904
	ds_load_b128 v[16:19], v2 offset:1920
	s_wait_loadcnt_dscnt 0x801
	v_mul_f64_e32 v[198:199], v[4:5], v[30:31]
	v_mul_f64_e32 v[30:31], v[6:7], v[30:31]
	s_wait_loadcnt_dscnt 0x700
	v_mul_f64_e32 v[26:27], v[16:17], v[164:165]
	v_mul_f64_e32 v[164:165], v[18:19], v[164:165]
	v_add_f64_e32 v[20:21], v[22:23], v[20:21]
	v_add_f64_e32 v[22:23], v[194:195], v[200:201]
	v_fmac_f64_e32 v[198:199], v[6:7], v[28:29]
	v_fma_f64 v[28:29], v[4:5], v[28:29], -v[30:31]
	v_fmac_f64_e32 v[26:27], v[18:19], v[162:163]
	v_fma_f64 v[16:17], v[16:17], v[162:163], -v[164:165]
	v_add_f64_e32 v[24:25], v[20:21], v[24:25]
	v_add_f64_e32 v[30:31], v[22:23], v[196:197]
	ds_load_b128 v[4:7], v2 offset:1936
	ds_load_b128 v[20:23], v2 offset:1952
	s_wait_loadcnt_dscnt 0x601
	v_mul_f64_e32 v[186:187], v[4:5], v[168:169]
	v_mul_f64_e32 v[168:169], v[6:7], v[168:169]
	v_add_f64_e32 v[18:19], v[24:25], v[28:29]
	v_add_f64_e32 v[24:25], v[30:31], v[198:199]
	s_wait_loadcnt_dscnt 0x500
	v_mul_f64_e32 v[28:29], v[20:21], v[172:173]
	v_mul_f64_e32 v[30:31], v[22:23], v[172:173]
	v_fmac_f64_e32 v[186:187], v[6:7], v[166:167]
	v_fma_f64 v[162:163], v[4:5], v[166:167], -v[168:169]
	v_add_f64_e32 v[164:165], v[18:19], v[16:17]
	v_add_f64_e32 v[24:25], v[24:25], v[26:27]
	ds_load_b128 v[4:7], v2 offset:1968
	ds_load_b128 v[16:19], v2 offset:1984
	v_fmac_f64_e32 v[28:29], v[22:23], v[170:171]
	v_fma_f64 v[20:21], v[20:21], v[170:171], -v[30:31]
	s_wait_loadcnt_dscnt 0x401
	v_mul_f64_e32 v[26:27], v[4:5], v[180:181]
	v_mul_f64_e32 v[166:167], v[6:7], v[180:181]
	s_wait_loadcnt_dscnt 0x300
	v_mul_f64_e32 v[30:31], v[16:17], v[192:193]
	v_add_f64_e32 v[22:23], v[164:165], v[162:163]
	v_add_f64_e32 v[24:25], v[24:25], v[186:187]
	v_mul_f64_e32 v[162:163], v[18:19], v[192:193]
	v_fmac_f64_e32 v[26:27], v[6:7], v[178:179]
	v_fma_f64 v[164:165], v[4:5], v[178:179], -v[166:167]
	v_fmac_f64_e32 v[30:31], v[18:19], v[190:191]
	v_add_f64_e32 v[166:167], v[22:23], v[20:21]
	v_add_f64_e32 v[24:25], v[24:25], v[28:29]
	ds_load_b128 v[4:7], v2 offset:2000
	ds_load_b128 v[20:23], v2 offset:2016
	v_fma_f64 v[16:17], v[16:17], v[190:191], -v[162:163]
	s_wait_loadcnt_dscnt 0x201
	v_mul_f64_e32 v[28:29], v[4:5], v[176:177]
	v_mul_f64_e32 v[168:169], v[6:7], v[176:177]
	v_add_f64_e32 v[18:19], v[166:167], v[164:165]
	v_add_f64_e32 v[24:25], v[24:25], v[26:27]
	s_wait_loadcnt_dscnt 0x100
	v_mul_f64_e32 v[26:27], v[20:21], v[10:11]
	v_mul_f64_e32 v[10:11], v[22:23], v[10:11]
	v_fmac_f64_e32 v[28:29], v[6:7], v[174:175]
	v_fma_f64 v[162:163], v[4:5], v[174:175], -v[168:169]
	ds_load_b128 v[4:7], v2 offset:2032
	v_add_f64_e32 v[16:17], v[18:19], v[16:17]
	v_add_f64_e32 v[18:19], v[24:25], v[30:31]
	v_fmac_f64_e32 v[26:27], v[22:23], v[8:9]
	v_fma_f64 v[8:9], v[20:21], v[8:9], -v[10:11]
	s_wait_loadcnt_dscnt 0x0
	v_mul_f64_e32 v[24:25], v[4:5], v[14:15]
	v_mul_f64_e32 v[14:15], v[6:7], v[14:15]
	v_add_f64_e32 v[10:11], v[16:17], v[162:163]
	v_add_f64_e32 v[16:17], v[18:19], v[28:29]
	s_delay_alu instid0(VALU_DEP_4) | instskip(NEXT) | instid1(VALU_DEP_4)
	v_fmac_f64_e32 v[24:25], v[6:7], v[12:13]
	v_fma_f64 v[4:5], v[4:5], v[12:13], -v[14:15]
	s_delay_alu instid0(VALU_DEP_4) | instskip(NEXT) | instid1(VALU_DEP_4)
	v_add_f64_e32 v[6:7], v[10:11], v[8:9]
	v_add_f64_e32 v[8:9], v[16:17], v[26:27]
	s_delay_alu instid0(VALU_DEP_2) | instskip(NEXT) | instid1(VALU_DEP_2)
	v_add_f64_e32 v[4:5], v[6:7], v[4:5]
	v_add_f64_e32 v[6:7], v[8:9], v[24:25]
	s_delay_alu instid0(VALU_DEP_2) | instskip(NEXT) | instid1(VALU_DEP_2)
	v_add_f64_e64 v[4:5], v[182:183], -v[4:5]
	v_add_f64_e64 v[6:7], v[184:185], -v[6:7]
	scratch_store_b128 off, v[4:7], off offset:384
	s_wait_xcnt 0x0
	v_cmpx_lt_u32_e32 23, v1
	s_cbranch_execz .LBB127_363
; %bb.362:
	scratch_load_b128 v[6:9], off, s59
	v_dual_mov_b32 v3, v2 :: v_dual_mov_b32 v4, v2
	v_mov_b32_e32 v5, v2
	scratch_store_b128 off, v[2:5], off offset:368
	s_wait_loadcnt 0x0
	ds_store_b128 v160, v[6:9]
.LBB127_363:
	s_wait_xcnt 0x0
	s_or_b32 exec_lo, exec_lo, s2
	s_wait_storecnt_dscnt 0x0
	s_barrier_signal -1
	s_barrier_wait -1
	s_clause 0x9
	scratch_load_b128 v[4:7], off, off offset:384
	scratch_load_b128 v[8:11], off, off offset:400
	scratch_load_b128 v[12:15], off, off offset:416
	scratch_load_b128 v[16:19], off, off offset:432
	scratch_load_b128 v[20:23], off, off offset:448
	scratch_load_b128 v[24:27], off, off offset:464
	scratch_load_b128 v[28:31], off, off offset:480
	scratch_load_b128 v[162:165], off, off offset:496
	scratch_load_b128 v[166:169], off, off offset:512
	scratch_load_b128 v[170:173], off, off offset:528
	ds_load_b128 v[174:177], v2 offset:1408
	ds_load_b128 v[182:185], v2 offset:1424
	s_clause 0x2
	scratch_load_b128 v[178:181], off, off offset:544
	scratch_load_b128 v[186:189], off, off offset:368
	scratch_load_b128 v[190:193], off, off offset:560
	s_mov_b32 s2, exec_lo
	s_wait_loadcnt_dscnt 0xc01
	v_mul_f64_e32 v[194:195], v[176:177], v[6:7]
	v_mul_f64_e32 v[198:199], v[174:175], v[6:7]
	s_wait_loadcnt_dscnt 0xb00
	v_mul_f64_e32 v[200:201], v[182:183], v[10:11]
	v_mul_f64_e32 v[10:11], v[184:185], v[10:11]
	s_delay_alu instid0(VALU_DEP_4) | instskip(NEXT) | instid1(VALU_DEP_4)
	v_fma_f64 v[202:203], v[174:175], v[4:5], -v[194:195]
	v_fmac_f64_e32 v[198:199], v[176:177], v[4:5]
	ds_load_b128 v[4:7], v2 offset:1440
	ds_load_b128 v[174:177], v2 offset:1456
	scratch_load_b128 v[194:197], off, off offset:576
	v_fmac_f64_e32 v[200:201], v[184:185], v[8:9]
	v_fma_f64 v[182:183], v[182:183], v[8:9], -v[10:11]
	scratch_load_b128 v[8:11], off, off offset:592
	s_wait_loadcnt_dscnt 0xc01
	v_mul_f64_e32 v[204:205], v[4:5], v[14:15]
	v_mul_f64_e32 v[14:15], v[6:7], v[14:15]
	v_add_f64_e32 v[184:185], 0, v[202:203]
	v_add_f64_e32 v[198:199], 0, v[198:199]
	s_wait_loadcnt_dscnt 0xb00
	v_mul_f64_e32 v[202:203], v[174:175], v[18:19]
	v_mul_f64_e32 v[18:19], v[176:177], v[18:19]
	v_fmac_f64_e32 v[204:205], v[6:7], v[12:13]
	v_fma_f64 v[206:207], v[4:5], v[12:13], -v[14:15]
	ds_load_b128 v[4:7], v2 offset:1472
	ds_load_b128 v[12:15], v2 offset:1488
	v_add_f64_e32 v[208:209], v[184:185], v[182:183]
	v_add_f64_e32 v[198:199], v[198:199], v[200:201]
	scratch_load_b128 v[182:185], off, off offset:608
	v_fmac_f64_e32 v[202:203], v[176:177], v[16:17]
	v_fma_f64 v[174:175], v[174:175], v[16:17], -v[18:19]
	scratch_load_b128 v[16:19], off, off offset:624
	s_wait_loadcnt_dscnt 0xc01
	v_mul_f64_e32 v[200:201], v[4:5], v[22:23]
	v_mul_f64_e32 v[22:23], v[6:7], v[22:23]
	v_add_f64_e32 v[176:177], v[208:209], v[206:207]
	v_add_f64_e32 v[198:199], v[198:199], v[204:205]
	s_wait_loadcnt_dscnt 0xb00
	v_mul_f64_e32 v[204:205], v[12:13], v[26:27]
	v_mul_f64_e32 v[26:27], v[14:15], v[26:27]
	v_fmac_f64_e32 v[200:201], v[6:7], v[20:21]
	v_fma_f64 v[206:207], v[4:5], v[20:21], -v[22:23]
	ds_load_b128 v[4:7], v2 offset:1504
	ds_load_b128 v[20:23], v2 offset:1520
	v_add_f64_e32 v[208:209], v[176:177], v[174:175]
	v_add_f64_e32 v[198:199], v[198:199], v[202:203]
	scratch_load_b128 v[174:177], off, off offset:640
	s_wait_loadcnt_dscnt 0xb01
	v_mul_f64_e32 v[202:203], v[4:5], v[30:31]
	v_mul_f64_e32 v[30:31], v[6:7], v[30:31]
	v_fmac_f64_e32 v[204:205], v[14:15], v[24:25]
	v_fma_f64 v[24:25], v[12:13], v[24:25], -v[26:27]
	scratch_load_b128 v[12:15], off, off offset:656
	v_add_f64_e32 v[26:27], v[208:209], v[206:207]
	v_add_f64_e32 v[198:199], v[198:199], v[200:201]
	s_wait_loadcnt_dscnt 0xb00
	v_mul_f64_e32 v[200:201], v[20:21], v[164:165]
	v_mul_f64_e32 v[164:165], v[22:23], v[164:165]
	v_fmac_f64_e32 v[202:203], v[6:7], v[28:29]
	v_fma_f64 v[206:207], v[4:5], v[28:29], -v[30:31]
	v_add_f64_e32 v[208:209], v[26:27], v[24:25]
	v_add_f64_e32 v[198:199], v[198:199], v[204:205]
	ds_load_b128 v[4:7], v2 offset:1536
	ds_load_b128 v[24:27], v2 offset:1552
	scratch_load_b128 v[28:31], off, off offset:672
	v_fmac_f64_e32 v[200:201], v[22:23], v[162:163]
	v_fma_f64 v[162:163], v[20:21], v[162:163], -v[164:165]
	scratch_load_b128 v[20:23], off, off offset:688
	s_wait_loadcnt_dscnt 0xc01
	v_mul_f64_e32 v[204:205], v[4:5], v[168:169]
	v_mul_f64_e32 v[168:169], v[6:7], v[168:169]
	v_add_f64_e32 v[164:165], v[208:209], v[206:207]
	v_add_f64_e32 v[198:199], v[198:199], v[202:203]
	s_wait_loadcnt_dscnt 0xb00
	v_mul_f64_e32 v[202:203], v[24:25], v[172:173]
	v_mul_f64_e32 v[172:173], v[26:27], v[172:173]
	v_fmac_f64_e32 v[204:205], v[6:7], v[166:167]
	v_fma_f64 v[206:207], v[4:5], v[166:167], -v[168:169]
	v_add_f64_e32 v[208:209], v[164:165], v[162:163]
	v_add_f64_e32 v[198:199], v[198:199], v[200:201]
	ds_load_b128 v[4:7], v2 offset:1568
	ds_load_b128 v[162:165], v2 offset:1584
	scratch_load_b128 v[166:169], off, off offset:704
	v_fmac_f64_e32 v[202:203], v[26:27], v[170:171]
	v_fma_f64 v[170:171], v[24:25], v[170:171], -v[172:173]
	scratch_load_b128 v[24:27], off, off offset:720
	s_wait_loadcnt_dscnt 0xc01
	v_mul_f64_e32 v[200:201], v[4:5], v[180:181]
	v_mul_f64_e32 v[180:181], v[6:7], v[180:181]
	;; [unrolled: 18-line block ×5, first 2 shown]
	v_add_f64_e32 v[192:193], v[208:209], v[206:207]
	v_add_f64_e32 v[198:199], v[198:199], v[204:205]
	s_wait_loadcnt_dscnt 0xa00
	v_mul_f64_e32 v[204:205], v[170:171], v[14:15]
	v_mul_f64_e32 v[14:15], v[172:173], v[14:15]
	v_fmac_f64_e32 v[200:201], v[6:7], v[174:175]
	v_fma_f64 v[206:207], v[4:5], v[174:175], -v[176:177]
	ds_load_b128 v[4:7], v2 offset:1696
	ds_load_b128 v[174:177], v2 offset:1712
	v_add_f64_e32 v[208:209], v[192:193], v[190:191]
	v_add_f64_e32 v[198:199], v[198:199], v[202:203]
	scratch_load_b128 v[190:193], off, off offset:832
	v_fmac_f64_e32 v[204:205], v[172:173], v[12:13]
	v_fma_f64 v[170:171], v[170:171], v[12:13], -v[14:15]
	scratch_load_b128 v[12:15], off, off offset:848
	s_wait_loadcnt_dscnt 0xb01
	v_mul_f64_e32 v[202:203], v[4:5], v[30:31]
	v_mul_f64_e32 v[30:31], v[6:7], v[30:31]
	v_add_f64_e32 v[172:173], v[208:209], v[206:207]
	v_add_f64_e32 v[198:199], v[198:199], v[200:201]
	s_wait_loadcnt_dscnt 0xa00
	v_mul_f64_e32 v[200:201], v[174:175], v[22:23]
	v_mul_f64_e32 v[22:23], v[176:177], v[22:23]
	v_fmac_f64_e32 v[202:203], v[6:7], v[28:29]
	v_fma_f64 v[206:207], v[4:5], v[28:29], -v[30:31]
	ds_load_b128 v[4:7], v2 offset:1728
	ds_load_b128 v[28:31], v2 offset:1744
	v_add_f64_e32 v[208:209], v[172:173], v[170:171]
	v_add_f64_e32 v[198:199], v[198:199], v[204:205]
	scratch_load_b128 v[170:173], off, off offset:864
	s_wait_loadcnt_dscnt 0xa01
	v_mul_f64_e32 v[204:205], v[4:5], v[168:169]
	v_mul_f64_e32 v[168:169], v[6:7], v[168:169]
	v_fmac_f64_e32 v[200:201], v[176:177], v[20:21]
	v_fma_f64 v[174:175], v[174:175], v[20:21], -v[22:23]
	scratch_load_b128 v[20:23], off, off offset:880
	v_add_f64_e32 v[176:177], v[208:209], v[206:207]
	v_add_f64_e32 v[198:199], v[198:199], v[202:203]
	s_wait_loadcnt_dscnt 0xa00
	v_mul_f64_e32 v[202:203], v[28:29], v[26:27]
	v_mul_f64_e32 v[26:27], v[30:31], v[26:27]
	v_fmac_f64_e32 v[204:205], v[6:7], v[166:167]
	v_fma_f64 v[206:207], v[4:5], v[166:167], -v[168:169]
	ds_load_b128 v[4:7], v2 offset:1760
	ds_load_b128 v[166:169], v2 offset:1776
	v_add_f64_e32 v[208:209], v[176:177], v[174:175]
	v_add_f64_e32 v[198:199], v[198:199], v[200:201]
	scratch_load_b128 v[174:177], off, off offset:896
	s_wait_loadcnt_dscnt 0xa01
	v_mul_f64_e32 v[200:201], v[4:5], v[180:181]
	v_mul_f64_e32 v[180:181], v[6:7], v[180:181]
	v_fmac_f64_e32 v[202:203], v[30:31], v[24:25]
	v_fma_f64 v[28:29], v[28:29], v[24:25], -v[26:27]
	scratch_load_b128 v[24:27], off, off offset:912
	v_add_f64_e32 v[30:31], v[208:209], v[206:207]
	v_add_f64_e32 v[198:199], v[198:199], v[204:205]
	s_wait_loadcnt_dscnt 0xa00
	v_mul_f64_e32 v[204:205], v[166:167], v[164:165]
	v_mul_f64_e32 v[164:165], v[168:169], v[164:165]
	v_fmac_f64_e32 v[200:201], v[6:7], v[178:179]
	v_fma_f64 v[206:207], v[4:5], v[178:179], -v[180:181]
	v_add_f64_e32 v[208:209], v[30:31], v[28:29]
	v_add_f64_e32 v[198:199], v[198:199], v[202:203]
	ds_load_b128 v[4:7], v2 offset:1792
	ds_load_b128 v[28:31], v2 offset:1808
	scratch_load_b128 v[178:181], off, off offset:928
	v_fmac_f64_e32 v[204:205], v[168:169], v[162:163]
	v_fma_f64 v[166:167], v[166:167], v[162:163], -v[164:165]
	scratch_load_b128 v[162:165], off, off offset:944
	s_wait_loadcnt_dscnt 0xb01
	v_mul_f64_e32 v[202:203], v[4:5], v[196:197]
	v_mul_f64_e32 v[196:197], v[6:7], v[196:197]
	v_add_f64_e32 v[168:169], v[208:209], v[206:207]
	v_add_f64_e32 v[198:199], v[198:199], v[200:201]
	s_wait_loadcnt_dscnt 0xa00
	v_mul_f64_e32 v[200:201], v[28:29], v[10:11]
	v_mul_f64_e32 v[10:11], v[30:31], v[10:11]
	v_fmac_f64_e32 v[202:203], v[6:7], v[194:195]
	v_fma_f64 v[206:207], v[4:5], v[194:195], -v[196:197]
	v_add_f64_e32 v[208:209], v[168:169], v[166:167]
	v_add_f64_e32 v[198:199], v[198:199], v[204:205]
	ds_load_b128 v[4:7], v2 offset:1824
	ds_load_b128 v[166:169], v2 offset:1840
	scratch_load_b128 v[194:197], off, off offset:960
	v_fmac_f64_e32 v[200:201], v[30:31], v[8:9]
	v_fma_f64 v[28:29], v[28:29], v[8:9], -v[10:11]
	scratch_load_b128 v[8:11], off, off offset:976
	s_wait_loadcnt_dscnt 0xb01
	v_mul_f64_e32 v[204:205], v[4:5], v[184:185]
	v_mul_f64_e32 v[184:185], v[6:7], v[184:185]
	;; [unrolled: 18-line block ×3, first 2 shown]
	v_add_f64_e32 v[168:169], v[208:209], v[206:207]
	v_add_f64_e32 v[198:199], v[198:199], v[204:205]
	s_wait_loadcnt_dscnt 0xa00
	v_mul_f64_e32 v[204:205], v[28:29], v[14:15]
	v_mul_f64_e32 v[14:15], v[30:31], v[14:15]
	v_fmac_f64_e32 v[200:201], v[6:7], v[190:191]
	v_fma_f64 v[190:191], v[4:5], v[190:191], -v[192:193]
	v_add_f64_e32 v[192:193], v[168:169], v[166:167]
	v_add_f64_e32 v[198:199], v[198:199], v[202:203]
	ds_load_b128 v[4:7], v2 offset:1888
	ds_load_b128 v[166:169], v2 offset:1904
	v_fmac_f64_e32 v[204:205], v[30:31], v[12:13]
	v_fma_f64 v[12:13], v[28:29], v[12:13], -v[14:15]
	s_wait_loadcnt_dscnt 0x901
	v_mul_f64_e32 v[202:203], v[4:5], v[172:173]
	v_mul_f64_e32 v[172:173], v[6:7], v[172:173]
	s_wait_loadcnt_dscnt 0x800
	v_mul_f64_e32 v[30:31], v[166:167], v[22:23]
	v_mul_f64_e32 v[22:23], v[168:169], v[22:23]
	v_add_f64_e32 v[14:15], v[192:193], v[190:191]
	v_add_f64_e32 v[28:29], v[198:199], v[200:201]
	v_fmac_f64_e32 v[202:203], v[6:7], v[170:171]
	v_fma_f64 v[170:171], v[4:5], v[170:171], -v[172:173]
	v_fmac_f64_e32 v[30:31], v[168:169], v[20:21]
	v_fma_f64 v[20:21], v[166:167], v[20:21], -v[22:23]
	v_add_f64_e32 v[172:173], v[14:15], v[12:13]
	v_add_f64_e32 v[28:29], v[28:29], v[204:205]
	ds_load_b128 v[4:7], v2 offset:1920
	ds_load_b128 v[12:15], v2 offset:1936
	s_wait_loadcnt_dscnt 0x701
	v_mul_f64_e32 v[190:191], v[4:5], v[176:177]
	v_mul_f64_e32 v[176:177], v[6:7], v[176:177]
	s_wait_loadcnt_dscnt 0x600
	v_mul_f64_e32 v[166:167], v[12:13], v[26:27]
	v_mul_f64_e32 v[26:27], v[14:15], v[26:27]
	v_add_f64_e32 v[22:23], v[172:173], v[170:171]
	v_add_f64_e32 v[28:29], v[28:29], v[202:203]
	v_fmac_f64_e32 v[190:191], v[6:7], v[174:175]
	v_fma_f64 v[168:169], v[4:5], v[174:175], -v[176:177]
	v_fmac_f64_e32 v[166:167], v[14:15], v[24:25]
	v_fma_f64 v[12:13], v[12:13], v[24:25], -v[26:27]
	v_add_f64_e32 v[170:171], v[22:23], v[20:21]
	v_add_f64_e32 v[28:29], v[28:29], v[30:31]
	ds_load_b128 v[4:7], v2 offset:1952
	ds_load_b128 v[20:23], v2 offset:1968
	s_wait_loadcnt_dscnt 0x501
	v_mul_f64_e32 v[30:31], v[4:5], v[180:181]
	v_mul_f64_e32 v[172:173], v[6:7], v[180:181]
	s_wait_loadcnt_dscnt 0x400
	v_mul_f64_e32 v[26:27], v[20:21], v[164:165]
	v_add_f64_e32 v[14:15], v[170:171], v[168:169]
	v_add_f64_e32 v[24:25], v[28:29], v[190:191]
	v_mul_f64_e32 v[28:29], v[22:23], v[164:165]
	v_fmac_f64_e32 v[30:31], v[6:7], v[178:179]
	v_fma_f64 v[164:165], v[4:5], v[178:179], -v[172:173]
	v_fmac_f64_e32 v[26:27], v[22:23], v[162:163]
	v_add_f64_e32 v[168:169], v[14:15], v[12:13]
	v_add_f64_e32 v[24:25], v[24:25], v[166:167]
	ds_load_b128 v[4:7], v2 offset:1984
	ds_load_b128 v[12:15], v2 offset:2000
	v_fma_f64 v[20:21], v[20:21], v[162:163], -v[28:29]
	s_wait_loadcnt_dscnt 0x301
	v_mul_f64_e32 v[166:167], v[4:5], v[196:197]
	v_mul_f64_e32 v[170:171], v[6:7], v[196:197]
	s_wait_loadcnt_dscnt 0x200
	v_mul_f64_e32 v[28:29], v[12:13], v[10:11]
	v_mul_f64_e32 v[10:11], v[14:15], v[10:11]
	v_add_f64_e32 v[22:23], v[168:169], v[164:165]
	v_add_f64_e32 v[24:25], v[24:25], v[30:31]
	v_fmac_f64_e32 v[166:167], v[6:7], v[194:195]
	v_fma_f64 v[30:31], v[4:5], v[194:195], -v[170:171]
	v_fmac_f64_e32 v[28:29], v[14:15], v[8:9]
	v_fma_f64 v[8:9], v[12:13], v[8:9], -v[10:11]
	v_add_f64_e32 v[162:163], v[22:23], v[20:21]
	v_add_f64_e32 v[24:25], v[24:25], v[26:27]
	ds_load_b128 v[4:7], v2 offset:2016
	ds_load_b128 v[20:23], v2 offset:2032
	s_wait_loadcnt_dscnt 0x101
	v_mul_f64_e32 v[2:3], v[4:5], v[184:185]
	v_mul_f64_e32 v[26:27], v[6:7], v[184:185]
	s_wait_loadcnt_dscnt 0x0
	v_mul_f64_e32 v[14:15], v[20:21], v[18:19]
	v_mul_f64_e32 v[18:19], v[22:23], v[18:19]
	v_add_f64_e32 v[10:11], v[162:163], v[30:31]
	v_add_f64_e32 v[12:13], v[24:25], v[166:167]
	v_fmac_f64_e32 v[2:3], v[6:7], v[182:183]
	v_fma_f64 v[4:5], v[4:5], v[182:183], -v[26:27]
	v_fmac_f64_e32 v[14:15], v[22:23], v[16:17]
	v_add_f64_e32 v[6:7], v[10:11], v[8:9]
	v_add_f64_e32 v[8:9], v[12:13], v[28:29]
	v_fma_f64 v[10:11], v[20:21], v[16:17], -v[18:19]
	s_delay_alu instid0(VALU_DEP_3) | instskip(NEXT) | instid1(VALU_DEP_3)
	v_add_f64_e32 v[4:5], v[6:7], v[4:5]
	v_add_f64_e32 v[2:3], v[8:9], v[2:3]
	s_delay_alu instid0(VALU_DEP_2) | instskip(NEXT) | instid1(VALU_DEP_2)
	v_add_f64_e32 v[4:5], v[4:5], v[10:11]
	v_add_f64_e32 v[6:7], v[2:3], v[14:15]
	s_delay_alu instid0(VALU_DEP_2) | instskip(NEXT) | instid1(VALU_DEP_2)
	v_add_f64_e64 v[2:3], v[186:187], -v[4:5]
	v_add_f64_e64 v[4:5], v[188:189], -v[6:7]
	scratch_store_b128 off, v[2:5], off offset:368
	s_wait_xcnt 0x0
	v_cmpx_lt_u32_e32 22, v1
	s_cbranch_execz .LBB127_365
; %bb.364:
	scratch_load_b128 v[2:5], off, s60
	v_mov_b32_e32 v6, 0
	s_delay_alu instid0(VALU_DEP_1)
	v_dual_mov_b32 v7, v6 :: v_dual_mov_b32 v8, v6
	v_mov_b32_e32 v9, v6
	scratch_store_b128 off, v[6:9], off offset:352
	s_wait_loadcnt 0x0
	ds_store_b128 v160, v[2:5]
.LBB127_365:
	s_wait_xcnt 0x0
	s_or_b32 exec_lo, exec_lo, s2
	s_wait_storecnt_dscnt 0x0
	s_barrier_signal -1
	s_barrier_wait -1
	s_clause 0x9
	scratch_load_b128 v[4:7], off, off offset:368
	scratch_load_b128 v[8:11], off, off offset:384
	;; [unrolled: 1-line block ×10, first 2 shown]
	v_mov_b32_e32 v2, 0
	s_mov_b32 s2, exec_lo
	ds_load_b128 v[174:177], v2 offset:1392
	s_clause 0x2
	scratch_load_b128 v[178:181], off, off offset:528
	scratch_load_b128 v[182:185], off, off offset:352
	;; [unrolled: 1-line block ×3, first 2 shown]
	s_wait_loadcnt_dscnt 0xc00
	v_mul_f64_e32 v[194:195], v[176:177], v[6:7]
	v_mul_f64_e32 v[198:199], v[174:175], v[6:7]
	ds_load_b128 v[186:189], v2 offset:1408
	v_fma_f64 v[202:203], v[174:175], v[4:5], -v[194:195]
	v_fmac_f64_e32 v[198:199], v[176:177], v[4:5]
	ds_load_b128 v[4:7], v2 offset:1424
	s_wait_loadcnt_dscnt 0xb01
	v_mul_f64_e32 v[200:201], v[186:187], v[10:11]
	v_mul_f64_e32 v[10:11], v[188:189], v[10:11]
	scratch_load_b128 v[174:177], off, off offset:560
	ds_load_b128 v[194:197], v2 offset:1440
	s_wait_loadcnt_dscnt 0xb01
	v_mul_f64_e32 v[204:205], v[4:5], v[14:15]
	v_mul_f64_e32 v[14:15], v[6:7], v[14:15]
	v_add_f64_e32 v[198:199], 0, v[198:199]
	v_fmac_f64_e32 v[200:201], v[188:189], v[8:9]
	v_fma_f64 v[186:187], v[186:187], v[8:9], -v[10:11]
	v_add_f64_e32 v[188:189], 0, v[202:203]
	scratch_load_b128 v[8:11], off, off offset:576
	v_fmac_f64_e32 v[204:205], v[6:7], v[12:13]
	v_fma_f64 v[206:207], v[4:5], v[12:13], -v[14:15]
	ds_load_b128 v[4:7], v2 offset:1456
	s_wait_loadcnt_dscnt 0xb01
	v_mul_f64_e32 v[202:203], v[194:195], v[18:19]
	v_mul_f64_e32 v[18:19], v[196:197], v[18:19]
	scratch_load_b128 v[12:15], off, off offset:592
	v_add_f64_e32 v[198:199], v[198:199], v[200:201]
	v_add_f64_e32 v[208:209], v[188:189], v[186:187]
	ds_load_b128 v[186:189], v2 offset:1472
	s_wait_loadcnt_dscnt 0xb01
	v_mul_f64_e32 v[200:201], v[4:5], v[22:23]
	v_mul_f64_e32 v[22:23], v[6:7], v[22:23]
	v_fmac_f64_e32 v[202:203], v[196:197], v[16:17]
	v_fma_f64 v[194:195], v[194:195], v[16:17], -v[18:19]
	scratch_load_b128 v[16:19], off, off offset:608
	v_add_f64_e32 v[198:199], v[198:199], v[204:205]
	v_add_f64_e32 v[196:197], v[208:209], v[206:207]
	v_fmac_f64_e32 v[200:201], v[6:7], v[20:21]
	v_fma_f64 v[206:207], v[4:5], v[20:21], -v[22:23]
	ds_load_b128 v[4:7], v2 offset:1488
	s_wait_loadcnt_dscnt 0xb01
	v_mul_f64_e32 v[204:205], v[186:187], v[26:27]
	v_mul_f64_e32 v[26:27], v[188:189], v[26:27]
	scratch_load_b128 v[20:23], off, off offset:624
	v_add_f64_e32 v[198:199], v[198:199], v[202:203]
	s_wait_loadcnt_dscnt 0xb00
	v_mul_f64_e32 v[202:203], v[4:5], v[30:31]
	v_add_f64_e32 v[208:209], v[196:197], v[194:195]
	v_mul_f64_e32 v[30:31], v[6:7], v[30:31]
	ds_load_b128 v[194:197], v2 offset:1504
	v_fmac_f64_e32 v[204:205], v[188:189], v[24:25]
	v_fma_f64 v[186:187], v[186:187], v[24:25], -v[26:27]
	scratch_load_b128 v[24:27], off, off offset:640
	v_add_f64_e32 v[198:199], v[198:199], v[200:201]
	v_fmac_f64_e32 v[202:203], v[6:7], v[28:29]
	v_add_f64_e32 v[188:189], v[208:209], v[206:207]
	v_fma_f64 v[206:207], v[4:5], v[28:29], -v[30:31]
	ds_load_b128 v[4:7], v2 offset:1520
	s_wait_loadcnt_dscnt 0xb01
	v_mul_f64_e32 v[200:201], v[194:195], v[164:165]
	v_mul_f64_e32 v[164:165], v[196:197], v[164:165]
	scratch_load_b128 v[28:31], off, off offset:656
	v_add_f64_e32 v[198:199], v[198:199], v[204:205]
	s_wait_loadcnt_dscnt 0xb00
	v_mul_f64_e32 v[204:205], v[4:5], v[168:169]
	v_add_f64_e32 v[208:209], v[188:189], v[186:187]
	v_mul_f64_e32 v[168:169], v[6:7], v[168:169]
	ds_load_b128 v[186:189], v2 offset:1536
	v_fmac_f64_e32 v[200:201], v[196:197], v[162:163]
	v_fma_f64 v[194:195], v[194:195], v[162:163], -v[164:165]
	scratch_load_b128 v[162:165], off, off offset:672
	v_add_f64_e32 v[198:199], v[198:199], v[202:203]
	v_fmac_f64_e32 v[204:205], v[6:7], v[166:167]
	v_add_f64_e32 v[196:197], v[208:209], v[206:207]
	;; [unrolled: 18-line block ×3, first 2 shown]
	v_fma_f64 v[206:207], v[4:5], v[178:179], -v[180:181]
	ds_load_b128 v[4:7], v2 offset:1584
	s_wait_loadcnt_dscnt 0xa01
	v_mul_f64_e32 v[204:205], v[194:195], v[192:193]
	v_mul_f64_e32 v[192:193], v[196:197], v[192:193]
	scratch_load_b128 v[178:181], off, off offset:720
	v_add_f64_e32 v[198:199], v[198:199], v[202:203]
	v_add_f64_e32 v[208:209], v[188:189], v[186:187]
	s_wait_loadcnt_dscnt 0xa00
	v_mul_f64_e32 v[202:203], v[4:5], v[176:177]
	v_mul_f64_e32 v[176:177], v[6:7], v[176:177]
	v_fmac_f64_e32 v[204:205], v[196:197], v[190:191]
	v_fma_f64 v[194:195], v[194:195], v[190:191], -v[192:193]
	ds_load_b128 v[186:189], v2 offset:1600
	scratch_load_b128 v[190:193], off, off offset:736
	v_add_f64_e32 v[198:199], v[198:199], v[200:201]
	v_add_f64_e32 v[196:197], v[208:209], v[206:207]
	v_fmac_f64_e32 v[202:203], v[6:7], v[174:175]
	v_fma_f64 v[206:207], v[4:5], v[174:175], -v[176:177]
	ds_load_b128 v[4:7], v2 offset:1616
	s_wait_loadcnt_dscnt 0xa01
	v_mul_f64_e32 v[200:201], v[186:187], v[10:11]
	v_mul_f64_e32 v[10:11], v[188:189], v[10:11]
	scratch_load_b128 v[174:177], off, off offset:752
	v_add_f64_e32 v[198:199], v[198:199], v[204:205]
	s_wait_loadcnt_dscnt 0xa00
	v_mul_f64_e32 v[204:205], v[4:5], v[14:15]
	v_add_f64_e32 v[208:209], v[196:197], v[194:195]
	v_mul_f64_e32 v[14:15], v[6:7], v[14:15]
	ds_load_b128 v[194:197], v2 offset:1632
	v_fmac_f64_e32 v[200:201], v[188:189], v[8:9]
	v_fma_f64 v[186:187], v[186:187], v[8:9], -v[10:11]
	scratch_load_b128 v[8:11], off, off offset:768
	v_add_f64_e32 v[198:199], v[198:199], v[202:203]
	v_fmac_f64_e32 v[204:205], v[6:7], v[12:13]
	v_add_f64_e32 v[188:189], v[208:209], v[206:207]
	v_fma_f64 v[206:207], v[4:5], v[12:13], -v[14:15]
	ds_load_b128 v[4:7], v2 offset:1648
	s_wait_loadcnt_dscnt 0xa01
	v_mul_f64_e32 v[202:203], v[194:195], v[18:19]
	v_mul_f64_e32 v[18:19], v[196:197], v[18:19]
	scratch_load_b128 v[12:15], off, off offset:784
	v_add_f64_e32 v[198:199], v[198:199], v[200:201]
	s_wait_loadcnt_dscnt 0xa00
	v_mul_f64_e32 v[200:201], v[4:5], v[22:23]
	v_add_f64_e32 v[208:209], v[188:189], v[186:187]
	v_mul_f64_e32 v[22:23], v[6:7], v[22:23]
	ds_load_b128 v[186:189], v2 offset:1664
	v_fmac_f64_e32 v[202:203], v[196:197], v[16:17]
	v_fma_f64 v[194:195], v[194:195], v[16:17], -v[18:19]
	scratch_load_b128 v[16:19], off, off offset:800
	v_add_f64_e32 v[198:199], v[198:199], v[204:205]
	v_fmac_f64_e32 v[200:201], v[6:7], v[20:21]
	v_add_f64_e32 v[196:197], v[208:209], v[206:207]
	;; [unrolled: 18-line block ×8, first 2 shown]
	v_fma_f64 v[206:207], v[4:5], v[20:21], -v[22:23]
	ds_load_b128 v[4:7], v2 offset:1872
	s_wait_loadcnt_dscnt 0xa01
	v_mul_f64_e32 v[204:205], v[186:187], v[26:27]
	v_mul_f64_e32 v[26:27], v[188:189], v[26:27]
	scratch_load_b128 v[20:23], off, off offset:1008
	v_add_f64_e32 v[198:199], v[198:199], v[202:203]
	s_wait_loadcnt_dscnt 0xa00
	v_mul_f64_e32 v[202:203], v[4:5], v[30:31]
	v_add_f64_e32 v[208:209], v[196:197], v[194:195]
	v_mul_f64_e32 v[30:31], v[6:7], v[30:31]
	ds_load_b128 v[194:197], v2 offset:1888
	v_fmac_f64_e32 v[204:205], v[188:189], v[24:25]
	v_fma_f64 v[24:25], v[186:187], v[24:25], -v[26:27]
	s_wait_loadcnt_dscnt 0x900
	v_mul_f64_e32 v[188:189], v[194:195], v[164:165]
	v_mul_f64_e32 v[164:165], v[196:197], v[164:165]
	v_add_f64_e32 v[186:187], v[198:199], v[200:201]
	v_fmac_f64_e32 v[202:203], v[6:7], v[28:29]
	v_add_f64_e32 v[26:27], v[208:209], v[206:207]
	v_fma_f64 v[28:29], v[4:5], v[28:29], -v[30:31]
	v_fmac_f64_e32 v[188:189], v[196:197], v[162:163]
	v_fma_f64 v[162:163], v[194:195], v[162:163], -v[164:165]
	v_add_f64_e32 v[186:187], v[186:187], v[204:205]
	v_add_f64_e32 v[30:31], v[26:27], v[24:25]
	ds_load_b128 v[4:7], v2 offset:1904
	ds_load_b128 v[24:27], v2 offset:1920
	s_wait_loadcnt_dscnt 0x801
	v_mul_f64_e32 v[198:199], v[4:5], v[168:169]
	v_mul_f64_e32 v[168:169], v[6:7], v[168:169]
	s_wait_loadcnt_dscnt 0x700
	v_mul_f64_e32 v[164:165], v[24:25], v[172:173]
	v_mul_f64_e32 v[172:173], v[26:27], v[172:173]
	v_add_f64_e32 v[28:29], v[30:31], v[28:29]
	v_add_f64_e32 v[30:31], v[186:187], v[202:203]
	v_fmac_f64_e32 v[198:199], v[6:7], v[166:167]
	v_fma_f64 v[166:167], v[4:5], v[166:167], -v[168:169]
	v_fmac_f64_e32 v[164:165], v[26:27], v[170:171]
	v_fma_f64 v[24:25], v[24:25], v[170:171], -v[172:173]
	v_add_f64_e32 v[162:163], v[28:29], v[162:163]
	v_add_f64_e32 v[168:169], v[30:31], v[188:189]
	ds_load_b128 v[4:7], v2 offset:1936
	ds_load_b128 v[28:31], v2 offset:1952
	s_wait_loadcnt_dscnt 0x601
	v_mul_f64_e32 v[186:187], v[4:5], v[180:181]
	v_mul_f64_e32 v[180:181], v[6:7], v[180:181]
	v_add_f64_e32 v[26:27], v[162:163], v[166:167]
	v_add_f64_e32 v[162:163], v[168:169], v[198:199]
	s_wait_loadcnt_dscnt 0x500
	v_mul_f64_e32 v[166:167], v[28:29], v[192:193]
	v_mul_f64_e32 v[168:169], v[30:31], v[192:193]
	v_fmac_f64_e32 v[186:187], v[6:7], v[178:179]
	v_fma_f64 v[170:171], v[4:5], v[178:179], -v[180:181]
	v_add_f64_e32 v[172:173], v[26:27], v[24:25]
	v_add_f64_e32 v[162:163], v[162:163], v[164:165]
	ds_load_b128 v[4:7], v2 offset:1968
	ds_load_b128 v[24:27], v2 offset:1984
	v_fmac_f64_e32 v[166:167], v[30:31], v[190:191]
	v_fma_f64 v[28:29], v[28:29], v[190:191], -v[168:169]
	s_wait_loadcnt_dscnt 0x401
	v_mul_f64_e32 v[164:165], v[4:5], v[176:177]
	v_mul_f64_e32 v[176:177], v[6:7], v[176:177]
	s_wait_loadcnt_dscnt 0x300
	v_mul_f64_e32 v[168:169], v[24:25], v[10:11]
	v_mul_f64_e32 v[10:11], v[26:27], v[10:11]
	v_add_f64_e32 v[30:31], v[172:173], v[170:171]
	v_add_f64_e32 v[162:163], v[162:163], v[186:187]
	v_fmac_f64_e32 v[164:165], v[6:7], v[174:175]
	v_fma_f64 v[170:171], v[4:5], v[174:175], -v[176:177]
	v_fmac_f64_e32 v[168:169], v[26:27], v[8:9]
	v_fma_f64 v[8:9], v[24:25], v[8:9], -v[10:11]
	v_add_f64_e32 v[172:173], v[30:31], v[28:29]
	v_add_f64_e32 v[162:163], v[162:163], v[166:167]
	ds_load_b128 v[4:7], v2 offset:2000
	ds_load_b128 v[28:31], v2 offset:2016
	s_wait_loadcnt_dscnt 0x201
	v_mul_f64_e32 v[166:167], v[4:5], v[14:15]
	v_mul_f64_e32 v[14:15], v[6:7], v[14:15]
	s_wait_loadcnt_dscnt 0x100
	v_mul_f64_e32 v[26:27], v[28:29], v[18:19]
	v_mul_f64_e32 v[18:19], v[30:31], v[18:19]
	v_add_f64_e32 v[10:11], v[172:173], v[170:171]
	v_add_f64_e32 v[24:25], v[162:163], v[164:165]
	v_fmac_f64_e32 v[166:167], v[6:7], v[12:13]
	v_fma_f64 v[12:13], v[4:5], v[12:13], -v[14:15]
	ds_load_b128 v[4:7], v2 offset:2032
	v_fmac_f64_e32 v[26:27], v[30:31], v[16:17]
	v_fma_f64 v[16:17], v[28:29], v[16:17], -v[18:19]
	v_add_f64_e32 v[8:9], v[10:11], v[8:9]
	v_add_f64_e32 v[10:11], v[24:25], v[168:169]
	s_wait_loadcnt_dscnt 0x0
	v_mul_f64_e32 v[14:15], v[4:5], v[22:23]
	v_mul_f64_e32 v[22:23], v[6:7], v[22:23]
	s_delay_alu instid0(VALU_DEP_4) | instskip(NEXT) | instid1(VALU_DEP_4)
	v_add_f64_e32 v[8:9], v[8:9], v[12:13]
	v_add_f64_e32 v[10:11], v[10:11], v[166:167]
	s_delay_alu instid0(VALU_DEP_4) | instskip(NEXT) | instid1(VALU_DEP_4)
	v_fmac_f64_e32 v[14:15], v[6:7], v[20:21]
	v_fma_f64 v[4:5], v[4:5], v[20:21], -v[22:23]
	s_delay_alu instid0(VALU_DEP_4) | instskip(NEXT) | instid1(VALU_DEP_4)
	v_add_f64_e32 v[6:7], v[8:9], v[16:17]
	v_add_f64_e32 v[8:9], v[10:11], v[26:27]
	s_delay_alu instid0(VALU_DEP_2) | instskip(NEXT) | instid1(VALU_DEP_2)
	v_add_f64_e32 v[4:5], v[6:7], v[4:5]
	v_add_f64_e32 v[6:7], v[8:9], v[14:15]
	s_delay_alu instid0(VALU_DEP_2) | instskip(NEXT) | instid1(VALU_DEP_2)
	v_add_f64_e64 v[4:5], v[182:183], -v[4:5]
	v_add_f64_e64 v[6:7], v[184:185], -v[6:7]
	scratch_store_b128 off, v[4:7], off offset:352
	s_wait_xcnt 0x0
	v_cmpx_lt_u32_e32 21, v1
	s_cbranch_execz .LBB127_367
; %bb.366:
	scratch_load_b128 v[6:9], off, s61
	v_dual_mov_b32 v3, v2 :: v_dual_mov_b32 v4, v2
	v_mov_b32_e32 v5, v2
	scratch_store_b128 off, v[2:5], off offset:336
	s_wait_loadcnt 0x0
	ds_store_b128 v160, v[6:9]
.LBB127_367:
	s_wait_xcnt 0x0
	s_or_b32 exec_lo, exec_lo, s2
	s_wait_storecnt_dscnt 0x0
	s_barrier_signal -1
	s_barrier_wait -1
	s_clause 0x9
	scratch_load_b128 v[4:7], off, off offset:352
	scratch_load_b128 v[8:11], off, off offset:368
	;; [unrolled: 1-line block ×10, first 2 shown]
	ds_load_b128 v[174:177], v2 offset:1376
	ds_load_b128 v[182:185], v2 offset:1392
	s_clause 0x2
	scratch_load_b128 v[178:181], off, off offset:512
	scratch_load_b128 v[186:189], off, off offset:336
	;; [unrolled: 1-line block ×3, first 2 shown]
	s_mov_b32 s2, exec_lo
	s_wait_loadcnt_dscnt 0xc01
	v_mul_f64_e32 v[194:195], v[176:177], v[6:7]
	v_mul_f64_e32 v[198:199], v[174:175], v[6:7]
	s_wait_loadcnt_dscnt 0xb00
	v_mul_f64_e32 v[200:201], v[182:183], v[10:11]
	v_mul_f64_e32 v[10:11], v[184:185], v[10:11]
	s_delay_alu instid0(VALU_DEP_4) | instskip(NEXT) | instid1(VALU_DEP_4)
	v_fma_f64 v[202:203], v[174:175], v[4:5], -v[194:195]
	v_fmac_f64_e32 v[198:199], v[176:177], v[4:5]
	ds_load_b128 v[4:7], v2 offset:1408
	ds_load_b128 v[174:177], v2 offset:1424
	scratch_load_b128 v[194:197], off, off offset:544
	v_fmac_f64_e32 v[200:201], v[184:185], v[8:9]
	v_fma_f64 v[182:183], v[182:183], v[8:9], -v[10:11]
	scratch_load_b128 v[8:11], off, off offset:560
	s_wait_loadcnt_dscnt 0xc01
	v_mul_f64_e32 v[204:205], v[4:5], v[14:15]
	v_mul_f64_e32 v[14:15], v[6:7], v[14:15]
	v_add_f64_e32 v[184:185], 0, v[202:203]
	v_add_f64_e32 v[198:199], 0, v[198:199]
	s_wait_loadcnt_dscnt 0xb00
	v_mul_f64_e32 v[202:203], v[174:175], v[18:19]
	v_mul_f64_e32 v[18:19], v[176:177], v[18:19]
	v_fmac_f64_e32 v[204:205], v[6:7], v[12:13]
	v_fma_f64 v[206:207], v[4:5], v[12:13], -v[14:15]
	ds_load_b128 v[4:7], v2 offset:1440
	ds_load_b128 v[12:15], v2 offset:1456
	v_add_f64_e32 v[208:209], v[184:185], v[182:183]
	v_add_f64_e32 v[198:199], v[198:199], v[200:201]
	scratch_load_b128 v[182:185], off, off offset:576
	v_fmac_f64_e32 v[202:203], v[176:177], v[16:17]
	v_fma_f64 v[174:175], v[174:175], v[16:17], -v[18:19]
	scratch_load_b128 v[16:19], off, off offset:592
	s_wait_loadcnt_dscnt 0xc01
	v_mul_f64_e32 v[200:201], v[4:5], v[22:23]
	v_mul_f64_e32 v[22:23], v[6:7], v[22:23]
	v_add_f64_e32 v[176:177], v[208:209], v[206:207]
	v_add_f64_e32 v[198:199], v[198:199], v[204:205]
	s_wait_loadcnt_dscnt 0xb00
	v_mul_f64_e32 v[204:205], v[12:13], v[26:27]
	v_mul_f64_e32 v[26:27], v[14:15], v[26:27]
	v_fmac_f64_e32 v[200:201], v[6:7], v[20:21]
	v_fma_f64 v[206:207], v[4:5], v[20:21], -v[22:23]
	ds_load_b128 v[4:7], v2 offset:1472
	ds_load_b128 v[20:23], v2 offset:1488
	v_add_f64_e32 v[208:209], v[176:177], v[174:175]
	v_add_f64_e32 v[198:199], v[198:199], v[202:203]
	scratch_load_b128 v[174:177], off, off offset:608
	s_wait_loadcnt_dscnt 0xb01
	v_mul_f64_e32 v[202:203], v[4:5], v[30:31]
	v_mul_f64_e32 v[30:31], v[6:7], v[30:31]
	v_fmac_f64_e32 v[204:205], v[14:15], v[24:25]
	v_fma_f64 v[24:25], v[12:13], v[24:25], -v[26:27]
	scratch_load_b128 v[12:15], off, off offset:624
	v_add_f64_e32 v[26:27], v[208:209], v[206:207]
	v_add_f64_e32 v[198:199], v[198:199], v[200:201]
	s_wait_loadcnt_dscnt 0xb00
	v_mul_f64_e32 v[200:201], v[20:21], v[164:165]
	v_mul_f64_e32 v[164:165], v[22:23], v[164:165]
	v_fmac_f64_e32 v[202:203], v[6:7], v[28:29]
	v_fma_f64 v[206:207], v[4:5], v[28:29], -v[30:31]
	v_add_f64_e32 v[208:209], v[26:27], v[24:25]
	v_add_f64_e32 v[198:199], v[198:199], v[204:205]
	ds_load_b128 v[4:7], v2 offset:1504
	ds_load_b128 v[24:27], v2 offset:1520
	scratch_load_b128 v[28:31], off, off offset:640
	v_fmac_f64_e32 v[200:201], v[22:23], v[162:163]
	v_fma_f64 v[162:163], v[20:21], v[162:163], -v[164:165]
	scratch_load_b128 v[20:23], off, off offset:656
	s_wait_loadcnt_dscnt 0xc01
	v_mul_f64_e32 v[204:205], v[4:5], v[168:169]
	v_mul_f64_e32 v[168:169], v[6:7], v[168:169]
	v_add_f64_e32 v[164:165], v[208:209], v[206:207]
	v_add_f64_e32 v[198:199], v[198:199], v[202:203]
	s_wait_loadcnt_dscnt 0xb00
	v_mul_f64_e32 v[202:203], v[24:25], v[172:173]
	v_mul_f64_e32 v[172:173], v[26:27], v[172:173]
	v_fmac_f64_e32 v[204:205], v[6:7], v[166:167]
	v_fma_f64 v[206:207], v[4:5], v[166:167], -v[168:169]
	v_add_f64_e32 v[208:209], v[164:165], v[162:163]
	v_add_f64_e32 v[198:199], v[198:199], v[200:201]
	ds_load_b128 v[4:7], v2 offset:1536
	ds_load_b128 v[162:165], v2 offset:1552
	scratch_load_b128 v[166:169], off, off offset:672
	v_fmac_f64_e32 v[202:203], v[26:27], v[170:171]
	v_fma_f64 v[170:171], v[24:25], v[170:171], -v[172:173]
	scratch_load_b128 v[24:27], off, off offset:688
	s_wait_loadcnt_dscnt 0xc01
	v_mul_f64_e32 v[200:201], v[4:5], v[180:181]
	v_mul_f64_e32 v[180:181], v[6:7], v[180:181]
	;; [unrolled: 18-line block ×5, first 2 shown]
	v_add_f64_e32 v[192:193], v[208:209], v[206:207]
	v_add_f64_e32 v[198:199], v[198:199], v[204:205]
	s_wait_loadcnt_dscnt 0xa00
	v_mul_f64_e32 v[204:205], v[170:171], v[14:15]
	v_mul_f64_e32 v[14:15], v[172:173], v[14:15]
	v_fmac_f64_e32 v[200:201], v[6:7], v[174:175]
	v_fma_f64 v[206:207], v[4:5], v[174:175], -v[176:177]
	ds_load_b128 v[4:7], v2 offset:1664
	ds_load_b128 v[174:177], v2 offset:1680
	v_add_f64_e32 v[208:209], v[192:193], v[190:191]
	v_add_f64_e32 v[198:199], v[198:199], v[202:203]
	scratch_load_b128 v[190:193], off, off offset:800
	v_fmac_f64_e32 v[204:205], v[172:173], v[12:13]
	v_fma_f64 v[170:171], v[170:171], v[12:13], -v[14:15]
	scratch_load_b128 v[12:15], off, off offset:816
	s_wait_loadcnt_dscnt 0xb01
	v_mul_f64_e32 v[202:203], v[4:5], v[30:31]
	v_mul_f64_e32 v[30:31], v[6:7], v[30:31]
	v_add_f64_e32 v[172:173], v[208:209], v[206:207]
	v_add_f64_e32 v[198:199], v[198:199], v[200:201]
	s_wait_loadcnt_dscnt 0xa00
	v_mul_f64_e32 v[200:201], v[174:175], v[22:23]
	v_mul_f64_e32 v[22:23], v[176:177], v[22:23]
	v_fmac_f64_e32 v[202:203], v[6:7], v[28:29]
	v_fma_f64 v[206:207], v[4:5], v[28:29], -v[30:31]
	ds_load_b128 v[4:7], v2 offset:1696
	ds_load_b128 v[28:31], v2 offset:1712
	v_add_f64_e32 v[208:209], v[172:173], v[170:171]
	v_add_f64_e32 v[198:199], v[198:199], v[204:205]
	scratch_load_b128 v[170:173], off, off offset:832
	s_wait_loadcnt_dscnt 0xa01
	v_mul_f64_e32 v[204:205], v[4:5], v[168:169]
	v_mul_f64_e32 v[168:169], v[6:7], v[168:169]
	v_fmac_f64_e32 v[200:201], v[176:177], v[20:21]
	v_fma_f64 v[174:175], v[174:175], v[20:21], -v[22:23]
	scratch_load_b128 v[20:23], off, off offset:848
	v_add_f64_e32 v[176:177], v[208:209], v[206:207]
	v_add_f64_e32 v[198:199], v[198:199], v[202:203]
	s_wait_loadcnt_dscnt 0xa00
	v_mul_f64_e32 v[202:203], v[28:29], v[26:27]
	v_mul_f64_e32 v[26:27], v[30:31], v[26:27]
	v_fmac_f64_e32 v[204:205], v[6:7], v[166:167]
	v_fma_f64 v[206:207], v[4:5], v[166:167], -v[168:169]
	ds_load_b128 v[4:7], v2 offset:1728
	ds_load_b128 v[166:169], v2 offset:1744
	v_add_f64_e32 v[208:209], v[176:177], v[174:175]
	v_add_f64_e32 v[198:199], v[198:199], v[200:201]
	scratch_load_b128 v[174:177], off, off offset:864
	s_wait_loadcnt_dscnt 0xa01
	v_mul_f64_e32 v[200:201], v[4:5], v[180:181]
	v_mul_f64_e32 v[180:181], v[6:7], v[180:181]
	v_fmac_f64_e32 v[202:203], v[30:31], v[24:25]
	v_fma_f64 v[28:29], v[28:29], v[24:25], -v[26:27]
	scratch_load_b128 v[24:27], off, off offset:880
	v_add_f64_e32 v[30:31], v[208:209], v[206:207]
	v_add_f64_e32 v[198:199], v[198:199], v[204:205]
	s_wait_loadcnt_dscnt 0xa00
	v_mul_f64_e32 v[204:205], v[166:167], v[164:165]
	v_mul_f64_e32 v[164:165], v[168:169], v[164:165]
	v_fmac_f64_e32 v[200:201], v[6:7], v[178:179]
	v_fma_f64 v[206:207], v[4:5], v[178:179], -v[180:181]
	v_add_f64_e32 v[208:209], v[30:31], v[28:29]
	v_add_f64_e32 v[198:199], v[198:199], v[202:203]
	ds_load_b128 v[4:7], v2 offset:1760
	ds_load_b128 v[28:31], v2 offset:1776
	scratch_load_b128 v[178:181], off, off offset:896
	v_fmac_f64_e32 v[204:205], v[168:169], v[162:163]
	v_fma_f64 v[166:167], v[166:167], v[162:163], -v[164:165]
	scratch_load_b128 v[162:165], off, off offset:912
	s_wait_loadcnt_dscnt 0xb01
	v_mul_f64_e32 v[202:203], v[4:5], v[196:197]
	v_mul_f64_e32 v[196:197], v[6:7], v[196:197]
	v_add_f64_e32 v[168:169], v[208:209], v[206:207]
	v_add_f64_e32 v[198:199], v[198:199], v[200:201]
	s_wait_loadcnt_dscnt 0xa00
	v_mul_f64_e32 v[200:201], v[28:29], v[10:11]
	v_mul_f64_e32 v[10:11], v[30:31], v[10:11]
	v_fmac_f64_e32 v[202:203], v[6:7], v[194:195]
	v_fma_f64 v[206:207], v[4:5], v[194:195], -v[196:197]
	v_add_f64_e32 v[208:209], v[168:169], v[166:167]
	v_add_f64_e32 v[198:199], v[198:199], v[204:205]
	ds_load_b128 v[4:7], v2 offset:1792
	ds_load_b128 v[166:169], v2 offset:1808
	scratch_load_b128 v[194:197], off, off offset:928
	v_fmac_f64_e32 v[200:201], v[30:31], v[8:9]
	v_fma_f64 v[28:29], v[28:29], v[8:9], -v[10:11]
	scratch_load_b128 v[8:11], off, off offset:944
	s_wait_loadcnt_dscnt 0xb01
	v_mul_f64_e32 v[204:205], v[4:5], v[184:185]
	v_mul_f64_e32 v[184:185], v[6:7], v[184:185]
	;; [unrolled: 18-line block ×4, first 2 shown]
	v_add_f64_e32 v[30:31], v[208:209], v[206:207]
	v_add_f64_e32 v[198:199], v[198:199], v[200:201]
	s_wait_loadcnt_dscnt 0xa00
	v_mul_f64_e32 v[200:201], v[166:167], v[22:23]
	v_mul_f64_e32 v[22:23], v[168:169], v[22:23]
	v_fmac_f64_e32 v[202:203], v[6:7], v[170:171]
	v_fma_f64 v[170:171], v[4:5], v[170:171], -v[172:173]
	v_add_f64_e32 v[172:173], v[30:31], v[28:29]
	v_add_f64_e32 v[198:199], v[198:199], v[204:205]
	ds_load_b128 v[4:7], v2 offset:1888
	ds_load_b128 v[28:31], v2 offset:1904
	v_fmac_f64_e32 v[200:201], v[168:169], v[20:21]
	v_fma_f64 v[20:21], v[166:167], v[20:21], -v[22:23]
	s_wait_loadcnt_dscnt 0x901
	v_mul_f64_e32 v[204:205], v[4:5], v[176:177]
	v_mul_f64_e32 v[176:177], v[6:7], v[176:177]
	s_wait_loadcnt_dscnt 0x800
	v_mul_f64_e32 v[168:169], v[28:29], v[26:27]
	v_mul_f64_e32 v[26:27], v[30:31], v[26:27]
	v_add_f64_e32 v[22:23], v[172:173], v[170:171]
	v_add_f64_e32 v[166:167], v[198:199], v[202:203]
	v_fmac_f64_e32 v[204:205], v[6:7], v[174:175]
	v_fma_f64 v[170:171], v[4:5], v[174:175], -v[176:177]
	v_fmac_f64_e32 v[168:169], v[30:31], v[24:25]
	v_fma_f64 v[24:25], v[28:29], v[24:25], -v[26:27]
	v_add_f64_e32 v[172:173], v[22:23], v[20:21]
	v_add_f64_e32 v[166:167], v[166:167], v[200:201]
	ds_load_b128 v[4:7], v2 offset:1920
	ds_load_b128 v[20:23], v2 offset:1936
	s_wait_loadcnt_dscnt 0x701
	v_mul_f64_e32 v[174:175], v[4:5], v[180:181]
	v_mul_f64_e32 v[176:177], v[6:7], v[180:181]
	s_wait_loadcnt_dscnt 0x600
	v_mul_f64_e32 v[30:31], v[20:21], v[164:165]
	v_mul_f64_e32 v[164:165], v[22:23], v[164:165]
	v_add_f64_e32 v[26:27], v[172:173], v[170:171]
	v_add_f64_e32 v[28:29], v[166:167], v[204:205]
	v_fmac_f64_e32 v[174:175], v[6:7], v[178:179]
	v_fma_f64 v[166:167], v[4:5], v[178:179], -v[176:177]
	v_fmac_f64_e32 v[30:31], v[22:23], v[162:163]
	v_fma_f64 v[20:21], v[20:21], v[162:163], -v[164:165]
	v_add_f64_e32 v[170:171], v[26:27], v[24:25]
	v_add_f64_e32 v[28:29], v[28:29], v[168:169]
	ds_load_b128 v[4:7], v2 offset:1952
	ds_load_b128 v[24:27], v2 offset:1968
	;; [unrolled: 16-line block ×4, first 2 shown]
	s_wait_loadcnt_dscnt 0x101
	v_mul_f64_e32 v[2:3], v[4:5], v[192:193]
	v_mul_f64_e32 v[162:163], v[6:7], v[192:193]
	s_wait_loadcnt_dscnt 0x0
	v_mul_f64_e32 v[22:23], v[8:9], v[14:15]
	v_mul_f64_e32 v[14:15], v[10:11], v[14:15]
	v_add_f64_e32 v[18:19], v[164:165], v[28:29]
	v_add_f64_e32 v[20:21], v[24:25], v[30:31]
	v_fmac_f64_e32 v[2:3], v[6:7], v[190:191]
	v_fma_f64 v[4:5], v[4:5], v[190:191], -v[162:163]
	v_fmac_f64_e32 v[22:23], v[10:11], v[12:13]
	v_fma_f64 v[8:9], v[8:9], v[12:13], -v[14:15]
	v_add_f64_e32 v[6:7], v[18:19], v[16:17]
	v_add_f64_e32 v[16:17], v[20:21], v[26:27]
	s_delay_alu instid0(VALU_DEP_2) | instskip(NEXT) | instid1(VALU_DEP_2)
	v_add_f64_e32 v[4:5], v[6:7], v[4:5]
	v_add_f64_e32 v[2:3], v[16:17], v[2:3]
	s_delay_alu instid0(VALU_DEP_2) | instskip(NEXT) | instid1(VALU_DEP_2)
	;; [unrolled: 3-line block ×3, first 2 shown]
	v_add_f64_e64 v[2:3], v[186:187], -v[4:5]
	v_add_f64_e64 v[4:5], v[188:189], -v[6:7]
	scratch_store_b128 off, v[2:5], off offset:336
	s_wait_xcnt 0x0
	v_cmpx_lt_u32_e32 20, v1
	s_cbranch_execz .LBB127_369
; %bb.368:
	scratch_load_b128 v[2:5], off, s62
	v_mov_b32_e32 v6, 0
	s_delay_alu instid0(VALU_DEP_1)
	v_dual_mov_b32 v7, v6 :: v_dual_mov_b32 v8, v6
	v_mov_b32_e32 v9, v6
	scratch_store_b128 off, v[6:9], off offset:320
	s_wait_loadcnt 0x0
	ds_store_b128 v160, v[2:5]
.LBB127_369:
	s_wait_xcnt 0x0
	s_or_b32 exec_lo, exec_lo, s2
	s_wait_storecnt_dscnt 0x0
	s_barrier_signal -1
	s_barrier_wait -1
	s_clause 0x9
	scratch_load_b128 v[4:7], off, off offset:336
	scratch_load_b128 v[8:11], off, off offset:352
	;; [unrolled: 1-line block ×10, first 2 shown]
	v_mov_b32_e32 v2, 0
	s_mov_b32 s2, exec_lo
	ds_load_b128 v[174:177], v2 offset:1360
	s_clause 0x2
	scratch_load_b128 v[178:181], off, off offset:496
	scratch_load_b128 v[182:185], off, off offset:320
	;; [unrolled: 1-line block ×3, first 2 shown]
	s_wait_loadcnt_dscnt 0xc00
	v_mul_f64_e32 v[194:195], v[176:177], v[6:7]
	v_mul_f64_e32 v[198:199], v[174:175], v[6:7]
	ds_load_b128 v[186:189], v2 offset:1376
	v_fma_f64 v[202:203], v[174:175], v[4:5], -v[194:195]
	v_fmac_f64_e32 v[198:199], v[176:177], v[4:5]
	ds_load_b128 v[4:7], v2 offset:1392
	s_wait_loadcnt_dscnt 0xb01
	v_mul_f64_e32 v[200:201], v[186:187], v[10:11]
	v_mul_f64_e32 v[10:11], v[188:189], v[10:11]
	scratch_load_b128 v[174:177], off, off offset:528
	ds_load_b128 v[194:197], v2 offset:1408
	s_wait_loadcnt_dscnt 0xb01
	v_mul_f64_e32 v[204:205], v[4:5], v[14:15]
	v_mul_f64_e32 v[14:15], v[6:7], v[14:15]
	v_add_f64_e32 v[198:199], 0, v[198:199]
	v_fmac_f64_e32 v[200:201], v[188:189], v[8:9]
	v_fma_f64 v[186:187], v[186:187], v[8:9], -v[10:11]
	v_add_f64_e32 v[188:189], 0, v[202:203]
	scratch_load_b128 v[8:11], off, off offset:544
	v_fmac_f64_e32 v[204:205], v[6:7], v[12:13]
	v_fma_f64 v[206:207], v[4:5], v[12:13], -v[14:15]
	ds_load_b128 v[4:7], v2 offset:1424
	s_wait_loadcnt_dscnt 0xb01
	v_mul_f64_e32 v[202:203], v[194:195], v[18:19]
	v_mul_f64_e32 v[18:19], v[196:197], v[18:19]
	scratch_load_b128 v[12:15], off, off offset:560
	v_add_f64_e32 v[198:199], v[198:199], v[200:201]
	v_add_f64_e32 v[208:209], v[188:189], v[186:187]
	ds_load_b128 v[186:189], v2 offset:1440
	s_wait_loadcnt_dscnt 0xb01
	v_mul_f64_e32 v[200:201], v[4:5], v[22:23]
	v_mul_f64_e32 v[22:23], v[6:7], v[22:23]
	v_fmac_f64_e32 v[202:203], v[196:197], v[16:17]
	v_fma_f64 v[194:195], v[194:195], v[16:17], -v[18:19]
	scratch_load_b128 v[16:19], off, off offset:576
	v_add_f64_e32 v[198:199], v[198:199], v[204:205]
	v_add_f64_e32 v[196:197], v[208:209], v[206:207]
	v_fmac_f64_e32 v[200:201], v[6:7], v[20:21]
	v_fma_f64 v[206:207], v[4:5], v[20:21], -v[22:23]
	ds_load_b128 v[4:7], v2 offset:1456
	s_wait_loadcnt_dscnt 0xb01
	v_mul_f64_e32 v[204:205], v[186:187], v[26:27]
	v_mul_f64_e32 v[26:27], v[188:189], v[26:27]
	scratch_load_b128 v[20:23], off, off offset:592
	v_add_f64_e32 v[198:199], v[198:199], v[202:203]
	s_wait_loadcnt_dscnt 0xb00
	v_mul_f64_e32 v[202:203], v[4:5], v[30:31]
	v_add_f64_e32 v[208:209], v[196:197], v[194:195]
	v_mul_f64_e32 v[30:31], v[6:7], v[30:31]
	ds_load_b128 v[194:197], v2 offset:1472
	v_fmac_f64_e32 v[204:205], v[188:189], v[24:25]
	v_fma_f64 v[186:187], v[186:187], v[24:25], -v[26:27]
	scratch_load_b128 v[24:27], off, off offset:608
	v_add_f64_e32 v[198:199], v[198:199], v[200:201]
	v_fmac_f64_e32 v[202:203], v[6:7], v[28:29]
	v_add_f64_e32 v[188:189], v[208:209], v[206:207]
	v_fma_f64 v[206:207], v[4:5], v[28:29], -v[30:31]
	ds_load_b128 v[4:7], v2 offset:1488
	s_wait_loadcnt_dscnt 0xb01
	v_mul_f64_e32 v[200:201], v[194:195], v[164:165]
	v_mul_f64_e32 v[164:165], v[196:197], v[164:165]
	scratch_load_b128 v[28:31], off, off offset:624
	v_add_f64_e32 v[198:199], v[198:199], v[204:205]
	s_wait_loadcnt_dscnt 0xb00
	v_mul_f64_e32 v[204:205], v[4:5], v[168:169]
	v_add_f64_e32 v[208:209], v[188:189], v[186:187]
	v_mul_f64_e32 v[168:169], v[6:7], v[168:169]
	ds_load_b128 v[186:189], v2 offset:1504
	v_fmac_f64_e32 v[200:201], v[196:197], v[162:163]
	v_fma_f64 v[194:195], v[194:195], v[162:163], -v[164:165]
	scratch_load_b128 v[162:165], off, off offset:640
	v_add_f64_e32 v[198:199], v[198:199], v[202:203]
	v_fmac_f64_e32 v[204:205], v[6:7], v[166:167]
	v_add_f64_e32 v[196:197], v[208:209], v[206:207]
	;; [unrolled: 18-line block ×3, first 2 shown]
	v_fma_f64 v[206:207], v[4:5], v[178:179], -v[180:181]
	ds_load_b128 v[4:7], v2 offset:1552
	s_wait_loadcnt_dscnt 0xa01
	v_mul_f64_e32 v[204:205], v[194:195], v[192:193]
	v_mul_f64_e32 v[192:193], v[196:197], v[192:193]
	scratch_load_b128 v[178:181], off, off offset:688
	v_add_f64_e32 v[198:199], v[198:199], v[202:203]
	v_add_f64_e32 v[208:209], v[188:189], v[186:187]
	s_wait_loadcnt_dscnt 0xa00
	v_mul_f64_e32 v[202:203], v[4:5], v[176:177]
	v_mul_f64_e32 v[176:177], v[6:7], v[176:177]
	v_fmac_f64_e32 v[204:205], v[196:197], v[190:191]
	v_fma_f64 v[194:195], v[194:195], v[190:191], -v[192:193]
	ds_load_b128 v[186:189], v2 offset:1568
	scratch_load_b128 v[190:193], off, off offset:704
	v_add_f64_e32 v[198:199], v[198:199], v[200:201]
	v_add_f64_e32 v[196:197], v[208:209], v[206:207]
	v_fmac_f64_e32 v[202:203], v[6:7], v[174:175]
	v_fma_f64 v[206:207], v[4:5], v[174:175], -v[176:177]
	ds_load_b128 v[4:7], v2 offset:1584
	s_wait_loadcnt_dscnt 0xa01
	v_mul_f64_e32 v[200:201], v[186:187], v[10:11]
	v_mul_f64_e32 v[10:11], v[188:189], v[10:11]
	scratch_load_b128 v[174:177], off, off offset:720
	v_add_f64_e32 v[198:199], v[198:199], v[204:205]
	s_wait_loadcnt_dscnt 0xa00
	v_mul_f64_e32 v[204:205], v[4:5], v[14:15]
	v_add_f64_e32 v[208:209], v[196:197], v[194:195]
	v_mul_f64_e32 v[14:15], v[6:7], v[14:15]
	ds_load_b128 v[194:197], v2 offset:1600
	v_fmac_f64_e32 v[200:201], v[188:189], v[8:9]
	v_fma_f64 v[186:187], v[186:187], v[8:9], -v[10:11]
	scratch_load_b128 v[8:11], off, off offset:736
	v_add_f64_e32 v[198:199], v[198:199], v[202:203]
	v_fmac_f64_e32 v[204:205], v[6:7], v[12:13]
	v_add_f64_e32 v[188:189], v[208:209], v[206:207]
	v_fma_f64 v[206:207], v[4:5], v[12:13], -v[14:15]
	ds_load_b128 v[4:7], v2 offset:1616
	s_wait_loadcnt_dscnt 0xa01
	v_mul_f64_e32 v[202:203], v[194:195], v[18:19]
	v_mul_f64_e32 v[18:19], v[196:197], v[18:19]
	scratch_load_b128 v[12:15], off, off offset:752
	v_add_f64_e32 v[198:199], v[198:199], v[200:201]
	s_wait_loadcnt_dscnt 0xa00
	v_mul_f64_e32 v[200:201], v[4:5], v[22:23]
	v_add_f64_e32 v[208:209], v[188:189], v[186:187]
	v_mul_f64_e32 v[22:23], v[6:7], v[22:23]
	ds_load_b128 v[186:189], v2 offset:1632
	v_fmac_f64_e32 v[202:203], v[196:197], v[16:17]
	v_fma_f64 v[194:195], v[194:195], v[16:17], -v[18:19]
	scratch_load_b128 v[16:19], off, off offset:768
	v_add_f64_e32 v[198:199], v[198:199], v[204:205]
	v_fmac_f64_e32 v[200:201], v[6:7], v[20:21]
	v_add_f64_e32 v[196:197], v[208:209], v[206:207]
	;; [unrolled: 18-line block ×9, first 2 shown]
	v_fma_f64 v[206:207], v[4:5], v[28:29], -v[30:31]
	ds_load_b128 v[4:7], v2 offset:1872
	s_wait_loadcnt_dscnt 0xa01
	v_mul_f64_e32 v[200:201], v[194:195], v[164:165]
	v_mul_f64_e32 v[164:165], v[196:197], v[164:165]
	scratch_load_b128 v[28:31], off, off offset:1008
	v_add_f64_e32 v[198:199], v[198:199], v[204:205]
	s_wait_loadcnt_dscnt 0xa00
	v_mul_f64_e32 v[204:205], v[4:5], v[168:169]
	v_add_f64_e32 v[208:209], v[188:189], v[186:187]
	v_mul_f64_e32 v[168:169], v[6:7], v[168:169]
	ds_load_b128 v[186:189], v2 offset:1888
	v_fmac_f64_e32 v[200:201], v[196:197], v[162:163]
	v_fma_f64 v[162:163], v[194:195], v[162:163], -v[164:165]
	s_wait_loadcnt_dscnt 0x900
	v_mul_f64_e32 v[196:197], v[186:187], v[172:173]
	v_mul_f64_e32 v[172:173], v[188:189], v[172:173]
	v_add_f64_e32 v[194:195], v[198:199], v[202:203]
	v_fmac_f64_e32 v[204:205], v[6:7], v[166:167]
	v_add_f64_e32 v[164:165], v[208:209], v[206:207]
	v_fma_f64 v[166:167], v[4:5], v[166:167], -v[168:169]
	v_fmac_f64_e32 v[196:197], v[188:189], v[170:171]
	v_fma_f64 v[170:171], v[186:187], v[170:171], -v[172:173]
	v_add_f64_e32 v[194:195], v[194:195], v[200:201]
	v_add_f64_e32 v[168:169], v[164:165], v[162:163]
	ds_load_b128 v[4:7], v2 offset:1904
	ds_load_b128 v[162:165], v2 offset:1920
	s_wait_loadcnt_dscnt 0x801
	v_mul_f64_e32 v[198:199], v[4:5], v[180:181]
	v_mul_f64_e32 v[180:181], v[6:7], v[180:181]
	s_wait_loadcnt_dscnt 0x700
	v_mul_f64_e32 v[172:173], v[162:163], v[192:193]
	v_mul_f64_e32 v[186:187], v[164:165], v[192:193]
	v_add_f64_e32 v[166:167], v[168:169], v[166:167]
	v_add_f64_e32 v[168:169], v[194:195], v[204:205]
	v_fmac_f64_e32 v[198:199], v[6:7], v[178:179]
	v_fma_f64 v[178:179], v[4:5], v[178:179], -v[180:181]
	v_fmac_f64_e32 v[172:173], v[164:165], v[190:191]
	v_fma_f64 v[162:163], v[162:163], v[190:191], -v[186:187]
	v_add_f64_e32 v[170:171], v[166:167], v[170:171]
	v_add_f64_e32 v[180:181], v[168:169], v[196:197]
	ds_load_b128 v[4:7], v2 offset:1936
	ds_load_b128 v[166:169], v2 offset:1952
	s_wait_loadcnt_dscnt 0x601
	v_mul_f64_e32 v[188:189], v[4:5], v[176:177]
	v_mul_f64_e32 v[176:177], v[6:7], v[176:177]
	v_add_f64_e32 v[164:165], v[170:171], v[178:179]
	v_add_f64_e32 v[170:171], v[180:181], v[198:199]
	s_wait_loadcnt_dscnt 0x500
	v_mul_f64_e32 v[178:179], v[166:167], v[10:11]
	v_mul_f64_e32 v[10:11], v[168:169], v[10:11]
	v_fmac_f64_e32 v[188:189], v[6:7], v[174:175]
	v_fma_f64 v[174:175], v[4:5], v[174:175], -v[176:177]
	v_add_f64_e32 v[176:177], v[164:165], v[162:163]
	v_add_f64_e32 v[170:171], v[170:171], v[172:173]
	ds_load_b128 v[4:7], v2 offset:1968
	ds_load_b128 v[162:165], v2 offset:1984
	v_fmac_f64_e32 v[178:179], v[168:169], v[8:9]
	v_fma_f64 v[8:9], v[166:167], v[8:9], -v[10:11]
	s_wait_loadcnt_dscnt 0x401
	v_mul_f64_e32 v[172:173], v[4:5], v[14:15]
	v_mul_f64_e32 v[14:15], v[6:7], v[14:15]
	s_wait_loadcnt_dscnt 0x300
	v_mul_f64_e32 v[168:169], v[162:163], v[18:19]
	v_mul_f64_e32 v[18:19], v[164:165], v[18:19]
	v_add_f64_e32 v[10:11], v[176:177], v[174:175]
	v_add_f64_e32 v[166:167], v[170:171], v[188:189]
	v_fmac_f64_e32 v[172:173], v[6:7], v[12:13]
	v_fma_f64 v[12:13], v[4:5], v[12:13], -v[14:15]
	v_fmac_f64_e32 v[168:169], v[164:165], v[16:17]
	v_fma_f64 v[16:17], v[162:163], v[16:17], -v[18:19]
	v_add_f64_e32 v[14:15], v[10:11], v[8:9]
	v_add_f64_e32 v[166:167], v[166:167], v[178:179]
	ds_load_b128 v[4:7], v2 offset:2000
	ds_load_b128 v[8:11], v2 offset:2016
	s_wait_loadcnt_dscnt 0x201
	v_mul_f64_e32 v[170:171], v[4:5], v[22:23]
	v_mul_f64_e32 v[22:23], v[6:7], v[22:23]
	s_wait_loadcnt_dscnt 0x100
	v_mul_f64_e32 v[18:19], v[8:9], v[26:27]
	v_mul_f64_e32 v[26:27], v[10:11], v[26:27]
	v_add_f64_e32 v[12:13], v[14:15], v[12:13]
	v_add_f64_e32 v[14:15], v[166:167], v[172:173]
	v_fmac_f64_e32 v[170:171], v[6:7], v[20:21]
	v_fma_f64 v[20:21], v[4:5], v[20:21], -v[22:23]
	ds_load_b128 v[4:7], v2 offset:2032
	v_fmac_f64_e32 v[18:19], v[10:11], v[24:25]
	v_fma_f64 v[8:9], v[8:9], v[24:25], -v[26:27]
	v_add_f64_e32 v[12:13], v[12:13], v[16:17]
	v_add_f64_e32 v[14:15], v[14:15], v[168:169]
	s_wait_loadcnt_dscnt 0x0
	v_mul_f64_e32 v[16:17], v[4:5], v[30:31]
	v_mul_f64_e32 v[22:23], v[6:7], v[30:31]
	s_delay_alu instid0(VALU_DEP_4) | instskip(NEXT) | instid1(VALU_DEP_4)
	v_add_f64_e32 v[10:11], v[12:13], v[20:21]
	v_add_f64_e32 v[12:13], v[14:15], v[170:171]
	s_delay_alu instid0(VALU_DEP_4) | instskip(NEXT) | instid1(VALU_DEP_4)
	v_fmac_f64_e32 v[16:17], v[6:7], v[28:29]
	v_fma_f64 v[4:5], v[4:5], v[28:29], -v[22:23]
	s_delay_alu instid0(VALU_DEP_4) | instskip(NEXT) | instid1(VALU_DEP_4)
	v_add_f64_e32 v[6:7], v[10:11], v[8:9]
	v_add_f64_e32 v[8:9], v[12:13], v[18:19]
	s_delay_alu instid0(VALU_DEP_2) | instskip(NEXT) | instid1(VALU_DEP_2)
	v_add_f64_e32 v[4:5], v[6:7], v[4:5]
	v_add_f64_e32 v[6:7], v[8:9], v[16:17]
	s_delay_alu instid0(VALU_DEP_2) | instskip(NEXT) | instid1(VALU_DEP_2)
	v_add_f64_e64 v[4:5], v[182:183], -v[4:5]
	v_add_f64_e64 v[6:7], v[184:185], -v[6:7]
	scratch_store_b128 off, v[4:7], off offset:320
	s_wait_xcnt 0x0
	v_cmpx_lt_u32_e32 19, v1
	s_cbranch_execz .LBB127_371
; %bb.370:
	scratch_load_b128 v[6:9], off, s63
	v_dual_mov_b32 v3, v2 :: v_dual_mov_b32 v4, v2
	v_mov_b32_e32 v5, v2
	scratch_store_b128 off, v[2:5], off offset:304
	s_wait_loadcnt 0x0
	ds_store_b128 v160, v[6:9]
.LBB127_371:
	s_wait_xcnt 0x0
	s_or_b32 exec_lo, exec_lo, s2
	s_wait_storecnt_dscnt 0x0
	s_barrier_signal -1
	s_barrier_wait -1
	s_clause 0x9
	scratch_load_b128 v[4:7], off, off offset:320
	scratch_load_b128 v[8:11], off, off offset:336
	;; [unrolled: 1-line block ×10, first 2 shown]
	ds_load_b128 v[174:177], v2 offset:1344
	ds_load_b128 v[182:185], v2 offset:1360
	s_clause 0x2
	scratch_load_b128 v[178:181], off, off offset:480
	scratch_load_b128 v[186:189], off, off offset:304
	;; [unrolled: 1-line block ×3, first 2 shown]
	s_mov_b32 s2, exec_lo
	s_wait_loadcnt_dscnt 0xc01
	v_mul_f64_e32 v[194:195], v[176:177], v[6:7]
	v_mul_f64_e32 v[198:199], v[174:175], v[6:7]
	s_wait_loadcnt_dscnt 0xb00
	v_mul_f64_e32 v[200:201], v[182:183], v[10:11]
	v_mul_f64_e32 v[10:11], v[184:185], v[10:11]
	s_delay_alu instid0(VALU_DEP_4) | instskip(NEXT) | instid1(VALU_DEP_4)
	v_fma_f64 v[202:203], v[174:175], v[4:5], -v[194:195]
	v_fmac_f64_e32 v[198:199], v[176:177], v[4:5]
	ds_load_b128 v[4:7], v2 offset:1376
	ds_load_b128 v[174:177], v2 offset:1392
	scratch_load_b128 v[194:197], off, off offset:512
	v_fmac_f64_e32 v[200:201], v[184:185], v[8:9]
	v_fma_f64 v[182:183], v[182:183], v[8:9], -v[10:11]
	scratch_load_b128 v[8:11], off, off offset:528
	s_wait_loadcnt_dscnt 0xc01
	v_mul_f64_e32 v[204:205], v[4:5], v[14:15]
	v_mul_f64_e32 v[14:15], v[6:7], v[14:15]
	v_add_f64_e32 v[184:185], 0, v[202:203]
	v_add_f64_e32 v[198:199], 0, v[198:199]
	s_wait_loadcnt_dscnt 0xb00
	v_mul_f64_e32 v[202:203], v[174:175], v[18:19]
	v_mul_f64_e32 v[18:19], v[176:177], v[18:19]
	v_fmac_f64_e32 v[204:205], v[6:7], v[12:13]
	v_fma_f64 v[206:207], v[4:5], v[12:13], -v[14:15]
	ds_load_b128 v[4:7], v2 offset:1408
	ds_load_b128 v[12:15], v2 offset:1424
	v_add_f64_e32 v[208:209], v[184:185], v[182:183]
	v_add_f64_e32 v[198:199], v[198:199], v[200:201]
	scratch_load_b128 v[182:185], off, off offset:544
	v_fmac_f64_e32 v[202:203], v[176:177], v[16:17]
	v_fma_f64 v[174:175], v[174:175], v[16:17], -v[18:19]
	scratch_load_b128 v[16:19], off, off offset:560
	s_wait_loadcnt_dscnt 0xc01
	v_mul_f64_e32 v[200:201], v[4:5], v[22:23]
	v_mul_f64_e32 v[22:23], v[6:7], v[22:23]
	v_add_f64_e32 v[176:177], v[208:209], v[206:207]
	v_add_f64_e32 v[198:199], v[198:199], v[204:205]
	s_wait_loadcnt_dscnt 0xb00
	v_mul_f64_e32 v[204:205], v[12:13], v[26:27]
	v_mul_f64_e32 v[26:27], v[14:15], v[26:27]
	v_fmac_f64_e32 v[200:201], v[6:7], v[20:21]
	v_fma_f64 v[206:207], v[4:5], v[20:21], -v[22:23]
	ds_load_b128 v[4:7], v2 offset:1440
	ds_load_b128 v[20:23], v2 offset:1456
	v_add_f64_e32 v[208:209], v[176:177], v[174:175]
	v_add_f64_e32 v[198:199], v[198:199], v[202:203]
	scratch_load_b128 v[174:177], off, off offset:576
	s_wait_loadcnt_dscnt 0xb01
	v_mul_f64_e32 v[202:203], v[4:5], v[30:31]
	v_mul_f64_e32 v[30:31], v[6:7], v[30:31]
	v_fmac_f64_e32 v[204:205], v[14:15], v[24:25]
	v_fma_f64 v[24:25], v[12:13], v[24:25], -v[26:27]
	scratch_load_b128 v[12:15], off, off offset:592
	v_add_f64_e32 v[26:27], v[208:209], v[206:207]
	v_add_f64_e32 v[198:199], v[198:199], v[200:201]
	s_wait_loadcnt_dscnt 0xb00
	v_mul_f64_e32 v[200:201], v[20:21], v[164:165]
	v_mul_f64_e32 v[164:165], v[22:23], v[164:165]
	v_fmac_f64_e32 v[202:203], v[6:7], v[28:29]
	v_fma_f64 v[206:207], v[4:5], v[28:29], -v[30:31]
	v_add_f64_e32 v[208:209], v[26:27], v[24:25]
	v_add_f64_e32 v[198:199], v[198:199], v[204:205]
	ds_load_b128 v[4:7], v2 offset:1472
	ds_load_b128 v[24:27], v2 offset:1488
	scratch_load_b128 v[28:31], off, off offset:608
	v_fmac_f64_e32 v[200:201], v[22:23], v[162:163]
	v_fma_f64 v[162:163], v[20:21], v[162:163], -v[164:165]
	scratch_load_b128 v[20:23], off, off offset:624
	s_wait_loadcnt_dscnt 0xc01
	v_mul_f64_e32 v[204:205], v[4:5], v[168:169]
	v_mul_f64_e32 v[168:169], v[6:7], v[168:169]
	v_add_f64_e32 v[164:165], v[208:209], v[206:207]
	v_add_f64_e32 v[198:199], v[198:199], v[202:203]
	s_wait_loadcnt_dscnt 0xb00
	v_mul_f64_e32 v[202:203], v[24:25], v[172:173]
	v_mul_f64_e32 v[172:173], v[26:27], v[172:173]
	v_fmac_f64_e32 v[204:205], v[6:7], v[166:167]
	v_fma_f64 v[206:207], v[4:5], v[166:167], -v[168:169]
	v_add_f64_e32 v[208:209], v[164:165], v[162:163]
	v_add_f64_e32 v[198:199], v[198:199], v[200:201]
	ds_load_b128 v[4:7], v2 offset:1504
	ds_load_b128 v[162:165], v2 offset:1520
	scratch_load_b128 v[166:169], off, off offset:640
	v_fmac_f64_e32 v[202:203], v[26:27], v[170:171]
	v_fma_f64 v[170:171], v[24:25], v[170:171], -v[172:173]
	scratch_load_b128 v[24:27], off, off offset:656
	s_wait_loadcnt_dscnt 0xc01
	v_mul_f64_e32 v[200:201], v[4:5], v[180:181]
	v_mul_f64_e32 v[180:181], v[6:7], v[180:181]
	;; [unrolled: 18-line block ×5, first 2 shown]
	v_add_f64_e32 v[192:193], v[208:209], v[206:207]
	v_add_f64_e32 v[198:199], v[198:199], v[204:205]
	s_wait_loadcnt_dscnt 0xa00
	v_mul_f64_e32 v[204:205], v[170:171], v[14:15]
	v_mul_f64_e32 v[14:15], v[172:173], v[14:15]
	v_fmac_f64_e32 v[200:201], v[6:7], v[174:175]
	v_fma_f64 v[206:207], v[4:5], v[174:175], -v[176:177]
	ds_load_b128 v[4:7], v2 offset:1632
	ds_load_b128 v[174:177], v2 offset:1648
	v_add_f64_e32 v[208:209], v[192:193], v[190:191]
	v_add_f64_e32 v[198:199], v[198:199], v[202:203]
	scratch_load_b128 v[190:193], off, off offset:768
	v_fmac_f64_e32 v[204:205], v[172:173], v[12:13]
	v_fma_f64 v[170:171], v[170:171], v[12:13], -v[14:15]
	scratch_load_b128 v[12:15], off, off offset:784
	s_wait_loadcnt_dscnt 0xb01
	v_mul_f64_e32 v[202:203], v[4:5], v[30:31]
	v_mul_f64_e32 v[30:31], v[6:7], v[30:31]
	v_add_f64_e32 v[172:173], v[208:209], v[206:207]
	v_add_f64_e32 v[198:199], v[198:199], v[200:201]
	s_wait_loadcnt_dscnt 0xa00
	v_mul_f64_e32 v[200:201], v[174:175], v[22:23]
	v_mul_f64_e32 v[22:23], v[176:177], v[22:23]
	v_fmac_f64_e32 v[202:203], v[6:7], v[28:29]
	v_fma_f64 v[206:207], v[4:5], v[28:29], -v[30:31]
	ds_load_b128 v[4:7], v2 offset:1664
	ds_load_b128 v[28:31], v2 offset:1680
	v_add_f64_e32 v[208:209], v[172:173], v[170:171]
	v_add_f64_e32 v[198:199], v[198:199], v[204:205]
	scratch_load_b128 v[170:173], off, off offset:800
	s_wait_loadcnt_dscnt 0xa01
	v_mul_f64_e32 v[204:205], v[4:5], v[168:169]
	v_mul_f64_e32 v[168:169], v[6:7], v[168:169]
	v_fmac_f64_e32 v[200:201], v[176:177], v[20:21]
	v_fma_f64 v[174:175], v[174:175], v[20:21], -v[22:23]
	scratch_load_b128 v[20:23], off, off offset:816
	v_add_f64_e32 v[176:177], v[208:209], v[206:207]
	v_add_f64_e32 v[198:199], v[198:199], v[202:203]
	s_wait_loadcnt_dscnt 0xa00
	v_mul_f64_e32 v[202:203], v[28:29], v[26:27]
	v_mul_f64_e32 v[26:27], v[30:31], v[26:27]
	v_fmac_f64_e32 v[204:205], v[6:7], v[166:167]
	v_fma_f64 v[206:207], v[4:5], v[166:167], -v[168:169]
	ds_load_b128 v[4:7], v2 offset:1696
	ds_load_b128 v[166:169], v2 offset:1712
	v_add_f64_e32 v[208:209], v[176:177], v[174:175]
	v_add_f64_e32 v[198:199], v[198:199], v[200:201]
	scratch_load_b128 v[174:177], off, off offset:832
	s_wait_loadcnt_dscnt 0xa01
	v_mul_f64_e32 v[200:201], v[4:5], v[180:181]
	v_mul_f64_e32 v[180:181], v[6:7], v[180:181]
	v_fmac_f64_e32 v[202:203], v[30:31], v[24:25]
	v_fma_f64 v[28:29], v[28:29], v[24:25], -v[26:27]
	scratch_load_b128 v[24:27], off, off offset:848
	v_add_f64_e32 v[30:31], v[208:209], v[206:207]
	v_add_f64_e32 v[198:199], v[198:199], v[204:205]
	s_wait_loadcnt_dscnt 0xa00
	v_mul_f64_e32 v[204:205], v[166:167], v[164:165]
	v_mul_f64_e32 v[164:165], v[168:169], v[164:165]
	v_fmac_f64_e32 v[200:201], v[6:7], v[178:179]
	v_fma_f64 v[206:207], v[4:5], v[178:179], -v[180:181]
	v_add_f64_e32 v[208:209], v[30:31], v[28:29]
	v_add_f64_e32 v[198:199], v[198:199], v[202:203]
	ds_load_b128 v[4:7], v2 offset:1728
	ds_load_b128 v[28:31], v2 offset:1744
	scratch_load_b128 v[178:181], off, off offset:864
	v_fmac_f64_e32 v[204:205], v[168:169], v[162:163]
	v_fma_f64 v[166:167], v[166:167], v[162:163], -v[164:165]
	scratch_load_b128 v[162:165], off, off offset:880
	s_wait_loadcnt_dscnt 0xb01
	v_mul_f64_e32 v[202:203], v[4:5], v[196:197]
	v_mul_f64_e32 v[196:197], v[6:7], v[196:197]
	v_add_f64_e32 v[168:169], v[208:209], v[206:207]
	v_add_f64_e32 v[198:199], v[198:199], v[200:201]
	s_wait_loadcnt_dscnt 0xa00
	v_mul_f64_e32 v[200:201], v[28:29], v[10:11]
	v_mul_f64_e32 v[10:11], v[30:31], v[10:11]
	v_fmac_f64_e32 v[202:203], v[6:7], v[194:195]
	v_fma_f64 v[206:207], v[4:5], v[194:195], -v[196:197]
	v_add_f64_e32 v[208:209], v[168:169], v[166:167]
	v_add_f64_e32 v[198:199], v[198:199], v[204:205]
	ds_load_b128 v[4:7], v2 offset:1760
	ds_load_b128 v[166:169], v2 offset:1776
	scratch_load_b128 v[194:197], off, off offset:896
	v_fmac_f64_e32 v[200:201], v[30:31], v[8:9]
	v_fma_f64 v[28:29], v[28:29], v[8:9], -v[10:11]
	scratch_load_b128 v[8:11], off, off offset:912
	s_wait_loadcnt_dscnt 0xb01
	v_mul_f64_e32 v[204:205], v[4:5], v[184:185]
	v_mul_f64_e32 v[184:185], v[6:7], v[184:185]
	;; [unrolled: 18-line block ×5, first 2 shown]
	v_add_f64_e32 v[168:169], v[208:209], v[206:207]
	v_add_f64_e32 v[198:199], v[198:199], v[202:203]
	s_wait_loadcnt_dscnt 0xa00
	v_mul_f64_e32 v[202:203], v[28:29], v[26:27]
	v_mul_f64_e32 v[26:27], v[30:31], v[26:27]
	v_fmac_f64_e32 v[204:205], v[6:7], v[174:175]
	v_fma_f64 v[174:175], v[4:5], v[174:175], -v[176:177]
	v_add_f64_e32 v[176:177], v[168:169], v[166:167]
	v_add_f64_e32 v[198:199], v[198:199], v[200:201]
	ds_load_b128 v[4:7], v2 offset:1888
	ds_load_b128 v[166:169], v2 offset:1904
	v_fmac_f64_e32 v[202:203], v[30:31], v[24:25]
	v_fma_f64 v[24:25], v[28:29], v[24:25], -v[26:27]
	s_wait_loadcnt_dscnt 0x901
	v_mul_f64_e32 v[200:201], v[4:5], v[180:181]
	v_mul_f64_e32 v[180:181], v[6:7], v[180:181]
	s_wait_loadcnt_dscnt 0x800
	v_mul_f64_e32 v[30:31], v[166:167], v[164:165]
	v_mul_f64_e32 v[164:165], v[168:169], v[164:165]
	v_add_f64_e32 v[26:27], v[176:177], v[174:175]
	v_add_f64_e32 v[28:29], v[198:199], v[204:205]
	v_fmac_f64_e32 v[200:201], v[6:7], v[178:179]
	v_fma_f64 v[174:175], v[4:5], v[178:179], -v[180:181]
	v_fmac_f64_e32 v[30:31], v[168:169], v[162:163]
	v_fma_f64 v[162:163], v[166:167], v[162:163], -v[164:165]
	v_add_f64_e32 v[176:177], v[26:27], v[24:25]
	v_add_f64_e32 v[28:29], v[28:29], v[202:203]
	ds_load_b128 v[4:7], v2 offset:1920
	ds_load_b128 v[24:27], v2 offset:1936
	s_wait_loadcnt_dscnt 0x701
	v_mul_f64_e32 v[178:179], v[4:5], v[196:197]
	v_mul_f64_e32 v[180:181], v[6:7], v[196:197]
	s_wait_loadcnt_dscnt 0x600
	v_mul_f64_e32 v[166:167], v[24:25], v[10:11]
	v_mul_f64_e32 v[10:11], v[26:27], v[10:11]
	v_add_f64_e32 v[164:165], v[176:177], v[174:175]
	v_add_f64_e32 v[28:29], v[28:29], v[200:201]
	v_fmac_f64_e32 v[178:179], v[6:7], v[194:195]
	v_fma_f64 v[168:169], v[4:5], v[194:195], -v[180:181]
	v_fmac_f64_e32 v[166:167], v[26:27], v[8:9]
	v_fma_f64 v[8:9], v[24:25], v[8:9], -v[10:11]
	v_add_f64_e32 v[162:163], v[164:165], v[162:163]
	v_add_f64_e32 v[164:165], v[28:29], v[30:31]
	ds_load_b128 v[4:7], v2 offset:1952
	ds_load_b128 v[28:31], v2 offset:1968
	;; [unrolled: 16-line block ×4, first 2 shown]
	s_wait_loadcnt_dscnt 0x101
	v_mul_f64_e32 v[2:3], v[4:5], v[172:173]
	v_mul_f64_e32 v[26:27], v[6:7], v[172:173]
	v_add_f64_e32 v[10:11], v[18:19], v[162:163]
	v_add_f64_e32 v[12:13], v[24:25], v[166:167]
	s_wait_loadcnt_dscnt 0x0
	v_mul_f64_e32 v[18:19], v[14:15], v[22:23]
	v_mul_f64_e32 v[22:23], v[16:17], v[22:23]
	v_fmac_f64_e32 v[2:3], v[6:7], v[170:171]
	v_fma_f64 v[4:5], v[4:5], v[170:171], -v[26:27]
	v_add_f64_e32 v[6:7], v[10:11], v[8:9]
	v_add_f64_e32 v[8:9], v[12:13], v[28:29]
	v_fmac_f64_e32 v[18:19], v[16:17], v[20:21]
	v_fma_f64 v[10:11], v[14:15], v[20:21], -v[22:23]
	s_delay_alu instid0(VALU_DEP_4) | instskip(NEXT) | instid1(VALU_DEP_4)
	v_add_f64_e32 v[4:5], v[6:7], v[4:5]
	v_add_f64_e32 v[2:3], v[8:9], v[2:3]
	s_delay_alu instid0(VALU_DEP_2) | instskip(NEXT) | instid1(VALU_DEP_2)
	v_add_f64_e32 v[4:5], v[4:5], v[10:11]
	v_add_f64_e32 v[6:7], v[2:3], v[18:19]
	s_delay_alu instid0(VALU_DEP_2) | instskip(NEXT) | instid1(VALU_DEP_2)
	v_add_f64_e64 v[2:3], v[186:187], -v[4:5]
	v_add_f64_e64 v[4:5], v[188:189], -v[6:7]
	scratch_store_b128 off, v[2:5], off offset:304
	s_wait_xcnt 0x0
	v_cmpx_lt_u32_e32 18, v1
	s_cbranch_execz .LBB127_373
; %bb.372:
	scratch_load_b128 v[2:5], off, s64
	v_mov_b32_e32 v6, 0
	s_delay_alu instid0(VALU_DEP_1)
	v_dual_mov_b32 v7, v6 :: v_dual_mov_b32 v8, v6
	v_mov_b32_e32 v9, v6
	scratch_store_b128 off, v[6:9], off offset:288
	s_wait_loadcnt 0x0
	ds_store_b128 v160, v[2:5]
.LBB127_373:
	s_wait_xcnt 0x0
	s_or_b32 exec_lo, exec_lo, s2
	s_wait_storecnt_dscnt 0x0
	s_barrier_signal -1
	s_barrier_wait -1
	s_clause 0x9
	scratch_load_b128 v[4:7], off, off offset:304
	scratch_load_b128 v[8:11], off, off offset:320
	;; [unrolled: 1-line block ×10, first 2 shown]
	v_mov_b32_e32 v2, 0
	s_mov_b32 s2, exec_lo
	ds_load_b128 v[174:177], v2 offset:1328
	s_clause 0x2
	scratch_load_b128 v[178:181], off, off offset:464
	scratch_load_b128 v[182:185], off, off offset:288
	;; [unrolled: 1-line block ×3, first 2 shown]
	s_wait_loadcnt_dscnt 0xc00
	v_mul_f64_e32 v[194:195], v[176:177], v[6:7]
	v_mul_f64_e32 v[198:199], v[174:175], v[6:7]
	ds_load_b128 v[186:189], v2 offset:1344
	v_fma_f64 v[202:203], v[174:175], v[4:5], -v[194:195]
	v_fmac_f64_e32 v[198:199], v[176:177], v[4:5]
	ds_load_b128 v[4:7], v2 offset:1360
	s_wait_loadcnt_dscnt 0xb01
	v_mul_f64_e32 v[200:201], v[186:187], v[10:11]
	v_mul_f64_e32 v[10:11], v[188:189], v[10:11]
	scratch_load_b128 v[174:177], off, off offset:496
	ds_load_b128 v[194:197], v2 offset:1376
	s_wait_loadcnt_dscnt 0xb01
	v_mul_f64_e32 v[204:205], v[4:5], v[14:15]
	v_mul_f64_e32 v[14:15], v[6:7], v[14:15]
	v_add_f64_e32 v[198:199], 0, v[198:199]
	v_fmac_f64_e32 v[200:201], v[188:189], v[8:9]
	v_fma_f64 v[186:187], v[186:187], v[8:9], -v[10:11]
	v_add_f64_e32 v[188:189], 0, v[202:203]
	scratch_load_b128 v[8:11], off, off offset:512
	v_fmac_f64_e32 v[204:205], v[6:7], v[12:13]
	v_fma_f64 v[206:207], v[4:5], v[12:13], -v[14:15]
	ds_load_b128 v[4:7], v2 offset:1392
	s_wait_loadcnt_dscnt 0xb01
	v_mul_f64_e32 v[202:203], v[194:195], v[18:19]
	v_mul_f64_e32 v[18:19], v[196:197], v[18:19]
	scratch_load_b128 v[12:15], off, off offset:528
	v_add_f64_e32 v[198:199], v[198:199], v[200:201]
	v_add_f64_e32 v[208:209], v[188:189], v[186:187]
	ds_load_b128 v[186:189], v2 offset:1408
	s_wait_loadcnt_dscnt 0xb01
	v_mul_f64_e32 v[200:201], v[4:5], v[22:23]
	v_mul_f64_e32 v[22:23], v[6:7], v[22:23]
	v_fmac_f64_e32 v[202:203], v[196:197], v[16:17]
	v_fma_f64 v[194:195], v[194:195], v[16:17], -v[18:19]
	scratch_load_b128 v[16:19], off, off offset:544
	v_add_f64_e32 v[198:199], v[198:199], v[204:205]
	v_add_f64_e32 v[196:197], v[208:209], v[206:207]
	v_fmac_f64_e32 v[200:201], v[6:7], v[20:21]
	v_fma_f64 v[206:207], v[4:5], v[20:21], -v[22:23]
	ds_load_b128 v[4:7], v2 offset:1424
	s_wait_loadcnt_dscnt 0xb01
	v_mul_f64_e32 v[204:205], v[186:187], v[26:27]
	v_mul_f64_e32 v[26:27], v[188:189], v[26:27]
	scratch_load_b128 v[20:23], off, off offset:560
	v_add_f64_e32 v[198:199], v[198:199], v[202:203]
	s_wait_loadcnt_dscnt 0xb00
	v_mul_f64_e32 v[202:203], v[4:5], v[30:31]
	v_add_f64_e32 v[208:209], v[196:197], v[194:195]
	v_mul_f64_e32 v[30:31], v[6:7], v[30:31]
	ds_load_b128 v[194:197], v2 offset:1440
	v_fmac_f64_e32 v[204:205], v[188:189], v[24:25]
	v_fma_f64 v[186:187], v[186:187], v[24:25], -v[26:27]
	scratch_load_b128 v[24:27], off, off offset:576
	v_add_f64_e32 v[198:199], v[198:199], v[200:201]
	v_fmac_f64_e32 v[202:203], v[6:7], v[28:29]
	v_add_f64_e32 v[188:189], v[208:209], v[206:207]
	v_fma_f64 v[206:207], v[4:5], v[28:29], -v[30:31]
	ds_load_b128 v[4:7], v2 offset:1456
	s_wait_loadcnt_dscnt 0xb01
	v_mul_f64_e32 v[200:201], v[194:195], v[164:165]
	v_mul_f64_e32 v[164:165], v[196:197], v[164:165]
	scratch_load_b128 v[28:31], off, off offset:592
	v_add_f64_e32 v[198:199], v[198:199], v[204:205]
	s_wait_loadcnt_dscnt 0xb00
	v_mul_f64_e32 v[204:205], v[4:5], v[168:169]
	v_add_f64_e32 v[208:209], v[188:189], v[186:187]
	v_mul_f64_e32 v[168:169], v[6:7], v[168:169]
	ds_load_b128 v[186:189], v2 offset:1472
	v_fmac_f64_e32 v[200:201], v[196:197], v[162:163]
	v_fma_f64 v[194:195], v[194:195], v[162:163], -v[164:165]
	scratch_load_b128 v[162:165], off, off offset:608
	v_add_f64_e32 v[198:199], v[198:199], v[202:203]
	v_fmac_f64_e32 v[204:205], v[6:7], v[166:167]
	v_add_f64_e32 v[196:197], v[208:209], v[206:207]
	;; [unrolled: 18-line block ×3, first 2 shown]
	v_fma_f64 v[206:207], v[4:5], v[178:179], -v[180:181]
	ds_load_b128 v[4:7], v2 offset:1520
	s_wait_loadcnt_dscnt 0xa01
	v_mul_f64_e32 v[204:205], v[194:195], v[192:193]
	v_mul_f64_e32 v[192:193], v[196:197], v[192:193]
	scratch_load_b128 v[178:181], off, off offset:656
	v_add_f64_e32 v[198:199], v[198:199], v[202:203]
	v_add_f64_e32 v[208:209], v[188:189], v[186:187]
	s_wait_loadcnt_dscnt 0xa00
	v_mul_f64_e32 v[202:203], v[4:5], v[176:177]
	v_mul_f64_e32 v[176:177], v[6:7], v[176:177]
	v_fmac_f64_e32 v[204:205], v[196:197], v[190:191]
	v_fma_f64 v[194:195], v[194:195], v[190:191], -v[192:193]
	ds_load_b128 v[186:189], v2 offset:1536
	scratch_load_b128 v[190:193], off, off offset:672
	v_add_f64_e32 v[198:199], v[198:199], v[200:201]
	v_add_f64_e32 v[196:197], v[208:209], v[206:207]
	v_fmac_f64_e32 v[202:203], v[6:7], v[174:175]
	v_fma_f64 v[206:207], v[4:5], v[174:175], -v[176:177]
	ds_load_b128 v[4:7], v2 offset:1552
	s_wait_loadcnt_dscnt 0xa01
	v_mul_f64_e32 v[200:201], v[186:187], v[10:11]
	v_mul_f64_e32 v[10:11], v[188:189], v[10:11]
	scratch_load_b128 v[174:177], off, off offset:688
	v_add_f64_e32 v[198:199], v[198:199], v[204:205]
	s_wait_loadcnt_dscnt 0xa00
	v_mul_f64_e32 v[204:205], v[4:5], v[14:15]
	v_add_f64_e32 v[208:209], v[196:197], v[194:195]
	v_mul_f64_e32 v[14:15], v[6:7], v[14:15]
	ds_load_b128 v[194:197], v2 offset:1568
	v_fmac_f64_e32 v[200:201], v[188:189], v[8:9]
	v_fma_f64 v[186:187], v[186:187], v[8:9], -v[10:11]
	scratch_load_b128 v[8:11], off, off offset:704
	v_add_f64_e32 v[198:199], v[198:199], v[202:203]
	v_fmac_f64_e32 v[204:205], v[6:7], v[12:13]
	v_add_f64_e32 v[188:189], v[208:209], v[206:207]
	v_fma_f64 v[206:207], v[4:5], v[12:13], -v[14:15]
	ds_load_b128 v[4:7], v2 offset:1584
	s_wait_loadcnt_dscnt 0xa01
	v_mul_f64_e32 v[202:203], v[194:195], v[18:19]
	v_mul_f64_e32 v[18:19], v[196:197], v[18:19]
	scratch_load_b128 v[12:15], off, off offset:720
	v_add_f64_e32 v[198:199], v[198:199], v[200:201]
	s_wait_loadcnt_dscnt 0xa00
	v_mul_f64_e32 v[200:201], v[4:5], v[22:23]
	v_add_f64_e32 v[208:209], v[188:189], v[186:187]
	v_mul_f64_e32 v[22:23], v[6:7], v[22:23]
	ds_load_b128 v[186:189], v2 offset:1600
	v_fmac_f64_e32 v[202:203], v[196:197], v[16:17]
	v_fma_f64 v[194:195], v[194:195], v[16:17], -v[18:19]
	scratch_load_b128 v[16:19], off, off offset:736
	v_add_f64_e32 v[198:199], v[198:199], v[204:205]
	v_fmac_f64_e32 v[200:201], v[6:7], v[20:21]
	v_add_f64_e32 v[196:197], v[208:209], v[206:207]
	;; [unrolled: 18-line block ×10, first 2 shown]
	v_fma_f64 v[206:207], v[4:5], v[166:167], -v[168:169]
	ds_load_b128 v[4:7], v2 offset:1872
	s_wait_loadcnt_dscnt 0xa01
	v_mul_f64_e32 v[202:203], v[186:187], v[172:173]
	v_mul_f64_e32 v[172:173], v[188:189], v[172:173]
	scratch_load_b128 v[166:169], off, off offset:1008
	v_add_f64_e32 v[198:199], v[198:199], v[200:201]
	s_wait_loadcnt_dscnt 0xa00
	v_mul_f64_e32 v[200:201], v[4:5], v[180:181]
	v_add_f64_e32 v[208:209], v[196:197], v[194:195]
	v_mul_f64_e32 v[180:181], v[6:7], v[180:181]
	ds_load_b128 v[194:197], v2 offset:1888
	v_fmac_f64_e32 v[202:203], v[188:189], v[170:171]
	v_fma_f64 v[170:171], v[186:187], v[170:171], -v[172:173]
	s_wait_loadcnt_dscnt 0x900
	v_mul_f64_e32 v[188:189], v[194:195], v[192:193]
	v_mul_f64_e32 v[192:193], v[196:197], v[192:193]
	v_add_f64_e32 v[186:187], v[198:199], v[204:205]
	v_fmac_f64_e32 v[200:201], v[6:7], v[178:179]
	v_add_f64_e32 v[172:173], v[208:209], v[206:207]
	v_fma_f64 v[178:179], v[4:5], v[178:179], -v[180:181]
	v_fmac_f64_e32 v[188:189], v[196:197], v[190:191]
	v_fma_f64 v[190:191], v[194:195], v[190:191], -v[192:193]
	v_add_f64_e32 v[186:187], v[186:187], v[202:203]
	v_add_f64_e32 v[180:181], v[172:173], v[170:171]
	ds_load_b128 v[4:7], v2 offset:1904
	ds_load_b128 v[170:173], v2 offset:1920
	s_wait_loadcnt_dscnt 0x801
	v_mul_f64_e32 v[198:199], v[4:5], v[176:177]
	v_mul_f64_e32 v[176:177], v[6:7], v[176:177]
	v_add_f64_e32 v[178:179], v[180:181], v[178:179]
	v_add_f64_e32 v[180:181], v[186:187], v[200:201]
	s_wait_loadcnt_dscnt 0x700
	v_mul_f64_e32 v[186:187], v[170:171], v[10:11]
	v_mul_f64_e32 v[10:11], v[172:173], v[10:11]
	v_fmac_f64_e32 v[198:199], v[6:7], v[174:175]
	v_fma_f64 v[192:193], v[4:5], v[174:175], -v[176:177]
	ds_load_b128 v[4:7], v2 offset:1936
	ds_load_b128 v[174:177], v2 offset:1952
	v_add_f64_e32 v[178:179], v[178:179], v[190:191]
	v_add_f64_e32 v[180:181], v[180:181], v[188:189]
	v_fmac_f64_e32 v[186:187], v[172:173], v[8:9]
	v_fma_f64 v[8:9], v[170:171], v[8:9], -v[10:11]
	s_wait_loadcnt_dscnt 0x601
	v_mul_f64_e32 v[188:189], v[4:5], v[14:15]
	v_mul_f64_e32 v[14:15], v[6:7], v[14:15]
	s_wait_loadcnt_dscnt 0x500
	v_mul_f64_e32 v[172:173], v[174:175], v[18:19]
	v_mul_f64_e32 v[18:19], v[176:177], v[18:19]
	v_add_f64_e32 v[10:11], v[178:179], v[192:193]
	v_add_f64_e32 v[170:171], v[180:181], v[198:199]
	v_fmac_f64_e32 v[188:189], v[6:7], v[12:13]
	v_fma_f64 v[12:13], v[4:5], v[12:13], -v[14:15]
	v_fmac_f64_e32 v[172:173], v[176:177], v[16:17]
	v_fma_f64 v[16:17], v[174:175], v[16:17], -v[18:19]
	v_add_f64_e32 v[14:15], v[10:11], v[8:9]
	v_add_f64_e32 v[170:171], v[170:171], v[186:187]
	ds_load_b128 v[4:7], v2 offset:1968
	ds_load_b128 v[8:11], v2 offset:1984
	s_wait_loadcnt_dscnt 0x401
	v_mul_f64_e32 v[178:179], v[4:5], v[22:23]
	v_mul_f64_e32 v[22:23], v[6:7], v[22:23]
	s_wait_loadcnt_dscnt 0x300
	v_mul_f64_e32 v[18:19], v[8:9], v[26:27]
	v_mul_f64_e32 v[26:27], v[10:11], v[26:27]
	v_add_f64_e32 v[12:13], v[14:15], v[12:13]
	v_add_f64_e32 v[14:15], v[170:171], v[188:189]
	v_fmac_f64_e32 v[178:179], v[6:7], v[20:21]
	v_fma_f64 v[20:21], v[4:5], v[20:21], -v[22:23]
	v_fmac_f64_e32 v[18:19], v[10:11], v[24:25]
	v_fma_f64 v[8:9], v[8:9], v[24:25], -v[26:27]
	v_add_f64_e32 v[16:17], v[12:13], v[16:17]
	v_add_f64_e32 v[22:23], v[14:15], v[172:173]
	ds_load_b128 v[4:7], v2 offset:2000
	ds_load_b128 v[12:15], v2 offset:2016
	s_wait_loadcnt_dscnt 0x201
	v_mul_f64_e32 v[170:171], v[4:5], v[30:31]
	v_mul_f64_e32 v[30:31], v[6:7], v[30:31]
	v_add_f64_e32 v[10:11], v[16:17], v[20:21]
	v_add_f64_e32 v[16:17], v[22:23], v[178:179]
	s_wait_loadcnt_dscnt 0x100
	v_mul_f64_e32 v[20:21], v[12:13], v[164:165]
	v_mul_f64_e32 v[22:23], v[14:15], v[164:165]
	v_fmac_f64_e32 v[170:171], v[6:7], v[28:29]
	v_fma_f64 v[24:25], v[4:5], v[28:29], -v[30:31]
	ds_load_b128 v[4:7], v2 offset:2032
	v_add_f64_e32 v[8:9], v[10:11], v[8:9]
	v_add_f64_e32 v[10:11], v[16:17], v[18:19]
	v_fmac_f64_e32 v[20:21], v[14:15], v[162:163]
	v_fma_f64 v[12:13], v[12:13], v[162:163], -v[22:23]
	s_wait_loadcnt_dscnt 0x0
	v_mul_f64_e32 v[16:17], v[4:5], v[168:169]
	v_mul_f64_e32 v[18:19], v[6:7], v[168:169]
	v_add_f64_e32 v[8:9], v[8:9], v[24:25]
	v_add_f64_e32 v[10:11], v[10:11], v[170:171]
	s_delay_alu instid0(VALU_DEP_4) | instskip(NEXT) | instid1(VALU_DEP_4)
	v_fmac_f64_e32 v[16:17], v[6:7], v[166:167]
	v_fma_f64 v[4:5], v[4:5], v[166:167], -v[18:19]
	s_delay_alu instid0(VALU_DEP_4) | instskip(NEXT) | instid1(VALU_DEP_4)
	v_add_f64_e32 v[6:7], v[8:9], v[12:13]
	v_add_f64_e32 v[8:9], v[10:11], v[20:21]
	s_delay_alu instid0(VALU_DEP_2) | instskip(NEXT) | instid1(VALU_DEP_2)
	v_add_f64_e32 v[4:5], v[6:7], v[4:5]
	v_add_f64_e32 v[6:7], v[8:9], v[16:17]
	s_delay_alu instid0(VALU_DEP_2) | instskip(NEXT) | instid1(VALU_DEP_2)
	v_add_f64_e64 v[4:5], v[182:183], -v[4:5]
	v_add_f64_e64 v[6:7], v[184:185], -v[6:7]
	scratch_store_b128 off, v[4:7], off offset:288
	s_wait_xcnt 0x0
	v_cmpx_lt_u32_e32 17, v1
	s_cbranch_execz .LBB127_375
; %bb.374:
	scratch_load_b128 v[6:9], off, s65
	v_dual_mov_b32 v3, v2 :: v_dual_mov_b32 v4, v2
	v_mov_b32_e32 v5, v2
	scratch_store_b128 off, v[2:5], off offset:272
	s_wait_loadcnt 0x0
	ds_store_b128 v160, v[6:9]
.LBB127_375:
	s_wait_xcnt 0x0
	s_or_b32 exec_lo, exec_lo, s2
	s_wait_storecnt_dscnt 0x0
	s_barrier_signal -1
	s_barrier_wait -1
	s_clause 0x9
	scratch_load_b128 v[4:7], off, off offset:288
	scratch_load_b128 v[8:11], off, off offset:304
	;; [unrolled: 1-line block ×10, first 2 shown]
	ds_load_b128 v[174:177], v2 offset:1312
	ds_load_b128 v[182:185], v2 offset:1328
	s_clause 0x2
	scratch_load_b128 v[178:181], off, off offset:448
	scratch_load_b128 v[186:189], off, off offset:272
	;; [unrolled: 1-line block ×3, first 2 shown]
	s_mov_b32 s2, exec_lo
	s_wait_loadcnt_dscnt 0xc01
	v_mul_f64_e32 v[194:195], v[176:177], v[6:7]
	v_mul_f64_e32 v[198:199], v[174:175], v[6:7]
	s_wait_loadcnt_dscnt 0xb00
	v_mul_f64_e32 v[200:201], v[182:183], v[10:11]
	v_mul_f64_e32 v[10:11], v[184:185], v[10:11]
	s_delay_alu instid0(VALU_DEP_4) | instskip(NEXT) | instid1(VALU_DEP_4)
	v_fma_f64 v[202:203], v[174:175], v[4:5], -v[194:195]
	v_fmac_f64_e32 v[198:199], v[176:177], v[4:5]
	ds_load_b128 v[4:7], v2 offset:1344
	ds_load_b128 v[174:177], v2 offset:1360
	scratch_load_b128 v[194:197], off, off offset:480
	v_fmac_f64_e32 v[200:201], v[184:185], v[8:9]
	v_fma_f64 v[182:183], v[182:183], v[8:9], -v[10:11]
	scratch_load_b128 v[8:11], off, off offset:496
	s_wait_loadcnt_dscnt 0xc01
	v_mul_f64_e32 v[204:205], v[4:5], v[14:15]
	v_mul_f64_e32 v[14:15], v[6:7], v[14:15]
	v_add_f64_e32 v[184:185], 0, v[202:203]
	v_add_f64_e32 v[198:199], 0, v[198:199]
	s_wait_loadcnt_dscnt 0xb00
	v_mul_f64_e32 v[202:203], v[174:175], v[18:19]
	v_mul_f64_e32 v[18:19], v[176:177], v[18:19]
	v_fmac_f64_e32 v[204:205], v[6:7], v[12:13]
	v_fma_f64 v[206:207], v[4:5], v[12:13], -v[14:15]
	ds_load_b128 v[4:7], v2 offset:1376
	ds_load_b128 v[12:15], v2 offset:1392
	v_add_f64_e32 v[208:209], v[184:185], v[182:183]
	v_add_f64_e32 v[198:199], v[198:199], v[200:201]
	scratch_load_b128 v[182:185], off, off offset:512
	v_fmac_f64_e32 v[202:203], v[176:177], v[16:17]
	v_fma_f64 v[174:175], v[174:175], v[16:17], -v[18:19]
	scratch_load_b128 v[16:19], off, off offset:528
	s_wait_loadcnt_dscnt 0xc01
	v_mul_f64_e32 v[200:201], v[4:5], v[22:23]
	v_mul_f64_e32 v[22:23], v[6:7], v[22:23]
	v_add_f64_e32 v[176:177], v[208:209], v[206:207]
	v_add_f64_e32 v[198:199], v[198:199], v[204:205]
	s_wait_loadcnt_dscnt 0xb00
	v_mul_f64_e32 v[204:205], v[12:13], v[26:27]
	v_mul_f64_e32 v[26:27], v[14:15], v[26:27]
	v_fmac_f64_e32 v[200:201], v[6:7], v[20:21]
	v_fma_f64 v[206:207], v[4:5], v[20:21], -v[22:23]
	ds_load_b128 v[4:7], v2 offset:1408
	ds_load_b128 v[20:23], v2 offset:1424
	v_add_f64_e32 v[208:209], v[176:177], v[174:175]
	v_add_f64_e32 v[198:199], v[198:199], v[202:203]
	scratch_load_b128 v[174:177], off, off offset:544
	s_wait_loadcnt_dscnt 0xb01
	v_mul_f64_e32 v[202:203], v[4:5], v[30:31]
	v_mul_f64_e32 v[30:31], v[6:7], v[30:31]
	v_fmac_f64_e32 v[204:205], v[14:15], v[24:25]
	v_fma_f64 v[24:25], v[12:13], v[24:25], -v[26:27]
	scratch_load_b128 v[12:15], off, off offset:560
	v_add_f64_e32 v[26:27], v[208:209], v[206:207]
	v_add_f64_e32 v[198:199], v[198:199], v[200:201]
	s_wait_loadcnt_dscnt 0xb00
	v_mul_f64_e32 v[200:201], v[20:21], v[164:165]
	v_mul_f64_e32 v[164:165], v[22:23], v[164:165]
	v_fmac_f64_e32 v[202:203], v[6:7], v[28:29]
	v_fma_f64 v[206:207], v[4:5], v[28:29], -v[30:31]
	v_add_f64_e32 v[208:209], v[26:27], v[24:25]
	v_add_f64_e32 v[198:199], v[198:199], v[204:205]
	ds_load_b128 v[4:7], v2 offset:1440
	ds_load_b128 v[24:27], v2 offset:1456
	scratch_load_b128 v[28:31], off, off offset:576
	v_fmac_f64_e32 v[200:201], v[22:23], v[162:163]
	v_fma_f64 v[162:163], v[20:21], v[162:163], -v[164:165]
	scratch_load_b128 v[20:23], off, off offset:592
	s_wait_loadcnt_dscnt 0xc01
	v_mul_f64_e32 v[204:205], v[4:5], v[168:169]
	v_mul_f64_e32 v[168:169], v[6:7], v[168:169]
	v_add_f64_e32 v[164:165], v[208:209], v[206:207]
	v_add_f64_e32 v[198:199], v[198:199], v[202:203]
	s_wait_loadcnt_dscnt 0xb00
	v_mul_f64_e32 v[202:203], v[24:25], v[172:173]
	v_mul_f64_e32 v[172:173], v[26:27], v[172:173]
	v_fmac_f64_e32 v[204:205], v[6:7], v[166:167]
	v_fma_f64 v[206:207], v[4:5], v[166:167], -v[168:169]
	v_add_f64_e32 v[208:209], v[164:165], v[162:163]
	v_add_f64_e32 v[198:199], v[198:199], v[200:201]
	ds_load_b128 v[4:7], v2 offset:1472
	ds_load_b128 v[162:165], v2 offset:1488
	scratch_load_b128 v[166:169], off, off offset:608
	v_fmac_f64_e32 v[202:203], v[26:27], v[170:171]
	v_fma_f64 v[170:171], v[24:25], v[170:171], -v[172:173]
	scratch_load_b128 v[24:27], off, off offset:624
	s_wait_loadcnt_dscnt 0xc01
	v_mul_f64_e32 v[200:201], v[4:5], v[180:181]
	v_mul_f64_e32 v[180:181], v[6:7], v[180:181]
	;; [unrolled: 18-line block ×5, first 2 shown]
	v_add_f64_e32 v[192:193], v[208:209], v[206:207]
	v_add_f64_e32 v[198:199], v[198:199], v[204:205]
	s_wait_loadcnt_dscnt 0xa00
	v_mul_f64_e32 v[204:205], v[170:171], v[14:15]
	v_mul_f64_e32 v[14:15], v[172:173], v[14:15]
	v_fmac_f64_e32 v[200:201], v[6:7], v[174:175]
	v_fma_f64 v[206:207], v[4:5], v[174:175], -v[176:177]
	ds_load_b128 v[4:7], v2 offset:1600
	ds_load_b128 v[174:177], v2 offset:1616
	v_add_f64_e32 v[208:209], v[192:193], v[190:191]
	v_add_f64_e32 v[198:199], v[198:199], v[202:203]
	scratch_load_b128 v[190:193], off, off offset:736
	v_fmac_f64_e32 v[204:205], v[172:173], v[12:13]
	v_fma_f64 v[170:171], v[170:171], v[12:13], -v[14:15]
	scratch_load_b128 v[12:15], off, off offset:752
	s_wait_loadcnt_dscnt 0xb01
	v_mul_f64_e32 v[202:203], v[4:5], v[30:31]
	v_mul_f64_e32 v[30:31], v[6:7], v[30:31]
	v_add_f64_e32 v[172:173], v[208:209], v[206:207]
	v_add_f64_e32 v[198:199], v[198:199], v[200:201]
	s_wait_loadcnt_dscnt 0xa00
	v_mul_f64_e32 v[200:201], v[174:175], v[22:23]
	v_mul_f64_e32 v[22:23], v[176:177], v[22:23]
	v_fmac_f64_e32 v[202:203], v[6:7], v[28:29]
	v_fma_f64 v[206:207], v[4:5], v[28:29], -v[30:31]
	ds_load_b128 v[4:7], v2 offset:1632
	ds_load_b128 v[28:31], v2 offset:1648
	v_add_f64_e32 v[208:209], v[172:173], v[170:171]
	v_add_f64_e32 v[198:199], v[198:199], v[204:205]
	scratch_load_b128 v[170:173], off, off offset:768
	s_wait_loadcnt_dscnt 0xa01
	v_mul_f64_e32 v[204:205], v[4:5], v[168:169]
	v_mul_f64_e32 v[168:169], v[6:7], v[168:169]
	v_fmac_f64_e32 v[200:201], v[176:177], v[20:21]
	v_fma_f64 v[174:175], v[174:175], v[20:21], -v[22:23]
	scratch_load_b128 v[20:23], off, off offset:784
	v_add_f64_e32 v[176:177], v[208:209], v[206:207]
	v_add_f64_e32 v[198:199], v[198:199], v[202:203]
	s_wait_loadcnt_dscnt 0xa00
	v_mul_f64_e32 v[202:203], v[28:29], v[26:27]
	v_mul_f64_e32 v[26:27], v[30:31], v[26:27]
	v_fmac_f64_e32 v[204:205], v[6:7], v[166:167]
	v_fma_f64 v[206:207], v[4:5], v[166:167], -v[168:169]
	ds_load_b128 v[4:7], v2 offset:1664
	ds_load_b128 v[166:169], v2 offset:1680
	v_add_f64_e32 v[208:209], v[176:177], v[174:175]
	v_add_f64_e32 v[198:199], v[198:199], v[200:201]
	scratch_load_b128 v[174:177], off, off offset:800
	s_wait_loadcnt_dscnt 0xa01
	v_mul_f64_e32 v[200:201], v[4:5], v[180:181]
	v_mul_f64_e32 v[180:181], v[6:7], v[180:181]
	v_fmac_f64_e32 v[202:203], v[30:31], v[24:25]
	v_fma_f64 v[28:29], v[28:29], v[24:25], -v[26:27]
	scratch_load_b128 v[24:27], off, off offset:816
	v_add_f64_e32 v[30:31], v[208:209], v[206:207]
	v_add_f64_e32 v[198:199], v[198:199], v[204:205]
	s_wait_loadcnt_dscnt 0xa00
	v_mul_f64_e32 v[204:205], v[166:167], v[164:165]
	v_mul_f64_e32 v[164:165], v[168:169], v[164:165]
	v_fmac_f64_e32 v[200:201], v[6:7], v[178:179]
	v_fma_f64 v[206:207], v[4:5], v[178:179], -v[180:181]
	v_add_f64_e32 v[208:209], v[30:31], v[28:29]
	v_add_f64_e32 v[198:199], v[198:199], v[202:203]
	ds_load_b128 v[4:7], v2 offset:1696
	ds_load_b128 v[28:31], v2 offset:1712
	scratch_load_b128 v[178:181], off, off offset:832
	v_fmac_f64_e32 v[204:205], v[168:169], v[162:163]
	v_fma_f64 v[166:167], v[166:167], v[162:163], -v[164:165]
	scratch_load_b128 v[162:165], off, off offset:848
	s_wait_loadcnt_dscnt 0xb01
	v_mul_f64_e32 v[202:203], v[4:5], v[196:197]
	v_mul_f64_e32 v[196:197], v[6:7], v[196:197]
	v_add_f64_e32 v[168:169], v[208:209], v[206:207]
	v_add_f64_e32 v[198:199], v[198:199], v[200:201]
	s_wait_loadcnt_dscnt 0xa00
	v_mul_f64_e32 v[200:201], v[28:29], v[10:11]
	v_mul_f64_e32 v[10:11], v[30:31], v[10:11]
	v_fmac_f64_e32 v[202:203], v[6:7], v[194:195]
	v_fma_f64 v[206:207], v[4:5], v[194:195], -v[196:197]
	v_add_f64_e32 v[208:209], v[168:169], v[166:167]
	v_add_f64_e32 v[198:199], v[198:199], v[204:205]
	ds_load_b128 v[4:7], v2 offset:1728
	ds_load_b128 v[166:169], v2 offset:1744
	scratch_load_b128 v[194:197], off, off offset:864
	v_fmac_f64_e32 v[200:201], v[30:31], v[8:9]
	v_fma_f64 v[28:29], v[28:29], v[8:9], -v[10:11]
	scratch_load_b128 v[8:11], off, off offset:880
	s_wait_loadcnt_dscnt 0xb01
	v_mul_f64_e32 v[204:205], v[4:5], v[184:185]
	v_mul_f64_e32 v[184:185], v[6:7], v[184:185]
	;; [unrolled: 18-line block ×6, first 2 shown]
	v_add_f64_e32 v[30:31], v[208:209], v[206:207]
	v_add_f64_e32 v[198:199], v[198:199], v[204:205]
	s_wait_loadcnt_dscnt 0xa00
	v_mul_f64_e32 v[204:205], v[166:167], v[164:165]
	v_mul_f64_e32 v[164:165], v[168:169], v[164:165]
	v_fmac_f64_e32 v[200:201], v[6:7], v[178:179]
	v_fma_f64 v[178:179], v[4:5], v[178:179], -v[180:181]
	v_add_f64_e32 v[180:181], v[30:31], v[28:29]
	v_add_f64_e32 v[198:199], v[198:199], v[202:203]
	ds_load_b128 v[4:7], v2 offset:1888
	ds_load_b128 v[28:31], v2 offset:1904
	v_fmac_f64_e32 v[204:205], v[168:169], v[162:163]
	v_fma_f64 v[162:163], v[166:167], v[162:163], -v[164:165]
	s_wait_loadcnt_dscnt 0x901
	v_mul_f64_e32 v[202:203], v[4:5], v[196:197]
	v_mul_f64_e32 v[196:197], v[6:7], v[196:197]
	s_wait_loadcnt_dscnt 0x800
	v_mul_f64_e32 v[168:169], v[28:29], v[10:11]
	v_mul_f64_e32 v[10:11], v[30:31], v[10:11]
	v_add_f64_e32 v[164:165], v[180:181], v[178:179]
	v_add_f64_e32 v[166:167], v[198:199], v[200:201]
	v_fmac_f64_e32 v[202:203], v[6:7], v[194:195]
	v_fma_f64 v[178:179], v[4:5], v[194:195], -v[196:197]
	v_fmac_f64_e32 v[168:169], v[30:31], v[8:9]
	v_fma_f64 v[8:9], v[28:29], v[8:9], -v[10:11]
	v_add_f64_e32 v[180:181], v[164:165], v[162:163]
	v_add_f64_e32 v[166:167], v[166:167], v[204:205]
	ds_load_b128 v[4:7], v2 offset:1920
	ds_load_b128 v[162:165], v2 offset:1936
	s_wait_loadcnt_dscnt 0x701
	v_mul_f64_e32 v[194:195], v[4:5], v[184:185]
	v_mul_f64_e32 v[184:185], v[6:7], v[184:185]
	s_wait_loadcnt_dscnt 0x600
	v_mul_f64_e32 v[30:31], v[162:163], v[18:19]
	v_mul_f64_e32 v[18:19], v[164:165], v[18:19]
	v_add_f64_e32 v[10:11], v[180:181], v[178:179]
	v_add_f64_e32 v[28:29], v[166:167], v[202:203]
	v_fmac_f64_e32 v[194:195], v[6:7], v[182:183]
	v_fma_f64 v[166:167], v[4:5], v[182:183], -v[184:185]
	v_fmac_f64_e32 v[30:31], v[164:165], v[16:17]
	v_fma_f64 v[16:17], v[162:163], v[16:17], -v[18:19]
	v_add_f64_e32 v[178:179], v[10:11], v[8:9]
	v_add_f64_e32 v[28:29], v[28:29], v[168:169]
	ds_load_b128 v[4:7], v2 offset:1952
	ds_load_b128 v[8:11], v2 offset:1968
	;; [unrolled: 16-line block ×3, first 2 shown]
	s_wait_loadcnt_dscnt 0x301
	v_mul_f64_e32 v[30:31], v[4:5], v[172:173]
	v_mul_f64_e32 v[172:173], v[6:7], v[172:173]
	v_add_f64_e32 v[10:11], v[18:19], v[166:167]
	v_add_f64_e32 v[12:13], v[28:29], v[168:169]
	s_wait_loadcnt_dscnt 0x200
	v_mul_f64_e32 v[18:19], v[14:15], v[22:23]
	v_mul_f64_e32 v[22:23], v[16:17], v[22:23]
	v_fmac_f64_e32 v[30:31], v[6:7], v[170:171]
	v_fma_f64 v[28:29], v[4:5], v[170:171], -v[172:173]
	v_add_f64_e32 v[164:165], v[10:11], v[8:9]
	v_add_f64_e32 v[12:13], v[12:13], v[162:163]
	ds_load_b128 v[4:7], v2 offset:2016
	ds_load_b128 v[8:11], v2 offset:2032
	v_fmac_f64_e32 v[18:19], v[16:17], v[20:21]
	v_fma_f64 v[14:15], v[14:15], v[20:21], -v[22:23]
	s_wait_loadcnt_dscnt 0x101
	v_mul_f64_e32 v[2:3], v[4:5], v[176:177]
	v_mul_f64_e32 v[162:163], v[6:7], v[176:177]
	s_wait_loadcnt_dscnt 0x0
	v_mul_f64_e32 v[20:21], v[8:9], v[26:27]
	v_mul_f64_e32 v[22:23], v[10:11], v[26:27]
	v_add_f64_e32 v[16:17], v[164:165], v[28:29]
	v_add_f64_e32 v[12:13], v[12:13], v[30:31]
	v_fmac_f64_e32 v[2:3], v[6:7], v[174:175]
	v_fma_f64 v[4:5], v[4:5], v[174:175], -v[162:163]
	v_fmac_f64_e32 v[20:21], v[10:11], v[24:25]
	v_fma_f64 v[8:9], v[8:9], v[24:25], -v[22:23]
	v_add_f64_e32 v[6:7], v[16:17], v[14:15]
	v_add_f64_e32 v[12:13], v[12:13], v[18:19]
	s_delay_alu instid0(VALU_DEP_2) | instskip(NEXT) | instid1(VALU_DEP_2)
	v_add_f64_e32 v[4:5], v[6:7], v[4:5]
	v_add_f64_e32 v[2:3], v[12:13], v[2:3]
	s_delay_alu instid0(VALU_DEP_2) | instskip(NEXT) | instid1(VALU_DEP_2)
	;; [unrolled: 3-line block ×3, first 2 shown]
	v_add_f64_e64 v[2:3], v[186:187], -v[4:5]
	v_add_f64_e64 v[4:5], v[188:189], -v[6:7]
	scratch_store_b128 off, v[2:5], off offset:272
	s_wait_xcnt 0x0
	v_cmpx_lt_u32_e32 16, v1
	s_cbranch_execz .LBB127_377
; %bb.376:
	scratch_load_b128 v[2:5], off, s66
	v_mov_b32_e32 v6, 0
	s_delay_alu instid0(VALU_DEP_1)
	v_dual_mov_b32 v7, v6 :: v_dual_mov_b32 v8, v6
	v_mov_b32_e32 v9, v6
	scratch_store_b128 off, v[6:9], off offset:256
	s_wait_loadcnt 0x0
	ds_store_b128 v160, v[2:5]
.LBB127_377:
	s_wait_xcnt 0x0
	s_or_b32 exec_lo, exec_lo, s2
	s_wait_storecnt_dscnt 0x0
	s_barrier_signal -1
	s_barrier_wait -1
	s_clause 0x9
	scratch_load_b128 v[4:7], off, off offset:272
	scratch_load_b128 v[8:11], off, off offset:288
	;; [unrolled: 1-line block ×10, first 2 shown]
	v_mov_b32_e32 v2, 0
	s_mov_b32 s2, exec_lo
	ds_load_b128 v[174:177], v2 offset:1296
	s_clause 0x2
	scratch_load_b128 v[178:181], off, off offset:432
	scratch_load_b128 v[182:185], off, off offset:256
	;; [unrolled: 1-line block ×3, first 2 shown]
	s_wait_loadcnt_dscnt 0xc00
	v_mul_f64_e32 v[194:195], v[176:177], v[6:7]
	v_mul_f64_e32 v[198:199], v[174:175], v[6:7]
	ds_load_b128 v[186:189], v2 offset:1312
	v_fma_f64 v[202:203], v[174:175], v[4:5], -v[194:195]
	v_fmac_f64_e32 v[198:199], v[176:177], v[4:5]
	ds_load_b128 v[4:7], v2 offset:1328
	s_wait_loadcnt_dscnt 0xb01
	v_mul_f64_e32 v[200:201], v[186:187], v[10:11]
	v_mul_f64_e32 v[10:11], v[188:189], v[10:11]
	scratch_load_b128 v[174:177], off, off offset:464
	ds_load_b128 v[194:197], v2 offset:1344
	s_wait_loadcnt_dscnt 0xb01
	v_mul_f64_e32 v[204:205], v[4:5], v[14:15]
	v_mul_f64_e32 v[14:15], v[6:7], v[14:15]
	v_add_f64_e32 v[198:199], 0, v[198:199]
	v_fmac_f64_e32 v[200:201], v[188:189], v[8:9]
	v_fma_f64 v[186:187], v[186:187], v[8:9], -v[10:11]
	v_add_f64_e32 v[188:189], 0, v[202:203]
	scratch_load_b128 v[8:11], off, off offset:480
	v_fmac_f64_e32 v[204:205], v[6:7], v[12:13]
	v_fma_f64 v[206:207], v[4:5], v[12:13], -v[14:15]
	ds_load_b128 v[4:7], v2 offset:1360
	s_wait_loadcnt_dscnt 0xb01
	v_mul_f64_e32 v[202:203], v[194:195], v[18:19]
	v_mul_f64_e32 v[18:19], v[196:197], v[18:19]
	scratch_load_b128 v[12:15], off, off offset:496
	v_add_f64_e32 v[198:199], v[198:199], v[200:201]
	v_add_f64_e32 v[208:209], v[188:189], v[186:187]
	ds_load_b128 v[186:189], v2 offset:1376
	s_wait_loadcnt_dscnt 0xb01
	v_mul_f64_e32 v[200:201], v[4:5], v[22:23]
	v_mul_f64_e32 v[22:23], v[6:7], v[22:23]
	v_fmac_f64_e32 v[202:203], v[196:197], v[16:17]
	v_fma_f64 v[194:195], v[194:195], v[16:17], -v[18:19]
	scratch_load_b128 v[16:19], off, off offset:512
	v_add_f64_e32 v[198:199], v[198:199], v[204:205]
	v_add_f64_e32 v[196:197], v[208:209], v[206:207]
	v_fmac_f64_e32 v[200:201], v[6:7], v[20:21]
	v_fma_f64 v[206:207], v[4:5], v[20:21], -v[22:23]
	ds_load_b128 v[4:7], v2 offset:1392
	s_wait_loadcnt_dscnt 0xb01
	v_mul_f64_e32 v[204:205], v[186:187], v[26:27]
	v_mul_f64_e32 v[26:27], v[188:189], v[26:27]
	scratch_load_b128 v[20:23], off, off offset:528
	v_add_f64_e32 v[198:199], v[198:199], v[202:203]
	s_wait_loadcnt_dscnt 0xb00
	v_mul_f64_e32 v[202:203], v[4:5], v[30:31]
	v_add_f64_e32 v[208:209], v[196:197], v[194:195]
	v_mul_f64_e32 v[30:31], v[6:7], v[30:31]
	ds_load_b128 v[194:197], v2 offset:1408
	v_fmac_f64_e32 v[204:205], v[188:189], v[24:25]
	v_fma_f64 v[186:187], v[186:187], v[24:25], -v[26:27]
	scratch_load_b128 v[24:27], off, off offset:544
	v_add_f64_e32 v[198:199], v[198:199], v[200:201]
	v_fmac_f64_e32 v[202:203], v[6:7], v[28:29]
	v_add_f64_e32 v[188:189], v[208:209], v[206:207]
	v_fma_f64 v[206:207], v[4:5], v[28:29], -v[30:31]
	ds_load_b128 v[4:7], v2 offset:1424
	s_wait_loadcnt_dscnt 0xb01
	v_mul_f64_e32 v[200:201], v[194:195], v[164:165]
	v_mul_f64_e32 v[164:165], v[196:197], v[164:165]
	scratch_load_b128 v[28:31], off, off offset:560
	v_add_f64_e32 v[198:199], v[198:199], v[204:205]
	s_wait_loadcnt_dscnt 0xb00
	v_mul_f64_e32 v[204:205], v[4:5], v[168:169]
	v_add_f64_e32 v[208:209], v[188:189], v[186:187]
	v_mul_f64_e32 v[168:169], v[6:7], v[168:169]
	ds_load_b128 v[186:189], v2 offset:1440
	v_fmac_f64_e32 v[200:201], v[196:197], v[162:163]
	v_fma_f64 v[194:195], v[194:195], v[162:163], -v[164:165]
	scratch_load_b128 v[162:165], off, off offset:576
	v_add_f64_e32 v[198:199], v[198:199], v[202:203]
	v_fmac_f64_e32 v[204:205], v[6:7], v[166:167]
	v_add_f64_e32 v[196:197], v[208:209], v[206:207]
	;; [unrolled: 18-line block ×3, first 2 shown]
	v_fma_f64 v[206:207], v[4:5], v[178:179], -v[180:181]
	ds_load_b128 v[4:7], v2 offset:1488
	s_wait_loadcnt_dscnt 0xa01
	v_mul_f64_e32 v[204:205], v[194:195], v[192:193]
	v_mul_f64_e32 v[192:193], v[196:197], v[192:193]
	scratch_load_b128 v[178:181], off, off offset:624
	v_add_f64_e32 v[198:199], v[198:199], v[202:203]
	v_add_f64_e32 v[208:209], v[188:189], v[186:187]
	s_wait_loadcnt_dscnt 0xa00
	v_mul_f64_e32 v[202:203], v[4:5], v[176:177]
	v_mul_f64_e32 v[176:177], v[6:7], v[176:177]
	v_fmac_f64_e32 v[204:205], v[196:197], v[190:191]
	v_fma_f64 v[194:195], v[194:195], v[190:191], -v[192:193]
	ds_load_b128 v[186:189], v2 offset:1504
	scratch_load_b128 v[190:193], off, off offset:640
	v_add_f64_e32 v[198:199], v[198:199], v[200:201]
	v_add_f64_e32 v[196:197], v[208:209], v[206:207]
	v_fmac_f64_e32 v[202:203], v[6:7], v[174:175]
	v_fma_f64 v[206:207], v[4:5], v[174:175], -v[176:177]
	ds_load_b128 v[4:7], v2 offset:1520
	s_wait_loadcnt_dscnt 0xa01
	v_mul_f64_e32 v[200:201], v[186:187], v[10:11]
	v_mul_f64_e32 v[10:11], v[188:189], v[10:11]
	scratch_load_b128 v[174:177], off, off offset:656
	v_add_f64_e32 v[198:199], v[198:199], v[204:205]
	s_wait_loadcnt_dscnt 0xa00
	v_mul_f64_e32 v[204:205], v[4:5], v[14:15]
	v_add_f64_e32 v[208:209], v[196:197], v[194:195]
	v_mul_f64_e32 v[14:15], v[6:7], v[14:15]
	ds_load_b128 v[194:197], v2 offset:1536
	v_fmac_f64_e32 v[200:201], v[188:189], v[8:9]
	v_fma_f64 v[186:187], v[186:187], v[8:9], -v[10:11]
	scratch_load_b128 v[8:11], off, off offset:672
	v_add_f64_e32 v[198:199], v[198:199], v[202:203]
	v_fmac_f64_e32 v[204:205], v[6:7], v[12:13]
	v_add_f64_e32 v[188:189], v[208:209], v[206:207]
	v_fma_f64 v[206:207], v[4:5], v[12:13], -v[14:15]
	ds_load_b128 v[4:7], v2 offset:1552
	s_wait_loadcnt_dscnt 0xa01
	v_mul_f64_e32 v[202:203], v[194:195], v[18:19]
	v_mul_f64_e32 v[18:19], v[196:197], v[18:19]
	scratch_load_b128 v[12:15], off, off offset:688
	v_add_f64_e32 v[198:199], v[198:199], v[200:201]
	s_wait_loadcnt_dscnt 0xa00
	v_mul_f64_e32 v[200:201], v[4:5], v[22:23]
	v_add_f64_e32 v[208:209], v[188:189], v[186:187]
	v_mul_f64_e32 v[22:23], v[6:7], v[22:23]
	ds_load_b128 v[186:189], v2 offset:1568
	v_fmac_f64_e32 v[202:203], v[196:197], v[16:17]
	v_fma_f64 v[194:195], v[194:195], v[16:17], -v[18:19]
	scratch_load_b128 v[16:19], off, off offset:704
	v_add_f64_e32 v[198:199], v[198:199], v[204:205]
	v_fmac_f64_e32 v[200:201], v[6:7], v[20:21]
	v_add_f64_e32 v[196:197], v[208:209], v[206:207]
	;; [unrolled: 18-line block ×11, first 2 shown]
	v_fma_f64 v[206:207], v[4:5], v[178:179], -v[180:181]
	ds_load_b128 v[4:7], v2 offset:1872
	s_wait_loadcnt_dscnt 0xa01
	v_mul_f64_e32 v[204:205], v[194:195], v[192:193]
	v_mul_f64_e32 v[192:193], v[196:197], v[192:193]
	scratch_load_b128 v[178:181], off, off offset:1008
	v_add_f64_e32 v[198:199], v[198:199], v[202:203]
	s_wait_loadcnt_dscnt 0xa00
	v_mul_f64_e32 v[202:203], v[4:5], v[176:177]
	v_add_f64_e32 v[208:209], v[188:189], v[186:187]
	v_mul_f64_e32 v[176:177], v[6:7], v[176:177]
	ds_load_b128 v[186:189], v2 offset:1888
	v_fmac_f64_e32 v[204:205], v[196:197], v[190:191]
	v_fma_f64 v[190:191], v[194:195], v[190:191], -v[192:193]
	s_wait_loadcnt_dscnt 0x900
	v_mul_f64_e32 v[196:197], v[186:187], v[10:11]
	v_mul_f64_e32 v[10:11], v[188:189], v[10:11]
	v_add_f64_e32 v[194:195], v[198:199], v[200:201]
	v_fmac_f64_e32 v[202:203], v[6:7], v[174:175]
	v_add_f64_e32 v[192:193], v[208:209], v[206:207]
	v_fma_f64 v[198:199], v[4:5], v[174:175], -v[176:177]
	ds_load_b128 v[4:7], v2 offset:1904
	ds_load_b128 v[174:177], v2 offset:1920
	v_fmac_f64_e32 v[196:197], v[188:189], v[8:9]
	v_fma_f64 v[8:9], v[186:187], v[8:9], -v[10:11]
	v_add_f64_e32 v[190:191], v[192:193], v[190:191]
	v_add_f64_e32 v[192:193], v[194:195], v[204:205]
	s_wait_loadcnt_dscnt 0x801
	v_mul_f64_e32 v[194:195], v[4:5], v[14:15]
	v_mul_f64_e32 v[14:15], v[6:7], v[14:15]
	s_wait_loadcnt_dscnt 0x700
	v_mul_f64_e32 v[188:189], v[174:175], v[18:19]
	v_mul_f64_e32 v[18:19], v[176:177], v[18:19]
	v_add_f64_e32 v[10:11], v[190:191], v[198:199]
	v_add_f64_e32 v[186:187], v[192:193], v[202:203]
	v_fmac_f64_e32 v[194:195], v[6:7], v[12:13]
	v_fma_f64 v[12:13], v[4:5], v[12:13], -v[14:15]
	v_fmac_f64_e32 v[188:189], v[176:177], v[16:17]
	v_fma_f64 v[16:17], v[174:175], v[16:17], -v[18:19]
	v_add_f64_e32 v[14:15], v[10:11], v[8:9]
	v_add_f64_e32 v[186:187], v[186:187], v[196:197]
	ds_load_b128 v[4:7], v2 offset:1936
	ds_load_b128 v[8:11], v2 offset:1952
	s_wait_loadcnt_dscnt 0x601
	v_mul_f64_e32 v[190:191], v[4:5], v[22:23]
	v_mul_f64_e32 v[22:23], v[6:7], v[22:23]
	s_wait_loadcnt_dscnt 0x500
	v_mul_f64_e32 v[18:19], v[8:9], v[26:27]
	v_mul_f64_e32 v[26:27], v[10:11], v[26:27]
	v_add_f64_e32 v[12:13], v[14:15], v[12:13]
	v_add_f64_e32 v[14:15], v[186:187], v[194:195]
	v_fmac_f64_e32 v[190:191], v[6:7], v[20:21]
	v_fma_f64 v[20:21], v[4:5], v[20:21], -v[22:23]
	v_fmac_f64_e32 v[18:19], v[10:11], v[24:25]
	v_fma_f64 v[8:9], v[8:9], v[24:25], -v[26:27]
	v_add_f64_e32 v[16:17], v[12:13], v[16:17]
	v_add_f64_e32 v[22:23], v[14:15], v[188:189]
	ds_load_b128 v[4:7], v2 offset:1968
	ds_load_b128 v[12:15], v2 offset:1984
	s_wait_loadcnt_dscnt 0x401
	v_mul_f64_e32 v[174:175], v[4:5], v[30:31]
	v_mul_f64_e32 v[30:31], v[6:7], v[30:31]
	v_add_f64_e32 v[10:11], v[16:17], v[20:21]
	v_add_f64_e32 v[16:17], v[22:23], v[190:191]
	s_wait_loadcnt_dscnt 0x300
	v_mul_f64_e32 v[20:21], v[12:13], v[164:165]
	v_mul_f64_e32 v[22:23], v[14:15], v[164:165]
	v_fmac_f64_e32 v[174:175], v[6:7], v[28:29]
	v_fma_f64 v[24:25], v[4:5], v[28:29], -v[30:31]
	v_add_f64_e32 v[26:27], v[10:11], v[8:9]
	v_add_f64_e32 v[16:17], v[16:17], v[18:19]
	ds_load_b128 v[4:7], v2 offset:2000
	ds_load_b128 v[8:11], v2 offset:2016
	v_fmac_f64_e32 v[20:21], v[14:15], v[162:163]
	v_fma_f64 v[12:13], v[12:13], v[162:163], -v[22:23]
	s_wait_loadcnt_dscnt 0x201
	v_mul_f64_e32 v[18:19], v[4:5], v[168:169]
	v_mul_f64_e32 v[28:29], v[6:7], v[168:169]
	s_wait_loadcnt_dscnt 0x100
	v_mul_f64_e32 v[22:23], v[8:9], v[172:173]
	v_add_f64_e32 v[14:15], v[26:27], v[24:25]
	v_add_f64_e32 v[16:17], v[16:17], v[174:175]
	v_mul_f64_e32 v[24:25], v[10:11], v[172:173]
	v_fmac_f64_e32 v[18:19], v[6:7], v[166:167]
	v_fma_f64 v[26:27], v[4:5], v[166:167], -v[28:29]
	ds_load_b128 v[4:7], v2 offset:2032
	v_fmac_f64_e32 v[22:23], v[10:11], v[170:171]
	v_add_f64_e32 v[12:13], v[14:15], v[12:13]
	v_add_f64_e32 v[14:15], v[16:17], v[20:21]
	v_fma_f64 v[8:9], v[8:9], v[170:171], -v[24:25]
	s_wait_loadcnt_dscnt 0x0
	v_mul_f64_e32 v[16:17], v[4:5], v[180:181]
	v_mul_f64_e32 v[20:21], v[6:7], v[180:181]
	v_add_f64_e32 v[10:11], v[12:13], v[26:27]
	v_add_f64_e32 v[12:13], v[14:15], v[18:19]
	s_delay_alu instid0(VALU_DEP_4) | instskip(NEXT) | instid1(VALU_DEP_4)
	v_fmac_f64_e32 v[16:17], v[6:7], v[178:179]
	v_fma_f64 v[4:5], v[4:5], v[178:179], -v[20:21]
	s_delay_alu instid0(VALU_DEP_4) | instskip(NEXT) | instid1(VALU_DEP_4)
	v_add_f64_e32 v[6:7], v[10:11], v[8:9]
	v_add_f64_e32 v[8:9], v[12:13], v[22:23]
	s_delay_alu instid0(VALU_DEP_2) | instskip(NEXT) | instid1(VALU_DEP_2)
	v_add_f64_e32 v[4:5], v[6:7], v[4:5]
	v_add_f64_e32 v[6:7], v[8:9], v[16:17]
	s_delay_alu instid0(VALU_DEP_2) | instskip(NEXT) | instid1(VALU_DEP_2)
	v_add_f64_e64 v[4:5], v[182:183], -v[4:5]
	v_add_f64_e64 v[6:7], v[184:185], -v[6:7]
	scratch_store_b128 off, v[4:7], off offset:256
	s_wait_xcnt 0x0
	v_cmpx_lt_u32_e32 15, v1
	s_cbranch_execz .LBB127_379
; %bb.378:
	scratch_load_b128 v[6:9], off, s67
	v_dual_mov_b32 v3, v2 :: v_dual_mov_b32 v4, v2
	v_mov_b32_e32 v5, v2
	scratch_store_b128 off, v[2:5], off offset:240
	s_wait_loadcnt 0x0
	ds_store_b128 v160, v[6:9]
.LBB127_379:
	s_wait_xcnt 0x0
	s_or_b32 exec_lo, exec_lo, s2
	s_wait_storecnt_dscnt 0x0
	s_barrier_signal -1
	s_barrier_wait -1
	s_clause 0x9
	scratch_load_b128 v[4:7], off, off offset:256
	scratch_load_b128 v[8:11], off, off offset:272
	;; [unrolled: 1-line block ×10, first 2 shown]
	ds_load_b128 v[174:177], v2 offset:1280
	ds_load_b128 v[182:185], v2 offset:1296
	s_clause 0x2
	scratch_load_b128 v[178:181], off, off offset:416
	scratch_load_b128 v[186:189], off, off offset:240
	;; [unrolled: 1-line block ×3, first 2 shown]
	s_mov_b32 s2, exec_lo
	s_wait_loadcnt_dscnt 0xc01
	v_mul_f64_e32 v[194:195], v[176:177], v[6:7]
	v_mul_f64_e32 v[198:199], v[174:175], v[6:7]
	s_wait_loadcnt_dscnt 0xb00
	v_mul_f64_e32 v[200:201], v[182:183], v[10:11]
	v_mul_f64_e32 v[10:11], v[184:185], v[10:11]
	s_delay_alu instid0(VALU_DEP_4) | instskip(NEXT) | instid1(VALU_DEP_4)
	v_fma_f64 v[202:203], v[174:175], v[4:5], -v[194:195]
	v_fmac_f64_e32 v[198:199], v[176:177], v[4:5]
	ds_load_b128 v[4:7], v2 offset:1312
	ds_load_b128 v[174:177], v2 offset:1328
	scratch_load_b128 v[194:197], off, off offset:448
	v_fmac_f64_e32 v[200:201], v[184:185], v[8:9]
	v_fma_f64 v[182:183], v[182:183], v[8:9], -v[10:11]
	scratch_load_b128 v[8:11], off, off offset:464
	s_wait_loadcnt_dscnt 0xc01
	v_mul_f64_e32 v[204:205], v[4:5], v[14:15]
	v_mul_f64_e32 v[14:15], v[6:7], v[14:15]
	v_add_f64_e32 v[184:185], 0, v[202:203]
	v_add_f64_e32 v[198:199], 0, v[198:199]
	s_wait_loadcnt_dscnt 0xb00
	v_mul_f64_e32 v[202:203], v[174:175], v[18:19]
	v_mul_f64_e32 v[18:19], v[176:177], v[18:19]
	v_fmac_f64_e32 v[204:205], v[6:7], v[12:13]
	v_fma_f64 v[206:207], v[4:5], v[12:13], -v[14:15]
	ds_load_b128 v[4:7], v2 offset:1344
	ds_load_b128 v[12:15], v2 offset:1360
	v_add_f64_e32 v[208:209], v[184:185], v[182:183]
	v_add_f64_e32 v[198:199], v[198:199], v[200:201]
	scratch_load_b128 v[182:185], off, off offset:480
	v_fmac_f64_e32 v[202:203], v[176:177], v[16:17]
	v_fma_f64 v[174:175], v[174:175], v[16:17], -v[18:19]
	scratch_load_b128 v[16:19], off, off offset:496
	s_wait_loadcnt_dscnt 0xc01
	v_mul_f64_e32 v[200:201], v[4:5], v[22:23]
	v_mul_f64_e32 v[22:23], v[6:7], v[22:23]
	v_add_f64_e32 v[176:177], v[208:209], v[206:207]
	v_add_f64_e32 v[198:199], v[198:199], v[204:205]
	s_wait_loadcnt_dscnt 0xb00
	v_mul_f64_e32 v[204:205], v[12:13], v[26:27]
	v_mul_f64_e32 v[26:27], v[14:15], v[26:27]
	v_fmac_f64_e32 v[200:201], v[6:7], v[20:21]
	v_fma_f64 v[206:207], v[4:5], v[20:21], -v[22:23]
	ds_load_b128 v[4:7], v2 offset:1376
	ds_load_b128 v[20:23], v2 offset:1392
	v_add_f64_e32 v[208:209], v[176:177], v[174:175]
	v_add_f64_e32 v[198:199], v[198:199], v[202:203]
	scratch_load_b128 v[174:177], off, off offset:512
	s_wait_loadcnt_dscnt 0xb01
	v_mul_f64_e32 v[202:203], v[4:5], v[30:31]
	v_mul_f64_e32 v[30:31], v[6:7], v[30:31]
	v_fmac_f64_e32 v[204:205], v[14:15], v[24:25]
	v_fma_f64 v[24:25], v[12:13], v[24:25], -v[26:27]
	scratch_load_b128 v[12:15], off, off offset:528
	v_add_f64_e32 v[26:27], v[208:209], v[206:207]
	v_add_f64_e32 v[198:199], v[198:199], v[200:201]
	s_wait_loadcnt_dscnt 0xb00
	v_mul_f64_e32 v[200:201], v[20:21], v[164:165]
	v_mul_f64_e32 v[164:165], v[22:23], v[164:165]
	v_fmac_f64_e32 v[202:203], v[6:7], v[28:29]
	v_fma_f64 v[206:207], v[4:5], v[28:29], -v[30:31]
	v_add_f64_e32 v[208:209], v[26:27], v[24:25]
	v_add_f64_e32 v[198:199], v[198:199], v[204:205]
	ds_load_b128 v[4:7], v2 offset:1408
	ds_load_b128 v[24:27], v2 offset:1424
	scratch_load_b128 v[28:31], off, off offset:544
	v_fmac_f64_e32 v[200:201], v[22:23], v[162:163]
	v_fma_f64 v[162:163], v[20:21], v[162:163], -v[164:165]
	scratch_load_b128 v[20:23], off, off offset:560
	s_wait_loadcnt_dscnt 0xc01
	v_mul_f64_e32 v[204:205], v[4:5], v[168:169]
	v_mul_f64_e32 v[168:169], v[6:7], v[168:169]
	v_add_f64_e32 v[164:165], v[208:209], v[206:207]
	v_add_f64_e32 v[198:199], v[198:199], v[202:203]
	s_wait_loadcnt_dscnt 0xb00
	v_mul_f64_e32 v[202:203], v[24:25], v[172:173]
	v_mul_f64_e32 v[172:173], v[26:27], v[172:173]
	v_fmac_f64_e32 v[204:205], v[6:7], v[166:167]
	v_fma_f64 v[206:207], v[4:5], v[166:167], -v[168:169]
	v_add_f64_e32 v[208:209], v[164:165], v[162:163]
	v_add_f64_e32 v[198:199], v[198:199], v[200:201]
	ds_load_b128 v[4:7], v2 offset:1440
	ds_load_b128 v[162:165], v2 offset:1456
	scratch_load_b128 v[166:169], off, off offset:576
	v_fmac_f64_e32 v[202:203], v[26:27], v[170:171]
	v_fma_f64 v[170:171], v[24:25], v[170:171], -v[172:173]
	scratch_load_b128 v[24:27], off, off offset:592
	s_wait_loadcnt_dscnt 0xc01
	v_mul_f64_e32 v[200:201], v[4:5], v[180:181]
	v_mul_f64_e32 v[180:181], v[6:7], v[180:181]
	v_add_f64_e32 v[172:173], v[208:209], v[206:207]
	v_add_f64_e32 v[198:199], v[198:199], v[204:205]
	s_wait_loadcnt_dscnt 0xa00
	v_mul_f64_e32 v[204:205], v[162:163], v[192:193]
	v_mul_f64_e32 v[192:193], v[164:165], v[192:193]
	v_fmac_f64_e32 v[200:201], v[6:7], v[178:179]
	v_fma_f64 v[206:207], v[4:5], v[178:179], -v[180:181]
	v_add_f64_e32 v[208:209], v[172:173], v[170:171]
	v_add_f64_e32 v[198:199], v[198:199], v[202:203]
	ds_load_b128 v[4:7], v2 offset:1472
	ds_load_b128 v[170:173], v2 offset:1488
	scratch_load_b128 v[178:181], off, off offset:608
	v_fmac_f64_e32 v[204:205], v[164:165], v[190:191]
	v_fma_f64 v[190:191], v[162:163], v[190:191], -v[192:193]
	scratch_load_b128 v[162:165], off, off offset:624
	s_wait_loadcnt_dscnt 0xb01
	v_mul_f64_e32 v[202:203], v[4:5], v[196:197]
	v_mul_f64_e32 v[196:197], v[6:7], v[196:197]
	v_add_f64_e32 v[192:193], v[208:209], v[206:207]
	v_add_f64_e32 v[198:199], v[198:199], v[200:201]
	s_wait_loadcnt_dscnt 0xa00
	v_mul_f64_e32 v[200:201], v[170:171], v[10:11]
	v_mul_f64_e32 v[10:11], v[172:173], v[10:11]
	v_fmac_f64_e32 v[202:203], v[6:7], v[194:195]
	v_fma_f64 v[206:207], v[4:5], v[194:195], -v[196:197]
	v_add_f64_e32 v[208:209], v[192:193], v[190:191]
	v_add_f64_e32 v[198:199], v[198:199], v[204:205]
	ds_load_b128 v[4:7], v2 offset:1504
	ds_load_b128 v[190:193], v2 offset:1520
	scratch_load_b128 v[194:197], off, off offset:640
	v_fmac_f64_e32 v[200:201], v[172:173], v[8:9]
	v_fma_f64 v[170:171], v[170:171], v[8:9], -v[10:11]
	scratch_load_b128 v[8:11], off, off offset:656
	s_wait_loadcnt_dscnt 0xb01
	v_mul_f64_e32 v[204:205], v[4:5], v[184:185]
	v_mul_f64_e32 v[184:185], v[6:7], v[184:185]
	v_add_f64_e32 v[172:173], v[208:209], v[206:207]
	v_add_f64_e32 v[198:199], v[198:199], v[202:203]
	s_wait_loadcnt_dscnt 0xa00
	v_mul_f64_e32 v[202:203], v[190:191], v[18:19]
	v_mul_f64_e32 v[18:19], v[192:193], v[18:19]
	v_fmac_f64_e32 v[204:205], v[6:7], v[182:183]
	v_fma_f64 v[206:207], v[4:5], v[182:183], -v[184:185]
	v_add_f64_e32 v[208:209], v[172:173], v[170:171]
	v_add_f64_e32 v[198:199], v[198:199], v[200:201]
	ds_load_b128 v[4:7], v2 offset:1536
	ds_load_b128 v[170:173], v2 offset:1552
	scratch_load_b128 v[182:185], off, off offset:672
	v_fmac_f64_e32 v[202:203], v[192:193], v[16:17]
	v_fma_f64 v[190:191], v[190:191], v[16:17], -v[18:19]
	scratch_load_b128 v[16:19], off, off offset:688
	s_wait_loadcnt_dscnt 0xb01
	v_mul_f64_e32 v[200:201], v[4:5], v[176:177]
	v_mul_f64_e32 v[176:177], v[6:7], v[176:177]
	v_add_f64_e32 v[192:193], v[208:209], v[206:207]
	v_add_f64_e32 v[198:199], v[198:199], v[204:205]
	s_wait_loadcnt_dscnt 0xa00
	v_mul_f64_e32 v[204:205], v[170:171], v[14:15]
	v_mul_f64_e32 v[14:15], v[172:173], v[14:15]
	v_fmac_f64_e32 v[200:201], v[6:7], v[174:175]
	v_fma_f64 v[206:207], v[4:5], v[174:175], -v[176:177]
	ds_load_b128 v[4:7], v2 offset:1568
	ds_load_b128 v[174:177], v2 offset:1584
	v_add_f64_e32 v[208:209], v[192:193], v[190:191]
	v_add_f64_e32 v[198:199], v[198:199], v[202:203]
	scratch_load_b128 v[190:193], off, off offset:704
	v_fmac_f64_e32 v[204:205], v[172:173], v[12:13]
	v_fma_f64 v[170:171], v[170:171], v[12:13], -v[14:15]
	scratch_load_b128 v[12:15], off, off offset:720
	s_wait_loadcnt_dscnt 0xb01
	v_mul_f64_e32 v[202:203], v[4:5], v[30:31]
	v_mul_f64_e32 v[30:31], v[6:7], v[30:31]
	v_add_f64_e32 v[172:173], v[208:209], v[206:207]
	v_add_f64_e32 v[198:199], v[198:199], v[200:201]
	s_wait_loadcnt_dscnt 0xa00
	v_mul_f64_e32 v[200:201], v[174:175], v[22:23]
	v_mul_f64_e32 v[22:23], v[176:177], v[22:23]
	v_fmac_f64_e32 v[202:203], v[6:7], v[28:29]
	v_fma_f64 v[206:207], v[4:5], v[28:29], -v[30:31]
	ds_load_b128 v[4:7], v2 offset:1600
	ds_load_b128 v[28:31], v2 offset:1616
	v_add_f64_e32 v[208:209], v[172:173], v[170:171]
	v_add_f64_e32 v[198:199], v[198:199], v[204:205]
	scratch_load_b128 v[170:173], off, off offset:736
	s_wait_loadcnt_dscnt 0xa01
	v_mul_f64_e32 v[204:205], v[4:5], v[168:169]
	v_mul_f64_e32 v[168:169], v[6:7], v[168:169]
	v_fmac_f64_e32 v[200:201], v[176:177], v[20:21]
	v_fma_f64 v[174:175], v[174:175], v[20:21], -v[22:23]
	scratch_load_b128 v[20:23], off, off offset:752
	v_add_f64_e32 v[176:177], v[208:209], v[206:207]
	v_add_f64_e32 v[198:199], v[198:199], v[202:203]
	s_wait_loadcnt_dscnt 0xa00
	v_mul_f64_e32 v[202:203], v[28:29], v[26:27]
	v_mul_f64_e32 v[26:27], v[30:31], v[26:27]
	v_fmac_f64_e32 v[204:205], v[6:7], v[166:167]
	v_fma_f64 v[206:207], v[4:5], v[166:167], -v[168:169]
	ds_load_b128 v[4:7], v2 offset:1632
	ds_load_b128 v[166:169], v2 offset:1648
	v_add_f64_e32 v[208:209], v[176:177], v[174:175]
	v_add_f64_e32 v[198:199], v[198:199], v[200:201]
	scratch_load_b128 v[174:177], off, off offset:768
	s_wait_loadcnt_dscnt 0xa01
	v_mul_f64_e32 v[200:201], v[4:5], v[180:181]
	v_mul_f64_e32 v[180:181], v[6:7], v[180:181]
	v_fmac_f64_e32 v[202:203], v[30:31], v[24:25]
	v_fma_f64 v[28:29], v[28:29], v[24:25], -v[26:27]
	scratch_load_b128 v[24:27], off, off offset:784
	v_add_f64_e32 v[30:31], v[208:209], v[206:207]
	v_add_f64_e32 v[198:199], v[198:199], v[204:205]
	s_wait_loadcnt_dscnt 0xa00
	v_mul_f64_e32 v[204:205], v[166:167], v[164:165]
	v_mul_f64_e32 v[164:165], v[168:169], v[164:165]
	v_fmac_f64_e32 v[200:201], v[6:7], v[178:179]
	v_fma_f64 v[206:207], v[4:5], v[178:179], -v[180:181]
	v_add_f64_e32 v[208:209], v[30:31], v[28:29]
	v_add_f64_e32 v[198:199], v[198:199], v[202:203]
	ds_load_b128 v[4:7], v2 offset:1664
	ds_load_b128 v[28:31], v2 offset:1680
	scratch_load_b128 v[178:181], off, off offset:800
	v_fmac_f64_e32 v[204:205], v[168:169], v[162:163]
	v_fma_f64 v[166:167], v[166:167], v[162:163], -v[164:165]
	scratch_load_b128 v[162:165], off, off offset:816
	s_wait_loadcnt_dscnt 0xb01
	v_mul_f64_e32 v[202:203], v[4:5], v[196:197]
	v_mul_f64_e32 v[196:197], v[6:7], v[196:197]
	v_add_f64_e32 v[168:169], v[208:209], v[206:207]
	v_add_f64_e32 v[198:199], v[198:199], v[200:201]
	s_wait_loadcnt_dscnt 0xa00
	v_mul_f64_e32 v[200:201], v[28:29], v[10:11]
	v_mul_f64_e32 v[10:11], v[30:31], v[10:11]
	v_fmac_f64_e32 v[202:203], v[6:7], v[194:195]
	v_fma_f64 v[206:207], v[4:5], v[194:195], -v[196:197]
	v_add_f64_e32 v[208:209], v[168:169], v[166:167]
	v_add_f64_e32 v[198:199], v[198:199], v[204:205]
	ds_load_b128 v[4:7], v2 offset:1696
	ds_load_b128 v[166:169], v2 offset:1712
	scratch_load_b128 v[194:197], off, off offset:832
	v_fmac_f64_e32 v[200:201], v[30:31], v[8:9]
	v_fma_f64 v[28:29], v[28:29], v[8:9], -v[10:11]
	scratch_load_b128 v[8:11], off, off offset:848
	s_wait_loadcnt_dscnt 0xb01
	v_mul_f64_e32 v[204:205], v[4:5], v[184:185]
	v_mul_f64_e32 v[184:185], v[6:7], v[184:185]
	;; [unrolled: 18-line block ×7, first 2 shown]
	v_add_f64_e32 v[168:169], v[208:209], v[206:207]
	v_add_f64_e32 v[198:199], v[198:199], v[200:201]
	s_wait_loadcnt_dscnt 0xa00
	v_mul_f64_e32 v[200:201], v[28:29], v[10:11]
	v_mul_f64_e32 v[10:11], v[30:31], v[10:11]
	v_fmac_f64_e32 v[202:203], v[6:7], v[194:195]
	v_fma_f64 v[194:195], v[4:5], v[194:195], -v[196:197]
	v_add_f64_e32 v[196:197], v[168:169], v[166:167]
	v_add_f64_e32 v[198:199], v[198:199], v[204:205]
	ds_load_b128 v[4:7], v2 offset:1888
	ds_load_b128 v[166:169], v2 offset:1904
	v_fmac_f64_e32 v[200:201], v[30:31], v[8:9]
	v_fma_f64 v[8:9], v[28:29], v[8:9], -v[10:11]
	s_wait_loadcnt_dscnt 0x901
	v_mul_f64_e32 v[204:205], v[4:5], v[184:185]
	v_mul_f64_e32 v[184:185], v[6:7], v[184:185]
	s_wait_loadcnt_dscnt 0x800
	v_mul_f64_e32 v[30:31], v[166:167], v[18:19]
	v_mul_f64_e32 v[18:19], v[168:169], v[18:19]
	v_add_f64_e32 v[10:11], v[196:197], v[194:195]
	v_add_f64_e32 v[28:29], v[198:199], v[202:203]
	v_fmac_f64_e32 v[204:205], v[6:7], v[182:183]
	v_fma_f64 v[182:183], v[4:5], v[182:183], -v[184:185]
	v_fmac_f64_e32 v[30:31], v[168:169], v[16:17]
	v_fma_f64 v[16:17], v[166:167], v[16:17], -v[18:19]
	v_add_f64_e32 v[184:185], v[10:11], v[8:9]
	v_add_f64_e32 v[28:29], v[28:29], v[200:201]
	ds_load_b128 v[4:7], v2 offset:1920
	ds_load_b128 v[8:11], v2 offset:1936
	s_wait_loadcnt_dscnt 0x701
	v_mul_f64_e32 v[194:195], v[4:5], v[192:193]
	v_mul_f64_e32 v[192:193], v[6:7], v[192:193]
	s_wait_loadcnt_dscnt 0x600
	v_mul_f64_e32 v[166:167], v[8:9], v[14:15]
	v_mul_f64_e32 v[168:169], v[10:11], v[14:15]
	v_add_f64_e32 v[18:19], v[184:185], v[182:183]
	v_add_f64_e32 v[28:29], v[28:29], v[204:205]
	v_fmac_f64_e32 v[194:195], v[6:7], v[190:191]
	v_fma_f64 v[182:183], v[4:5], v[190:191], -v[192:193]
	v_fmac_f64_e32 v[166:167], v[10:11], v[12:13]
	v_fma_f64 v[8:9], v[8:9], v[12:13], -v[168:169]
	v_add_f64_e32 v[18:19], v[18:19], v[16:17]
	v_add_f64_e32 v[28:29], v[28:29], v[30:31]
	ds_load_b128 v[4:7], v2 offset:1952
	ds_load_b128 v[14:17], v2 offset:1968
	s_wait_loadcnt_dscnt 0x501
	v_mul_f64_e32 v[30:31], v[4:5], v[172:173]
	v_mul_f64_e32 v[172:173], v[6:7], v[172:173]
	v_add_f64_e32 v[10:11], v[18:19], v[182:183]
	v_add_f64_e32 v[12:13], v[28:29], v[194:195]
	s_wait_loadcnt_dscnt 0x400
	v_mul_f64_e32 v[18:19], v[14:15], v[22:23]
	v_mul_f64_e32 v[22:23], v[16:17], v[22:23]
	v_fmac_f64_e32 v[30:31], v[6:7], v[170:171]
	v_fma_f64 v[28:29], v[4:5], v[170:171], -v[172:173]
	v_add_f64_e32 v[168:169], v[10:11], v[8:9]
	v_add_f64_e32 v[12:13], v[12:13], v[166:167]
	ds_load_b128 v[4:7], v2 offset:1984
	ds_load_b128 v[8:11], v2 offset:2000
	v_fmac_f64_e32 v[18:19], v[16:17], v[20:21]
	v_fma_f64 v[14:15], v[14:15], v[20:21], -v[22:23]
	s_wait_loadcnt_dscnt 0x301
	v_mul_f64_e32 v[166:167], v[4:5], v[176:177]
	v_mul_f64_e32 v[170:171], v[6:7], v[176:177]
	s_wait_loadcnt_dscnt 0x200
	v_mul_f64_e32 v[20:21], v[8:9], v[26:27]
	v_mul_f64_e32 v[22:23], v[10:11], v[26:27]
	v_add_f64_e32 v[16:17], v[168:169], v[28:29]
	v_add_f64_e32 v[12:13], v[12:13], v[30:31]
	v_fmac_f64_e32 v[166:167], v[6:7], v[174:175]
	v_fma_f64 v[26:27], v[4:5], v[174:175], -v[170:171]
	v_fmac_f64_e32 v[20:21], v[10:11], v[24:25]
	v_fma_f64 v[8:9], v[8:9], v[24:25], -v[22:23]
	v_add_f64_e32 v[16:17], v[16:17], v[14:15]
	v_add_f64_e32 v[18:19], v[12:13], v[18:19]
	ds_load_b128 v[4:7], v2 offset:2016
	ds_load_b128 v[12:15], v2 offset:2032
	s_wait_loadcnt_dscnt 0x101
	v_mul_f64_e32 v[2:3], v[4:5], v[180:181]
	v_mul_f64_e32 v[28:29], v[6:7], v[180:181]
	s_wait_loadcnt_dscnt 0x0
	v_mul_f64_e32 v[22:23], v[14:15], v[164:165]
	v_add_f64_e32 v[10:11], v[16:17], v[26:27]
	v_add_f64_e32 v[16:17], v[18:19], v[166:167]
	v_mul_f64_e32 v[18:19], v[12:13], v[164:165]
	v_fmac_f64_e32 v[2:3], v[6:7], v[178:179]
	v_fma_f64 v[4:5], v[4:5], v[178:179], -v[28:29]
	v_add_f64_e32 v[6:7], v[10:11], v[8:9]
	v_add_f64_e32 v[8:9], v[16:17], v[20:21]
	v_fmac_f64_e32 v[18:19], v[14:15], v[162:163]
	v_fma_f64 v[10:11], v[12:13], v[162:163], -v[22:23]
	s_delay_alu instid0(VALU_DEP_4) | instskip(NEXT) | instid1(VALU_DEP_4)
	v_add_f64_e32 v[4:5], v[6:7], v[4:5]
	v_add_f64_e32 v[2:3], v[8:9], v[2:3]
	s_delay_alu instid0(VALU_DEP_2) | instskip(NEXT) | instid1(VALU_DEP_2)
	v_add_f64_e32 v[4:5], v[4:5], v[10:11]
	v_add_f64_e32 v[6:7], v[2:3], v[18:19]
	s_delay_alu instid0(VALU_DEP_2) | instskip(NEXT) | instid1(VALU_DEP_2)
	v_add_f64_e64 v[2:3], v[186:187], -v[4:5]
	v_add_f64_e64 v[4:5], v[188:189], -v[6:7]
	scratch_store_b128 off, v[2:5], off offset:240
	s_wait_xcnt 0x0
	v_cmpx_lt_u32_e32 14, v1
	s_cbranch_execz .LBB127_381
; %bb.380:
	scratch_load_b128 v[2:5], off, s68
	v_mov_b32_e32 v6, 0
	s_delay_alu instid0(VALU_DEP_1)
	v_dual_mov_b32 v7, v6 :: v_dual_mov_b32 v8, v6
	v_mov_b32_e32 v9, v6
	scratch_store_b128 off, v[6:9], off offset:224
	s_wait_loadcnt 0x0
	ds_store_b128 v160, v[2:5]
.LBB127_381:
	s_wait_xcnt 0x0
	s_or_b32 exec_lo, exec_lo, s2
	s_wait_storecnt_dscnt 0x0
	s_barrier_signal -1
	s_barrier_wait -1
	s_clause 0x9
	scratch_load_b128 v[4:7], off, off offset:240
	scratch_load_b128 v[8:11], off, off offset:256
	;; [unrolled: 1-line block ×10, first 2 shown]
	v_mov_b32_e32 v2, 0
	s_mov_b32 s2, exec_lo
	ds_load_b128 v[174:177], v2 offset:1264
	s_clause 0x2
	scratch_load_b128 v[178:181], off, off offset:400
	scratch_load_b128 v[182:185], off, off offset:224
	;; [unrolled: 1-line block ×3, first 2 shown]
	s_wait_loadcnt_dscnt 0xc00
	v_mul_f64_e32 v[194:195], v[176:177], v[6:7]
	v_mul_f64_e32 v[198:199], v[174:175], v[6:7]
	ds_load_b128 v[186:189], v2 offset:1280
	v_fma_f64 v[202:203], v[174:175], v[4:5], -v[194:195]
	v_fmac_f64_e32 v[198:199], v[176:177], v[4:5]
	ds_load_b128 v[4:7], v2 offset:1296
	s_wait_loadcnt_dscnt 0xb01
	v_mul_f64_e32 v[200:201], v[186:187], v[10:11]
	v_mul_f64_e32 v[10:11], v[188:189], v[10:11]
	scratch_load_b128 v[174:177], off, off offset:432
	ds_load_b128 v[194:197], v2 offset:1312
	s_wait_loadcnt_dscnt 0xb01
	v_mul_f64_e32 v[204:205], v[4:5], v[14:15]
	v_mul_f64_e32 v[14:15], v[6:7], v[14:15]
	v_add_f64_e32 v[198:199], 0, v[198:199]
	v_fmac_f64_e32 v[200:201], v[188:189], v[8:9]
	v_fma_f64 v[186:187], v[186:187], v[8:9], -v[10:11]
	v_add_f64_e32 v[188:189], 0, v[202:203]
	scratch_load_b128 v[8:11], off, off offset:448
	v_fmac_f64_e32 v[204:205], v[6:7], v[12:13]
	v_fma_f64 v[206:207], v[4:5], v[12:13], -v[14:15]
	ds_load_b128 v[4:7], v2 offset:1328
	s_wait_loadcnt_dscnt 0xb01
	v_mul_f64_e32 v[202:203], v[194:195], v[18:19]
	v_mul_f64_e32 v[18:19], v[196:197], v[18:19]
	scratch_load_b128 v[12:15], off, off offset:464
	v_add_f64_e32 v[198:199], v[198:199], v[200:201]
	v_add_f64_e32 v[208:209], v[188:189], v[186:187]
	ds_load_b128 v[186:189], v2 offset:1344
	s_wait_loadcnt_dscnt 0xb01
	v_mul_f64_e32 v[200:201], v[4:5], v[22:23]
	v_mul_f64_e32 v[22:23], v[6:7], v[22:23]
	v_fmac_f64_e32 v[202:203], v[196:197], v[16:17]
	v_fma_f64 v[194:195], v[194:195], v[16:17], -v[18:19]
	scratch_load_b128 v[16:19], off, off offset:480
	v_add_f64_e32 v[198:199], v[198:199], v[204:205]
	v_add_f64_e32 v[196:197], v[208:209], v[206:207]
	v_fmac_f64_e32 v[200:201], v[6:7], v[20:21]
	v_fma_f64 v[206:207], v[4:5], v[20:21], -v[22:23]
	ds_load_b128 v[4:7], v2 offset:1360
	s_wait_loadcnt_dscnt 0xb01
	v_mul_f64_e32 v[204:205], v[186:187], v[26:27]
	v_mul_f64_e32 v[26:27], v[188:189], v[26:27]
	scratch_load_b128 v[20:23], off, off offset:496
	v_add_f64_e32 v[198:199], v[198:199], v[202:203]
	s_wait_loadcnt_dscnt 0xb00
	v_mul_f64_e32 v[202:203], v[4:5], v[30:31]
	v_add_f64_e32 v[208:209], v[196:197], v[194:195]
	v_mul_f64_e32 v[30:31], v[6:7], v[30:31]
	ds_load_b128 v[194:197], v2 offset:1376
	v_fmac_f64_e32 v[204:205], v[188:189], v[24:25]
	v_fma_f64 v[186:187], v[186:187], v[24:25], -v[26:27]
	scratch_load_b128 v[24:27], off, off offset:512
	v_add_f64_e32 v[198:199], v[198:199], v[200:201]
	v_fmac_f64_e32 v[202:203], v[6:7], v[28:29]
	v_add_f64_e32 v[188:189], v[208:209], v[206:207]
	v_fma_f64 v[206:207], v[4:5], v[28:29], -v[30:31]
	ds_load_b128 v[4:7], v2 offset:1392
	s_wait_loadcnt_dscnt 0xb01
	v_mul_f64_e32 v[200:201], v[194:195], v[164:165]
	v_mul_f64_e32 v[164:165], v[196:197], v[164:165]
	scratch_load_b128 v[28:31], off, off offset:528
	v_add_f64_e32 v[198:199], v[198:199], v[204:205]
	s_wait_loadcnt_dscnt 0xb00
	v_mul_f64_e32 v[204:205], v[4:5], v[168:169]
	v_add_f64_e32 v[208:209], v[188:189], v[186:187]
	v_mul_f64_e32 v[168:169], v[6:7], v[168:169]
	ds_load_b128 v[186:189], v2 offset:1408
	v_fmac_f64_e32 v[200:201], v[196:197], v[162:163]
	v_fma_f64 v[194:195], v[194:195], v[162:163], -v[164:165]
	scratch_load_b128 v[162:165], off, off offset:544
	v_add_f64_e32 v[198:199], v[198:199], v[202:203]
	v_fmac_f64_e32 v[204:205], v[6:7], v[166:167]
	v_add_f64_e32 v[196:197], v[208:209], v[206:207]
	;; [unrolled: 18-line block ×3, first 2 shown]
	v_fma_f64 v[206:207], v[4:5], v[178:179], -v[180:181]
	ds_load_b128 v[4:7], v2 offset:1456
	s_wait_loadcnt_dscnt 0xa01
	v_mul_f64_e32 v[204:205], v[194:195], v[192:193]
	v_mul_f64_e32 v[192:193], v[196:197], v[192:193]
	scratch_load_b128 v[178:181], off, off offset:592
	v_add_f64_e32 v[198:199], v[198:199], v[202:203]
	v_add_f64_e32 v[208:209], v[188:189], v[186:187]
	s_wait_loadcnt_dscnt 0xa00
	v_mul_f64_e32 v[202:203], v[4:5], v[176:177]
	v_mul_f64_e32 v[176:177], v[6:7], v[176:177]
	v_fmac_f64_e32 v[204:205], v[196:197], v[190:191]
	v_fma_f64 v[194:195], v[194:195], v[190:191], -v[192:193]
	ds_load_b128 v[186:189], v2 offset:1472
	scratch_load_b128 v[190:193], off, off offset:608
	v_add_f64_e32 v[198:199], v[198:199], v[200:201]
	v_add_f64_e32 v[196:197], v[208:209], v[206:207]
	v_fmac_f64_e32 v[202:203], v[6:7], v[174:175]
	v_fma_f64 v[206:207], v[4:5], v[174:175], -v[176:177]
	ds_load_b128 v[4:7], v2 offset:1488
	s_wait_loadcnt_dscnt 0xa01
	v_mul_f64_e32 v[200:201], v[186:187], v[10:11]
	v_mul_f64_e32 v[10:11], v[188:189], v[10:11]
	scratch_load_b128 v[174:177], off, off offset:624
	v_add_f64_e32 v[198:199], v[198:199], v[204:205]
	s_wait_loadcnt_dscnt 0xa00
	v_mul_f64_e32 v[204:205], v[4:5], v[14:15]
	v_add_f64_e32 v[208:209], v[196:197], v[194:195]
	v_mul_f64_e32 v[14:15], v[6:7], v[14:15]
	ds_load_b128 v[194:197], v2 offset:1504
	v_fmac_f64_e32 v[200:201], v[188:189], v[8:9]
	v_fma_f64 v[186:187], v[186:187], v[8:9], -v[10:11]
	scratch_load_b128 v[8:11], off, off offset:640
	v_add_f64_e32 v[198:199], v[198:199], v[202:203]
	v_fmac_f64_e32 v[204:205], v[6:7], v[12:13]
	v_add_f64_e32 v[188:189], v[208:209], v[206:207]
	v_fma_f64 v[206:207], v[4:5], v[12:13], -v[14:15]
	ds_load_b128 v[4:7], v2 offset:1520
	s_wait_loadcnt_dscnt 0xa01
	v_mul_f64_e32 v[202:203], v[194:195], v[18:19]
	v_mul_f64_e32 v[18:19], v[196:197], v[18:19]
	scratch_load_b128 v[12:15], off, off offset:656
	v_add_f64_e32 v[198:199], v[198:199], v[200:201]
	s_wait_loadcnt_dscnt 0xa00
	v_mul_f64_e32 v[200:201], v[4:5], v[22:23]
	v_add_f64_e32 v[208:209], v[188:189], v[186:187]
	v_mul_f64_e32 v[22:23], v[6:7], v[22:23]
	ds_load_b128 v[186:189], v2 offset:1536
	v_fmac_f64_e32 v[202:203], v[196:197], v[16:17]
	v_fma_f64 v[194:195], v[194:195], v[16:17], -v[18:19]
	scratch_load_b128 v[16:19], off, off offset:672
	v_add_f64_e32 v[198:199], v[198:199], v[204:205]
	v_fmac_f64_e32 v[200:201], v[6:7], v[20:21]
	v_add_f64_e32 v[196:197], v[208:209], v[206:207]
	;; [unrolled: 18-line block ×12, first 2 shown]
	v_fma_f64 v[206:207], v[4:5], v[174:175], -v[176:177]
	ds_load_b128 v[4:7], v2 offset:1872
	s_wait_loadcnt_dscnt 0xa01
	v_mul_f64_e32 v[200:201], v[186:187], v[10:11]
	v_mul_f64_e32 v[10:11], v[188:189], v[10:11]
	scratch_load_b128 v[174:177], off, off offset:1008
	v_add_f64_e32 v[198:199], v[198:199], v[204:205]
	s_wait_loadcnt_dscnt 0xa00
	v_mul_f64_e32 v[204:205], v[4:5], v[14:15]
	v_add_f64_e32 v[208:209], v[196:197], v[194:195]
	v_mul_f64_e32 v[14:15], v[6:7], v[14:15]
	ds_load_b128 v[194:197], v2 offset:1888
	v_fmac_f64_e32 v[200:201], v[188:189], v[8:9]
	v_fma_f64 v[8:9], v[186:187], v[8:9], -v[10:11]
	s_wait_loadcnt_dscnt 0x900
	v_mul_f64_e32 v[188:189], v[194:195], v[18:19]
	v_mul_f64_e32 v[18:19], v[196:197], v[18:19]
	v_add_f64_e32 v[186:187], v[198:199], v[202:203]
	v_fmac_f64_e32 v[204:205], v[6:7], v[12:13]
	v_add_f64_e32 v[10:11], v[208:209], v[206:207]
	v_fma_f64 v[12:13], v[4:5], v[12:13], -v[14:15]
	v_fmac_f64_e32 v[188:189], v[196:197], v[16:17]
	v_fma_f64 v[16:17], v[194:195], v[16:17], -v[18:19]
	v_add_f64_e32 v[186:187], v[186:187], v[200:201]
	v_add_f64_e32 v[14:15], v[10:11], v[8:9]
	ds_load_b128 v[4:7], v2 offset:1904
	ds_load_b128 v[8:11], v2 offset:1920
	s_wait_loadcnt_dscnt 0x801
	v_mul_f64_e32 v[198:199], v[4:5], v[22:23]
	v_mul_f64_e32 v[22:23], v[6:7], v[22:23]
	s_wait_loadcnt_dscnt 0x700
	v_mul_f64_e32 v[18:19], v[8:9], v[26:27]
	v_mul_f64_e32 v[26:27], v[10:11], v[26:27]
	v_add_f64_e32 v[12:13], v[14:15], v[12:13]
	v_add_f64_e32 v[14:15], v[186:187], v[204:205]
	v_fmac_f64_e32 v[198:199], v[6:7], v[20:21]
	v_fma_f64 v[20:21], v[4:5], v[20:21], -v[22:23]
	v_fmac_f64_e32 v[18:19], v[10:11], v[24:25]
	v_fma_f64 v[8:9], v[8:9], v[24:25], -v[26:27]
	v_add_f64_e32 v[16:17], v[12:13], v[16:17]
	v_add_f64_e32 v[22:23], v[14:15], v[188:189]
	ds_load_b128 v[4:7], v2 offset:1936
	ds_load_b128 v[12:15], v2 offset:1952
	s_wait_loadcnt_dscnt 0x601
	v_mul_f64_e32 v[186:187], v[4:5], v[30:31]
	v_mul_f64_e32 v[30:31], v[6:7], v[30:31]
	v_add_f64_e32 v[10:11], v[16:17], v[20:21]
	v_add_f64_e32 v[16:17], v[22:23], v[198:199]
	s_wait_loadcnt_dscnt 0x500
	v_mul_f64_e32 v[20:21], v[12:13], v[164:165]
	v_mul_f64_e32 v[22:23], v[14:15], v[164:165]
	v_fmac_f64_e32 v[186:187], v[6:7], v[28:29]
	v_fma_f64 v[24:25], v[4:5], v[28:29], -v[30:31]
	v_add_f64_e32 v[26:27], v[10:11], v[8:9]
	v_add_f64_e32 v[16:17], v[16:17], v[18:19]
	ds_load_b128 v[4:7], v2 offset:1968
	ds_load_b128 v[8:11], v2 offset:1984
	v_fmac_f64_e32 v[20:21], v[14:15], v[162:163]
	v_fma_f64 v[12:13], v[12:13], v[162:163], -v[22:23]
	s_wait_loadcnt_dscnt 0x401
	v_mul_f64_e32 v[18:19], v[4:5], v[168:169]
	v_mul_f64_e32 v[28:29], v[6:7], v[168:169]
	s_wait_loadcnt_dscnt 0x300
	v_mul_f64_e32 v[22:23], v[8:9], v[172:173]
	v_add_f64_e32 v[14:15], v[26:27], v[24:25]
	v_add_f64_e32 v[16:17], v[16:17], v[186:187]
	v_mul_f64_e32 v[24:25], v[10:11], v[172:173]
	v_fmac_f64_e32 v[18:19], v[6:7], v[166:167]
	v_fma_f64 v[26:27], v[4:5], v[166:167], -v[28:29]
	v_fmac_f64_e32 v[22:23], v[10:11], v[170:171]
	v_add_f64_e32 v[28:29], v[14:15], v[12:13]
	v_add_f64_e32 v[16:17], v[16:17], v[20:21]
	ds_load_b128 v[4:7], v2 offset:2000
	ds_load_b128 v[12:15], v2 offset:2016
	v_fma_f64 v[8:9], v[8:9], v[170:171], -v[24:25]
	s_wait_loadcnt_dscnt 0x201
	v_mul_f64_e32 v[20:21], v[4:5], v[180:181]
	v_mul_f64_e32 v[30:31], v[6:7], v[180:181]
	s_wait_loadcnt_dscnt 0x100
	v_mul_f64_e32 v[24:25], v[14:15], v[192:193]
	v_add_f64_e32 v[10:11], v[28:29], v[26:27]
	v_add_f64_e32 v[16:17], v[16:17], v[18:19]
	v_mul_f64_e32 v[18:19], v[12:13], v[192:193]
	v_fmac_f64_e32 v[20:21], v[6:7], v[178:179]
	v_fma_f64 v[26:27], v[4:5], v[178:179], -v[30:31]
	ds_load_b128 v[4:7], v2 offset:2032
	v_fma_f64 v[12:13], v[12:13], v[190:191], -v[24:25]
	v_add_f64_e32 v[8:9], v[10:11], v[8:9]
	v_add_f64_e32 v[10:11], v[16:17], v[22:23]
	v_fmac_f64_e32 v[18:19], v[14:15], v[190:191]
	s_wait_loadcnt_dscnt 0x0
	v_mul_f64_e32 v[16:17], v[4:5], v[176:177]
	v_mul_f64_e32 v[22:23], v[6:7], v[176:177]
	v_add_f64_e32 v[8:9], v[8:9], v[26:27]
	v_add_f64_e32 v[10:11], v[10:11], v[20:21]
	s_delay_alu instid0(VALU_DEP_4) | instskip(NEXT) | instid1(VALU_DEP_4)
	v_fmac_f64_e32 v[16:17], v[6:7], v[174:175]
	v_fma_f64 v[4:5], v[4:5], v[174:175], -v[22:23]
	s_delay_alu instid0(VALU_DEP_4) | instskip(NEXT) | instid1(VALU_DEP_4)
	v_add_f64_e32 v[6:7], v[8:9], v[12:13]
	v_add_f64_e32 v[8:9], v[10:11], v[18:19]
	s_delay_alu instid0(VALU_DEP_2) | instskip(NEXT) | instid1(VALU_DEP_2)
	v_add_f64_e32 v[4:5], v[6:7], v[4:5]
	v_add_f64_e32 v[6:7], v[8:9], v[16:17]
	s_delay_alu instid0(VALU_DEP_2) | instskip(NEXT) | instid1(VALU_DEP_2)
	v_add_f64_e64 v[4:5], v[182:183], -v[4:5]
	v_add_f64_e64 v[6:7], v[184:185], -v[6:7]
	scratch_store_b128 off, v[4:7], off offset:224
	s_wait_xcnt 0x0
	v_cmpx_lt_u32_e32 13, v1
	s_cbranch_execz .LBB127_383
; %bb.382:
	scratch_load_b128 v[6:9], off, s69
	v_dual_mov_b32 v3, v2 :: v_dual_mov_b32 v4, v2
	v_mov_b32_e32 v5, v2
	scratch_store_b128 off, v[2:5], off offset:208
	s_wait_loadcnt 0x0
	ds_store_b128 v160, v[6:9]
.LBB127_383:
	s_wait_xcnt 0x0
	s_or_b32 exec_lo, exec_lo, s2
	s_wait_storecnt_dscnt 0x0
	s_barrier_signal -1
	s_barrier_wait -1
	s_clause 0x9
	scratch_load_b128 v[4:7], off, off offset:224
	scratch_load_b128 v[8:11], off, off offset:240
	;; [unrolled: 1-line block ×10, first 2 shown]
	ds_load_b128 v[174:177], v2 offset:1248
	ds_load_b128 v[182:185], v2 offset:1264
	s_clause 0x2
	scratch_load_b128 v[178:181], off, off offset:384
	scratch_load_b128 v[186:189], off, off offset:208
	;; [unrolled: 1-line block ×3, first 2 shown]
	s_mov_b32 s2, exec_lo
	s_wait_loadcnt_dscnt 0xc01
	v_mul_f64_e32 v[194:195], v[176:177], v[6:7]
	v_mul_f64_e32 v[198:199], v[174:175], v[6:7]
	s_wait_loadcnt_dscnt 0xb00
	v_mul_f64_e32 v[200:201], v[182:183], v[10:11]
	v_mul_f64_e32 v[10:11], v[184:185], v[10:11]
	s_delay_alu instid0(VALU_DEP_4) | instskip(NEXT) | instid1(VALU_DEP_4)
	v_fma_f64 v[202:203], v[174:175], v[4:5], -v[194:195]
	v_fmac_f64_e32 v[198:199], v[176:177], v[4:5]
	ds_load_b128 v[4:7], v2 offset:1280
	ds_load_b128 v[174:177], v2 offset:1296
	scratch_load_b128 v[194:197], off, off offset:416
	v_fmac_f64_e32 v[200:201], v[184:185], v[8:9]
	v_fma_f64 v[182:183], v[182:183], v[8:9], -v[10:11]
	scratch_load_b128 v[8:11], off, off offset:432
	s_wait_loadcnt_dscnt 0xc01
	v_mul_f64_e32 v[204:205], v[4:5], v[14:15]
	v_mul_f64_e32 v[14:15], v[6:7], v[14:15]
	v_add_f64_e32 v[184:185], 0, v[202:203]
	v_add_f64_e32 v[198:199], 0, v[198:199]
	s_wait_loadcnt_dscnt 0xb00
	v_mul_f64_e32 v[202:203], v[174:175], v[18:19]
	v_mul_f64_e32 v[18:19], v[176:177], v[18:19]
	v_fmac_f64_e32 v[204:205], v[6:7], v[12:13]
	v_fma_f64 v[206:207], v[4:5], v[12:13], -v[14:15]
	ds_load_b128 v[4:7], v2 offset:1312
	ds_load_b128 v[12:15], v2 offset:1328
	v_add_f64_e32 v[208:209], v[184:185], v[182:183]
	v_add_f64_e32 v[198:199], v[198:199], v[200:201]
	scratch_load_b128 v[182:185], off, off offset:448
	v_fmac_f64_e32 v[202:203], v[176:177], v[16:17]
	v_fma_f64 v[174:175], v[174:175], v[16:17], -v[18:19]
	scratch_load_b128 v[16:19], off, off offset:464
	s_wait_loadcnt_dscnt 0xc01
	v_mul_f64_e32 v[200:201], v[4:5], v[22:23]
	v_mul_f64_e32 v[22:23], v[6:7], v[22:23]
	v_add_f64_e32 v[176:177], v[208:209], v[206:207]
	v_add_f64_e32 v[198:199], v[198:199], v[204:205]
	s_wait_loadcnt_dscnt 0xb00
	v_mul_f64_e32 v[204:205], v[12:13], v[26:27]
	v_mul_f64_e32 v[26:27], v[14:15], v[26:27]
	v_fmac_f64_e32 v[200:201], v[6:7], v[20:21]
	v_fma_f64 v[206:207], v[4:5], v[20:21], -v[22:23]
	ds_load_b128 v[4:7], v2 offset:1344
	ds_load_b128 v[20:23], v2 offset:1360
	v_add_f64_e32 v[208:209], v[176:177], v[174:175]
	v_add_f64_e32 v[198:199], v[198:199], v[202:203]
	scratch_load_b128 v[174:177], off, off offset:480
	s_wait_loadcnt_dscnt 0xb01
	v_mul_f64_e32 v[202:203], v[4:5], v[30:31]
	v_mul_f64_e32 v[30:31], v[6:7], v[30:31]
	v_fmac_f64_e32 v[204:205], v[14:15], v[24:25]
	v_fma_f64 v[24:25], v[12:13], v[24:25], -v[26:27]
	scratch_load_b128 v[12:15], off, off offset:496
	v_add_f64_e32 v[26:27], v[208:209], v[206:207]
	v_add_f64_e32 v[198:199], v[198:199], v[200:201]
	s_wait_loadcnt_dscnt 0xb00
	v_mul_f64_e32 v[200:201], v[20:21], v[164:165]
	v_mul_f64_e32 v[164:165], v[22:23], v[164:165]
	v_fmac_f64_e32 v[202:203], v[6:7], v[28:29]
	v_fma_f64 v[206:207], v[4:5], v[28:29], -v[30:31]
	v_add_f64_e32 v[208:209], v[26:27], v[24:25]
	v_add_f64_e32 v[198:199], v[198:199], v[204:205]
	ds_load_b128 v[4:7], v2 offset:1376
	ds_load_b128 v[24:27], v2 offset:1392
	scratch_load_b128 v[28:31], off, off offset:512
	v_fmac_f64_e32 v[200:201], v[22:23], v[162:163]
	v_fma_f64 v[162:163], v[20:21], v[162:163], -v[164:165]
	scratch_load_b128 v[20:23], off, off offset:528
	s_wait_loadcnt_dscnt 0xc01
	v_mul_f64_e32 v[204:205], v[4:5], v[168:169]
	v_mul_f64_e32 v[168:169], v[6:7], v[168:169]
	v_add_f64_e32 v[164:165], v[208:209], v[206:207]
	v_add_f64_e32 v[198:199], v[198:199], v[202:203]
	s_wait_loadcnt_dscnt 0xb00
	v_mul_f64_e32 v[202:203], v[24:25], v[172:173]
	v_mul_f64_e32 v[172:173], v[26:27], v[172:173]
	v_fmac_f64_e32 v[204:205], v[6:7], v[166:167]
	v_fma_f64 v[206:207], v[4:5], v[166:167], -v[168:169]
	v_add_f64_e32 v[208:209], v[164:165], v[162:163]
	v_add_f64_e32 v[198:199], v[198:199], v[200:201]
	ds_load_b128 v[4:7], v2 offset:1408
	ds_load_b128 v[162:165], v2 offset:1424
	scratch_load_b128 v[166:169], off, off offset:544
	v_fmac_f64_e32 v[202:203], v[26:27], v[170:171]
	v_fma_f64 v[170:171], v[24:25], v[170:171], -v[172:173]
	scratch_load_b128 v[24:27], off, off offset:560
	s_wait_loadcnt_dscnt 0xc01
	v_mul_f64_e32 v[200:201], v[4:5], v[180:181]
	v_mul_f64_e32 v[180:181], v[6:7], v[180:181]
	;; [unrolled: 18-line block ×5, first 2 shown]
	v_add_f64_e32 v[192:193], v[208:209], v[206:207]
	v_add_f64_e32 v[198:199], v[198:199], v[204:205]
	s_wait_loadcnt_dscnt 0xa00
	v_mul_f64_e32 v[204:205], v[170:171], v[14:15]
	v_mul_f64_e32 v[14:15], v[172:173], v[14:15]
	v_fmac_f64_e32 v[200:201], v[6:7], v[174:175]
	v_fma_f64 v[206:207], v[4:5], v[174:175], -v[176:177]
	ds_load_b128 v[4:7], v2 offset:1536
	ds_load_b128 v[174:177], v2 offset:1552
	v_add_f64_e32 v[208:209], v[192:193], v[190:191]
	v_add_f64_e32 v[198:199], v[198:199], v[202:203]
	scratch_load_b128 v[190:193], off, off offset:672
	v_fmac_f64_e32 v[204:205], v[172:173], v[12:13]
	v_fma_f64 v[170:171], v[170:171], v[12:13], -v[14:15]
	scratch_load_b128 v[12:15], off, off offset:688
	s_wait_loadcnt_dscnt 0xb01
	v_mul_f64_e32 v[202:203], v[4:5], v[30:31]
	v_mul_f64_e32 v[30:31], v[6:7], v[30:31]
	v_add_f64_e32 v[172:173], v[208:209], v[206:207]
	v_add_f64_e32 v[198:199], v[198:199], v[200:201]
	s_wait_loadcnt_dscnt 0xa00
	v_mul_f64_e32 v[200:201], v[174:175], v[22:23]
	v_mul_f64_e32 v[22:23], v[176:177], v[22:23]
	v_fmac_f64_e32 v[202:203], v[6:7], v[28:29]
	v_fma_f64 v[206:207], v[4:5], v[28:29], -v[30:31]
	ds_load_b128 v[4:7], v2 offset:1568
	ds_load_b128 v[28:31], v2 offset:1584
	v_add_f64_e32 v[208:209], v[172:173], v[170:171]
	v_add_f64_e32 v[198:199], v[198:199], v[204:205]
	scratch_load_b128 v[170:173], off, off offset:704
	s_wait_loadcnt_dscnt 0xa01
	v_mul_f64_e32 v[204:205], v[4:5], v[168:169]
	v_mul_f64_e32 v[168:169], v[6:7], v[168:169]
	v_fmac_f64_e32 v[200:201], v[176:177], v[20:21]
	v_fma_f64 v[174:175], v[174:175], v[20:21], -v[22:23]
	scratch_load_b128 v[20:23], off, off offset:720
	v_add_f64_e32 v[176:177], v[208:209], v[206:207]
	v_add_f64_e32 v[198:199], v[198:199], v[202:203]
	s_wait_loadcnt_dscnt 0xa00
	v_mul_f64_e32 v[202:203], v[28:29], v[26:27]
	v_mul_f64_e32 v[26:27], v[30:31], v[26:27]
	v_fmac_f64_e32 v[204:205], v[6:7], v[166:167]
	v_fma_f64 v[206:207], v[4:5], v[166:167], -v[168:169]
	ds_load_b128 v[4:7], v2 offset:1600
	ds_load_b128 v[166:169], v2 offset:1616
	v_add_f64_e32 v[208:209], v[176:177], v[174:175]
	v_add_f64_e32 v[198:199], v[198:199], v[200:201]
	scratch_load_b128 v[174:177], off, off offset:736
	s_wait_loadcnt_dscnt 0xa01
	v_mul_f64_e32 v[200:201], v[4:5], v[180:181]
	v_mul_f64_e32 v[180:181], v[6:7], v[180:181]
	v_fmac_f64_e32 v[202:203], v[30:31], v[24:25]
	v_fma_f64 v[28:29], v[28:29], v[24:25], -v[26:27]
	scratch_load_b128 v[24:27], off, off offset:752
	v_add_f64_e32 v[30:31], v[208:209], v[206:207]
	v_add_f64_e32 v[198:199], v[198:199], v[204:205]
	s_wait_loadcnt_dscnt 0xa00
	v_mul_f64_e32 v[204:205], v[166:167], v[164:165]
	v_mul_f64_e32 v[164:165], v[168:169], v[164:165]
	v_fmac_f64_e32 v[200:201], v[6:7], v[178:179]
	v_fma_f64 v[206:207], v[4:5], v[178:179], -v[180:181]
	v_add_f64_e32 v[208:209], v[30:31], v[28:29]
	v_add_f64_e32 v[198:199], v[198:199], v[202:203]
	ds_load_b128 v[4:7], v2 offset:1632
	ds_load_b128 v[28:31], v2 offset:1648
	scratch_load_b128 v[178:181], off, off offset:768
	v_fmac_f64_e32 v[204:205], v[168:169], v[162:163]
	v_fma_f64 v[166:167], v[166:167], v[162:163], -v[164:165]
	scratch_load_b128 v[162:165], off, off offset:784
	s_wait_loadcnt_dscnt 0xb01
	v_mul_f64_e32 v[202:203], v[4:5], v[196:197]
	v_mul_f64_e32 v[196:197], v[6:7], v[196:197]
	v_add_f64_e32 v[168:169], v[208:209], v[206:207]
	v_add_f64_e32 v[198:199], v[198:199], v[200:201]
	s_wait_loadcnt_dscnt 0xa00
	v_mul_f64_e32 v[200:201], v[28:29], v[10:11]
	v_mul_f64_e32 v[10:11], v[30:31], v[10:11]
	v_fmac_f64_e32 v[202:203], v[6:7], v[194:195]
	v_fma_f64 v[206:207], v[4:5], v[194:195], -v[196:197]
	v_add_f64_e32 v[208:209], v[168:169], v[166:167]
	v_add_f64_e32 v[198:199], v[198:199], v[204:205]
	ds_load_b128 v[4:7], v2 offset:1664
	ds_load_b128 v[166:169], v2 offset:1680
	scratch_load_b128 v[194:197], off, off offset:800
	v_fmac_f64_e32 v[200:201], v[30:31], v[8:9]
	v_fma_f64 v[28:29], v[28:29], v[8:9], -v[10:11]
	scratch_load_b128 v[8:11], off, off offset:816
	s_wait_loadcnt_dscnt 0xb01
	v_mul_f64_e32 v[204:205], v[4:5], v[184:185]
	v_mul_f64_e32 v[184:185], v[6:7], v[184:185]
	;; [unrolled: 18-line block ×8, first 2 shown]
	v_add_f64_e32 v[30:31], v[208:209], v[206:207]
	v_add_f64_e32 v[198:199], v[198:199], v[202:203]
	s_wait_loadcnt_dscnt 0xa00
	v_mul_f64_e32 v[202:203], v[166:167], v[18:19]
	v_mul_f64_e32 v[18:19], v[168:169], v[18:19]
	v_fmac_f64_e32 v[204:205], v[6:7], v[182:183]
	v_fma_f64 v[182:183], v[4:5], v[182:183], -v[184:185]
	v_add_f64_e32 v[184:185], v[30:31], v[28:29]
	v_add_f64_e32 v[198:199], v[198:199], v[200:201]
	ds_load_b128 v[4:7], v2 offset:1888
	ds_load_b128 v[28:31], v2 offset:1904
	v_fmac_f64_e32 v[202:203], v[168:169], v[16:17]
	v_fma_f64 v[16:17], v[166:167], v[16:17], -v[18:19]
	s_wait_loadcnt_dscnt 0x901
	v_mul_f64_e32 v[200:201], v[4:5], v[192:193]
	v_mul_f64_e32 v[192:193], v[6:7], v[192:193]
	s_wait_loadcnt_dscnt 0x800
	v_mul_f64_e32 v[168:169], v[28:29], v[14:15]
	v_add_f64_e32 v[18:19], v[184:185], v[182:183]
	v_add_f64_e32 v[166:167], v[198:199], v[204:205]
	v_mul_f64_e32 v[182:183], v[30:31], v[14:15]
	v_fmac_f64_e32 v[200:201], v[6:7], v[190:191]
	v_fma_f64 v[184:185], v[4:5], v[190:191], -v[192:193]
	v_fmac_f64_e32 v[168:169], v[30:31], v[12:13]
	v_add_f64_e32 v[18:19], v[18:19], v[16:17]
	v_add_f64_e32 v[166:167], v[166:167], v[202:203]
	ds_load_b128 v[4:7], v2 offset:1920
	ds_load_b128 v[14:17], v2 offset:1936
	v_fma_f64 v[12:13], v[28:29], v[12:13], -v[182:183]
	s_wait_loadcnt_dscnt 0x701
	v_mul_f64_e32 v[190:191], v[4:5], v[172:173]
	v_mul_f64_e32 v[172:173], v[6:7], v[172:173]
	v_add_f64_e32 v[18:19], v[18:19], v[184:185]
	v_add_f64_e32 v[28:29], v[166:167], v[200:201]
	s_wait_loadcnt_dscnt 0x600
	v_mul_f64_e32 v[166:167], v[14:15], v[22:23]
	v_mul_f64_e32 v[22:23], v[16:17], v[22:23]
	v_fmac_f64_e32 v[190:191], v[6:7], v[170:171]
	v_fma_f64 v[170:171], v[4:5], v[170:171], -v[172:173]
	v_add_f64_e32 v[12:13], v[18:19], v[12:13]
	v_add_f64_e32 v[18:19], v[28:29], v[168:169]
	ds_load_b128 v[4:7], v2 offset:1952
	ds_load_b128 v[28:31], v2 offset:1968
	v_fmac_f64_e32 v[166:167], v[16:17], v[20:21]
	v_fma_f64 v[14:15], v[14:15], v[20:21], -v[22:23]
	s_wait_loadcnt_dscnt 0x501
	v_mul_f64_e32 v[168:169], v[4:5], v[176:177]
	v_mul_f64_e32 v[172:173], v[6:7], v[176:177]
	s_wait_loadcnt_dscnt 0x400
	v_mul_f64_e32 v[20:21], v[30:31], v[26:27]
	v_add_f64_e32 v[12:13], v[12:13], v[170:171]
	v_add_f64_e32 v[16:17], v[18:19], v[190:191]
	v_mul_f64_e32 v[18:19], v[28:29], v[26:27]
	v_fmac_f64_e32 v[168:169], v[6:7], v[174:175]
	v_fma_f64 v[22:23], v[4:5], v[174:175], -v[172:173]
	v_fma_f64 v[20:21], v[28:29], v[24:25], -v[20:21]
	v_add_f64_e32 v[26:27], v[12:13], v[14:15]
	v_add_f64_e32 v[16:17], v[16:17], v[166:167]
	ds_load_b128 v[4:7], v2 offset:1984
	ds_load_b128 v[12:15], v2 offset:2000
	v_fmac_f64_e32 v[18:19], v[30:31], v[24:25]
	s_wait_loadcnt_dscnt 0x301
	v_mul_f64_e32 v[166:167], v[4:5], v[180:181]
	v_mul_f64_e32 v[170:171], v[6:7], v[180:181]
	s_wait_loadcnt_dscnt 0x200
	v_mul_f64_e32 v[24:25], v[12:13], v[164:165]
	v_add_f64_e32 v[22:23], v[26:27], v[22:23]
	v_add_f64_e32 v[16:17], v[16:17], v[168:169]
	v_mul_f64_e32 v[26:27], v[14:15], v[164:165]
	v_fmac_f64_e32 v[166:167], v[6:7], v[178:179]
	v_fma_f64 v[28:29], v[4:5], v[178:179], -v[170:171]
	v_fmac_f64_e32 v[24:25], v[14:15], v[162:163]
	v_add_f64_e32 v[20:21], v[22:23], v[20:21]
	v_add_f64_e32 v[22:23], v[16:17], v[18:19]
	ds_load_b128 v[4:7], v2 offset:2016
	ds_load_b128 v[16:19], v2 offset:2032
	v_fma_f64 v[12:13], v[12:13], v[162:163], -v[26:27]
	s_wait_loadcnt_dscnt 0x101
	v_mul_f64_e32 v[2:3], v[4:5], v[196:197]
	v_mul_f64_e32 v[30:31], v[6:7], v[196:197]
	v_add_f64_e32 v[14:15], v[20:21], v[28:29]
	v_add_f64_e32 v[20:21], v[22:23], v[166:167]
	s_wait_loadcnt_dscnt 0x0
	v_mul_f64_e32 v[22:23], v[16:17], v[10:11]
	v_mul_f64_e32 v[10:11], v[18:19], v[10:11]
	v_fmac_f64_e32 v[2:3], v[6:7], v[194:195]
	v_fma_f64 v[4:5], v[4:5], v[194:195], -v[30:31]
	v_add_f64_e32 v[6:7], v[14:15], v[12:13]
	v_add_f64_e32 v[12:13], v[20:21], v[24:25]
	v_fmac_f64_e32 v[22:23], v[18:19], v[8:9]
	v_fma_f64 v[8:9], v[16:17], v[8:9], -v[10:11]
	s_delay_alu instid0(VALU_DEP_4) | instskip(NEXT) | instid1(VALU_DEP_4)
	v_add_f64_e32 v[4:5], v[6:7], v[4:5]
	v_add_f64_e32 v[2:3], v[12:13], v[2:3]
	s_delay_alu instid0(VALU_DEP_2) | instskip(NEXT) | instid1(VALU_DEP_2)
	v_add_f64_e32 v[4:5], v[4:5], v[8:9]
	v_add_f64_e32 v[6:7], v[2:3], v[22:23]
	s_delay_alu instid0(VALU_DEP_2) | instskip(NEXT) | instid1(VALU_DEP_2)
	v_add_f64_e64 v[2:3], v[186:187], -v[4:5]
	v_add_f64_e64 v[4:5], v[188:189], -v[6:7]
	scratch_store_b128 off, v[2:5], off offset:208
	s_wait_xcnt 0x0
	v_cmpx_lt_u32_e32 12, v1
	s_cbranch_execz .LBB127_385
; %bb.384:
	scratch_load_b128 v[2:5], off, s70
	v_mov_b32_e32 v6, 0
	s_delay_alu instid0(VALU_DEP_1)
	v_dual_mov_b32 v7, v6 :: v_dual_mov_b32 v8, v6
	v_mov_b32_e32 v9, v6
	scratch_store_b128 off, v[6:9], off offset:192
	s_wait_loadcnt 0x0
	ds_store_b128 v160, v[2:5]
.LBB127_385:
	s_wait_xcnt 0x0
	s_or_b32 exec_lo, exec_lo, s2
	s_wait_storecnt_dscnt 0x0
	s_barrier_signal -1
	s_barrier_wait -1
	s_clause 0x9
	scratch_load_b128 v[4:7], off, off offset:208
	scratch_load_b128 v[8:11], off, off offset:224
	;; [unrolled: 1-line block ×10, first 2 shown]
	v_mov_b32_e32 v2, 0
	s_mov_b32 s2, exec_lo
	ds_load_b128 v[174:177], v2 offset:1232
	s_clause 0x2
	scratch_load_b128 v[178:181], off, off offset:368
	scratch_load_b128 v[182:185], off, off offset:192
	;; [unrolled: 1-line block ×3, first 2 shown]
	s_wait_loadcnt_dscnt 0xc00
	v_mul_f64_e32 v[194:195], v[176:177], v[6:7]
	v_mul_f64_e32 v[198:199], v[174:175], v[6:7]
	ds_load_b128 v[186:189], v2 offset:1248
	v_fma_f64 v[202:203], v[174:175], v[4:5], -v[194:195]
	v_fmac_f64_e32 v[198:199], v[176:177], v[4:5]
	ds_load_b128 v[4:7], v2 offset:1264
	s_wait_loadcnt_dscnt 0xb01
	v_mul_f64_e32 v[200:201], v[186:187], v[10:11]
	v_mul_f64_e32 v[10:11], v[188:189], v[10:11]
	scratch_load_b128 v[174:177], off, off offset:400
	ds_load_b128 v[194:197], v2 offset:1280
	s_wait_loadcnt_dscnt 0xb01
	v_mul_f64_e32 v[204:205], v[4:5], v[14:15]
	v_mul_f64_e32 v[14:15], v[6:7], v[14:15]
	v_add_f64_e32 v[198:199], 0, v[198:199]
	v_fmac_f64_e32 v[200:201], v[188:189], v[8:9]
	v_fma_f64 v[186:187], v[186:187], v[8:9], -v[10:11]
	v_add_f64_e32 v[188:189], 0, v[202:203]
	scratch_load_b128 v[8:11], off, off offset:416
	v_fmac_f64_e32 v[204:205], v[6:7], v[12:13]
	v_fma_f64 v[206:207], v[4:5], v[12:13], -v[14:15]
	ds_load_b128 v[4:7], v2 offset:1296
	s_wait_loadcnt_dscnt 0xb01
	v_mul_f64_e32 v[202:203], v[194:195], v[18:19]
	v_mul_f64_e32 v[18:19], v[196:197], v[18:19]
	scratch_load_b128 v[12:15], off, off offset:432
	v_add_f64_e32 v[198:199], v[198:199], v[200:201]
	v_add_f64_e32 v[208:209], v[188:189], v[186:187]
	ds_load_b128 v[186:189], v2 offset:1312
	s_wait_loadcnt_dscnt 0xb01
	v_mul_f64_e32 v[200:201], v[4:5], v[22:23]
	v_mul_f64_e32 v[22:23], v[6:7], v[22:23]
	v_fmac_f64_e32 v[202:203], v[196:197], v[16:17]
	v_fma_f64 v[194:195], v[194:195], v[16:17], -v[18:19]
	scratch_load_b128 v[16:19], off, off offset:448
	v_add_f64_e32 v[198:199], v[198:199], v[204:205]
	v_add_f64_e32 v[196:197], v[208:209], v[206:207]
	v_fmac_f64_e32 v[200:201], v[6:7], v[20:21]
	v_fma_f64 v[206:207], v[4:5], v[20:21], -v[22:23]
	ds_load_b128 v[4:7], v2 offset:1328
	s_wait_loadcnt_dscnt 0xb01
	v_mul_f64_e32 v[204:205], v[186:187], v[26:27]
	v_mul_f64_e32 v[26:27], v[188:189], v[26:27]
	scratch_load_b128 v[20:23], off, off offset:464
	v_add_f64_e32 v[198:199], v[198:199], v[202:203]
	s_wait_loadcnt_dscnt 0xb00
	v_mul_f64_e32 v[202:203], v[4:5], v[30:31]
	v_add_f64_e32 v[208:209], v[196:197], v[194:195]
	v_mul_f64_e32 v[30:31], v[6:7], v[30:31]
	ds_load_b128 v[194:197], v2 offset:1344
	v_fmac_f64_e32 v[204:205], v[188:189], v[24:25]
	v_fma_f64 v[186:187], v[186:187], v[24:25], -v[26:27]
	scratch_load_b128 v[24:27], off, off offset:480
	v_add_f64_e32 v[198:199], v[198:199], v[200:201]
	v_fmac_f64_e32 v[202:203], v[6:7], v[28:29]
	v_add_f64_e32 v[188:189], v[208:209], v[206:207]
	v_fma_f64 v[206:207], v[4:5], v[28:29], -v[30:31]
	ds_load_b128 v[4:7], v2 offset:1360
	s_wait_loadcnt_dscnt 0xb01
	v_mul_f64_e32 v[200:201], v[194:195], v[164:165]
	v_mul_f64_e32 v[164:165], v[196:197], v[164:165]
	scratch_load_b128 v[28:31], off, off offset:496
	v_add_f64_e32 v[198:199], v[198:199], v[204:205]
	s_wait_loadcnt_dscnt 0xb00
	v_mul_f64_e32 v[204:205], v[4:5], v[168:169]
	v_add_f64_e32 v[208:209], v[188:189], v[186:187]
	v_mul_f64_e32 v[168:169], v[6:7], v[168:169]
	ds_load_b128 v[186:189], v2 offset:1376
	v_fmac_f64_e32 v[200:201], v[196:197], v[162:163]
	v_fma_f64 v[194:195], v[194:195], v[162:163], -v[164:165]
	scratch_load_b128 v[162:165], off, off offset:512
	v_add_f64_e32 v[198:199], v[198:199], v[202:203]
	v_fmac_f64_e32 v[204:205], v[6:7], v[166:167]
	v_add_f64_e32 v[196:197], v[208:209], v[206:207]
	;; [unrolled: 18-line block ×3, first 2 shown]
	v_fma_f64 v[206:207], v[4:5], v[178:179], -v[180:181]
	ds_load_b128 v[4:7], v2 offset:1424
	s_wait_loadcnt_dscnt 0xa01
	v_mul_f64_e32 v[204:205], v[194:195], v[192:193]
	v_mul_f64_e32 v[192:193], v[196:197], v[192:193]
	scratch_load_b128 v[178:181], off, off offset:560
	v_add_f64_e32 v[198:199], v[198:199], v[202:203]
	v_add_f64_e32 v[208:209], v[188:189], v[186:187]
	s_wait_loadcnt_dscnt 0xa00
	v_mul_f64_e32 v[202:203], v[4:5], v[176:177]
	v_mul_f64_e32 v[176:177], v[6:7], v[176:177]
	v_fmac_f64_e32 v[204:205], v[196:197], v[190:191]
	v_fma_f64 v[194:195], v[194:195], v[190:191], -v[192:193]
	ds_load_b128 v[186:189], v2 offset:1440
	scratch_load_b128 v[190:193], off, off offset:576
	v_add_f64_e32 v[198:199], v[198:199], v[200:201]
	v_add_f64_e32 v[196:197], v[208:209], v[206:207]
	v_fmac_f64_e32 v[202:203], v[6:7], v[174:175]
	v_fma_f64 v[206:207], v[4:5], v[174:175], -v[176:177]
	ds_load_b128 v[4:7], v2 offset:1456
	s_wait_loadcnt_dscnt 0xa01
	v_mul_f64_e32 v[200:201], v[186:187], v[10:11]
	v_mul_f64_e32 v[10:11], v[188:189], v[10:11]
	scratch_load_b128 v[174:177], off, off offset:592
	v_add_f64_e32 v[198:199], v[198:199], v[204:205]
	s_wait_loadcnt_dscnt 0xa00
	v_mul_f64_e32 v[204:205], v[4:5], v[14:15]
	v_add_f64_e32 v[208:209], v[196:197], v[194:195]
	v_mul_f64_e32 v[14:15], v[6:7], v[14:15]
	ds_load_b128 v[194:197], v2 offset:1472
	v_fmac_f64_e32 v[200:201], v[188:189], v[8:9]
	v_fma_f64 v[186:187], v[186:187], v[8:9], -v[10:11]
	scratch_load_b128 v[8:11], off, off offset:608
	v_add_f64_e32 v[198:199], v[198:199], v[202:203]
	v_fmac_f64_e32 v[204:205], v[6:7], v[12:13]
	v_add_f64_e32 v[188:189], v[208:209], v[206:207]
	v_fma_f64 v[206:207], v[4:5], v[12:13], -v[14:15]
	ds_load_b128 v[4:7], v2 offset:1488
	s_wait_loadcnt_dscnt 0xa01
	v_mul_f64_e32 v[202:203], v[194:195], v[18:19]
	v_mul_f64_e32 v[18:19], v[196:197], v[18:19]
	scratch_load_b128 v[12:15], off, off offset:624
	v_add_f64_e32 v[198:199], v[198:199], v[200:201]
	s_wait_loadcnt_dscnt 0xa00
	v_mul_f64_e32 v[200:201], v[4:5], v[22:23]
	v_add_f64_e32 v[208:209], v[188:189], v[186:187]
	v_mul_f64_e32 v[22:23], v[6:7], v[22:23]
	ds_load_b128 v[186:189], v2 offset:1504
	v_fmac_f64_e32 v[202:203], v[196:197], v[16:17]
	v_fma_f64 v[194:195], v[194:195], v[16:17], -v[18:19]
	scratch_load_b128 v[16:19], off, off offset:640
	v_add_f64_e32 v[198:199], v[198:199], v[204:205]
	v_fmac_f64_e32 v[200:201], v[6:7], v[20:21]
	v_add_f64_e32 v[196:197], v[208:209], v[206:207]
	;; [unrolled: 18-line block ×13, first 2 shown]
	v_fma_f64 v[206:207], v[4:5], v[12:13], -v[14:15]
	ds_load_b128 v[4:7], v2 offset:1872
	s_wait_loadcnt_dscnt 0xa01
	v_mul_f64_e32 v[202:203], v[194:195], v[18:19]
	v_mul_f64_e32 v[18:19], v[196:197], v[18:19]
	scratch_load_b128 v[12:15], off, off offset:1008
	v_add_f64_e32 v[198:199], v[198:199], v[200:201]
	s_wait_loadcnt_dscnt 0xa00
	v_mul_f64_e32 v[200:201], v[4:5], v[22:23]
	v_add_f64_e32 v[208:209], v[188:189], v[186:187]
	v_mul_f64_e32 v[22:23], v[6:7], v[22:23]
	ds_load_b128 v[186:189], v2 offset:1888
	v_fmac_f64_e32 v[202:203], v[196:197], v[16:17]
	v_fma_f64 v[16:17], v[194:195], v[16:17], -v[18:19]
	s_wait_loadcnt_dscnt 0x900
	v_mul_f64_e32 v[196:197], v[186:187], v[26:27]
	v_mul_f64_e32 v[26:27], v[188:189], v[26:27]
	v_add_f64_e32 v[194:195], v[198:199], v[204:205]
	v_fmac_f64_e32 v[200:201], v[6:7], v[20:21]
	v_add_f64_e32 v[18:19], v[208:209], v[206:207]
	v_fma_f64 v[20:21], v[4:5], v[20:21], -v[22:23]
	v_fmac_f64_e32 v[196:197], v[188:189], v[24:25]
	v_fma_f64 v[24:25], v[186:187], v[24:25], -v[26:27]
	v_add_f64_e32 v[194:195], v[194:195], v[202:203]
	v_add_f64_e32 v[22:23], v[18:19], v[16:17]
	ds_load_b128 v[4:7], v2 offset:1904
	ds_load_b128 v[16:19], v2 offset:1920
	s_wait_loadcnt_dscnt 0x801
	v_mul_f64_e32 v[198:199], v[4:5], v[30:31]
	v_mul_f64_e32 v[30:31], v[6:7], v[30:31]
	s_wait_loadcnt_dscnt 0x700
	v_mul_f64_e32 v[26:27], v[16:17], v[164:165]
	v_mul_f64_e32 v[164:165], v[18:19], v[164:165]
	v_add_f64_e32 v[20:21], v[22:23], v[20:21]
	v_add_f64_e32 v[22:23], v[194:195], v[200:201]
	v_fmac_f64_e32 v[198:199], v[6:7], v[28:29]
	v_fma_f64 v[28:29], v[4:5], v[28:29], -v[30:31]
	v_fmac_f64_e32 v[26:27], v[18:19], v[162:163]
	v_fma_f64 v[16:17], v[16:17], v[162:163], -v[164:165]
	v_add_f64_e32 v[24:25], v[20:21], v[24:25]
	v_add_f64_e32 v[30:31], v[22:23], v[196:197]
	ds_load_b128 v[4:7], v2 offset:1936
	ds_load_b128 v[20:23], v2 offset:1952
	s_wait_loadcnt_dscnt 0x601
	v_mul_f64_e32 v[186:187], v[4:5], v[168:169]
	v_mul_f64_e32 v[168:169], v[6:7], v[168:169]
	v_add_f64_e32 v[18:19], v[24:25], v[28:29]
	v_add_f64_e32 v[24:25], v[30:31], v[198:199]
	s_wait_loadcnt_dscnt 0x500
	v_mul_f64_e32 v[28:29], v[20:21], v[172:173]
	v_mul_f64_e32 v[30:31], v[22:23], v[172:173]
	v_fmac_f64_e32 v[186:187], v[6:7], v[166:167]
	v_fma_f64 v[162:163], v[4:5], v[166:167], -v[168:169]
	v_add_f64_e32 v[164:165], v[18:19], v[16:17]
	v_add_f64_e32 v[24:25], v[24:25], v[26:27]
	ds_load_b128 v[4:7], v2 offset:1968
	ds_load_b128 v[16:19], v2 offset:1984
	v_fmac_f64_e32 v[28:29], v[22:23], v[170:171]
	v_fma_f64 v[20:21], v[20:21], v[170:171], -v[30:31]
	s_wait_loadcnt_dscnt 0x401
	v_mul_f64_e32 v[26:27], v[4:5], v[180:181]
	v_mul_f64_e32 v[166:167], v[6:7], v[180:181]
	s_wait_loadcnt_dscnt 0x300
	v_mul_f64_e32 v[30:31], v[16:17], v[192:193]
	v_add_f64_e32 v[22:23], v[164:165], v[162:163]
	v_add_f64_e32 v[24:25], v[24:25], v[186:187]
	v_mul_f64_e32 v[162:163], v[18:19], v[192:193]
	v_fmac_f64_e32 v[26:27], v[6:7], v[178:179]
	v_fma_f64 v[164:165], v[4:5], v[178:179], -v[166:167]
	v_fmac_f64_e32 v[30:31], v[18:19], v[190:191]
	v_add_f64_e32 v[166:167], v[22:23], v[20:21]
	v_add_f64_e32 v[24:25], v[24:25], v[28:29]
	ds_load_b128 v[4:7], v2 offset:2000
	ds_load_b128 v[20:23], v2 offset:2016
	v_fma_f64 v[16:17], v[16:17], v[190:191], -v[162:163]
	s_wait_loadcnt_dscnt 0x201
	v_mul_f64_e32 v[28:29], v[4:5], v[176:177]
	v_mul_f64_e32 v[168:169], v[6:7], v[176:177]
	v_add_f64_e32 v[18:19], v[166:167], v[164:165]
	v_add_f64_e32 v[24:25], v[24:25], v[26:27]
	s_wait_loadcnt_dscnt 0x100
	v_mul_f64_e32 v[26:27], v[20:21], v[10:11]
	v_mul_f64_e32 v[10:11], v[22:23], v[10:11]
	v_fmac_f64_e32 v[28:29], v[6:7], v[174:175]
	v_fma_f64 v[162:163], v[4:5], v[174:175], -v[168:169]
	ds_load_b128 v[4:7], v2 offset:2032
	v_add_f64_e32 v[16:17], v[18:19], v[16:17]
	v_add_f64_e32 v[18:19], v[24:25], v[30:31]
	v_fmac_f64_e32 v[26:27], v[22:23], v[8:9]
	v_fma_f64 v[8:9], v[20:21], v[8:9], -v[10:11]
	s_wait_loadcnt_dscnt 0x0
	v_mul_f64_e32 v[24:25], v[4:5], v[14:15]
	v_mul_f64_e32 v[14:15], v[6:7], v[14:15]
	v_add_f64_e32 v[10:11], v[16:17], v[162:163]
	v_add_f64_e32 v[16:17], v[18:19], v[28:29]
	s_delay_alu instid0(VALU_DEP_4) | instskip(NEXT) | instid1(VALU_DEP_4)
	v_fmac_f64_e32 v[24:25], v[6:7], v[12:13]
	v_fma_f64 v[4:5], v[4:5], v[12:13], -v[14:15]
	s_delay_alu instid0(VALU_DEP_4) | instskip(NEXT) | instid1(VALU_DEP_4)
	v_add_f64_e32 v[6:7], v[10:11], v[8:9]
	v_add_f64_e32 v[8:9], v[16:17], v[26:27]
	s_delay_alu instid0(VALU_DEP_2) | instskip(NEXT) | instid1(VALU_DEP_2)
	v_add_f64_e32 v[4:5], v[6:7], v[4:5]
	v_add_f64_e32 v[6:7], v[8:9], v[24:25]
	s_delay_alu instid0(VALU_DEP_2) | instskip(NEXT) | instid1(VALU_DEP_2)
	v_add_f64_e64 v[4:5], v[182:183], -v[4:5]
	v_add_f64_e64 v[6:7], v[184:185], -v[6:7]
	scratch_store_b128 off, v[4:7], off offset:192
	s_wait_xcnt 0x0
	v_cmpx_lt_u32_e32 11, v1
	s_cbranch_execz .LBB127_387
; %bb.386:
	scratch_load_b128 v[6:9], off, s71
	v_dual_mov_b32 v3, v2 :: v_dual_mov_b32 v4, v2
	v_mov_b32_e32 v5, v2
	scratch_store_b128 off, v[2:5], off offset:176
	s_wait_loadcnt 0x0
	ds_store_b128 v160, v[6:9]
.LBB127_387:
	s_wait_xcnt 0x0
	s_or_b32 exec_lo, exec_lo, s2
	s_wait_storecnt_dscnt 0x0
	s_barrier_signal -1
	s_barrier_wait -1
	s_clause 0x9
	scratch_load_b128 v[4:7], off, off offset:192
	scratch_load_b128 v[8:11], off, off offset:208
	;; [unrolled: 1-line block ×10, first 2 shown]
	ds_load_b128 v[174:177], v2 offset:1216
	ds_load_b128 v[182:185], v2 offset:1232
	s_clause 0x2
	scratch_load_b128 v[178:181], off, off offset:352
	scratch_load_b128 v[186:189], off, off offset:176
	;; [unrolled: 1-line block ×3, first 2 shown]
	s_mov_b32 s2, exec_lo
	s_wait_loadcnt_dscnt 0xc01
	v_mul_f64_e32 v[194:195], v[176:177], v[6:7]
	v_mul_f64_e32 v[198:199], v[174:175], v[6:7]
	s_wait_loadcnt_dscnt 0xb00
	v_mul_f64_e32 v[200:201], v[182:183], v[10:11]
	v_mul_f64_e32 v[10:11], v[184:185], v[10:11]
	s_delay_alu instid0(VALU_DEP_4) | instskip(NEXT) | instid1(VALU_DEP_4)
	v_fma_f64 v[202:203], v[174:175], v[4:5], -v[194:195]
	v_fmac_f64_e32 v[198:199], v[176:177], v[4:5]
	ds_load_b128 v[4:7], v2 offset:1248
	ds_load_b128 v[174:177], v2 offset:1264
	scratch_load_b128 v[194:197], off, off offset:384
	v_fmac_f64_e32 v[200:201], v[184:185], v[8:9]
	v_fma_f64 v[182:183], v[182:183], v[8:9], -v[10:11]
	scratch_load_b128 v[8:11], off, off offset:400
	s_wait_loadcnt_dscnt 0xc01
	v_mul_f64_e32 v[204:205], v[4:5], v[14:15]
	v_mul_f64_e32 v[14:15], v[6:7], v[14:15]
	v_add_f64_e32 v[184:185], 0, v[202:203]
	v_add_f64_e32 v[198:199], 0, v[198:199]
	s_wait_loadcnt_dscnt 0xb00
	v_mul_f64_e32 v[202:203], v[174:175], v[18:19]
	v_mul_f64_e32 v[18:19], v[176:177], v[18:19]
	v_fmac_f64_e32 v[204:205], v[6:7], v[12:13]
	v_fma_f64 v[206:207], v[4:5], v[12:13], -v[14:15]
	ds_load_b128 v[4:7], v2 offset:1280
	ds_load_b128 v[12:15], v2 offset:1296
	v_add_f64_e32 v[208:209], v[184:185], v[182:183]
	v_add_f64_e32 v[198:199], v[198:199], v[200:201]
	scratch_load_b128 v[182:185], off, off offset:416
	v_fmac_f64_e32 v[202:203], v[176:177], v[16:17]
	v_fma_f64 v[174:175], v[174:175], v[16:17], -v[18:19]
	scratch_load_b128 v[16:19], off, off offset:432
	s_wait_loadcnt_dscnt 0xc01
	v_mul_f64_e32 v[200:201], v[4:5], v[22:23]
	v_mul_f64_e32 v[22:23], v[6:7], v[22:23]
	v_add_f64_e32 v[176:177], v[208:209], v[206:207]
	v_add_f64_e32 v[198:199], v[198:199], v[204:205]
	s_wait_loadcnt_dscnt 0xb00
	v_mul_f64_e32 v[204:205], v[12:13], v[26:27]
	v_mul_f64_e32 v[26:27], v[14:15], v[26:27]
	v_fmac_f64_e32 v[200:201], v[6:7], v[20:21]
	v_fma_f64 v[206:207], v[4:5], v[20:21], -v[22:23]
	ds_load_b128 v[4:7], v2 offset:1312
	ds_load_b128 v[20:23], v2 offset:1328
	v_add_f64_e32 v[208:209], v[176:177], v[174:175]
	v_add_f64_e32 v[198:199], v[198:199], v[202:203]
	scratch_load_b128 v[174:177], off, off offset:448
	s_wait_loadcnt_dscnt 0xb01
	v_mul_f64_e32 v[202:203], v[4:5], v[30:31]
	v_mul_f64_e32 v[30:31], v[6:7], v[30:31]
	v_fmac_f64_e32 v[204:205], v[14:15], v[24:25]
	v_fma_f64 v[24:25], v[12:13], v[24:25], -v[26:27]
	scratch_load_b128 v[12:15], off, off offset:464
	v_add_f64_e32 v[26:27], v[208:209], v[206:207]
	v_add_f64_e32 v[198:199], v[198:199], v[200:201]
	s_wait_loadcnt_dscnt 0xb00
	v_mul_f64_e32 v[200:201], v[20:21], v[164:165]
	v_mul_f64_e32 v[164:165], v[22:23], v[164:165]
	v_fmac_f64_e32 v[202:203], v[6:7], v[28:29]
	v_fma_f64 v[206:207], v[4:5], v[28:29], -v[30:31]
	v_add_f64_e32 v[208:209], v[26:27], v[24:25]
	v_add_f64_e32 v[198:199], v[198:199], v[204:205]
	ds_load_b128 v[4:7], v2 offset:1344
	ds_load_b128 v[24:27], v2 offset:1360
	scratch_load_b128 v[28:31], off, off offset:480
	v_fmac_f64_e32 v[200:201], v[22:23], v[162:163]
	v_fma_f64 v[162:163], v[20:21], v[162:163], -v[164:165]
	scratch_load_b128 v[20:23], off, off offset:496
	s_wait_loadcnt_dscnt 0xc01
	v_mul_f64_e32 v[204:205], v[4:5], v[168:169]
	v_mul_f64_e32 v[168:169], v[6:7], v[168:169]
	v_add_f64_e32 v[164:165], v[208:209], v[206:207]
	v_add_f64_e32 v[198:199], v[198:199], v[202:203]
	s_wait_loadcnt_dscnt 0xb00
	v_mul_f64_e32 v[202:203], v[24:25], v[172:173]
	v_mul_f64_e32 v[172:173], v[26:27], v[172:173]
	v_fmac_f64_e32 v[204:205], v[6:7], v[166:167]
	v_fma_f64 v[206:207], v[4:5], v[166:167], -v[168:169]
	v_add_f64_e32 v[208:209], v[164:165], v[162:163]
	v_add_f64_e32 v[198:199], v[198:199], v[200:201]
	ds_load_b128 v[4:7], v2 offset:1376
	ds_load_b128 v[162:165], v2 offset:1392
	scratch_load_b128 v[166:169], off, off offset:512
	v_fmac_f64_e32 v[202:203], v[26:27], v[170:171]
	v_fma_f64 v[170:171], v[24:25], v[170:171], -v[172:173]
	scratch_load_b128 v[24:27], off, off offset:528
	s_wait_loadcnt_dscnt 0xc01
	v_mul_f64_e32 v[200:201], v[4:5], v[180:181]
	v_mul_f64_e32 v[180:181], v[6:7], v[180:181]
	;; [unrolled: 18-line block ×5, first 2 shown]
	v_add_f64_e32 v[192:193], v[208:209], v[206:207]
	v_add_f64_e32 v[198:199], v[198:199], v[204:205]
	s_wait_loadcnt_dscnt 0xa00
	v_mul_f64_e32 v[204:205], v[170:171], v[14:15]
	v_mul_f64_e32 v[14:15], v[172:173], v[14:15]
	v_fmac_f64_e32 v[200:201], v[6:7], v[174:175]
	v_fma_f64 v[206:207], v[4:5], v[174:175], -v[176:177]
	ds_load_b128 v[4:7], v2 offset:1504
	ds_load_b128 v[174:177], v2 offset:1520
	v_add_f64_e32 v[208:209], v[192:193], v[190:191]
	v_add_f64_e32 v[198:199], v[198:199], v[202:203]
	scratch_load_b128 v[190:193], off, off offset:640
	v_fmac_f64_e32 v[204:205], v[172:173], v[12:13]
	v_fma_f64 v[170:171], v[170:171], v[12:13], -v[14:15]
	scratch_load_b128 v[12:15], off, off offset:656
	s_wait_loadcnt_dscnt 0xb01
	v_mul_f64_e32 v[202:203], v[4:5], v[30:31]
	v_mul_f64_e32 v[30:31], v[6:7], v[30:31]
	v_add_f64_e32 v[172:173], v[208:209], v[206:207]
	v_add_f64_e32 v[198:199], v[198:199], v[200:201]
	s_wait_loadcnt_dscnt 0xa00
	v_mul_f64_e32 v[200:201], v[174:175], v[22:23]
	v_mul_f64_e32 v[22:23], v[176:177], v[22:23]
	v_fmac_f64_e32 v[202:203], v[6:7], v[28:29]
	v_fma_f64 v[206:207], v[4:5], v[28:29], -v[30:31]
	ds_load_b128 v[4:7], v2 offset:1536
	ds_load_b128 v[28:31], v2 offset:1552
	v_add_f64_e32 v[208:209], v[172:173], v[170:171]
	v_add_f64_e32 v[198:199], v[198:199], v[204:205]
	scratch_load_b128 v[170:173], off, off offset:672
	s_wait_loadcnt_dscnt 0xa01
	v_mul_f64_e32 v[204:205], v[4:5], v[168:169]
	v_mul_f64_e32 v[168:169], v[6:7], v[168:169]
	v_fmac_f64_e32 v[200:201], v[176:177], v[20:21]
	v_fma_f64 v[174:175], v[174:175], v[20:21], -v[22:23]
	scratch_load_b128 v[20:23], off, off offset:688
	v_add_f64_e32 v[176:177], v[208:209], v[206:207]
	v_add_f64_e32 v[198:199], v[198:199], v[202:203]
	s_wait_loadcnt_dscnt 0xa00
	v_mul_f64_e32 v[202:203], v[28:29], v[26:27]
	v_mul_f64_e32 v[26:27], v[30:31], v[26:27]
	v_fmac_f64_e32 v[204:205], v[6:7], v[166:167]
	v_fma_f64 v[206:207], v[4:5], v[166:167], -v[168:169]
	ds_load_b128 v[4:7], v2 offset:1568
	ds_load_b128 v[166:169], v2 offset:1584
	v_add_f64_e32 v[208:209], v[176:177], v[174:175]
	v_add_f64_e32 v[198:199], v[198:199], v[200:201]
	scratch_load_b128 v[174:177], off, off offset:704
	s_wait_loadcnt_dscnt 0xa01
	v_mul_f64_e32 v[200:201], v[4:5], v[180:181]
	v_mul_f64_e32 v[180:181], v[6:7], v[180:181]
	v_fmac_f64_e32 v[202:203], v[30:31], v[24:25]
	v_fma_f64 v[28:29], v[28:29], v[24:25], -v[26:27]
	scratch_load_b128 v[24:27], off, off offset:720
	v_add_f64_e32 v[30:31], v[208:209], v[206:207]
	v_add_f64_e32 v[198:199], v[198:199], v[204:205]
	s_wait_loadcnt_dscnt 0xa00
	v_mul_f64_e32 v[204:205], v[166:167], v[164:165]
	v_mul_f64_e32 v[164:165], v[168:169], v[164:165]
	v_fmac_f64_e32 v[200:201], v[6:7], v[178:179]
	v_fma_f64 v[206:207], v[4:5], v[178:179], -v[180:181]
	v_add_f64_e32 v[208:209], v[30:31], v[28:29]
	v_add_f64_e32 v[198:199], v[198:199], v[202:203]
	ds_load_b128 v[4:7], v2 offset:1600
	ds_load_b128 v[28:31], v2 offset:1616
	scratch_load_b128 v[178:181], off, off offset:736
	v_fmac_f64_e32 v[204:205], v[168:169], v[162:163]
	v_fma_f64 v[166:167], v[166:167], v[162:163], -v[164:165]
	scratch_load_b128 v[162:165], off, off offset:752
	s_wait_loadcnt_dscnt 0xb01
	v_mul_f64_e32 v[202:203], v[4:5], v[196:197]
	v_mul_f64_e32 v[196:197], v[6:7], v[196:197]
	v_add_f64_e32 v[168:169], v[208:209], v[206:207]
	v_add_f64_e32 v[198:199], v[198:199], v[200:201]
	s_wait_loadcnt_dscnt 0xa00
	v_mul_f64_e32 v[200:201], v[28:29], v[10:11]
	v_mul_f64_e32 v[10:11], v[30:31], v[10:11]
	v_fmac_f64_e32 v[202:203], v[6:7], v[194:195]
	v_fma_f64 v[206:207], v[4:5], v[194:195], -v[196:197]
	v_add_f64_e32 v[208:209], v[168:169], v[166:167]
	v_add_f64_e32 v[198:199], v[198:199], v[204:205]
	ds_load_b128 v[4:7], v2 offset:1632
	ds_load_b128 v[166:169], v2 offset:1648
	scratch_load_b128 v[194:197], off, off offset:768
	v_fmac_f64_e32 v[200:201], v[30:31], v[8:9]
	v_fma_f64 v[28:29], v[28:29], v[8:9], -v[10:11]
	scratch_load_b128 v[8:11], off, off offset:784
	s_wait_loadcnt_dscnt 0xb01
	v_mul_f64_e32 v[204:205], v[4:5], v[184:185]
	v_mul_f64_e32 v[184:185], v[6:7], v[184:185]
	;; [unrolled: 18-line block ×9, first 2 shown]
	v_add_f64_e32 v[168:169], v[208:209], v[206:207]
	v_add_f64_e32 v[198:199], v[198:199], v[204:205]
	s_wait_loadcnt_dscnt 0xa00
	v_mul_f64_e32 v[204:205], v[28:29], v[14:15]
	v_mul_f64_e32 v[14:15], v[30:31], v[14:15]
	v_fmac_f64_e32 v[200:201], v[6:7], v[190:191]
	v_fma_f64 v[190:191], v[4:5], v[190:191], -v[192:193]
	v_add_f64_e32 v[192:193], v[168:169], v[166:167]
	v_add_f64_e32 v[198:199], v[198:199], v[202:203]
	ds_load_b128 v[4:7], v2 offset:1888
	ds_load_b128 v[166:169], v2 offset:1904
	v_fmac_f64_e32 v[204:205], v[30:31], v[12:13]
	v_fma_f64 v[12:13], v[28:29], v[12:13], -v[14:15]
	s_wait_loadcnt_dscnt 0x901
	v_mul_f64_e32 v[202:203], v[4:5], v[172:173]
	v_mul_f64_e32 v[172:173], v[6:7], v[172:173]
	s_wait_loadcnt_dscnt 0x800
	v_mul_f64_e32 v[30:31], v[166:167], v[22:23]
	v_mul_f64_e32 v[22:23], v[168:169], v[22:23]
	v_add_f64_e32 v[14:15], v[192:193], v[190:191]
	v_add_f64_e32 v[28:29], v[198:199], v[200:201]
	v_fmac_f64_e32 v[202:203], v[6:7], v[170:171]
	v_fma_f64 v[170:171], v[4:5], v[170:171], -v[172:173]
	v_fmac_f64_e32 v[30:31], v[168:169], v[20:21]
	v_fma_f64 v[20:21], v[166:167], v[20:21], -v[22:23]
	v_add_f64_e32 v[172:173], v[14:15], v[12:13]
	v_add_f64_e32 v[28:29], v[28:29], v[204:205]
	ds_load_b128 v[4:7], v2 offset:1920
	ds_load_b128 v[12:15], v2 offset:1936
	s_wait_loadcnt_dscnt 0x701
	v_mul_f64_e32 v[190:191], v[4:5], v[176:177]
	v_mul_f64_e32 v[176:177], v[6:7], v[176:177]
	s_wait_loadcnt_dscnt 0x600
	v_mul_f64_e32 v[166:167], v[12:13], v[26:27]
	v_mul_f64_e32 v[26:27], v[14:15], v[26:27]
	v_add_f64_e32 v[22:23], v[172:173], v[170:171]
	v_add_f64_e32 v[28:29], v[28:29], v[202:203]
	v_fmac_f64_e32 v[190:191], v[6:7], v[174:175]
	v_fma_f64 v[168:169], v[4:5], v[174:175], -v[176:177]
	v_fmac_f64_e32 v[166:167], v[14:15], v[24:25]
	v_fma_f64 v[12:13], v[12:13], v[24:25], -v[26:27]
	v_add_f64_e32 v[170:171], v[22:23], v[20:21]
	v_add_f64_e32 v[28:29], v[28:29], v[30:31]
	ds_load_b128 v[4:7], v2 offset:1952
	ds_load_b128 v[20:23], v2 offset:1968
	s_wait_loadcnt_dscnt 0x501
	v_mul_f64_e32 v[30:31], v[4:5], v[180:181]
	v_mul_f64_e32 v[172:173], v[6:7], v[180:181]
	s_wait_loadcnt_dscnt 0x400
	v_mul_f64_e32 v[26:27], v[20:21], v[164:165]
	v_add_f64_e32 v[14:15], v[170:171], v[168:169]
	v_add_f64_e32 v[24:25], v[28:29], v[190:191]
	v_mul_f64_e32 v[28:29], v[22:23], v[164:165]
	v_fmac_f64_e32 v[30:31], v[6:7], v[178:179]
	v_fma_f64 v[164:165], v[4:5], v[178:179], -v[172:173]
	v_fmac_f64_e32 v[26:27], v[22:23], v[162:163]
	v_add_f64_e32 v[168:169], v[14:15], v[12:13]
	v_add_f64_e32 v[24:25], v[24:25], v[166:167]
	ds_load_b128 v[4:7], v2 offset:1984
	ds_load_b128 v[12:15], v2 offset:2000
	v_fma_f64 v[20:21], v[20:21], v[162:163], -v[28:29]
	s_wait_loadcnt_dscnt 0x301
	v_mul_f64_e32 v[166:167], v[4:5], v[196:197]
	v_mul_f64_e32 v[170:171], v[6:7], v[196:197]
	s_wait_loadcnt_dscnt 0x200
	v_mul_f64_e32 v[28:29], v[12:13], v[10:11]
	v_mul_f64_e32 v[10:11], v[14:15], v[10:11]
	v_add_f64_e32 v[22:23], v[168:169], v[164:165]
	v_add_f64_e32 v[24:25], v[24:25], v[30:31]
	v_fmac_f64_e32 v[166:167], v[6:7], v[194:195]
	v_fma_f64 v[30:31], v[4:5], v[194:195], -v[170:171]
	v_fmac_f64_e32 v[28:29], v[14:15], v[8:9]
	v_fma_f64 v[8:9], v[12:13], v[8:9], -v[10:11]
	v_add_f64_e32 v[162:163], v[22:23], v[20:21]
	v_add_f64_e32 v[24:25], v[24:25], v[26:27]
	ds_load_b128 v[4:7], v2 offset:2016
	ds_load_b128 v[20:23], v2 offset:2032
	s_wait_loadcnt_dscnt 0x101
	v_mul_f64_e32 v[2:3], v[4:5], v[184:185]
	v_mul_f64_e32 v[26:27], v[6:7], v[184:185]
	s_wait_loadcnt_dscnt 0x0
	v_mul_f64_e32 v[14:15], v[20:21], v[18:19]
	v_mul_f64_e32 v[18:19], v[22:23], v[18:19]
	v_add_f64_e32 v[10:11], v[162:163], v[30:31]
	v_add_f64_e32 v[12:13], v[24:25], v[166:167]
	v_fmac_f64_e32 v[2:3], v[6:7], v[182:183]
	v_fma_f64 v[4:5], v[4:5], v[182:183], -v[26:27]
	v_fmac_f64_e32 v[14:15], v[22:23], v[16:17]
	v_add_f64_e32 v[6:7], v[10:11], v[8:9]
	v_add_f64_e32 v[8:9], v[12:13], v[28:29]
	v_fma_f64 v[10:11], v[20:21], v[16:17], -v[18:19]
	s_delay_alu instid0(VALU_DEP_3) | instskip(NEXT) | instid1(VALU_DEP_3)
	v_add_f64_e32 v[4:5], v[6:7], v[4:5]
	v_add_f64_e32 v[2:3], v[8:9], v[2:3]
	s_delay_alu instid0(VALU_DEP_2) | instskip(NEXT) | instid1(VALU_DEP_2)
	v_add_f64_e32 v[4:5], v[4:5], v[10:11]
	v_add_f64_e32 v[6:7], v[2:3], v[14:15]
	s_delay_alu instid0(VALU_DEP_2) | instskip(NEXT) | instid1(VALU_DEP_2)
	v_add_f64_e64 v[2:3], v[186:187], -v[4:5]
	v_add_f64_e64 v[4:5], v[188:189], -v[6:7]
	scratch_store_b128 off, v[2:5], off offset:176
	s_wait_xcnt 0x0
	v_cmpx_lt_u32_e32 10, v1
	s_cbranch_execz .LBB127_389
; %bb.388:
	scratch_load_b128 v[2:5], off, s72
	v_mov_b32_e32 v6, 0
	s_delay_alu instid0(VALU_DEP_1)
	v_dual_mov_b32 v7, v6 :: v_dual_mov_b32 v8, v6
	v_mov_b32_e32 v9, v6
	scratch_store_b128 off, v[6:9], off offset:160
	s_wait_loadcnt 0x0
	ds_store_b128 v160, v[2:5]
.LBB127_389:
	s_wait_xcnt 0x0
	s_or_b32 exec_lo, exec_lo, s2
	s_wait_storecnt_dscnt 0x0
	s_barrier_signal -1
	s_barrier_wait -1
	s_clause 0x9
	scratch_load_b128 v[4:7], off, off offset:176
	scratch_load_b128 v[8:11], off, off offset:192
	;; [unrolled: 1-line block ×10, first 2 shown]
	v_mov_b32_e32 v2, 0
	s_mov_b32 s2, exec_lo
	ds_load_b128 v[174:177], v2 offset:1200
	s_clause 0x2
	scratch_load_b128 v[178:181], off, off offset:336
	scratch_load_b128 v[182:185], off, off offset:160
	;; [unrolled: 1-line block ×3, first 2 shown]
	s_wait_loadcnt_dscnt 0xc00
	v_mul_f64_e32 v[194:195], v[176:177], v[6:7]
	v_mul_f64_e32 v[198:199], v[174:175], v[6:7]
	ds_load_b128 v[186:189], v2 offset:1216
	v_fma_f64 v[202:203], v[174:175], v[4:5], -v[194:195]
	v_fmac_f64_e32 v[198:199], v[176:177], v[4:5]
	ds_load_b128 v[4:7], v2 offset:1232
	s_wait_loadcnt_dscnt 0xb01
	v_mul_f64_e32 v[200:201], v[186:187], v[10:11]
	v_mul_f64_e32 v[10:11], v[188:189], v[10:11]
	scratch_load_b128 v[174:177], off, off offset:368
	ds_load_b128 v[194:197], v2 offset:1248
	s_wait_loadcnt_dscnt 0xb01
	v_mul_f64_e32 v[204:205], v[4:5], v[14:15]
	v_mul_f64_e32 v[14:15], v[6:7], v[14:15]
	v_add_f64_e32 v[198:199], 0, v[198:199]
	v_fmac_f64_e32 v[200:201], v[188:189], v[8:9]
	v_fma_f64 v[186:187], v[186:187], v[8:9], -v[10:11]
	v_add_f64_e32 v[188:189], 0, v[202:203]
	scratch_load_b128 v[8:11], off, off offset:384
	v_fmac_f64_e32 v[204:205], v[6:7], v[12:13]
	v_fma_f64 v[206:207], v[4:5], v[12:13], -v[14:15]
	ds_load_b128 v[4:7], v2 offset:1264
	s_wait_loadcnt_dscnt 0xb01
	v_mul_f64_e32 v[202:203], v[194:195], v[18:19]
	v_mul_f64_e32 v[18:19], v[196:197], v[18:19]
	scratch_load_b128 v[12:15], off, off offset:400
	v_add_f64_e32 v[198:199], v[198:199], v[200:201]
	v_add_f64_e32 v[208:209], v[188:189], v[186:187]
	ds_load_b128 v[186:189], v2 offset:1280
	s_wait_loadcnt_dscnt 0xb01
	v_mul_f64_e32 v[200:201], v[4:5], v[22:23]
	v_mul_f64_e32 v[22:23], v[6:7], v[22:23]
	v_fmac_f64_e32 v[202:203], v[196:197], v[16:17]
	v_fma_f64 v[194:195], v[194:195], v[16:17], -v[18:19]
	scratch_load_b128 v[16:19], off, off offset:416
	v_add_f64_e32 v[198:199], v[198:199], v[204:205]
	v_add_f64_e32 v[196:197], v[208:209], v[206:207]
	v_fmac_f64_e32 v[200:201], v[6:7], v[20:21]
	v_fma_f64 v[206:207], v[4:5], v[20:21], -v[22:23]
	ds_load_b128 v[4:7], v2 offset:1296
	s_wait_loadcnt_dscnt 0xb01
	v_mul_f64_e32 v[204:205], v[186:187], v[26:27]
	v_mul_f64_e32 v[26:27], v[188:189], v[26:27]
	scratch_load_b128 v[20:23], off, off offset:432
	v_add_f64_e32 v[198:199], v[198:199], v[202:203]
	s_wait_loadcnt_dscnt 0xb00
	v_mul_f64_e32 v[202:203], v[4:5], v[30:31]
	v_add_f64_e32 v[208:209], v[196:197], v[194:195]
	v_mul_f64_e32 v[30:31], v[6:7], v[30:31]
	ds_load_b128 v[194:197], v2 offset:1312
	v_fmac_f64_e32 v[204:205], v[188:189], v[24:25]
	v_fma_f64 v[186:187], v[186:187], v[24:25], -v[26:27]
	scratch_load_b128 v[24:27], off, off offset:448
	v_add_f64_e32 v[198:199], v[198:199], v[200:201]
	v_fmac_f64_e32 v[202:203], v[6:7], v[28:29]
	v_add_f64_e32 v[188:189], v[208:209], v[206:207]
	v_fma_f64 v[206:207], v[4:5], v[28:29], -v[30:31]
	ds_load_b128 v[4:7], v2 offset:1328
	s_wait_loadcnt_dscnt 0xb01
	v_mul_f64_e32 v[200:201], v[194:195], v[164:165]
	v_mul_f64_e32 v[164:165], v[196:197], v[164:165]
	scratch_load_b128 v[28:31], off, off offset:464
	v_add_f64_e32 v[198:199], v[198:199], v[204:205]
	s_wait_loadcnt_dscnt 0xb00
	v_mul_f64_e32 v[204:205], v[4:5], v[168:169]
	v_add_f64_e32 v[208:209], v[188:189], v[186:187]
	v_mul_f64_e32 v[168:169], v[6:7], v[168:169]
	ds_load_b128 v[186:189], v2 offset:1344
	v_fmac_f64_e32 v[200:201], v[196:197], v[162:163]
	v_fma_f64 v[194:195], v[194:195], v[162:163], -v[164:165]
	scratch_load_b128 v[162:165], off, off offset:480
	v_add_f64_e32 v[198:199], v[198:199], v[202:203]
	v_fmac_f64_e32 v[204:205], v[6:7], v[166:167]
	v_add_f64_e32 v[196:197], v[208:209], v[206:207]
	;; [unrolled: 18-line block ×3, first 2 shown]
	v_fma_f64 v[206:207], v[4:5], v[178:179], -v[180:181]
	ds_load_b128 v[4:7], v2 offset:1392
	s_wait_loadcnt_dscnt 0xa01
	v_mul_f64_e32 v[204:205], v[194:195], v[192:193]
	v_mul_f64_e32 v[192:193], v[196:197], v[192:193]
	scratch_load_b128 v[178:181], off, off offset:528
	v_add_f64_e32 v[198:199], v[198:199], v[202:203]
	v_add_f64_e32 v[208:209], v[188:189], v[186:187]
	s_wait_loadcnt_dscnt 0xa00
	v_mul_f64_e32 v[202:203], v[4:5], v[176:177]
	v_mul_f64_e32 v[176:177], v[6:7], v[176:177]
	v_fmac_f64_e32 v[204:205], v[196:197], v[190:191]
	v_fma_f64 v[194:195], v[194:195], v[190:191], -v[192:193]
	ds_load_b128 v[186:189], v2 offset:1408
	scratch_load_b128 v[190:193], off, off offset:544
	v_add_f64_e32 v[198:199], v[198:199], v[200:201]
	v_add_f64_e32 v[196:197], v[208:209], v[206:207]
	v_fmac_f64_e32 v[202:203], v[6:7], v[174:175]
	v_fma_f64 v[206:207], v[4:5], v[174:175], -v[176:177]
	ds_load_b128 v[4:7], v2 offset:1424
	s_wait_loadcnt_dscnt 0xa01
	v_mul_f64_e32 v[200:201], v[186:187], v[10:11]
	v_mul_f64_e32 v[10:11], v[188:189], v[10:11]
	scratch_load_b128 v[174:177], off, off offset:560
	v_add_f64_e32 v[198:199], v[198:199], v[204:205]
	s_wait_loadcnt_dscnt 0xa00
	v_mul_f64_e32 v[204:205], v[4:5], v[14:15]
	v_add_f64_e32 v[208:209], v[196:197], v[194:195]
	v_mul_f64_e32 v[14:15], v[6:7], v[14:15]
	ds_load_b128 v[194:197], v2 offset:1440
	v_fmac_f64_e32 v[200:201], v[188:189], v[8:9]
	v_fma_f64 v[186:187], v[186:187], v[8:9], -v[10:11]
	scratch_load_b128 v[8:11], off, off offset:576
	v_add_f64_e32 v[198:199], v[198:199], v[202:203]
	v_fmac_f64_e32 v[204:205], v[6:7], v[12:13]
	v_add_f64_e32 v[188:189], v[208:209], v[206:207]
	v_fma_f64 v[206:207], v[4:5], v[12:13], -v[14:15]
	ds_load_b128 v[4:7], v2 offset:1456
	s_wait_loadcnt_dscnt 0xa01
	v_mul_f64_e32 v[202:203], v[194:195], v[18:19]
	v_mul_f64_e32 v[18:19], v[196:197], v[18:19]
	scratch_load_b128 v[12:15], off, off offset:592
	v_add_f64_e32 v[198:199], v[198:199], v[200:201]
	s_wait_loadcnt_dscnt 0xa00
	v_mul_f64_e32 v[200:201], v[4:5], v[22:23]
	v_add_f64_e32 v[208:209], v[188:189], v[186:187]
	v_mul_f64_e32 v[22:23], v[6:7], v[22:23]
	ds_load_b128 v[186:189], v2 offset:1472
	v_fmac_f64_e32 v[202:203], v[196:197], v[16:17]
	v_fma_f64 v[194:195], v[194:195], v[16:17], -v[18:19]
	scratch_load_b128 v[16:19], off, off offset:608
	v_add_f64_e32 v[198:199], v[198:199], v[204:205]
	v_fmac_f64_e32 v[200:201], v[6:7], v[20:21]
	v_add_f64_e32 v[196:197], v[208:209], v[206:207]
	;; [unrolled: 18-line block ×14, first 2 shown]
	v_fma_f64 v[206:207], v[4:5], v[20:21], -v[22:23]
	ds_load_b128 v[4:7], v2 offset:1872
	s_wait_loadcnt_dscnt 0xa01
	v_mul_f64_e32 v[204:205], v[186:187], v[26:27]
	v_mul_f64_e32 v[26:27], v[188:189], v[26:27]
	scratch_load_b128 v[20:23], off, off offset:1008
	v_add_f64_e32 v[198:199], v[198:199], v[202:203]
	s_wait_loadcnt_dscnt 0xa00
	v_mul_f64_e32 v[202:203], v[4:5], v[30:31]
	v_add_f64_e32 v[208:209], v[196:197], v[194:195]
	v_mul_f64_e32 v[30:31], v[6:7], v[30:31]
	ds_load_b128 v[194:197], v2 offset:1888
	v_fmac_f64_e32 v[204:205], v[188:189], v[24:25]
	v_fma_f64 v[24:25], v[186:187], v[24:25], -v[26:27]
	s_wait_loadcnt_dscnt 0x900
	v_mul_f64_e32 v[188:189], v[194:195], v[164:165]
	v_mul_f64_e32 v[164:165], v[196:197], v[164:165]
	v_add_f64_e32 v[186:187], v[198:199], v[200:201]
	v_fmac_f64_e32 v[202:203], v[6:7], v[28:29]
	v_add_f64_e32 v[26:27], v[208:209], v[206:207]
	v_fma_f64 v[28:29], v[4:5], v[28:29], -v[30:31]
	v_fmac_f64_e32 v[188:189], v[196:197], v[162:163]
	v_fma_f64 v[162:163], v[194:195], v[162:163], -v[164:165]
	v_add_f64_e32 v[186:187], v[186:187], v[204:205]
	v_add_f64_e32 v[30:31], v[26:27], v[24:25]
	ds_load_b128 v[4:7], v2 offset:1904
	ds_load_b128 v[24:27], v2 offset:1920
	s_wait_loadcnt_dscnt 0x801
	v_mul_f64_e32 v[198:199], v[4:5], v[168:169]
	v_mul_f64_e32 v[168:169], v[6:7], v[168:169]
	s_wait_loadcnt_dscnt 0x700
	v_mul_f64_e32 v[164:165], v[24:25], v[172:173]
	v_mul_f64_e32 v[172:173], v[26:27], v[172:173]
	v_add_f64_e32 v[28:29], v[30:31], v[28:29]
	v_add_f64_e32 v[30:31], v[186:187], v[202:203]
	v_fmac_f64_e32 v[198:199], v[6:7], v[166:167]
	v_fma_f64 v[166:167], v[4:5], v[166:167], -v[168:169]
	v_fmac_f64_e32 v[164:165], v[26:27], v[170:171]
	v_fma_f64 v[24:25], v[24:25], v[170:171], -v[172:173]
	v_add_f64_e32 v[162:163], v[28:29], v[162:163]
	v_add_f64_e32 v[168:169], v[30:31], v[188:189]
	ds_load_b128 v[4:7], v2 offset:1936
	ds_load_b128 v[28:31], v2 offset:1952
	s_wait_loadcnt_dscnt 0x601
	v_mul_f64_e32 v[186:187], v[4:5], v[180:181]
	v_mul_f64_e32 v[180:181], v[6:7], v[180:181]
	v_add_f64_e32 v[26:27], v[162:163], v[166:167]
	v_add_f64_e32 v[162:163], v[168:169], v[198:199]
	s_wait_loadcnt_dscnt 0x500
	v_mul_f64_e32 v[166:167], v[28:29], v[192:193]
	v_mul_f64_e32 v[168:169], v[30:31], v[192:193]
	v_fmac_f64_e32 v[186:187], v[6:7], v[178:179]
	v_fma_f64 v[170:171], v[4:5], v[178:179], -v[180:181]
	v_add_f64_e32 v[172:173], v[26:27], v[24:25]
	v_add_f64_e32 v[162:163], v[162:163], v[164:165]
	ds_load_b128 v[4:7], v2 offset:1968
	ds_load_b128 v[24:27], v2 offset:1984
	v_fmac_f64_e32 v[166:167], v[30:31], v[190:191]
	v_fma_f64 v[28:29], v[28:29], v[190:191], -v[168:169]
	s_wait_loadcnt_dscnt 0x401
	v_mul_f64_e32 v[164:165], v[4:5], v[176:177]
	v_mul_f64_e32 v[176:177], v[6:7], v[176:177]
	s_wait_loadcnt_dscnt 0x300
	v_mul_f64_e32 v[168:169], v[24:25], v[10:11]
	v_mul_f64_e32 v[10:11], v[26:27], v[10:11]
	v_add_f64_e32 v[30:31], v[172:173], v[170:171]
	v_add_f64_e32 v[162:163], v[162:163], v[186:187]
	v_fmac_f64_e32 v[164:165], v[6:7], v[174:175]
	v_fma_f64 v[170:171], v[4:5], v[174:175], -v[176:177]
	v_fmac_f64_e32 v[168:169], v[26:27], v[8:9]
	v_fma_f64 v[8:9], v[24:25], v[8:9], -v[10:11]
	v_add_f64_e32 v[172:173], v[30:31], v[28:29]
	v_add_f64_e32 v[162:163], v[162:163], v[166:167]
	ds_load_b128 v[4:7], v2 offset:2000
	ds_load_b128 v[28:31], v2 offset:2016
	s_wait_loadcnt_dscnt 0x201
	v_mul_f64_e32 v[166:167], v[4:5], v[14:15]
	v_mul_f64_e32 v[14:15], v[6:7], v[14:15]
	s_wait_loadcnt_dscnt 0x100
	v_mul_f64_e32 v[26:27], v[28:29], v[18:19]
	v_mul_f64_e32 v[18:19], v[30:31], v[18:19]
	v_add_f64_e32 v[10:11], v[172:173], v[170:171]
	v_add_f64_e32 v[24:25], v[162:163], v[164:165]
	v_fmac_f64_e32 v[166:167], v[6:7], v[12:13]
	v_fma_f64 v[12:13], v[4:5], v[12:13], -v[14:15]
	ds_load_b128 v[4:7], v2 offset:2032
	v_fmac_f64_e32 v[26:27], v[30:31], v[16:17]
	v_fma_f64 v[16:17], v[28:29], v[16:17], -v[18:19]
	v_add_f64_e32 v[8:9], v[10:11], v[8:9]
	v_add_f64_e32 v[10:11], v[24:25], v[168:169]
	s_wait_loadcnt_dscnt 0x0
	v_mul_f64_e32 v[14:15], v[4:5], v[22:23]
	v_mul_f64_e32 v[22:23], v[6:7], v[22:23]
	s_delay_alu instid0(VALU_DEP_4) | instskip(NEXT) | instid1(VALU_DEP_4)
	v_add_f64_e32 v[8:9], v[8:9], v[12:13]
	v_add_f64_e32 v[10:11], v[10:11], v[166:167]
	s_delay_alu instid0(VALU_DEP_4) | instskip(NEXT) | instid1(VALU_DEP_4)
	v_fmac_f64_e32 v[14:15], v[6:7], v[20:21]
	v_fma_f64 v[4:5], v[4:5], v[20:21], -v[22:23]
	s_delay_alu instid0(VALU_DEP_4) | instskip(NEXT) | instid1(VALU_DEP_4)
	v_add_f64_e32 v[6:7], v[8:9], v[16:17]
	v_add_f64_e32 v[8:9], v[10:11], v[26:27]
	s_delay_alu instid0(VALU_DEP_2) | instskip(NEXT) | instid1(VALU_DEP_2)
	v_add_f64_e32 v[4:5], v[6:7], v[4:5]
	v_add_f64_e32 v[6:7], v[8:9], v[14:15]
	s_delay_alu instid0(VALU_DEP_2) | instskip(NEXT) | instid1(VALU_DEP_2)
	v_add_f64_e64 v[4:5], v[182:183], -v[4:5]
	v_add_f64_e64 v[6:7], v[184:185], -v[6:7]
	scratch_store_b128 off, v[4:7], off offset:160
	s_wait_xcnt 0x0
	v_cmpx_lt_u32_e32 9, v1
	s_cbranch_execz .LBB127_391
; %bb.390:
	scratch_load_b128 v[6:9], off, s73
	v_dual_mov_b32 v3, v2 :: v_dual_mov_b32 v4, v2
	v_mov_b32_e32 v5, v2
	scratch_store_b128 off, v[2:5], off offset:144
	s_wait_loadcnt 0x0
	ds_store_b128 v160, v[6:9]
.LBB127_391:
	s_wait_xcnt 0x0
	s_or_b32 exec_lo, exec_lo, s2
	s_wait_storecnt_dscnt 0x0
	s_barrier_signal -1
	s_barrier_wait -1
	s_clause 0x9
	scratch_load_b128 v[4:7], off, off offset:160
	scratch_load_b128 v[8:11], off, off offset:176
	;; [unrolled: 1-line block ×10, first 2 shown]
	ds_load_b128 v[174:177], v2 offset:1184
	ds_load_b128 v[182:185], v2 offset:1200
	s_clause 0x2
	scratch_load_b128 v[178:181], off, off offset:320
	scratch_load_b128 v[186:189], off, off offset:144
	;; [unrolled: 1-line block ×3, first 2 shown]
	s_mov_b32 s2, exec_lo
	s_wait_loadcnt_dscnt 0xc01
	v_mul_f64_e32 v[194:195], v[176:177], v[6:7]
	v_mul_f64_e32 v[198:199], v[174:175], v[6:7]
	s_wait_loadcnt_dscnt 0xb00
	v_mul_f64_e32 v[200:201], v[182:183], v[10:11]
	v_mul_f64_e32 v[10:11], v[184:185], v[10:11]
	s_delay_alu instid0(VALU_DEP_4) | instskip(NEXT) | instid1(VALU_DEP_4)
	v_fma_f64 v[202:203], v[174:175], v[4:5], -v[194:195]
	v_fmac_f64_e32 v[198:199], v[176:177], v[4:5]
	ds_load_b128 v[4:7], v2 offset:1216
	ds_load_b128 v[174:177], v2 offset:1232
	scratch_load_b128 v[194:197], off, off offset:352
	v_fmac_f64_e32 v[200:201], v[184:185], v[8:9]
	v_fma_f64 v[182:183], v[182:183], v[8:9], -v[10:11]
	scratch_load_b128 v[8:11], off, off offset:368
	s_wait_loadcnt_dscnt 0xc01
	v_mul_f64_e32 v[204:205], v[4:5], v[14:15]
	v_mul_f64_e32 v[14:15], v[6:7], v[14:15]
	v_add_f64_e32 v[184:185], 0, v[202:203]
	v_add_f64_e32 v[198:199], 0, v[198:199]
	s_wait_loadcnt_dscnt 0xb00
	v_mul_f64_e32 v[202:203], v[174:175], v[18:19]
	v_mul_f64_e32 v[18:19], v[176:177], v[18:19]
	v_fmac_f64_e32 v[204:205], v[6:7], v[12:13]
	v_fma_f64 v[206:207], v[4:5], v[12:13], -v[14:15]
	ds_load_b128 v[4:7], v2 offset:1248
	ds_load_b128 v[12:15], v2 offset:1264
	v_add_f64_e32 v[208:209], v[184:185], v[182:183]
	v_add_f64_e32 v[198:199], v[198:199], v[200:201]
	scratch_load_b128 v[182:185], off, off offset:384
	v_fmac_f64_e32 v[202:203], v[176:177], v[16:17]
	v_fma_f64 v[174:175], v[174:175], v[16:17], -v[18:19]
	scratch_load_b128 v[16:19], off, off offset:400
	s_wait_loadcnt_dscnt 0xc01
	v_mul_f64_e32 v[200:201], v[4:5], v[22:23]
	v_mul_f64_e32 v[22:23], v[6:7], v[22:23]
	v_add_f64_e32 v[176:177], v[208:209], v[206:207]
	v_add_f64_e32 v[198:199], v[198:199], v[204:205]
	s_wait_loadcnt_dscnt 0xb00
	v_mul_f64_e32 v[204:205], v[12:13], v[26:27]
	v_mul_f64_e32 v[26:27], v[14:15], v[26:27]
	v_fmac_f64_e32 v[200:201], v[6:7], v[20:21]
	v_fma_f64 v[206:207], v[4:5], v[20:21], -v[22:23]
	ds_load_b128 v[4:7], v2 offset:1280
	ds_load_b128 v[20:23], v2 offset:1296
	v_add_f64_e32 v[208:209], v[176:177], v[174:175]
	v_add_f64_e32 v[198:199], v[198:199], v[202:203]
	scratch_load_b128 v[174:177], off, off offset:416
	s_wait_loadcnt_dscnt 0xb01
	v_mul_f64_e32 v[202:203], v[4:5], v[30:31]
	v_mul_f64_e32 v[30:31], v[6:7], v[30:31]
	v_fmac_f64_e32 v[204:205], v[14:15], v[24:25]
	v_fma_f64 v[24:25], v[12:13], v[24:25], -v[26:27]
	scratch_load_b128 v[12:15], off, off offset:432
	v_add_f64_e32 v[26:27], v[208:209], v[206:207]
	v_add_f64_e32 v[198:199], v[198:199], v[200:201]
	s_wait_loadcnt_dscnt 0xb00
	v_mul_f64_e32 v[200:201], v[20:21], v[164:165]
	v_mul_f64_e32 v[164:165], v[22:23], v[164:165]
	v_fmac_f64_e32 v[202:203], v[6:7], v[28:29]
	v_fma_f64 v[206:207], v[4:5], v[28:29], -v[30:31]
	v_add_f64_e32 v[208:209], v[26:27], v[24:25]
	v_add_f64_e32 v[198:199], v[198:199], v[204:205]
	ds_load_b128 v[4:7], v2 offset:1312
	ds_load_b128 v[24:27], v2 offset:1328
	scratch_load_b128 v[28:31], off, off offset:448
	v_fmac_f64_e32 v[200:201], v[22:23], v[162:163]
	v_fma_f64 v[162:163], v[20:21], v[162:163], -v[164:165]
	scratch_load_b128 v[20:23], off, off offset:464
	s_wait_loadcnt_dscnt 0xc01
	v_mul_f64_e32 v[204:205], v[4:5], v[168:169]
	v_mul_f64_e32 v[168:169], v[6:7], v[168:169]
	v_add_f64_e32 v[164:165], v[208:209], v[206:207]
	v_add_f64_e32 v[198:199], v[198:199], v[202:203]
	s_wait_loadcnt_dscnt 0xb00
	v_mul_f64_e32 v[202:203], v[24:25], v[172:173]
	v_mul_f64_e32 v[172:173], v[26:27], v[172:173]
	v_fmac_f64_e32 v[204:205], v[6:7], v[166:167]
	v_fma_f64 v[206:207], v[4:5], v[166:167], -v[168:169]
	v_add_f64_e32 v[208:209], v[164:165], v[162:163]
	v_add_f64_e32 v[198:199], v[198:199], v[200:201]
	ds_load_b128 v[4:7], v2 offset:1344
	ds_load_b128 v[162:165], v2 offset:1360
	scratch_load_b128 v[166:169], off, off offset:480
	v_fmac_f64_e32 v[202:203], v[26:27], v[170:171]
	v_fma_f64 v[170:171], v[24:25], v[170:171], -v[172:173]
	scratch_load_b128 v[24:27], off, off offset:496
	s_wait_loadcnt_dscnt 0xc01
	v_mul_f64_e32 v[200:201], v[4:5], v[180:181]
	v_mul_f64_e32 v[180:181], v[6:7], v[180:181]
	v_add_f64_e32 v[172:173], v[208:209], v[206:207]
	v_add_f64_e32 v[198:199], v[198:199], v[204:205]
	s_wait_loadcnt_dscnt 0xa00
	v_mul_f64_e32 v[204:205], v[162:163], v[192:193]
	v_mul_f64_e32 v[192:193], v[164:165], v[192:193]
	v_fmac_f64_e32 v[200:201], v[6:7], v[178:179]
	v_fma_f64 v[206:207], v[4:5], v[178:179], -v[180:181]
	v_add_f64_e32 v[208:209], v[172:173], v[170:171]
	v_add_f64_e32 v[198:199], v[198:199], v[202:203]
	ds_load_b128 v[4:7], v2 offset:1376
	ds_load_b128 v[170:173], v2 offset:1392
	scratch_load_b128 v[178:181], off, off offset:512
	v_fmac_f64_e32 v[204:205], v[164:165], v[190:191]
	v_fma_f64 v[190:191], v[162:163], v[190:191], -v[192:193]
	scratch_load_b128 v[162:165], off, off offset:528
	s_wait_loadcnt_dscnt 0xb01
	v_mul_f64_e32 v[202:203], v[4:5], v[196:197]
	v_mul_f64_e32 v[196:197], v[6:7], v[196:197]
	v_add_f64_e32 v[192:193], v[208:209], v[206:207]
	v_add_f64_e32 v[198:199], v[198:199], v[200:201]
	s_wait_loadcnt_dscnt 0xa00
	v_mul_f64_e32 v[200:201], v[170:171], v[10:11]
	v_mul_f64_e32 v[10:11], v[172:173], v[10:11]
	v_fmac_f64_e32 v[202:203], v[6:7], v[194:195]
	v_fma_f64 v[206:207], v[4:5], v[194:195], -v[196:197]
	v_add_f64_e32 v[208:209], v[192:193], v[190:191]
	v_add_f64_e32 v[198:199], v[198:199], v[204:205]
	ds_load_b128 v[4:7], v2 offset:1408
	ds_load_b128 v[190:193], v2 offset:1424
	scratch_load_b128 v[194:197], off, off offset:544
	v_fmac_f64_e32 v[200:201], v[172:173], v[8:9]
	v_fma_f64 v[170:171], v[170:171], v[8:9], -v[10:11]
	scratch_load_b128 v[8:11], off, off offset:560
	s_wait_loadcnt_dscnt 0xb01
	v_mul_f64_e32 v[204:205], v[4:5], v[184:185]
	v_mul_f64_e32 v[184:185], v[6:7], v[184:185]
	v_add_f64_e32 v[172:173], v[208:209], v[206:207]
	v_add_f64_e32 v[198:199], v[198:199], v[202:203]
	s_wait_loadcnt_dscnt 0xa00
	v_mul_f64_e32 v[202:203], v[190:191], v[18:19]
	v_mul_f64_e32 v[18:19], v[192:193], v[18:19]
	v_fmac_f64_e32 v[204:205], v[6:7], v[182:183]
	v_fma_f64 v[206:207], v[4:5], v[182:183], -v[184:185]
	v_add_f64_e32 v[208:209], v[172:173], v[170:171]
	v_add_f64_e32 v[198:199], v[198:199], v[200:201]
	ds_load_b128 v[4:7], v2 offset:1440
	ds_load_b128 v[170:173], v2 offset:1456
	scratch_load_b128 v[182:185], off, off offset:576
	v_fmac_f64_e32 v[202:203], v[192:193], v[16:17]
	v_fma_f64 v[190:191], v[190:191], v[16:17], -v[18:19]
	scratch_load_b128 v[16:19], off, off offset:592
	s_wait_loadcnt_dscnt 0xb01
	v_mul_f64_e32 v[200:201], v[4:5], v[176:177]
	v_mul_f64_e32 v[176:177], v[6:7], v[176:177]
	v_add_f64_e32 v[192:193], v[208:209], v[206:207]
	v_add_f64_e32 v[198:199], v[198:199], v[204:205]
	s_wait_loadcnt_dscnt 0xa00
	v_mul_f64_e32 v[204:205], v[170:171], v[14:15]
	v_mul_f64_e32 v[14:15], v[172:173], v[14:15]
	v_fmac_f64_e32 v[200:201], v[6:7], v[174:175]
	v_fma_f64 v[206:207], v[4:5], v[174:175], -v[176:177]
	ds_load_b128 v[4:7], v2 offset:1472
	ds_load_b128 v[174:177], v2 offset:1488
	v_add_f64_e32 v[208:209], v[192:193], v[190:191]
	v_add_f64_e32 v[198:199], v[198:199], v[202:203]
	scratch_load_b128 v[190:193], off, off offset:608
	v_fmac_f64_e32 v[204:205], v[172:173], v[12:13]
	v_fma_f64 v[170:171], v[170:171], v[12:13], -v[14:15]
	scratch_load_b128 v[12:15], off, off offset:624
	s_wait_loadcnt_dscnt 0xb01
	v_mul_f64_e32 v[202:203], v[4:5], v[30:31]
	v_mul_f64_e32 v[30:31], v[6:7], v[30:31]
	v_add_f64_e32 v[172:173], v[208:209], v[206:207]
	v_add_f64_e32 v[198:199], v[198:199], v[200:201]
	s_wait_loadcnt_dscnt 0xa00
	v_mul_f64_e32 v[200:201], v[174:175], v[22:23]
	v_mul_f64_e32 v[22:23], v[176:177], v[22:23]
	v_fmac_f64_e32 v[202:203], v[6:7], v[28:29]
	v_fma_f64 v[206:207], v[4:5], v[28:29], -v[30:31]
	ds_load_b128 v[4:7], v2 offset:1504
	ds_load_b128 v[28:31], v2 offset:1520
	v_add_f64_e32 v[208:209], v[172:173], v[170:171]
	v_add_f64_e32 v[198:199], v[198:199], v[204:205]
	scratch_load_b128 v[170:173], off, off offset:640
	s_wait_loadcnt_dscnt 0xa01
	v_mul_f64_e32 v[204:205], v[4:5], v[168:169]
	v_mul_f64_e32 v[168:169], v[6:7], v[168:169]
	v_fmac_f64_e32 v[200:201], v[176:177], v[20:21]
	v_fma_f64 v[174:175], v[174:175], v[20:21], -v[22:23]
	scratch_load_b128 v[20:23], off, off offset:656
	v_add_f64_e32 v[176:177], v[208:209], v[206:207]
	v_add_f64_e32 v[198:199], v[198:199], v[202:203]
	s_wait_loadcnt_dscnt 0xa00
	v_mul_f64_e32 v[202:203], v[28:29], v[26:27]
	v_mul_f64_e32 v[26:27], v[30:31], v[26:27]
	v_fmac_f64_e32 v[204:205], v[6:7], v[166:167]
	v_fma_f64 v[206:207], v[4:5], v[166:167], -v[168:169]
	ds_load_b128 v[4:7], v2 offset:1536
	ds_load_b128 v[166:169], v2 offset:1552
	v_add_f64_e32 v[208:209], v[176:177], v[174:175]
	v_add_f64_e32 v[198:199], v[198:199], v[200:201]
	scratch_load_b128 v[174:177], off, off offset:672
	s_wait_loadcnt_dscnt 0xa01
	v_mul_f64_e32 v[200:201], v[4:5], v[180:181]
	v_mul_f64_e32 v[180:181], v[6:7], v[180:181]
	v_fmac_f64_e32 v[202:203], v[30:31], v[24:25]
	v_fma_f64 v[28:29], v[28:29], v[24:25], -v[26:27]
	scratch_load_b128 v[24:27], off, off offset:688
	v_add_f64_e32 v[30:31], v[208:209], v[206:207]
	v_add_f64_e32 v[198:199], v[198:199], v[204:205]
	s_wait_loadcnt_dscnt 0xa00
	v_mul_f64_e32 v[204:205], v[166:167], v[164:165]
	v_mul_f64_e32 v[164:165], v[168:169], v[164:165]
	v_fmac_f64_e32 v[200:201], v[6:7], v[178:179]
	v_fma_f64 v[206:207], v[4:5], v[178:179], -v[180:181]
	v_add_f64_e32 v[208:209], v[30:31], v[28:29]
	v_add_f64_e32 v[198:199], v[198:199], v[202:203]
	ds_load_b128 v[4:7], v2 offset:1568
	ds_load_b128 v[28:31], v2 offset:1584
	scratch_load_b128 v[178:181], off, off offset:704
	v_fmac_f64_e32 v[204:205], v[168:169], v[162:163]
	v_fma_f64 v[166:167], v[166:167], v[162:163], -v[164:165]
	scratch_load_b128 v[162:165], off, off offset:720
	s_wait_loadcnt_dscnt 0xb01
	v_mul_f64_e32 v[202:203], v[4:5], v[196:197]
	v_mul_f64_e32 v[196:197], v[6:7], v[196:197]
	v_add_f64_e32 v[168:169], v[208:209], v[206:207]
	v_add_f64_e32 v[198:199], v[198:199], v[200:201]
	s_wait_loadcnt_dscnt 0xa00
	v_mul_f64_e32 v[200:201], v[28:29], v[10:11]
	v_mul_f64_e32 v[10:11], v[30:31], v[10:11]
	v_fmac_f64_e32 v[202:203], v[6:7], v[194:195]
	v_fma_f64 v[206:207], v[4:5], v[194:195], -v[196:197]
	v_add_f64_e32 v[208:209], v[168:169], v[166:167]
	v_add_f64_e32 v[198:199], v[198:199], v[204:205]
	ds_load_b128 v[4:7], v2 offset:1600
	ds_load_b128 v[166:169], v2 offset:1616
	scratch_load_b128 v[194:197], off, off offset:736
	v_fmac_f64_e32 v[200:201], v[30:31], v[8:9]
	v_fma_f64 v[28:29], v[28:29], v[8:9], -v[10:11]
	scratch_load_b128 v[8:11], off, off offset:752
	s_wait_loadcnt_dscnt 0xb01
	v_mul_f64_e32 v[204:205], v[4:5], v[184:185]
	v_mul_f64_e32 v[184:185], v[6:7], v[184:185]
	;; [unrolled: 18-line block ×10, first 2 shown]
	v_add_f64_e32 v[30:31], v[208:209], v[206:207]
	v_add_f64_e32 v[198:199], v[198:199], v[200:201]
	s_wait_loadcnt_dscnt 0xa00
	v_mul_f64_e32 v[200:201], v[166:167], v[22:23]
	v_mul_f64_e32 v[22:23], v[168:169], v[22:23]
	v_fmac_f64_e32 v[202:203], v[6:7], v[170:171]
	v_fma_f64 v[170:171], v[4:5], v[170:171], -v[172:173]
	v_add_f64_e32 v[172:173], v[30:31], v[28:29]
	v_add_f64_e32 v[198:199], v[198:199], v[204:205]
	ds_load_b128 v[4:7], v2 offset:1888
	ds_load_b128 v[28:31], v2 offset:1904
	v_fmac_f64_e32 v[200:201], v[168:169], v[20:21]
	v_fma_f64 v[20:21], v[166:167], v[20:21], -v[22:23]
	s_wait_loadcnt_dscnt 0x901
	v_mul_f64_e32 v[204:205], v[4:5], v[176:177]
	v_mul_f64_e32 v[176:177], v[6:7], v[176:177]
	s_wait_loadcnt_dscnt 0x800
	v_mul_f64_e32 v[168:169], v[28:29], v[26:27]
	v_mul_f64_e32 v[26:27], v[30:31], v[26:27]
	v_add_f64_e32 v[22:23], v[172:173], v[170:171]
	v_add_f64_e32 v[166:167], v[198:199], v[202:203]
	v_fmac_f64_e32 v[204:205], v[6:7], v[174:175]
	v_fma_f64 v[170:171], v[4:5], v[174:175], -v[176:177]
	v_fmac_f64_e32 v[168:169], v[30:31], v[24:25]
	v_fma_f64 v[24:25], v[28:29], v[24:25], -v[26:27]
	v_add_f64_e32 v[172:173], v[22:23], v[20:21]
	v_add_f64_e32 v[166:167], v[166:167], v[200:201]
	ds_load_b128 v[4:7], v2 offset:1920
	ds_load_b128 v[20:23], v2 offset:1936
	s_wait_loadcnt_dscnt 0x701
	v_mul_f64_e32 v[174:175], v[4:5], v[180:181]
	v_mul_f64_e32 v[176:177], v[6:7], v[180:181]
	s_wait_loadcnt_dscnt 0x600
	v_mul_f64_e32 v[30:31], v[20:21], v[164:165]
	v_mul_f64_e32 v[164:165], v[22:23], v[164:165]
	v_add_f64_e32 v[26:27], v[172:173], v[170:171]
	v_add_f64_e32 v[28:29], v[166:167], v[204:205]
	v_fmac_f64_e32 v[174:175], v[6:7], v[178:179]
	v_fma_f64 v[166:167], v[4:5], v[178:179], -v[176:177]
	v_fmac_f64_e32 v[30:31], v[22:23], v[162:163]
	v_fma_f64 v[20:21], v[20:21], v[162:163], -v[164:165]
	v_add_f64_e32 v[170:171], v[26:27], v[24:25]
	v_add_f64_e32 v[28:29], v[28:29], v[168:169]
	ds_load_b128 v[4:7], v2 offset:1952
	ds_load_b128 v[24:27], v2 offset:1968
	;; [unrolled: 16-line block ×4, first 2 shown]
	s_wait_loadcnt_dscnt 0x101
	v_mul_f64_e32 v[2:3], v[4:5], v[192:193]
	v_mul_f64_e32 v[162:163], v[6:7], v[192:193]
	s_wait_loadcnt_dscnt 0x0
	v_mul_f64_e32 v[22:23], v[8:9], v[14:15]
	v_mul_f64_e32 v[14:15], v[10:11], v[14:15]
	v_add_f64_e32 v[18:19], v[164:165], v[28:29]
	v_add_f64_e32 v[20:21], v[24:25], v[30:31]
	v_fmac_f64_e32 v[2:3], v[6:7], v[190:191]
	v_fma_f64 v[4:5], v[4:5], v[190:191], -v[162:163]
	v_fmac_f64_e32 v[22:23], v[10:11], v[12:13]
	v_fma_f64 v[8:9], v[8:9], v[12:13], -v[14:15]
	v_add_f64_e32 v[6:7], v[18:19], v[16:17]
	v_add_f64_e32 v[16:17], v[20:21], v[26:27]
	s_delay_alu instid0(VALU_DEP_2) | instskip(NEXT) | instid1(VALU_DEP_2)
	v_add_f64_e32 v[4:5], v[6:7], v[4:5]
	v_add_f64_e32 v[2:3], v[16:17], v[2:3]
	s_delay_alu instid0(VALU_DEP_2) | instskip(NEXT) | instid1(VALU_DEP_2)
	;; [unrolled: 3-line block ×3, first 2 shown]
	v_add_f64_e64 v[2:3], v[186:187], -v[4:5]
	v_add_f64_e64 v[4:5], v[188:189], -v[6:7]
	scratch_store_b128 off, v[2:5], off offset:144
	s_wait_xcnt 0x0
	v_cmpx_lt_u32_e32 8, v1
	s_cbranch_execz .LBB127_393
; %bb.392:
	scratch_load_b128 v[2:5], off, s74
	v_mov_b32_e32 v6, 0
	s_delay_alu instid0(VALU_DEP_1)
	v_dual_mov_b32 v7, v6 :: v_dual_mov_b32 v8, v6
	v_mov_b32_e32 v9, v6
	scratch_store_b128 off, v[6:9], off offset:128
	s_wait_loadcnt 0x0
	ds_store_b128 v160, v[2:5]
.LBB127_393:
	s_wait_xcnt 0x0
	s_or_b32 exec_lo, exec_lo, s2
	s_wait_storecnt_dscnt 0x0
	s_barrier_signal -1
	s_barrier_wait -1
	s_clause 0x9
	scratch_load_b128 v[4:7], off, off offset:144
	scratch_load_b128 v[8:11], off, off offset:160
	;; [unrolled: 1-line block ×10, first 2 shown]
	v_mov_b32_e32 v2, 0
	s_mov_b32 s2, exec_lo
	ds_load_b128 v[174:177], v2 offset:1168
	s_clause 0x2
	scratch_load_b128 v[178:181], off, off offset:304
	scratch_load_b128 v[182:185], off, off offset:128
	;; [unrolled: 1-line block ×3, first 2 shown]
	s_wait_loadcnt_dscnt 0xc00
	v_mul_f64_e32 v[194:195], v[176:177], v[6:7]
	v_mul_f64_e32 v[198:199], v[174:175], v[6:7]
	ds_load_b128 v[186:189], v2 offset:1184
	v_fma_f64 v[202:203], v[174:175], v[4:5], -v[194:195]
	v_fmac_f64_e32 v[198:199], v[176:177], v[4:5]
	ds_load_b128 v[4:7], v2 offset:1200
	s_wait_loadcnt_dscnt 0xb01
	v_mul_f64_e32 v[200:201], v[186:187], v[10:11]
	v_mul_f64_e32 v[10:11], v[188:189], v[10:11]
	scratch_load_b128 v[174:177], off, off offset:336
	ds_load_b128 v[194:197], v2 offset:1216
	s_wait_loadcnt_dscnt 0xb01
	v_mul_f64_e32 v[204:205], v[4:5], v[14:15]
	v_mul_f64_e32 v[14:15], v[6:7], v[14:15]
	v_add_f64_e32 v[198:199], 0, v[198:199]
	v_fmac_f64_e32 v[200:201], v[188:189], v[8:9]
	v_fma_f64 v[186:187], v[186:187], v[8:9], -v[10:11]
	v_add_f64_e32 v[188:189], 0, v[202:203]
	scratch_load_b128 v[8:11], off, off offset:352
	v_fmac_f64_e32 v[204:205], v[6:7], v[12:13]
	v_fma_f64 v[206:207], v[4:5], v[12:13], -v[14:15]
	ds_load_b128 v[4:7], v2 offset:1232
	s_wait_loadcnt_dscnt 0xb01
	v_mul_f64_e32 v[202:203], v[194:195], v[18:19]
	v_mul_f64_e32 v[18:19], v[196:197], v[18:19]
	scratch_load_b128 v[12:15], off, off offset:368
	v_add_f64_e32 v[198:199], v[198:199], v[200:201]
	v_add_f64_e32 v[208:209], v[188:189], v[186:187]
	ds_load_b128 v[186:189], v2 offset:1248
	s_wait_loadcnt_dscnt 0xb01
	v_mul_f64_e32 v[200:201], v[4:5], v[22:23]
	v_mul_f64_e32 v[22:23], v[6:7], v[22:23]
	v_fmac_f64_e32 v[202:203], v[196:197], v[16:17]
	v_fma_f64 v[194:195], v[194:195], v[16:17], -v[18:19]
	scratch_load_b128 v[16:19], off, off offset:384
	v_add_f64_e32 v[198:199], v[198:199], v[204:205]
	v_add_f64_e32 v[196:197], v[208:209], v[206:207]
	v_fmac_f64_e32 v[200:201], v[6:7], v[20:21]
	v_fma_f64 v[206:207], v[4:5], v[20:21], -v[22:23]
	ds_load_b128 v[4:7], v2 offset:1264
	s_wait_loadcnt_dscnt 0xb01
	v_mul_f64_e32 v[204:205], v[186:187], v[26:27]
	v_mul_f64_e32 v[26:27], v[188:189], v[26:27]
	scratch_load_b128 v[20:23], off, off offset:400
	v_add_f64_e32 v[198:199], v[198:199], v[202:203]
	s_wait_loadcnt_dscnt 0xb00
	v_mul_f64_e32 v[202:203], v[4:5], v[30:31]
	v_add_f64_e32 v[208:209], v[196:197], v[194:195]
	v_mul_f64_e32 v[30:31], v[6:7], v[30:31]
	ds_load_b128 v[194:197], v2 offset:1280
	v_fmac_f64_e32 v[204:205], v[188:189], v[24:25]
	v_fma_f64 v[186:187], v[186:187], v[24:25], -v[26:27]
	scratch_load_b128 v[24:27], off, off offset:416
	v_add_f64_e32 v[198:199], v[198:199], v[200:201]
	v_fmac_f64_e32 v[202:203], v[6:7], v[28:29]
	v_add_f64_e32 v[188:189], v[208:209], v[206:207]
	v_fma_f64 v[206:207], v[4:5], v[28:29], -v[30:31]
	ds_load_b128 v[4:7], v2 offset:1296
	s_wait_loadcnt_dscnt 0xb01
	v_mul_f64_e32 v[200:201], v[194:195], v[164:165]
	v_mul_f64_e32 v[164:165], v[196:197], v[164:165]
	scratch_load_b128 v[28:31], off, off offset:432
	v_add_f64_e32 v[198:199], v[198:199], v[204:205]
	s_wait_loadcnt_dscnt 0xb00
	v_mul_f64_e32 v[204:205], v[4:5], v[168:169]
	v_add_f64_e32 v[208:209], v[188:189], v[186:187]
	v_mul_f64_e32 v[168:169], v[6:7], v[168:169]
	ds_load_b128 v[186:189], v2 offset:1312
	v_fmac_f64_e32 v[200:201], v[196:197], v[162:163]
	v_fma_f64 v[194:195], v[194:195], v[162:163], -v[164:165]
	scratch_load_b128 v[162:165], off, off offset:448
	v_add_f64_e32 v[198:199], v[198:199], v[202:203]
	v_fmac_f64_e32 v[204:205], v[6:7], v[166:167]
	v_add_f64_e32 v[196:197], v[208:209], v[206:207]
	;; [unrolled: 18-line block ×3, first 2 shown]
	v_fma_f64 v[206:207], v[4:5], v[178:179], -v[180:181]
	ds_load_b128 v[4:7], v2 offset:1360
	s_wait_loadcnt_dscnt 0xa01
	v_mul_f64_e32 v[204:205], v[194:195], v[192:193]
	v_mul_f64_e32 v[192:193], v[196:197], v[192:193]
	scratch_load_b128 v[178:181], off, off offset:496
	v_add_f64_e32 v[198:199], v[198:199], v[202:203]
	v_add_f64_e32 v[208:209], v[188:189], v[186:187]
	s_wait_loadcnt_dscnt 0xa00
	v_mul_f64_e32 v[202:203], v[4:5], v[176:177]
	v_mul_f64_e32 v[176:177], v[6:7], v[176:177]
	v_fmac_f64_e32 v[204:205], v[196:197], v[190:191]
	v_fma_f64 v[194:195], v[194:195], v[190:191], -v[192:193]
	ds_load_b128 v[186:189], v2 offset:1376
	scratch_load_b128 v[190:193], off, off offset:512
	v_add_f64_e32 v[198:199], v[198:199], v[200:201]
	v_add_f64_e32 v[196:197], v[208:209], v[206:207]
	v_fmac_f64_e32 v[202:203], v[6:7], v[174:175]
	v_fma_f64 v[206:207], v[4:5], v[174:175], -v[176:177]
	ds_load_b128 v[4:7], v2 offset:1392
	s_wait_loadcnt_dscnt 0xa01
	v_mul_f64_e32 v[200:201], v[186:187], v[10:11]
	v_mul_f64_e32 v[10:11], v[188:189], v[10:11]
	scratch_load_b128 v[174:177], off, off offset:528
	v_add_f64_e32 v[198:199], v[198:199], v[204:205]
	s_wait_loadcnt_dscnt 0xa00
	v_mul_f64_e32 v[204:205], v[4:5], v[14:15]
	v_add_f64_e32 v[208:209], v[196:197], v[194:195]
	v_mul_f64_e32 v[14:15], v[6:7], v[14:15]
	ds_load_b128 v[194:197], v2 offset:1408
	v_fmac_f64_e32 v[200:201], v[188:189], v[8:9]
	v_fma_f64 v[186:187], v[186:187], v[8:9], -v[10:11]
	scratch_load_b128 v[8:11], off, off offset:544
	v_add_f64_e32 v[198:199], v[198:199], v[202:203]
	v_fmac_f64_e32 v[204:205], v[6:7], v[12:13]
	v_add_f64_e32 v[188:189], v[208:209], v[206:207]
	v_fma_f64 v[206:207], v[4:5], v[12:13], -v[14:15]
	ds_load_b128 v[4:7], v2 offset:1424
	s_wait_loadcnt_dscnt 0xa01
	v_mul_f64_e32 v[202:203], v[194:195], v[18:19]
	v_mul_f64_e32 v[18:19], v[196:197], v[18:19]
	scratch_load_b128 v[12:15], off, off offset:560
	v_add_f64_e32 v[198:199], v[198:199], v[200:201]
	s_wait_loadcnt_dscnt 0xa00
	v_mul_f64_e32 v[200:201], v[4:5], v[22:23]
	v_add_f64_e32 v[208:209], v[188:189], v[186:187]
	v_mul_f64_e32 v[22:23], v[6:7], v[22:23]
	ds_load_b128 v[186:189], v2 offset:1440
	v_fmac_f64_e32 v[202:203], v[196:197], v[16:17]
	v_fma_f64 v[194:195], v[194:195], v[16:17], -v[18:19]
	scratch_load_b128 v[16:19], off, off offset:576
	v_add_f64_e32 v[198:199], v[198:199], v[204:205]
	v_fmac_f64_e32 v[200:201], v[6:7], v[20:21]
	v_add_f64_e32 v[196:197], v[208:209], v[206:207]
	;; [unrolled: 18-line block ×15, first 2 shown]
	v_fma_f64 v[206:207], v[4:5], v[28:29], -v[30:31]
	ds_load_b128 v[4:7], v2 offset:1872
	s_wait_loadcnt_dscnt 0xa01
	v_mul_f64_e32 v[200:201], v[194:195], v[164:165]
	v_mul_f64_e32 v[164:165], v[196:197], v[164:165]
	scratch_load_b128 v[28:31], off, off offset:1008
	v_add_f64_e32 v[198:199], v[198:199], v[204:205]
	s_wait_loadcnt_dscnt 0xa00
	v_mul_f64_e32 v[204:205], v[4:5], v[168:169]
	v_add_f64_e32 v[208:209], v[188:189], v[186:187]
	v_mul_f64_e32 v[168:169], v[6:7], v[168:169]
	ds_load_b128 v[186:189], v2 offset:1888
	v_fmac_f64_e32 v[200:201], v[196:197], v[162:163]
	v_fma_f64 v[162:163], v[194:195], v[162:163], -v[164:165]
	s_wait_loadcnt_dscnt 0x900
	v_mul_f64_e32 v[196:197], v[186:187], v[172:173]
	v_mul_f64_e32 v[172:173], v[188:189], v[172:173]
	v_add_f64_e32 v[194:195], v[198:199], v[202:203]
	v_fmac_f64_e32 v[204:205], v[6:7], v[166:167]
	v_add_f64_e32 v[164:165], v[208:209], v[206:207]
	v_fma_f64 v[166:167], v[4:5], v[166:167], -v[168:169]
	v_fmac_f64_e32 v[196:197], v[188:189], v[170:171]
	v_fma_f64 v[170:171], v[186:187], v[170:171], -v[172:173]
	v_add_f64_e32 v[194:195], v[194:195], v[200:201]
	v_add_f64_e32 v[168:169], v[164:165], v[162:163]
	ds_load_b128 v[4:7], v2 offset:1904
	ds_load_b128 v[162:165], v2 offset:1920
	s_wait_loadcnt_dscnt 0x801
	v_mul_f64_e32 v[198:199], v[4:5], v[180:181]
	v_mul_f64_e32 v[180:181], v[6:7], v[180:181]
	s_wait_loadcnt_dscnt 0x700
	v_mul_f64_e32 v[172:173], v[162:163], v[192:193]
	v_mul_f64_e32 v[186:187], v[164:165], v[192:193]
	v_add_f64_e32 v[166:167], v[168:169], v[166:167]
	v_add_f64_e32 v[168:169], v[194:195], v[204:205]
	v_fmac_f64_e32 v[198:199], v[6:7], v[178:179]
	v_fma_f64 v[178:179], v[4:5], v[178:179], -v[180:181]
	v_fmac_f64_e32 v[172:173], v[164:165], v[190:191]
	v_fma_f64 v[162:163], v[162:163], v[190:191], -v[186:187]
	v_add_f64_e32 v[170:171], v[166:167], v[170:171]
	v_add_f64_e32 v[180:181], v[168:169], v[196:197]
	ds_load_b128 v[4:7], v2 offset:1936
	ds_load_b128 v[166:169], v2 offset:1952
	s_wait_loadcnt_dscnt 0x601
	v_mul_f64_e32 v[188:189], v[4:5], v[176:177]
	v_mul_f64_e32 v[176:177], v[6:7], v[176:177]
	v_add_f64_e32 v[164:165], v[170:171], v[178:179]
	v_add_f64_e32 v[170:171], v[180:181], v[198:199]
	s_wait_loadcnt_dscnt 0x500
	v_mul_f64_e32 v[178:179], v[166:167], v[10:11]
	v_mul_f64_e32 v[10:11], v[168:169], v[10:11]
	v_fmac_f64_e32 v[188:189], v[6:7], v[174:175]
	v_fma_f64 v[174:175], v[4:5], v[174:175], -v[176:177]
	v_add_f64_e32 v[176:177], v[164:165], v[162:163]
	v_add_f64_e32 v[170:171], v[170:171], v[172:173]
	ds_load_b128 v[4:7], v2 offset:1968
	ds_load_b128 v[162:165], v2 offset:1984
	v_fmac_f64_e32 v[178:179], v[168:169], v[8:9]
	v_fma_f64 v[8:9], v[166:167], v[8:9], -v[10:11]
	s_wait_loadcnt_dscnt 0x401
	v_mul_f64_e32 v[172:173], v[4:5], v[14:15]
	v_mul_f64_e32 v[14:15], v[6:7], v[14:15]
	s_wait_loadcnt_dscnt 0x300
	v_mul_f64_e32 v[168:169], v[162:163], v[18:19]
	v_mul_f64_e32 v[18:19], v[164:165], v[18:19]
	v_add_f64_e32 v[10:11], v[176:177], v[174:175]
	v_add_f64_e32 v[166:167], v[170:171], v[188:189]
	v_fmac_f64_e32 v[172:173], v[6:7], v[12:13]
	v_fma_f64 v[12:13], v[4:5], v[12:13], -v[14:15]
	v_fmac_f64_e32 v[168:169], v[164:165], v[16:17]
	v_fma_f64 v[16:17], v[162:163], v[16:17], -v[18:19]
	v_add_f64_e32 v[14:15], v[10:11], v[8:9]
	v_add_f64_e32 v[166:167], v[166:167], v[178:179]
	ds_load_b128 v[4:7], v2 offset:2000
	ds_load_b128 v[8:11], v2 offset:2016
	s_wait_loadcnt_dscnt 0x201
	v_mul_f64_e32 v[170:171], v[4:5], v[22:23]
	v_mul_f64_e32 v[22:23], v[6:7], v[22:23]
	s_wait_loadcnt_dscnt 0x100
	v_mul_f64_e32 v[18:19], v[8:9], v[26:27]
	v_mul_f64_e32 v[26:27], v[10:11], v[26:27]
	v_add_f64_e32 v[12:13], v[14:15], v[12:13]
	v_add_f64_e32 v[14:15], v[166:167], v[172:173]
	v_fmac_f64_e32 v[170:171], v[6:7], v[20:21]
	v_fma_f64 v[20:21], v[4:5], v[20:21], -v[22:23]
	ds_load_b128 v[4:7], v2 offset:2032
	v_fmac_f64_e32 v[18:19], v[10:11], v[24:25]
	v_fma_f64 v[8:9], v[8:9], v[24:25], -v[26:27]
	v_add_f64_e32 v[12:13], v[12:13], v[16:17]
	v_add_f64_e32 v[14:15], v[14:15], v[168:169]
	s_wait_loadcnt_dscnt 0x0
	v_mul_f64_e32 v[16:17], v[4:5], v[30:31]
	v_mul_f64_e32 v[22:23], v[6:7], v[30:31]
	s_delay_alu instid0(VALU_DEP_4) | instskip(NEXT) | instid1(VALU_DEP_4)
	v_add_f64_e32 v[10:11], v[12:13], v[20:21]
	v_add_f64_e32 v[12:13], v[14:15], v[170:171]
	s_delay_alu instid0(VALU_DEP_4) | instskip(NEXT) | instid1(VALU_DEP_4)
	v_fmac_f64_e32 v[16:17], v[6:7], v[28:29]
	v_fma_f64 v[4:5], v[4:5], v[28:29], -v[22:23]
	s_delay_alu instid0(VALU_DEP_4) | instskip(NEXT) | instid1(VALU_DEP_4)
	v_add_f64_e32 v[6:7], v[10:11], v[8:9]
	v_add_f64_e32 v[8:9], v[12:13], v[18:19]
	s_delay_alu instid0(VALU_DEP_2) | instskip(NEXT) | instid1(VALU_DEP_2)
	v_add_f64_e32 v[4:5], v[6:7], v[4:5]
	v_add_f64_e32 v[6:7], v[8:9], v[16:17]
	s_delay_alu instid0(VALU_DEP_2) | instskip(NEXT) | instid1(VALU_DEP_2)
	v_add_f64_e64 v[4:5], v[182:183], -v[4:5]
	v_add_f64_e64 v[6:7], v[184:185], -v[6:7]
	scratch_store_b128 off, v[4:7], off offset:128
	s_wait_xcnt 0x0
	v_cmpx_lt_u32_e32 7, v1
	s_cbranch_execz .LBB127_395
; %bb.394:
	scratch_load_b128 v[6:9], off, s75
	v_dual_mov_b32 v3, v2 :: v_dual_mov_b32 v4, v2
	v_mov_b32_e32 v5, v2
	scratch_store_b128 off, v[2:5], off offset:112
	s_wait_loadcnt 0x0
	ds_store_b128 v160, v[6:9]
.LBB127_395:
	s_wait_xcnt 0x0
	s_or_b32 exec_lo, exec_lo, s2
	s_wait_storecnt_dscnt 0x0
	s_barrier_signal -1
	s_barrier_wait -1
	s_clause 0x9
	scratch_load_b128 v[4:7], off, off offset:128
	scratch_load_b128 v[8:11], off, off offset:144
	;; [unrolled: 1-line block ×10, first 2 shown]
	ds_load_b128 v[174:177], v2 offset:1152
	ds_load_b128 v[182:185], v2 offset:1168
	s_clause 0x2
	scratch_load_b128 v[178:181], off, off offset:288
	scratch_load_b128 v[186:189], off, off offset:112
	;; [unrolled: 1-line block ×3, first 2 shown]
	s_mov_b32 s2, exec_lo
	s_wait_loadcnt_dscnt 0xc01
	v_mul_f64_e32 v[194:195], v[176:177], v[6:7]
	v_mul_f64_e32 v[198:199], v[174:175], v[6:7]
	s_wait_loadcnt_dscnt 0xb00
	v_mul_f64_e32 v[200:201], v[182:183], v[10:11]
	v_mul_f64_e32 v[10:11], v[184:185], v[10:11]
	s_delay_alu instid0(VALU_DEP_4) | instskip(NEXT) | instid1(VALU_DEP_4)
	v_fma_f64 v[202:203], v[174:175], v[4:5], -v[194:195]
	v_fmac_f64_e32 v[198:199], v[176:177], v[4:5]
	ds_load_b128 v[4:7], v2 offset:1184
	ds_load_b128 v[174:177], v2 offset:1200
	scratch_load_b128 v[194:197], off, off offset:320
	v_fmac_f64_e32 v[200:201], v[184:185], v[8:9]
	v_fma_f64 v[182:183], v[182:183], v[8:9], -v[10:11]
	scratch_load_b128 v[8:11], off, off offset:336
	s_wait_loadcnt_dscnt 0xc01
	v_mul_f64_e32 v[204:205], v[4:5], v[14:15]
	v_mul_f64_e32 v[14:15], v[6:7], v[14:15]
	v_add_f64_e32 v[184:185], 0, v[202:203]
	v_add_f64_e32 v[198:199], 0, v[198:199]
	s_wait_loadcnt_dscnt 0xb00
	v_mul_f64_e32 v[202:203], v[174:175], v[18:19]
	v_mul_f64_e32 v[18:19], v[176:177], v[18:19]
	v_fmac_f64_e32 v[204:205], v[6:7], v[12:13]
	v_fma_f64 v[206:207], v[4:5], v[12:13], -v[14:15]
	ds_load_b128 v[4:7], v2 offset:1216
	ds_load_b128 v[12:15], v2 offset:1232
	v_add_f64_e32 v[208:209], v[184:185], v[182:183]
	v_add_f64_e32 v[198:199], v[198:199], v[200:201]
	scratch_load_b128 v[182:185], off, off offset:352
	v_fmac_f64_e32 v[202:203], v[176:177], v[16:17]
	v_fma_f64 v[174:175], v[174:175], v[16:17], -v[18:19]
	scratch_load_b128 v[16:19], off, off offset:368
	s_wait_loadcnt_dscnt 0xc01
	v_mul_f64_e32 v[200:201], v[4:5], v[22:23]
	v_mul_f64_e32 v[22:23], v[6:7], v[22:23]
	v_add_f64_e32 v[176:177], v[208:209], v[206:207]
	v_add_f64_e32 v[198:199], v[198:199], v[204:205]
	s_wait_loadcnt_dscnt 0xb00
	v_mul_f64_e32 v[204:205], v[12:13], v[26:27]
	v_mul_f64_e32 v[26:27], v[14:15], v[26:27]
	v_fmac_f64_e32 v[200:201], v[6:7], v[20:21]
	v_fma_f64 v[206:207], v[4:5], v[20:21], -v[22:23]
	ds_load_b128 v[4:7], v2 offset:1248
	ds_load_b128 v[20:23], v2 offset:1264
	v_add_f64_e32 v[208:209], v[176:177], v[174:175]
	v_add_f64_e32 v[198:199], v[198:199], v[202:203]
	scratch_load_b128 v[174:177], off, off offset:384
	s_wait_loadcnt_dscnt 0xb01
	v_mul_f64_e32 v[202:203], v[4:5], v[30:31]
	v_mul_f64_e32 v[30:31], v[6:7], v[30:31]
	v_fmac_f64_e32 v[204:205], v[14:15], v[24:25]
	v_fma_f64 v[24:25], v[12:13], v[24:25], -v[26:27]
	scratch_load_b128 v[12:15], off, off offset:400
	v_add_f64_e32 v[26:27], v[208:209], v[206:207]
	v_add_f64_e32 v[198:199], v[198:199], v[200:201]
	s_wait_loadcnt_dscnt 0xb00
	v_mul_f64_e32 v[200:201], v[20:21], v[164:165]
	v_mul_f64_e32 v[164:165], v[22:23], v[164:165]
	v_fmac_f64_e32 v[202:203], v[6:7], v[28:29]
	v_fma_f64 v[206:207], v[4:5], v[28:29], -v[30:31]
	v_add_f64_e32 v[208:209], v[26:27], v[24:25]
	v_add_f64_e32 v[198:199], v[198:199], v[204:205]
	ds_load_b128 v[4:7], v2 offset:1280
	ds_load_b128 v[24:27], v2 offset:1296
	scratch_load_b128 v[28:31], off, off offset:416
	v_fmac_f64_e32 v[200:201], v[22:23], v[162:163]
	v_fma_f64 v[162:163], v[20:21], v[162:163], -v[164:165]
	scratch_load_b128 v[20:23], off, off offset:432
	s_wait_loadcnt_dscnt 0xc01
	v_mul_f64_e32 v[204:205], v[4:5], v[168:169]
	v_mul_f64_e32 v[168:169], v[6:7], v[168:169]
	v_add_f64_e32 v[164:165], v[208:209], v[206:207]
	v_add_f64_e32 v[198:199], v[198:199], v[202:203]
	s_wait_loadcnt_dscnt 0xb00
	v_mul_f64_e32 v[202:203], v[24:25], v[172:173]
	v_mul_f64_e32 v[172:173], v[26:27], v[172:173]
	v_fmac_f64_e32 v[204:205], v[6:7], v[166:167]
	v_fma_f64 v[206:207], v[4:5], v[166:167], -v[168:169]
	v_add_f64_e32 v[208:209], v[164:165], v[162:163]
	v_add_f64_e32 v[198:199], v[198:199], v[200:201]
	ds_load_b128 v[4:7], v2 offset:1312
	ds_load_b128 v[162:165], v2 offset:1328
	scratch_load_b128 v[166:169], off, off offset:448
	v_fmac_f64_e32 v[202:203], v[26:27], v[170:171]
	v_fma_f64 v[170:171], v[24:25], v[170:171], -v[172:173]
	scratch_load_b128 v[24:27], off, off offset:464
	s_wait_loadcnt_dscnt 0xc01
	v_mul_f64_e32 v[200:201], v[4:5], v[180:181]
	v_mul_f64_e32 v[180:181], v[6:7], v[180:181]
	;; [unrolled: 18-line block ×5, first 2 shown]
	v_add_f64_e32 v[192:193], v[208:209], v[206:207]
	v_add_f64_e32 v[198:199], v[198:199], v[204:205]
	s_wait_loadcnt_dscnt 0xa00
	v_mul_f64_e32 v[204:205], v[170:171], v[14:15]
	v_mul_f64_e32 v[14:15], v[172:173], v[14:15]
	v_fmac_f64_e32 v[200:201], v[6:7], v[174:175]
	v_fma_f64 v[206:207], v[4:5], v[174:175], -v[176:177]
	ds_load_b128 v[4:7], v2 offset:1440
	ds_load_b128 v[174:177], v2 offset:1456
	v_add_f64_e32 v[208:209], v[192:193], v[190:191]
	v_add_f64_e32 v[198:199], v[198:199], v[202:203]
	scratch_load_b128 v[190:193], off, off offset:576
	v_fmac_f64_e32 v[204:205], v[172:173], v[12:13]
	v_fma_f64 v[170:171], v[170:171], v[12:13], -v[14:15]
	scratch_load_b128 v[12:15], off, off offset:592
	s_wait_loadcnt_dscnt 0xb01
	v_mul_f64_e32 v[202:203], v[4:5], v[30:31]
	v_mul_f64_e32 v[30:31], v[6:7], v[30:31]
	v_add_f64_e32 v[172:173], v[208:209], v[206:207]
	v_add_f64_e32 v[198:199], v[198:199], v[200:201]
	s_wait_loadcnt_dscnt 0xa00
	v_mul_f64_e32 v[200:201], v[174:175], v[22:23]
	v_mul_f64_e32 v[22:23], v[176:177], v[22:23]
	v_fmac_f64_e32 v[202:203], v[6:7], v[28:29]
	v_fma_f64 v[206:207], v[4:5], v[28:29], -v[30:31]
	ds_load_b128 v[4:7], v2 offset:1472
	ds_load_b128 v[28:31], v2 offset:1488
	v_add_f64_e32 v[208:209], v[172:173], v[170:171]
	v_add_f64_e32 v[198:199], v[198:199], v[204:205]
	scratch_load_b128 v[170:173], off, off offset:608
	s_wait_loadcnt_dscnt 0xa01
	v_mul_f64_e32 v[204:205], v[4:5], v[168:169]
	v_mul_f64_e32 v[168:169], v[6:7], v[168:169]
	v_fmac_f64_e32 v[200:201], v[176:177], v[20:21]
	v_fma_f64 v[174:175], v[174:175], v[20:21], -v[22:23]
	scratch_load_b128 v[20:23], off, off offset:624
	v_add_f64_e32 v[176:177], v[208:209], v[206:207]
	v_add_f64_e32 v[198:199], v[198:199], v[202:203]
	s_wait_loadcnt_dscnt 0xa00
	v_mul_f64_e32 v[202:203], v[28:29], v[26:27]
	v_mul_f64_e32 v[26:27], v[30:31], v[26:27]
	v_fmac_f64_e32 v[204:205], v[6:7], v[166:167]
	v_fma_f64 v[206:207], v[4:5], v[166:167], -v[168:169]
	ds_load_b128 v[4:7], v2 offset:1504
	ds_load_b128 v[166:169], v2 offset:1520
	v_add_f64_e32 v[208:209], v[176:177], v[174:175]
	v_add_f64_e32 v[198:199], v[198:199], v[200:201]
	scratch_load_b128 v[174:177], off, off offset:640
	s_wait_loadcnt_dscnt 0xa01
	v_mul_f64_e32 v[200:201], v[4:5], v[180:181]
	v_mul_f64_e32 v[180:181], v[6:7], v[180:181]
	v_fmac_f64_e32 v[202:203], v[30:31], v[24:25]
	v_fma_f64 v[28:29], v[28:29], v[24:25], -v[26:27]
	scratch_load_b128 v[24:27], off, off offset:656
	v_add_f64_e32 v[30:31], v[208:209], v[206:207]
	v_add_f64_e32 v[198:199], v[198:199], v[204:205]
	s_wait_loadcnt_dscnt 0xa00
	v_mul_f64_e32 v[204:205], v[166:167], v[164:165]
	v_mul_f64_e32 v[164:165], v[168:169], v[164:165]
	v_fmac_f64_e32 v[200:201], v[6:7], v[178:179]
	v_fma_f64 v[206:207], v[4:5], v[178:179], -v[180:181]
	v_add_f64_e32 v[208:209], v[30:31], v[28:29]
	v_add_f64_e32 v[198:199], v[198:199], v[202:203]
	ds_load_b128 v[4:7], v2 offset:1536
	ds_load_b128 v[28:31], v2 offset:1552
	scratch_load_b128 v[178:181], off, off offset:672
	v_fmac_f64_e32 v[204:205], v[168:169], v[162:163]
	v_fma_f64 v[166:167], v[166:167], v[162:163], -v[164:165]
	scratch_load_b128 v[162:165], off, off offset:688
	s_wait_loadcnt_dscnt 0xb01
	v_mul_f64_e32 v[202:203], v[4:5], v[196:197]
	v_mul_f64_e32 v[196:197], v[6:7], v[196:197]
	v_add_f64_e32 v[168:169], v[208:209], v[206:207]
	v_add_f64_e32 v[198:199], v[198:199], v[200:201]
	s_wait_loadcnt_dscnt 0xa00
	v_mul_f64_e32 v[200:201], v[28:29], v[10:11]
	v_mul_f64_e32 v[10:11], v[30:31], v[10:11]
	v_fmac_f64_e32 v[202:203], v[6:7], v[194:195]
	v_fma_f64 v[206:207], v[4:5], v[194:195], -v[196:197]
	v_add_f64_e32 v[208:209], v[168:169], v[166:167]
	v_add_f64_e32 v[198:199], v[198:199], v[204:205]
	ds_load_b128 v[4:7], v2 offset:1568
	ds_load_b128 v[166:169], v2 offset:1584
	scratch_load_b128 v[194:197], off, off offset:704
	v_fmac_f64_e32 v[200:201], v[30:31], v[8:9]
	v_fma_f64 v[28:29], v[28:29], v[8:9], -v[10:11]
	scratch_load_b128 v[8:11], off, off offset:720
	s_wait_loadcnt_dscnt 0xb01
	v_mul_f64_e32 v[204:205], v[4:5], v[184:185]
	v_mul_f64_e32 v[184:185], v[6:7], v[184:185]
	;; [unrolled: 18-line block ×11, first 2 shown]
	v_add_f64_e32 v[168:169], v[208:209], v[206:207]
	v_add_f64_e32 v[198:199], v[198:199], v[202:203]
	s_wait_loadcnt_dscnt 0xa00
	v_mul_f64_e32 v[202:203], v[28:29], v[26:27]
	v_mul_f64_e32 v[26:27], v[30:31], v[26:27]
	v_fmac_f64_e32 v[204:205], v[6:7], v[174:175]
	v_fma_f64 v[174:175], v[4:5], v[174:175], -v[176:177]
	v_add_f64_e32 v[176:177], v[168:169], v[166:167]
	v_add_f64_e32 v[198:199], v[198:199], v[200:201]
	ds_load_b128 v[4:7], v2 offset:1888
	ds_load_b128 v[166:169], v2 offset:1904
	v_fmac_f64_e32 v[202:203], v[30:31], v[24:25]
	v_fma_f64 v[24:25], v[28:29], v[24:25], -v[26:27]
	s_wait_loadcnt_dscnt 0x901
	v_mul_f64_e32 v[200:201], v[4:5], v[180:181]
	v_mul_f64_e32 v[180:181], v[6:7], v[180:181]
	s_wait_loadcnt_dscnt 0x800
	v_mul_f64_e32 v[30:31], v[166:167], v[164:165]
	v_mul_f64_e32 v[164:165], v[168:169], v[164:165]
	v_add_f64_e32 v[26:27], v[176:177], v[174:175]
	v_add_f64_e32 v[28:29], v[198:199], v[204:205]
	v_fmac_f64_e32 v[200:201], v[6:7], v[178:179]
	v_fma_f64 v[174:175], v[4:5], v[178:179], -v[180:181]
	v_fmac_f64_e32 v[30:31], v[168:169], v[162:163]
	v_fma_f64 v[162:163], v[166:167], v[162:163], -v[164:165]
	v_add_f64_e32 v[176:177], v[26:27], v[24:25]
	v_add_f64_e32 v[28:29], v[28:29], v[202:203]
	ds_load_b128 v[4:7], v2 offset:1920
	ds_load_b128 v[24:27], v2 offset:1936
	s_wait_loadcnt_dscnt 0x701
	v_mul_f64_e32 v[178:179], v[4:5], v[196:197]
	v_mul_f64_e32 v[180:181], v[6:7], v[196:197]
	s_wait_loadcnt_dscnt 0x600
	v_mul_f64_e32 v[166:167], v[24:25], v[10:11]
	v_mul_f64_e32 v[10:11], v[26:27], v[10:11]
	v_add_f64_e32 v[164:165], v[176:177], v[174:175]
	v_add_f64_e32 v[28:29], v[28:29], v[200:201]
	v_fmac_f64_e32 v[178:179], v[6:7], v[194:195]
	v_fma_f64 v[168:169], v[4:5], v[194:195], -v[180:181]
	v_fmac_f64_e32 v[166:167], v[26:27], v[8:9]
	v_fma_f64 v[8:9], v[24:25], v[8:9], -v[10:11]
	v_add_f64_e32 v[162:163], v[164:165], v[162:163]
	v_add_f64_e32 v[164:165], v[28:29], v[30:31]
	ds_load_b128 v[4:7], v2 offset:1952
	ds_load_b128 v[28:31], v2 offset:1968
	;; [unrolled: 16-line block ×4, first 2 shown]
	s_wait_loadcnt_dscnt 0x101
	v_mul_f64_e32 v[2:3], v[4:5], v[172:173]
	v_mul_f64_e32 v[26:27], v[6:7], v[172:173]
	v_add_f64_e32 v[10:11], v[18:19], v[162:163]
	v_add_f64_e32 v[12:13], v[24:25], v[166:167]
	s_wait_loadcnt_dscnt 0x0
	v_mul_f64_e32 v[18:19], v[14:15], v[22:23]
	v_mul_f64_e32 v[22:23], v[16:17], v[22:23]
	v_fmac_f64_e32 v[2:3], v[6:7], v[170:171]
	v_fma_f64 v[4:5], v[4:5], v[170:171], -v[26:27]
	v_add_f64_e32 v[6:7], v[10:11], v[8:9]
	v_add_f64_e32 v[8:9], v[12:13], v[28:29]
	v_fmac_f64_e32 v[18:19], v[16:17], v[20:21]
	v_fma_f64 v[10:11], v[14:15], v[20:21], -v[22:23]
	s_delay_alu instid0(VALU_DEP_4) | instskip(NEXT) | instid1(VALU_DEP_4)
	v_add_f64_e32 v[4:5], v[6:7], v[4:5]
	v_add_f64_e32 v[2:3], v[8:9], v[2:3]
	s_delay_alu instid0(VALU_DEP_2) | instskip(NEXT) | instid1(VALU_DEP_2)
	v_add_f64_e32 v[4:5], v[4:5], v[10:11]
	v_add_f64_e32 v[6:7], v[2:3], v[18:19]
	s_delay_alu instid0(VALU_DEP_2) | instskip(NEXT) | instid1(VALU_DEP_2)
	v_add_f64_e64 v[2:3], v[186:187], -v[4:5]
	v_add_f64_e64 v[4:5], v[188:189], -v[6:7]
	scratch_store_b128 off, v[2:5], off offset:112
	s_wait_xcnt 0x0
	v_cmpx_lt_u32_e32 6, v1
	s_cbranch_execz .LBB127_397
; %bb.396:
	scratch_load_b128 v[2:5], off, s76
	v_mov_b32_e32 v6, 0
	s_delay_alu instid0(VALU_DEP_1)
	v_dual_mov_b32 v7, v6 :: v_dual_mov_b32 v8, v6
	v_mov_b32_e32 v9, v6
	scratch_store_b128 off, v[6:9], off offset:96
	s_wait_loadcnt 0x0
	ds_store_b128 v160, v[2:5]
.LBB127_397:
	s_wait_xcnt 0x0
	s_or_b32 exec_lo, exec_lo, s2
	s_wait_storecnt_dscnt 0x0
	s_barrier_signal -1
	s_barrier_wait -1
	s_clause 0x9
	scratch_load_b128 v[4:7], off, off offset:112
	scratch_load_b128 v[8:11], off, off offset:128
	;; [unrolled: 1-line block ×10, first 2 shown]
	v_mov_b32_e32 v2, 0
	s_mov_b32 s2, exec_lo
	ds_load_b128 v[174:177], v2 offset:1136
	s_clause 0x2
	scratch_load_b128 v[178:181], off, off offset:272
	scratch_load_b128 v[182:185], off, off offset:96
	;; [unrolled: 1-line block ×3, first 2 shown]
	s_wait_loadcnt_dscnt 0xc00
	v_mul_f64_e32 v[194:195], v[176:177], v[6:7]
	v_mul_f64_e32 v[198:199], v[174:175], v[6:7]
	ds_load_b128 v[186:189], v2 offset:1152
	v_fma_f64 v[202:203], v[174:175], v[4:5], -v[194:195]
	v_fmac_f64_e32 v[198:199], v[176:177], v[4:5]
	ds_load_b128 v[4:7], v2 offset:1168
	s_wait_loadcnt_dscnt 0xb01
	v_mul_f64_e32 v[200:201], v[186:187], v[10:11]
	v_mul_f64_e32 v[10:11], v[188:189], v[10:11]
	scratch_load_b128 v[174:177], off, off offset:304
	ds_load_b128 v[194:197], v2 offset:1184
	s_wait_loadcnt_dscnt 0xb01
	v_mul_f64_e32 v[204:205], v[4:5], v[14:15]
	v_mul_f64_e32 v[14:15], v[6:7], v[14:15]
	v_add_f64_e32 v[198:199], 0, v[198:199]
	v_fmac_f64_e32 v[200:201], v[188:189], v[8:9]
	v_fma_f64 v[186:187], v[186:187], v[8:9], -v[10:11]
	v_add_f64_e32 v[188:189], 0, v[202:203]
	scratch_load_b128 v[8:11], off, off offset:320
	v_fmac_f64_e32 v[204:205], v[6:7], v[12:13]
	v_fma_f64 v[206:207], v[4:5], v[12:13], -v[14:15]
	ds_load_b128 v[4:7], v2 offset:1200
	s_wait_loadcnt_dscnt 0xb01
	v_mul_f64_e32 v[202:203], v[194:195], v[18:19]
	v_mul_f64_e32 v[18:19], v[196:197], v[18:19]
	scratch_load_b128 v[12:15], off, off offset:336
	v_add_f64_e32 v[198:199], v[198:199], v[200:201]
	v_add_f64_e32 v[208:209], v[188:189], v[186:187]
	ds_load_b128 v[186:189], v2 offset:1216
	s_wait_loadcnt_dscnt 0xb01
	v_mul_f64_e32 v[200:201], v[4:5], v[22:23]
	v_mul_f64_e32 v[22:23], v[6:7], v[22:23]
	v_fmac_f64_e32 v[202:203], v[196:197], v[16:17]
	v_fma_f64 v[194:195], v[194:195], v[16:17], -v[18:19]
	scratch_load_b128 v[16:19], off, off offset:352
	v_add_f64_e32 v[198:199], v[198:199], v[204:205]
	v_add_f64_e32 v[196:197], v[208:209], v[206:207]
	v_fmac_f64_e32 v[200:201], v[6:7], v[20:21]
	v_fma_f64 v[206:207], v[4:5], v[20:21], -v[22:23]
	ds_load_b128 v[4:7], v2 offset:1232
	s_wait_loadcnt_dscnt 0xb01
	v_mul_f64_e32 v[204:205], v[186:187], v[26:27]
	v_mul_f64_e32 v[26:27], v[188:189], v[26:27]
	scratch_load_b128 v[20:23], off, off offset:368
	v_add_f64_e32 v[198:199], v[198:199], v[202:203]
	s_wait_loadcnt_dscnt 0xb00
	v_mul_f64_e32 v[202:203], v[4:5], v[30:31]
	v_add_f64_e32 v[208:209], v[196:197], v[194:195]
	v_mul_f64_e32 v[30:31], v[6:7], v[30:31]
	ds_load_b128 v[194:197], v2 offset:1248
	v_fmac_f64_e32 v[204:205], v[188:189], v[24:25]
	v_fma_f64 v[186:187], v[186:187], v[24:25], -v[26:27]
	scratch_load_b128 v[24:27], off, off offset:384
	v_add_f64_e32 v[198:199], v[198:199], v[200:201]
	v_fmac_f64_e32 v[202:203], v[6:7], v[28:29]
	v_add_f64_e32 v[188:189], v[208:209], v[206:207]
	v_fma_f64 v[206:207], v[4:5], v[28:29], -v[30:31]
	ds_load_b128 v[4:7], v2 offset:1264
	s_wait_loadcnt_dscnt 0xb01
	v_mul_f64_e32 v[200:201], v[194:195], v[164:165]
	v_mul_f64_e32 v[164:165], v[196:197], v[164:165]
	scratch_load_b128 v[28:31], off, off offset:400
	v_add_f64_e32 v[198:199], v[198:199], v[204:205]
	s_wait_loadcnt_dscnt 0xb00
	v_mul_f64_e32 v[204:205], v[4:5], v[168:169]
	v_add_f64_e32 v[208:209], v[188:189], v[186:187]
	v_mul_f64_e32 v[168:169], v[6:7], v[168:169]
	ds_load_b128 v[186:189], v2 offset:1280
	v_fmac_f64_e32 v[200:201], v[196:197], v[162:163]
	v_fma_f64 v[194:195], v[194:195], v[162:163], -v[164:165]
	scratch_load_b128 v[162:165], off, off offset:416
	v_add_f64_e32 v[198:199], v[198:199], v[202:203]
	v_fmac_f64_e32 v[204:205], v[6:7], v[166:167]
	v_add_f64_e32 v[196:197], v[208:209], v[206:207]
	;; [unrolled: 18-line block ×3, first 2 shown]
	v_fma_f64 v[206:207], v[4:5], v[178:179], -v[180:181]
	ds_load_b128 v[4:7], v2 offset:1328
	s_wait_loadcnt_dscnt 0xa01
	v_mul_f64_e32 v[204:205], v[194:195], v[192:193]
	v_mul_f64_e32 v[192:193], v[196:197], v[192:193]
	scratch_load_b128 v[178:181], off, off offset:464
	v_add_f64_e32 v[198:199], v[198:199], v[202:203]
	v_add_f64_e32 v[208:209], v[188:189], v[186:187]
	s_wait_loadcnt_dscnt 0xa00
	v_mul_f64_e32 v[202:203], v[4:5], v[176:177]
	v_mul_f64_e32 v[176:177], v[6:7], v[176:177]
	v_fmac_f64_e32 v[204:205], v[196:197], v[190:191]
	v_fma_f64 v[194:195], v[194:195], v[190:191], -v[192:193]
	ds_load_b128 v[186:189], v2 offset:1344
	scratch_load_b128 v[190:193], off, off offset:480
	v_add_f64_e32 v[198:199], v[198:199], v[200:201]
	v_add_f64_e32 v[196:197], v[208:209], v[206:207]
	v_fmac_f64_e32 v[202:203], v[6:7], v[174:175]
	v_fma_f64 v[206:207], v[4:5], v[174:175], -v[176:177]
	ds_load_b128 v[4:7], v2 offset:1360
	s_wait_loadcnt_dscnt 0xa01
	v_mul_f64_e32 v[200:201], v[186:187], v[10:11]
	v_mul_f64_e32 v[10:11], v[188:189], v[10:11]
	scratch_load_b128 v[174:177], off, off offset:496
	v_add_f64_e32 v[198:199], v[198:199], v[204:205]
	s_wait_loadcnt_dscnt 0xa00
	v_mul_f64_e32 v[204:205], v[4:5], v[14:15]
	v_add_f64_e32 v[208:209], v[196:197], v[194:195]
	v_mul_f64_e32 v[14:15], v[6:7], v[14:15]
	ds_load_b128 v[194:197], v2 offset:1376
	v_fmac_f64_e32 v[200:201], v[188:189], v[8:9]
	v_fma_f64 v[186:187], v[186:187], v[8:9], -v[10:11]
	scratch_load_b128 v[8:11], off, off offset:512
	v_add_f64_e32 v[198:199], v[198:199], v[202:203]
	v_fmac_f64_e32 v[204:205], v[6:7], v[12:13]
	v_add_f64_e32 v[188:189], v[208:209], v[206:207]
	v_fma_f64 v[206:207], v[4:5], v[12:13], -v[14:15]
	ds_load_b128 v[4:7], v2 offset:1392
	s_wait_loadcnt_dscnt 0xa01
	v_mul_f64_e32 v[202:203], v[194:195], v[18:19]
	v_mul_f64_e32 v[18:19], v[196:197], v[18:19]
	scratch_load_b128 v[12:15], off, off offset:528
	v_add_f64_e32 v[198:199], v[198:199], v[200:201]
	s_wait_loadcnt_dscnt 0xa00
	v_mul_f64_e32 v[200:201], v[4:5], v[22:23]
	v_add_f64_e32 v[208:209], v[188:189], v[186:187]
	v_mul_f64_e32 v[22:23], v[6:7], v[22:23]
	ds_load_b128 v[186:189], v2 offset:1408
	v_fmac_f64_e32 v[202:203], v[196:197], v[16:17]
	v_fma_f64 v[194:195], v[194:195], v[16:17], -v[18:19]
	scratch_load_b128 v[16:19], off, off offset:544
	v_add_f64_e32 v[198:199], v[198:199], v[204:205]
	v_fmac_f64_e32 v[200:201], v[6:7], v[20:21]
	v_add_f64_e32 v[196:197], v[208:209], v[206:207]
	;; [unrolled: 18-line block ×16, first 2 shown]
	v_fma_f64 v[206:207], v[4:5], v[166:167], -v[168:169]
	ds_load_b128 v[4:7], v2 offset:1872
	s_wait_loadcnt_dscnt 0xa01
	v_mul_f64_e32 v[202:203], v[186:187], v[172:173]
	v_mul_f64_e32 v[172:173], v[188:189], v[172:173]
	scratch_load_b128 v[166:169], off, off offset:1008
	v_add_f64_e32 v[198:199], v[198:199], v[200:201]
	s_wait_loadcnt_dscnt 0xa00
	v_mul_f64_e32 v[200:201], v[4:5], v[180:181]
	v_add_f64_e32 v[208:209], v[196:197], v[194:195]
	v_mul_f64_e32 v[180:181], v[6:7], v[180:181]
	ds_load_b128 v[194:197], v2 offset:1888
	v_fmac_f64_e32 v[202:203], v[188:189], v[170:171]
	v_fma_f64 v[170:171], v[186:187], v[170:171], -v[172:173]
	s_wait_loadcnt_dscnt 0x900
	v_mul_f64_e32 v[188:189], v[194:195], v[192:193]
	v_mul_f64_e32 v[192:193], v[196:197], v[192:193]
	v_add_f64_e32 v[186:187], v[198:199], v[204:205]
	v_fmac_f64_e32 v[200:201], v[6:7], v[178:179]
	v_add_f64_e32 v[172:173], v[208:209], v[206:207]
	v_fma_f64 v[178:179], v[4:5], v[178:179], -v[180:181]
	v_fmac_f64_e32 v[188:189], v[196:197], v[190:191]
	v_fma_f64 v[190:191], v[194:195], v[190:191], -v[192:193]
	v_add_f64_e32 v[186:187], v[186:187], v[202:203]
	v_add_f64_e32 v[180:181], v[172:173], v[170:171]
	ds_load_b128 v[4:7], v2 offset:1904
	ds_load_b128 v[170:173], v2 offset:1920
	s_wait_loadcnt_dscnt 0x801
	v_mul_f64_e32 v[198:199], v[4:5], v[176:177]
	v_mul_f64_e32 v[176:177], v[6:7], v[176:177]
	v_add_f64_e32 v[178:179], v[180:181], v[178:179]
	v_add_f64_e32 v[180:181], v[186:187], v[200:201]
	s_wait_loadcnt_dscnt 0x700
	v_mul_f64_e32 v[186:187], v[170:171], v[10:11]
	v_mul_f64_e32 v[10:11], v[172:173], v[10:11]
	v_fmac_f64_e32 v[198:199], v[6:7], v[174:175]
	v_fma_f64 v[192:193], v[4:5], v[174:175], -v[176:177]
	ds_load_b128 v[4:7], v2 offset:1936
	ds_load_b128 v[174:177], v2 offset:1952
	v_add_f64_e32 v[178:179], v[178:179], v[190:191]
	v_add_f64_e32 v[180:181], v[180:181], v[188:189]
	v_fmac_f64_e32 v[186:187], v[172:173], v[8:9]
	v_fma_f64 v[8:9], v[170:171], v[8:9], -v[10:11]
	s_wait_loadcnt_dscnt 0x601
	v_mul_f64_e32 v[188:189], v[4:5], v[14:15]
	v_mul_f64_e32 v[14:15], v[6:7], v[14:15]
	s_wait_loadcnt_dscnt 0x500
	v_mul_f64_e32 v[172:173], v[174:175], v[18:19]
	v_mul_f64_e32 v[18:19], v[176:177], v[18:19]
	v_add_f64_e32 v[10:11], v[178:179], v[192:193]
	v_add_f64_e32 v[170:171], v[180:181], v[198:199]
	v_fmac_f64_e32 v[188:189], v[6:7], v[12:13]
	v_fma_f64 v[12:13], v[4:5], v[12:13], -v[14:15]
	v_fmac_f64_e32 v[172:173], v[176:177], v[16:17]
	v_fma_f64 v[16:17], v[174:175], v[16:17], -v[18:19]
	v_add_f64_e32 v[14:15], v[10:11], v[8:9]
	v_add_f64_e32 v[170:171], v[170:171], v[186:187]
	ds_load_b128 v[4:7], v2 offset:1968
	ds_load_b128 v[8:11], v2 offset:1984
	s_wait_loadcnt_dscnt 0x401
	v_mul_f64_e32 v[178:179], v[4:5], v[22:23]
	v_mul_f64_e32 v[22:23], v[6:7], v[22:23]
	s_wait_loadcnt_dscnt 0x300
	v_mul_f64_e32 v[18:19], v[8:9], v[26:27]
	v_mul_f64_e32 v[26:27], v[10:11], v[26:27]
	v_add_f64_e32 v[12:13], v[14:15], v[12:13]
	v_add_f64_e32 v[14:15], v[170:171], v[188:189]
	v_fmac_f64_e32 v[178:179], v[6:7], v[20:21]
	v_fma_f64 v[20:21], v[4:5], v[20:21], -v[22:23]
	v_fmac_f64_e32 v[18:19], v[10:11], v[24:25]
	v_fma_f64 v[8:9], v[8:9], v[24:25], -v[26:27]
	v_add_f64_e32 v[16:17], v[12:13], v[16:17]
	v_add_f64_e32 v[22:23], v[14:15], v[172:173]
	ds_load_b128 v[4:7], v2 offset:2000
	ds_load_b128 v[12:15], v2 offset:2016
	s_wait_loadcnt_dscnt 0x201
	v_mul_f64_e32 v[170:171], v[4:5], v[30:31]
	v_mul_f64_e32 v[30:31], v[6:7], v[30:31]
	v_add_f64_e32 v[10:11], v[16:17], v[20:21]
	v_add_f64_e32 v[16:17], v[22:23], v[178:179]
	s_wait_loadcnt_dscnt 0x100
	v_mul_f64_e32 v[20:21], v[12:13], v[164:165]
	v_mul_f64_e32 v[22:23], v[14:15], v[164:165]
	v_fmac_f64_e32 v[170:171], v[6:7], v[28:29]
	v_fma_f64 v[24:25], v[4:5], v[28:29], -v[30:31]
	ds_load_b128 v[4:7], v2 offset:2032
	v_add_f64_e32 v[8:9], v[10:11], v[8:9]
	v_add_f64_e32 v[10:11], v[16:17], v[18:19]
	v_fmac_f64_e32 v[20:21], v[14:15], v[162:163]
	v_fma_f64 v[12:13], v[12:13], v[162:163], -v[22:23]
	s_wait_loadcnt_dscnt 0x0
	v_mul_f64_e32 v[16:17], v[4:5], v[168:169]
	v_mul_f64_e32 v[18:19], v[6:7], v[168:169]
	v_add_f64_e32 v[8:9], v[8:9], v[24:25]
	v_add_f64_e32 v[10:11], v[10:11], v[170:171]
	s_delay_alu instid0(VALU_DEP_4) | instskip(NEXT) | instid1(VALU_DEP_4)
	v_fmac_f64_e32 v[16:17], v[6:7], v[166:167]
	v_fma_f64 v[4:5], v[4:5], v[166:167], -v[18:19]
	s_delay_alu instid0(VALU_DEP_4) | instskip(NEXT) | instid1(VALU_DEP_4)
	v_add_f64_e32 v[6:7], v[8:9], v[12:13]
	v_add_f64_e32 v[8:9], v[10:11], v[20:21]
	s_delay_alu instid0(VALU_DEP_2) | instskip(NEXT) | instid1(VALU_DEP_2)
	v_add_f64_e32 v[4:5], v[6:7], v[4:5]
	v_add_f64_e32 v[6:7], v[8:9], v[16:17]
	s_delay_alu instid0(VALU_DEP_2) | instskip(NEXT) | instid1(VALU_DEP_2)
	v_add_f64_e64 v[4:5], v[182:183], -v[4:5]
	v_add_f64_e64 v[6:7], v[184:185], -v[6:7]
	scratch_store_b128 off, v[4:7], off offset:96
	s_wait_xcnt 0x0
	v_cmpx_lt_u32_e32 5, v1
	s_cbranch_execz .LBB127_399
; %bb.398:
	scratch_load_b128 v[6:9], off, s77
	v_dual_mov_b32 v3, v2 :: v_dual_mov_b32 v4, v2
	v_mov_b32_e32 v5, v2
	scratch_store_b128 off, v[2:5], off offset:80
	s_wait_loadcnt 0x0
	ds_store_b128 v160, v[6:9]
.LBB127_399:
	s_wait_xcnt 0x0
	s_or_b32 exec_lo, exec_lo, s2
	s_wait_storecnt_dscnt 0x0
	s_barrier_signal -1
	s_barrier_wait -1
	s_clause 0x9
	scratch_load_b128 v[4:7], off, off offset:96
	scratch_load_b128 v[8:11], off, off offset:112
	;; [unrolled: 1-line block ×10, first 2 shown]
	ds_load_b128 v[174:177], v2 offset:1120
	ds_load_b128 v[182:185], v2 offset:1136
	s_clause 0x2
	scratch_load_b128 v[178:181], off, off offset:256
	scratch_load_b128 v[186:189], off, off offset:80
	;; [unrolled: 1-line block ×3, first 2 shown]
	s_mov_b32 s2, exec_lo
	s_wait_loadcnt_dscnt 0xc01
	v_mul_f64_e32 v[194:195], v[176:177], v[6:7]
	v_mul_f64_e32 v[198:199], v[174:175], v[6:7]
	s_wait_loadcnt_dscnt 0xb00
	v_mul_f64_e32 v[200:201], v[182:183], v[10:11]
	v_mul_f64_e32 v[10:11], v[184:185], v[10:11]
	s_delay_alu instid0(VALU_DEP_4) | instskip(NEXT) | instid1(VALU_DEP_4)
	v_fma_f64 v[202:203], v[174:175], v[4:5], -v[194:195]
	v_fmac_f64_e32 v[198:199], v[176:177], v[4:5]
	ds_load_b128 v[4:7], v2 offset:1152
	ds_load_b128 v[174:177], v2 offset:1168
	scratch_load_b128 v[194:197], off, off offset:288
	v_fmac_f64_e32 v[200:201], v[184:185], v[8:9]
	v_fma_f64 v[182:183], v[182:183], v[8:9], -v[10:11]
	scratch_load_b128 v[8:11], off, off offset:304
	s_wait_loadcnt_dscnt 0xc01
	v_mul_f64_e32 v[204:205], v[4:5], v[14:15]
	v_mul_f64_e32 v[14:15], v[6:7], v[14:15]
	v_add_f64_e32 v[184:185], 0, v[202:203]
	v_add_f64_e32 v[198:199], 0, v[198:199]
	s_wait_loadcnt_dscnt 0xb00
	v_mul_f64_e32 v[202:203], v[174:175], v[18:19]
	v_mul_f64_e32 v[18:19], v[176:177], v[18:19]
	v_fmac_f64_e32 v[204:205], v[6:7], v[12:13]
	v_fma_f64 v[206:207], v[4:5], v[12:13], -v[14:15]
	ds_load_b128 v[4:7], v2 offset:1184
	ds_load_b128 v[12:15], v2 offset:1200
	v_add_f64_e32 v[208:209], v[184:185], v[182:183]
	v_add_f64_e32 v[198:199], v[198:199], v[200:201]
	scratch_load_b128 v[182:185], off, off offset:320
	v_fmac_f64_e32 v[202:203], v[176:177], v[16:17]
	v_fma_f64 v[174:175], v[174:175], v[16:17], -v[18:19]
	scratch_load_b128 v[16:19], off, off offset:336
	s_wait_loadcnt_dscnt 0xc01
	v_mul_f64_e32 v[200:201], v[4:5], v[22:23]
	v_mul_f64_e32 v[22:23], v[6:7], v[22:23]
	v_add_f64_e32 v[176:177], v[208:209], v[206:207]
	v_add_f64_e32 v[198:199], v[198:199], v[204:205]
	s_wait_loadcnt_dscnt 0xb00
	v_mul_f64_e32 v[204:205], v[12:13], v[26:27]
	v_mul_f64_e32 v[26:27], v[14:15], v[26:27]
	v_fmac_f64_e32 v[200:201], v[6:7], v[20:21]
	v_fma_f64 v[206:207], v[4:5], v[20:21], -v[22:23]
	ds_load_b128 v[4:7], v2 offset:1216
	ds_load_b128 v[20:23], v2 offset:1232
	v_add_f64_e32 v[208:209], v[176:177], v[174:175]
	v_add_f64_e32 v[198:199], v[198:199], v[202:203]
	scratch_load_b128 v[174:177], off, off offset:352
	s_wait_loadcnt_dscnt 0xb01
	v_mul_f64_e32 v[202:203], v[4:5], v[30:31]
	v_mul_f64_e32 v[30:31], v[6:7], v[30:31]
	v_fmac_f64_e32 v[204:205], v[14:15], v[24:25]
	v_fma_f64 v[24:25], v[12:13], v[24:25], -v[26:27]
	scratch_load_b128 v[12:15], off, off offset:368
	v_add_f64_e32 v[26:27], v[208:209], v[206:207]
	v_add_f64_e32 v[198:199], v[198:199], v[200:201]
	s_wait_loadcnt_dscnt 0xb00
	v_mul_f64_e32 v[200:201], v[20:21], v[164:165]
	v_mul_f64_e32 v[164:165], v[22:23], v[164:165]
	v_fmac_f64_e32 v[202:203], v[6:7], v[28:29]
	v_fma_f64 v[206:207], v[4:5], v[28:29], -v[30:31]
	v_add_f64_e32 v[208:209], v[26:27], v[24:25]
	v_add_f64_e32 v[198:199], v[198:199], v[204:205]
	ds_load_b128 v[4:7], v2 offset:1248
	ds_load_b128 v[24:27], v2 offset:1264
	scratch_load_b128 v[28:31], off, off offset:384
	v_fmac_f64_e32 v[200:201], v[22:23], v[162:163]
	v_fma_f64 v[162:163], v[20:21], v[162:163], -v[164:165]
	scratch_load_b128 v[20:23], off, off offset:400
	s_wait_loadcnt_dscnt 0xc01
	v_mul_f64_e32 v[204:205], v[4:5], v[168:169]
	v_mul_f64_e32 v[168:169], v[6:7], v[168:169]
	v_add_f64_e32 v[164:165], v[208:209], v[206:207]
	v_add_f64_e32 v[198:199], v[198:199], v[202:203]
	s_wait_loadcnt_dscnt 0xb00
	v_mul_f64_e32 v[202:203], v[24:25], v[172:173]
	v_mul_f64_e32 v[172:173], v[26:27], v[172:173]
	v_fmac_f64_e32 v[204:205], v[6:7], v[166:167]
	v_fma_f64 v[206:207], v[4:5], v[166:167], -v[168:169]
	v_add_f64_e32 v[208:209], v[164:165], v[162:163]
	v_add_f64_e32 v[198:199], v[198:199], v[200:201]
	ds_load_b128 v[4:7], v2 offset:1280
	ds_load_b128 v[162:165], v2 offset:1296
	scratch_load_b128 v[166:169], off, off offset:416
	v_fmac_f64_e32 v[202:203], v[26:27], v[170:171]
	v_fma_f64 v[170:171], v[24:25], v[170:171], -v[172:173]
	scratch_load_b128 v[24:27], off, off offset:432
	s_wait_loadcnt_dscnt 0xc01
	v_mul_f64_e32 v[200:201], v[4:5], v[180:181]
	v_mul_f64_e32 v[180:181], v[6:7], v[180:181]
	;; [unrolled: 18-line block ×5, first 2 shown]
	v_add_f64_e32 v[192:193], v[208:209], v[206:207]
	v_add_f64_e32 v[198:199], v[198:199], v[204:205]
	s_wait_loadcnt_dscnt 0xa00
	v_mul_f64_e32 v[204:205], v[170:171], v[14:15]
	v_mul_f64_e32 v[14:15], v[172:173], v[14:15]
	v_fmac_f64_e32 v[200:201], v[6:7], v[174:175]
	v_fma_f64 v[206:207], v[4:5], v[174:175], -v[176:177]
	ds_load_b128 v[4:7], v2 offset:1408
	ds_load_b128 v[174:177], v2 offset:1424
	v_add_f64_e32 v[208:209], v[192:193], v[190:191]
	v_add_f64_e32 v[198:199], v[198:199], v[202:203]
	scratch_load_b128 v[190:193], off, off offset:544
	v_fmac_f64_e32 v[204:205], v[172:173], v[12:13]
	v_fma_f64 v[170:171], v[170:171], v[12:13], -v[14:15]
	scratch_load_b128 v[12:15], off, off offset:560
	s_wait_loadcnt_dscnt 0xb01
	v_mul_f64_e32 v[202:203], v[4:5], v[30:31]
	v_mul_f64_e32 v[30:31], v[6:7], v[30:31]
	v_add_f64_e32 v[172:173], v[208:209], v[206:207]
	v_add_f64_e32 v[198:199], v[198:199], v[200:201]
	s_wait_loadcnt_dscnt 0xa00
	v_mul_f64_e32 v[200:201], v[174:175], v[22:23]
	v_mul_f64_e32 v[22:23], v[176:177], v[22:23]
	v_fmac_f64_e32 v[202:203], v[6:7], v[28:29]
	v_fma_f64 v[206:207], v[4:5], v[28:29], -v[30:31]
	ds_load_b128 v[4:7], v2 offset:1440
	ds_load_b128 v[28:31], v2 offset:1456
	v_add_f64_e32 v[208:209], v[172:173], v[170:171]
	v_add_f64_e32 v[198:199], v[198:199], v[204:205]
	scratch_load_b128 v[170:173], off, off offset:576
	s_wait_loadcnt_dscnt 0xa01
	v_mul_f64_e32 v[204:205], v[4:5], v[168:169]
	v_mul_f64_e32 v[168:169], v[6:7], v[168:169]
	v_fmac_f64_e32 v[200:201], v[176:177], v[20:21]
	v_fma_f64 v[174:175], v[174:175], v[20:21], -v[22:23]
	scratch_load_b128 v[20:23], off, off offset:592
	v_add_f64_e32 v[176:177], v[208:209], v[206:207]
	v_add_f64_e32 v[198:199], v[198:199], v[202:203]
	s_wait_loadcnt_dscnt 0xa00
	v_mul_f64_e32 v[202:203], v[28:29], v[26:27]
	v_mul_f64_e32 v[26:27], v[30:31], v[26:27]
	v_fmac_f64_e32 v[204:205], v[6:7], v[166:167]
	v_fma_f64 v[206:207], v[4:5], v[166:167], -v[168:169]
	ds_load_b128 v[4:7], v2 offset:1472
	ds_load_b128 v[166:169], v2 offset:1488
	v_add_f64_e32 v[208:209], v[176:177], v[174:175]
	v_add_f64_e32 v[198:199], v[198:199], v[200:201]
	scratch_load_b128 v[174:177], off, off offset:608
	s_wait_loadcnt_dscnt 0xa01
	v_mul_f64_e32 v[200:201], v[4:5], v[180:181]
	v_mul_f64_e32 v[180:181], v[6:7], v[180:181]
	v_fmac_f64_e32 v[202:203], v[30:31], v[24:25]
	v_fma_f64 v[28:29], v[28:29], v[24:25], -v[26:27]
	scratch_load_b128 v[24:27], off, off offset:624
	v_add_f64_e32 v[30:31], v[208:209], v[206:207]
	v_add_f64_e32 v[198:199], v[198:199], v[204:205]
	s_wait_loadcnt_dscnt 0xa00
	v_mul_f64_e32 v[204:205], v[166:167], v[164:165]
	v_mul_f64_e32 v[164:165], v[168:169], v[164:165]
	v_fmac_f64_e32 v[200:201], v[6:7], v[178:179]
	v_fma_f64 v[206:207], v[4:5], v[178:179], -v[180:181]
	v_add_f64_e32 v[208:209], v[30:31], v[28:29]
	v_add_f64_e32 v[198:199], v[198:199], v[202:203]
	ds_load_b128 v[4:7], v2 offset:1504
	ds_load_b128 v[28:31], v2 offset:1520
	scratch_load_b128 v[178:181], off, off offset:640
	v_fmac_f64_e32 v[204:205], v[168:169], v[162:163]
	v_fma_f64 v[166:167], v[166:167], v[162:163], -v[164:165]
	scratch_load_b128 v[162:165], off, off offset:656
	s_wait_loadcnt_dscnt 0xb01
	v_mul_f64_e32 v[202:203], v[4:5], v[196:197]
	v_mul_f64_e32 v[196:197], v[6:7], v[196:197]
	v_add_f64_e32 v[168:169], v[208:209], v[206:207]
	v_add_f64_e32 v[198:199], v[198:199], v[200:201]
	s_wait_loadcnt_dscnt 0xa00
	v_mul_f64_e32 v[200:201], v[28:29], v[10:11]
	v_mul_f64_e32 v[10:11], v[30:31], v[10:11]
	v_fmac_f64_e32 v[202:203], v[6:7], v[194:195]
	v_fma_f64 v[206:207], v[4:5], v[194:195], -v[196:197]
	v_add_f64_e32 v[208:209], v[168:169], v[166:167]
	v_add_f64_e32 v[198:199], v[198:199], v[204:205]
	ds_load_b128 v[4:7], v2 offset:1536
	ds_load_b128 v[166:169], v2 offset:1552
	scratch_load_b128 v[194:197], off, off offset:672
	v_fmac_f64_e32 v[200:201], v[30:31], v[8:9]
	v_fma_f64 v[28:29], v[28:29], v[8:9], -v[10:11]
	scratch_load_b128 v[8:11], off, off offset:688
	s_wait_loadcnt_dscnt 0xb01
	v_mul_f64_e32 v[204:205], v[4:5], v[184:185]
	v_mul_f64_e32 v[184:185], v[6:7], v[184:185]
	;; [unrolled: 18-line block ×12, first 2 shown]
	v_add_f64_e32 v[30:31], v[208:209], v[206:207]
	v_add_f64_e32 v[198:199], v[198:199], v[204:205]
	s_wait_loadcnt_dscnt 0xa00
	v_mul_f64_e32 v[204:205], v[166:167], v[164:165]
	v_mul_f64_e32 v[164:165], v[168:169], v[164:165]
	v_fmac_f64_e32 v[200:201], v[6:7], v[178:179]
	v_fma_f64 v[178:179], v[4:5], v[178:179], -v[180:181]
	v_add_f64_e32 v[180:181], v[30:31], v[28:29]
	v_add_f64_e32 v[198:199], v[198:199], v[202:203]
	ds_load_b128 v[4:7], v2 offset:1888
	ds_load_b128 v[28:31], v2 offset:1904
	v_fmac_f64_e32 v[204:205], v[168:169], v[162:163]
	v_fma_f64 v[162:163], v[166:167], v[162:163], -v[164:165]
	s_wait_loadcnt_dscnt 0x901
	v_mul_f64_e32 v[202:203], v[4:5], v[196:197]
	v_mul_f64_e32 v[196:197], v[6:7], v[196:197]
	s_wait_loadcnt_dscnt 0x800
	v_mul_f64_e32 v[168:169], v[28:29], v[10:11]
	v_mul_f64_e32 v[10:11], v[30:31], v[10:11]
	v_add_f64_e32 v[164:165], v[180:181], v[178:179]
	v_add_f64_e32 v[166:167], v[198:199], v[200:201]
	v_fmac_f64_e32 v[202:203], v[6:7], v[194:195]
	v_fma_f64 v[178:179], v[4:5], v[194:195], -v[196:197]
	v_fmac_f64_e32 v[168:169], v[30:31], v[8:9]
	v_fma_f64 v[8:9], v[28:29], v[8:9], -v[10:11]
	v_add_f64_e32 v[180:181], v[164:165], v[162:163]
	v_add_f64_e32 v[166:167], v[166:167], v[204:205]
	ds_load_b128 v[4:7], v2 offset:1920
	ds_load_b128 v[162:165], v2 offset:1936
	s_wait_loadcnt_dscnt 0x701
	v_mul_f64_e32 v[194:195], v[4:5], v[184:185]
	v_mul_f64_e32 v[184:185], v[6:7], v[184:185]
	s_wait_loadcnt_dscnt 0x600
	v_mul_f64_e32 v[30:31], v[162:163], v[18:19]
	v_mul_f64_e32 v[18:19], v[164:165], v[18:19]
	v_add_f64_e32 v[10:11], v[180:181], v[178:179]
	v_add_f64_e32 v[28:29], v[166:167], v[202:203]
	v_fmac_f64_e32 v[194:195], v[6:7], v[182:183]
	v_fma_f64 v[166:167], v[4:5], v[182:183], -v[184:185]
	v_fmac_f64_e32 v[30:31], v[164:165], v[16:17]
	v_fma_f64 v[16:17], v[162:163], v[16:17], -v[18:19]
	v_add_f64_e32 v[178:179], v[10:11], v[8:9]
	v_add_f64_e32 v[28:29], v[28:29], v[168:169]
	ds_load_b128 v[4:7], v2 offset:1952
	ds_load_b128 v[8:11], v2 offset:1968
	;; [unrolled: 16-line block ×3, first 2 shown]
	s_wait_loadcnt_dscnt 0x301
	v_mul_f64_e32 v[30:31], v[4:5], v[172:173]
	v_mul_f64_e32 v[172:173], v[6:7], v[172:173]
	v_add_f64_e32 v[10:11], v[18:19], v[166:167]
	v_add_f64_e32 v[12:13], v[28:29], v[168:169]
	s_wait_loadcnt_dscnt 0x200
	v_mul_f64_e32 v[18:19], v[14:15], v[22:23]
	v_mul_f64_e32 v[22:23], v[16:17], v[22:23]
	v_fmac_f64_e32 v[30:31], v[6:7], v[170:171]
	v_fma_f64 v[28:29], v[4:5], v[170:171], -v[172:173]
	v_add_f64_e32 v[164:165], v[10:11], v[8:9]
	v_add_f64_e32 v[12:13], v[12:13], v[162:163]
	ds_load_b128 v[4:7], v2 offset:2016
	ds_load_b128 v[8:11], v2 offset:2032
	v_fmac_f64_e32 v[18:19], v[16:17], v[20:21]
	v_fma_f64 v[14:15], v[14:15], v[20:21], -v[22:23]
	s_wait_loadcnt_dscnt 0x101
	v_mul_f64_e32 v[2:3], v[4:5], v[176:177]
	v_mul_f64_e32 v[162:163], v[6:7], v[176:177]
	s_wait_loadcnt_dscnt 0x0
	v_mul_f64_e32 v[20:21], v[8:9], v[26:27]
	v_mul_f64_e32 v[22:23], v[10:11], v[26:27]
	v_add_f64_e32 v[16:17], v[164:165], v[28:29]
	v_add_f64_e32 v[12:13], v[12:13], v[30:31]
	v_fmac_f64_e32 v[2:3], v[6:7], v[174:175]
	v_fma_f64 v[4:5], v[4:5], v[174:175], -v[162:163]
	v_fmac_f64_e32 v[20:21], v[10:11], v[24:25]
	v_fma_f64 v[8:9], v[8:9], v[24:25], -v[22:23]
	v_add_f64_e32 v[6:7], v[16:17], v[14:15]
	v_add_f64_e32 v[12:13], v[12:13], v[18:19]
	s_delay_alu instid0(VALU_DEP_2) | instskip(NEXT) | instid1(VALU_DEP_2)
	v_add_f64_e32 v[4:5], v[6:7], v[4:5]
	v_add_f64_e32 v[2:3], v[12:13], v[2:3]
	s_delay_alu instid0(VALU_DEP_2) | instskip(NEXT) | instid1(VALU_DEP_2)
	;; [unrolled: 3-line block ×3, first 2 shown]
	v_add_f64_e64 v[2:3], v[186:187], -v[4:5]
	v_add_f64_e64 v[4:5], v[188:189], -v[6:7]
	scratch_store_b128 off, v[2:5], off offset:80
	s_wait_xcnt 0x0
	v_cmpx_lt_u32_e32 4, v1
	s_cbranch_execz .LBB127_401
; %bb.400:
	v_readlane_b32 s3, v210, 1
	v_mov_b32_e32 v6, 0
	scratch_load_b128 v[2:5], off, s3
	v_dual_mov_b32 v7, v6 :: v_dual_mov_b32 v8, v6
	v_mov_b32_e32 v9, v6
	scratch_store_b128 off, v[6:9], off offset:64
	s_wait_loadcnt 0x0
	ds_store_b128 v160, v[2:5]
.LBB127_401:
	s_wait_xcnt 0x0
	s_or_b32 exec_lo, exec_lo, s2
	s_wait_storecnt_dscnt 0x0
	s_barrier_signal -1
	s_barrier_wait -1
	s_clause 0x9
	scratch_load_b128 v[4:7], off, off offset:80
	scratch_load_b128 v[8:11], off, off offset:96
	;; [unrolled: 1-line block ×10, first 2 shown]
	v_mov_b32_e32 v2, 0
	s_mov_b32 s2, exec_lo
	ds_load_b128 v[174:177], v2 offset:1104
	s_clause 0x2
	scratch_load_b128 v[178:181], off, off offset:240
	scratch_load_b128 v[182:185], off, off offset:64
	;; [unrolled: 1-line block ×3, first 2 shown]
	s_wait_loadcnt_dscnt 0xc00
	v_mul_f64_e32 v[194:195], v[176:177], v[6:7]
	v_mul_f64_e32 v[198:199], v[174:175], v[6:7]
	ds_load_b128 v[186:189], v2 offset:1120
	v_fma_f64 v[202:203], v[174:175], v[4:5], -v[194:195]
	v_fmac_f64_e32 v[198:199], v[176:177], v[4:5]
	ds_load_b128 v[4:7], v2 offset:1136
	s_wait_loadcnt_dscnt 0xb01
	v_mul_f64_e32 v[200:201], v[186:187], v[10:11]
	v_mul_f64_e32 v[10:11], v[188:189], v[10:11]
	scratch_load_b128 v[174:177], off, off offset:272
	ds_load_b128 v[194:197], v2 offset:1152
	s_wait_loadcnt_dscnt 0xb01
	v_mul_f64_e32 v[204:205], v[4:5], v[14:15]
	v_mul_f64_e32 v[14:15], v[6:7], v[14:15]
	v_add_f64_e32 v[198:199], 0, v[198:199]
	v_fmac_f64_e32 v[200:201], v[188:189], v[8:9]
	v_fma_f64 v[186:187], v[186:187], v[8:9], -v[10:11]
	v_add_f64_e32 v[188:189], 0, v[202:203]
	scratch_load_b128 v[8:11], off, off offset:288
	v_fmac_f64_e32 v[204:205], v[6:7], v[12:13]
	v_fma_f64 v[206:207], v[4:5], v[12:13], -v[14:15]
	ds_load_b128 v[4:7], v2 offset:1168
	s_wait_loadcnt_dscnt 0xb01
	v_mul_f64_e32 v[202:203], v[194:195], v[18:19]
	v_mul_f64_e32 v[18:19], v[196:197], v[18:19]
	scratch_load_b128 v[12:15], off, off offset:304
	v_add_f64_e32 v[198:199], v[198:199], v[200:201]
	v_add_f64_e32 v[208:209], v[188:189], v[186:187]
	ds_load_b128 v[186:189], v2 offset:1184
	s_wait_loadcnt_dscnt 0xb01
	v_mul_f64_e32 v[200:201], v[4:5], v[22:23]
	v_mul_f64_e32 v[22:23], v[6:7], v[22:23]
	v_fmac_f64_e32 v[202:203], v[196:197], v[16:17]
	v_fma_f64 v[194:195], v[194:195], v[16:17], -v[18:19]
	scratch_load_b128 v[16:19], off, off offset:320
	v_add_f64_e32 v[198:199], v[198:199], v[204:205]
	v_add_f64_e32 v[196:197], v[208:209], v[206:207]
	v_fmac_f64_e32 v[200:201], v[6:7], v[20:21]
	v_fma_f64 v[206:207], v[4:5], v[20:21], -v[22:23]
	ds_load_b128 v[4:7], v2 offset:1200
	s_wait_loadcnt_dscnt 0xb01
	v_mul_f64_e32 v[204:205], v[186:187], v[26:27]
	v_mul_f64_e32 v[26:27], v[188:189], v[26:27]
	scratch_load_b128 v[20:23], off, off offset:336
	v_add_f64_e32 v[198:199], v[198:199], v[202:203]
	s_wait_loadcnt_dscnt 0xb00
	v_mul_f64_e32 v[202:203], v[4:5], v[30:31]
	v_add_f64_e32 v[208:209], v[196:197], v[194:195]
	v_mul_f64_e32 v[30:31], v[6:7], v[30:31]
	ds_load_b128 v[194:197], v2 offset:1216
	v_fmac_f64_e32 v[204:205], v[188:189], v[24:25]
	v_fma_f64 v[186:187], v[186:187], v[24:25], -v[26:27]
	scratch_load_b128 v[24:27], off, off offset:352
	v_add_f64_e32 v[198:199], v[198:199], v[200:201]
	v_fmac_f64_e32 v[202:203], v[6:7], v[28:29]
	v_add_f64_e32 v[188:189], v[208:209], v[206:207]
	v_fma_f64 v[206:207], v[4:5], v[28:29], -v[30:31]
	ds_load_b128 v[4:7], v2 offset:1232
	s_wait_loadcnt_dscnt 0xb01
	v_mul_f64_e32 v[200:201], v[194:195], v[164:165]
	v_mul_f64_e32 v[164:165], v[196:197], v[164:165]
	scratch_load_b128 v[28:31], off, off offset:368
	v_add_f64_e32 v[198:199], v[198:199], v[204:205]
	s_wait_loadcnt_dscnt 0xb00
	v_mul_f64_e32 v[204:205], v[4:5], v[168:169]
	v_add_f64_e32 v[208:209], v[188:189], v[186:187]
	v_mul_f64_e32 v[168:169], v[6:7], v[168:169]
	ds_load_b128 v[186:189], v2 offset:1248
	v_fmac_f64_e32 v[200:201], v[196:197], v[162:163]
	v_fma_f64 v[194:195], v[194:195], v[162:163], -v[164:165]
	scratch_load_b128 v[162:165], off, off offset:384
	v_add_f64_e32 v[198:199], v[198:199], v[202:203]
	v_fmac_f64_e32 v[204:205], v[6:7], v[166:167]
	v_add_f64_e32 v[196:197], v[208:209], v[206:207]
	;; [unrolled: 18-line block ×3, first 2 shown]
	v_fma_f64 v[206:207], v[4:5], v[178:179], -v[180:181]
	ds_load_b128 v[4:7], v2 offset:1296
	s_wait_loadcnt_dscnt 0xa01
	v_mul_f64_e32 v[204:205], v[194:195], v[192:193]
	v_mul_f64_e32 v[192:193], v[196:197], v[192:193]
	scratch_load_b128 v[178:181], off, off offset:432
	v_add_f64_e32 v[198:199], v[198:199], v[202:203]
	v_add_f64_e32 v[208:209], v[188:189], v[186:187]
	s_wait_loadcnt_dscnt 0xa00
	v_mul_f64_e32 v[202:203], v[4:5], v[176:177]
	v_mul_f64_e32 v[176:177], v[6:7], v[176:177]
	v_fmac_f64_e32 v[204:205], v[196:197], v[190:191]
	v_fma_f64 v[194:195], v[194:195], v[190:191], -v[192:193]
	ds_load_b128 v[186:189], v2 offset:1312
	scratch_load_b128 v[190:193], off, off offset:448
	v_add_f64_e32 v[198:199], v[198:199], v[200:201]
	v_add_f64_e32 v[196:197], v[208:209], v[206:207]
	v_fmac_f64_e32 v[202:203], v[6:7], v[174:175]
	v_fma_f64 v[206:207], v[4:5], v[174:175], -v[176:177]
	ds_load_b128 v[4:7], v2 offset:1328
	s_wait_loadcnt_dscnt 0xa01
	v_mul_f64_e32 v[200:201], v[186:187], v[10:11]
	v_mul_f64_e32 v[10:11], v[188:189], v[10:11]
	scratch_load_b128 v[174:177], off, off offset:464
	v_add_f64_e32 v[198:199], v[198:199], v[204:205]
	s_wait_loadcnt_dscnt 0xa00
	v_mul_f64_e32 v[204:205], v[4:5], v[14:15]
	v_add_f64_e32 v[208:209], v[196:197], v[194:195]
	v_mul_f64_e32 v[14:15], v[6:7], v[14:15]
	ds_load_b128 v[194:197], v2 offset:1344
	v_fmac_f64_e32 v[200:201], v[188:189], v[8:9]
	v_fma_f64 v[186:187], v[186:187], v[8:9], -v[10:11]
	scratch_load_b128 v[8:11], off, off offset:480
	v_add_f64_e32 v[198:199], v[198:199], v[202:203]
	v_fmac_f64_e32 v[204:205], v[6:7], v[12:13]
	v_add_f64_e32 v[188:189], v[208:209], v[206:207]
	v_fma_f64 v[206:207], v[4:5], v[12:13], -v[14:15]
	ds_load_b128 v[4:7], v2 offset:1360
	s_wait_loadcnt_dscnt 0xa01
	v_mul_f64_e32 v[202:203], v[194:195], v[18:19]
	v_mul_f64_e32 v[18:19], v[196:197], v[18:19]
	scratch_load_b128 v[12:15], off, off offset:496
	v_add_f64_e32 v[198:199], v[198:199], v[200:201]
	s_wait_loadcnt_dscnt 0xa00
	v_mul_f64_e32 v[200:201], v[4:5], v[22:23]
	v_add_f64_e32 v[208:209], v[188:189], v[186:187]
	v_mul_f64_e32 v[22:23], v[6:7], v[22:23]
	ds_load_b128 v[186:189], v2 offset:1376
	v_fmac_f64_e32 v[202:203], v[196:197], v[16:17]
	v_fma_f64 v[194:195], v[194:195], v[16:17], -v[18:19]
	scratch_load_b128 v[16:19], off, off offset:512
	v_add_f64_e32 v[198:199], v[198:199], v[204:205]
	v_fmac_f64_e32 v[200:201], v[6:7], v[20:21]
	v_add_f64_e32 v[196:197], v[208:209], v[206:207]
	;; [unrolled: 18-line block ×17, first 2 shown]
	v_fma_f64 v[206:207], v[4:5], v[178:179], -v[180:181]
	ds_load_b128 v[4:7], v2 offset:1872
	s_wait_loadcnt_dscnt 0xa01
	v_mul_f64_e32 v[204:205], v[194:195], v[192:193]
	v_mul_f64_e32 v[192:193], v[196:197], v[192:193]
	scratch_load_b128 v[178:181], off, off offset:1008
	v_add_f64_e32 v[198:199], v[198:199], v[202:203]
	s_wait_loadcnt_dscnt 0xa00
	v_mul_f64_e32 v[202:203], v[4:5], v[176:177]
	v_add_f64_e32 v[208:209], v[188:189], v[186:187]
	v_mul_f64_e32 v[176:177], v[6:7], v[176:177]
	ds_load_b128 v[186:189], v2 offset:1888
	v_fmac_f64_e32 v[204:205], v[196:197], v[190:191]
	v_fma_f64 v[190:191], v[194:195], v[190:191], -v[192:193]
	s_wait_loadcnt_dscnt 0x900
	v_mul_f64_e32 v[196:197], v[186:187], v[10:11]
	v_mul_f64_e32 v[10:11], v[188:189], v[10:11]
	v_add_f64_e32 v[194:195], v[198:199], v[200:201]
	v_fmac_f64_e32 v[202:203], v[6:7], v[174:175]
	v_add_f64_e32 v[192:193], v[208:209], v[206:207]
	v_fma_f64 v[198:199], v[4:5], v[174:175], -v[176:177]
	ds_load_b128 v[4:7], v2 offset:1904
	ds_load_b128 v[174:177], v2 offset:1920
	v_fmac_f64_e32 v[196:197], v[188:189], v[8:9]
	v_fma_f64 v[8:9], v[186:187], v[8:9], -v[10:11]
	v_add_f64_e32 v[190:191], v[192:193], v[190:191]
	v_add_f64_e32 v[192:193], v[194:195], v[204:205]
	s_wait_loadcnt_dscnt 0x801
	v_mul_f64_e32 v[194:195], v[4:5], v[14:15]
	v_mul_f64_e32 v[14:15], v[6:7], v[14:15]
	s_wait_loadcnt_dscnt 0x700
	v_mul_f64_e32 v[188:189], v[174:175], v[18:19]
	v_mul_f64_e32 v[18:19], v[176:177], v[18:19]
	v_add_f64_e32 v[10:11], v[190:191], v[198:199]
	v_add_f64_e32 v[186:187], v[192:193], v[202:203]
	v_fmac_f64_e32 v[194:195], v[6:7], v[12:13]
	v_fma_f64 v[12:13], v[4:5], v[12:13], -v[14:15]
	v_fmac_f64_e32 v[188:189], v[176:177], v[16:17]
	v_fma_f64 v[16:17], v[174:175], v[16:17], -v[18:19]
	v_add_f64_e32 v[14:15], v[10:11], v[8:9]
	v_add_f64_e32 v[186:187], v[186:187], v[196:197]
	ds_load_b128 v[4:7], v2 offset:1936
	ds_load_b128 v[8:11], v2 offset:1952
	s_wait_loadcnt_dscnt 0x601
	v_mul_f64_e32 v[190:191], v[4:5], v[22:23]
	v_mul_f64_e32 v[22:23], v[6:7], v[22:23]
	s_wait_loadcnt_dscnt 0x500
	v_mul_f64_e32 v[18:19], v[8:9], v[26:27]
	v_mul_f64_e32 v[26:27], v[10:11], v[26:27]
	v_add_f64_e32 v[12:13], v[14:15], v[12:13]
	v_add_f64_e32 v[14:15], v[186:187], v[194:195]
	v_fmac_f64_e32 v[190:191], v[6:7], v[20:21]
	v_fma_f64 v[20:21], v[4:5], v[20:21], -v[22:23]
	v_fmac_f64_e32 v[18:19], v[10:11], v[24:25]
	v_fma_f64 v[8:9], v[8:9], v[24:25], -v[26:27]
	v_add_f64_e32 v[16:17], v[12:13], v[16:17]
	v_add_f64_e32 v[22:23], v[14:15], v[188:189]
	ds_load_b128 v[4:7], v2 offset:1968
	ds_load_b128 v[12:15], v2 offset:1984
	s_wait_loadcnt_dscnt 0x401
	v_mul_f64_e32 v[174:175], v[4:5], v[30:31]
	v_mul_f64_e32 v[30:31], v[6:7], v[30:31]
	v_add_f64_e32 v[10:11], v[16:17], v[20:21]
	v_add_f64_e32 v[16:17], v[22:23], v[190:191]
	s_wait_loadcnt_dscnt 0x300
	v_mul_f64_e32 v[20:21], v[12:13], v[164:165]
	v_mul_f64_e32 v[22:23], v[14:15], v[164:165]
	v_fmac_f64_e32 v[174:175], v[6:7], v[28:29]
	v_fma_f64 v[24:25], v[4:5], v[28:29], -v[30:31]
	v_add_f64_e32 v[26:27], v[10:11], v[8:9]
	v_add_f64_e32 v[16:17], v[16:17], v[18:19]
	ds_load_b128 v[4:7], v2 offset:2000
	ds_load_b128 v[8:11], v2 offset:2016
	v_fmac_f64_e32 v[20:21], v[14:15], v[162:163]
	v_fma_f64 v[12:13], v[12:13], v[162:163], -v[22:23]
	s_wait_loadcnt_dscnt 0x201
	v_mul_f64_e32 v[18:19], v[4:5], v[168:169]
	v_mul_f64_e32 v[28:29], v[6:7], v[168:169]
	s_wait_loadcnt_dscnt 0x100
	v_mul_f64_e32 v[22:23], v[8:9], v[172:173]
	v_add_f64_e32 v[14:15], v[26:27], v[24:25]
	v_add_f64_e32 v[16:17], v[16:17], v[174:175]
	v_mul_f64_e32 v[24:25], v[10:11], v[172:173]
	v_fmac_f64_e32 v[18:19], v[6:7], v[166:167]
	v_fma_f64 v[26:27], v[4:5], v[166:167], -v[28:29]
	ds_load_b128 v[4:7], v2 offset:2032
	v_fmac_f64_e32 v[22:23], v[10:11], v[170:171]
	v_add_f64_e32 v[12:13], v[14:15], v[12:13]
	v_add_f64_e32 v[14:15], v[16:17], v[20:21]
	v_fma_f64 v[8:9], v[8:9], v[170:171], -v[24:25]
	s_wait_loadcnt_dscnt 0x0
	v_mul_f64_e32 v[16:17], v[4:5], v[180:181]
	v_mul_f64_e32 v[20:21], v[6:7], v[180:181]
	v_add_f64_e32 v[10:11], v[12:13], v[26:27]
	v_add_f64_e32 v[12:13], v[14:15], v[18:19]
	s_delay_alu instid0(VALU_DEP_4) | instskip(NEXT) | instid1(VALU_DEP_4)
	v_fmac_f64_e32 v[16:17], v[6:7], v[178:179]
	v_fma_f64 v[4:5], v[4:5], v[178:179], -v[20:21]
	s_delay_alu instid0(VALU_DEP_4) | instskip(NEXT) | instid1(VALU_DEP_4)
	v_add_f64_e32 v[6:7], v[10:11], v[8:9]
	v_add_f64_e32 v[8:9], v[12:13], v[22:23]
	s_delay_alu instid0(VALU_DEP_2) | instskip(NEXT) | instid1(VALU_DEP_2)
	v_add_f64_e32 v[4:5], v[6:7], v[4:5]
	v_add_f64_e32 v[6:7], v[8:9], v[16:17]
	s_delay_alu instid0(VALU_DEP_2) | instskip(NEXT) | instid1(VALU_DEP_2)
	v_add_f64_e64 v[4:5], v[182:183], -v[4:5]
	v_add_f64_e64 v[6:7], v[184:185], -v[6:7]
	scratch_store_b128 off, v[4:7], off offset:64
	s_wait_xcnt 0x0
	v_cmpx_lt_u32_e32 3, v1
	s_cbranch_execz .LBB127_403
; %bb.402:
	scratch_load_b128 v[6:9], off, s16
	v_dual_mov_b32 v3, v2 :: v_dual_mov_b32 v4, v2
	v_mov_b32_e32 v5, v2
	scratch_store_b128 off, v[2:5], off offset:48
	s_wait_loadcnt 0x0
	ds_store_b128 v160, v[6:9]
.LBB127_403:
	s_wait_xcnt 0x0
	s_or_b32 exec_lo, exec_lo, s2
	s_wait_storecnt_dscnt 0x0
	s_barrier_signal -1
	s_barrier_wait -1
	s_clause 0x9
	scratch_load_b128 v[4:7], off, off offset:64
	scratch_load_b128 v[8:11], off, off offset:80
	;; [unrolled: 1-line block ×10, first 2 shown]
	ds_load_b128 v[174:177], v2 offset:1088
	ds_load_b128 v[182:185], v2 offset:1104
	s_clause 0x2
	scratch_load_b128 v[178:181], off, off offset:224
	scratch_load_b128 v[186:189], off, off offset:48
	;; [unrolled: 1-line block ×3, first 2 shown]
	s_mov_b32 s2, exec_lo
	s_wait_loadcnt_dscnt 0xc01
	v_mul_f64_e32 v[194:195], v[176:177], v[6:7]
	v_mul_f64_e32 v[198:199], v[174:175], v[6:7]
	s_wait_loadcnt_dscnt 0xb00
	v_mul_f64_e32 v[200:201], v[182:183], v[10:11]
	v_mul_f64_e32 v[10:11], v[184:185], v[10:11]
	s_delay_alu instid0(VALU_DEP_4) | instskip(NEXT) | instid1(VALU_DEP_4)
	v_fma_f64 v[202:203], v[174:175], v[4:5], -v[194:195]
	v_fmac_f64_e32 v[198:199], v[176:177], v[4:5]
	ds_load_b128 v[4:7], v2 offset:1120
	ds_load_b128 v[174:177], v2 offset:1136
	scratch_load_b128 v[194:197], off, off offset:256
	v_fmac_f64_e32 v[200:201], v[184:185], v[8:9]
	v_fma_f64 v[182:183], v[182:183], v[8:9], -v[10:11]
	scratch_load_b128 v[8:11], off, off offset:272
	s_wait_loadcnt_dscnt 0xc01
	v_mul_f64_e32 v[204:205], v[4:5], v[14:15]
	v_mul_f64_e32 v[14:15], v[6:7], v[14:15]
	v_add_f64_e32 v[184:185], 0, v[202:203]
	v_add_f64_e32 v[198:199], 0, v[198:199]
	s_wait_loadcnt_dscnt 0xb00
	v_mul_f64_e32 v[202:203], v[174:175], v[18:19]
	v_mul_f64_e32 v[18:19], v[176:177], v[18:19]
	v_fmac_f64_e32 v[204:205], v[6:7], v[12:13]
	v_fma_f64 v[206:207], v[4:5], v[12:13], -v[14:15]
	ds_load_b128 v[4:7], v2 offset:1152
	ds_load_b128 v[12:15], v2 offset:1168
	v_add_f64_e32 v[208:209], v[184:185], v[182:183]
	v_add_f64_e32 v[198:199], v[198:199], v[200:201]
	scratch_load_b128 v[182:185], off, off offset:288
	v_fmac_f64_e32 v[202:203], v[176:177], v[16:17]
	v_fma_f64 v[174:175], v[174:175], v[16:17], -v[18:19]
	scratch_load_b128 v[16:19], off, off offset:304
	s_wait_loadcnt_dscnt 0xc01
	v_mul_f64_e32 v[200:201], v[4:5], v[22:23]
	v_mul_f64_e32 v[22:23], v[6:7], v[22:23]
	v_add_f64_e32 v[176:177], v[208:209], v[206:207]
	v_add_f64_e32 v[198:199], v[198:199], v[204:205]
	s_wait_loadcnt_dscnt 0xb00
	v_mul_f64_e32 v[204:205], v[12:13], v[26:27]
	v_mul_f64_e32 v[26:27], v[14:15], v[26:27]
	v_fmac_f64_e32 v[200:201], v[6:7], v[20:21]
	v_fma_f64 v[206:207], v[4:5], v[20:21], -v[22:23]
	ds_load_b128 v[4:7], v2 offset:1184
	ds_load_b128 v[20:23], v2 offset:1200
	v_add_f64_e32 v[208:209], v[176:177], v[174:175]
	v_add_f64_e32 v[198:199], v[198:199], v[202:203]
	scratch_load_b128 v[174:177], off, off offset:320
	s_wait_loadcnt_dscnt 0xb01
	v_mul_f64_e32 v[202:203], v[4:5], v[30:31]
	v_mul_f64_e32 v[30:31], v[6:7], v[30:31]
	v_fmac_f64_e32 v[204:205], v[14:15], v[24:25]
	v_fma_f64 v[24:25], v[12:13], v[24:25], -v[26:27]
	scratch_load_b128 v[12:15], off, off offset:336
	v_add_f64_e32 v[26:27], v[208:209], v[206:207]
	v_add_f64_e32 v[198:199], v[198:199], v[200:201]
	s_wait_loadcnt_dscnt 0xb00
	v_mul_f64_e32 v[200:201], v[20:21], v[164:165]
	v_mul_f64_e32 v[164:165], v[22:23], v[164:165]
	v_fmac_f64_e32 v[202:203], v[6:7], v[28:29]
	v_fma_f64 v[206:207], v[4:5], v[28:29], -v[30:31]
	v_add_f64_e32 v[208:209], v[26:27], v[24:25]
	v_add_f64_e32 v[198:199], v[198:199], v[204:205]
	ds_load_b128 v[4:7], v2 offset:1216
	ds_load_b128 v[24:27], v2 offset:1232
	scratch_load_b128 v[28:31], off, off offset:352
	v_fmac_f64_e32 v[200:201], v[22:23], v[162:163]
	v_fma_f64 v[162:163], v[20:21], v[162:163], -v[164:165]
	scratch_load_b128 v[20:23], off, off offset:368
	s_wait_loadcnt_dscnt 0xc01
	v_mul_f64_e32 v[204:205], v[4:5], v[168:169]
	v_mul_f64_e32 v[168:169], v[6:7], v[168:169]
	v_add_f64_e32 v[164:165], v[208:209], v[206:207]
	v_add_f64_e32 v[198:199], v[198:199], v[202:203]
	s_wait_loadcnt_dscnt 0xb00
	v_mul_f64_e32 v[202:203], v[24:25], v[172:173]
	v_mul_f64_e32 v[172:173], v[26:27], v[172:173]
	v_fmac_f64_e32 v[204:205], v[6:7], v[166:167]
	v_fma_f64 v[206:207], v[4:5], v[166:167], -v[168:169]
	v_add_f64_e32 v[208:209], v[164:165], v[162:163]
	v_add_f64_e32 v[198:199], v[198:199], v[200:201]
	ds_load_b128 v[4:7], v2 offset:1248
	ds_load_b128 v[162:165], v2 offset:1264
	scratch_load_b128 v[166:169], off, off offset:384
	v_fmac_f64_e32 v[202:203], v[26:27], v[170:171]
	v_fma_f64 v[170:171], v[24:25], v[170:171], -v[172:173]
	scratch_load_b128 v[24:27], off, off offset:400
	s_wait_loadcnt_dscnt 0xc01
	v_mul_f64_e32 v[200:201], v[4:5], v[180:181]
	v_mul_f64_e32 v[180:181], v[6:7], v[180:181]
	;; [unrolled: 18-line block ×5, first 2 shown]
	v_add_f64_e32 v[192:193], v[208:209], v[206:207]
	v_add_f64_e32 v[198:199], v[198:199], v[204:205]
	s_wait_loadcnt_dscnt 0xa00
	v_mul_f64_e32 v[204:205], v[170:171], v[14:15]
	v_mul_f64_e32 v[14:15], v[172:173], v[14:15]
	v_fmac_f64_e32 v[200:201], v[6:7], v[174:175]
	v_fma_f64 v[206:207], v[4:5], v[174:175], -v[176:177]
	ds_load_b128 v[4:7], v2 offset:1376
	ds_load_b128 v[174:177], v2 offset:1392
	v_add_f64_e32 v[208:209], v[192:193], v[190:191]
	v_add_f64_e32 v[198:199], v[198:199], v[202:203]
	scratch_load_b128 v[190:193], off, off offset:512
	v_fmac_f64_e32 v[204:205], v[172:173], v[12:13]
	v_fma_f64 v[170:171], v[170:171], v[12:13], -v[14:15]
	scratch_load_b128 v[12:15], off, off offset:528
	s_wait_loadcnt_dscnt 0xb01
	v_mul_f64_e32 v[202:203], v[4:5], v[30:31]
	v_mul_f64_e32 v[30:31], v[6:7], v[30:31]
	v_add_f64_e32 v[172:173], v[208:209], v[206:207]
	v_add_f64_e32 v[198:199], v[198:199], v[200:201]
	s_wait_loadcnt_dscnt 0xa00
	v_mul_f64_e32 v[200:201], v[174:175], v[22:23]
	v_mul_f64_e32 v[22:23], v[176:177], v[22:23]
	v_fmac_f64_e32 v[202:203], v[6:7], v[28:29]
	v_fma_f64 v[206:207], v[4:5], v[28:29], -v[30:31]
	ds_load_b128 v[4:7], v2 offset:1408
	ds_load_b128 v[28:31], v2 offset:1424
	v_add_f64_e32 v[208:209], v[172:173], v[170:171]
	v_add_f64_e32 v[198:199], v[198:199], v[204:205]
	scratch_load_b128 v[170:173], off, off offset:544
	s_wait_loadcnt_dscnt 0xa01
	v_mul_f64_e32 v[204:205], v[4:5], v[168:169]
	v_mul_f64_e32 v[168:169], v[6:7], v[168:169]
	v_fmac_f64_e32 v[200:201], v[176:177], v[20:21]
	v_fma_f64 v[174:175], v[174:175], v[20:21], -v[22:23]
	scratch_load_b128 v[20:23], off, off offset:560
	v_add_f64_e32 v[176:177], v[208:209], v[206:207]
	v_add_f64_e32 v[198:199], v[198:199], v[202:203]
	s_wait_loadcnt_dscnt 0xa00
	v_mul_f64_e32 v[202:203], v[28:29], v[26:27]
	v_mul_f64_e32 v[26:27], v[30:31], v[26:27]
	v_fmac_f64_e32 v[204:205], v[6:7], v[166:167]
	v_fma_f64 v[206:207], v[4:5], v[166:167], -v[168:169]
	ds_load_b128 v[4:7], v2 offset:1440
	ds_load_b128 v[166:169], v2 offset:1456
	v_add_f64_e32 v[208:209], v[176:177], v[174:175]
	v_add_f64_e32 v[198:199], v[198:199], v[200:201]
	scratch_load_b128 v[174:177], off, off offset:576
	s_wait_loadcnt_dscnt 0xa01
	v_mul_f64_e32 v[200:201], v[4:5], v[180:181]
	v_mul_f64_e32 v[180:181], v[6:7], v[180:181]
	v_fmac_f64_e32 v[202:203], v[30:31], v[24:25]
	v_fma_f64 v[28:29], v[28:29], v[24:25], -v[26:27]
	scratch_load_b128 v[24:27], off, off offset:592
	v_add_f64_e32 v[30:31], v[208:209], v[206:207]
	v_add_f64_e32 v[198:199], v[198:199], v[204:205]
	s_wait_loadcnt_dscnt 0xa00
	v_mul_f64_e32 v[204:205], v[166:167], v[164:165]
	v_mul_f64_e32 v[164:165], v[168:169], v[164:165]
	v_fmac_f64_e32 v[200:201], v[6:7], v[178:179]
	v_fma_f64 v[206:207], v[4:5], v[178:179], -v[180:181]
	v_add_f64_e32 v[208:209], v[30:31], v[28:29]
	v_add_f64_e32 v[198:199], v[198:199], v[202:203]
	ds_load_b128 v[4:7], v2 offset:1472
	ds_load_b128 v[28:31], v2 offset:1488
	scratch_load_b128 v[178:181], off, off offset:608
	v_fmac_f64_e32 v[204:205], v[168:169], v[162:163]
	v_fma_f64 v[166:167], v[166:167], v[162:163], -v[164:165]
	scratch_load_b128 v[162:165], off, off offset:624
	s_wait_loadcnt_dscnt 0xb01
	v_mul_f64_e32 v[202:203], v[4:5], v[196:197]
	v_mul_f64_e32 v[196:197], v[6:7], v[196:197]
	v_add_f64_e32 v[168:169], v[208:209], v[206:207]
	v_add_f64_e32 v[198:199], v[198:199], v[200:201]
	s_wait_loadcnt_dscnt 0xa00
	v_mul_f64_e32 v[200:201], v[28:29], v[10:11]
	v_mul_f64_e32 v[10:11], v[30:31], v[10:11]
	v_fmac_f64_e32 v[202:203], v[6:7], v[194:195]
	v_fma_f64 v[206:207], v[4:5], v[194:195], -v[196:197]
	v_add_f64_e32 v[208:209], v[168:169], v[166:167]
	v_add_f64_e32 v[198:199], v[198:199], v[204:205]
	ds_load_b128 v[4:7], v2 offset:1504
	ds_load_b128 v[166:169], v2 offset:1520
	scratch_load_b128 v[194:197], off, off offset:640
	v_fmac_f64_e32 v[200:201], v[30:31], v[8:9]
	v_fma_f64 v[28:29], v[28:29], v[8:9], -v[10:11]
	scratch_load_b128 v[8:11], off, off offset:656
	s_wait_loadcnt_dscnt 0xb01
	v_mul_f64_e32 v[204:205], v[4:5], v[184:185]
	v_mul_f64_e32 v[184:185], v[6:7], v[184:185]
	;; [unrolled: 18-line block ×13, first 2 shown]
	v_add_f64_e32 v[168:169], v[208:209], v[206:207]
	v_add_f64_e32 v[198:199], v[198:199], v[200:201]
	s_wait_loadcnt_dscnt 0xa00
	v_mul_f64_e32 v[200:201], v[28:29], v[10:11]
	v_mul_f64_e32 v[10:11], v[30:31], v[10:11]
	v_fmac_f64_e32 v[202:203], v[6:7], v[194:195]
	v_fma_f64 v[194:195], v[4:5], v[194:195], -v[196:197]
	v_add_f64_e32 v[196:197], v[168:169], v[166:167]
	v_add_f64_e32 v[198:199], v[198:199], v[204:205]
	ds_load_b128 v[4:7], v2 offset:1888
	ds_load_b128 v[166:169], v2 offset:1904
	v_fmac_f64_e32 v[200:201], v[30:31], v[8:9]
	v_fma_f64 v[8:9], v[28:29], v[8:9], -v[10:11]
	s_wait_loadcnt_dscnt 0x901
	v_mul_f64_e32 v[204:205], v[4:5], v[184:185]
	v_mul_f64_e32 v[184:185], v[6:7], v[184:185]
	s_wait_loadcnt_dscnt 0x800
	v_mul_f64_e32 v[30:31], v[166:167], v[18:19]
	v_mul_f64_e32 v[18:19], v[168:169], v[18:19]
	v_add_f64_e32 v[10:11], v[196:197], v[194:195]
	v_add_f64_e32 v[28:29], v[198:199], v[202:203]
	v_fmac_f64_e32 v[204:205], v[6:7], v[182:183]
	v_fma_f64 v[182:183], v[4:5], v[182:183], -v[184:185]
	v_fmac_f64_e32 v[30:31], v[168:169], v[16:17]
	v_fma_f64 v[16:17], v[166:167], v[16:17], -v[18:19]
	v_add_f64_e32 v[184:185], v[10:11], v[8:9]
	v_add_f64_e32 v[28:29], v[28:29], v[200:201]
	ds_load_b128 v[4:7], v2 offset:1920
	ds_load_b128 v[8:11], v2 offset:1936
	s_wait_loadcnt_dscnt 0x701
	v_mul_f64_e32 v[194:195], v[4:5], v[192:193]
	v_mul_f64_e32 v[192:193], v[6:7], v[192:193]
	s_wait_loadcnt_dscnt 0x600
	v_mul_f64_e32 v[166:167], v[8:9], v[14:15]
	v_mul_f64_e32 v[168:169], v[10:11], v[14:15]
	v_add_f64_e32 v[18:19], v[184:185], v[182:183]
	v_add_f64_e32 v[28:29], v[28:29], v[204:205]
	v_fmac_f64_e32 v[194:195], v[6:7], v[190:191]
	v_fma_f64 v[182:183], v[4:5], v[190:191], -v[192:193]
	v_fmac_f64_e32 v[166:167], v[10:11], v[12:13]
	v_fma_f64 v[8:9], v[8:9], v[12:13], -v[168:169]
	v_add_f64_e32 v[18:19], v[18:19], v[16:17]
	v_add_f64_e32 v[28:29], v[28:29], v[30:31]
	ds_load_b128 v[4:7], v2 offset:1952
	ds_load_b128 v[14:17], v2 offset:1968
	s_wait_loadcnt_dscnt 0x501
	v_mul_f64_e32 v[30:31], v[4:5], v[172:173]
	v_mul_f64_e32 v[172:173], v[6:7], v[172:173]
	v_add_f64_e32 v[10:11], v[18:19], v[182:183]
	v_add_f64_e32 v[12:13], v[28:29], v[194:195]
	s_wait_loadcnt_dscnt 0x400
	v_mul_f64_e32 v[18:19], v[14:15], v[22:23]
	v_mul_f64_e32 v[22:23], v[16:17], v[22:23]
	v_fmac_f64_e32 v[30:31], v[6:7], v[170:171]
	v_fma_f64 v[28:29], v[4:5], v[170:171], -v[172:173]
	v_add_f64_e32 v[168:169], v[10:11], v[8:9]
	v_add_f64_e32 v[12:13], v[12:13], v[166:167]
	ds_load_b128 v[4:7], v2 offset:1984
	ds_load_b128 v[8:11], v2 offset:2000
	v_fmac_f64_e32 v[18:19], v[16:17], v[20:21]
	v_fma_f64 v[14:15], v[14:15], v[20:21], -v[22:23]
	s_wait_loadcnt_dscnt 0x301
	v_mul_f64_e32 v[166:167], v[4:5], v[176:177]
	v_mul_f64_e32 v[170:171], v[6:7], v[176:177]
	s_wait_loadcnt_dscnt 0x200
	v_mul_f64_e32 v[20:21], v[8:9], v[26:27]
	v_mul_f64_e32 v[22:23], v[10:11], v[26:27]
	v_add_f64_e32 v[16:17], v[168:169], v[28:29]
	v_add_f64_e32 v[12:13], v[12:13], v[30:31]
	v_fmac_f64_e32 v[166:167], v[6:7], v[174:175]
	v_fma_f64 v[26:27], v[4:5], v[174:175], -v[170:171]
	v_fmac_f64_e32 v[20:21], v[10:11], v[24:25]
	v_fma_f64 v[8:9], v[8:9], v[24:25], -v[22:23]
	v_add_f64_e32 v[16:17], v[16:17], v[14:15]
	v_add_f64_e32 v[18:19], v[12:13], v[18:19]
	ds_load_b128 v[4:7], v2 offset:2016
	ds_load_b128 v[12:15], v2 offset:2032
	s_wait_loadcnt_dscnt 0x101
	v_mul_f64_e32 v[2:3], v[4:5], v[180:181]
	v_mul_f64_e32 v[28:29], v[6:7], v[180:181]
	s_wait_loadcnt_dscnt 0x0
	v_mul_f64_e32 v[22:23], v[14:15], v[164:165]
	v_add_f64_e32 v[10:11], v[16:17], v[26:27]
	v_add_f64_e32 v[16:17], v[18:19], v[166:167]
	v_mul_f64_e32 v[18:19], v[12:13], v[164:165]
	v_fmac_f64_e32 v[2:3], v[6:7], v[178:179]
	v_fma_f64 v[4:5], v[4:5], v[178:179], -v[28:29]
	v_add_f64_e32 v[6:7], v[10:11], v[8:9]
	v_add_f64_e32 v[8:9], v[16:17], v[20:21]
	v_fmac_f64_e32 v[18:19], v[14:15], v[162:163]
	v_fma_f64 v[10:11], v[12:13], v[162:163], -v[22:23]
	s_delay_alu instid0(VALU_DEP_4) | instskip(NEXT) | instid1(VALU_DEP_4)
	v_add_f64_e32 v[4:5], v[6:7], v[4:5]
	v_add_f64_e32 v[2:3], v[8:9], v[2:3]
	s_delay_alu instid0(VALU_DEP_2) | instskip(NEXT) | instid1(VALU_DEP_2)
	v_add_f64_e32 v[4:5], v[4:5], v[10:11]
	v_add_f64_e32 v[6:7], v[2:3], v[18:19]
	s_delay_alu instid0(VALU_DEP_2) | instskip(NEXT) | instid1(VALU_DEP_2)
	v_add_f64_e64 v[2:3], v[186:187], -v[4:5]
	v_add_f64_e64 v[4:5], v[188:189], -v[6:7]
	scratch_store_b128 off, v[2:5], off offset:48
	s_wait_xcnt 0x0
	v_cmpx_lt_u32_e32 2, v1
	s_cbranch_execz .LBB127_405
; %bb.404:
	scratch_load_b128 v[2:5], off, s18
	v_mov_b32_e32 v6, 0
	s_delay_alu instid0(VALU_DEP_1)
	v_dual_mov_b32 v7, v6 :: v_dual_mov_b32 v8, v6
	v_mov_b32_e32 v9, v6
	scratch_store_b128 off, v[6:9], off offset:32
	s_wait_loadcnt 0x0
	ds_store_b128 v160, v[2:5]
.LBB127_405:
	s_wait_xcnt 0x0
	s_or_b32 exec_lo, exec_lo, s2
	s_wait_storecnt_dscnt 0x0
	s_barrier_signal -1
	s_barrier_wait -1
	s_clause 0x9
	scratch_load_b128 v[4:7], off, off offset:48
	scratch_load_b128 v[8:11], off, off offset:64
	;; [unrolled: 1-line block ×10, first 2 shown]
	v_mov_b32_e32 v2, 0
	s_mov_b32 s2, exec_lo
	v_dual_ashrrev_i32 v37, 31, v36 :: v_dual_ashrrev_i32 v39, 31, v38
	v_ashrrev_i32_e32 v41, 31, v40
	ds_load_b128 v[174:177], v2 offset:1072
	s_clause 0x2
	scratch_load_b128 v[178:181], off, off offset:208
	scratch_load_b128 v[182:185], off, off offset:32
	;; [unrolled: 1-line block ×3, first 2 shown]
	v_ashrrev_i32_e32 v45, 31, v44
	v_ashrrev_i32_e32 v49, 31, v48
	v_dual_ashrrev_i32 v53, 31, v52 :: v_dual_ashrrev_i32 v43, 31, v42
	v_ashrrev_i32_e32 v57, 31, v56
	v_dual_ashrrev_i32 v61, 31, v60 :: v_dual_ashrrev_i32 v47, 31, v46
	;; [unrolled: 2-line block ×3, first 2 shown]
	v_ashrrev_i32_e32 v73, 31, v72
	v_ashrrev_i32_e32 v77, 31, v76
	v_dual_ashrrev_i32 v81, 31, v80 :: v_dual_ashrrev_i32 v55, 31, v54
	v_dual_ashrrev_i32 v59, 31, v58 :: v_dual_ashrrev_i32 v85, 31, v84
	;; [unrolled: 1-line block ×3, first 2 shown]
	v_ashrrev_i32_e32 v93, 31, v92
	v_ashrrev_i32_e32 v97, 31, v96
	;; [unrolled: 1-line block ×4, first 2 shown]
	v_dual_ashrrev_i32 v109, 31, v108 :: v_dual_ashrrev_i32 v67, 31, v66
	v_dual_ashrrev_i32 v71, 31, v70 :: v_dual_ashrrev_i32 v113, 31, v112
	v_ashrrev_i32_e32 v75, 31, v74
	v_ashrrev_i32_e32 v79, 31, v78
	;; [unrolled: 1-line block ×3, first 2 shown]
	v_dual_ashrrev_i32 v87, 31, v86 :: v_dual_ashrrev_i32 v117, 31, v116
	v_ashrrev_i32_e32 v91, 31, v90
	v_dual_ashrrev_i32 v95, 31, v94 :: v_dual_ashrrev_i32 v121, 31, v120
	v_ashrrev_i32_e32 v125, 31, v124
	v_dual_ashrrev_i32 v129, 31, v128 :: v_dual_ashrrev_i32 v99, 31, v98
	v_dual_ashrrev_i32 v103, 31, v102 :: v_dual_ashrrev_i32 v133, 31, v132
	;; [unrolled: 1-line block ×3, first 2 shown]
	v_ashrrev_i32_e32 v111, 31, v110
	v_dual_ashrrev_i32 v115, 31, v114 :: v_dual_ashrrev_i32 v141, 31, v140
	v_dual_ashrrev_i32 v119, 31, v118 :: v_dual_ashrrev_i32 v145, 31, v144
	v_ashrrev_i32_e32 v123, 31, v122
	v_dual_ashrrev_i32 v127, 31, v126 :: v_dual_ashrrev_i32 v149, 31, v148
	v_ashrrev_i32_e32 v153, 31, v152
	;; [unrolled: 2-line block ×3, first 2 shown]
	v_ashrrev_i32_e32 v139, 31, v138
	v_ashrrev_i32_e32 v143, 31, v142
	;; [unrolled: 1-line block ×6, first 2 shown]
	s_wait_loadcnt_dscnt 0xc00
	v_mul_f64_e32 v[194:195], v[176:177], v[6:7]
	v_mul_f64_e32 v[198:199], v[174:175], v[6:7]
	ds_load_b128 v[186:189], v2 offset:1088
	v_fma_f64 v[202:203], v[174:175], v[4:5], -v[194:195]
	v_fmac_f64_e32 v[198:199], v[176:177], v[4:5]
	ds_load_b128 v[4:7], v2 offset:1104
	s_wait_loadcnt_dscnt 0xb01
	v_mul_f64_e32 v[200:201], v[186:187], v[10:11]
	v_mul_f64_e32 v[10:11], v[188:189], v[10:11]
	scratch_load_b128 v[174:177], off, off offset:240
	ds_load_b128 v[194:197], v2 offset:1120
	s_wait_loadcnt_dscnt 0xb01
	v_mul_f64_e32 v[204:205], v[4:5], v[14:15]
	v_mul_f64_e32 v[14:15], v[6:7], v[14:15]
	v_add_f64_e32 v[198:199], 0, v[198:199]
	v_fmac_f64_e32 v[200:201], v[188:189], v[8:9]
	v_fma_f64 v[186:187], v[186:187], v[8:9], -v[10:11]
	v_add_f64_e32 v[188:189], 0, v[202:203]
	scratch_load_b128 v[8:11], off, off offset:256
	v_fmac_f64_e32 v[204:205], v[6:7], v[12:13]
	v_fma_f64 v[206:207], v[4:5], v[12:13], -v[14:15]
	ds_load_b128 v[4:7], v2 offset:1136
	s_wait_loadcnt_dscnt 0xb01
	v_mul_f64_e32 v[202:203], v[194:195], v[18:19]
	v_mul_f64_e32 v[18:19], v[196:197], v[18:19]
	scratch_load_b128 v[12:15], off, off offset:272
	v_add_f64_e32 v[198:199], v[198:199], v[200:201]
	v_add_f64_e32 v[208:209], v[188:189], v[186:187]
	ds_load_b128 v[186:189], v2 offset:1152
	s_wait_loadcnt_dscnt 0xb01
	v_mul_f64_e32 v[200:201], v[4:5], v[22:23]
	v_mul_f64_e32 v[22:23], v[6:7], v[22:23]
	v_fmac_f64_e32 v[202:203], v[196:197], v[16:17]
	v_fma_f64 v[194:195], v[194:195], v[16:17], -v[18:19]
	scratch_load_b128 v[16:19], off, off offset:288
	v_add_f64_e32 v[198:199], v[198:199], v[204:205]
	v_add_f64_e32 v[196:197], v[208:209], v[206:207]
	v_fmac_f64_e32 v[200:201], v[6:7], v[20:21]
	v_fma_f64 v[206:207], v[4:5], v[20:21], -v[22:23]
	ds_load_b128 v[4:7], v2 offset:1168
	s_wait_loadcnt_dscnt 0xb01
	v_mul_f64_e32 v[204:205], v[186:187], v[26:27]
	v_mul_f64_e32 v[26:27], v[188:189], v[26:27]
	scratch_load_b128 v[20:23], off, off offset:304
	v_add_f64_e32 v[198:199], v[198:199], v[202:203]
	s_wait_loadcnt_dscnt 0xb00
	v_mul_f64_e32 v[202:203], v[4:5], v[30:31]
	v_add_f64_e32 v[208:209], v[196:197], v[194:195]
	v_mul_f64_e32 v[30:31], v[6:7], v[30:31]
	ds_load_b128 v[194:197], v2 offset:1184
	v_fmac_f64_e32 v[204:205], v[188:189], v[24:25]
	v_fma_f64 v[186:187], v[186:187], v[24:25], -v[26:27]
	scratch_load_b128 v[24:27], off, off offset:320
	v_add_f64_e32 v[198:199], v[198:199], v[200:201]
	v_fmac_f64_e32 v[202:203], v[6:7], v[28:29]
	v_add_f64_e32 v[188:189], v[208:209], v[206:207]
	v_fma_f64 v[206:207], v[4:5], v[28:29], -v[30:31]
	ds_load_b128 v[4:7], v2 offset:1200
	s_wait_loadcnt_dscnt 0xb01
	v_mul_f64_e32 v[200:201], v[194:195], v[164:165]
	v_mul_f64_e32 v[164:165], v[196:197], v[164:165]
	scratch_load_b128 v[28:31], off, off offset:336
	v_add_f64_e32 v[198:199], v[198:199], v[204:205]
	s_wait_loadcnt_dscnt 0xb00
	v_mul_f64_e32 v[204:205], v[4:5], v[168:169]
	v_add_f64_e32 v[208:209], v[188:189], v[186:187]
	v_mul_f64_e32 v[168:169], v[6:7], v[168:169]
	ds_load_b128 v[186:189], v2 offset:1216
	v_fmac_f64_e32 v[200:201], v[196:197], v[162:163]
	v_fma_f64 v[194:195], v[194:195], v[162:163], -v[164:165]
	scratch_load_b128 v[162:165], off, off offset:352
	v_add_f64_e32 v[198:199], v[198:199], v[202:203]
	v_fmac_f64_e32 v[204:205], v[6:7], v[166:167]
	v_add_f64_e32 v[196:197], v[208:209], v[206:207]
	;; [unrolled: 18-line block ×3, first 2 shown]
	v_fma_f64 v[206:207], v[4:5], v[178:179], -v[180:181]
	ds_load_b128 v[4:7], v2 offset:1264
	s_wait_loadcnt_dscnt 0xa01
	v_mul_f64_e32 v[204:205], v[194:195], v[192:193]
	v_mul_f64_e32 v[192:193], v[196:197], v[192:193]
	scratch_load_b128 v[178:181], off, off offset:400
	v_add_f64_e32 v[198:199], v[198:199], v[202:203]
	v_add_f64_e32 v[208:209], v[188:189], v[186:187]
	s_wait_loadcnt_dscnt 0xa00
	v_mul_f64_e32 v[202:203], v[4:5], v[176:177]
	v_mul_f64_e32 v[176:177], v[6:7], v[176:177]
	v_fmac_f64_e32 v[204:205], v[196:197], v[190:191]
	v_fma_f64 v[194:195], v[194:195], v[190:191], -v[192:193]
	ds_load_b128 v[186:189], v2 offset:1280
	scratch_load_b128 v[190:193], off, off offset:416
	v_add_f64_e32 v[198:199], v[198:199], v[200:201]
	v_add_f64_e32 v[196:197], v[208:209], v[206:207]
	v_fmac_f64_e32 v[202:203], v[6:7], v[174:175]
	v_fma_f64 v[206:207], v[4:5], v[174:175], -v[176:177]
	ds_load_b128 v[4:7], v2 offset:1296
	s_wait_loadcnt_dscnt 0xa01
	v_mul_f64_e32 v[200:201], v[186:187], v[10:11]
	v_mul_f64_e32 v[10:11], v[188:189], v[10:11]
	scratch_load_b128 v[174:177], off, off offset:432
	v_add_f64_e32 v[198:199], v[198:199], v[204:205]
	s_wait_loadcnt_dscnt 0xa00
	v_mul_f64_e32 v[204:205], v[4:5], v[14:15]
	v_add_f64_e32 v[208:209], v[196:197], v[194:195]
	v_mul_f64_e32 v[14:15], v[6:7], v[14:15]
	ds_load_b128 v[194:197], v2 offset:1312
	v_fmac_f64_e32 v[200:201], v[188:189], v[8:9]
	v_fma_f64 v[186:187], v[186:187], v[8:9], -v[10:11]
	scratch_load_b128 v[8:11], off, off offset:448
	v_add_f64_e32 v[198:199], v[198:199], v[202:203]
	v_fmac_f64_e32 v[204:205], v[6:7], v[12:13]
	v_add_f64_e32 v[188:189], v[208:209], v[206:207]
	v_fma_f64 v[206:207], v[4:5], v[12:13], -v[14:15]
	ds_load_b128 v[4:7], v2 offset:1328
	s_wait_loadcnt_dscnt 0xa01
	v_mul_f64_e32 v[202:203], v[194:195], v[18:19]
	v_mul_f64_e32 v[18:19], v[196:197], v[18:19]
	scratch_load_b128 v[12:15], off, off offset:464
	v_add_f64_e32 v[198:199], v[198:199], v[200:201]
	s_wait_loadcnt_dscnt 0xa00
	v_mul_f64_e32 v[200:201], v[4:5], v[22:23]
	v_add_f64_e32 v[208:209], v[188:189], v[186:187]
	v_mul_f64_e32 v[22:23], v[6:7], v[22:23]
	ds_load_b128 v[186:189], v2 offset:1344
	v_fmac_f64_e32 v[202:203], v[196:197], v[16:17]
	v_fma_f64 v[194:195], v[194:195], v[16:17], -v[18:19]
	scratch_load_b128 v[16:19], off, off offset:480
	v_add_f64_e32 v[198:199], v[198:199], v[204:205]
	v_fmac_f64_e32 v[200:201], v[6:7], v[20:21]
	v_add_f64_e32 v[196:197], v[208:209], v[206:207]
	;; [unrolled: 18-line block ×18, first 2 shown]
	v_fma_f64 v[206:207], v[4:5], v[174:175], -v[176:177]
	ds_load_b128 v[4:7], v2 offset:1872
	s_wait_loadcnt_dscnt 0xa01
	v_mul_f64_e32 v[200:201], v[186:187], v[10:11]
	v_mul_f64_e32 v[10:11], v[188:189], v[10:11]
	scratch_load_b128 v[174:177], off, off offset:1008
	v_add_f64_e32 v[198:199], v[198:199], v[204:205]
	s_wait_loadcnt_dscnt 0xa00
	v_mul_f64_e32 v[204:205], v[4:5], v[14:15]
	v_add_f64_e32 v[208:209], v[196:197], v[194:195]
	v_mul_f64_e32 v[14:15], v[6:7], v[14:15]
	ds_load_b128 v[194:197], v2 offset:1888
	v_fmac_f64_e32 v[200:201], v[188:189], v[8:9]
	v_fma_f64 v[8:9], v[186:187], v[8:9], -v[10:11]
	s_wait_loadcnt_dscnt 0x900
	v_mul_f64_e32 v[188:189], v[194:195], v[18:19]
	v_mul_f64_e32 v[18:19], v[196:197], v[18:19]
	v_add_f64_e32 v[186:187], v[198:199], v[202:203]
	v_fmac_f64_e32 v[204:205], v[6:7], v[12:13]
	v_add_f64_e32 v[10:11], v[208:209], v[206:207]
	v_fma_f64 v[12:13], v[4:5], v[12:13], -v[14:15]
	v_fmac_f64_e32 v[188:189], v[196:197], v[16:17]
	v_fma_f64 v[16:17], v[194:195], v[16:17], -v[18:19]
	v_add_f64_e32 v[186:187], v[186:187], v[200:201]
	v_add_f64_e32 v[14:15], v[10:11], v[8:9]
	ds_load_b128 v[4:7], v2 offset:1904
	ds_load_b128 v[8:11], v2 offset:1920
	s_wait_loadcnt_dscnt 0x801
	v_mul_f64_e32 v[198:199], v[4:5], v[22:23]
	v_mul_f64_e32 v[22:23], v[6:7], v[22:23]
	s_wait_loadcnt_dscnt 0x700
	v_mul_f64_e32 v[18:19], v[8:9], v[26:27]
	v_mul_f64_e32 v[26:27], v[10:11], v[26:27]
	v_add_f64_e32 v[12:13], v[14:15], v[12:13]
	v_add_f64_e32 v[14:15], v[186:187], v[204:205]
	v_fmac_f64_e32 v[198:199], v[6:7], v[20:21]
	v_fma_f64 v[20:21], v[4:5], v[20:21], -v[22:23]
	v_fmac_f64_e32 v[18:19], v[10:11], v[24:25]
	v_fma_f64 v[8:9], v[8:9], v[24:25], -v[26:27]
	v_add_f64_e32 v[16:17], v[12:13], v[16:17]
	v_add_f64_e32 v[22:23], v[14:15], v[188:189]
	ds_load_b128 v[4:7], v2 offset:1936
	ds_load_b128 v[12:15], v2 offset:1952
	s_wait_loadcnt_dscnt 0x601
	v_mul_f64_e32 v[186:187], v[4:5], v[30:31]
	v_mul_f64_e32 v[30:31], v[6:7], v[30:31]
	v_add_f64_e32 v[10:11], v[16:17], v[20:21]
	v_add_f64_e32 v[16:17], v[22:23], v[198:199]
	s_wait_loadcnt_dscnt 0x500
	v_mul_f64_e32 v[20:21], v[12:13], v[164:165]
	v_mul_f64_e32 v[22:23], v[14:15], v[164:165]
	v_fmac_f64_e32 v[186:187], v[6:7], v[28:29]
	v_fma_f64 v[24:25], v[4:5], v[28:29], -v[30:31]
	v_add_f64_e32 v[26:27], v[10:11], v[8:9]
	v_add_f64_e32 v[16:17], v[16:17], v[18:19]
	ds_load_b128 v[4:7], v2 offset:1968
	ds_load_b128 v[8:11], v2 offset:1984
	v_fmac_f64_e32 v[20:21], v[14:15], v[162:163]
	v_fma_f64 v[12:13], v[12:13], v[162:163], -v[22:23]
	s_wait_loadcnt_dscnt 0x401
	v_mul_f64_e32 v[18:19], v[4:5], v[168:169]
	v_mul_f64_e32 v[28:29], v[6:7], v[168:169]
	s_wait_loadcnt_dscnt 0x300
	v_mul_f64_e32 v[22:23], v[8:9], v[172:173]
	v_add_f64_e32 v[14:15], v[26:27], v[24:25]
	v_add_f64_e32 v[16:17], v[16:17], v[186:187]
	v_mul_f64_e32 v[24:25], v[10:11], v[172:173]
	v_fmac_f64_e32 v[18:19], v[6:7], v[166:167]
	v_fma_f64 v[26:27], v[4:5], v[166:167], -v[28:29]
	v_fmac_f64_e32 v[22:23], v[10:11], v[170:171]
	v_add_f64_e32 v[28:29], v[14:15], v[12:13]
	v_add_f64_e32 v[16:17], v[16:17], v[20:21]
	ds_load_b128 v[4:7], v2 offset:2000
	ds_load_b128 v[12:15], v2 offset:2016
	v_fma_f64 v[8:9], v[8:9], v[170:171], -v[24:25]
	s_wait_loadcnt_dscnt 0x201
	v_mul_f64_e32 v[20:21], v[4:5], v[180:181]
	v_mul_f64_e32 v[30:31], v[6:7], v[180:181]
	s_wait_loadcnt_dscnt 0x100
	v_mul_f64_e32 v[24:25], v[14:15], v[192:193]
	v_add_f64_e32 v[10:11], v[28:29], v[26:27]
	v_add_f64_e32 v[16:17], v[16:17], v[18:19]
	v_mul_f64_e32 v[18:19], v[12:13], v[192:193]
	v_fmac_f64_e32 v[20:21], v[6:7], v[178:179]
	v_fma_f64 v[26:27], v[4:5], v[178:179], -v[30:31]
	ds_load_b128 v[4:7], v2 offset:2032
	v_fma_f64 v[12:13], v[12:13], v[190:191], -v[24:25]
	v_add_f64_e32 v[8:9], v[10:11], v[8:9]
	v_add_f64_e32 v[10:11], v[16:17], v[22:23]
	v_fmac_f64_e32 v[18:19], v[14:15], v[190:191]
	s_wait_loadcnt_dscnt 0x0
	v_mul_f64_e32 v[16:17], v[4:5], v[176:177]
	v_mul_f64_e32 v[22:23], v[6:7], v[176:177]
	v_add_f64_e32 v[8:9], v[8:9], v[26:27]
	v_add_f64_e32 v[10:11], v[10:11], v[20:21]
	s_delay_alu instid0(VALU_DEP_4) | instskip(NEXT) | instid1(VALU_DEP_4)
	v_fmac_f64_e32 v[16:17], v[6:7], v[174:175]
	v_fma_f64 v[4:5], v[4:5], v[174:175], -v[22:23]
	s_delay_alu instid0(VALU_DEP_4) | instskip(NEXT) | instid1(VALU_DEP_4)
	v_add_f64_e32 v[6:7], v[8:9], v[12:13]
	v_add_f64_e32 v[8:9], v[10:11], v[18:19]
	s_delay_alu instid0(VALU_DEP_2) | instskip(NEXT) | instid1(VALU_DEP_2)
	v_add_f64_e32 v[4:5], v[6:7], v[4:5]
	v_add_f64_e32 v[6:7], v[8:9], v[16:17]
	s_delay_alu instid0(VALU_DEP_2) | instskip(NEXT) | instid1(VALU_DEP_2)
	v_add_f64_e64 v[4:5], v[182:183], -v[4:5]
	v_add_f64_e64 v[6:7], v[184:185], -v[6:7]
	scratch_store_b128 off, v[4:7], off offset:32
	s_wait_xcnt 0x0
	v_cmpx_lt_u32_e32 1, v1
	s_cbranch_execz .LBB127_407
; %bb.406:
	scratch_load_b128 v[6:9], off, s20
	v_dual_mov_b32 v3, v2 :: v_dual_mov_b32 v4, v2
	v_mov_b32_e32 v5, v2
	scratch_store_b128 off, v[2:5], off offset:16
	s_wait_loadcnt 0x0
	ds_store_b128 v160, v[6:9]
.LBB127_407:
	s_wait_xcnt 0x0
	s_or_b32 exec_lo, exec_lo, s2
	s_wait_storecnt_dscnt 0x0
	s_barrier_signal -1
	s_barrier_wait -1
	s_clause 0x9
	scratch_load_b128 v[4:7], off, off offset:32
	scratch_load_b128 v[8:11], off, off offset:48
	scratch_load_b128 v[12:15], off, off offset:64
	scratch_load_b128 v[16:19], off, off offset:80
	scratch_load_b128 v[20:23], off, off offset:96
	scratch_load_b128 v[24:27], off, off offset:112
	scratch_load_b128 v[28:31], off, off offset:128
	scratch_load_b128 v[162:165], off, off offset:144
	scratch_load_b128 v[166:169], off, off offset:160
	scratch_load_b128 v[170:173], off, off offset:176
	ds_load_b128 v[174:177], v2 offset:1056
	ds_load_b128 v[182:185], v2 offset:1072
	s_clause 0x2
	scratch_load_b128 v[178:181], off, off offset:192
	scratch_load_b128 v[186:189], off, off offset:16
	;; [unrolled: 1-line block ×3, first 2 shown]
	s_mov_b32 s2, exec_lo
	s_wait_loadcnt_dscnt 0xc01
	v_mul_f64_e32 v[194:195], v[176:177], v[6:7]
	v_mul_f64_e32 v[198:199], v[174:175], v[6:7]
	s_wait_loadcnt_dscnt 0xb00
	v_mul_f64_e32 v[200:201], v[182:183], v[10:11]
	v_mul_f64_e32 v[10:11], v[184:185], v[10:11]
	s_delay_alu instid0(VALU_DEP_4) | instskip(NEXT) | instid1(VALU_DEP_4)
	v_fma_f64 v[202:203], v[174:175], v[4:5], -v[194:195]
	v_fmac_f64_e32 v[198:199], v[176:177], v[4:5]
	ds_load_b128 v[4:7], v2 offset:1088
	ds_load_b128 v[174:177], v2 offset:1104
	scratch_load_b128 v[194:197], off, off offset:224
	v_fmac_f64_e32 v[200:201], v[184:185], v[8:9]
	v_fma_f64 v[182:183], v[182:183], v[8:9], -v[10:11]
	scratch_load_b128 v[8:11], off, off offset:240
	s_wait_loadcnt_dscnt 0xc01
	v_mul_f64_e32 v[204:205], v[4:5], v[14:15]
	v_mul_f64_e32 v[14:15], v[6:7], v[14:15]
	v_add_f64_e32 v[184:185], 0, v[202:203]
	v_add_f64_e32 v[198:199], 0, v[198:199]
	s_wait_loadcnt_dscnt 0xb00
	v_mul_f64_e32 v[202:203], v[174:175], v[18:19]
	v_mul_f64_e32 v[18:19], v[176:177], v[18:19]
	v_fmac_f64_e32 v[204:205], v[6:7], v[12:13]
	v_fma_f64 v[206:207], v[4:5], v[12:13], -v[14:15]
	ds_load_b128 v[4:7], v2 offset:1120
	ds_load_b128 v[12:15], v2 offset:1136
	v_add_f64_e32 v[208:209], v[184:185], v[182:183]
	v_add_f64_e32 v[198:199], v[198:199], v[200:201]
	scratch_load_b128 v[182:185], off, off offset:256
	v_fmac_f64_e32 v[202:203], v[176:177], v[16:17]
	v_fma_f64 v[174:175], v[174:175], v[16:17], -v[18:19]
	scratch_load_b128 v[16:19], off, off offset:272
	s_wait_loadcnt_dscnt 0xc01
	v_mul_f64_e32 v[200:201], v[4:5], v[22:23]
	v_mul_f64_e32 v[22:23], v[6:7], v[22:23]
	v_add_f64_e32 v[176:177], v[208:209], v[206:207]
	v_add_f64_e32 v[198:199], v[198:199], v[204:205]
	s_wait_loadcnt_dscnt 0xb00
	v_mul_f64_e32 v[204:205], v[12:13], v[26:27]
	v_mul_f64_e32 v[26:27], v[14:15], v[26:27]
	v_fmac_f64_e32 v[200:201], v[6:7], v[20:21]
	v_fma_f64 v[206:207], v[4:5], v[20:21], -v[22:23]
	ds_load_b128 v[4:7], v2 offset:1152
	ds_load_b128 v[20:23], v2 offset:1168
	v_add_f64_e32 v[208:209], v[176:177], v[174:175]
	v_add_f64_e32 v[198:199], v[198:199], v[202:203]
	scratch_load_b128 v[174:177], off, off offset:288
	s_wait_loadcnt_dscnt 0xb01
	v_mul_f64_e32 v[202:203], v[4:5], v[30:31]
	v_mul_f64_e32 v[30:31], v[6:7], v[30:31]
	v_fmac_f64_e32 v[204:205], v[14:15], v[24:25]
	v_fma_f64 v[24:25], v[12:13], v[24:25], -v[26:27]
	scratch_load_b128 v[12:15], off, off offset:304
	v_add_f64_e32 v[26:27], v[208:209], v[206:207]
	v_add_f64_e32 v[198:199], v[198:199], v[200:201]
	s_wait_loadcnt_dscnt 0xb00
	v_mul_f64_e32 v[200:201], v[20:21], v[164:165]
	v_mul_f64_e32 v[164:165], v[22:23], v[164:165]
	v_fmac_f64_e32 v[202:203], v[6:7], v[28:29]
	v_fma_f64 v[206:207], v[4:5], v[28:29], -v[30:31]
	v_add_f64_e32 v[208:209], v[26:27], v[24:25]
	v_add_f64_e32 v[198:199], v[198:199], v[204:205]
	ds_load_b128 v[4:7], v2 offset:1184
	ds_load_b128 v[24:27], v2 offset:1200
	scratch_load_b128 v[28:31], off, off offset:320
	v_fmac_f64_e32 v[200:201], v[22:23], v[162:163]
	v_fma_f64 v[162:163], v[20:21], v[162:163], -v[164:165]
	scratch_load_b128 v[20:23], off, off offset:336
	s_wait_loadcnt_dscnt 0xc01
	v_mul_f64_e32 v[204:205], v[4:5], v[168:169]
	v_mul_f64_e32 v[168:169], v[6:7], v[168:169]
	v_add_f64_e32 v[164:165], v[208:209], v[206:207]
	v_add_f64_e32 v[198:199], v[198:199], v[202:203]
	s_wait_loadcnt_dscnt 0xb00
	v_mul_f64_e32 v[202:203], v[24:25], v[172:173]
	v_mul_f64_e32 v[172:173], v[26:27], v[172:173]
	v_fmac_f64_e32 v[204:205], v[6:7], v[166:167]
	v_fma_f64 v[206:207], v[4:5], v[166:167], -v[168:169]
	v_add_f64_e32 v[208:209], v[164:165], v[162:163]
	v_add_f64_e32 v[198:199], v[198:199], v[200:201]
	ds_load_b128 v[4:7], v2 offset:1216
	ds_load_b128 v[162:165], v2 offset:1232
	scratch_load_b128 v[166:169], off, off offset:352
	v_fmac_f64_e32 v[202:203], v[26:27], v[170:171]
	v_fma_f64 v[170:171], v[24:25], v[170:171], -v[172:173]
	scratch_load_b128 v[24:27], off, off offset:368
	s_wait_loadcnt_dscnt 0xc01
	v_mul_f64_e32 v[200:201], v[4:5], v[180:181]
	v_mul_f64_e32 v[180:181], v[6:7], v[180:181]
	v_add_f64_e32 v[172:173], v[208:209], v[206:207]
	v_add_f64_e32 v[198:199], v[198:199], v[204:205]
	s_wait_loadcnt_dscnt 0xa00
	v_mul_f64_e32 v[204:205], v[162:163], v[192:193]
	v_mul_f64_e32 v[192:193], v[164:165], v[192:193]
	v_fmac_f64_e32 v[200:201], v[6:7], v[178:179]
	v_fma_f64 v[206:207], v[4:5], v[178:179], -v[180:181]
	v_add_f64_e32 v[208:209], v[172:173], v[170:171]
	v_add_f64_e32 v[198:199], v[198:199], v[202:203]
	ds_load_b128 v[4:7], v2 offset:1248
	ds_load_b128 v[170:173], v2 offset:1264
	scratch_load_b128 v[178:181], off, off offset:384
	v_fmac_f64_e32 v[204:205], v[164:165], v[190:191]
	v_fma_f64 v[190:191], v[162:163], v[190:191], -v[192:193]
	scratch_load_b128 v[162:165], off, off offset:400
	s_wait_loadcnt_dscnt 0xb01
	v_mul_f64_e32 v[202:203], v[4:5], v[196:197]
	v_mul_f64_e32 v[196:197], v[6:7], v[196:197]
	v_add_f64_e32 v[192:193], v[208:209], v[206:207]
	v_add_f64_e32 v[198:199], v[198:199], v[200:201]
	s_wait_loadcnt_dscnt 0xa00
	v_mul_f64_e32 v[200:201], v[170:171], v[10:11]
	v_mul_f64_e32 v[10:11], v[172:173], v[10:11]
	v_fmac_f64_e32 v[202:203], v[6:7], v[194:195]
	v_fma_f64 v[206:207], v[4:5], v[194:195], -v[196:197]
	v_add_f64_e32 v[208:209], v[192:193], v[190:191]
	v_add_f64_e32 v[198:199], v[198:199], v[204:205]
	ds_load_b128 v[4:7], v2 offset:1280
	ds_load_b128 v[190:193], v2 offset:1296
	scratch_load_b128 v[194:197], off, off offset:416
	v_fmac_f64_e32 v[200:201], v[172:173], v[8:9]
	v_fma_f64 v[170:171], v[170:171], v[8:9], -v[10:11]
	scratch_load_b128 v[8:11], off, off offset:432
	s_wait_loadcnt_dscnt 0xb01
	v_mul_f64_e32 v[204:205], v[4:5], v[184:185]
	v_mul_f64_e32 v[184:185], v[6:7], v[184:185]
	v_add_f64_e32 v[172:173], v[208:209], v[206:207]
	v_add_f64_e32 v[198:199], v[198:199], v[202:203]
	s_wait_loadcnt_dscnt 0xa00
	v_mul_f64_e32 v[202:203], v[190:191], v[18:19]
	v_mul_f64_e32 v[18:19], v[192:193], v[18:19]
	v_fmac_f64_e32 v[204:205], v[6:7], v[182:183]
	v_fma_f64 v[206:207], v[4:5], v[182:183], -v[184:185]
	v_add_f64_e32 v[208:209], v[172:173], v[170:171]
	v_add_f64_e32 v[198:199], v[198:199], v[200:201]
	ds_load_b128 v[4:7], v2 offset:1312
	ds_load_b128 v[170:173], v2 offset:1328
	scratch_load_b128 v[182:185], off, off offset:448
	v_fmac_f64_e32 v[202:203], v[192:193], v[16:17]
	v_fma_f64 v[190:191], v[190:191], v[16:17], -v[18:19]
	scratch_load_b128 v[16:19], off, off offset:464
	s_wait_loadcnt_dscnt 0xb01
	v_mul_f64_e32 v[200:201], v[4:5], v[176:177]
	v_mul_f64_e32 v[176:177], v[6:7], v[176:177]
	v_add_f64_e32 v[192:193], v[208:209], v[206:207]
	v_add_f64_e32 v[198:199], v[198:199], v[204:205]
	s_wait_loadcnt_dscnt 0xa00
	v_mul_f64_e32 v[204:205], v[170:171], v[14:15]
	v_mul_f64_e32 v[14:15], v[172:173], v[14:15]
	v_fmac_f64_e32 v[200:201], v[6:7], v[174:175]
	v_fma_f64 v[206:207], v[4:5], v[174:175], -v[176:177]
	ds_load_b128 v[4:7], v2 offset:1344
	ds_load_b128 v[174:177], v2 offset:1360
	v_add_f64_e32 v[208:209], v[192:193], v[190:191]
	v_add_f64_e32 v[198:199], v[198:199], v[202:203]
	scratch_load_b128 v[190:193], off, off offset:480
	v_fmac_f64_e32 v[204:205], v[172:173], v[12:13]
	v_fma_f64 v[170:171], v[170:171], v[12:13], -v[14:15]
	scratch_load_b128 v[12:15], off, off offset:496
	s_wait_loadcnt_dscnt 0xb01
	v_mul_f64_e32 v[202:203], v[4:5], v[30:31]
	v_mul_f64_e32 v[30:31], v[6:7], v[30:31]
	v_add_f64_e32 v[172:173], v[208:209], v[206:207]
	v_add_f64_e32 v[198:199], v[198:199], v[200:201]
	s_wait_loadcnt_dscnt 0xa00
	v_mul_f64_e32 v[200:201], v[174:175], v[22:23]
	v_mul_f64_e32 v[22:23], v[176:177], v[22:23]
	v_fmac_f64_e32 v[202:203], v[6:7], v[28:29]
	v_fma_f64 v[206:207], v[4:5], v[28:29], -v[30:31]
	ds_load_b128 v[4:7], v2 offset:1376
	ds_load_b128 v[28:31], v2 offset:1392
	v_add_f64_e32 v[208:209], v[172:173], v[170:171]
	v_add_f64_e32 v[198:199], v[198:199], v[204:205]
	scratch_load_b128 v[170:173], off, off offset:512
	s_wait_loadcnt_dscnt 0xa01
	v_mul_f64_e32 v[204:205], v[4:5], v[168:169]
	v_mul_f64_e32 v[168:169], v[6:7], v[168:169]
	v_fmac_f64_e32 v[200:201], v[176:177], v[20:21]
	v_fma_f64 v[174:175], v[174:175], v[20:21], -v[22:23]
	scratch_load_b128 v[20:23], off, off offset:528
	v_add_f64_e32 v[176:177], v[208:209], v[206:207]
	v_add_f64_e32 v[198:199], v[198:199], v[202:203]
	s_wait_loadcnt_dscnt 0xa00
	v_mul_f64_e32 v[202:203], v[28:29], v[26:27]
	v_mul_f64_e32 v[26:27], v[30:31], v[26:27]
	v_fmac_f64_e32 v[204:205], v[6:7], v[166:167]
	v_fma_f64 v[206:207], v[4:5], v[166:167], -v[168:169]
	ds_load_b128 v[4:7], v2 offset:1408
	ds_load_b128 v[166:169], v2 offset:1424
	v_add_f64_e32 v[208:209], v[176:177], v[174:175]
	v_add_f64_e32 v[198:199], v[198:199], v[200:201]
	scratch_load_b128 v[174:177], off, off offset:544
	s_wait_loadcnt_dscnt 0xa01
	v_mul_f64_e32 v[200:201], v[4:5], v[180:181]
	v_mul_f64_e32 v[180:181], v[6:7], v[180:181]
	v_fmac_f64_e32 v[202:203], v[30:31], v[24:25]
	v_fma_f64 v[28:29], v[28:29], v[24:25], -v[26:27]
	scratch_load_b128 v[24:27], off, off offset:560
	v_add_f64_e32 v[30:31], v[208:209], v[206:207]
	v_add_f64_e32 v[198:199], v[198:199], v[204:205]
	s_wait_loadcnt_dscnt 0xa00
	v_mul_f64_e32 v[204:205], v[166:167], v[164:165]
	v_mul_f64_e32 v[164:165], v[168:169], v[164:165]
	v_fmac_f64_e32 v[200:201], v[6:7], v[178:179]
	v_fma_f64 v[206:207], v[4:5], v[178:179], -v[180:181]
	v_add_f64_e32 v[208:209], v[30:31], v[28:29]
	v_add_f64_e32 v[198:199], v[198:199], v[202:203]
	ds_load_b128 v[4:7], v2 offset:1440
	ds_load_b128 v[28:31], v2 offset:1456
	scratch_load_b128 v[178:181], off, off offset:576
	v_fmac_f64_e32 v[204:205], v[168:169], v[162:163]
	v_fma_f64 v[166:167], v[166:167], v[162:163], -v[164:165]
	scratch_load_b128 v[162:165], off, off offset:592
	s_wait_loadcnt_dscnt 0xb01
	v_mul_f64_e32 v[202:203], v[4:5], v[196:197]
	v_mul_f64_e32 v[196:197], v[6:7], v[196:197]
	v_add_f64_e32 v[168:169], v[208:209], v[206:207]
	v_add_f64_e32 v[198:199], v[198:199], v[200:201]
	s_wait_loadcnt_dscnt 0xa00
	v_mul_f64_e32 v[200:201], v[28:29], v[10:11]
	v_mul_f64_e32 v[10:11], v[30:31], v[10:11]
	v_fmac_f64_e32 v[202:203], v[6:7], v[194:195]
	v_fma_f64 v[206:207], v[4:5], v[194:195], -v[196:197]
	v_add_f64_e32 v[208:209], v[168:169], v[166:167]
	v_add_f64_e32 v[198:199], v[198:199], v[204:205]
	ds_load_b128 v[4:7], v2 offset:1472
	ds_load_b128 v[166:169], v2 offset:1488
	scratch_load_b128 v[194:197], off, off offset:608
	v_fmac_f64_e32 v[200:201], v[30:31], v[8:9]
	v_fma_f64 v[28:29], v[28:29], v[8:9], -v[10:11]
	scratch_load_b128 v[8:11], off, off offset:624
	s_wait_loadcnt_dscnt 0xb01
	v_mul_f64_e32 v[204:205], v[4:5], v[184:185]
	v_mul_f64_e32 v[184:185], v[6:7], v[184:185]
	v_add_f64_e32 v[30:31], v[208:209], v[206:207]
	v_add_f64_e32 v[198:199], v[198:199], v[202:203]
	s_wait_loadcnt_dscnt 0xa00
	v_mul_f64_e32 v[202:203], v[166:167], v[18:19]
	v_mul_f64_e32 v[18:19], v[168:169], v[18:19]
	v_fmac_f64_e32 v[204:205], v[6:7], v[182:183]
	v_fma_f64 v[206:207], v[4:5], v[182:183], -v[184:185]
	v_add_f64_e32 v[208:209], v[30:31], v[28:29]
	v_add_f64_e32 v[198:199], v[198:199], v[200:201]
	ds_load_b128 v[4:7], v2 offset:1504
	ds_load_b128 v[28:31], v2 offset:1520
	scratch_load_b128 v[182:185], off, off offset:640
	v_fmac_f64_e32 v[202:203], v[168:169], v[16:17]
	v_fma_f64 v[166:167], v[166:167], v[16:17], -v[18:19]
	scratch_load_b128 v[16:19], off, off offset:656
	s_wait_loadcnt_dscnt 0xb01
	v_mul_f64_e32 v[200:201], v[4:5], v[192:193]
	v_mul_f64_e32 v[192:193], v[6:7], v[192:193]
	v_add_f64_e32 v[168:169], v[208:209], v[206:207]
	v_add_f64_e32 v[198:199], v[198:199], v[204:205]
	s_wait_loadcnt_dscnt 0xa00
	v_mul_f64_e32 v[204:205], v[28:29], v[14:15]
	v_mul_f64_e32 v[14:15], v[30:31], v[14:15]
	v_fmac_f64_e32 v[200:201], v[6:7], v[190:191]
	v_fma_f64 v[206:207], v[4:5], v[190:191], -v[192:193]
	v_add_f64_e32 v[208:209], v[168:169], v[166:167]
	v_add_f64_e32 v[198:199], v[198:199], v[202:203]
	ds_load_b128 v[4:7], v2 offset:1536
	ds_load_b128 v[166:169], v2 offset:1552
	scratch_load_b128 v[190:193], off, off offset:672
	v_fmac_f64_e32 v[204:205], v[30:31], v[12:13]
	v_fma_f64 v[28:29], v[28:29], v[12:13], -v[14:15]
	scratch_load_b128 v[12:15], off, off offset:688
	s_wait_loadcnt_dscnt 0xb01
	v_mul_f64_e32 v[202:203], v[4:5], v[172:173]
	v_mul_f64_e32 v[172:173], v[6:7], v[172:173]
	v_add_f64_e32 v[30:31], v[208:209], v[206:207]
	v_add_f64_e32 v[198:199], v[198:199], v[200:201]
	s_wait_loadcnt_dscnt 0xa00
	v_mul_f64_e32 v[200:201], v[166:167], v[22:23]
	v_mul_f64_e32 v[22:23], v[168:169], v[22:23]
	v_fmac_f64_e32 v[202:203], v[6:7], v[170:171]
	v_fma_f64 v[206:207], v[4:5], v[170:171], -v[172:173]
	v_add_f64_e32 v[208:209], v[30:31], v[28:29]
	v_add_f64_e32 v[198:199], v[198:199], v[204:205]
	ds_load_b128 v[4:7], v2 offset:1568
	ds_load_b128 v[28:31], v2 offset:1584
	scratch_load_b128 v[170:173], off, off offset:704
	v_fmac_f64_e32 v[200:201], v[168:169], v[20:21]
	v_fma_f64 v[166:167], v[166:167], v[20:21], -v[22:23]
	scratch_load_b128 v[20:23], off, off offset:720
	s_wait_loadcnt_dscnt 0xb01
	v_mul_f64_e32 v[204:205], v[4:5], v[176:177]
	v_mul_f64_e32 v[176:177], v[6:7], v[176:177]
	v_add_f64_e32 v[168:169], v[208:209], v[206:207]
	v_add_f64_e32 v[198:199], v[198:199], v[202:203]
	s_wait_loadcnt_dscnt 0xa00
	v_mul_f64_e32 v[202:203], v[28:29], v[26:27]
	v_mul_f64_e32 v[26:27], v[30:31], v[26:27]
	v_fmac_f64_e32 v[204:205], v[6:7], v[174:175]
	v_fma_f64 v[206:207], v[4:5], v[174:175], -v[176:177]
	v_add_f64_e32 v[208:209], v[168:169], v[166:167]
	v_add_f64_e32 v[198:199], v[198:199], v[200:201]
	ds_load_b128 v[4:7], v2 offset:1600
	ds_load_b128 v[166:169], v2 offset:1616
	scratch_load_b128 v[174:177], off, off offset:736
	v_fmac_f64_e32 v[202:203], v[30:31], v[24:25]
	v_fma_f64 v[28:29], v[28:29], v[24:25], -v[26:27]
	scratch_load_b128 v[24:27], off, off offset:752
	s_wait_loadcnt_dscnt 0xb01
	v_mul_f64_e32 v[200:201], v[4:5], v[180:181]
	v_mul_f64_e32 v[180:181], v[6:7], v[180:181]
	v_add_f64_e32 v[30:31], v[208:209], v[206:207]
	v_add_f64_e32 v[198:199], v[198:199], v[204:205]
	s_wait_loadcnt_dscnt 0xa00
	v_mul_f64_e32 v[204:205], v[166:167], v[164:165]
	v_mul_f64_e32 v[164:165], v[168:169], v[164:165]
	v_fmac_f64_e32 v[200:201], v[6:7], v[178:179]
	v_fma_f64 v[206:207], v[4:5], v[178:179], -v[180:181]
	v_add_f64_e32 v[208:209], v[30:31], v[28:29]
	v_add_f64_e32 v[198:199], v[198:199], v[202:203]
	ds_load_b128 v[4:7], v2 offset:1632
	ds_load_b128 v[28:31], v2 offset:1648
	scratch_load_b128 v[178:181], off, off offset:768
	v_fmac_f64_e32 v[204:205], v[168:169], v[162:163]
	v_fma_f64 v[166:167], v[166:167], v[162:163], -v[164:165]
	scratch_load_b128 v[162:165], off, off offset:784
	s_wait_loadcnt_dscnt 0xb01
	v_mul_f64_e32 v[202:203], v[4:5], v[196:197]
	v_mul_f64_e32 v[196:197], v[6:7], v[196:197]
	v_add_f64_e32 v[168:169], v[208:209], v[206:207]
	v_add_f64_e32 v[198:199], v[198:199], v[200:201]
	s_wait_loadcnt_dscnt 0xa00
	v_mul_f64_e32 v[200:201], v[28:29], v[10:11]
	v_mul_f64_e32 v[10:11], v[30:31], v[10:11]
	v_fmac_f64_e32 v[202:203], v[6:7], v[194:195]
	v_fma_f64 v[206:207], v[4:5], v[194:195], -v[196:197]
	v_add_f64_e32 v[208:209], v[168:169], v[166:167]
	v_add_f64_e32 v[198:199], v[198:199], v[204:205]
	ds_load_b128 v[4:7], v2 offset:1664
	ds_load_b128 v[166:169], v2 offset:1680
	scratch_load_b128 v[194:197], off, off offset:800
	v_fmac_f64_e32 v[200:201], v[30:31], v[8:9]
	v_fma_f64 v[28:29], v[28:29], v[8:9], -v[10:11]
	scratch_load_b128 v[8:11], off, off offset:816
	s_wait_loadcnt_dscnt 0xb01
	v_mul_f64_e32 v[204:205], v[4:5], v[184:185]
	v_mul_f64_e32 v[184:185], v[6:7], v[184:185]
	v_add_f64_e32 v[30:31], v[208:209], v[206:207]
	v_add_f64_e32 v[198:199], v[198:199], v[202:203]
	s_wait_loadcnt_dscnt 0xa00
	v_mul_f64_e32 v[202:203], v[166:167], v[18:19]
	v_mul_f64_e32 v[18:19], v[168:169], v[18:19]
	v_fmac_f64_e32 v[204:205], v[6:7], v[182:183]
	v_fma_f64 v[206:207], v[4:5], v[182:183], -v[184:185]
	v_add_f64_e32 v[208:209], v[30:31], v[28:29]
	v_add_f64_e32 v[198:199], v[198:199], v[200:201]
	ds_load_b128 v[4:7], v2 offset:1696
	ds_load_b128 v[28:31], v2 offset:1712
	scratch_load_b128 v[182:185], off, off offset:832
	v_fmac_f64_e32 v[202:203], v[168:169], v[16:17]
	v_fma_f64 v[166:167], v[166:167], v[16:17], -v[18:19]
	scratch_load_b128 v[16:19], off, off offset:848
	s_wait_loadcnt_dscnt 0xb01
	v_mul_f64_e32 v[200:201], v[4:5], v[192:193]
	v_mul_f64_e32 v[192:193], v[6:7], v[192:193]
	v_add_f64_e32 v[168:169], v[208:209], v[206:207]
	v_add_f64_e32 v[198:199], v[198:199], v[204:205]
	s_wait_loadcnt_dscnt 0xa00
	v_mul_f64_e32 v[204:205], v[28:29], v[14:15]
	v_mul_f64_e32 v[14:15], v[30:31], v[14:15]
	v_fmac_f64_e32 v[200:201], v[6:7], v[190:191]
	v_fma_f64 v[206:207], v[4:5], v[190:191], -v[192:193]
	v_add_f64_e32 v[208:209], v[168:169], v[166:167]
	v_add_f64_e32 v[198:199], v[198:199], v[202:203]
	ds_load_b128 v[4:7], v2 offset:1728
	ds_load_b128 v[166:169], v2 offset:1744
	scratch_load_b128 v[190:193], off, off offset:864
	v_fmac_f64_e32 v[204:205], v[30:31], v[12:13]
	v_fma_f64 v[28:29], v[28:29], v[12:13], -v[14:15]
	scratch_load_b128 v[12:15], off, off offset:880
	s_wait_loadcnt_dscnt 0xb01
	v_mul_f64_e32 v[202:203], v[4:5], v[172:173]
	v_mul_f64_e32 v[172:173], v[6:7], v[172:173]
	v_add_f64_e32 v[30:31], v[208:209], v[206:207]
	v_add_f64_e32 v[198:199], v[198:199], v[200:201]
	s_wait_loadcnt_dscnt 0xa00
	v_mul_f64_e32 v[200:201], v[166:167], v[22:23]
	v_mul_f64_e32 v[22:23], v[168:169], v[22:23]
	v_fmac_f64_e32 v[202:203], v[6:7], v[170:171]
	v_fma_f64 v[206:207], v[4:5], v[170:171], -v[172:173]
	v_add_f64_e32 v[208:209], v[30:31], v[28:29]
	v_add_f64_e32 v[198:199], v[198:199], v[204:205]
	ds_load_b128 v[4:7], v2 offset:1760
	ds_load_b128 v[28:31], v2 offset:1776
	scratch_load_b128 v[170:173], off, off offset:896
	v_fmac_f64_e32 v[200:201], v[168:169], v[20:21]
	v_fma_f64 v[166:167], v[166:167], v[20:21], -v[22:23]
	scratch_load_b128 v[20:23], off, off offset:912
	s_wait_loadcnt_dscnt 0xb01
	v_mul_f64_e32 v[204:205], v[4:5], v[176:177]
	v_mul_f64_e32 v[176:177], v[6:7], v[176:177]
	v_add_f64_e32 v[168:169], v[208:209], v[206:207]
	v_add_f64_e32 v[198:199], v[198:199], v[202:203]
	s_wait_loadcnt_dscnt 0xa00
	v_mul_f64_e32 v[202:203], v[28:29], v[26:27]
	v_mul_f64_e32 v[26:27], v[30:31], v[26:27]
	v_fmac_f64_e32 v[204:205], v[6:7], v[174:175]
	v_fma_f64 v[206:207], v[4:5], v[174:175], -v[176:177]
	v_add_f64_e32 v[208:209], v[168:169], v[166:167]
	v_add_f64_e32 v[198:199], v[198:199], v[200:201]
	ds_load_b128 v[4:7], v2 offset:1792
	ds_load_b128 v[166:169], v2 offset:1808
	scratch_load_b128 v[174:177], off, off offset:928
	v_fmac_f64_e32 v[202:203], v[30:31], v[24:25]
	v_fma_f64 v[28:29], v[28:29], v[24:25], -v[26:27]
	scratch_load_b128 v[24:27], off, off offset:944
	s_wait_loadcnt_dscnt 0xb01
	v_mul_f64_e32 v[200:201], v[4:5], v[180:181]
	v_mul_f64_e32 v[180:181], v[6:7], v[180:181]
	v_add_f64_e32 v[30:31], v[208:209], v[206:207]
	v_add_f64_e32 v[198:199], v[198:199], v[204:205]
	s_wait_loadcnt_dscnt 0xa00
	v_mul_f64_e32 v[204:205], v[166:167], v[164:165]
	v_mul_f64_e32 v[164:165], v[168:169], v[164:165]
	v_fmac_f64_e32 v[200:201], v[6:7], v[178:179]
	v_fma_f64 v[206:207], v[4:5], v[178:179], -v[180:181]
	v_add_f64_e32 v[208:209], v[30:31], v[28:29]
	v_add_f64_e32 v[198:199], v[198:199], v[202:203]
	ds_load_b128 v[4:7], v2 offset:1824
	ds_load_b128 v[28:31], v2 offset:1840
	scratch_load_b128 v[178:181], off, off offset:960
	v_fmac_f64_e32 v[204:205], v[168:169], v[162:163]
	v_fma_f64 v[166:167], v[166:167], v[162:163], -v[164:165]
	scratch_load_b128 v[162:165], off, off offset:976
	s_wait_loadcnt_dscnt 0xb01
	v_mul_f64_e32 v[202:203], v[4:5], v[196:197]
	v_mul_f64_e32 v[196:197], v[6:7], v[196:197]
	v_add_f64_e32 v[168:169], v[208:209], v[206:207]
	v_add_f64_e32 v[198:199], v[198:199], v[200:201]
	s_wait_loadcnt_dscnt 0xa00
	v_mul_f64_e32 v[200:201], v[28:29], v[10:11]
	v_mul_f64_e32 v[10:11], v[30:31], v[10:11]
	v_fmac_f64_e32 v[202:203], v[6:7], v[194:195]
	v_fma_f64 v[206:207], v[4:5], v[194:195], -v[196:197]
	v_add_f64_e32 v[208:209], v[168:169], v[166:167]
	v_add_f64_e32 v[198:199], v[198:199], v[204:205]
	ds_load_b128 v[4:7], v2 offset:1856
	ds_load_b128 v[166:169], v2 offset:1872
	scratch_load_b128 v[194:197], off, off offset:992
	v_fmac_f64_e32 v[200:201], v[30:31], v[8:9]
	v_fma_f64 v[28:29], v[28:29], v[8:9], -v[10:11]
	scratch_load_b128 v[8:11], off, off offset:1008
	s_wait_loadcnt_dscnt 0xb01
	v_mul_f64_e32 v[204:205], v[4:5], v[184:185]
	v_mul_f64_e32 v[184:185], v[6:7], v[184:185]
	v_add_f64_e32 v[30:31], v[208:209], v[206:207]
	v_add_f64_e32 v[198:199], v[198:199], v[202:203]
	s_wait_loadcnt_dscnt 0xa00
	v_mul_f64_e32 v[202:203], v[166:167], v[18:19]
	v_mul_f64_e32 v[18:19], v[168:169], v[18:19]
	v_fmac_f64_e32 v[204:205], v[6:7], v[182:183]
	v_fma_f64 v[182:183], v[4:5], v[182:183], -v[184:185]
	v_add_f64_e32 v[184:185], v[30:31], v[28:29]
	v_add_f64_e32 v[198:199], v[198:199], v[200:201]
	ds_load_b128 v[4:7], v2 offset:1888
	ds_load_b128 v[28:31], v2 offset:1904
	v_fmac_f64_e32 v[202:203], v[168:169], v[16:17]
	v_fma_f64 v[16:17], v[166:167], v[16:17], -v[18:19]
	s_wait_loadcnt_dscnt 0x901
	v_mul_f64_e32 v[200:201], v[4:5], v[192:193]
	v_mul_f64_e32 v[192:193], v[6:7], v[192:193]
	s_wait_loadcnt_dscnt 0x800
	v_mul_f64_e32 v[168:169], v[28:29], v[14:15]
	v_add_f64_e32 v[18:19], v[184:185], v[182:183]
	v_add_f64_e32 v[166:167], v[198:199], v[204:205]
	v_mul_f64_e32 v[182:183], v[30:31], v[14:15]
	v_fmac_f64_e32 v[200:201], v[6:7], v[190:191]
	v_fma_f64 v[184:185], v[4:5], v[190:191], -v[192:193]
	v_fmac_f64_e32 v[168:169], v[30:31], v[12:13]
	v_add_f64_e32 v[18:19], v[18:19], v[16:17]
	v_add_f64_e32 v[166:167], v[166:167], v[202:203]
	ds_load_b128 v[4:7], v2 offset:1920
	ds_load_b128 v[14:17], v2 offset:1936
	v_fma_f64 v[12:13], v[28:29], v[12:13], -v[182:183]
	s_wait_loadcnt_dscnt 0x701
	v_mul_f64_e32 v[190:191], v[4:5], v[172:173]
	v_mul_f64_e32 v[172:173], v[6:7], v[172:173]
	v_add_f64_e32 v[18:19], v[18:19], v[184:185]
	v_add_f64_e32 v[28:29], v[166:167], v[200:201]
	s_wait_loadcnt_dscnt 0x600
	v_mul_f64_e32 v[166:167], v[14:15], v[22:23]
	v_mul_f64_e32 v[22:23], v[16:17], v[22:23]
	v_fmac_f64_e32 v[190:191], v[6:7], v[170:171]
	v_fma_f64 v[170:171], v[4:5], v[170:171], -v[172:173]
	v_add_f64_e32 v[12:13], v[18:19], v[12:13]
	v_add_f64_e32 v[18:19], v[28:29], v[168:169]
	ds_load_b128 v[4:7], v2 offset:1952
	ds_load_b128 v[28:31], v2 offset:1968
	v_fmac_f64_e32 v[166:167], v[16:17], v[20:21]
	v_fma_f64 v[14:15], v[14:15], v[20:21], -v[22:23]
	s_wait_loadcnt_dscnt 0x501
	v_mul_f64_e32 v[168:169], v[4:5], v[176:177]
	v_mul_f64_e32 v[172:173], v[6:7], v[176:177]
	s_wait_loadcnt_dscnt 0x400
	v_mul_f64_e32 v[20:21], v[30:31], v[26:27]
	v_add_f64_e32 v[12:13], v[12:13], v[170:171]
	v_add_f64_e32 v[16:17], v[18:19], v[190:191]
	v_mul_f64_e32 v[18:19], v[28:29], v[26:27]
	v_fmac_f64_e32 v[168:169], v[6:7], v[174:175]
	v_fma_f64 v[22:23], v[4:5], v[174:175], -v[172:173]
	v_fma_f64 v[20:21], v[28:29], v[24:25], -v[20:21]
	v_add_f64_e32 v[26:27], v[12:13], v[14:15]
	v_add_f64_e32 v[16:17], v[16:17], v[166:167]
	ds_load_b128 v[4:7], v2 offset:1984
	ds_load_b128 v[12:15], v2 offset:2000
	v_fmac_f64_e32 v[18:19], v[30:31], v[24:25]
	s_wait_loadcnt_dscnt 0x301
	v_mul_f64_e32 v[166:167], v[4:5], v[180:181]
	v_mul_f64_e32 v[170:171], v[6:7], v[180:181]
	s_wait_loadcnt_dscnt 0x200
	v_mul_f64_e32 v[24:25], v[12:13], v[164:165]
	v_add_f64_e32 v[22:23], v[26:27], v[22:23]
	v_add_f64_e32 v[16:17], v[16:17], v[168:169]
	v_mul_f64_e32 v[26:27], v[14:15], v[164:165]
	v_fmac_f64_e32 v[166:167], v[6:7], v[178:179]
	v_fma_f64 v[28:29], v[4:5], v[178:179], -v[170:171]
	v_fmac_f64_e32 v[24:25], v[14:15], v[162:163]
	v_add_f64_e32 v[20:21], v[22:23], v[20:21]
	v_add_f64_e32 v[22:23], v[16:17], v[18:19]
	ds_load_b128 v[4:7], v2 offset:2016
	ds_load_b128 v[16:19], v2 offset:2032
	v_fma_f64 v[12:13], v[12:13], v[162:163], -v[26:27]
	s_wait_loadcnt_dscnt 0x101
	v_mul_f64_e32 v[2:3], v[4:5], v[196:197]
	v_mul_f64_e32 v[30:31], v[6:7], v[196:197]
	v_add_f64_e32 v[14:15], v[20:21], v[28:29]
	v_add_f64_e32 v[20:21], v[22:23], v[166:167]
	s_wait_loadcnt_dscnt 0x0
	v_mul_f64_e32 v[22:23], v[16:17], v[10:11]
	v_mul_f64_e32 v[10:11], v[18:19], v[10:11]
	v_fmac_f64_e32 v[2:3], v[6:7], v[194:195]
	v_fma_f64 v[4:5], v[4:5], v[194:195], -v[30:31]
	v_add_f64_e32 v[6:7], v[14:15], v[12:13]
	v_add_f64_e32 v[12:13], v[20:21], v[24:25]
	v_fmac_f64_e32 v[22:23], v[18:19], v[8:9]
	v_fma_f64 v[8:9], v[16:17], v[8:9], -v[10:11]
	s_delay_alu instid0(VALU_DEP_4) | instskip(NEXT) | instid1(VALU_DEP_4)
	v_add_f64_e32 v[4:5], v[6:7], v[4:5]
	v_add_f64_e32 v[2:3], v[12:13], v[2:3]
	s_delay_alu instid0(VALU_DEP_2) | instskip(NEXT) | instid1(VALU_DEP_2)
	v_add_f64_e32 v[4:5], v[4:5], v[8:9]
	v_add_f64_e32 v[6:7], v[2:3], v[22:23]
	s_delay_alu instid0(VALU_DEP_2) | instskip(NEXT) | instid1(VALU_DEP_2)
	v_add_f64_e64 v[2:3], v[186:187], -v[4:5]
	v_add_f64_e64 v[4:5], v[188:189], -v[6:7]
	scratch_store_b128 off, v[2:5], off offset:16
	s_wait_xcnt 0x0
	v_cmpx_ne_u32_e32 0, v1
	s_cbranch_execz .LBB127_409
; %bb.408:
	scratch_load_b128 v[2:5], off, off
	v_mov_b32_e32 v6, 0
	s_delay_alu instid0(VALU_DEP_1)
	v_dual_mov_b32 v7, v6 :: v_dual_mov_b32 v8, v6
	v_mov_b32_e32 v9, v6
	scratch_store_b128 off, v[6:9], off
	s_wait_loadcnt 0x0
	ds_store_b128 v160, v[2:5]
.LBB127_409:
	s_wait_xcnt 0x0
	s_or_b32 exec_lo, exec_lo, s2
	v_lshl_add_u64 v[162:163], v[78:79], 4, s[10:11]
	v_lshl_add_u64 v[160:161], v[80:81], 4, s[10:11]
	;; [unrolled: 1-line block ×4, first 2 shown]
	v_mov_b64_e32 v[84:85], 0
	v_mov_b64_e32 v[86:87], 0
	v_lshl_add_u64 v[204:205], v[36:37], 4, s[10:11]
	v_lshl_add_u64 v[202:203], v[38:39], 4, s[10:11]
	;; [unrolled: 1-line block ×58, first 2 shown]
	s_movk_i32 s2, 0xfc10
	s_wait_storecnt_dscnt 0x0
	s_barrier_signal -1
	s_barrier_wait -1
.LBB127_410:                            ; =>This Inner Loop Header: Depth=1
	s_clause 0x8
	scratch_load_b128 v[88:91], off, s2 offset:1024
	scratch_load_b128 v[92:95], off, s2 offset:1040
	;; [unrolled: 1-line block ×9, first 2 shown]
	v_mov_b32_e32 v140, s2
	s_wait_xcnt 0x0
	s_addk_co_i32 s2, 0x90
	ds_load_b128 v[124:127], v140 offset:2048
	ds_load_b128 v[128:131], v140 offset:2064
	s_cmp_lg_u32 s2, 0
	s_wait_loadcnt_dscnt 0x801
	v_mul_f64_e32 v[132:133], v[126:127], v[90:91]
	v_mul_f64_e32 v[134:135], v[124:125], v[90:91]
	s_wait_loadcnt_dscnt 0x700
	v_mul_f64_e32 v[136:137], v[130:131], v[94:95]
	v_mul_f64_e32 v[94:95], v[128:129], v[94:95]
	s_delay_alu instid0(VALU_DEP_4) | instskip(NEXT) | instid1(VALU_DEP_4)
	v_fma_f64 v[132:133], v[124:125], v[88:89], -v[132:133]
	v_fmac_f64_e32 v[134:135], v[126:127], v[88:89]
	ds_load_b128 v[88:91], v140 offset:2080
	ds_load_b128 v[124:127], v140 offset:2096
	v_fma_f64 v[128:129], v[128:129], v[92:93], -v[136:137]
	v_fmac_f64_e32 v[94:95], v[130:131], v[92:93]
	s_wait_loadcnt_dscnt 0x601
	v_mul_f64_e32 v[138:139], v[90:91], v[98:99]
	v_mul_f64_e32 v[98:99], v[88:89], v[98:99]
	s_wait_loadcnt_dscnt 0x500
	v_mul_f64_e32 v[92:93], v[126:127], v[102:103]
	v_mul_f64_e32 v[102:103], v[124:125], v[102:103]
	v_add_f64_e32 v[86:87], v[86:87], v[132:133]
	v_add_f64_e32 v[84:85], v[84:85], v[134:135]
	v_fma_f64 v[130:131], v[88:89], v[96:97], -v[138:139]
	v_fmac_f64_e32 v[98:99], v[90:91], v[96:97]
	v_fma_f64 v[92:93], v[124:125], v[100:101], -v[92:93]
	v_fmac_f64_e32 v[102:103], v[126:127], v[100:101]
	v_add_f64_e32 v[96:97], v[86:87], v[128:129]
	v_add_f64_e32 v[94:95], v[84:85], v[94:95]
	ds_load_b128 v[84:87], v140 offset:2112
	ds_load_b128 v[88:91], v140 offset:2128
	s_wait_loadcnt_dscnt 0x401
	v_mul_f64_e32 v[128:129], v[86:87], v[106:107]
	v_mul_f64_e32 v[106:107], v[84:85], v[106:107]
	s_wait_loadcnt_dscnt 0x300
	v_mul_f64_e32 v[100:101], v[88:89], v[110:111]
	v_add_f64_e32 v[96:97], v[96:97], v[130:131]
	v_add_f64_e32 v[94:95], v[94:95], v[98:99]
	v_mul_f64_e32 v[98:99], v[90:91], v[110:111]
	v_fma_f64 v[110:111], v[84:85], v[104:105], -v[128:129]
	v_fmac_f64_e32 v[106:107], v[86:87], v[104:105]
	v_fmac_f64_e32 v[100:101], v[90:91], v[108:109]
	v_add_f64_e32 v[96:97], v[96:97], v[92:93]
	v_add_f64_e32 v[102:103], v[94:95], v[102:103]
	ds_load_b128 v[84:87], v140 offset:2144
	ds_load_b128 v[92:95], v140 offset:2160
	v_fma_f64 v[88:89], v[88:89], v[108:109], -v[98:99]
	s_wait_loadcnt_dscnt 0x201
	v_mul_f64_e32 v[104:105], v[86:87], v[114:115]
	v_mul_f64_e32 v[114:115], v[84:85], v[114:115]
	s_wait_loadcnt_dscnt 0x100
	v_mul_f64_e32 v[98:99], v[94:95], v[118:119]
	v_add_f64_e32 v[90:91], v[96:97], v[110:111]
	v_add_f64_e32 v[96:97], v[102:103], v[106:107]
	v_mul_f64_e32 v[102:103], v[92:93], v[118:119]
	v_fma_f64 v[104:105], v[84:85], v[112:113], -v[104:105]
	v_fmac_f64_e32 v[114:115], v[86:87], v[112:113]
	ds_load_b128 v[84:87], v140 offset:2176
	v_fma_f64 v[92:93], v[92:93], v[116:117], -v[98:99]
	v_add_f64_e32 v[88:89], v[90:91], v[88:89]
	v_add_f64_e32 v[90:91], v[96:97], v[100:101]
	v_fmac_f64_e32 v[102:103], v[94:95], v[116:117]
	s_wait_loadcnt_dscnt 0x0
	v_mul_f64_e32 v[96:97], v[86:87], v[122:123]
	v_mul_f64_e32 v[100:101], v[84:85], v[122:123]
	v_add_f64_e32 v[88:89], v[88:89], v[104:105]
	v_add_f64_e32 v[90:91], v[90:91], v[114:115]
	s_delay_alu instid0(VALU_DEP_4) | instskip(NEXT) | instid1(VALU_DEP_4)
	v_fma_f64 v[84:85], v[84:85], v[120:121], -v[96:97]
	v_fmac_f64_e32 v[100:101], v[86:87], v[120:121]
	s_delay_alu instid0(VALU_DEP_4) | instskip(NEXT) | instid1(VALU_DEP_4)
	v_add_f64_e32 v[86:87], v[88:89], v[92:93]
	v_add_f64_e32 v[88:89], v[90:91], v[102:103]
	s_delay_alu instid0(VALU_DEP_2) | instskip(NEXT) | instid1(VALU_DEP_2)
	v_add_f64_e32 v[86:87], v[86:87], v[84:85]
	v_add_f64_e32 v[84:85], v[88:89], v[100:101]
	s_cbranch_scc1 .LBB127_410
; %bb.411:
	scratch_load_b128 v[88:91], off, off
	v_readlane_b32 s2, v210, 0
	s_and_b32 vcc_lo, exec_lo, s2
	s_wait_loadcnt 0x0
	v_add_f64_e64 v[86:87], v[88:89], -v[86:87]
	v_add_f64_e64 v[88:89], v[90:91], -v[84:85]
	scratch_store_b128 off, v[86:89], off
	s_cbranch_vccz .LBB127_538
; %bb.412:
	v_mov_b32_e32 v84, 0
	s_load_b64 s[2:3], s[0:1], 0x4
	v_bfe_u32 v86, v0, 10, 10
	v_bfe_u32 v0, v0, 20, 10
	global_load_b32 v85, v84, s[8:9] offset:248
	s_wait_kmcnt 0x0
	s_lshr_b32 s0, s2, 16
	v_mul_u32_u24_e32 v86, s3, v86
	s_mul_i32 s0, s0, s3
	s_delay_alu instid0(SALU_CYCLE_1) | instskip(NEXT) | instid1(VALU_DEP_1)
	v_mul_u32_u24_e32 v1, s0, v1
	v_add3_u32 v0, v1, v86, v0
	s_delay_alu instid0(VALU_DEP_1)
	v_lshl_add_u32 v0, v0, 4, 0x808
	s_wait_loadcnt 0x0
	v_cmp_ne_u32_e32 vcc_lo, 63, v85
	s_cbranch_vccz .LBB127_414
; %bb.413:
	v_lshlrev_b32_e32 v1, 4, v85
	s_clause 0x1
	scratch_load_b128 v[86:89], off, s17
	scratch_load_b128 v[90:93], v1, off offset:-16
	s_wait_loadcnt 0x1
	ds_store_2addr_b64 v0, v[86:87], v[88:89] offset1:1
	s_wait_loadcnt 0x0
	s_clause 0x1
	scratch_store_b128 off, v[90:93], s17
	scratch_store_b128 v1, v[86:89], off offset:-16
.LBB127_414:
	global_load_b32 v1, v84, s[8:9] offset:244
	s_wait_loadcnt 0x0
	v_cmp_eq_u32_e32 vcc_lo, 62, v1
	s_cbranch_vccnz .LBB127_416
; %bb.415:
	v_lshlrev_b32_e32 v1, 4, v1
	s_clause 0x1
	scratch_load_b128 v[84:87], off, s19
	scratch_load_b128 v[88:91], v1, off offset:-16
	s_wait_loadcnt 0x1
	ds_store_2addr_b64 v0, v[84:85], v[86:87] offset1:1
	s_wait_loadcnt 0x0
	s_clause 0x1
	scratch_store_b128 off, v[88:91], s19
	scratch_store_b128 v1, v[84:87], off offset:-16
.LBB127_416:
	s_wait_xcnt 0x0
	v_mov_b32_e32 v1, 0
	global_load_b32 v84, v1, s[8:9] offset:240
	s_wait_loadcnt 0x0
	v_cmp_eq_u32_e32 vcc_lo, 61, v84
	s_cbranch_vccnz .LBB127_418
; %bb.417:
	v_lshlrev_b32_e32 v84, 4, v84
	s_delay_alu instid0(VALU_DEP_1)
	v_mov_b32_e32 v92, v84
	s_clause 0x1
	scratch_load_b128 v[84:87], off, s21
	scratch_load_b128 v[88:91], v92, off offset:-16
	s_wait_loadcnt 0x1
	ds_store_2addr_b64 v0, v[84:85], v[86:87] offset1:1
	s_wait_loadcnt 0x0
	s_clause 0x1
	scratch_store_b128 off, v[88:91], s21
	scratch_store_b128 v92, v[84:87], off offset:-16
.LBB127_418:
	global_load_b32 v1, v1, s[8:9] offset:236
	s_wait_loadcnt 0x0
	v_cmp_eq_u32_e32 vcc_lo, 60, v1
	s_cbranch_vccnz .LBB127_420
; %bb.419:
	s_wait_xcnt 0x0
	v_lshlrev_b32_e32 v1, 4, v1
	s_clause 0x1
	scratch_load_b128 v[84:87], off, s22
	scratch_load_b128 v[88:91], v1, off offset:-16
	s_wait_loadcnt 0x1
	ds_store_2addr_b64 v0, v[84:85], v[86:87] offset1:1
	s_wait_loadcnt 0x0
	s_clause 0x1
	scratch_store_b128 off, v[88:91], s22
	scratch_store_b128 v1, v[84:87], off offset:-16
.LBB127_420:
	s_wait_xcnt 0x0
	v_mov_b32_e32 v1, 0
	global_load_b32 v84, v1, s[8:9] offset:232
	s_wait_loadcnt 0x0
	v_cmp_eq_u32_e32 vcc_lo, 59, v84
	s_cbranch_vccnz .LBB127_422
; %bb.421:
	v_lshlrev_b32_e32 v84, 4, v84
	s_delay_alu instid0(VALU_DEP_1)
	v_mov_b32_e32 v92, v84
	s_clause 0x1
	scratch_load_b128 v[84:87], off, s23
	scratch_load_b128 v[88:91], v92, off offset:-16
	s_wait_loadcnt 0x1
	ds_store_2addr_b64 v0, v[84:85], v[86:87] offset1:1
	s_wait_loadcnt 0x0
	s_clause 0x1
	scratch_store_b128 off, v[88:91], s23
	scratch_store_b128 v92, v[84:87], off offset:-16
.LBB127_422:
	global_load_b32 v1, v1, s[8:9] offset:228
	s_wait_loadcnt 0x0
	v_cmp_eq_u32_e32 vcc_lo, 58, v1
	s_cbranch_vccnz .LBB127_424
; %bb.423:
	s_wait_xcnt 0x0
	v_lshlrev_b32_e32 v1, 4, v1
	s_clause 0x1
	scratch_load_b128 v[84:87], off, s24
	scratch_load_b128 v[88:91], v1, off offset:-16
	s_wait_loadcnt 0x1
	ds_store_2addr_b64 v0, v[84:85], v[86:87] offset1:1
	s_wait_loadcnt 0x0
	s_clause 0x1
	scratch_store_b128 off, v[88:91], s24
	scratch_store_b128 v1, v[84:87], off offset:-16
.LBB127_424:
	;; [unrolled: 37-line block ×28, first 2 shown]
	s_wait_xcnt 0x0
	v_mov_b32_e32 v1, 0
	global_load_b32 v84, v1, s[8:9] offset:16
	s_wait_loadcnt 0x0
	v_cmp_eq_u32_e32 vcc_lo, 5, v84
	s_cbranch_vccnz .LBB127_530
; %bb.529:
	v_lshlrev_b32_e32 v84, 4, v84
	v_readlane_b32 s0, v210, 1
	s_delay_alu instid0(VALU_DEP_2)
	v_mov_b32_e32 v92, v84
	s_clause 0x1
	scratch_load_b128 v[84:87], off, s0
	scratch_load_b128 v[88:91], v92, off offset:-16
	s_wait_loadcnt 0x1
	ds_store_2addr_b64 v0, v[84:85], v[86:87] offset1:1
	s_wait_loadcnt 0x0
	s_clause 0x1
	scratch_store_b128 off, v[88:91], s0
	scratch_store_b128 v92, v[84:87], off offset:-16
.LBB127_530:
	global_load_b32 v1, v1, s[8:9] offset:12
	s_wait_loadcnt 0x0
	v_cmp_eq_u32_e32 vcc_lo, 4, v1
	s_cbranch_vccnz .LBB127_532
; %bb.531:
	s_wait_xcnt 0x0
	v_lshlrev_b32_e32 v1, 4, v1
	s_clause 0x1
	scratch_load_b128 v[84:87], off, s16
	scratch_load_b128 v[88:91], v1, off offset:-16
	s_wait_loadcnt 0x1
	ds_store_2addr_b64 v0, v[84:85], v[86:87] offset1:1
	s_wait_loadcnt 0x0
	s_clause 0x1
	scratch_store_b128 off, v[88:91], s16
	scratch_store_b128 v1, v[84:87], off offset:-16
.LBB127_532:
	s_wait_xcnt 0x0
	v_mov_b32_e32 v1, 0
	global_load_b32 v84, v1, s[8:9] offset:8
	s_wait_loadcnt 0x0
	v_cmp_eq_u32_e32 vcc_lo, 3, v84
	s_cbranch_vccnz .LBB127_534
; %bb.533:
	v_lshlrev_b32_e32 v84, 4, v84
	s_delay_alu instid0(VALU_DEP_1)
	v_mov_b32_e32 v92, v84
	s_clause 0x1
	scratch_load_b128 v[84:87], off, s18
	scratch_load_b128 v[88:91], v92, off offset:-16
	s_wait_loadcnt 0x1
	ds_store_2addr_b64 v0, v[84:85], v[86:87] offset1:1
	s_wait_loadcnt 0x0
	s_clause 0x1
	scratch_store_b128 off, v[88:91], s18
	scratch_store_b128 v92, v[84:87], off offset:-16
.LBB127_534:
	global_load_b32 v1, v1, s[8:9] offset:4
	s_wait_loadcnt 0x0
	v_cmp_eq_u32_e32 vcc_lo, 2, v1
	s_cbranch_vccnz .LBB127_536
; %bb.535:
	s_wait_xcnt 0x0
	v_lshlrev_b32_e32 v1, 4, v1
	s_clause 0x1
	scratch_load_b128 v[84:87], off, s20
	scratch_load_b128 v[88:91], v1, off offset:-16
	s_wait_loadcnt 0x1
	ds_store_2addr_b64 v0, v[84:85], v[86:87] offset1:1
	s_wait_loadcnt 0x0
	s_clause 0x1
	scratch_store_b128 off, v[88:91], s20
	scratch_store_b128 v1, v[84:87], off offset:-16
.LBB127_536:
	s_wait_xcnt 0x0
	v_mov_b32_e32 v1, 0
	global_load_b32 v1, v1, s[8:9]
	s_wait_loadcnt 0x0
	v_cmp_eq_u32_e32 vcc_lo, 1, v1
	s_cbranch_vccnz .LBB127_538
; %bb.537:
	s_wait_xcnt 0x0
	v_lshlrev_b32_e32 v1, 4, v1
	scratch_load_b128 v[84:87], off, off
	scratch_load_b128 v[88:91], v1, off offset:-16
	s_wait_loadcnt 0x1
	ds_store_2addr_b64 v0, v[84:85], v[86:87] offset1:1
	s_wait_loadcnt 0x0
	scratch_store_b128 off, v[88:91], off
	scratch_store_b128 v1, v[84:87], off offset:-16
.LBB127_538:
	scratch_load_b128 v[84:87], off, off
	v_readlane_b32 s0, v210, 1
	s_wait_loadcnt 0x0
	flat_store_b128 v[32:33], v[84:87]
	scratch_load_b128 v[84:87], off, s20
	s_wait_loadcnt 0x0
	flat_store_b128 v[34:35], v[84:87]
	scratch_load_b128 v[32:35], off, s18
	;; [unrolled: 3-line block ×63, first 2 shown]
	s_wait_loadcnt 0x0
	flat_store_b128 v[22:23], v[0:3]
	s_sendmsg sendmsg(MSG_DEALLOC_VGPRS)
	s_endpgm
	.section	.rodata,"a",@progbits
	.p2align	6, 0x0
	.amdhsa_kernel _ZN9rocsolver6v33100L18getri_kernel_smallILi64E19rocblas_complex_numIdEPKPS3_EEvT1_iilPiilS8_bb
		.amdhsa_group_segment_fixed_size 3080
		.amdhsa_private_segment_fixed_size 1040
		.amdhsa_kernarg_size 60
		.amdhsa_user_sgpr_count 4
		.amdhsa_user_sgpr_dispatch_ptr 1
		.amdhsa_user_sgpr_queue_ptr 0
		.amdhsa_user_sgpr_kernarg_segment_ptr 1
		.amdhsa_user_sgpr_dispatch_id 0
		.amdhsa_user_sgpr_kernarg_preload_length 0
		.amdhsa_user_sgpr_kernarg_preload_offset 0
		.amdhsa_user_sgpr_private_segment_size 0
		.amdhsa_wavefront_size32 1
		.amdhsa_uses_dynamic_stack 0
		.amdhsa_enable_private_segment 1
		.amdhsa_system_sgpr_workgroup_id_x 1
		.amdhsa_system_sgpr_workgroup_id_y 0
		.amdhsa_system_sgpr_workgroup_id_z 0
		.amdhsa_system_sgpr_workgroup_info 0
		.amdhsa_system_vgpr_workitem_id 2
		.amdhsa_next_free_vgpr 211
		.amdhsa_next_free_sgpr 105
		.amdhsa_named_barrier_count 0
		.amdhsa_reserve_vcc 1
		.amdhsa_float_round_mode_32 0
		.amdhsa_float_round_mode_16_64 0
		.amdhsa_float_denorm_mode_32 3
		.amdhsa_float_denorm_mode_16_64 3
		.amdhsa_fp16_overflow 0
		.amdhsa_memory_ordered 1
		.amdhsa_forward_progress 1
		.amdhsa_inst_pref_size 255
		.amdhsa_round_robin_scheduling 0
		.amdhsa_exception_fp_ieee_invalid_op 0
		.amdhsa_exception_fp_denorm_src 0
		.amdhsa_exception_fp_ieee_div_zero 0
		.amdhsa_exception_fp_ieee_overflow 0
		.amdhsa_exception_fp_ieee_underflow 0
		.amdhsa_exception_fp_ieee_inexact 0
		.amdhsa_exception_int_div_zero 0
	.end_amdhsa_kernel
	.section	.text._ZN9rocsolver6v33100L18getri_kernel_smallILi64E19rocblas_complex_numIdEPKPS3_EEvT1_iilPiilS8_bb,"axG",@progbits,_ZN9rocsolver6v33100L18getri_kernel_smallILi64E19rocblas_complex_numIdEPKPS3_EEvT1_iilPiilS8_bb,comdat
.Lfunc_end127:
	.size	_ZN9rocsolver6v33100L18getri_kernel_smallILi64E19rocblas_complex_numIdEPKPS3_EEvT1_iilPiilS8_bb, .Lfunc_end127-_ZN9rocsolver6v33100L18getri_kernel_smallILi64E19rocblas_complex_numIdEPKPS3_EEvT1_iilPiilS8_bb
                                        ; -- End function
	.set _ZN9rocsolver6v33100L18getri_kernel_smallILi64E19rocblas_complex_numIdEPKPS3_EEvT1_iilPiilS8_bb.num_vgpr, 211
	.set _ZN9rocsolver6v33100L18getri_kernel_smallILi64E19rocblas_complex_numIdEPKPS3_EEvT1_iilPiilS8_bb.num_agpr, 0
	.set _ZN9rocsolver6v33100L18getri_kernel_smallILi64E19rocblas_complex_numIdEPKPS3_EEvT1_iilPiilS8_bb.numbered_sgpr, 105
	.set _ZN9rocsolver6v33100L18getri_kernel_smallILi64E19rocblas_complex_numIdEPKPS3_EEvT1_iilPiilS8_bb.num_named_barrier, 0
	.set _ZN9rocsolver6v33100L18getri_kernel_smallILi64E19rocblas_complex_numIdEPKPS3_EEvT1_iilPiilS8_bb.private_seg_size, 1040
	.set _ZN9rocsolver6v33100L18getri_kernel_smallILi64E19rocblas_complex_numIdEPKPS3_EEvT1_iilPiilS8_bb.uses_vcc, 1
	.set _ZN9rocsolver6v33100L18getri_kernel_smallILi64E19rocblas_complex_numIdEPKPS3_EEvT1_iilPiilS8_bb.uses_flat_scratch, 1
	.set _ZN9rocsolver6v33100L18getri_kernel_smallILi64E19rocblas_complex_numIdEPKPS3_EEvT1_iilPiilS8_bb.has_dyn_sized_stack, 0
	.set _ZN9rocsolver6v33100L18getri_kernel_smallILi64E19rocblas_complex_numIdEPKPS3_EEvT1_iilPiilS8_bb.has_recursion, 0
	.set _ZN9rocsolver6v33100L18getri_kernel_smallILi64E19rocblas_complex_numIdEPKPS3_EEvT1_iilPiilS8_bb.has_indirect_call, 0
	.section	.AMDGPU.csdata,"",@progbits
; Kernel info:
; codeLenInByte = 142188
; TotalNumSgprs: 107
; NumVgprs: 211
; ScratchSize: 1040
; MemoryBound: 0
; FloatMode: 240
; IeeeMode: 1
; LDSByteSize: 3080 bytes/workgroup (compile time only)
; SGPRBlocks: 0
; VGPRBlocks: 13
; NumSGPRsForWavesPerEU: 107
; NumVGPRsForWavesPerEU: 211
; NamedBarCnt: 0
; Occupancy: 4
; WaveLimiterHint : 1
; COMPUTE_PGM_RSRC2:SCRATCH_EN: 1
; COMPUTE_PGM_RSRC2:USER_SGPR: 4
; COMPUTE_PGM_RSRC2:TRAP_HANDLER: 0
; COMPUTE_PGM_RSRC2:TGID_X_EN: 1
; COMPUTE_PGM_RSRC2:TGID_Y_EN: 0
; COMPUTE_PGM_RSRC2:TGID_Z_EN: 0
; COMPUTE_PGM_RSRC2:TIDIG_COMP_CNT: 2
	.section	.AMDGPU.gpr_maximums,"",@progbits
	.set amdgpu.max_num_vgpr, 0
	.set amdgpu.max_num_agpr, 0
	.set amdgpu.max_num_sgpr, 0
	.section	.AMDGPU.csdata,"",@progbits
	.type	__hip_cuid_11be0ed2b8aec8c2,@object ; @__hip_cuid_11be0ed2b8aec8c2
	.section	.bss,"aw",@nobits
	.globl	__hip_cuid_11be0ed2b8aec8c2
__hip_cuid_11be0ed2b8aec8c2:
	.byte	0                               ; 0x0
	.size	__hip_cuid_11be0ed2b8aec8c2, 1

	.ident	"AMD clang version 22.0.0git (https://github.com/RadeonOpenCompute/llvm-project roc-7.2.4 26084 f58b06dce1f9c15707c5f808fd002e18c2accf7e)"
	.section	".note.GNU-stack","",@progbits
	.addrsig
	.addrsig_sym __hip_cuid_11be0ed2b8aec8c2
	.amdgpu_metadata
---
amdhsa.kernels:
  - .args:
      - .address_space:  global
        .offset:         0
        .size:           8
        .value_kind:     global_buffer
      - .offset:         8
        .size:           4
        .value_kind:     by_value
      - .offset:         12
        .size:           4
        .value_kind:     by_value
      - .offset:         16
        .size:           8
        .value_kind:     by_value
      - .address_space:  global
        .offset:         24
        .size:           8
        .value_kind:     global_buffer
      - .offset:         32
        .size:           4
        .value_kind:     by_value
      - .offset:         40
        .size:           8
        .value_kind:     by_value
      - .address_space:  global
        .offset:         48
        .size:           8
        .value_kind:     global_buffer
      - .offset:         56
        .size:           1
        .value_kind:     by_value
      - .offset:         57
        .size:           1
        .value_kind:     by_value
    .group_segment_fixed_size: 4
    .kernarg_segment_align: 8
    .kernarg_segment_size: 60
    .language:       OpenCL C
    .language_version:
      - 2
      - 0
    .max_flat_workgroup_size: 64
    .name:           _ZN9rocsolver6v33100L18getri_kernel_smallILi1E19rocblas_complex_numIdEPS3_EEvT1_iilPiilS6_bb
    .private_segment_fixed_size: 0
    .sgpr_count:     16
    .sgpr_spill_count: 0
    .symbol:         _ZN9rocsolver6v33100L18getri_kernel_smallILi1E19rocblas_complex_numIdEPS3_EEvT1_iilPiilS6_bb.kd
    .uniform_work_group_size: 1
    .uses_dynamic_stack: false
    .vgpr_count:     12
    .vgpr_spill_count: 0
    .wavefront_size: 32
  - .args:
      - .address_space:  global
        .offset:         0
        .size:           8
        .value_kind:     global_buffer
      - .offset:         8
        .size:           4
        .value_kind:     by_value
      - .offset:         12
        .size:           4
        .value_kind:     by_value
      - .offset:         16
        .size:           8
        .value_kind:     by_value
      - .address_space:  global
        .offset:         24
        .size:           8
        .value_kind:     global_buffer
      - .offset:         32
        .size:           4
        .value_kind:     by_value
      - .offset:         40
        .size:           8
        .value_kind:     by_value
      - .address_space:  global
        .offset:         48
        .size:           8
        .value_kind:     global_buffer
      - .offset:         56
        .size:           1
        .value_kind:     by_value
      - .offset:         57
        .size:           1
        .value_kind:     by_value
    .group_segment_fixed_size: 1096
    .kernarg_segment_align: 8
    .kernarg_segment_size: 60
    .language:       OpenCL C
    .language_version:
      - 2
      - 0
    .max_flat_workgroup_size: 64
    .name:           _ZN9rocsolver6v33100L18getri_kernel_smallILi2E19rocblas_complex_numIdEPS3_EEvT1_iilPiilS6_bb
    .private_segment_fixed_size: 48
    .sgpr_count:     26
    .sgpr_spill_count: 0
    .symbol:         _ZN9rocsolver6v33100L18getri_kernel_smallILi2E19rocblas_complex_numIdEPS3_EEvT1_iilPiilS6_bb.kd
    .uniform_work_group_size: 1
    .uses_dynamic_stack: false
    .vgpr_count:     22
    .vgpr_spill_count: 0
    .wavefront_size: 32
  - .args:
      - .address_space:  global
        .offset:         0
        .size:           8
        .value_kind:     global_buffer
      - .offset:         8
        .size:           4
        .value_kind:     by_value
      - .offset:         12
        .size:           4
        .value_kind:     by_value
      - .offset:         16
        .size:           8
        .value_kind:     by_value
      - .address_space:  global
        .offset:         24
        .size:           8
        .value_kind:     global_buffer
      - .offset:         32
        .size:           4
        .value_kind:     by_value
      - .offset:         40
        .size:           8
        .value_kind:     by_value
      - .address_space:  global
        .offset:         48
        .size:           8
        .value_kind:     global_buffer
      - .offset:         56
        .size:           1
        .value_kind:     by_value
      - .offset:         57
        .size:           1
        .value_kind:     by_value
    .group_segment_fixed_size: 1128
    .kernarg_segment_align: 8
    .kernarg_segment_size: 60
    .language:       OpenCL C
    .language_version:
      - 2
      - 0
    .max_flat_workgroup_size: 64
    .name:           _ZN9rocsolver6v33100L18getri_kernel_smallILi3E19rocblas_complex_numIdEPS3_EEvT1_iilPiilS6_bb
    .private_segment_fixed_size: 64
    .sgpr_count:     26
    .sgpr_spill_count: 0
    .symbol:         _ZN9rocsolver6v33100L18getri_kernel_smallILi3E19rocblas_complex_numIdEPS3_EEvT1_iilPiilS6_bb.kd
    .uniform_work_group_size: 1
    .uses_dynamic_stack: false
    .vgpr_count:     32
    .vgpr_spill_count: 0
    .wavefront_size: 32
  - .args:
      - .address_space:  global
        .offset:         0
        .size:           8
        .value_kind:     global_buffer
      - .offset:         8
        .size:           4
        .value_kind:     by_value
      - .offset:         12
        .size:           4
        .value_kind:     by_value
      - .offset:         16
        .size:           8
        .value_kind:     by_value
      - .address_space:  global
        .offset:         24
        .size:           8
        .value_kind:     global_buffer
      - .offset:         32
        .size:           4
        .value_kind:     by_value
      - .offset:         40
        .size:           8
        .value_kind:     by_value
      - .address_space:  global
        .offset:         48
        .size:           8
        .value_kind:     global_buffer
      - .offset:         56
        .size:           1
        .value_kind:     by_value
      - .offset:         57
        .size:           1
        .value_kind:     by_value
    .group_segment_fixed_size: 1160
    .kernarg_segment_align: 8
    .kernarg_segment_size: 60
    .language:       OpenCL C
    .language_version:
      - 2
      - 0
    .max_flat_workgroup_size: 64
    .name:           _ZN9rocsolver6v33100L18getri_kernel_smallILi4E19rocblas_complex_numIdEPS3_EEvT1_iilPiilS6_bb
    .private_segment_fixed_size: 80
    .sgpr_count:     26
    .sgpr_spill_count: 0
    .symbol:         _ZN9rocsolver6v33100L18getri_kernel_smallILi4E19rocblas_complex_numIdEPS3_EEvT1_iilPiilS6_bb.kd
    .uniform_work_group_size: 1
    .uses_dynamic_stack: false
    .vgpr_count:     42
    .vgpr_spill_count: 0
    .wavefront_size: 32
  - .args:
      - .address_space:  global
        .offset:         0
        .size:           8
        .value_kind:     global_buffer
      - .offset:         8
        .size:           4
        .value_kind:     by_value
      - .offset:         12
        .size:           4
        .value_kind:     by_value
      - .offset:         16
        .size:           8
        .value_kind:     by_value
      - .address_space:  global
        .offset:         24
        .size:           8
        .value_kind:     global_buffer
      - .offset:         32
        .size:           4
        .value_kind:     by_value
      - .offset:         40
        .size:           8
        .value_kind:     by_value
      - .address_space:  global
        .offset:         48
        .size:           8
        .value_kind:     global_buffer
      - .offset:         56
        .size:           1
        .value_kind:     by_value
      - .offset:         57
        .size:           1
        .value_kind:     by_value
    .group_segment_fixed_size: 1192
    .kernarg_segment_align: 8
    .kernarg_segment_size: 60
    .language:       OpenCL C
    .language_version:
      - 2
      - 0
    .max_flat_workgroup_size: 64
    .name:           _ZN9rocsolver6v33100L18getri_kernel_smallILi5E19rocblas_complex_numIdEPS3_EEvT1_iilPiilS6_bb
    .private_segment_fixed_size: 96
    .sgpr_count:     26
    .sgpr_spill_count: 0
    .symbol:         _ZN9rocsolver6v33100L18getri_kernel_smallILi5E19rocblas_complex_numIdEPS3_EEvT1_iilPiilS6_bb.kd
    .uniform_work_group_size: 1
    .uses_dynamic_stack: false
    .vgpr_count:     50
    .vgpr_spill_count: 0
    .wavefront_size: 32
  - .args:
      - .address_space:  global
        .offset:         0
        .size:           8
        .value_kind:     global_buffer
      - .offset:         8
        .size:           4
        .value_kind:     by_value
      - .offset:         12
        .size:           4
        .value_kind:     by_value
      - .offset:         16
        .size:           8
        .value_kind:     by_value
      - .address_space:  global
        .offset:         24
        .size:           8
        .value_kind:     global_buffer
      - .offset:         32
        .size:           4
        .value_kind:     by_value
      - .offset:         40
        .size:           8
        .value_kind:     by_value
      - .address_space:  global
        .offset:         48
        .size:           8
        .value_kind:     global_buffer
      - .offset:         56
        .size:           1
        .value_kind:     by_value
      - .offset:         57
        .size:           1
        .value_kind:     by_value
    .group_segment_fixed_size: 1224
    .kernarg_segment_align: 8
    .kernarg_segment_size: 60
    .language:       OpenCL C
    .language_version:
      - 2
      - 0
    .max_flat_workgroup_size: 64
    .name:           _ZN9rocsolver6v33100L18getri_kernel_smallILi6E19rocblas_complex_numIdEPS3_EEvT1_iilPiilS6_bb
    .private_segment_fixed_size: 112
    .sgpr_count:     23
    .sgpr_spill_count: 0
    .symbol:         _ZN9rocsolver6v33100L18getri_kernel_smallILi6E19rocblas_complex_numIdEPS3_EEvT1_iilPiilS6_bb.kd
    .uniform_work_group_size: 1
    .uses_dynamic_stack: false
    .vgpr_count:     56
    .vgpr_spill_count: 0
    .wavefront_size: 32
  - .args:
      - .address_space:  global
        .offset:         0
        .size:           8
        .value_kind:     global_buffer
      - .offset:         8
        .size:           4
        .value_kind:     by_value
      - .offset:         12
        .size:           4
        .value_kind:     by_value
      - .offset:         16
        .size:           8
        .value_kind:     by_value
      - .address_space:  global
        .offset:         24
        .size:           8
        .value_kind:     global_buffer
      - .offset:         32
        .size:           4
        .value_kind:     by_value
      - .offset:         40
        .size:           8
        .value_kind:     by_value
      - .address_space:  global
        .offset:         48
        .size:           8
        .value_kind:     global_buffer
      - .offset:         56
        .size:           1
        .value_kind:     by_value
      - .offset:         57
        .size:           1
        .value_kind:     by_value
    .group_segment_fixed_size: 1256
    .kernarg_segment_align: 8
    .kernarg_segment_size: 60
    .language:       OpenCL C
    .language_version:
      - 2
      - 0
    .max_flat_workgroup_size: 64
    .name:           _ZN9rocsolver6v33100L18getri_kernel_smallILi7E19rocblas_complex_numIdEPS3_EEvT1_iilPiilS6_bb
    .private_segment_fixed_size: 128
    .sgpr_count:     24
    .sgpr_spill_count: 0
    .symbol:         _ZN9rocsolver6v33100L18getri_kernel_smallILi7E19rocblas_complex_numIdEPS3_EEvT1_iilPiilS6_bb.kd
    .uniform_work_group_size: 1
    .uses_dynamic_stack: false
    .vgpr_count:     62
    .vgpr_spill_count: 0
    .wavefront_size: 32
  - .args:
      - .address_space:  global
        .offset:         0
        .size:           8
        .value_kind:     global_buffer
      - .offset:         8
        .size:           4
        .value_kind:     by_value
      - .offset:         12
        .size:           4
        .value_kind:     by_value
      - .offset:         16
        .size:           8
        .value_kind:     by_value
      - .address_space:  global
        .offset:         24
        .size:           8
        .value_kind:     global_buffer
      - .offset:         32
        .size:           4
        .value_kind:     by_value
      - .offset:         40
        .size:           8
        .value_kind:     by_value
      - .address_space:  global
        .offset:         48
        .size:           8
        .value_kind:     global_buffer
      - .offset:         56
        .size:           1
        .value_kind:     by_value
      - .offset:         57
        .size:           1
        .value_kind:     by_value
    .group_segment_fixed_size: 1288
    .kernarg_segment_align: 8
    .kernarg_segment_size: 60
    .language:       OpenCL C
    .language_version:
      - 2
      - 0
    .max_flat_workgroup_size: 64
    .name:           _ZN9rocsolver6v33100L18getri_kernel_smallILi8E19rocblas_complex_numIdEPS3_EEvT1_iilPiilS6_bb
    .private_segment_fixed_size: 144
    .sgpr_count:     26
    .sgpr_spill_count: 0
    .symbol:         _ZN9rocsolver6v33100L18getri_kernel_smallILi8E19rocblas_complex_numIdEPS3_EEvT1_iilPiilS6_bb.kd
    .uniform_work_group_size: 1
    .uses_dynamic_stack: false
    .vgpr_count:     68
    .vgpr_spill_count: 0
    .wavefront_size: 32
  - .args:
      - .address_space:  global
        .offset:         0
        .size:           8
        .value_kind:     global_buffer
      - .offset:         8
        .size:           4
        .value_kind:     by_value
      - .offset:         12
        .size:           4
        .value_kind:     by_value
      - .offset:         16
        .size:           8
        .value_kind:     by_value
      - .address_space:  global
        .offset:         24
        .size:           8
        .value_kind:     global_buffer
      - .offset:         32
        .size:           4
        .value_kind:     by_value
      - .offset:         40
        .size:           8
        .value_kind:     by_value
      - .address_space:  global
        .offset:         48
        .size:           8
        .value_kind:     global_buffer
      - .offset:         56
        .size:           1
        .value_kind:     by_value
      - .offset:         57
        .size:           1
        .value_kind:     by_value
    .group_segment_fixed_size: 296
    .kernarg_segment_align: 8
    .kernarg_segment_size: 60
    .language:       OpenCL C
    .language_version:
      - 2
      - 0
    .max_flat_workgroup_size: 64
    .name:           _ZN9rocsolver6v33100L18getri_kernel_smallILi9E19rocblas_complex_numIdEPS3_EEvT1_iilPiilS6_bb
    .private_segment_fixed_size: 176
    .sgpr_count:     24
    .sgpr_spill_count: 0
    .symbol:         _ZN9rocsolver6v33100L18getri_kernel_smallILi9E19rocblas_complex_numIdEPS3_EEvT1_iilPiilS6_bb.kd
    .uniform_work_group_size: 1
    .uses_dynamic_stack: false
    .vgpr_count:     74
    .vgpr_spill_count: 0
    .wavefront_size: 32
  - .args:
      - .address_space:  global
        .offset:         0
        .size:           8
        .value_kind:     global_buffer
      - .offset:         8
        .size:           4
        .value_kind:     by_value
      - .offset:         12
        .size:           4
        .value_kind:     by_value
      - .offset:         16
        .size:           8
        .value_kind:     by_value
      - .address_space:  global
        .offset:         24
        .size:           8
        .value_kind:     global_buffer
      - .offset:         32
        .size:           4
        .value_kind:     by_value
      - .offset:         40
        .size:           8
        .value_kind:     by_value
      - .address_space:  global
        .offset:         48
        .size:           8
        .value_kind:     global_buffer
      - .offset:         56
        .size:           1
        .value_kind:     by_value
      - .offset:         57
        .size:           1
        .value_kind:     by_value
    .group_segment_fixed_size: 1352
    .kernarg_segment_align: 8
    .kernarg_segment_size: 60
    .language:       OpenCL C
    .language_version:
      - 2
      - 0
    .max_flat_workgroup_size: 64
    .name:           _ZN9rocsolver6v33100L18getri_kernel_smallILi10E19rocblas_complex_numIdEPS3_EEvT1_iilPiilS6_bb
    .private_segment_fixed_size: 176
    .sgpr_count:     27
    .sgpr_spill_count: 0
    .symbol:         _ZN9rocsolver6v33100L18getri_kernel_smallILi10E19rocblas_complex_numIdEPS3_EEvT1_iilPiilS6_bb.kd
    .uniform_work_group_size: 1
    .uses_dynamic_stack: false
    .vgpr_count:     80
    .vgpr_spill_count: 0
    .wavefront_size: 32
  - .args:
      - .address_space:  global
        .offset:         0
        .size:           8
        .value_kind:     global_buffer
      - .offset:         8
        .size:           4
        .value_kind:     by_value
      - .offset:         12
        .size:           4
        .value_kind:     by_value
      - .offset:         16
        .size:           8
        .value_kind:     by_value
      - .address_space:  global
        .offset:         24
        .size:           8
        .value_kind:     global_buffer
      - .offset:         32
        .size:           4
        .value_kind:     by_value
      - .offset:         40
        .size:           8
        .value_kind:     by_value
      - .address_space:  global
        .offset:         48
        .size:           8
        .value_kind:     global_buffer
      - .offset:         56
        .size:           1
        .value_kind:     by_value
      - .offset:         57
        .size:           1
        .value_kind:     by_value
    .group_segment_fixed_size: 1384
    .kernarg_segment_align: 8
    .kernarg_segment_size: 60
    .language:       OpenCL C
    .language_version:
      - 2
      - 0
    .max_flat_workgroup_size: 64
    .name:           _ZN9rocsolver6v33100L18getri_kernel_smallILi11E19rocblas_complex_numIdEPS3_EEvT1_iilPiilS6_bb
    .private_segment_fixed_size: 192
    .sgpr_count:     28
    .sgpr_spill_count: 0
    .symbol:         _ZN9rocsolver6v33100L18getri_kernel_smallILi11E19rocblas_complex_numIdEPS3_EEvT1_iilPiilS6_bb.kd
    .uniform_work_group_size: 1
    .uses_dynamic_stack: false
    .vgpr_count:     82
    .vgpr_spill_count: 0
    .wavefront_size: 32
  - .args:
      - .address_space:  global
        .offset:         0
        .size:           8
        .value_kind:     global_buffer
      - .offset:         8
        .size:           4
        .value_kind:     by_value
      - .offset:         12
        .size:           4
        .value_kind:     by_value
      - .offset:         16
        .size:           8
        .value_kind:     by_value
      - .address_space:  global
        .offset:         24
        .size:           8
        .value_kind:     global_buffer
      - .offset:         32
        .size:           4
        .value_kind:     by_value
      - .offset:         40
        .size:           8
        .value_kind:     by_value
      - .address_space:  global
        .offset:         48
        .size:           8
        .value_kind:     global_buffer
      - .offset:         56
        .size:           1
        .value_kind:     by_value
      - .offset:         57
        .size:           1
        .value_kind:     by_value
    .group_segment_fixed_size: 1416
    .kernarg_segment_align: 8
    .kernarg_segment_size: 60
    .language:       OpenCL C
    .language_version:
      - 2
      - 0
    .max_flat_workgroup_size: 64
    .name:           _ZN9rocsolver6v33100L18getri_kernel_smallILi12E19rocblas_complex_numIdEPS3_EEvT1_iilPiilS6_bb
    .private_segment_fixed_size: 208
    .sgpr_count:     29
    .sgpr_spill_count: 0
    .symbol:         _ZN9rocsolver6v33100L18getri_kernel_smallILi12E19rocblas_complex_numIdEPS3_EEvT1_iilPiilS6_bb.kd
    .uniform_work_group_size: 1
    .uses_dynamic_stack: false
    .vgpr_count:     92
    .vgpr_spill_count: 0
    .wavefront_size: 32
  - .args:
      - .address_space:  global
        .offset:         0
        .size:           8
        .value_kind:     global_buffer
      - .offset:         8
        .size:           4
        .value_kind:     by_value
      - .offset:         12
        .size:           4
        .value_kind:     by_value
      - .offset:         16
        .size:           8
        .value_kind:     by_value
      - .address_space:  global
        .offset:         24
        .size:           8
        .value_kind:     global_buffer
      - .offset:         32
        .size:           4
        .value_kind:     by_value
      - .offset:         40
        .size:           8
        .value_kind:     by_value
      - .address_space:  global
        .offset:         48
        .size:           8
        .value_kind:     global_buffer
      - .offset:         56
        .size:           1
        .value_kind:     by_value
      - .offset:         57
        .size:           1
        .value_kind:     by_value
    .group_segment_fixed_size: 1448
    .kernarg_segment_align: 8
    .kernarg_segment_size: 60
    .language:       OpenCL C
    .language_version:
      - 2
      - 0
    .max_flat_workgroup_size: 64
    .name:           _ZN9rocsolver6v33100L18getri_kernel_smallILi13E19rocblas_complex_numIdEPS3_EEvT1_iilPiilS6_bb
    .private_segment_fixed_size: 224
    .sgpr_count:     30
    .sgpr_spill_count: 0
    .symbol:         _ZN9rocsolver6v33100L18getri_kernel_smallILi13E19rocblas_complex_numIdEPS3_EEvT1_iilPiilS6_bb.kd
    .uniform_work_group_size: 1
    .uses_dynamic_stack: false
    .vgpr_count:     96
    .vgpr_spill_count: 0
    .wavefront_size: 32
  - .args:
      - .address_space:  global
        .offset:         0
        .size:           8
        .value_kind:     global_buffer
      - .offset:         8
        .size:           4
        .value_kind:     by_value
      - .offset:         12
        .size:           4
        .value_kind:     by_value
      - .offset:         16
        .size:           8
        .value_kind:     by_value
      - .address_space:  global
        .offset:         24
        .size:           8
        .value_kind:     global_buffer
      - .offset:         32
        .size:           4
        .value_kind:     by_value
      - .offset:         40
        .size:           8
        .value_kind:     by_value
      - .address_space:  global
        .offset:         48
        .size:           8
        .value_kind:     global_buffer
      - .offset:         56
        .size:           1
        .value_kind:     by_value
      - .offset:         57
        .size:           1
        .value_kind:     by_value
    .group_segment_fixed_size: 1480
    .kernarg_segment_align: 8
    .kernarg_segment_size: 60
    .language:       OpenCL C
    .language_version:
      - 2
      - 0
    .max_flat_workgroup_size: 64
    .name:           _ZN9rocsolver6v33100L18getri_kernel_smallILi14E19rocblas_complex_numIdEPS3_EEvT1_iilPiilS6_bb
    .private_segment_fixed_size: 240
    .sgpr_count:     31
    .sgpr_spill_count: 0
    .symbol:         _ZN9rocsolver6v33100L18getri_kernel_smallILi14E19rocblas_complex_numIdEPS3_EEvT1_iilPiilS6_bb.kd
    .uniform_work_group_size: 1
    .uses_dynamic_stack: false
    .vgpr_count:     96
    .vgpr_spill_count: 0
    .wavefront_size: 32
  - .args:
      - .address_space:  global
        .offset:         0
        .size:           8
        .value_kind:     global_buffer
      - .offset:         8
        .size:           4
        .value_kind:     by_value
      - .offset:         12
        .size:           4
        .value_kind:     by_value
      - .offset:         16
        .size:           8
        .value_kind:     by_value
      - .address_space:  global
        .offset:         24
        .size:           8
        .value_kind:     global_buffer
      - .offset:         32
        .size:           4
        .value_kind:     by_value
      - .offset:         40
        .size:           8
        .value_kind:     by_value
      - .address_space:  global
        .offset:         48
        .size:           8
        .value_kind:     global_buffer
      - .offset:         56
        .size:           1
        .value_kind:     by_value
      - .offset:         57
        .size:           1
        .value_kind:     by_value
    .group_segment_fixed_size: 1512
    .kernarg_segment_align: 8
    .kernarg_segment_size: 60
    .language:       OpenCL C
    .language_version:
      - 2
      - 0
    .max_flat_workgroup_size: 64
    .name:           _ZN9rocsolver6v33100L18getri_kernel_smallILi15E19rocblas_complex_numIdEPS3_EEvT1_iilPiilS6_bb
    .private_segment_fixed_size: 256
    .sgpr_count:     32
    .sgpr_spill_count: 0
    .symbol:         _ZN9rocsolver6v33100L18getri_kernel_smallILi15E19rocblas_complex_numIdEPS3_EEvT1_iilPiilS6_bb.kd
    .uniform_work_group_size: 1
    .uses_dynamic_stack: false
    .vgpr_count:     108
    .vgpr_spill_count: 0
    .wavefront_size: 32
  - .args:
      - .address_space:  global
        .offset:         0
        .size:           8
        .value_kind:     global_buffer
      - .offset:         8
        .size:           4
        .value_kind:     by_value
      - .offset:         12
        .size:           4
        .value_kind:     by_value
      - .offset:         16
        .size:           8
        .value_kind:     by_value
      - .address_space:  global
        .offset:         24
        .size:           8
        .value_kind:     global_buffer
      - .offset:         32
        .size:           4
        .value_kind:     by_value
      - .offset:         40
        .size:           8
        .value_kind:     by_value
      - .address_space:  global
        .offset:         48
        .size:           8
        .value_kind:     global_buffer
      - .offset:         56
        .size:           1
        .value_kind:     by_value
      - .offset:         57
        .size:           1
        .value_kind:     by_value
    .group_segment_fixed_size: 1544
    .kernarg_segment_align: 8
    .kernarg_segment_size: 60
    .language:       OpenCL C
    .language_version:
      - 2
      - 0
    .max_flat_workgroup_size: 64
    .name:           _ZN9rocsolver6v33100L18getri_kernel_smallILi16E19rocblas_complex_numIdEPS3_EEvT1_iilPiilS6_bb
    .private_segment_fixed_size: 272
    .sgpr_count:     33
    .sgpr_spill_count: 0
    .symbol:         _ZN9rocsolver6v33100L18getri_kernel_smallILi16E19rocblas_complex_numIdEPS3_EEvT1_iilPiilS6_bb.kd
    .uniform_work_group_size: 1
    .uses_dynamic_stack: false
    .vgpr_count:     112
    .vgpr_spill_count: 0
    .wavefront_size: 32
  - .args:
      - .address_space:  global
        .offset:         0
        .size:           8
        .value_kind:     global_buffer
      - .offset:         8
        .size:           4
        .value_kind:     by_value
      - .offset:         12
        .size:           4
        .value_kind:     by_value
      - .offset:         16
        .size:           8
        .value_kind:     by_value
      - .address_space:  global
        .offset:         24
        .size:           8
        .value_kind:     global_buffer
      - .offset:         32
        .size:           4
        .value_kind:     by_value
      - .offset:         40
        .size:           8
        .value_kind:     by_value
      - .address_space:  global
        .offset:         48
        .size:           8
        .value_kind:     global_buffer
      - .offset:         56
        .size:           1
        .value_kind:     by_value
      - .offset:         57
        .size:           1
        .value_kind:     by_value
    .group_segment_fixed_size: 1576
    .kernarg_segment_align: 8
    .kernarg_segment_size: 60
    .language:       OpenCL C
    .language_version:
      - 2
      - 0
    .max_flat_workgroup_size: 64
    .name:           _ZN9rocsolver6v33100L18getri_kernel_smallILi17E19rocblas_complex_numIdEPS3_EEvT1_iilPiilS6_bb
    .private_segment_fixed_size: 288
    .sgpr_count:     34
    .sgpr_spill_count: 0
    .symbol:         _ZN9rocsolver6v33100L18getri_kernel_smallILi17E19rocblas_complex_numIdEPS3_EEvT1_iilPiilS6_bb.kd
    .uniform_work_group_size: 1
    .uses_dynamic_stack: false
    .vgpr_count:     114
    .vgpr_spill_count: 0
    .wavefront_size: 32
  - .args:
      - .address_space:  global
        .offset:         0
        .size:           8
        .value_kind:     global_buffer
      - .offset:         8
        .size:           4
        .value_kind:     by_value
      - .offset:         12
        .size:           4
        .value_kind:     by_value
      - .offset:         16
        .size:           8
        .value_kind:     by_value
      - .address_space:  global
        .offset:         24
        .size:           8
        .value_kind:     global_buffer
      - .offset:         32
        .size:           4
        .value_kind:     by_value
      - .offset:         40
        .size:           8
        .value_kind:     by_value
      - .address_space:  global
        .offset:         48
        .size:           8
        .value_kind:     global_buffer
      - .offset:         56
        .size:           1
        .value_kind:     by_value
      - .offset:         57
        .size:           1
        .value_kind:     by_value
    .group_segment_fixed_size: 1608
    .kernarg_segment_align: 8
    .kernarg_segment_size: 60
    .language:       OpenCL C
    .language_version:
      - 2
      - 0
    .max_flat_workgroup_size: 64
    .name:           _ZN9rocsolver6v33100L18getri_kernel_smallILi18E19rocblas_complex_numIdEPS3_EEvT1_iilPiilS6_bb
    .private_segment_fixed_size: 304
    .sgpr_count:     36
    .sgpr_spill_count: 0
    .symbol:         _ZN9rocsolver6v33100L18getri_kernel_smallILi18E19rocblas_complex_numIdEPS3_EEvT1_iilPiilS6_bb.kd
    .uniform_work_group_size: 1
    .uses_dynamic_stack: false
    .vgpr_count:     116
    .vgpr_spill_count: 0
    .wavefront_size: 32
  - .args:
      - .address_space:  global
        .offset:         0
        .size:           8
        .value_kind:     global_buffer
      - .offset:         8
        .size:           4
        .value_kind:     by_value
      - .offset:         12
        .size:           4
        .value_kind:     by_value
      - .offset:         16
        .size:           8
        .value_kind:     by_value
      - .address_space:  global
        .offset:         24
        .size:           8
        .value_kind:     global_buffer
      - .offset:         32
        .size:           4
        .value_kind:     by_value
      - .offset:         40
        .size:           8
        .value_kind:     by_value
      - .address_space:  global
        .offset:         48
        .size:           8
        .value_kind:     global_buffer
      - .offset:         56
        .size:           1
        .value_kind:     by_value
      - .offset:         57
        .size:           1
        .value_kind:     by_value
    .group_segment_fixed_size: 1640
    .kernarg_segment_align: 8
    .kernarg_segment_size: 60
    .language:       OpenCL C
    .language_version:
      - 2
      - 0
    .max_flat_workgroup_size: 64
    .name:           _ZN9rocsolver6v33100L18getri_kernel_smallILi19E19rocblas_complex_numIdEPS3_EEvT1_iilPiilS6_bb
    .private_segment_fixed_size: 320
    .sgpr_count:     38
    .sgpr_spill_count: 0
    .symbol:         _ZN9rocsolver6v33100L18getri_kernel_smallILi19E19rocblas_complex_numIdEPS3_EEvT1_iilPiilS6_bb.kd
    .uniform_work_group_size: 1
    .uses_dynamic_stack: false
    .vgpr_count:     120
    .vgpr_spill_count: 0
    .wavefront_size: 32
  - .args:
      - .address_space:  global
        .offset:         0
        .size:           8
        .value_kind:     global_buffer
      - .offset:         8
        .size:           4
        .value_kind:     by_value
      - .offset:         12
        .size:           4
        .value_kind:     by_value
      - .offset:         16
        .size:           8
        .value_kind:     by_value
      - .address_space:  global
        .offset:         24
        .size:           8
        .value_kind:     global_buffer
      - .offset:         32
        .size:           4
        .value_kind:     by_value
      - .offset:         40
        .size:           8
        .value_kind:     by_value
      - .address_space:  global
        .offset:         48
        .size:           8
        .value_kind:     global_buffer
      - .offset:         56
        .size:           1
        .value_kind:     by_value
      - .offset:         57
        .size:           1
        .value_kind:     by_value
    .group_segment_fixed_size: 1672
    .kernarg_segment_align: 8
    .kernarg_segment_size: 60
    .language:       OpenCL C
    .language_version:
      - 2
      - 0
    .max_flat_workgroup_size: 64
    .name:           _ZN9rocsolver6v33100L18getri_kernel_smallILi20E19rocblas_complex_numIdEPS3_EEvT1_iilPiilS6_bb
    .private_segment_fixed_size: 336
    .sgpr_count:     38
    .sgpr_spill_count: 0
    .symbol:         _ZN9rocsolver6v33100L18getri_kernel_smallILi20E19rocblas_complex_numIdEPS3_EEvT1_iilPiilS6_bb.kd
    .uniform_work_group_size: 1
    .uses_dynamic_stack: false
    .vgpr_count:     124
    .vgpr_spill_count: 0
    .wavefront_size: 32
  - .args:
      - .address_space:  global
        .offset:         0
        .size:           8
        .value_kind:     global_buffer
      - .offset:         8
        .size:           4
        .value_kind:     by_value
      - .offset:         12
        .size:           4
        .value_kind:     by_value
      - .offset:         16
        .size:           8
        .value_kind:     by_value
      - .address_space:  global
        .offset:         24
        .size:           8
        .value_kind:     global_buffer
      - .offset:         32
        .size:           4
        .value_kind:     by_value
      - .offset:         40
        .size:           8
        .value_kind:     by_value
      - .address_space:  global
        .offset:         48
        .size:           8
        .value_kind:     global_buffer
      - .offset:         56
        .size:           1
        .value_kind:     by_value
      - .offset:         57
        .size:           1
        .value_kind:     by_value
    .group_segment_fixed_size: 1704
    .kernarg_segment_align: 8
    .kernarg_segment_size: 60
    .language:       OpenCL C
    .language_version:
      - 2
      - 0
    .max_flat_workgroup_size: 64
    .name:           _ZN9rocsolver6v33100L18getri_kernel_smallILi21E19rocblas_complex_numIdEPS3_EEvT1_iilPiilS6_bb
    .private_segment_fixed_size: 352
    .sgpr_count:     39
    .sgpr_spill_count: 0
    .symbol:         _ZN9rocsolver6v33100L18getri_kernel_smallILi21E19rocblas_complex_numIdEPS3_EEvT1_iilPiilS6_bb.kd
    .uniform_work_group_size: 1
    .uses_dynamic_stack: false
    .vgpr_count:     124
    .vgpr_spill_count: 0
    .wavefront_size: 32
  - .args:
      - .address_space:  global
        .offset:         0
        .size:           8
        .value_kind:     global_buffer
      - .offset:         8
        .size:           4
        .value_kind:     by_value
      - .offset:         12
        .size:           4
        .value_kind:     by_value
      - .offset:         16
        .size:           8
        .value_kind:     by_value
      - .address_space:  global
        .offset:         24
        .size:           8
        .value_kind:     global_buffer
      - .offset:         32
        .size:           4
        .value_kind:     by_value
      - .offset:         40
        .size:           8
        .value_kind:     by_value
      - .address_space:  global
        .offset:         48
        .size:           8
        .value_kind:     global_buffer
      - .offset:         56
        .size:           1
        .value_kind:     by_value
      - .offset:         57
        .size:           1
        .value_kind:     by_value
    .group_segment_fixed_size: 1736
    .kernarg_segment_align: 8
    .kernarg_segment_size: 60
    .language:       OpenCL C
    .language_version:
      - 2
      - 0
    .max_flat_workgroup_size: 64
    .name:           _ZN9rocsolver6v33100L18getri_kernel_smallILi22E19rocblas_complex_numIdEPS3_EEvT1_iilPiilS6_bb
    .private_segment_fixed_size: 368
    .sgpr_count:     40
    .sgpr_spill_count: 0
    .symbol:         _ZN9rocsolver6v33100L18getri_kernel_smallILi22E19rocblas_complex_numIdEPS3_EEvT1_iilPiilS6_bb.kd
    .uniform_work_group_size: 1
    .uses_dynamic_stack: false
    .vgpr_count:     126
    .vgpr_spill_count: 0
    .wavefront_size: 32
  - .args:
      - .address_space:  global
        .offset:         0
        .size:           8
        .value_kind:     global_buffer
      - .offset:         8
        .size:           4
        .value_kind:     by_value
      - .offset:         12
        .size:           4
        .value_kind:     by_value
      - .offset:         16
        .size:           8
        .value_kind:     by_value
      - .address_space:  global
        .offset:         24
        .size:           8
        .value_kind:     global_buffer
      - .offset:         32
        .size:           4
        .value_kind:     by_value
      - .offset:         40
        .size:           8
        .value_kind:     by_value
      - .address_space:  global
        .offset:         48
        .size:           8
        .value_kind:     global_buffer
      - .offset:         56
        .size:           1
        .value_kind:     by_value
      - .offset:         57
        .size:           1
        .value_kind:     by_value
    .group_segment_fixed_size: 1768
    .kernarg_segment_align: 8
    .kernarg_segment_size: 60
    .language:       OpenCL C
    .language_version:
      - 2
      - 0
    .max_flat_workgroup_size: 64
    .name:           _ZN9rocsolver6v33100L18getri_kernel_smallILi23E19rocblas_complex_numIdEPS3_EEvT1_iilPiilS6_bb
    .private_segment_fixed_size: 384
    .sgpr_count:     41
    .sgpr_spill_count: 0
    .symbol:         _ZN9rocsolver6v33100L18getri_kernel_smallILi23E19rocblas_complex_numIdEPS3_EEvT1_iilPiilS6_bb.kd
    .uniform_work_group_size: 1
    .uses_dynamic_stack: false
    .vgpr_count:     130
    .vgpr_spill_count: 0
    .wavefront_size: 32
  - .args:
      - .address_space:  global
        .offset:         0
        .size:           8
        .value_kind:     global_buffer
      - .offset:         8
        .size:           4
        .value_kind:     by_value
      - .offset:         12
        .size:           4
        .value_kind:     by_value
      - .offset:         16
        .size:           8
        .value_kind:     by_value
      - .address_space:  global
        .offset:         24
        .size:           8
        .value_kind:     global_buffer
      - .offset:         32
        .size:           4
        .value_kind:     by_value
      - .offset:         40
        .size:           8
        .value_kind:     by_value
      - .address_space:  global
        .offset:         48
        .size:           8
        .value_kind:     global_buffer
      - .offset:         56
        .size:           1
        .value_kind:     by_value
      - .offset:         57
        .size:           1
        .value_kind:     by_value
    .group_segment_fixed_size: 1800
    .kernarg_segment_align: 8
    .kernarg_segment_size: 60
    .language:       OpenCL C
    .language_version:
      - 2
      - 0
    .max_flat_workgroup_size: 64
    .name:           _ZN9rocsolver6v33100L18getri_kernel_smallILi24E19rocblas_complex_numIdEPS3_EEvT1_iilPiilS6_bb
    .private_segment_fixed_size: 400
    .sgpr_count:     45
    .sgpr_spill_count: 0
    .symbol:         _ZN9rocsolver6v33100L18getri_kernel_smallILi24E19rocblas_complex_numIdEPS3_EEvT1_iilPiilS6_bb.kd
    .uniform_work_group_size: 1
    .uses_dynamic_stack: false
    .vgpr_count:     130
    .vgpr_spill_count: 0
    .wavefront_size: 32
  - .args:
      - .address_space:  global
        .offset:         0
        .size:           8
        .value_kind:     global_buffer
      - .offset:         8
        .size:           4
        .value_kind:     by_value
      - .offset:         12
        .size:           4
        .value_kind:     by_value
      - .offset:         16
        .size:           8
        .value_kind:     by_value
      - .address_space:  global
        .offset:         24
        .size:           8
        .value_kind:     global_buffer
      - .offset:         32
        .size:           4
        .value_kind:     by_value
      - .offset:         40
        .size:           8
        .value_kind:     by_value
      - .address_space:  global
        .offset:         48
        .size:           8
        .value_kind:     global_buffer
      - .offset:         56
        .size:           1
        .value_kind:     by_value
      - .offset:         57
        .size:           1
        .value_kind:     by_value
    .group_segment_fixed_size: 1832
    .kernarg_segment_align: 8
    .kernarg_segment_size: 60
    .language:       OpenCL C
    .language_version:
      - 2
      - 0
    .max_flat_workgroup_size: 64
    .name:           _ZN9rocsolver6v33100L18getri_kernel_smallILi25E19rocblas_complex_numIdEPS3_EEvT1_iilPiilS6_bb
    .private_segment_fixed_size: 416
    .sgpr_count:     49
    .sgpr_spill_count: 0
    .symbol:         _ZN9rocsolver6v33100L18getri_kernel_smallILi25E19rocblas_complex_numIdEPS3_EEvT1_iilPiilS6_bb.kd
    .uniform_work_group_size: 1
    .uses_dynamic_stack: false
    .vgpr_count:     132
    .vgpr_spill_count: 0
    .wavefront_size: 32
  - .args:
      - .address_space:  global
        .offset:         0
        .size:           8
        .value_kind:     global_buffer
      - .offset:         8
        .size:           4
        .value_kind:     by_value
      - .offset:         12
        .size:           4
        .value_kind:     by_value
      - .offset:         16
        .size:           8
        .value_kind:     by_value
      - .address_space:  global
        .offset:         24
        .size:           8
        .value_kind:     global_buffer
      - .offset:         32
        .size:           4
        .value_kind:     by_value
      - .offset:         40
        .size:           8
        .value_kind:     by_value
      - .address_space:  global
        .offset:         48
        .size:           8
        .value_kind:     global_buffer
      - .offset:         56
        .size:           1
        .value_kind:     by_value
      - .offset:         57
        .size:           1
        .value_kind:     by_value
    .group_segment_fixed_size: 1864
    .kernarg_segment_align: 8
    .kernarg_segment_size: 60
    .language:       OpenCL C
    .language_version:
      - 2
      - 0
    .max_flat_workgroup_size: 64
    .name:           _ZN9rocsolver6v33100L18getri_kernel_smallILi26E19rocblas_complex_numIdEPS3_EEvT1_iilPiilS6_bb
    .private_segment_fixed_size: 432
    .sgpr_count:     50
    .sgpr_spill_count: 0
    .symbol:         _ZN9rocsolver6v33100L18getri_kernel_smallILi26E19rocblas_complex_numIdEPS3_EEvT1_iilPiilS6_bb.kd
    .uniform_work_group_size: 1
    .uses_dynamic_stack: false
    .vgpr_count:     134
    .vgpr_spill_count: 0
    .wavefront_size: 32
  - .args:
      - .address_space:  global
        .offset:         0
        .size:           8
        .value_kind:     global_buffer
      - .offset:         8
        .size:           4
        .value_kind:     by_value
      - .offset:         12
        .size:           4
        .value_kind:     by_value
      - .offset:         16
        .size:           8
        .value_kind:     by_value
      - .address_space:  global
        .offset:         24
        .size:           8
        .value_kind:     global_buffer
      - .offset:         32
        .size:           4
        .value_kind:     by_value
      - .offset:         40
        .size:           8
        .value_kind:     by_value
      - .address_space:  global
        .offset:         48
        .size:           8
        .value_kind:     global_buffer
      - .offset:         56
        .size:           1
        .value_kind:     by_value
      - .offset:         57
        .size:           1
        .value_kind:     by_value
    .group_segment_fixed_size: 1896
    .kernarg_segment_align: 8
    .kernarg_segment_size: 60
    .language:       OpenCL C
    .language_version:
      - 2
      - 0
    .max_flat_workgroup_size: 64
    .name:           _ZN9rocsolver6v33100L18getri_kernel_smallILi27E19rocblas_complex_numIdEPS3_EEvT1_iilPiilS6_bb
    .private_segment_fixed_size: 448
    .sgpr_count:     53
    .sgpr_spill_count: 0
    .symbol:         _ZN9rocsolver6v33100L18getri_kernel_smallILi27E19rocblas_complex_numIdEPS3_EEvT1_iilPiilS6_bb.kd
    .uniform_work_group_size: 1
    .uses_dynamic_stack: false
    .vgpr_count:     136
    .vgpr_spill_count: 0
    .wavefront_size: 32
  - .args:
      - .address_space:  global
        .offset:         0
        .size:           8
        .value_kind:     global_buffer
      - .offset:         8
        .size:           4
        .value_kind:     by_value
      - .offset:         12
        .size:           4
        .value_kind:     by_value
      - .offset:         16
        .size:           8
        .value_kind:     by_value
      - .address_space:  global
        .offset:         24
        .size:           8
        .value_kind:     global_buffer
      - .offset:         32
        .size:           4
        .value_kind:     by_value
      - .offset:         40
        .size:           8
        .value_kind:     by_value
      - .address_space:  global
        .offset:         48
        .size:           8
        .value_kind:     global_buffer
      - .offset:         56
        .size:           1
        .value_kind:     by_value
      - .offset:         57
        .size:           1
        .value_kind:     by_value
    .group_segment_fixed_size: 1928
    .kernarg_segment_align: 8
    .kernarg_segment_size: 60
    .language:       OpenCL C
    .language_version:
      - 2
      - 0
    .max_flat_workgroup_size: 64
    .name:           _ZN9rocsolver6v33100L18getri_kernel_smallILi28E19rocblas_complex_numIdEPS3_EEvT1_iilPiilS6_bb
    .private_segment_fixed_size: 464
    .sgpr_count:     53
    .sgpr_spill_count: 0
    .symbol:         _ZN9rocsolver6v33100L18getri_kernel_smallILi28E19rocblas_complex_numIdEPS3_EEvT1_iilPiilS6_bb.kd
    .uniform_work_group_size: 1
    .uses_dynamic_stack: false
    .vgpr_count:     144
    .vgpr_spill_count: 0
    .wavefront_size: 32
  - .args:
      - .address_space:  global
        .offset:         0
        .size:           8
        .value_kind:     global_buffer
      - .offset:         8
        .size:           4
        .value_kind:     by_value
      - .offset:         12
        .size:           4
        .value_kind:     by_value
      - .offset:         16
        .size:           8
        .value_kind:     by_value
      - .address_space:  global
        .offset:         24
        .size:           8
        .value_kind:     global_buffer
      - .offset:         32
        .size:           4
        .value_kind:     by_value
      - .offset:         40
        .size:           8
        .value_kind:     by_value
      - .address_space:  global
        .offset:         48
        .size:           8
        .value_kind:     global_buffer
      - .offset:         56
        .size:           1
        .value_kind:     by_value
      - .offset:         57
        .size:           1
        .value_kind:     by_value
    .group_segment_fixed_size: 1960
    .kernarg_segment_align: 8
    .kernarg_segment_size: 60
    .language:       OpenCL C
    .language_version:
      - 2
      - 0
    .max_flat_workgroup_size: 64
    .name:           _ZN9rocsolver6v33100L18getri_kernel_smallILi29E19rocblas_complex_numIdEPS3_EEvT1_iilPiilS6_bb
    .private_segment_fixed_size: 480
    .sgpr_count:     55
    .sgpr_spill_count: 0
    .symbol:         _ZN9rocsolver6v33100L18getri_kernel_smallILi29E19rocblas_complex_numIdEPS3_EEvT1_iilPiilS6_bb.kd
    .uniform_work_group_size: 1
    .uses_dynamic_stack: false
    .vgpr_count:     144
    .vgpr_spill_count: 0
    .wavefront_size: 32
  - .args:
      - .address_space:  global
        .offset:         0
        .size:           8
        .value_kind:     global_buffer
      - .offset:         8
        .size:           4
        .value_kind:     by_value
      - .offset:         12
        .size:           4
        .value_kind:     by_value
      - .offset:         16
        .size:           8
        .value_kind:     by_value
      - .address_space:  global
        .offset:         24
        .size:           8
        .value_kind:     global_buffer
      - .offset:         32
        .size:           4
        .value_kind:     by_value
      - .offset:         40
        .size:           8
        .value_kind:     by_value
      - .address_space:  global
        .offset:         48
        .size:           8
        .value_kind:     global_buffer
      - .offset:         56
        .size:           1
        .value_kind:     by_value
      - .offset:         57
        .size:           1
        .value_kind:     by_value
    .group_segment_fixed_size: 1992
    .kernarg_segment_align: 8
    .kernarg_segment_size: 60
    .language:       OpenCL C
    .language_version:
      - 2
      - 0
    .max_flat_workgroup_size: 64
    .name:           _ZN9rocsolver6v33100L18getri_kernel_smallILi30E19rocblas_complex_numIdEPS3_EEvT1_iilPiilS6_bb
    .private_segment_fixed_size: 496
    .sgpr_count:     55
    .sgpr_spill_count: 0
    .symbol:         _ZN9rocsolver6v33100L18getri_kernel_smallILi30E19rocblas_complex_numIdEPS3_EEvT1_iilPiilS6_bb.kd
    .uniform_work_group_size: 1
    .uses_dynamic_stack: false
    .vgpr_count:     144
    .vgpr_spill_count: 0
    .wavefront_size: 32
  - .args:
      - .address_space:  global
        .offset:         0
        .size:           8
        .value_kind:     global_buffer
      - .offset:         8
        .size:           4
        .value_kind:     by_value
      - .offset:         12
        .size:           4
        .value_kind:     by_value
      - .offset:         16
        .size:           8
        .value_kind:     by_value
      - .address_space:  global
        .offset:         24
        .size:           8
        .value_kind:     global_buffer
      - .offset:         32
        .size:           4
        .value_kind:     by_value
      - .offset:         40
        .size:           8
        .value_kind:     by_value
      - .address_space:  global
        .offset:         48
        .size:           8
        .value_kind:     global_buffer
      - .offset:         56
        .size:           1
        .value_kind:     by_value
      - .offset:         57
        .size:           1
        .value_kind:     by_value
    .group_segment_fixed_size: 2024
    .kernarg_segment_align: 8
    .kernarg_segment_size: 60
    .language:       OpenCL C
    .language_version:
      - 2
      - 0
    .max_flat_workgroup_size: 64
    .name:           _ZN9rocsolver6v33100L18getri_kernel_smallILi31E19rocblas_complex_numIdEPS3_EEvT1_iilPiilS6_bb
    .private_segment_fixed_size: 512
    .sgpr_count:     59
    .sgpr_spill_count: 0
    .symbol:         _ZN9rocsolver6v33100L18getri_kernel_smallILi31E19rocblas_complex_numIdEPS3_EEvT1_iilPiilS6_bb.kd
    .uniform_work_group_size: 1
    .uses_dynamic_stack: false
    .vgpr_count:     146
    .vgpr_spill_count: 0
    .wavefront_size: 32
  - .args:
      - .address_space:  global
        .offset:         0
        .size:           8
        .value_kind:     global_buffer
      - .offset:         8
        .size:           4
        .value_kind:     by_value
      - .offset:         12
        .size:           4
        .value_kind:     by_value
      - .offset:         16
        .size:           8
        .value_kind:     by_value
      - .address_space:  global
        .offset:         24
        .size:           8
        .value_kind:     global_buffer
      - .offset:         32
        .size:           4
        .value_kind:     by_value
      - .offset:         40
        .size:           8
        .value_kind:     by_value
      - .address_space:  global
        .offset:         48
        .size:           8
        .value_kind:     global_buffer
      - .offset:         56
        .size:           1
        .value_kind:     by_value
      - .offset:         57
        .size:           1
        .value_kind:     by_value
    .group_segment_fixed_size: 2056
    .kernarg_segment_align: 8
    .kernarg_segment_size: 60
    .language:       OpenCL C
    .language_version:
      - 2
      - 0
    .max_flat_workgroup_size: 64
    .name:           _ZN9rocsolver6v33100L18getri_kernel_smallILi32E19rocblas_complex_numIdEPS3_EEvT1_iilPiilS6_bb
    .private_segment_fixed_size: 528
    .sgpr_count:     58
    .sgpr_spill_count: 0
    .symbol:         _ZN9rocsolver6v33100L18getri_kernel_smallILi32E19rocblas_complex_numIdEPS3_EEvT1_iilPiilS6_bb.kd
    .uniform_work_group_size: 1
    .uses_dynamic_stack: false
    .vgpr_count:     148
    .vgpr_spill_count: 0
    .wavefront_size: 32
  - .args:
      - .address_space:  global
        .offset:         0
        .size:           8
        .value_kind:     global_buffer
      - .offset:         8
        .size:           4
        .value_kind:     by_value
      - .offset:         12
        .size:           4
        .value_kind:     by_value
      - .offset:         16
        .size:           8
        .value_kind:     by_value
      - .address_space:  global
        .offset:         24
        .size:           8
        .value_kind:     global_buffer
      - .offset:         32
        .size:           4
        .value_kind:     by_value
      - .offset:         40
        .size:           8
        .value_kind:     by_value
      - .address_space:  global
        .offset:         48
        .size:           8
        .value_kind:     global_buffer
      - .offset:         56
        .size:           1
        .value_kind:     by_value
      - .offset:         57
        .size:           1
        .value_kind:     by_value
    .group_segment_fixed_size: 2088
    .kernarg_segment_align: 8
    .kernarg_segment_size: 60
    .language:       OpenCL C
    .language_version:
      - 2
      - 0
    .max_flat_workgroup_size: 64
    .name:           _ZN9rocsolver6v33100L18getri_kernel_smallILi33E19rocblas_complex_numIdEPS3_EEvT1_iilPiilS6_bb
    .private_segment_fixed_size: 544
    .sgpr_count:     61
    .sgpr_spill_count: 0
    .symbol:         _ZN9rocsolver6v33100L18getri_kernel_smallILi33E19rocblas_complex_numIdEPS3_EEvT1_iilPiilS6_bb.kd
    .uniform_work_group_size: 1
    .uses_dynamic_stack: false
    .vgpr_count:     148
    .vgpr_spill_count: 0
    .wavefront_size: 32
  - .args:
      - .address_space:  global
        .offset:         0
        .size:           8
        .value_kind:     global_buffer
      - .offset:         8
        .size:           4
        .value_kind:     by_value
      - .offset:         12
        .size:           4
        .value_kind:     by_value
      - .offset:         16
        .size:           8
        .value_kind:     by_value
      - .address_space:  global
        .offset:         24
        .size:           8
        .value_kind:     global_buffer
      - .offset:         32
        .size:           4
        .value_kind:     by_value
      - .offset:         40
        .size:           8
        .value_kind:     by_value
      - .address_space:  global
        .offset:         48
        .size:           8
        .value_kind:     global_buffer
      - .offset:         56
        .size:           1
        .value_kind:     by_value
      - .offset:         57
        .size:           1
        .value_kind:     by_value
    .group_segment_fixed_size: 2120
    .kernarg_segment_align: 8
    .kernarg_segment_size: 60
    .language:       OpenCL C
    .language_version:
      - 2
      - 0
    .max_flat_workgroup_size: 64
    .name:           _ZN9rocsolver6v33100L18getri_kernel_smallILi34E19rocblas_complex_numIdEPS3_EEvT1_iilPiilS6_bb
    .private_segment_fixed_size: 560
    .sgpr_count:     62
    .sgpr_spill_count: 0
    .symbol:         _ZN9rocsolver6v33100L18getri_kernel_smallILi34E19rocblas_complex_numIdEPS3_EEvT1_iilPiilS6_bb.kd
    .uniform_work_group_size: 1
    .uses_dynamic_stack: false
    .vgpr_count:     150
    .vgpr_spill_count: 0
    .wavefront_size: 32
  - .args:
      - .address_space:  global
        .offset:         0
        .size:           8
        .value_kind:     global_buffer
      - .offset:         8
        .size:           4
        .value_kind:     by_value
      - .offset:         12
        .size:           4
        .value_kind:     by_value
      - .offset:         16
        .size:           8
        .value_kind:     by_value
      - .address_space:  global
        .offset:         24
        .size:           8
        .value_kind:     global_buffer
      - .offset:         32
        .size:           4
        .value_kind:     by_value
      - .offset:         40
        .size:           8
        .value_kind:     by_value
      - .address_space:  global
        .offset:         48
        .size:           8
        .value_kind:     global_buffer
      - .offset:         56
        .size:           1
        .value_kind:     by_value
      - .offset:         57
        .size:           1
        .value_kind:     by_value
    .group_segment_fixed_size: 2152
    .kernarg_segment_align: 8
    .kernarg_segment_size: 60
    .language:       OpenCL C
    .language_version:
      - 2
      - 0
    .max_flat_workgroup_size: 64
    .name:           _ZN9rocsolver6v33100L18getri_kernel_smallILi35E19rocblas_complex_numIdEPS3_EEvT1_iilPiilS6_bb
    .private_segment_fixed_size: 576
    .sgpr_count:     65
    .sgpr_spill_count: 0
    .symbol:         _ZN9rocsolver6v33100L18getri_kernel_smallILi35E19rocblas_complex_numIdEPS3_EEvT1_iilPiilS6_bb.kd
    .uniform_work_group_size: 1
    .uses_dynamic_stack: false
    .vgpr_count:     152
    .vgpr_spill_count: 0
    .wavefront_size: 32
  - .args:
      - .address_space:  global
        .offset:         0
        .size:           8
        .value_kind:     global_buffer
      - .offset:         8
        .size:           4
        .value_kind:     by_value
      - .offset:         12
        .size:           4
        .value_kind:     by_value
      - .offset:         16
        .size:           8
        .value_kind:     by_value
      - .address_space:  global
        .offset:         24
        .size:           8
        .value_kind:     global_buffer
      - .offset:         32
        .size:           4
        .value_kind:     by_value
      - .offset:         40
        .size:           8
        .value_kind:     by_value
      - .address_space:  global
        .offset:         48
        .size:           8
        .value_kind:     global_buffer
      - .offset:         56
        .size:           1
        .value_kind:     by_value
      - .offset:         57
        .size:           1
        .value_kind:     by_value
    .group_segment_fixed_size: 2184
    .kernarg_segment_align: 8
    .kernarg_segment_size: 60
    .language:       OpenCL C
    .language_version:
      - 2
      - 0
    .max_flat_workgroup_size: 64
    .name:           _ZN9rocsolver6v33100L18getri_kernel_smallILi36E19rocblas_complex_numIdEPS3_EEvT1_iilPiilS6_bb
    .private_segment_fixed_size: 592
    .sgpr_count:     65
    .sgpr_spill_count: 0
    .symbol:         _ZN9rocsolver6v33100L18getri_kernel_smallILi36E19rocblas_complex_numIdEPS3_EEvT1_iilPiilS6_bb.kd
    .uniform_work_group_size: 1
    .uses_dynamic_stack: false
    .vgpr_count:     164
    .vgpr_spill_count: 0
    .wavefront_size: 32
  - .args:
      - .address_space:  global
        .offset:         0
        .size:           8
        .value_kind:     global_buffer
      - .offset:         8
        .size:           4
        .value_kind:     by_value
      - .offset:         12
        .size:           4
        .value_kind:     by_value
      - .offset:         16
        .size:           8
        .value_kind:     by_value
      - .address_space:  global
        .offset:         24
        .size:           8
        .value_kind:     global_buffer
      - .offset:         32
        .size:           4
        .value_kind:     by_value
      - .offset:         40
        .size:           8
        .value_kind:     by_value
      - .address_space:  global
        .offset:         48
        .size:           8
        .value_kind:     global_buffer
      - .offset:         56
        .size:           1
        .value_kind:     by_value
      - .offset:         57
        .size:           1
        .value_kind:     by_value
    .group_segment_fixed_size: 2216
    .kernarg_segment_align: 8
    .kernarg_segment_size: 60
    .language:       OpenCL C
    .language_version:
      - 2
      - 0
    .max_flat_workgroup_size: 64
    .name:           _ZN9rocsolver6v33100L18getri_kernel_smallILi37E19rocblas_complex_numIdEPS3_EEvT1_iilPiilS6_bb
    .private_segment_fixed_size: 608
    .sgpr_count:     67
    .sgpr_spill_count: 0
    .symbol:         _ZN9rocsolver6v33100L18getri_kernel_smallILi37E19rocblas_complex_numIdEPS3_EEvT1_iilPiilS6_bb.kd
    .uniform_work_group_size: 1
    .uses_dynamic_stack: false
    .vgpr_count:     162
    .vgpr_spill_count: 0
    .wavefront_size: 32
  - .args:
      - .address_space:  global
        .offset:         0
        .size:           8
        .value_kind:     global_buffer
      - .offset:         8
        .size:           4
        .value_kind:     by_value
      - .offset:         12
        .size:           4
        .value_kind:     by_value
      - .offset:         16
        .size:           8
        .value_kind:     by_value
      - .address_space:  global
        .offset:         24
        .size:           8
        .value_kind:     global_buffer
      - .offset:         32
        .size:           4
        .value_kind:     by_value
      - .offset:         40
        .size:           8
        .value_kind:     by_value
      - .address_space:  global
        .offset:         48
        .size:           8
        .value_kind:     global_buffer
      - .offset:         56
        .size:           1
        .value_kind:     by_value
      - .offset:         57
        .size:           1
        .value_kind:     by_value
    .group_segment_fixed_size: 2248
    .kernarg_segment_align: 8
    .kernarg_segment_size: 60
    .language:       OpenCL C
    .language_version:
      - 2
      - 0
    .max_flat_workgroup_size: 64
    .name:           _ZN9rocsolver6v33100L18getri_kernel_smallILi38E19rocblas_complex_numIdEPS3_EEvT1_iilPiilS6_bb
    .private_segment_fixed_size: 624
    .sgpr_count:     68
    .sgpr_spill_count: 0
    .symbol:         _ZN9rocsolver6v33100L18getri_kernel_smallILi38E19rocblas_complex_numIdEPS3_EEvT1_iilPiilS6_bb.kd
    .uniform_work_group_size: 1
    .uses_dynamic_stack: false
    .vgpr_count:     164
    .vgpr_spill_count: 0
    .wavefront_size: 32
  - .args:
      - .address_space:  global
        .offset:         0
        .size:           8
        .value_kind:     global_buffer
      - .offset:         8
        .size:           4
        .value_kind:     by_value
      - .offset:         12
        .size:           4
        .value_kind:     by_value
      - .offset:         16
        .size:           8
        .value_kind:     by_value
      - .address_space:  global
        .offset:         24
        .size:           8
        .value_kind:     global_buffer
      - .offset:         32
        .size:           4
        .value_kind:     by_value
      - .offset:         40
        .size:           8
        .value_kind:     by_value
      - .address_space:  global
        .offset:         48
        .size:           8
        .value_kind:     global_buffer
      - .offset:         56
        .size:           1
        .value_kind:     by_value
      - .offset:         57
        .size:           1
        .value_kind:     by_value
    .group_segment_fixed_size: 2280
    .kernarg_segment_align: 8
    .kernarg_segment_size: 60
    .language:       OpenCL C
    .language_version:
      - 2
      - 0
    .max_flat_workgroup_size: 64
    .name:           _ZN9rocsolver6v33100L18getri_kernel_smallILi39E19rocblas_complex_numIdEPS3_EEvT1_iilPiilS6_bb
    .private_segment_fixed_size: 640
    .sgpr_count:     71
    .sgpr_spill_count: 0
    .symbol:         _ZN9rocsolver6v33100L18getri_kernel_smallILi39E19rocblas_complex_numIdEPS3_EEvT1_iilPiilS6_bb.kd
    .uniform_work_group_size: 1
    .uses_dynamic_stack: false
    .vgpr_count:     166
    .vgpr_spill_count: 0
    .wavefront_size: 32
  - .args:
      - .address_space:  global
        .offset:         0
        .size:           8
        .value_kind:     global_buffer
      - .offset:         8
        .size:           4
        .value_kind:     by_value
      - .offset:         12
        .size:           4
        .value_kind:     by_value
      - .offset:         16
        .size:           8
        .value_kind:     by_value
      - .address_space:  global
        .offset:         24
        .size:           8
        .value_kind:     global_buffer
      - .offset:         32
        .size:           4
        .value_kind:     by_value
      - .offset:         40
        .size:           8
        .value_kind:     by_value
      - .address_space:  global
        .offset:         48
        .size:           8
        .value_kind:     global_buffer
      - .offset:         56
        .size:           1
        .value_kind:     by_value
      - .offset:         57
        .size:           1
        .value_kind:     by_value
    .group_segment_fixed_size: 2312
    .kernarg_segment_align: 8
    .kernarg_segment_size: 60
    .language:       OpenCL C
    .language_version:
      - 2
      - 0
    .max_flat_workgroup_size: 64
    .name:           _ZN9rocsolver6v33100L18getri_kernel_smallILi40E19rocblas_complex_numIdEPS3_EEvT1_iilPiilS6_bb
    .private_segment_fixed_size: 656
    .sgpr_count:     68
    .sgpr_spill_count: 0
    .symbol:         _ZN9rocsolver6v33100L18getri_kernel_smallILi40E19rocblas_complex_numIdEPS3_EEvT1_iilPiilS6_bb.kd
    .uniform_work_group_size: 1
    .uses_dynamic_stack: false
    .vgpr_count:     196
    .vgpr_spill_count: 0
    .wavefront_size: 32
  - .args:
      - .address_space:  global
        .offset:         0
        .size:           8
        .value_kind:     global_buffer
      - .offset:         8
        .size:           4
        .value_kind:     by_value
      - .offset:         12
        .size:           4
        .value_kind:     by_value
      - .offset:         16
        .size:           8
        .value_kind:     by_value
      - .address_space:  global
        .offset:         24
        .size:           8
        .value_kind:     global_buffer
      - .offset:         32
        .size:           4
        .value_kind:     by_value
      - .offset:         40
        .size:           8
        .value_kind:     by_value
      - .address_space:  global
        .offset:         48
        .size:           8
        .value_kind:     global_buffer
      - .offset:         56
        .size:           1
        .value_kind:     by_value
      - .offset:         57
        .size:           1
        .value_kind:     by_value
    .group_segment_fixed_size: 2344
    .kernarg_segment_align: 8
    .kernarg_segment_size: 60
    .language:       OpenCL C
    .language_version:
      - 2
      - 0
    .max_flat_workgroup_size: 64
    .name:           _ZN9rocsolver6v33100L18getri_kernel_smallILi41E19rocblas_complex_numIdEPS3_EEvT1_iilPiilS6_bb
    .private_segment_fixed_size: 672
    .sgpr_count:     73
    .sgpr_spill_count: 0
    .symbol:         _ZN9rocsolver6v33100L18getri_kernel_smallILi41E19rocblas_complex_numIdEPS3_EEvT1_iilPiilS6_bb.kd
    .uniform_work_group_size: 1
    .uses_dynamic_stack: false
    .vgpr_count:     196
    .vgpr_spill_count: 0
    .wavefront_size: 32
  - .args:
      - .address_space:  global
        .offset:         0
        .size:           8
        .value_kind:     global_buffer
      - .offset:         8
        .size:           4
        .value_kind:     by_value
      - .offset:         12
        .size:           4
        .value_kind:     by_value
      - .offset:         16
        .size:           8
        .value_kind:     by_value
      - .address_space:  global
        .offset:         24
        .size:           8
        .value_kind:     global_buffer
      - .offset:         32
        .size:           4
        .value_kind:     by_value
      - .offset:         40
        .size:           8
        .value_kind:     by_value
      - .address_space:  global
        .offset:         48
        .size:           8
        .value_kind:     global_buffer
      - .offset:         56
        .size:           1
        .value_kind:     by_value
      - .offset:         57
        .size:           1
        .value_kind:     by_value
    .group_segment_fixed_size: 2376
    .kernarg_segment_align: 8
    .kernarg_segment_size: 60
    .language:       OpenCL C
    .language_version:
      - 2
      - 0
    .max_flat_workgroup_size: 64
    .name:           _ZN9rocsolver6v33100L18getri_kernel_smallILi42E19rocblas_complex_numIdEPS3_EEvT1_iilPiilS6_bb
    .private_segment_fixed_size: 688
    .sgpr_count:     73
    .sgpr_spill_count: 0
    .symbol:         _ZN9rocsolver6v33100L18getri_kernel_smallILi42E19rocblas_complex_numIdEPS3_EEvT1_iilPiilS6_bb.kd
    .uniform_work_group_size: 1
    .uses_dynamic_stack: false
    .vgpr_count:     196
    .vgpr_spill_count: 0
    .wavefront_size: 32
  - .args:
      - .address_space:  global
        .offset:         0
        .size:           8
        .value_kind:     global_buffer
      - .offset:         8
        .size:           4
        .value_kind:     by_value
      - .offset:         12
        .size:           4
        .value_kind:     by_value
      - .offset:         16
        .size:           8
        .value_kind:     by_value
      - .address_space:  global
        .offset:         24
        .size:           8
        .value_kind:     global_buffer
      - .offset:         32
        .size:           4
        .value_kind:     by_value
      - .offset:         40
        .size:           8
        .value_kind:     by_value
      - .address_space:  global
        .offset:         48
        .size:           8
        .value_kind:     global_buffer
      - .offset:         56
        .size:           1
        .value_kind:     by_value
      - .offset:         57
        .size:           1
        .value_kind:     by_value
    .group_segment_fixed_size: 2408
    .kernarg_segment_align: 8
    .kernarg_segment_size: 60
    .language:       OpenCL C
    .language_version:
      - 2
      - 0
    .max_flat_workgroup_size: 64
    .name:           _ZN9rocsolver6v33100L18getri_kernel_smallILi43E19rocblas_complex_numIdEPS3_EEvT1_iilPiilS6_bb
    .private_segment_fixed_size: 704
    .sgpr_count:     77
    .sgpr_spill_count: 0
    .symbol:         _ZN9rocsolver6v33100L18getri_kernel_smallILi43E19rocblas_complex_numIdEPS3_EEvT1_iilPiilS6_bb.kd
    .uniform_work_group_size: 1
    .uses_dynamic_stack: false
    .vgpr_count:     196
    .vgpr_spill_count: 0
    .wavefront_size: 32
  - .args:
      - .address_space:  global
        .offset:         0
        .size:           8
        .value_kind:     global_buffer
      - .offset:         8
        .size:           4
        .value_kind:     by_value
      - .offset:         12
        .size:           4
        .value_kind:     by_value
      - .offset:         16
        .size:           8
        .value_kind:     by_value
      - .address_space:  global
        .offset:         24
        .size:           8
        .value_kind:     global_buffer
      - .offset:         32
        .size:           4
        .value_kind:     by_value
      - .offset:         40
        .size:           8
        .value_kind:     by_value
      - .address_space:  global
        .offset:         48
        .size:           8
        .value_kind:     global_buffer
      - .offset:         56
        .size:           1
        .value_kind:     by_value
      - .offset:         57
        .size:           1
        .value_kind:     by_value
    .group_segment_fixed_size: 2440
    .kernarg_segment_align: 8
    .kernarg_segment_size: 60
    .language:       OpenCL C
    .language_version:
      - 2
      - 0
    .max_flat_workgroup_size: 64
    .name:           _ZN9rocsolver6v33100L18getri_kernel_smallILi44E19rocblas_complex_numIdEPS3_EEvT1_iilPiilS6_bb
    .private_segment_fixed_size: 720
    .sgpr_count:     78
    .sgpr_spill_count: 0
    .symbol:         _ZN9rocsolver6v33100L18getri_kernel_smallILi44E19rocblas_complex_numIdEPS3_EEvT1_iilPiilS6_bb.kd
    .uniform_work_group_size: 1
    .uses_dynamic_stack: false
    .vgpr_count:     196
    .vgpr_spill_count: 0
    .wavefront_size: 32
  - .args:
      - .address_space:  global
        .offset:         0
        .size:           8
        .value_kind:     global_buffer
      - .offset:         8
        .size:           4
        .value_kind:     by_value
      - .offset:         12
        .size:           4
        .value_kind:     by_value
      - .offset:         16
        .size:           8
        .value_kind:     by_value
      - .address_space:  global
        .offset:         24
        .size:           8
        .value_kind:     global_buffer
      - .offset:         32
        .size:           4
        .value_kind:     by_value
      - .offset:         40
        .size:           8
        .value_kind:     by_value
      - .address_space:  global
        .offset:         48
        .size:           8
        .value_kind:     global_buffer
      - .offset:         56
        .size:           1
        .value_kind:     by_value
      - .offset:         57
        .size:           1
        .value_kind:     by_value
    .group_segment_fixed_size: 2472
    .kernarg_segment_align: 8
    .kernarg_segment_size: 60
    .language:       OpenCL C
    .language_version:
      - 2
      - 0
    .max_flat_workgroup_size: 64
    .name:           _ZN9rocsolver6v33100L18getri_kernel_smallILi45E19rocblas_complex_numIdEPS3_EEvT1_iilPiilS6_bb
    .private_segment_fixed_size: 736
    .sgpr_count:     79
    .sgpr_spill_count: 0
    .symbol:         _ZN9rocsolver6v33100L18getri_kernel_smallILi45E19rocblas_complex_numIdEPS3_EEvT1_iilPiilS6_bb.kd
    .uniform_work_group_size: 1
    .uses_dynamic_stack: false
    .vgpr_count:     196
    .vgpr_spill_count: 0
    .wavefront_size: 32
  - .args:
      - .address_space:  global
        .offset:         0
        .size:           8
        .value_kind:     global_buffer
      - .offset:         8
        .size:           4
        .value_kind:     by_value
      - .offset:         12
        .size:           4
        .value_kind:     by_value
      - .offset:         16
        .size:           8
        .value_kind:     by_value
      - .address_space:  global
        .offset:         24
        .size:           8
        .value_kind:     global_buffer
      - .offset:         32
        .size:           4
        .value_kind:     by_value
      - .offset:         40
        .size:           8
        .value_kind:     by_value
      - .address_space:  global
        .offset:         48
        .size:           8
        .value_kind:     global_buffer
      - .offset:         56
        .size:           1
        .value_kind:     by_value
      - .offset:         57
        .size:           1
        .value_kind:     by_value
    .group_segment_fixed_size: 2504
    .kernarg_segment_align: 8
    .kernarg_segment_size: 60
    .language:       OpenCL C
    .language_version:
      - 2
      - 0
    .max_flat_workgroup_size: 64
    .name:           _ZN9rocsolver6v33100L18getri_kernel_smallILi46E19rocblas_complex_numIdEPS3_EEvT1_iilPiilS6_bb
    .private_segment_fixed_size: 752
    .sgpr_count:     80
    .sgpr_spill_count: 0
    .symbol:         _ZN9rocsolver6v33100L18getri_kernel_smallILi46E19rocblas_complex_numIdEPS3_EEvT1_iilPiilS6_bb.kd
    .uniform_work_group_size: 1
    .uses_dynamic_stack: false
    .vgpr_count:     196
    .vgpr_spill_count: 0
    .wavefront_size: 32
  - .args:
      - .address_space:  global
        .offset:         0
        .size:           8
        .value_kind:     global_buffer
      - .offset:         8
        .size:           4
        .value_kind:     by_value
      - .offset:         12
        .size:           4
        .value_kind:     by_value
      - .offset:         16
        .size:           8
        .value_kind:     by_value
      - .address_space:  global
        .offset:         24
        .size:           8
        .value_kind:     global_buffer
      - .offset:         32
        .size:           4
        .value_kind:     by_value
      - .offset:         40
        .size:           8
        .value_kind:     by_value
      - .address_space:  global
        .offset:         48
        .size:           8
        .value_kind:     global_buffer
      - .offset:         56
        .size:           1
        .value_kind:     by_value
      - .offset:         57
        .size:           1
        .value_kind:     by_value
    .group_segment_fixed_size: 2536
    .kernarg_segment_align: 8
    .kernarg_segment_size: 60
    .language:       OpenCL C
    .language_version:
      - 2
      - 0
    .max_flat_workgroup_size: 64
    .name:           _ZN9rocsolver6v33100L18getri_kernel_smallILi47E19rocblas_complex_numIdEPS3_EEvT1_iilPiilS6_bb
    .private_segment_fixed_size: 768
    .sgpr_count:     83
    .sgpr_spill_count: 0
    .symbol:         _ZN9rocsolver6v33100L18getri_kernel_smallILi47E19rocblas_complex_numIdEPS3_EEvT1_iilPiilS6_bb.kd
    .uniform_work_group_size: 1
    .uses_dynamic_stack: false
    .vgpr_count:     198
    .vgpr_spill_count: 0
    .wavefront_size: 32
  - .args:
      - .address_space:  global
        .offset:         0
        .size:           8
        .value_kind:     global_buffer
      - .offset:         8
        .size:           4
        .value_kind:     by_value
      - .offset:         12
        .size:           4
        .value_kind:     by_value
      - .offset:         16
        .size:           8
        .value_kind:     by_value
      - .address_space:  global
        .offset:         24
        .size:           8
        .value_kind:     global_buffer
      - .offset:         32
        .size:           4
        .value_kind:     by_value
      - .offset:         40
        .size:           8
        .value_kind:     by_value
      - .address_space:  global
        .offset:         48
        .size:           8
        .value_kind:     global_buffer
      - .offset:         56
        .size:           1
        .value_kind:     by_value
      - .offset:         57
        .size:           1
        .value_kind:     by_value
    .group_segment_fixed_size: 2568
    .kernarg_segment_align: 8
    .kernarg_segment_size: 60
    .language:       OpenCL C
    .language_version:
      - 2
      - 0
    .max_flat_workgroup_size: 64
    .name:           _ZN9rocsolver6v33100L18getri_kernel_smallILi48E19rocblas_complex_numIdEPS3_EEvT1_iilPiilS6_bb
    .private_segment_fixed_size: 784
    .sgpr_count:     84
    .sgpr_spill_count: 0
    .symbol:         _ZN9rocsolver6v33100L18getri_kernel_smallILi48E19rocblas_complex_numIdEPS3_EEvT1_iilPiilS6_bb.kd
    .uniform_work_group_size: 1
    .uses_dynamic_stack: false
    .vgpr_count:     200
    .vgpr_spill_count: 0
    .wavefront_size: 32
  - .args:
      - .address_space:  global
        .offset:         0
        .size:           8
        .value_kind:     global_buffer
      - .offset:         8
        .size:           4
        .value_kind:     by_value
      - .offset:         12
        .size:           4
        .value_kind:     by_value
      - .offset:         16
        .size:           8
        .value_kind:     by_value
      - .address_space:  global
        .offset:         24
        .size:           8
        .value_kind:     global_buffer
      - .offset:         32
        .size:           4
        .value_kind:     by_value
      - .offset:         40
        .size:           8
        .value_kind:     by_value
      - .address_space:  global
        .offset:         48
        .size:           8
        .value_kind:     global_buffer
      - .offset:         56
        .size:           1
        .value_kind:     by_value
      - .offset:         57
        .size:           1
        .value_kind:     by_value
    .group_segment_fixed_size: 2600
    .kernarg_segment_align: 8
    .kernarg_segment_size: 60
    .language:       OpenCL C
    .language_version:
      - 2
      - 0
    .max_flat_workgroup_size: 64
    .name:           _ZN9rocsolver6v33100L18getri_kernel_smallILi49E19rocblas_complex_numIdEPS3_EEvT1_iilPiilS6_bb
    .private_segment_fixed_size: 800
    .sgpr_count:     85
    .sgpr_spill_count: 0
    .symbol:         _ZN9rocsolver6v33100L18getri_kernel_smallILi49E19rocblas_complex_numIdEPS3_EEvT1_iilPiilS6_bb.kd
    .uniform_work_group_size: 1
    .uses_dynamic_stack: false
    .vgpr_count:     202
    .vgpr_spill_count: 0
    .wavefront_size: 32
  - .args:
      - .address_space:  global
        .offset:         0
        .size:           8
        .value_kind:     global_buffer
      - .offset:         8
        .size:           4
        .value_kind:     by_value
      - .offset:         12
        .size:           4
        .value_kind:     by_value
      - .offset:         16
        .size:           8
        .value_kind:     by_value
      - .address_space:  global
        .offset:         24
        .size:           8
        .value_kind:     global_buffer
      - .offset:         32
        .size:           4
        .value_kind:     by_value
      - .offset:         40
        .size:           8
        .value_kind:     by_value
      - .address_space:  global
        .offset:         48
        .size:           8
        .value_kind:     global_buffer
      - .offset:         56
        .size:           1
        .value_kind:     by_value
      - .offset:         57
        .size:           1
        .value_kind:     by_value
    .group_segment_fixed_size: 2632
    .kernarg_segment_align: 8
    .kernarg_segment_size: 60
    .language:       OpenCL C
    .language_version:
      - 2
      - 0
    .max_flat_workgroup_size: 64
    .name:           _ZN9rocsolver6v33100L18getri_kernel_smallILi50E19rocblas_complex_numIdEPS3_EEvT1_iilPiilS6_bb
    .private_segment_fixed_size: 816
    .sgpr_count:     86
    .sgpr_spill_count: 0
    .symbol:         _ZN9rocsolver6v33100L18getri_kernel_smallILi50E19rocblas_complex_numIdEPS3_EEvT1_iilPiilS6_bb.kd
    .uniform_work_group_size: 1
    .uses_dynamic_stack: false
    .vgpr_count:     202
    .vgpr_spill_count: 0
    .wavefront_size: 32
  - .args:
      - .address_space:  global
        .offset:         0
        .size:           8
        .value_kind:     global_buffer
      - .offset:         8
        .size:           4
        .value_kind:     by_value
      - .offset:         12
        .size:           4
        .value_kind:     by_value
      - .offset:         16
        .size:           8
        .value_kind:     by_value
      - .address_space:  global
        .offset:         24
        .size:           8
        .value_kind:     global_buffer
      - .offset:         32
        .size:           4
        .value_kind:     by_value
      - .offset:         40
        .size:           8
        .value_kind:     by_value
      - .address_space:  global
        .offset:         48
        .size:           8
        .value_kind:     global_buffer
      - .offset:         56
        .size:           1
        .value_kind:     by_value
      - .offset:         57
        .size:           1
        .value_kind:     by_value
    .group_segment_fixed_size: 2664
    .kernarg_segment_align: 8
    .kernarg_segment_size: 60
    .language:       OpenCL C
    .language_version:
      - 2
      - 0
    .max_flat_workgroup_size: 64
    .name:           _ZN9rocsolver6v33100L18getri_kernel_smallILi51E19rocblas_complex_numIdEPS3_EEvT1_iilPiilS6_bb
    .private_segment_fixed_size: 832
    .sgpr_count:     88
    .sgpr_spill_count: 0
    .symbol:         _ZN9rocsolver6v33100L18getri_kernel_smallILi51E19rocblas_complex_numIdEPS3_EEvT1_iilPiilS6_bb.kd
    .uniform_work_group_size: 1
    .uses_dynamic_stack: false
    .vgpr_count:     204
    .vgpr_spill_count: 0
    .wavefront_size: 32
  - .args:
      - .address_space:  global
        .offset:         0
        .size:           8
        .value_kind:     global_buffer
      - .offset:         8
        .size:           4
        .value_kind:     by_value
      - .offset:         12
        .size:           4
        .value_kind:     by_value
      - .offset:         16
        .size:           8
        .value_kind:     by_value
      - .address_space:  global
        .offset:         24
        .size:           8
        .value_kind:     global_buffer
      - .offset:         32
        .size:           4
        .value_kind:     by_value
      - .offset:         40
        .size:           8
        .value_kind:     by_value
      - .address_space:  global
        .offset:         48
        .size:           8
        .value_kind:     global_buffer
      - .offset:         56
        .size:           1
        .value_kind:     by_value
      - .offset:         57
        .size:           1
        .value_kind:     by_value
    .group_segment_fixed_size: 2696
    .kernarg_segment_align: 8
    .kernarg_segment_size: 60
    .language:       OpenCL C
    .language_version:
      - 2
      - 0
    .max_flat_workgroup_size: 64
    .name:           _ZN9rocsolver6v33100L18getri_kernel_smallILi52E19rocblas_complex_numIdEPS3_EEvT1_iilPiilS6_bb
    .private_segment_fixed_size: 848
    .sgpr_count:     89
    .sgpr_spill_count: 0
    .symbol:         _ZN9rocsolver6v33100L18getri_kernel_smallILi52E19rocblas_complex_numIdEPS3_EEvT1_iilPiilS6_bb.kd
    .uniform_work_group_size: 1
    .uses_dynamic_stack: false
    .vgpr_count:     262
    .vgpr_spill_count: 0
    .wavefront_size: 32
  - .args:
      - .address_space:  global
        .offset:         0
        .size:           8
        .value_kind:     global_buffer
      - .offset:         8
        .size:           4
        .value_kind:     by_value
      - .offset:         12
        .size:           4
        .value_kind:     by_value
      - .offset:         16
        .size:           8
        .value_kind:     by_value
      - .address_space:  global
        .offset:         24
        .size:           8
        .value_kind:     global_buffer
      - .offset:         32
        .size:           4
        .value_kind:     by_value
      - .offset:         40
        .size:           8
        .value_kind:     by_value
      - .address_space:  global
        .offset:         48
        .size:           8
        .value_kind:     global_buffer
      - .offset:         56
        .size:           1
        .value_kind:     by_value
      - .offset:         57
        .size:           1
        .value_kind:     by_value
    .group_segment_fixed_size: 2728
    .kernarg_segment_align: 8
    .kernarg_segment_size: 60
    .language:       OpenCL C
    .language_version:
      - 2
      - 0
    .max_flat_workgroup_size: 64
    .name:           _ZN9rocsolver6v33100L18getri_kernel_smallILi53E19rocblas_complex_numIdEPS3_EEvT1_iilPiilS6_bb
    .private_segment_fixed_size: 864
    .sgpr_count:     91
    .sgpr_spill_count: 0
    .symbol:         _ZN9rocsolver6v33100L18getri_kernel_smallILi53E19rocblas_complex_numIdEPS3_EEvT1_iilPiilS6_bb.kd
    .uniform_work_group_size: 1
    .uses_dynamic_stack: false
    .vgpr_count:     260
    .vgpr_spill_count: 0
    .wavefront_size: 32
  - .args:
      - .address_space:  global
        .offset:         0
        .size:           8
        .value_kind:     global_buffer
      - .offset:         8
        .size:           4
        .value_kind:     by_value
      - .offset:         12
        .size:           4
        .value_kind:     by_value
      - .offset:         16
        .size:           8
        .value_kind:     by_value
      - .address_space:  global
        .offset:         24
        .size:           8
        .value_kind:     global_buffer
      - .offset:         32
        .size:           4
        .value_kind:     by_value
      - .offset:         40
        .size:           8
        .value_kind:     by_value
      - .address_space:  global
        .offset:         48
        .size:           8
        .value_kind:     global_buffer
      - .offset:         56
        .size:           1
        .value_kind:     by_value
      - .offset:         57
        .size:           1
        .value_kind:     by_value
    .group_segment_fixed_size: 2760
    .kernarg_segment_align: 8
    .kernarg_segment_size: 60
    .language:       OpenCL C
    .language_version:
      - 2
      - 0
    .max_flat_workgroup_size: 64
    .name:           _ZN9rocsolver6v33100L18getri_kernel_smallILi54E19rocblas_complex_numIdEPS3_EEvT1_iilPiilS6_bb
    .private_segment_fixed_size: 880
    .sgpr_count:     91
    .sgpr_spill_count: 0
    .symbol:         _ZN9rocsolver6v33100L18getri_kernel_smallILi54E19rocblas_complex_numIdEPS3_EEvT1_iilPiilS6_bb.kd
    .uniform_work_group_size: 1
    .uses_dynamic_stack: false
    .vgpr_count:     262
    .vgpr_spill_count: 0
    .wavefront_size: 32
  - .args:
      - .address_space:  global
        .offset:         0
        .size:           8
        .value_kind:     global_buffer
      - .offset:         8
        .size:           4
        .value_kind:     by_value
      - .offset:         12
        .size:           4
        .value_kind:     by_value
      - .offset:         16
        .size:           8
        .value_kind:     by_value
      - .address_space:  global
        .offset:         24
        .size:           8
        .value_kind:     global_buffer
      - .offset:         32
        .size:           4
        .value_kind:     by_value
      - .offset:         40
        .size:           8
        .value_kind:     by_value
      - .address_space:  global
        .offset:         48
        .size:           8
        .value_kind:     global_buffer
      - .offset:         56
        .size:           1
        .value_kind:     by_value
      - .offset:         57
        .size:           1
        .value_kind:     by_value
    .group_segment_fixed_size: 2792
    .kernarg_segment_align: 8
    .kernarg_segment_size: 60
    .language:       OpenCL C
    .language_version:
      - 2
      - 0
    .max_flat_workgroup_size: 64
    .name:           _ZN9rocsolver6v33100L18getri_kernel_smallILi55E19rocblas_complex_numIdEPS3_EEvT1_iilPiilS6_bb
    .private_segment_fixed_size: 896
    .sgpr_count:     92
    .sgpr_spill_count: 0
    .symbol:         _ZN9rocsolver6v33100L18getri_kernel_smallILi55E19rocblas_complex_numIdEPS3_EEvT1_iilPiilS6_bb.kd
    .uniform_work_group_size: 1
    .uses_dynamic_stack: false
    .vgpr_count:     262
    .vgpr_spill_count: 0
    .wavefront_size: 32
  - .args:
      - .address_space:  global
        .offset:         0
        .size:           8
        .value_kind:     global_buffer
      - .offset:         8
        .size:           4
        .value_kind:     by_value
      - .offset:         12
        .size:           4
        .value_kind:     by_value
      - .offset:         16
        .size:           8
        .value_kind:     by_value
      - .address_space:  global
        .offset:         24
        .size:           8
        .value_kind:     global_buffer
      - .offset:         32
        .size:           4
        .value_kind:     by_value
      - .offset:         40
        .size:           8
        .value_kind:     by_value
      - .address_space:  global
        .offset:         48
        .size:           8
        .value_kind:     global_buffer
      - .offset:         56
        .size:           1
        .value_kind:     by_value
      - .offset:         57
        .size:           1
        .value_kind:     by_value
    .group_segment_fixed_size: 2824
    .kernarg_segment_align: 8
    .kernarg_segment_size: 60
    .language:       OpenCL C
    .language_version:
      - 2
      - 0
    .max_flat_workgroup_size: 64
    .name:           _ZN9rocsolver6v33100L18getri_kernel_smallILi56E19rocblas_complex_numIdEPS3_EEvT1_iilPiilS6_bb
    .private_segment_fixed_size: 912
    .sgpr_count:     94
    .sgpr_spill_count: 0
    .symbol:         _ZN9rocsolver6v33100L18getri_kernel_smallILi56E19rocblas_complex_numIdEPS3_EEvT1_iilPiilS6_bb.kd
    .uniform_work_group_size: 1
    .uses_dynamic_stack: false
    .vgpr_count:     264
    .vgpr_spill_count: 0
    .wavefront_size: 32
  - .args:
      - .address_space:  global
        .offset:         0
        .size:           8
        .value_kind:     global_buffer
      - .offset:         8
        .size:           4
        .value_kind:     by_value
      - .offset:         12
        .size:           4
        .value_kind:     by_value
      - .offset:         16
        .size:           8
        .value_kind:     by_value
      - .address_space:  global
        .offset:         24
        .size:           8
        .value_kind:     global_buffer
      - .offset:         32
        .size:           4
        .value_kind:     by_value
      - .offset:         40
        .size:           8
        .value_kind:     by_value
      - .address_space:  global
        .offset:         48
        .size:           8
        .value_kind:     global_buffer
      - .offset:         56
        .size:           1
        .value_kind:     by_value
      - .offset:         57
        .size:           1
        .value_kind:     by_value
    .group_segment_fixed_size: 2856
    .kernarg_segment_align: 8
    .kernarg_segment_size: 60
    .language:       OpenCL C
    .language_version:
      - 2
      - 0
    .max_flat_workgroup_size: 64
    .name:           _ZN9rocsolver6v33100L18getri_kernel_smallILi57E19rocblas_complex_numIdEPS3_EEvT1_iilPiilS6_bb
    .private_segment_fixed_size: 928
    .sgpr_count:     97
    .sgpr_spill_count: 0
    .symbol:         _ZN9rocsolver6v33100L18getri_kernel_smallILi57E19rocblas_complex_numIdEPS3_EEvT1_iilPiilS6_bb.kd
    .uniform_work_group_size: 1
    .uses_dynamic_stack: false
    .vgpr_count:     262
    .vgpr_spill_count: 0
    .wavefront_size: 32
  - .args:
      - .address_space:  global
        .offset:         0
        .size:           8
        .value_kind:     global_buffer
      - .offset:         8
        .size:           4
        .value_kind:     by_value
      - .offset:         12
        .size:           4
        .value_kind:     by_value
      - .offset:         16
        .size:           8
        .value_kind:     by_value
      - .address_space:  global
        .offset:         24
        .size:           8
        .value_kind:     global_buffer
      - .offset:         32
        .size:           4
        .value_kind:     by_value
      - .offset:         40
        .size:           8
        .value_kind:     by_value
      - .address_space:  global
        .offset:         48
        .size:           8
        .value_kind:     global_buffer
      - .offset:         56
        .size:           1
        .value_kind:     by_value
      - .offset:         57
        .size:           1
        .value_kind:     by_value
    .group_segment_fixed_size: 2888
    .kernarg_segment_align: 8
    .kernarg_segment_size: 60
    .language:       OpenCL C
    .language_version:
      - 2
      - 0
    .max_flat_workgroup_size: 64
    .name:           _ZN9rocsolver6v33100L18getri_kernel_smallILi58E19rocblas_complex_numIdEPS3_EEvT1_iilPiilS6_bb
    .private_segment_fixed_size: 944
    .sgpr_count:     98
    .sgpr_spill_count: 0
    .symbol:         _ZN9rocsolver6v33100L18getri_kernel_smallILi58E19rocblas_complex_numIdEPS3_EEvT1_iilPiilS6_bb.kd
    .uniform_work_group_size: 1
    .uses_dynamic_stack: false
    .vgpr_count:     264
    .vgpr_spill_count: 0
    .wavefront_size: 32
  - .args:
      - .address_space:  global
        .offset:         0
        .size:           8
        .value_kind:     global_buffer
      - .offset:         8
        .size:           4
        .value_kind:     by_value
      - .offset:         12
        .size:           4
        .value_kind:     by_value
      - .offset:         16
        .size:           8
        .value_kind:     by_value
      - .address_space:  global
        .offset:         24
        .size:           8
        .value_kind:     global_buffer
      - .offset:         32
        .size:           4
        .value_kind:     by_value
      - .offset:         40
        .size:           8
        .value_kind:     by_value
      - .address_space:  global
        .offset:         48
        .size:           8
        .value_kind:     global_buffer
      - .offset:         56
        .size:           1
        .value_kind:     by_value
      - .offset:         57
        .size:           1
        .value_kind:     by_value
    .group_segment_fixed_size: 2920
    .kernarg_segment_align: 8
    .kernarg_segment_size: 60
    .language:       OpenCL C
    .language_version:
      - 2
      - 0
    .max_flat_workgroup_size: 64
    .name:           _ZN9rocsolver6v33100L18getri_kernel_smallILi59E19rocblas_complex_numIdEPS3_EEvT1_iilPiilS6_bb
    .private_segment_fixed_size: 960
    .sgpr_count:     101
    .sgpr_spill_count: 0
    .symbol:         _ZN9rocsolver6v33100L18getri_kernel_smallILi59E19rocblas_complex_numIdEPS3_EEvT1_iilPiilS6_bb.kd
    .uniform_work_group_size: 1
    .uses_dynamic_stack: false
    .vgpr_count:     266
    .vgpr_spill_count: 0
    .wavefront_size: 32
  - .args:
      - .address_space:  global
        .offset:         0
        .size:           8
        .value_kind:     global_buffer
      - .offset:         8
        .size:           4
        .value_kind:     by_value
      - .offset:         12
        .size:           4
        .value_kind:     by_value
      - .offset:         16
        .size:           8
        .value_kind:     by_value
      - .address_space:  global
        .offset:         24
        .size:           8
        .value_kind:     global_buffer
      - .offset:         32
        .size:           4
        .value_kind:     by_value
      - .offset:         40
        .size:           8
        .value_kind:     by_value
      - .address_space:  global
        .offset:         48
        .size:           8
        .value_kind:     global_buffer
      - .offset:         56
        .size:           1
        .value_kind:     by_value
      - .offset:         57
        .size:           1
        .value_kind:     by_value
    .group_segment_fixed_size: 2952
    .kernarg_segment_align: 8
    .kernarg_segment_size: 60
    .language:       OpenCL C
    .language_version:
      - 2
      - 0
    .max_flat_workgroup_size: 64
    .name:           _ZN9rocsolver6v33100L18getri_kernel_smallILi60E19rocblas_complex_numIdEPS3_EEvT1_iilPiilS6_bb
    .private_segment_fixed_size: 976
    .sgpr_count:     102
    .sgpr_spill_count: 0
    .symbol:         _ZN9rocsolver6v33100L18getri_kernel_smallILi60E19rocblas_complex_numIdEPS3_EEvT1_iilPiilS6_bb.kd
    .uniform_work_group_size: 1
    .uses_dynamic_stack: false
    .vgpr_count:     268
    .vgpr_spill_count: 0
    .wavefront_size: 32
  - .args:
      - .address_space:  global
        .offset:         0
        .size:           8
        .value_kind:     global_buffer
      - .offset:         8
        .size:           4
        .value_kind:     by_value
      - .offset:         12
        .size:           4
        .value_kind:     by_value
      - .offset:         16
        .size:           8
        .value_kind:     by_value
      - .address_space:  global
        .offset:         24
        .size:           8
        .value_kind:     global_buffer
      - .offset:         32
        .size:           4
        .value_kind:     by_value
      - .offset:         40
        .size:           8
        .value_kind:     by_value
      - .address_space:  global
        .offset:         48
        .size:           8
        .value_kind:     global_buffer
      - .offset:         56
        .size:           1
        .value_kind:     by_value
      - .offset:         57
        .size:           1
        .value_kind:     by_value
    .group_segment_fixed_size: 2984
    .kernarg_segment_align: 8
    .kernarg_segment_size: 60
    .language:       OpenCL C
    .language_version:
      - 2
      - 0
    .max_flat_workgroup_size: 64
    .name:           _ZN9rocsolver6v33100L18getri_kernel_smallILi61E19rocblas_complex_numIdEPS3_EEvT1_iilPiilS6_bb
    .private_segment_fixed_size: 992
    .sgpr_count:     104
    .sgpr_spill_count: 0
    .symbol:         _ZN9rocsolver6v33100L18getri_kernel_smallILi61E19rocblas_complex_numIdEPS3_EEvT1_iilPiilS6_bb.kd
    .uniform_work_group_size: 1
    .uses_dynamic_stack: false
    .vgpr_count:     266
    .vgpr_spill_count: 0
    .wavefront_size: 32
  - .args:
      - .address_space:  global
        .offset:         0
        .size:           8
        .value_kind:     global_buffer
      - .offset:         8
        .size:           4
        .value_kind:     by_value
      - .offset:         12
        .size:           4
        .value_kind:     by_value
      - .offset:         16
        .size:           8
        .value_kind:     by_value
      - .address_space:  global
        .offset:         24
        .size:           8
        .value_kind:     global_buffer
      - .offset:         32
        .size:           4
        .value_kind:     by_value
      - .offset:         40
        .size:           8
        .value_kind:     by_value
      - .address_space:  global
        .offset:         48
        .size:           8
        .value_kind:     global_buffer
      - .offset:         56
        .size:           1
        .value_kind:     by_value
      - .offset:         57
        .size:           1
        .value_kind:     by_value
    .group_segment_fixed_size: 3016
    .kernarg_segment_align: 8
    .kernarg_segment_size: 60
    .language:       OpenCL C
    .language_version:
      - 2
      - 0
    .max_flat_workgroup_size: 64
    .name:           _ZN9rocsolver6v33100L18getri_kernel_smallILi62E19rocblas_complex_numIdEPS3_EEvT1_iilPiilS6_bb
    .private_segment_fixed_size: 1008
    .sgpr_count:     107
    .sgpr_spill_count: 0
    .symbol:         _ZN9rocsolver6v33100L18getri_kernel_smallILi62E19rocblas_complex_numIdEPS3_EEvT1_iilPiilS6_bb.kd
    .uniform_work_group_size: 1
    .uses_dynamic_stack: false
    .vgpr_count:     272
    .vgpr_spill_count: 0
    .wavefront_size: 32
  - .args:
      - .address_space:  global
        .offset:         0
        .size:           8
        .value_kind:     global_buffer
      - .offset:         8
        .size:           4
        .value_kind:     by_value
      - .offset:         12
        .size:           4
        .value_kind:     by_value
      - .offset:         16
        .size:           8
        .value_kind:     by_value
      - .address_space:  global
        .offset:         24
        .size:           8
        .value_kind:     global_buffer
      - .offset:         32
        .size:           4
        .value_kind:     by_value
      - .offset:         40
        .size:           8
        .value_kind:     by_value
      - .address_space:  global
        .offset:         48
        .size:           8
        .value_kind:     global_buffer
      - .offset:         56
        .size:           1
        .value_kind:     by_value
      - .offset:         57
        .size:           1
        .value_kind:     by_value
    .group_segment_fixed_size: 3048
    .kernarg_segment_align: 8
    .kernarg_segment_size: 60
    .language:       OpenCL C
    .language_version:
      - 2
      - 0
    .max_flat_workgroup_size: 64
    .name:           _ZN9rocsolver6v33100L18getri_kernel_smallILi63E19rocblas_complex_numIdEPS3_EEvT1_iilPiilS6_bb
    .private_segment_fixed_size: 1024
    .sgpr_count:     107
    .sgpr_spill_count: 0
    .symbol:         _ZN9rocsolver6v33100L18getri_kernel_smallILi63E19rocblas_complex_numIdEPS3_EEvT1_iilPiilS6_bb.kd
    .uniform_work_group_size: 1
    .uses_dynamic_stack: false
    .vgpr_count:     266
    .vgpr_spill_count: 0
    .wavefront_size: 32
  - .args:
      - .address_space:  global
        .offset:         0
        .size:           8
        .value_kind:     global_buffer
      - .offset:         8
        .size:           4
        .value_kind:     by_value
      - .offset:         12
        .size:           4
        .value_kind:     by_value
      - .offset:         16
        .size:           8
        .value_kind:     by_value
      - .address_space:  global
        .offset:         24
        .size:           8
        .value_kind:     global_buffer
      - .offset:         32
        .size:           4
        .value_kind:     by_value
      - .offset:         40
        .size:           8
        .value_kind:     by_value
      - .address_space:  global
        .offset:         48
        .size:           8
        .value_kind:     global_buffer
      - .offset:         56
        .size:           1
        .value_kind:     by_value
      - .offset:         57
        .size:           1
        .value_kind:     by_value
    .group_segment_fixed_size: 3080
    .kernarg_segment_align: 8
    .kernarg_segment_size: 60
    .language:       OpenCL C
    .language_version:
      - 2
      - 0
    .max_flat_workgroup_size: 64
    .name:           _ZN9rocsolver6v33100L18getri_kernel_smallILi64E19rocblas_complex_numIdEPS3_EEvT1_iilPiilS6_bb
    .private_segment_fixed_size: 1040
    .sgpr_count:     107
    .sgpr_spill_count: 1
    .symbol:         _ZN9rocsolver6v33100L18getri_kernel_smallILi64E19rocblas_complex_numIdEPS3_EEvT1_iilPiilS6_bb.kd
    .uniform_work_group_size: 1
    .uses_dynamic_stack: false
    .vgpr_count:     270
    .vgpr_spill_count: 0
    .wavefront_size: 32
  - .args:
      - .address_space:  global
        .offset:         0
        .size:           8
        .value_kind:     global_buffer
      - .offset:         8
        .size:           4
        .value_kind:     by_value
      - .offset:         12
        .size:           4
        .value_kind:     by_value
      - .offset:         16
        .size:           8
        .value_kind:     by_value
      - .address_space:  global
        .offset:         24
        .size:           8
        .value_kind:     global_buffer
      - .offset:         32
        .size:           4
        .value_kind:     by_value
      - .offset:         40
        .size:           8
        .value_kind:     by_value
      - .address_space:  global
        .offset:         48
        .size:           8
        .value_kind:     global_buffer
      - .offset:         56
        .size:           1
        .value_kind:     by_value
      - .offset:         57
        .size:           1
        .value_kind:     by_value
    .group_segment_fixed_size: 4
    .kernarg_segment_align: 8
    .kernarg_segment_size: 60
    .language:       OpenCL C
    .language_version:
      - 2
      - 0
    .max_flat_workgroup_size: 64
    .name:           _ZN9rocsolver6v33100L18getri_kernel_smallILi1E19rocblas_complex_numIdEPKPS3_EEvT1_iilPiilS8_bb
    .private_segment_fixed_size: 0
    .sgpr_count:     15
    .sgpr_spill_count: 0
    .symbol:         _ZN9rocsolver6v33100L18getri_kernel_smallILi1E19rocblas_complex_numIdEPKPS3_EEvT1_iilPiilS8_bb.kd
    .uniform_work_group_size: 1
    .uses_dynamic_stack: false
    .vgpr_count:     12
    .vgpr_spill_count: 0
    .wavefront_size: 32
  - .args:
      - .address_space:  global
        .offset:         0
        .size:           8
        .value_kind:     global_buffer
      - .offset:         8
        .size:           4
        .value_kind:     by_value
      - .offset:         12
        .size:           4
        .value_kind:     by_value
      - .offset:         16
        .size:           8
        .value_kind:     by_value
      - .address_space:  global
        .offset:         24
        .size:           8
        .value_kind:     global_buffer
      - .offset:         32
        .size:           4
        .value_kind:     by_value
      - .offset:         40
        .size:           8
        .value_kind:     by_value
      - .address_space:  global
        .offset:         48
        .size:           8
        .value_kind:     global_buffer
      - .offset:         56
        .size:           1
        .value_kind:     by_value
      - .offset:         57
        .size:           1
        .value_kind:     by_value
    .group_segment_fixed_size: 1096
    .kernarg_segment_align: 8
    .kernarg_segment_size: 60
    .language:       OpenCL C
    .language_version:
      - 2
      - 0
    .max_flat_workgroup_size: 64
    .name:           _ZN9rocsolver6v33100L18getri_kernel_smallILi2E19rocblas_complex_numIdEPKPS3_EEvT1_iilPiilS8_bb
    .private_segment_fixed_size: 48
    .sgpr_count:     21
    .sgpr_spill_count: 0
    .symbol:         _ZN9rocsolver6v33100L18getri_kernel_smallILi2E19rocblas_complex_numIdEPKPS3_EEvT1_iilPiilS8_bb.kd
    .uniform_work_group_size: 1
    .uses_dynamic_stack: false
    .vgpr_count:     22
    .vgpr_spill_count: 0
    .wavefront_size: 32
  - .args:
      - .address_space:  global
        .offset:         0
        .size:           8
        .value_kind:     global_buffer
      - .offset:         8
        .size:           4
        .value_kind:     by_value
      - .offset:         12
        .size:           4
        .value_kind:     by_value
      - .offset:         16
        .size:           8
        .value_kind:     by_value
      - .address_space:  global
        .offset:         24
        .size:           8
        .value_kind:     global_buffer
      - .offset:         32
        .size:           4
        .value_kind:     by_value
      - .offset:         40
        .size:           8
        .value_kind:     by_value
      - .address_space:  global
        .offset:         48
        .size:           8
        .value_kind:     global_buffer
      - .offset:         56
        .size:           1
        .value_kind:     by_value
      - .offset:         57
        .size:           1
        .value_kind:     by_value
    .group_segment_fixed_size: 1128
    .kernarg_segment_align: 8
    .kernarg_segment_size: 60
    .language:       OpenCL C
    .language_version:
      - 2
      - 0
    .max_flat_workgroup_size: 64
    .name:           _ZN9rocsolver6v33100L18getri_kernel_smallILi3E19rocblas_complex_numIdEPKPS3_EEvT1_iilPiilS8_bb
    .private_segment_fixed_size: 64
    .sgpr_count:     21
    .sgpr_spill_count: 0
    .symbol:         _ZN9rocsolver6v33100L18getri_kernel_smallILi3E19rocblas_complex_numIdEPKPS3_EEvT1_iilPiilS8_bb.kd
    .uniform_work_group_size: 1
    .uses_dynamic_stack: false
    .vgpr_count:     32
    .vgpr_spill_count: 0
    .wavefront_size: 32
  - .args:
      - .address_space:  global
        .offset:         0
        .size:           8
        .value_kind:     global_buffer
      - .offset:         8
        .size:           4
        .value_kind:     by_value
      - .offset:         12
        .size:           4
        .value_kind:     by_value
      - .offset:         16
        .size:           8
        .value_kind:     by_value
      - .address_space:  global
        .offset:         24
        .size:           8
        .value_kind:     global_buffer
      - .offset:         32
        .size:           4
        .value_kind:     by_value
      - .offset:         40
        .size:           8
        .value_kind:     by_value
      - .address_space:  global
        .offset:         48
        .size:           8
        .value_kind:     global_buffer
      - .offset:         56
        .size:           1
        .value_kind:     by_value
      - .offset:         57
        .size:           1
        .value_kind:     by_value
    .group_segment_fixed_size: 1160
    .kernarg_segment_align: 8
    .kernarg_segment_size: 60
    .language:       OpenCL C
    .language_version:
      - 2
      - 0
    .max_flat_workgroup_size: 64
    .name:           _ZN9rocsolver6v33100L18getri_kernel_smallILi4E19rocblas_complex_numIdEPKPS3_EEvT1_iilPiilS8_bb
    .private_segment_fixed_size: 80
    .sgpr_count:     21
    .sgpr_spill_count: 0
    .symbol:         _ZN9rocsolver6v33100L18getri_kernel_smallILi4E19rocblas_complex_numIdEPKPS3_EEvT1_iilPiilS8_bb.kd
    .uniform_work_group_size: 1
    .uses_dynamic_stack: false
    .vgpr_count:     42
    .vgpr_spill_count: 0
    .wavefront_size: 32
  - .args:
      - .address_space:  global
        .offset:         0
        .size:           8
        .value_kind:     global_buffer
      - .offset:         8
        .size:           4
        .value_kind:     by_value
      - .offset:         12
        .size:           4
        .value_kind:     by_value
      - .offset:         16
        .size:           8
        .value_kind:     by_value
      - .address_space:  global
        .offset:         24
        .size:           8
        .value_kind:     global_buffer
      - .offset:         32
        .size:           4
        .value_kind:     by_value
      - .offset:         40
        .size:           8
        .value_kind:     by_value
      - .address_space:  global
        .offset:         48
        .size:           8
        .value_kind:     global_buffer
      - .offset:         56
        .size:           1
        .value_kind:     by_value
      - .offset:         57
        .size:           1
        .value_kind:     by_value
    .group_segment_fixed_size: 1192
    .kernarg_segment_align: 8
    .kernarg_segment_size: 60
    .language:       OpenCL C
    .language_version:
      - 2
      - 0
    .max_flat_workgroup_size: 64
    .name:           _ZN9rocsolver6v33100L18getri_kernel_smallILi5E19rocblas_complex_numIdEPKPS3_EEvT1_iilPiilS8_bb
    .private_segment_fixed_size: 96
    .sgpr_count:     25
    .sgpr_spill_count: 0
    .symbol:         _ZN9rocsolver6v33100L18getri_kernel_smallILi5E19rocblas_complex_numIdEPKPS3_EEvT1_iilPiilS8_bb.kd
    .uniform_work_group_size: 1
    .uses_dynamic_stack: false
    .vgpr_count:     50
    .vgpr_spill_count: 0
    .wavefront_size: 32
  - .args:
      - .address_space:  global
        .offset:         0
        .size:           8
        .value_kind:     global_buffer
      - .offset:         8
        .size:           4
        .value_kind:     by_value
      - .offset:         12
        .size:           4
        .value_kind:     by_value
      - .offset:         16
        .size:           8
        .value_kind:     by_value
      - .address_space:  global
        .offset:         24
        .size:           8
        .value_kind:     global_buffer
      - .offset:         32
        .size:           4
        .value_kind:     by_value
      - .offset:         40
        .size:           8
        .value_kind:     by_value
      - .address_space:  global
        .offset:         48
        .size:           8
        .value_kind:     global_buffer
      - .offset:         56
        .size:           1
        .value_kind:     by_value
      - .offset:         57
        .size:           1
        .value_kind:     by_value
    .group_segment_fixed_size: 1224
    .kernarg_segment_align: 8
    .kernarg_segment_size: 60
    .language:       OpenCL C
    .language_version:
      - 2
      - 0
    .max_flat_workgroup_size: 64
    .name:           _ZN9rocsolver6v33100L18getri_kernel_smallILi6E19rocblas_complex_numIdEPKPS3_EEvT1_iilPiilS8_bb
    .private_segment_fixed_size: 112
    .sgpr_count:     25
    .sgpr_spill_count: 0
    .symbol:         _ZN9rocsolver6v33100L18getri_kernel_smallILi6E19rocblas_complex_numIdEPKPS3_EEvT1_iilPiilS8_bb.kd
    .uniform_work_group_size: 1
    .uses_dynamic_stack: false
    .vgpr_count:     56
    .vgpr_spill_count: 0
    .wavefront_size: 32
  - .args:
      - .address_space:  global
        .offset:         0
        .size:           8
        .value_kind:     global_buffer
      - .offset:         8
        .size:           4
        .value_kind:     by_value
      - .offset:         12
        .size:           4
        .value_kind:     by_value
      - .offset:         16
        .size:           8
        .value_kind:     by_value
      - .address_space:  global
        .offset:         24
        .size:           8
        .value_kind:     global_buffer
      - .offset:         32
        .size:           4
        .value_kind:     by_value
      - .offset:         40
        .size:           8
        .value_kind:     by_value
      - .address_space:  global
        .offset:         48
        .size:           8
        .value_kind:     global_buffer
      - .offset:         56
        .size:           1
        .value_kind:     by_value
      - .offset:         57
        .size:           1
        .value_kind:     by_value
    .group_segment_fixed_size: 1256
    .kernarg_segment_align: 8
    .kernarg_segment_size: 60
    .language:       OpenCL C
    .language_version:
      - 2
      - 0
    .max_flat_workgroup_size: 64
    .name:           _ZN9rocsolver6v33100L18getri_kernel_smallILi7E19rocblas_complex_numIdEPKPS3_EEvT1_iilPiilS8_bb
    .private_segment_fixed_size: 128
    .sgpr_count:     25
    .sgpr_spill_count: 0
    .symbol:         _ZN9rocsolver6v33100L18getri_kernel_smallILi7E19rocblas_complex_numIdEPKPS3_EEvT1_iilPiilS8_bb.kd
    .uniform_work_group_size: 1
    .uses_dynamic_stack: false
    .vgpr_count:     62
    .vgpr_spill_count: 0
    .wavefront_size: 32
  - .args:
      - .address_space:  global
        .offset:         0
        .size:           8
        .value_kind:     global_buffer
      - .offset:         8
        .size:           4
        .value_kind:     by_value
      - .offset:         12
        .size:           4
        .value_kind:     by_value
      - .offset:         16
        .size:           8
        .value_kind:     by_value
      - .address_space:  global
        .offset:         24
        .size:           8
        .value_kind:     global_buffer
      - .offset:         32
        .size:           4
        .value_kind:     by_value
      - .offset:         40
        .size:           8
        .value_kind:     by_value
      - .address_space:  global
        .offset:         48
        .size:           8
        .value_kind:     global_buffer
      - .offset:         56
        .size:           1
        .value_kind:     by_value
      - .offset:         57
        .size:           1
        .value_kind:     by_value
    .group_segment_fixed_size: 1288
    .kernarg_segment_align: 8
    .kernarg_segment_size: 60
    .language:       OpenCL C
    .language_version:
      - 2
      - 0
    .max_flat_workgroup_size: 64
    .name:           _ZN9rocsolver6v33100L18getri_kernel_smallILi8E19rocblas_complex_numIdEPKPS3_EEvT1_iilPiilS8_bb
    .private_segment_fixed_size: 144
    .sgpr_count:     25
    .sgpr_spill_count: 0
    .symbol:         _ZN9rocsolver6v33100L18getri_kernel_smallILi8E19rocblas_complex_numIdEPKPS3_EEvT1_iilPiilS8_bb.kd
    .uniform_work_group_size: 1
    .uses_dynamic_stack: false
    .vgpr_count:     68
    .vgpr_spill_count: 0
    .wavefront_size: 32
  - .args:
      - .address_space:  global
        .offset:         0
        .size:           8
        .value_kind:     global_buffer
      - .offset:         8
        .size:           4
        .value_kind:     by_value
      - .offset:         12
        .size:           4
        .value_kind:     by_value
      - .offset:         16
        .size:           8
        .value_kind:     by_value
      - .address_space:  global
        .offset:         24
        .size:           8
        .value_kind:     global_buffer
      - .offset:         32
        .size:           4
        .value_kind:     by_value
      - .offset:         40
        .size:           8
        .value_kind:     by_value
      - .address_space:  global
        .offset:         48
        .size:           8
        .value_kind:     global_buffer
      - .offset:         56
        .size:           1
        .value_kind:     by_value
      - .offset:         57
        .size:           1
        .value_kind:     by_value
    .group_segment_fixed_size: 296
    .kernarg_segment_align: 8
    .kernarg_segment_size: 60
    .language:       OpenCL C
    .language_version:
      - 2
      - 0
    .max_flat_workgroup_size: 64
    .name:           _ZN9rocsolver6v33100L18getri_kernel_smallILi9E19rocblas_complex_numIdEPKPS3_EEvT1_iilPiilS8_bb
    .private_segment_fixed_size: 176
    .sgpr_count:     24
    .sgpr_spill_count: 0
    .symbol:         _ZN9rocsolver6v33100L18getri_kernel_smallILi9E19rocblas_complex_numIdEPKPS3_EEvT1_iilPiilS8_bb.kd
    .uniform_work_group_size: 1
    .uses_dynamic_stack: false
    .vgpr_count:     74
    .vgpr_spill_count: 0
    .wavefront_size: 32
  - .args:
      - .address_space:  global
        .offset:         0
        .size:           8
        .value_kind:     global_buffer
      - .offset:         8
        .size:           4
        .value_kind:     by_value
      - .offset:         12
        .size:           4
        .value_kind:     by_value
      - .offset:         16
        .size:           8
        .value_kind:     by_value
      - .address_space:  global
        .offset:         24
        .size:           8
        .value_kind:     global_buffer
      - .offset:         32
        .size:           4
        .value_kind:     by_value
      - .offset:         40
        .size:           8
        .value_kind:     by_value
      - .address_space:  global
        .offset:         48
        .size:           8
        .value_kind:     global_buffer
      - .offset:         56
        .size:           1
        .value_kind:     by_value
      - .offset:         57
        .size:           1
        .value_kind:     by_value
    .group_segment_fixed_size: 1352
    .kernarg_segment_align: 8
    .kernarg_segment_size: 60
    .language:       OpenCL C
    .language_version:
      - 2
      - 0
    .max_flat_workgroup_size: 64
    .name:           _ZN9rocsolver6v33100L18getri_kernel_smallILi10E19rocblas_complex_numIdEPKPS3_EEvT1_iilPiilS8_bb
    .private_segment_fixed_size: 176
    .sgpr_count:     27
    .sgpr_spill_count: 0
    .symbol:         _ZN9rocsolver6v33100L18getri_kernel_smallILi10E19rocblas_complex_numIdEPKPS3_EEvT1_iilPiilS8_bb.kd
    .uniform_work_group_size: 1
    .uses_dynamic_stack: false
    .vgpr_count:     80
    .vgpr_spill_count: 0
    .wavefront_size: 32
  - .args:
      - .address_space:  global
        .offset:         0
        .size:           8
        .value_kind:     global_buffer
      - .offset:         8
        .size:           4
        .value_kind:     by_value
      - .offset:         12
        .size:           4
        .value_kind:     by_value
      - .offset:         16
        .size:           8
        .value_kind:     by_value
      - .address_space:  global
        .offset:         24
        .size:           8
        .value_kind:     global_buffer
      - .offset:         32
        .size:           4
        .value_kind:     by_value
      - .offset:         40
        .size:           8
        .value_kind:     by_value
      - .address_space:  global
        .offset:         48
        .size:           8
        .value_kind:     global_buffer
      - .offset:         56
        .size:           1
        .value_kind:     by_value
      - .offset:         57
        .size:           1
        .value_kind:     by_value
    .group_segment_fixed_size: 1384
    .kernarg_segment_align: 8
    .kernarg_segment_size: 60
    .language:       OpenCL C
    .language_version:
      - 2
      - 0
    .max_flat_workgroup_size: 64
    .name:           _ZN9rocsolver6v33100L18getri_kernel_smallILi11E19rocblas_complex_numIdEPKPS3_EEvT1_iilPiilS8_bb
    .private_segment_fixed_size: 192
    .sgpr_count:     28
    .sgpr_spill_count: 0
    .symbol:         _ZN9rocsolver6v33100L18getri_kernel_smallILi11E19rocblas_complex_numIdEPKPS3_EEvT1_iilPiilS8_bb.kd
    .uniform_work_group_size: 1
    .uses_dynamic_stack: false
    .vgpr_count:     82
    .vgpr_spill_count: 0
    .wavefront_size: 32
  - .args:
      - .address_space:  global
        .offset:         0
        .size:           8
        .value_kind:     global_buffer
      - .offset:         8
        .size:           4
        .value_kind:     by_value
      - .offset:         12
        .size:           4
        .value_kind:     by_value
      - .offset:         16
        .size:           8
        .value_kind:     by_value
      - .address_space:  global
        .offset:         24
        .size:           8
        .value_kind:     global_buffer
      - .offset:         32
        .size:           4
        .value_kind:     by_value
      - .offset:         40
        .size:           8
        .value_kind:     by_value
      - .address_space:  global
        .offset:         48
        .size:           8
        .value_kind:     global_buffer
      - .offset:         56
        .size:           1
        .value_kind:     by_value
      - .offset:         57
        .size:           1
        .value_kind:     by_value
    .group_segment_fixed_size: 1416
    .kernarg_segment_align: 8
    .kernarg_segment_size: 60
    .language:       OpenCL C
    .language_version:
      - 2
      - 0
    .max_flat_workgroup_size: 64
    .name:           _ZN9rocsolver6v33100L18getri_kernel_smallILi12E19rocblas_complex_numIdEPKPS3_EEvT1_iilPiilS8_bb
    .private_segment_fixed_size: 208
    .sgpr_count:     29
    .sgpr_spill_count: 0
    .symbol:         _ZN9rocsolver6v33100L18getri_kernel_smallILi12E19rocblas_complex_numIdEPKPS3_EEvT1_iilPiilS8_bb.kd
    .uniform_work_group_size: 1
    .uses_dynamic_stack: false
    .vgpr_count:     92
    .vgpr_spill_count: 0
    .wavefront_size: 32
  - .args:
      - .address_space:  global
        .offset:         0
        .size:           8
        .value_kind:     global_buffer
      - .offset:         8
        .size:           4
        .value_kind:     by_value
      - .offset:         12
        .size:           4
        .value_kind:     by_value
      - .offset:         16
        .size:           8
        .value_kind:     by_value
      - .address_space:  global
        .offset:         24
        .size:           8
        .value_kind:     global_buffer
      - .offset:         32
        .size:           4
        .value_kind:     by_value
      - .offset:         40
        .size:           8
        .value_kind:     by_value
      - .address_space:  global
        .offset:         48
        .size:           8
        .value_kind:     global_buffer
      - .offset:         56
        .size:           1
        .value_kind:     by_value
      - .offset:         57
        .size:           1
        .value_kind:     by_value
    .group_segment_fixed_size: 1448
    .kernarg_segment_align: 8
    .kernarg_segment_size: 60
    .language:       OpenCL C
    .language_version:
      - 2
      - 0
    .max_flat_workgroup_size: 64
    .name:           _ZN9rocsolver6v33100L18getri_kernel_smallILi13E19rocblas_complex_numIdEPKPS3_EEvT1_iilPiilS8_bb
    .private_segment_fixed_size: 224
    .sgpr_count:     30
    .sgpr_spill_count: 0
    .symbol:         _ZN9rocsolver6v33100L18getri_kernel_smallILi13E19rocblas_complex_numIdEPKPS3_EEvT1_iilPiilS8_bb.kd
    .uniform_work_group_size: 1
    .uses_dynamic_stack: false
    .vgpr_count:     96
    .vgpr_spill_count: 0
    .wavefront_size: 32
  - .args:
      - .address_space:  global
        .offset:         0
        .size:           8
        .value_kind:     global_buffer
      - .offset:         8
        .size:           4
        .value_kind:     by_value
      - .offset:         12
        .size:           4
        .value_kind:     by_value
      - .offset:         16
        .size:           8
        .value_kind:     by_value
      - .address_space:  global
        .offset:         24
        .size:           8
        .value_kind:     global_buffer
      - .offset:         32
        .size:           4
        .value_kind:     by_value
      - .offset:         40
        .size:           8
        .value_kind:     by_value
      - .address_space:  global
        .offset:         48
        .size:           8
        .value_kind:     global_buffer
      - .offset:         56
        .size:           1
        .value_kind:     by_value
      - .offset:         57
        .size:           1
        .value_kind:     by_value
    .group_segment_fixed_size: 1480
    .kernarg_segment_align: 8
    .kernarg_segment_size: 60
    .language:       OpenCL C
    .language_version:
      - 2
      - 0
    .max_flat_workgroup_size: 64
    .name:           _ZN9rocsolver6v33100L18getri_kernel_smallILi14E19rocblas_complex_numIdEPKPS3_EEvT1_iilPiilS8_bb
    .private_segment_fixed_size: 240
    .sgpr_count:     31
    .sgpr_spill_count: 0
    .symbol:         _ZN9rocsolver6v33100L18getri_kernel_smallILi14E19rocblas_complex_numIdEPKPS3_EEvT1_iilPiilS8_bb.kd
    .uniform_work_group_size: 1
    .uses_dynamic_stack: false
    .vgpr_count:     96
    .vgpr_spill_count: 0
    .wavefront_size: 32
  - .args:
      - .address_space:  global
        .offset:         0
        .size:           8
        .value_kind:     global_buffer
      - .offset:         8
        .size:           4
        .value_kind:     by_value
      - .offset:         12
        .size:           4
        .value_kind:     by_value
      - .offset:         16
        .size:           8
        .value_kind:     by_value
      - .address_space:  global
        .offset:         24
        .size:           8
        .value_kind:     global_buffer
      - .offset:         32
        .size:           4
        .value_kind:     by_value
      - .offset:         40
        .size:           8
        .value_kind:     by_value
      - .address_space:  global
        .offset:         48
        .size:           8
        .value_kind:     global_buffer
      - .offset:         56
        .size:           1
        .value_kind:     by_value
      - .offset:         57
        .size:           1
        .value_kind:     by_value
    .group_segment_fixed_size: 1512
    .kernarg_segment_align: 8
    .kernarg_segment_size: 60
    .language:       OpenCL C
    .language_version:
      - 2
      - 0
    .max_flat_workgroup_size: 64
    .name:           _ZN9rocsolver6v33100L18getri_kernel_smallILi15E19rocblas_complex_numIdEPKPS3_EEvT1_iilPiilS8_bb
    .private_segment_fixed_size: 256
    .sgpr_count:     32
    .sgpr_spill_count: 0
    .symbol:         _ZN9rocsolver6v33100L18getri_kernel_smallILi15E19rocblas_complex_numIdEPKPS3_EEvT1_iilPiilS8_bb.kd
    .uniform_work_group_size: 1
    .uses_dynamic_stack: false
    .vgpr_count:     108
    .vgpr_spill_count: 0
    .wavefront_size: 32
  - .args:
      - .address_space:  global
        .offset:         0
        .size:           8
        .value_kind:     global_buffer
      - .offset:         8
        .size:           4
        .value_kind:     by_value
      - .offset:         12
        .size:           4
        .value_kind:     by_value
      - .offset:         16
        .size:           8
        .value_kind:     by_value
      - .address_space:  global
        .offset:         24
        .size:           8
        .value_kind:     global_buffer
      - .offset:         32
        .size:           4
        .value_kind:     by_value
      - .offset:         40
        .size:           8
        .value_kind:     by_value
      - .address_space:  global
        .offset:         48
        .size:           8
        .value_kind:     global_buffer
      - .offset:         56
        .size:           1
        .value_kind:     by_value
      - .offset:         57
        .size:           1
        .value_kind:     by_value
    .group_segment_fixed_size: 1544
    .kernarg_segment_align: 8
    .kernarg_segment_size: 60
    .language:       OpenCL C
    .language_version:
      - 2
      - 0
    .max_flat_workgroup_size: 64
    .name:           _ZN9rocsolver6v33100L18getri_kernel_smallILi16E19rocblas_complex_numIdEPKPS3_EEvT1_iilPiilS8_bb
    .private_segment_fixed_size: 272
    .sgpr_count:     33
    .sgpr_spill_count: 0
    .symbol:         _ZN9rocsolver6v33100L18getri_kernel_smallILi16E19rocblas_complex_numIdEPKPS3_EEvT1_iilPiilS8_bb.kd
    .uniform_work_group_size: 1
    .uses_dynamic_stack: false
    .vgpr_count:     112
    .vgpr_spill_count: 0
    .wavefront_size: 32
  - .args:
      - .address_space:  global
        .offset:         0
        .size:           8
        .value_kind:     global_buffer
      - .offset:         8
        .size:           4
        .value_kind:     by_value
      - .offset:         12
        .size:           4
        .value_kind:     by_value
      - .offset:         16
        .size:           8
        .value_kind:     by_value
      - .address_space:  global
        .offset:         24
        .size:           8
        .value_kind:     global_buffer
      - .offset:         32
        .size:           4
        .value_kind:     by_value
      - .offset:         40
        .size:           8
        .value_kind:     by_value
      - .address_space:  global
        .offset:         48
        .size:           8
        .value_kind:     global_buffer
      - .offset:         56
        .size:           1
        .value_kind:     by_value
      - .offset:         57
        .size:           1
        .value_kind:     by_value
    .group_segment_fixed_size: 1576
    .kernarg_segment_align: 8
    .kernarg_segment_size: 60
    .language:       OpenCL C
    .language_version:
      - 2
      - 0
    .max_flat_workgroup_size: 64
    .name:           _ZN9rocsolver6v33100L18getri_kernel_smallILi17E19rocblas_complex_numIdEPKPS3_EEvT1_iilPiilS8_bb
    .private_segment_fixed_size: 288
    .sgpr_count:     34
    .sgpr_spill_count: 0
    .symbol:         _ZN9rocsolver6v33100L18getri_kernel_smallILi17E19rocblas_complex_numIdEPKPS3_EEvT1_iilPiilS8_bb.kd
    .uniform_work_group_size: 1
    .uses_dynamic_stack: false
    .vgpr_count:     114
    .vgpr_spill_count: 0
    .wavefront_size: 32
  - .args:
      - .address_space:  global
        .offset:         0
        .size:           8
        .value_kind:     global_buffer
      - .offset:         8
        .size:           4
        .value_kind:     by_value
      - .offset:         12
        .size:           4
        .value_kind:     by_value
      - .offset:         16
        .size:           8
        .value_kind:     by_value
      - .address_space:  global
        .offset:         24
        .size:           8
        .value_kind:     global_buffer
      - .offset:         32
        .size:           4
        .value_kind:     by_value
      - .offset:         40
        .size:           8
        .value_kind:     by_value
      - .address_space:  global
        .offset:         48
        .size:           8
        .value_kind:     global_buffer
      - .offset:         56
        .size:           1
        .value_kind:     by_value
      - .offset:         57
        .size:           1
        .value_kind:     by_value
    .group_segment_fixed_size: 1608
    .kernarg_segment_align: 8
    .kernarg_segment_size: 60
    .language:       OpenCL C
    .language_version:
      - 2
      - 0
    .max_flat_workgroup_size: 64
    .name:           _ZN9rocsolver6v33100L18getri_kernel_smallILi18E19rocblas_complex_numIdEPKPS3_EEvT1_iilPiilS8_bb
    .private_segment_fixed_size: 304
    .sgpr_count:     36
    .sgpr_spill_count: 0
    .symbol:         _ZN9rocsolver6v33100L18getri_kernel_smallILi18E19rocblas_complex_numIdEPKPS3_EEvT1_iilPiilS8_bb.kd
    .uniform_work_group_size: 1
    .uses_dynamic_stack: false
    .vgpr_count:     116
    .vgpr_spill_count: 0
    .wavefront_size: 32
  - .args:
      - .address_space:  global
        .offset:         0
        .size:           8
        .value_kind:     global_buffer
      - .offset:         8
        .size:           4
        .value_kind:     by_value
      - .offset:         12
        .size:           4
        .value_kind:     by_value
      - .offset:         16
        .size:           8
        .value_kind:     by_value
      - .address_space:  global
        .offset:         24
        .size:           8
        .value_kind:     global_buffer
      - .offset:         32
        .size:           4
        .value_kind:     by_value
      - .offset:         40
        .size:           8
        .value_kind:     by_value
      - .address_space:  global
        .offset:         48
        .size:           8
        .value_kind:     global_buffer
      - .offset:         56
        .size:           1
        .value_kind:     by_value
      - .offset:         57
        .size:           1
        .value_kind:     by_value
    .group_segment_fixed_size: 1640
    .kernarg_segment_align: 8
    .kernarg_segment_size: 60
    .language:       OpenCL C
    .language_version:
      - 2
      - 0
    .max_flat_workgroup_size: 64
    .name:           _ZN9rocsolver6v33100L18getri_kernel_smallILi19E19rocblas_complex_numIdEPKPS3_EEvT1_iilPiilS8_bb
    .private_segment_fixed_size: 320
    .sgpr_count:     38
    .sgpr_spill_count: 0
    .symbol:         _ZN9rocsolver6v33100L18getri_kernel_smallILi19E19rocblas_complex_numIdEPKPS3_EEvT1_iilPiilS8_bb.kd
    .uniform_work_group_size: 1
    .uses_dynamic_stack: false
    .vgpr_count:     120
    .vgpr_spill_count: 0
    .wavefront_size: 32
  - .args:
      - .address_space:  global
        .offset:         0
        .size:           8
        .value_kind:     global_buffer
      - .offset:         8
        .size:           4
        .value_kind:     by_value
      - .offset:         12
        .size:           4
        .value_kind:     by_value
      - .offset:         16
        .size:           8
        .value_kind:     by_value
      - .address_space:  global
        .offset:         24
        .size:           8
        .value_kind:     global_buffer
      - .offset:         32
        .size:           4
        .value_kind:     by_value
      - .offset:         40
        .size:           8
        .value_kind:     by_value
      - .address_space:  global
        .offset:         48
        .size:           8
        .value_kind:     global_buffer
      - .offset:         56
        .size:           1
        .value_kind:     by_value
      - .offset:         57
        .size:           1
        .value_kind:     by_value
    .group_segment_fixed_size: 1672
    .kernarg_segment_align: 8
    .kernarg_segment_size: 60
    .language:       OpenCL C
    .language_version:
      - 2
      - 0
    .max_flat_workgroup_size: 64
    .name:           _ZN9rocsolver6v33100L18getri_kernel_smallILi20E19rocblas_complex_numIdEPKPS3_EEvT1_iilPiilS8_bb
    .private_segment_fixed_size: 336
    .sgpr_count:     38
    .sgpr_spill_count: 0
    .symbol:         _ZN9rocsolver6v33100L18getri_kernel_smallILi20E19rocblas_complex_numIdEPKPS3_EEvT1_iilPiilS8_bb.kd
    .uniform_work_group_size: 1
    .uses_dynamic_stack: false
    .vgpr_count:     122
    .vgpr_spill_count: 0
    .wavefront_size: 32
  - .args:
      - .address_space:  global
        .offset:         0
        .size:           8
        .value_kind:     global_buffer
      - .offset:         8
        .size:           4
        .value_kind:     by_value
      - .offset:         12
        .size:           4
        .value_kind:     by_value
      - .offset:         16
        .size:           8
        .value_kind:     by_value
      - .address_space:  global
        .offset:         24
        .size:           8
        .value_kind:     global_buffer
      - .offset:         32
        .size:           4
        .value_kind:     by_value
      - .offset:         40
        .size:           8
        .value_kind:     by_value
      - .address_space:  global
        .offset:         48
        .size:           8
        .value_kind:     global_buffer
      - .offset:         56
        .size:           1
        .value_kind:     by_value
      - .offset:         57
        .size:           1
        .value_kind:     by_value
    .group_segment_fixed_size: 1704
    .kernarg_segment_align: 8
    .kernarg_segment_size: 60
    .language:       OpenCL C
    .language_version:
      - 2
      - 0
    .max_flat_workgroup_size: 64
    .name:           _ZN9rocsolver6v33100L18getri_kernel_smallILi21E19rocblas_complex_numIdEPKPS3_EEvT1_iilPiilS8_bb
    .private_segment_fixed_size: 352
    .sgpr_count:     39
    .sgpr_spill_count: 0
    .symbol:         _ZN9rocsolver6v33100L18getri_kernel_smallILi21E19rocblas_complex_numIdEPKPS3_EEvT1_iilPiilS8_bb.kd
    .uniform_work_group_size: 1
    .uses_dynamic_stack: false
    .vgpr_count:     124
    .vgpr_spill_count: 0
    .wavefront_size: 32
  - .args:
      - .address_space:  global
        .offset:         0
        .size:           8
        .value_kind:     global_buffer
      - .offset:         8
        .size:           4
        .value_kind:     by_value
      - .offset:         12
        .size:           4
        .value_kind:     by_value
      - .offset:         16
        .size:           8
        .value_kind:     by_value
      - .address_space:  global
        .offset:         24
        .size:           8
        .value_kind:     global_buffer
      - .offset:         32
        .size:           4
        .value_kind:     by_value
      - .offset:         40
        .size:           8
        .value_kind:     by_value
      - .address_space:  global
        .offset:         48
        .size:           8
        .value_kind:     global_buffer
      - .offset:         56
        .size:           1
        .value_kind:     by_value
      - .offset:         57
        .size:           1
        .value_kind:     by_value
    .group_segment_fixed_size: 1736
    .kernarg_segment_align: 8
    .kernarg_segment_size: 60
    .language:       OpenCL C
    .language_version:
      - 2
      - 0
    .max_flat_workgroup_size: 64
    .name:           _ZN9rocsolver6v33100L18getri_kernel_smallILi22E19rocblas_complex_numIdEPKPS3_EEvT1_iilPiilS8_bb
    .private_segment_fixed_size: 368
    .sgpr_count:     40
    .sgpr_spill_count: 0
    .symbol:         _ZN9rocsolver6v33100L18getri_kernel_smallILi22E19rocblas_complex_numIdEPKPS3_EEvT1_iilPiilS8_bb.kd
    .uniform_work_group_size: 1
    .uses_dynamic_stack: false
    .vgpr_count:     126
    .vgpr_spill_count: 0
    .wavefront_size: 32
  - .args:
      - .address_space:  global
        .offset:         0
        .size:           8
        .value_kind:     global_buffer
      - .offset:         8
        .size:           4
        .value_kind:     by_value
      - .offset:         12
        .size:           4
        .value_kind:     by_value
      - .offset:         16
        .size:           8
        .value_kind:     by_value
      - .address_space:  global
        .offset:         24
        .size:           8
        .value_kind:     global_buffer
      - .offset:         32
        .size:           4
        .value_kind:     by_value
      - .offset:         40
        .size:           8
        .value_kind:     by_value
      - .address_space:  global
        .offset:         48
        .size:           8
        .value_kind:     global_buffer
      - .offset:         56
        .size:           1
        .value_kind:     by_value
      - .offset:         57
        .size:           1
        .value_kind:     by_value
    .group_segment_fixed_size: 1768
    .kernarg_segment_align: 8
    .kernarg_segment_size: 60
    .language:       OpenCL C
    .language_version:
      - 2
      - 0
    .max_flat_workgroup_size: 64
    .name:           _ZN9rocsolver6v33100L18getri_kernel_smallILi23E19rocblas_complex_numIdEPKPS3_EEvT1_iilPiilS8_bb
    .private_segment_fixed_size: 384
    .sgpr_count:     41
    .sgpr_spill_count: 0
    .symbol:         _ZN9rocsolver6v33100L18getri_kernel_smallILi23E19rocblas_complex_numIdEPKPS3_EEvT1_iilPiilS8_bb.kd
    .uniform_work_group_size: 1
    .uses_dynamic_stack: false
    .vgpr_count:     128
    .vgpr_spill_count: 0
    .wavefront_size: 32
  - .args:
      - .address_space:  global
        .offset:         0
        .size:           8
        .value_kind:     global_buffer
      - .offset:         8
        .size:           4
        .value_kind:     by_value
      - .offset:         12
        .size:           4
        .value_kind:     by_value
      - .offset:         16
        .size:           8
        .value_kind:     by_value
      - .address_space:  global
        .offset:         24
        .size:           8
        .value_kind:     global_buffer
      - .offset:         32
        .size:           4
        .value_kind:     by_value
      - .offset:         40
        .size:           8
        .value_kind:     by_value
      - .address_space:  global
        .offset:         48
        .size:           8
        .value_kind:     global_buffer
      - .offset:         56
        .size:           1
        .value_kind:     by_value
      - .offset:         57
        .size:           1
        .value_kind:     by_value
    .group_segment_fixed_size: 1800
    .kernarg_segment_align: 8
    .kernarg_segment_size: 60
    .language:       OpenCL C
    .language_version:
      - 2
      - 0
    .max_flat_workgroup_size: 64
    .name:           _ZN9rocsolver6v33100L18getri_kernel_smallILi24E19rocblas_complex_numIdEPKPS3_EEvT1_iilPiilS8_bb
    .private_segment_fixed_size: 400
    .sgpr_count:     42
    .sgpr_spill_count: 0
    .symbol:         _ZN9rocsolver6v33100L18getri_kernel_smallILi24E19rocblas_complex_numIdEPKPS3_EEvT1_iilPiilS8_bb.kd
    .uniform_work_group_size: 1
    .uses_dynamic_stack: false
    .vgpr_count:     130
    .vgpr_spill_count: 0
    .wavefront_size: 32
  - .args:
      - .address_space:  global
        .offset:         0
        .size:           8
        .value_kind:     global_buffer
      - .offset:         8
        .size:           4
        .value_kind:     by_value
      - .offset:         12
        .size:           4
        .value_kind:     by_value
      - .offset:         16
        .size:           8
        .value_kind:     by_value
      - .address_space:  global
        .offset:         24
        .size:           8
        .value_kind:     global_buffer
      - .offset:         32
        .size:           4
        .value_kind:     by_value
      - .offset:         40
        .size:           8
        .value_kind:     by_value
      - .address_space:  global
        .offset:         48
        .size:           8
        .value_kind:     global_buffer
      - .offset:         56
        .size:           1
        .value_kind:     by_value
      - .offset:         57
        .size:           1
        .value_kind:     by_value
    .group_segment_fixed_size: 1832
    .kernarg_segment_align: 8
    .kernarg_segment_size: 60
    .language:       OpenCL C
    .language_version:
      - 2
      - 0
    .max_flat_workgroup_size: 64
    .name:           _ZN9rocsolver6v33100L18getri_kernel_smallILi25E19rocblas_complex_numIdEPKPS3_EEvT1_iilPiilS8_bb
    .private_segment_fixed_size: 416
    .sgpr_count:     43
    .sgpr_spill_count: 0
    .symbol:         _ZN9rocsolver6v33100L18getri_kernel_smallILi25E19rocblas_complex_numIdEPKPS3_EEvT1_iilPiilS8_bb.kd
    .uniform_work_group_size: 1
    .uses_dynamic_stack: false
    .vgpr_count:     132
    .vgpr_spill_count: 0
    .wavefront_size: 32
  - .args:
      - .address_space:  global
        .offset:         0
        .size:           8
        .value_kind:     global_buffer
      - .offset:         8
        .size:           4
        .value_kind:     by_value
      - .offset:         12
        .size:           4
        .value_kind:     by_value
      - .offset:         16
        .size:           8
        .value_kind:     by_value
      - .address_space:  global
        .offset:         24
        .size:           8
        .value_kind:     global_buffer
      - .offset:         32
        .size:           4
        .value_kind:     by_value
      - .offset:         40
        .size:           8
        .value_kind:     by_value
      - .address_space:  global
        .offset:         48
        .size:           8
        .value_kind:     global_buffer
      - .offset:         56
        .size:           1
        .value_kind:     by_value
      - .offset:         57
        .size:           1
        .value_kind:     by_value
    .group_segment_fixed_size: 1864
    .kernarg_segment_align: 8
    .kernarg_segment_size: 60
    .language:       OpenCL C
    .language_version:
      - 2
      - 0
    .max_flat_workgroup_size: 64
    .name:           _ZN9rocsolver6v33100L18getri_kernel_smallILi26E19rocblas_complex_numIdEPKPS3_EEvT1_iilPiilS8_bb
    .private_segment_fixed_size: 432
    .sgpr_count:     44
    .sgpr_spill_count: 0
    .symbol:         _ZN9rocsolver6v33100L18getri_kernel_smallILi26E19rocblas_complex_numIdEPKPS3_EEvT1_iilPiilS8_bb.kd
    .uniform_work_group_size: 1
    .uses_dynamic_stack: false
    .vgpr_count:     134
    .vgpr_spill_count: 0
    .wavefront_size: 32
  - .args:
      - .address_space:  global
        .offset:         0
        .size:           8
        .value_kind:     global_buffer
      - .offset:         8
        .size:           4
        .value_kind:     by_value
      - .offset:         12
        .size:           4
        .value_kind:     by_value
      - .offset:         16
        .size:           8
        .value_kind:     by_value
      - .address_space:  global
        .offset:         24
        .size:           8
        .value_kind:     global_buffer
      - .offset:         32
        .size:           4
        .value_kind:     by_value
      - .offset:         40
        .size:           8
        .value_kind:     by_value
      - .address_space:  global
        .offset:         48
        .size:           8
        .value_kind:     global_buffer
      - .offset:         56
        .size:           1
        .value_kind:     by_value
      - .offset:         57
        .size:           1
        .value_kind:     by_value
    .group_segment_fixed_size: 1896
    .kernarg_segment_align: 8
    .kernarg_segment_size: 60
    .language:       OpenCL C
    .language_version:
      - 2
      - 0
    .max_flat_workgroup_size: 64
    .name:           _ZN9rocsolver6v33100L18getri_kernel_smallILi27E19rocblas_complex_numIdEPKPS3_EEvT1_iilPiilS8_bb
    .private_segment_fixed_size: 448
    .sgpr_count:     53
    .sgpr_spill_count: 0
    .symbol:         _ZN9rocsolver6v33100L18getri_kernel_smallILi27E19rocblas_complex_numIdEPKPS3_EEvT1_iilPiilS8_bb.kd
    .uniform_work_group_size: 1
    .uses_dynamic_stack: false
    .vgpr_count:     136
    .vgpr_spill_count: 0
    .wavefront_size: 32
  - .args:
      - .address_space:  global
        .offset:         0
        .size:           8
        .value_kind:     global_buffer
      - .offset:         8
        .size:           4
        .value_kind:     by_value
      - .offset:         12
        .size:           4
        .value_kind:     by_value
      - .offset:         16
        .size:           8
        .value_kind:     by_value
      - .address_space:  global
        .offset:         24
        .size:           8
        .value_kind:     global_buffer
      - .offset:         32
        .size:           4
        .value_kind:     by_value
      - .offset:         40
        .size:           8
        .value_kind:     by_value
      - .address_space:  global
        .offset:         48
        .size:           8
        .value_kind:     global_buffer
      - .offset:         56
        .size:           1
        .value_kind:     by_value
      - .offset:         57
        .size:           1
        .value_kind:     by_value
    .group_segment_fixed_size: 1928
    .kernarg_segment_align: 8
    .kernarg_segment_size: 60
    .language:       OpenCL C
    .language_version:
      - 2
      - 0
    .max_flat_workgroup_size: 64
    .name:           _ZN9rocsolver6v33100L18getri_kernel_smallILi28E19rocblas_complex_numIdEPKPS3_EEvT1_iilPiilS8_bb
    .private_segment_fixed_size: 464
    .sgpr_count:     54
    .sgpr_spill_count: 0
    .symbol:         _ZN9rocsolver6v33100L18getri_kernel_smallILi28E19rocblas_complex_numIdEPKPS3_EEvT1_iilPiilS8_bb.kd
    .uniform_work_group_size: 1
    .uses_dynamic_stack: false
    .vgpr_count:     138
    .vgpr_spill_count: 0
    .wavefront_size: 32
  - .args:
      - .address_space:  global
        .offset:         0
        .size:           8
        .value_kind:     global_buffer
      - .offset:         8
        .size:           4
        .value_kind:     by_value
      - .offset:         12
        .size:           4
        .value_kind:     by_value
      - .offset:         16
        .size:           8
        .value_kind:     by_value
      - .address_space:  global
        .offset:         24
        .size:           8
        .value_kind:     global_buffer
      - .offset:         32
        .size:           4
        .value_kind:     by_value
      - .offset:         40
        .size:           8
        .value_kind:     by_value
      - .address_space:  global
        .offset:         48
        .size:           8
        .value_kind:     global_buffer
      - .offset:         56
        .size:           1
        .value_kind:     by_value
      - .offset:         57
        .size:           1
        .value_kind:     by_value
    .group_segment_fixed_size: 1960
    .kernarg_segment_align: 8
    .kernarg_segment_size: 60
    .language:       OpenCL C
    .language_version:
      - 2
      - 0
    .max_flat_workgroup_size: 64
    .name:           _ZN9rocsolver6v33100L18getri_kernel_smallILi29E19rocblas_complex_numIdEPKPS3_EEvT1_iilPiilS8_bb
    .private_segment_fixed_size: 480
    .sgpr_count:     56
    .sgpr_spill_count: 0
    .symbol:         _ZN9rocsolver6v33100L18getri_kernel_smallILi29E19rocblas_complex_numIdEPKPS3_EEvT1_iilPiilS8_bb.kd
    .uniform_work_group_size: 1
    .uses_dynamic_stack: false
    .vgpr_count:     140
    .vgpr_spill_count: 0
    .wavefront_size: 32
  - .args:
      - .address_space:  global
        .offset:         0
        .size:           8
        .value_kind:     global_buffer
      - .offset:         8
        .size:           4
        .value_kind:     by_value
      - .offset:         12
        .size:           4
        .value_kind:     by_value
      - .offset:         16
        .size:           8
        .value_kind:     by_value
      - .address_space:  global
        .offset:         24
        .size:           8
        .value_kind:     global_buffer
      - .offset:         32
        .size:           4
        .value_kind:     by_value
      - .offset:         40
        .size:           8
        .value_kind:     by_value
      - .address_space:  global
        .offset:         48
        .size:           8
        .value_kind:     global_buffer
      - .offset:         56
        .size:           1
        .value_kind:     by_value
      - .offset:         57
        .size:           1
        .value_kind:     by_value
    .group_segment_fixed_size: 1992
    .kernarg_segment_align: 8
    .kernarg_segment_size: 60
    .language:       OpenCL C
    .language_version:
      - 2
      - 0
    .max_flat_workgroup_size: 64
    .name:           _ZN9rocsolver6v33100L18getri_kernel_smallILi30E19rocblas_complex_numIdEPKPS3_EEvT1_iilPiilS8_bb
    .private_segment_fixed_size: 496
    .sgpr_count:     57
    .sgpr_spill_count: 0
    .symbol:         _ZN9rocsolver6v33100L18getri_kernel_smallILi30E19rocblas_complex_numIdEPKPS3_EEvT1_iilPiilS8_bb.kd
    .uniform_work_group_size: 1
    .uses_dynamic_stack: false
    .vgpr_count:     142
    .vgpr_spill_count: 0
    .wavefront_size: 32
  - .args:
      - .address_space:  global
        .offset:         0
        .size:           8
        .value_kind:     global_buffer
      - .offset:         8
        .size:           4
        .value_kind:     by_value
      - .offset:         12
        .size:           4
        .value_kind:     by_value
      - .offset:         16
        .size:           8
        .value_kind:     by_value
      - .address_space:  global
        .offset:         24
        .size:           8
        .value_kind:     global_buffer
      - .offset:         32
        .size:           4
        .value_kind:     by_value
      - .offset:         40
        .size:           8
        .value_kind:     by_value
      - .address_space:  global
        .offset:         48
        .size:           8
        .value_kind:     global_buffer
      - .offset:         56
        .size:           1
        .value_kind:     by_value
      - .offset:         57
        .size:           1
        .value_kind:     by_value
    .group_segment_fixed_size: 2024
    .kernarg_segment_align: 8
    .kernarg_segment_size: 60
    .language:       OpenCL C
    .language_version:
      - 2
      - 0
    .max_flat_workgroup_size: 64
    .name:           _ZN9rocsolver6v33100L18getri_kernel_smallILi31E19rocblas_complex_numIdEPKPS3_EEvT1_iilPiilS8_bb
    .private_segment_fixed_size: 512
    .sgpr_count:     59
    .sgpr_spill_count: 0
    .symbol:         _ZN9rocsolver6v33100L18getri_kernel_smallILi31E19rocblas_complex_numIdEPKPS3_EEvT1_iilPiilS8_bb.kd
    .uniform_work_group_size: 1
    .uses_dynamic_stack: false
    .vgpr_count:     144
    .vgpr_spill_count: 0
    .wavefront_size: 32
  - .args:
      - .address_space:  global
        .offset:         0
        .size:           8
        .value_kind:     global_buffer
      - .offset:         8
        .size:           4
        .value_kind:     by_value
      - .offset:         12
        .size:           4
        .value_kind:     by_value
      - .offset:         16
        .size:           8
        .value_kind:     by_value
      - .address_space:  global
        .offset:         24
        .size:           8
        .value_kind:     global_buffer
      - .offset:         32
        .size:           4
        .value_kind:     by_value
      - .offset:         40
        .size:           8
        .value_kind:     by_value
      - .address_space:  global
        .offset:         48
        .size:           8
        .value_kind:     global_buffer
      - .offset:         56
        .size:           1
        .value_kind:     by_value
      - .offset:         57
        .size:           1
        .value_kind:     by_value
    .group_segment_fixed_size: 2056
    .kernarg_segment_align: 8
    .kernarg_segment_size: 60
    .language:       OpenCL C
    .language_version:
      - 2
      - 0
    .max_flat_workgroup_size: 64
    .name:           _ZN9rocsolver6v33100L18getri_kernel_smallILi32E19rocblas_complex_numIdEPKPS3_EEvT1_iilPiilS8_bb
    .private_segment_fixed_size: 528
    .sgpr_count:     60
    .sgpr_spill_count: 0
    .symbol:         _ZN9rocsolver6v33100L18getri_kernel_smallILi32E19rocblas_complex_numIdEPKPS3_EEvT1_iilPiilS8_bb.kd
    .uniform_work_group_size: 1
    .uses_dynamic_stack: false
    .vgpr_count:     146
    .vgpr_spill_count: 0
    .wavefront_size: 32
  - .args:
      - .address_space:  global
        .offset:         0
        .size:           8
        .value_kind:     global_buffer
      - .offset:         8
        .size:           4
        .value_kind:     by_value
      - .offset:         12
        .size:           4
        .value_kind:     by_value
      - .offset:         16
        .size:           8
        .value_kind:     by_value
      - .address_space:  global
        .offset:         24
        .size:           8
        .value_kind:     global_buffer
      - .offset:         32
        .size:           4
        .value_kind:     by_value
      - .offset:         40
        .size:           8
        .value_kind:     by_value
      - .address_space:  global
        .offset:         48
        .size:           8
        .value_kind:     global_buffer
      - .offset:         56
        .size:           1
        .value_kind:     by_value
      - .offset:         57
        .size:           1
        .value_kind:     by_value
    .group_segment_fixed_size: 2088
    .kernarg_segment_align: 8
    .kernarg_segment_size: 60
    .language:       OpenCL C
    .language_version:
      - 2
      - 0
    .max_flat_workgroup_size: 64
    .name:           _ZN9rocsolver6v33100L18getri_kernel_smallILi33E19rocblas_complex_numIdEPKPS3_EEvT1_iilPiilS8_bb
    .private_segment_fixed_size: 544
    .sgpr_count:     62
    .sgpr_spill_count: 0
    .symbol:         _ZN9rocsolver6v33100L18getri_kernel_smallILi33E19rocblas_complex_numIdEPKPS3_EEvT1_iilPiilS8_bb.kd
    .uniform_work_group_size: 1
    .uses_dynamic_stack: false
    .vgpr_count:     148
    .vgpr_spill_count: 0
    .wavefront_size: 32
  - .args:
      - .address_space:  global
        .offset:         0
        .size:           8
        .value_kind:     global_buffer
      - .offset:         8
        .size:           4
        .value_kind:     by_value
      - .offset:         12
        .size:           4
        .value_kind:     by_value
      - .offset:         16
        .size:           8
        .value_kind:     by_value
      - .address_space:  global
        .offset:         24
        .size:           8
        .value_kind:     global_buffer
      - .offset:         32
        .size:           4
        .value_kind:     by_value
      - .offset:         40
        .size:           8
        .value_kind:     by_value
      - .address_space:  global
        .offset:         48
        .size:           8
        .value_kind:     global_buffer
      - .offset:         56
        .size:           1
        .value_kind:     by_value
      - .offset:         57
        .size:           1
        .value_kind:     by_value
    .group_segment_fixed_size: 2120
    .kernarg_segment_align: 8
    .kernarg_segment_size: 60
    .language:       OpenCL C
    .language_version:
      - 2
      - 0
    .max_flat_workgroup_size: 64
    .name:           _ZN9rocsolver6v33100L18getri_kernel_smallILi34E19rocblas_complex_numIdEPKPS3_EEvT1_iilPiilS8_bb
    .private_segment_fixed_size: 560
    .sgpr_count:     63
    .sgpr_spill_count: 0
    .symbol:         _ZN9rocsolver6v33100L18getri_kernel_smallILi34E19rocblas_complex_numIdEPKPS3_EEvT1_iilPiilS8_bb.kd
    .uniform_work_group_size: 1
    .uses_dynamic_stack: false
    .vgpr_count:     150
    .vgpr_spill_count: 0
    .wavefront_size: 32
  - .args:
      - .address_space:  global
        .offset:         0
        .size:           8
        .value_kind:     global_buffer
      - .offset:         8
        .size:           4
        .value_kind:     by_value
      - .offset:         12
        .size:           4
        .value_kind:     by_value
      - .offset:         16
        .size:           8
        .value_kind:     by_value
      - .address_space:  global
        .offset:         24
        .size:           8
        .value_kind:     global_buffer
      - .offset:         32
        .size:           4
        .value_kind:     by_value
      - .offset:         40
        .size:           8
        .value_kind:     by_value
      - .address_space:  global
        .offset:         48
        .size:           8
        .value_kind:     global_buffer
      - .offset:         56
        .size:           1
        .value_kind:     by_value
      - .offset:         57
        .size:           1
        .value_kind:     by_value
    .group_segment_fixed_size: 2152
    .kernarg_segment_align: 8
    .kernarg_segment_size: 60
    .language:       OpenCL C
    .language_version:
      - 2
      - 0
    .max_flat_workgroup_size: 64
    .name:           _ZN9rocsolver6v33100L18getri_kernel_smallILi35E19rocblas_complex_numIdEPKPS3_EEvT1_iilPiilS8_bb
    .private_segment_fixed_size: 576
    .sgpr_count:     65
    .sgpr_spill_count: 0
    .symbol:         _ZN9rocsolver6v33100L18getri_kernel_smallILi35E19rocblas_complex_numIdEPKPS3_EEvT1_iilPiilS8_bb.kd
    .uniform_work_group_size: 1
    .uses_dynamic_stack: false
    .vgpr_count:     152
    .vgpr_spill_count: 0
    .wavefront_size: 32
  - .args:
      - .address_space:  global
        .offset:         0
        .size:           8
        .value_kind:     global_buffer
      - .offset:         8
        .size:           4
        .value_kind:     by_value
      - .offset:         12
        .size:           4
        .value_kind:     by_value
      - .offset:         16
        .size:           8
        .value_kind:     by_value
      - .address_space:  global
        .offset:         24
        .size:           8
        .value_kind:     global_buffer
      - .offset:         32
        .size:           4
        .value_kind:     by_value
      - .offset:         40
        .size:           8
        .value_kind:     by_value
      - .address_space:  global
        .offset:         48
        .size:           8
        .value_kind:     global_buffer
      - .offset:         56
        .size:           1
        .value_kind:     by_value
      - .offset:         57
        .size:           1
        .value_kind:     by_value
    .group_segment_fixed_size: 2184
    .kernarg_segment_align: 8
    .kernarg_segment_size: 60
    .language:       OpenCL C
    .language_version:
      - 2
      - 0
    .max_flat_workgroup_size: 64
    .name:           _ZN9rocsolver6v33100L18getri_kernel_smallILi36E19rocblas_complex_numIdEPKPS3_EEvT1_iilPiilS8_bb
    .private_segment_fixed_size: 592
    .sgpr_count:     66
    .sgpr_spill_count: 0
    .symbol:         _ZN9rocsolver6v33100L18getri_kernel_smallILi36E19rocblas_complex_numIdEPKPS3_EEvT1_iilPiilS8_bb.kd
    .uniform_work_group_size: 1
    .uses_dynamic_stack: false
    .vgpr_count:     156
    .vgpr_spill_count: 0
    .wavefront_size: 32
  - .args:
      - .address_space:  global
        .offset:         0
        .size:           8
        .value_kind:     global_buffer
      - .offset:         8
        .size:           4
        .value_kind:     by_value
      - .offset:         12
        .size:           4
        .value_kind:     by_value
      - .offset:         16
        .size:           8
        .value_kind:     by_value
      - .address_space:  global
        .offset:         24
        .size:           8
        .value_kind:     global_buffer
      - .offset:         32
        .size:           4
        .value_kind:     by_value
      - .offset:         40
        .size:           8
        .value_kind:     by_value
      - .address_space:  global
        .offset:         48
        .size:           8
        .value_kind:     global_buffer
      - .offset:         56
        .size:           1
        .value_kind:     by_value
      - .offset:         57
        .size:           1
        .value_kind:     by_value
    .group_segment_fixed_size: 2216
    .kernarg_segment_align: 8
    .kernarg_segment_size: 60
    .language:       OpenCL C
    .language_version:
      - 2
      - 0
    .max_flat_workgroup_size: 64
    .name:           _ZN9rocsolver6v33100L18getri_kernel_smallILi37E19rocblas_complex_numIdEPKPS3_EEvT1_iilPiilS8_bb
    .private_segment_fixed_size: 608
    .sgpr_count:     68
    .sgpr_spill_count: 0
    .symbol:         _ZN9rocsolver6v33100L18getri_kernel_smallILi37E19rocblas_complex_numIdEPKPS3_EEvT1_iilPiilS8_bb.kd
    .uniform_work_group_size: 1
    .uses_dynamic_stack: false
    .vgpr_count:     156
    .vgpr_spill_count: 0
    .wavefront_size: 32
  - .args:
      - .address_space:  global
        .offset:         0
        .size:           8
        .value_kind:     global_buffer
      - .offset:         8
        .size:           4
        .value_kind:     by_value
      - .offset:         12
        .size:           4
        .value_kind:     by_value
      - .offset:         16
        .size:           8
        .value_kind:     by_value
      - .address_space:  global
        .offset:         24
        .size:           8
        .value_kind:     global_buffer
      - .offset:         32
        .size:           4
        .value_kind:     by_value
      - .offset:         40
        .size:           8
        .value_kind:     by_value
      - .address_space:  global
        .offset:         48
        .size:           8
        .value_kind:     global_buffer
      - .offset:         56
        .size:           1
        .value_kind:     by_value
      - .offset:         57
        .size:           1
        .value_kind:     by_value
    .group_segment_fixed_size: 2248
    .kernarg_segment_align: 8
    .kernarg_segment_size: 60
    .language:       OpenCL C
    .language_version:
      - 2
      - 0
    .max_flat_workgroup_size: 64
    .name:           _ZN9rocsolver6v33100L18getri_kernel_smallILi38E19rocblas_complex_numIdEPKPS3_EEvT1_iilPiilS8_bb
    .private_segment_fixed_size: 624
    .sgpr_count:     69
    .sgpr_spill_count: 0
    .symbol:         _ZN9rocsolver6v33100L18getri_kernel_smallILi38E19rocblas_complex_numIdEPKPS3_EEvT1_iilPiilS8_bb.kd
    .uniform_work_group_size: 1
    .uses_dynamic_stack: false
    .vgpr_count:     162
    .vgpr_spill_count: 0
    .wavefront_size: 32
  - .args:
      - .address_space:  global
        .offset:         0
        .size:           8
        .value_kind:     global_buffer
      - .offset:         8
        .size:           4
        .value_kind:     by_value
      - .offset:         12
        .size:           4
        .value_kind:     by_value
      - .offset:         16
        .size:           8
        .value_kind:     by_value
      - .address_space:  global
        .offset:         24
        .size:           8
        .value_kind:     global_buffer
      - .offset:         32
        .size:           4
        .value_kind:     by_value
      - .offset:         40
        .size:           8
        .value_kind:     by_value
      - .address_space:  global
        .offset:         48
        .size:           8
        .value_kind:     global_buffer
      - .offset:         56
        .size:           1
        .value_kind:     by_value
      - .offset:         57
        .size:           1
        .value_kind:     by_value
    .group_segment_fixed_size: 2280
    .kernarg_segment_align: 8
    .kernarg_segment_size: 60
    .language:       OpenCL C
    .language_version:
      - 2
      - 0
    .max_flat_workgroup_size: 64
    .name:           _ZN9rocsolver6v33100L18getri_kernel_smallILi39E19rocblas_complex_numIdEPKPS3_EEvT1_iilPiilS8_bb
    .private_segment_fixed_size: 640
    .sgpr_count:     71
    .sgpr_spill_count: 0
    .symbol:         _ZN9rocsolver6v33100L18getri_kernel_smallILi39E19rocblas_complex_numIdEPKPS3_EEvT1_iilPiilS8_bb.kd
    .uniform_work_group_size: 1
    .uses_dynamic_stack: false
    .vgpr_count:     160
    .vgpr_spill_count: 0
    .wavefront_size: 32
  - .args:
      - .address_space:  global
        .offset:         0
        .size:           8
        .value_kind:     global_buffer
      - .offset:         8
        .size:           4
        .value_kind:     by_value
      - .offset:         12
        .size:           4
        .value_kind:     by_value
      - .offset:         16
        .size:           8
        .value_kind:     by_value
      - .address_space:  global
        .offset:         24
        .size:           8
        .value_kind:     global_buffer
      - .offset:         32
        .size:           4
        .value_kind:     by_value
      - .offset:         40
        .size:           8
        .value_kind:     by_value
      - .address_space:  global
        .offset:         48
        .size:           8
        .value_kind:     global_buffer
      - .offset:         56
        .size:           1
        .value_kind:     by_value
      - .offset:         57
        .size:           1
        .value_kind:     by_value
    .group_segment_fixed_size: 2312
    .kernarg_segment_align: 8
    .kernarg_segment_size: 60
    .language:       OpenCL C
    .language_version:
      - 2
      - 0
    .max_flat_workgroup_size: 64
    .name:           _ZN9rocsolver6v33100L18getri_kernel_smallILi40E19rocblas_complex_numIdEPKPS3_EEvT1_iilPiilS8_bb
    .private_segment_fixed_size: 656
    .sgpr_count:     72
    .sgpr_spill_count: 0
    .symbol:         _ZN9rocsolver6v33100L18getri_kernel_smallILi40E19rocblas_complex_numIdEPKPS3_EEvT1_iilPiilS8_bb.kd
    .uniform_work_group_size: 1
    .uses_dynamic_stack: false
    .vgpr_count:     162
    .vgpr_spill_count: 0
    .wavefront_size: 32
  - .args:
      - .address_space:  global
        .offset:         0
        .size:           8
        .value_kind:     global_buffer
      - .offset:         8
        .size:           4
        .value_kind:     by_value
      - .offset:         12
        .size:           4
        .value_kind:     by_value
      - .offset:         16
        .size:           8
        .value_kind:     by_value
      - .address_space:  global
        .offset:         24
        .size:           8
        .value_kind:     global_buffer
      - .offset:         32
        .size:           4
        .value_kind:     by_value
      - .offset:         40
        .size:           8
        .value_kind:     by_value
      - .address_space:  global
        .offset:         48
        .size:           8
        .value_kind:     global_buffer
      - .offset:         56
        .size:           1
        .value_kind:     by_value
      - .offset:         57
        .size:           1
        .value_kind:     by_value
    .group_segment_fixed_size: 2344
    .kernarg_segment_align: 8
    .kernarg_segment_size: 60
    .language:       OpenCL C
    .language_version:
      - 2
      - 0
    .max_flat_workgroup_size: 64
    .name:           _ZN9rocsolver6v33100L18getri_kernel_smallILi41E19rocblas_complex_numIdEPKPS3_EEvT1_iilPiilS8_bb
    .private_segment_fixed_size: 672
    .sgpr_count:     74
    .sgpr_spill_count: 0
    .symbol:         _ZN9rocsolver6v33100L18getri_kernel_smallILi41E19rocblas_complex_numIdEPKPS3_EEvT1_iilPiilS8_bb.kd
    .uniform_work_group_size: 1
    .uses_dynamic_stack: false
    .vgpr_count:     164
    .vgpr_spill_count: 0
    .wavefront_size: 32
  - .args:
      - .address_space:  global
        .offset:         0
        .size:           8
        .value_kind:     global_buffer
      - .offset:         8
        .size:           4
        .value_kind:     by_value
      - .offset:         12
        .size:           4
        .value_kind:     by_value
      - .offset:         16
        .size:           8
        .value_kind:     by_value
      - .address_space:  global
        .offset:         24
        .size:           8
        .value_kind:     global_buffer
      - .offset:         32
        .size:           4
        .value_kind:     by_value
      - .offset:         40
        .size:           8
        .value_kind:     by_value
      - .address_space:  global
        .offset:         48
        .size:           8
        .value_kind:     global_buffer
      - .offset:         56
        .size:           1
        .value_kind:     by_value
      - .offset:         57
        .size:           1
        .value_kind:     by_value
    .group_segment_fixed_size: 2376
    .kernarg_segment_align: 8
    .kernarg_segment_size: 60
    .language:       OpenCL C
    .language_version:
      - 2
      - 0
    .max_flat_workgroup_size: 64
    .name:           _ZN9rocsolver6v33100L18getri_kernel_smallILi42E19rocblas_complex_numIdEPKPS3_EEvT1_iilPiilS8_bb
    .private_segment_fixed_size: 688
    .sgpr_count:     75
    .sgpr_spill_count: 0
    .symbol:         _ZN9rocsolver6v33100L18getri_kernel_smallILi42E19rocblas_complex_numIdEPKPS3_EEvT1_iilPiilS8_bb.kd
    .uniform_work_group_size: 1
    .uses_dynamic_stack: false
    .vgpr_count:     166
    .vgpr_spill_count: 0
    .wavefront_size: 32
  - .args:
      - .address_space:  global
        .offset:         0
        .size:           8
        .value_kind:     global_buffer
      - .offset:         8
        .size:           4
        .value_kind:     by_value
      - .offset:         12
        .size:           4
        .value_kind:     by_value
      - .offset:         16
        .size:           8
        .value_kind:     by_value
      - .address_space:  global
        .offset:         24
        .size:           8
        .value_kind:     global_buffer
      - .offset:         32
        .size:           4
        .value_kind:     by_value
      - .offset:         40
        .size:           8
        .value_kind:     by_value
      - .address_space:  global
        .offset:         48
        .size:           8
        .value_kind:     global_buffer
      - .offset:         56
        .size:           1
        .value_kind:     by_value
      - .offset:         57
        .size:           1
        .value_kind:     by_value
    .group_segment_fixed_size: 2408
    .kernarg_segment_align: 8
    .kernarg_segment_size: 60
    .language:       OpenCL C
    .language_version:
      - 2
      - 0
    .max_flat_workgroup_size: 64
    .name:           _ZN9rocsolver6v33100L18getri_kernel_smallILi43E19rocblas_complex_numIdEPKPS3_EEvT1_iilPiilS8_bb
    .private_segment_fixed_size: 704
    .sgpr_count:     77
    .sgpr_spill_count: 0
    .symbol:         _ZN9rocsolver6v33100L18getri_kernel_smallILi43E19rocblas_complex_numIdEPKPS3_EEvT1_iilPiilS8_bb.kd
    .uniform_work_group_size: 1
    .uses_dynamic_stack: false
    .vgpr_count:     168
    .vgpr_spill_count: 0
    .wavefront_size: 32
  - .args:
      - .address_space:  global
        .offset:         0
        .size:           8
        .value_kind:     global_buffer
      - .offset:         8
        .size:           4
        .value_kind:     by_value
      - .offset:         12
        .size:           4
        .value_kind:     by_value
      - .offset:         16
        .size:           8
        .value_kind:     by_value
      - .address_space:  global
        .offset:         24
        .size:           8
        .value_kind:     global_buffer
      - .offset:         32
        .size:           4
        .value_kind:     by_value
      - .offset:         40
        .size:           8
        .value_kind:     by_value
      - .address_space:  global
        .offset:         48
        .size:           8
        .value_kind:     global_buffer
      - .offset:         56
        .size:           1
        .value_kind:     by_value
      - .offset:         57
        .size:           1
        .value_kind:     by_value
    .group_segment_fixed_size: 2440
    .kernarg_segment_align: 8
    .kernarg_segment_size: 60
    .language:       OpenCL C
    .language_version:
      - 2
      - 0
    .max_flat_workgroup_size: 64
    .name:           _ZN9rocsolver6v33100L18getri_kernel_smallILi44E19rocblas_complex_numIdEPKPS3_EEvT1_iilPiilS8_bb
    .private_segment_fixed_size: 720
    .sgpr_count:     78
    .sgpr_spill_count: 0
    .symbol:         _ZN9rocsolver6v33100L18getri_kernel_smallILi44E19rocblas_complex_numIdEPKPS3_EEvT1_iilPiilS8_bb.kd
    .uniform_work_group_size: 1
    .uses_dynamic_stack: false
    .vgpr_count:     170
    .vgpr_spill_count: 0
    .wavefront_size: 32
  - .args:
      - .address_space:  global
        .offset:         0
        .size:           8
        .value_kind:     global_buffer
      - .offset:         8
        .size:           4
        .value_kind:     by_value
      - .offset:         12
        .size:           4
        .value_kind:     by_value
      - .offset:         16
        .size:           8
        .value_kind:     by_value
      - .address_space:  global
        .offset:         24
        .size:           8
        .value_kind:     global_buffer
      - .offset:         32
        .size:           4
        .value_kind:     by_value
      - .offset:         40
        .size:           8
        .value_kind:     by_value
      - .address_space:  global
        .offset:         48
        .size:           8
        .value_kind:     global_buffer
      - .offset:         56
        .size:           1
        .value_kind:     by_value
      - .offset:         57
        .size:           1
        .value_kind:     by_value
    .group_segment_fixed_size: 2472
    .kernarg_segment_align: 8
    .kernarg_segment_size: 60
    .language:       OpenCL C
    .language_version:
      - 2
      - 0
    .max_flat_workgroup_size: 64
    .name:           _ZN9rocsolver6v33100L18getri_kernel_smallILi45E19rocblas_complex_numIdEPKPS3_EEvT1_iilPiilS8_bb
    .private_segment_fixed_size: 736
    .sgpr_count:     80
    .sgpr_spill_count: 0
    .symbol:         _ZN9rocsolver6v33100L18getri_kernel_smallILi45E19rocblas_complex_numIdEPKPS3_EEvT1_iilPiilS8_bb.kd
    .uniform_work_group_size: 1
    .uses_dynamic_stack: false
    .vgpr_count:     172
    .vgpr_spill_count: 0
    .wavefront_size: 32
  - .args:
      - .address_space:  global
        .offset:         0
        .size:           8
        .value_kind:     global_buffer
      - .offset:         8
        .size:           4
        .value_kind:     by_value
      - .offset:         12
        .size:           4
        .value_kind:     by_value
      - .offset:         16
        .size:           8
        .value_kind:     by_value
      - .address_space:  global
        .offset:         24
        .size:           8
        .value_kind:     global_buffer
      - .offset:         32
        .size:           4
        .value_kind:     by_value
      - .offset:         40
        .size:           8
        .value_kind:     by_value
      - .address_space:  global
        .offset:         48
        .size:           8
        .value_kind:     global_buffer
      - .offset:         56
        .size:           1
        .value_kind:     by_value
      - .offset:         57
        .size:           1
        .value_kind:     by_value
    .group_segment_fixed_size: 2504
    .kernarg_segment_align: 8
    .kernarg_segment_size: 60
    .language:       OpenCL C
    .language_version:
      - 2
      - 0
    .max_flat_workgroup_size: 64
    .name:           _ZN9rocsolver6v33100L18getri_kernel_smallILi46E19rocblas_complex_numIdEPKPS3_EEvT1_iilPiilS8_bb
    .private_segment_fixed_size: 752
    .sgpr_count:     81
    .sgpr_spill_count: 0
    .symbol:         _ZN9rocsolver6v33100L18getri_kernel_smallILi46E19rocblas_complex_numIdEPKPS3_EEvT1_iilPiilS8_bb.kd
    .uniform_work_group_size: 1
    .uses_dynamic_stack: false
    .vgpr_count:     174
    .vgpr_spill_count: 0
    .wavefront_size: 32
  - .args:
      - .address_space:  global
        .offset:         0
        .size:           8
        .value_kind:     global_buffer
      - .offset:         8
        .size:           4
        .value_kind:     by_value
      - .offset:         12
        .size:           4
        .value_kind:     by_value
      - .offset:         16
        .size:           8
        .value_kind:     by_value
      - .address_space:  global
        .offset:         24
        .size:           8
        .value_kind:     global_buffer
      - .offset:         32
        .size:           4
        .value_kind:     by_value
      - .offset:         40
        .size:           8
        .value_kind:     by_value
      - .address_space:  global
        .offset:         48
        .size:           8
        .value_kind:     global_buffer
      - .offset:         56
        .size:           1
        .value_kind:     by_value
      - .offset:         57
        .size:           1
        .value_kind:     by_value
    .group_segment_fixed_size: 2536
    .kernarg_segment_align: 8
    .kernarg_segment_size: 60
    .language:       OpenCL C
    .language_version:
      - 2
      - 0
    .max_flat_workgroup_size: 64
    .name:           _ZN9rocsolver6v33100L18getri_kernel_smallILi47E19rocblas_complex_numIdEPKPS3_EEvT1_iilPiilS8_bb
    .private_segment_fixed_size: 768
    .sgpr_count:     83
    .sgpr_spill_count: 0
    .symbol:         _ZN9rocsolver6v33100L18getri_kernel_smallILi47E19rocblas_complex_numIdEPKPS3_EEvT1_iilPiilS8_bb.kd
    .uniform_work_group_size: 1
    .uses_dynamic_stack: false
    .vgpr_count:     176
    .vgpr_spill_count: 0
    .wavefront_size: 32
  - .args:
      - .address_space:  global
        .offset:         0
        .size:           8
        .value_kind:     global_buffer
      - .offset:         8
        .size:           4
        .value_kind:     by_value
      - .offset:         12
        .size:           4
        .value_kind:     by_value
      - .offset:         16
        .size:           8
        .value_kind:     by_value
      - .address_space:  global
        .offset:         24
        .size:           8
        .value_kind:     global_buffer
      - .offset:         32
        .size:           4
        .value_kind:     by_value
      - .offset:         40
        .size:           8
        .value_kind:     by_value
      - .address_space:  global
        .offset:         48
        .size:           8
        .value_kind:     global_buffer
      - .offset:         56
        .size:           1
        .value_kind:     by_value
      - .offset:         57
        .size:           1
        .value_kind:     by_value
    .group_segment_fixed_size: 2568
    .kernarg_segment_align: 8
    .kernarg_segment_size: 60
    .language:       OpenCL C
    .language_version:
      - 2
      - 0
    .max_flat_workgroup_size: 64
    .name:           _ZN9rocsolver6v33100L18getri_kernel_smallILi48E19rocblas_complex_numIdEPKPS3_EEvT1_iilPiilS8_bb
    .private_segment_fixed_size: 784
    .sgpr_count:     84
    .sgpr_spill_count: 0
    .symbol:         _ZN9rocsolver6v33100L18getri_kernel_smallILi48E19rocblas_complex_numIdEPKPS3_EEvT1_iilPiilS8_bb.kd
    .uniform_work_group_size: 1
    .uses_dynamic_stack: false
    .vgpr_count:     178
    .vgpr_spill_count: 0
    .wavefront_size: 32
  - .args:
      - .address_space:  global
        .offset:         0
        .size:           8
        .value_kind:     global_buffer
      - .offset:         8
        .size:           4
        .value_kind:     by_value
      - .offset:         12
        .size:           4
        .value_kind:     by_value
      - .offset:         16
        .size:           8
        .value_kind:     by_value
      - .address_space:  global
        .offset:         24
        .size:           8
        .value_kind:     global_buffer
      - .offset:         32
        .size:           4
        .value_kind:     by_value
      - .offset:         40
        .size:           8
        .value_kind:     by_value
      - .address_space:  global
        .offset:         48
        .size:           8
        .value_kind:     global_buffer
      - .offset:         56
        .size:           1
        .value_kind:     by_value
      - .offset:         57
        .size:           1
        .value_kind:     by_value
    .group_segment_fixed_size: 2600
    .kernarg_segment_align: 8
    .kernarg_segment_size: 60
    .language:       OpenCL C
    .language_version:
      - 2
      - 0
    .max_flat_workgroup_size: 64
    .name:           _ZN9rocsolver6v33100L18getri_kernel_smallILi49E19rocblas_complex_numIdEPKPS3_EEvT1_iilPiilS8_bb
    .private_segment_fixed_size: 800
    .sgpr_count:     86
    .sgpr_spill_count: 0
    .symbol:         _ZN9rocsolver6v33100L18getri_kernel_smallILi49E19rocblas_complex_numIdEPKPS3_EEvT1_iilPiilS8_bb.kd
    .uniform_work_group_size: 1
    .uses_dynamic_stack: false
    .vgpr_count:     180
    .vgpr_spill_count: 0
    .wavefront_size: 32
  - .args:
      - .address_space:  global
        .offset:         0
        .size:           8
        .value_kind:     global_buffer
      - .offset:         8
        .size:           4
        .value_kind:     by_value
      - .offset:         12
        .size:           4
        .value_kind:     by_value
      - .offset:         16
        .size:           8
        .value_kind:     by_value
      - .address_space:  global
        .offset:         24
        .size:           8
        .value_kind:     global_buffer
      - .offset:         32
        .size:           4
        .value_kind:     by_value
      - .offset:         40
        .size:           8
        .value_kind:     by_value
      - .address_space:  global
        .offset:         48
        .size:           8
        .value_kind:     global_buffer
      - .offset:         56
        .size:           1
        .value_kind:     by_value
      - .offset:         57
        .size:           1
        .value_kind:     by_value
    .group_segment_fixed_size: 2632
    .kernarg_segment_align: 8
    .kernarg_segment_size: 60
    .language:       OpenCL C
    .language_version:
      - 2
      - 0
    .max_flat_workgroup_size: 64
    .name:           _ZN9rocsolver6v33100L18getri_kernel_smallILi50E19rocblas_complex_numIdEPKPS3_EEvT1_iilPiilS8_bb
    .private_segment_fixed_size: 816
    .sgpr_count:     87
    .sgpr_spill_count: 0
    .symbol:         _ZN9rocsolver6v33100L18getri_kernel_smallILi50E19rocblas_complex_numIdEPKPS3_EEvT1_iilPiilS8_bb.kd
    .uniform_work_group_size: 1
    .uses_dynamic_stack: false
    .vgpr_count:     182
    .vgpr_spill_count: 0
    .wavefront_size: 32
  - .args:
      - .address_space:  global
        .offset:         0
        .size:           8
        .value_kind:     global_buffer
      - .offset:         8
        .size:           4
        .value_kind:     by_value
      - .offset:         12
        .size:           4
        .value_kind:     by_value
      - .offset:         16
        .size:           8
        .value_kind:     by_value
      - .address_space:  global
        .offset:         24
        .size:           8
        .value_kind:     global_buffer
      - .offset:         32
        .size:           4
        .value_kind:     by_value
      - .offset:         40
        .size:           8
        .value_kind:     by_value
      - .address_space:  global
        .offset:         48
        .size:           8
        .value_kind:     global_buffer
      - .offset:         56
        .size:           1
        .value_kind:     by_value
      - .offset:         57
        .size:           1
        .value_kind:     by_value
    .group_segment_fixed_size: 2664
    .kernarg_segment_align: 8
    .kernarg_segment_size: 60
    .language:       OpenCL C
    .language_version:
      - 2
      - 0
    .max_flat_workgroup_size: 64
    .name:           _ZN9rocsolver6v33100L18getri_kernel_smallILi51E19rocblas_complex_numIdEPKPS3_EEvT1_iilPiilS8_bb
    .private_segment_fixed_size: 832
    .sgpr_count:     89
    .sgpr_spill_count: 0
    .symbol:         _ZN9rocsolver6v33100L18getri_kernel_smallILi51E19rocblas_complex_numIdEPKPS3_EEvT1_iilPiilS8_bb.kd
    .uniform_work_group_size: 1
    .uses_dynamic_stack: false
    .vgpr_count:     184
    .vgpr_spill_count: 0
    .wavefront_size: 32
  - .args:
      - .address_space:  global
        .offset:         0
        .size:           8
        .value_kind:     global_buffer
      - .offset:         8
        .size:           4
        .value_kind:     by_value
      - .offset:         12
        .size:           4
        .value_kind:     by_value
      - .offset:         16
        .size:           8
        .value_kind:     by_value
      - .address_space:  global
        .offset:         24
        .size:           8
        .value_kind:     global_buffer
      - .offset:         32
        .size:           4
        .value_kind:     by_value
      - .offset:         40
        .size:           8
        .value_kind:     by_value
      - .address_space:  global
        .offset:         48
        .size:           8
        .value_kind:     global_buffer
      - .offset:         56
        .size:           1
        .value_kind:     by_value
      - .offset:         57
        .size:           1
        .value_kind:     by_value
    .group_segment_fixed_size: 2696
    .kernarg_segment_align: 8
    .kernarg_segment_size: 60
    .language:       OpenCL C
    .language_version:
      - 2
      - 0
    .max_flat_workgroup_size: 64
    .name:           _ZN9rocsolver6v33100L18getri_kernel_smallILi52E19rocblas_complex_numIdEPKPS3_EEvT1_iilPiilS8_bb
    .private_segment_fixed_size: 848
    .sgpr_count:     90
    .sgpr_spill_count: 0
    .symbol:         _ZN9rocsolver6v33100L18getri_kernel_smallILi52E19rocblas_complex_numIdEPKPS3_EEvT1_iilPiilS8_bb.kd
    .uniform_work_group_size: 1
    .uses_dynamic_stack: false
    .vgpr_count:     186
    .vgpr_spill_count: 0
    .wavefront_size: 32
  - .args:
      - .address_space:  global
        .offset:         0
        .size:           8
        .value_kind:     global_buffer
      - .offset:         8
        .size:           4
        .value_kind:     by_value
      - .offset:         12
        .size:           4
        .value_kind:     by_value
      - .offset:         16
        .size:           8
        .value_kind:     by_value
      - .address_space:  global
        .offset:         24
        .size:           8
        .value_kind:     global_buffer
      - .offset:         32
        .size:           4
        .value_kind:     by_value
      - .offset:         40
        .size:           8
        .value_kind:     by_value
      - .address_space:  global
        .offset:         48
        .size:           8
        .value_kind:     global_buffer
      - .offset:         56
        .size:           1
        .value_kind:     by_value
      - .offset:         57
        .size:           1
        .value_kind:     by_value
    .group_segment_fixed_size: 2728
    .kernarg_segment_align: 8
    .kernarg_segment_size: 60
    .language:       OpenCL C
    .language_version:
      - 2
      - 0
    .max_flat_workgroup_size: 64
    .name:           _ZN9rocsolver6v33100L18getri_kernel_smallILi53E19rocblas_complex_numIdEPKPS3_EEvT1_iilPiilS8_bb
    .private_segment_fixed_size: 864
    .sgpr_count:     92
    .sgpr_spill_count: 0
    .symbol:         _ZN9rocsolver6v33100L18getri_kernel_smallILi53E19rocblas_complex_numIdEPKPS3_EEvT1_iilPiilS8_bb.kd
    .uniform_work_group_size: 1
    .uses_dynamic_stack: false
    .vgpr_count:     188
    .vgpr_spill_count: 0
    .wavefront_size: 32
  - .args:
      - .address_space:  global
        .offset:         0
        .size:           8
        .value_kind:     global_buffer
      - .offset:         8
        .size:           4
        .value_kind:     by_value
      - .offset:         12
        .size:           4
        .value_kind:     by_value
      - .offset:         16
        .size:           8
        .value_kind:     by_value
      - .address_space:  global
        .offset:         24
        .size:           8
        .value_kind:     global_buffer
      - .offset:         32
        .size:           4
        .value_kind:     by_value
      - .offset:         40
        .size:           8
        .value_kind:     by_value
      - .address_space:  global
        .offset:         48
        .size:           8
        .value_kind:     global_buffer
      - .offset:         56
        .size:           1
        .value_kind:     by_value
      - .offset:         57
        .size:           1
        .value_kind:     by_value
    .group_segment_fixed_size: 2760
    .kernarg_segment_align: 8
    .kernarg_segment_size: 60
    .language:       OpenCL C
    .language_version:
      - 2
      - 0
    .max_flat_workgroup_size: 64
    .name:           _ZN9rocsolver6v33100L18getri_kernel_smallILi54E19rocblas_complex_numIdEPKPS3_EEvT1_iilPiilS8_bb
    .private_segment_fixed_size: 880
    .sgpr_count:     93
    .sgpr_spill_count: 0
    .symbol:         _ZN9rocsolver6v33100L18getri_kernel_smallILi54E19rocblas_complex_numIdEPKPS3_EEvT1_iilPiilS8_bb.kd
    .uniform_work_group_size: 1
    .uses_dynamic_stack: false
    .vgpr_count:     190
    .vgpr_spill_count: 0
    .wavefront_size: 32
  - .args:
      - .address_space:  global
        .offset:         0
        .size:           8
        .value_kind:     global_buffer
      - .offset:         8
        .size:           4
        .value_kind:     by_value
      - .offset:         12
        .size:           4
        .value_kind:     by_value
      - .offset:         16
        .size:           8
        .value_kind:     by_value
      - .address_space:  global
        .offset:         24
        .size:           8
        .value_kind:     global_buffer
      - .offset:         32
        .size:           4
        .value_kind:     by_value
      - .offset:         40
        .size:           8
        .value_kind:     by_value
      - .address_space:  global
        .offset:         48
        .size:           8
        .value_kind:     global_buffer
      - .offset:         56
        .size:           1
        .value_kind:     by_value
      - .offset:         57
        .size:           1
        .value_kind:     by_value
    .group_segment_fixed_size: 2792
    .kernarg_segment_align: 8
    .kernarg_segment_size: 60
    .language:       OpenCL C
    .language_version:
      - 2
      - 0
    .max_flat_workgroup_size: 64
    .name:           _ZN9rocsolver6v33100L18getri_kernel_smallILi55E19rocblas_complex_numIdEPKPS3_EEvT1_iilPiilS8_bb
    .private_segment_fixed_size: 896
    .sgpr_count:     95
    .sgpr_spill_count: 0
    .symbol:         _ZN9rocsolver6v33100L18getri_kernel_smallILi55E19rocblas_complex_numIdEPKPS3_EEvT1_iilPiilS8_bb.kd
    .uniform_work_group_size: 1
    .uses_dynamic_stack: false
    .vgpr_count:     192
    .vgpr_spill_count: 0
    .wavefront_size: 32
  - .args:
      - .address_space:  global
        .offset:         0
        .size:           8
        .value_kind:     global_buffer
      - .offset:         8
        .size:           4
        .value_kind:     by_value
      - .offset:         12
        .size:           4
        .value_kind:     by_value
      - .offset:         16
        .size:           8
        .value_kind:     by_value
      - .address_space:  global
        .offset:         24
        .size:           8
        .value_kind:     global_buffer
      - .offset:         32
        .size:           4
        .value_kind:     by_value
      - .offset:         40
        .size:           8
        .value_kind:     by_value
      - .address_space:  global
        .offset:         48
        .size:           8
        .value_kind:     global_buffer
      - .offset:         56
        .size:           1
        .value_kind:     by_value
      - .offset:         57
        .size:           1
        .value_kind:     by_value
    .group_segment_fixed_size: 2824
    .kernarg_segment_align: 8
    .kernarg_segment_size: 60
    .language:       OpenCL C
    .language_version:
      - 2
      - 0
    .max_flat_workgroup_size: 64
    .name:           _ZN9rocsolver6v33100L18getri_kernel_smallILi56E19rocblas_complex_numIdEPKPS3_EEvT1_iilPiilS8_bb
    .private_segment_fixed_size: 912
    .sgpr_count:     96
    .sgpr_spill_count: 0
    .symbol:         _ZN9rocsolver6v33100L18getri_kernel_smallILi56E19rocblas_complex_numIdEPKPS3_EEvT1_iilPiilS8_bb.kd
    .uniform_work_group_size: 1
    .uses_dynamic_stack: false
    .vgpr_count:     194
    .vgpr_spill_count: 0
    .wavefront_size: 32
  - .args:
      - .address_space:  global
        .offset:         0
        .size:           8
        .value_kind:     global_buffer
      - .offset:         8
        .size:           4
        .value_kind:     by_value
      - .offset:         12
        .size:           4
        .value_kind:     by_value
      - .offset:         16
        .size:           8
        .value_kind:     by_value
      - .address_space:  global
        .offset:         24
        .size:           8
        .value_kind:     global_buffer
      - .offset:         32
        .size:           4
        .value_kind:     by_value
      - .offset:         40
        .size:           8
        .value_kind:     by_value
      - .address_space:  global
        .offset:         48
        .size:           8
        .value_kind:     global_buffer
      - .offset:         56
        .size:           1
        .value_kind:     by_value
      - .offset:         57
        .size:           1
        .value_kind:     by_value
    .group_segment_fixed_size: 2856
    .kernarg_segment_align: 8
    .kernarg_segment_size: 60
    .language:       OpenCL C
    .language_version:
      - 2
      - 0
    .max_flat_workgroup_size: 64
    .name:           _ZN9rocsolver6v33100L18getri_kernel_smallILi57E19rocblas_complex_numIdEPKPS3_EEvT1_iilPiilS8_bb
    .private_segment_fixed_size: 928
    .sgpr_count:     98
    .sgpr_spill_count: 0
    .symbol:         _ZN9rocsolver6v33100L18getri_kernel_smallILi57E19rocblas_complex_numIdEPKPS3_EEvT1_iilPiilS8_bb.kd
    .uniform_work_group_size: 1
    .uses_dynamic_stack: false
    .vgpr_count:     196
    .vgpr_spill_count: 0
    .wavefront_size: 32
  - .args:
      - .address_space:  global
        .offset:         0
        .size:           8
        .value_kind:     global_buffer
      - .offset:         8
        .size:           4
        .value_kind:     by_value
      - .offset:         12
        .size:           4
        .value_kind:     by_value
      - .offset:         16
        .size:           8
        .value_kind:     by_value
      - .address_space:  global
        .offset:         24
        .size:           8
        .value_kind:     global_buffer
      - .offset:         32
        .size:           4
        .value_kind:     by_value
      - .offset:         40
        .size:           8
        .value_kind:     by_value
      - .address_space:  global
        .offset:         48
        .size:           8
        .value_kind:     global_buffer
      - .offset:         56
        .size:           1
        .value_kind:     by_value
      - .offset:         57
        .size:           1
        .value_kind:     by_value
    .group_segment_fixed_size: 2888
    .kernarg_segment_align: 8
    .kernarg_segment_size: 60
    .language:       OpenCL C
    .language_version:
      - 2
      - 0
    .max_flat_workgroup_size: 64
    .name:           _ZN9rocsolver6v33100L18getri_kernel_smallILi58E19rocblas_complex_numIdEPKPS3_EEvT1_iilPiilS8_bb
    .private_segment_fixed_size: 944
    .sgpr_count:     99
    .sgpr_spill_count: 0
    .symbol:         _ZN9rocsolver6v33100L18getri_kernel_smallILi58E19rocblas_complex_numIdEPKPS3_EEvT1_iilPiilS8_bb.kd
    .uniform_work_group_size: 1
    .uses_dynamic_stack: false
    .vgpr_count:     198
    .vgpr_spill_count: 0
    .wavefront_size: 32
  - .args:
      - .address_space:  global
        .offset:         0
        .size:           8
        .value_kind:     global_buffer
      - .offset:         8
        .size:           4
        .value_kind:     by_value
      - .offset:         12
        .size:           4
        .value_kind:     by_value
      - .offset:         16
        .size:           8
        .value_kind:     by_value
      - .address_space:  global
        .offset:         24
        .size:           8
        .value_kind:     global_buffer
      - .offset:         32
        .size:           4
        .value_kind:     by_value
      - .offset:         40
        .size:           8
        .value_kind:     by_value
      - .address_space:  global
        .offset:         48
        .size:           8
        .value_kind:     global_buffer
      - .offset:         56
        .size:           1
        .value_kind:     by_value
      - .offset:         57
        .size:           1
        .value_kind:     by_value
    .group_segment_fixed_size: 2920
    .kernarg_segment_align: 8
    .kernarg_segment_size: 60
    .language:       OpenCL C
    .language_version:
      - 2
      - 0
    .max_flat_workgroup_size: 64
    .name:           _ZN9rocsolver6v33100L18getri_kernel_smallILi59E19rocblas_complex_numIdEPKPS3_EEvT1_iilPiilS8_bb
    .private_segment_fixed_size: 960
    .sgpr_count:     101
    .sgpr_spill_count: 0
    .symbol:         _ZN9rocsolver6v33100L18getri_kernel_smallILi59E19rocblas_complex_numIdEPKPS3_EEvT1_iilPiilS8_bb.kd
    .uniform_work_group_size: 1
    .uses_dynamic_stack: false
    .vgpr_count:     200
    .vgpr_spill_count: 0
    .wavefront_size: 32
  - .args:
      - .address_space:  global
        .offset:         0
        .size:           8
        .value_kind:     global_buffer
      - .offset:         8
        .size:           4
        .value_kind:     by_value
      - .offset:         12
        .size:           4
        .value_kind:     by_value
      - .offset:         16
        .size:           8
        .value_kind:     by_value
      - .address_space:  global
        .offset:         24
        .size:           8
        .value_kind:     global_buffer
      - .offset:         32
        .size:           4
        .value_kind:     by_value
      - .offset:         40
        .size:           8
        .value_kind:     by_value
      - .address_space:  global
        .offset:         48
        .size:           8
        .value_kind:     global_buffer
      - .offset:         56
        .size:           1
        .value_kind:     by_value
      - .offset:         57
        .size:           1
        .value_kind:     by_value
    .group_segment_fixed_size: 2952
    .kernarg_segment_align: 8
    .kernarg_segment_size: 60
    .language:       OpenCL C
    .language_version:
      - 2
      - 0
    .max_flat_workgroup_size: 64
    .name:           _ZN9rocsolver6v33100L18getri_kernel_smallILi60E19rocblas_complex_numIdEPKPS3_EEvT1_iilPiilS8_bb
    .private_segment_fixed_size: 976
    .sgpr_count:     102
    .sgpr_spill_count: 0
    .symbol:         _ZN9rocsolver6v33100L18getri_kernel_smallILi60E19rocblas_complex_numIdEPKPS3_EEvT1_iilPiilS8_bb.kd
    .uniform_work_group_size: 1
    .uses_dynamic_stack: false
    .vgpr_count:     202
    .vgpr_spill_count: 0
    .wavefront_size: 32
  - .args:
      - .address_space:  global
        .offset:         0
        .size:           8
        .value_kind:     global_buffer
      - .offset:         8
        .size:           4
        .value_kind:     by_value
      - .offset:         12
        .size:           4
        .value_kind:     by_value
      - .offset:         16
        .size:           8
        .value_kind:     by_value
      - .address_space:  global
        .offset:         24
        .size:           8
        .value_kind:     global_buffer
      - .offset:         32
        .size:           4
        .value_kind:     by_value
      - .offset:         40
        .size:           8
        .value_kind:     by_value
      - .address_space:  global
        .offset:         48
        .size:           8
        .value_kind:     global_buffer
      - .offset:         56
        .size:           1
        .value_kind:     by_value
      - .offset:         57
        .size:           1
        .value_kind:     by_value
    .group_segment_fixed_size: 2984
    .kernarg_segment_align: 8
    .kernarg_segment_size: 60
    .language:       OpenCL C
    .language_version:
      - 2
      - 0
    .max_flat_workgroup_size: 64
    .name:           _ZN9rocsolver6v33100L18getri_kernel_smallILi61E19rocblas_complex_numIdEPKPS3_EEvT1_iilPiilS8_bb
    .private_segment_fixed_size: 992
    .sgpr_count:     107
    .sgpr_spill_count: 0
    .symbol:         _ZN9rocsolver6v33100L18getri_kernel_smallILi61E19rocblas_complex_numIdEPKPS3_EEvT1_iilPiilS8_bb.kd
    .uniform_work_group_size: 1
    .uses_dynamic_stack: false
    .vgpr_count:     204
    .vgpr_spill_count: 0
    .wavefront_size: 32
  - .args:
      - .address_space:  global
        .offset:         0
        .size:           8
        .value_kind:     global_buffer
      - .offset:         8
        .size:           4
        .value_kind:     by_value
      - .offset:         12
        .size:           4
        .value_kind:     by_value
      - .offset:         16
        .size:           8
        .value_kind:     by_value
      - .address_space:  global
        .offset:         24
        .size:           8
        .value_kind:     global_buffer
      - .offset:         32
        .size:           4
        .value_kind:     by_value
      - .offset:         40
        .size:           8
        .value_kind:     by_value
      - .address_space:  global
        .offset:         48
        .size:           8
        .value_kind:     global_buffer
      - .offset:         56
        .size:           1
        .value_kind:     by_value
      - .offset:         57
        .size:           1
        .value_kind:     by_value
    .group_segment_fixed_size: 3016
    .kernarg_segment_align: 8
    .kernarg_segment_size: 60
    .language:       OpenCL C
    .language_version:
      - 2
      - 0
    .max_flat_workgroup_size: 64
    .name:           _ZN9rocsolver6v33100L18getri_kernel_smallILi62E19rocblas_complex_numIdEPKPS3_EEvT1_iilPiilS8_bb
    .private_segment_fixed_size: 1008
    .sgpr_count:     107
    .sgpr_spill_count: 0
    .symbol:         _ZN9rocsolver6v33100L18getri_kernel_smallILi62E19rocblas_complex_numIdEPKPS3_EEvT1_iilPiilS8_bb.kd
    .uniform_work_group_size: 1
    .uses_dynamic_stack: false
    .vgpr_count:     206
    .vgpr_spill_count: 0
    .wavefront_size: 32
  - .args:
      - .address_space:  global
        .offset:         0
        .size:           8
        .value_kind:     global_buffer
      - .offset:         8
        .size:           4
        .value_kind:     by_value
      - .offset:         12
        .size:           4
        .value_kind:     by_value
      - .offset:         16
        .size:           8
        .value_kind:     by_value
      - .address_space:  global
        .offset:         24
        .size:           8
        .value_kind:     global_buffer
      - .offset:         32
        .size:           4
        .value_kind:     by_value
      - .offset:         40
        .size:           8
        .value_kind:     by_value
      - .address_space:  global
        .offset:         48
        .size:           8
        .value_kind:     global_buffer
      - .offset:         56
        .size:           1
        .value_kind:     by_value
      - .offset:         57
        .size:           1
        .value_kind:     by_value
    .group_segment_fixed_size: 3048
    .kernarg_segment_align: 8
    .kernarg_segment_size: 60
    .language:       OpenCL C
    .language_version:
      - 2
      - 0
    .max_flat_workgroup_size: 64
    .name:           _ZN9rocsolver6v33100L18getri_kernel_smallILi63E19rocblas_complex_numIdEPKPS3_EEvT1_iilPiilS8_bb
    .private_segment_fixed_size: 1024
    .sgpr_count:     107
    .sgpr_spill_count: 1
    .symbol:         _ZN9rocsolver6v33100L18getri_kernel_smallILi63E19rocblas_complex_numIdEPKPS3_EEvT1_iilPiilS8_bb.kd
    .uniform_work_group_size: 1
    .uses_dynamic_stack: false
    .vgpr_count:     211
    .vgpr_spill_count: 0
    .wavefront_size: 32
  - .args:
      - .address_space:  global
        .offset:         0
        .size:           8
        .value_kind:     global_buffer
      - .offset:         8
        .size:           4
        .value_kind:     by_value
      - .offset:         12
        .size:           4
        .value_kind:     by_value
      - .offset:         16
        .size:           8
        .value_kind:     by_value
      - .address_space:  global
        .offset:         24
        .size:           8
        .value_kind:     global_buffer
      - .offset:         32
        .size:           4
        .value_kind:     by_value
      - .offset:         40
        .size:           8
        .value_kind:     by_value
      - .address_space:  global
        .offset:         48
        .size:           8
        .value_kind:     global_buffer
      - .offset:         56
        .size:           1
        .value_kind:     by_value
      - .offset:         57
        .size:           1
        .value_kind:     by_value
    .group_segment_fixed_size: 3080
    .kernarg_segment_align: 8
    .kernarg_segment_size: 60
    .language:       OpenCL C
    .language_version:
      - 2
      - 0
    .max_flat_workgroup_size: 64
    .name:           _ZN9rocsolver6v33100L18getri_kernel_smallILi64E19rocblas_complex_numIdEPKPS3_EEvT1_iilPiilS8_bb
    .private_segment_fixed_size: 1040
    .sgpr_count:     107
    .sgpr_spill_count: 2
    .symbol:         _ZN9rocsolver6v33100L18getri_kernel_smallILi64E19rocblas_complex_numIdEPKPS3_EEvT1_iilPiilS8_bb.kd
    .uniform_work_group_size: 1
    .uses_dynamic_stack: false
    .vgpr_count:     211
    .vgpr_spill_count: 0
    .wavefront_size: 32
amdhsa.target:   amdgcn-amd-amdhsa--gfx1250
amdhsa.version:
  - 1
  - 2
...

	.end_amdgpu_metadata
